;; amdgpu-corpus repo=pytorch/pytorch kind=compiled arch=gfx1250 opt=O3
	.amdgcn_target "amdgcn-amd-amdhsa--gfx1250"
	.amdhsa_code_object_version 6
	.text
	.protected	_ZN2at6native25_assert_async_cuda_kernelEPKN3c107complexIfEENS0_3MsgE ; -- Begin function _ZN2at6native25_assert_async_cuda_kernelEPKN3c107complexIfEENS0_3MsgE
	.globl	_ZN2at6native25_assert_async_cuda_kernelEPKN3c107complexIfEENS0_3MsgE
	.p2align	8
	.type	_ZN2at6native25_assert_async_cuda_kernelEPKN3c107complexIfEENS0_3MsgE,@function
_ZN2at6native25_assert_async_cuda_kernelEPKN3c107complexIfEENS0_3MsgE: ; @_ZN2at6native25_assert_async_cuda_kernelEPKN3c107complexIfEENS0_3MsgE
; %bb.0:
	s_load_b64 s[0:1], s[0:1], 0x0
	s_wait_kmcnt 0x0
	s_load_b64 s[0:1], s[0:1], 0x0
	s_wait_kmcnt 0x0
	s_cmp_neq_f32 s0, 0
	s_cselect_b32 s0, -1, 0
	s_cmp_neq_f32 s1, 0
	s_cselect_b32 s1, -1, 0
	s_delay_alu instid0(SALU_CYCLE_1) | instskip(NEXT) | instid1(SALU_CYCLE_1)
	s_or_b32 s0, s0, s1
	s_and_b32 vcc_lo, exec_lo, s0
	s_cbranch_vccz .LBB0_2
; %bb.1:
	s_endpgm
.LBB0_2:
	s_trap 2
	.section	.rodata,"a",@progbits
	.p2align	6, 0x0
	.amdhsa_kernel _ZN2at6native25_assert_async_cuda_kernelEPKN3c107complexIfEENS0_3MsgE
		.amdhsa_group_segment_fixed_size 0
		.amdhsa_private_segment_fixed_size 0
		.amdhsa_kernarg_size 264
		.amdhsa_user_sgpr_count 2
		.amdhsa_user_sgpr_dispatch_ptr 0
		.amdhsa_user_sgpr_queue_ptr 0
		.amdhsa_user_sgpr_kernarg_segment_ptr 1
		.amdhsa_user_sgpr_dispatch_id 0
		.amdhsa_user_sgpr_kernarg_preload_length 0
		.amdhsa_user_sgpr_kernarg_preload_offset 0
		.amdhsa_user_sgpr_private_segment_size 0
		.amdhsa_wavefront_size32 1
		.amdhsa_uses_dynamic_stack 0
		.amdhsa_enable_private_segment 0
		.amdhsa_system_sgpr_workgroup_id_x 1
		.amdhsa_system_sgpr_workgroup_id_y 0
		.amdhsa_system_sgpr_workgroup_id_z 0
		.amdhsa_system_sgpr_workgroup_info 0
		.amdhsa_system_vgpr_workitem_id 0
		.amdhsa_next_free_vgpr 1
		.amdhsa_next_free_sgpr 2
		.amdhsa_named_barrier_count 0
		.amdhsa_reserve_vcc 1
		.amdhsa_float_round_mode_32 0
		.amdhsa_float_round_mode_16_64 0
		.amdhsa_float_denorm_mode_32 3
		.amdhsa_float_denorm_mode_16_64 3
		.amdhsa_fp16_overflow 0
		.amdhsa_memory_ordered 1
		.amdhsa_forward_progress 1
		.amdhsa_inst_pref_size 1
		.amdhsa_round_robin_scheduling 0
		.amdhsa_exception_fp_ieee_invalid_op 0
		.amdhsa_exception_fp_denorm_src 0
		.amdhsa_exception_fp_ieee_div_zero 0
		.amdhsa_exception_fp_ieee_overflow 0
		.amdhsa_exception_fp_ieee_underflow 0
		.amdhsa_exception_fp_ieee_inexact 0
		.amdhsa_exception_int_div_zero 0
	.end_amdhsa_kernel
	.text
.Lfunc_end0:
	.size	_ZN2at6native25_assert_async_cuda_kernelEPKN3c107complexIfEENS0_3MsgE, .Lfunc_end0-_ZN2at6native25_assert_async_cuda_kernelEPKN3c107complexIfEENS0_3MsgE
                                        ; -- End function
	.set _ZN2at6native25_assert_async_cuda_kernelEPKN3c107complexIfEENS0_3MsgE.num_vgpr, 0
	.set _ZN2at6native25_assert_async_cuda_kernelEPKN3c107complexIfEENS0_3MsgE.num_agpr, 0
	.set _ZN2at6native25_assert_async_cuda_kernelEPKN3c107complexIfEENS0_3MsgE.numbered_sgpr, 2
	.set _ZN2at6native25_assert_async_cuda_kernelEPKN3c107complexIfEENS0_3MsgE.num_named_barrier, 0
	.set _ZN2at6native25_assert_async_cuda_kernelEPKN3c107complexIfEENS0_3MsgE.private_seg_size, 0
	.set _ZN2at6native25_assert_async_cuda_kernelEPKN3c107complexIfEENS0_3MsgE.uses_vcc, 1
	.set _ZN2at6native25_assert_async_cuda_kernelEPKN3c107complexIfEENS0_3MsgE.uses_flat_scratch, 0
	.set _ZN2at6native25_assert_async_cuda_kernelEPKN3c107complexIfEENS0_3MsgE.has_dyn_sized_stack, 0
	.set _ZN2at6native25_assert_async_cuda_kernelEPKN3c107complexIfEENS0_3MsgE.has_recursion, 0
	.set _ZN2at6native25_assert_async_cuda_kernelEPKN3c107complexIfEENS0_3MsgE.has_indirect_call, 0
	.section	.AMDGPU.csdata,"",@progbits
; Kernel info:
; codeLenInByte = 64
; TotalNumSgprs: 4
; NumVgprs: 0
; ScratchSize: 0
; MemoryBound: 0
; FloatMode: 240
; IeeeMode: 1
; LDSByteSize: 0 bytes/workgroup (compile time only)
; SGPRBlocks: 0
; VGPRBlocks: 0
; NumSGPRsForWavesPerEU: 4
; NumVGPRsForWavesPerEU: 1
; NamedBarCnt: 0
; Occupancy: 16
; WaveLimiterHint : 0
; COMPUTE_PGM_RSRC2:SCRATCH_EN: 0
; COMPUTE_PGM_RSRC2:USER_SGPR: 2
; COMPUTE_PGM_RSRC2:TRAP_HANDLER: 0
; COMPUTE_PGM_RSRC2:TGID_X_EN: 1
; COMPUTE_PGM_RSRC2:TGID_Y_EN: 0
; COMPUTE_PGM_RSRC2:TGID_Z_EN: 0
; COMPUTE_PGM_RSRC2:TIDIG_COMP_CNT: 0
	.text
	.protected	_ZN2at6native25_assert_async_cuda_kernelEPKN3c107complexIdEENS0_3MsgE ; -- Begin function _ZN2at6native25_assert_async_cuda_kernelEPKN3c107complexIdEENS0_3MsgE
	.globl	_ZN2at6native25_assert_async_cuda_kernelEPKN3c107complexIdEENS0_3MsgE
	.p2align	8
	.type	_ZN2at6native25_assert_async_cuda_kernelEPKN3c107complexIdEENS0_3MsgE,@function
_ZN2at6native25_assert_async_cuda_kernelEPKN3c107complexIdEENS0_3MsgE: ; @_ZN2at6native25_assert_async_cuda_kernelEPKN3c107complexIdEENS0_3MsgE
; %bb.0:
	s_load_b64 s[0:1], s[0:1], 0x0
	s_wait_kmcnt 0x0
	s_load_b128 s[0:3], s[0:1], 0x0
	s_wait_kmcnt 0x0
	v_cmp_neq_f64_e64 s0, s[0:1], 0
	v_cmp_neq_f64_e64 s1, s[2:3], 0
	s_or_b32 s0, s0, s1
	s_delay_alu instid0(SALU_CYCLE_1)
	s_and_b32 vcc_lo, exec_lo, s0
	s_cbranch_vccz .LBB1_2
; %bb.1:
	s_endpgm
.LBB1_2:
	s_trap 2
	.section	.rodata,"a",@progbits
	.p2align	6, 0x0
	.amdhsa_kernel _ZN2at6native25_assert_async_cuda_kernelEPKN3c107complexIdEENS0_3MsgE
		.amdhsa_group_segment_fixed_size 0
		.amdhsa_private_segment_fixed_size 0
		.amdhsa_kernarg_size 264
		.amdhsa_user_sgpr_count 2
		.amdhsa_user_sgpr_dispatch_ptr 0
		.amdhsa_user_sgpr_queue_ptr 0
		.amdhsa_user_sgpr_kernarg_segment_ptr 1
		.amdhsa_user_sgpr_dispatch_id 0
		.amdhsa_user_sgpr_kernarg_preload_length 0
		.amdhsa_user_sgpr_kernarg_preload_offset 0
		.amdhsa_user_sgpr_private_segment_size 0
		.amdhsa_wavefront_size32 1
		.amdhsa_uses_dynamic_stack 0
		.amdhsa_enable_private_segment 0
		.amdhsa_system_sgpr_workgroup_id_x 1
		.amdhsa_system_sgpr_workgroup_id_y 0
		.amdhsa_system_sgpr_workgroup_id_z 0
		.amdhsa_system_sgpr_workgroup_info 0
		.amdhsa_system_vgpr_workitem_id 0
		.amdhsa_next_free_vgpr 1
		.amdhsa_next_free_sgpr 4
		.amdhsa_named_barrier_count 0
		.amdhsa_reserve_vcc 1
		.amdhsa_float_round_mode_32 0
		.amdhsa_float_round_mode_16_64 0
		.amdhsa_float_denorm_mode_32 3
		.amdhsa_float_denorm_mode_16_64 3
		.amdhsa_fp16_overflow 0
		.amdhsa_memory_ordered 1
		.amdhsa_forward_progress 1
		.amdhsa_inst_pref_size 1
		.amdhsa_round_robin_scheduling 0
		.amdhsa_exception_fp_ieee_invalid_op 0
		.amdhsa_exception_fp_denorm_src 0
		.amdhsa_exception_fp_ieee_div_zero 0
		.amdhsa_exception_fp_ieee_overflow 0
		.amdhsa_exception_fp_ieee_underflow 0
		.amdhsa_exception_fp_ieee_inexact 0
		.amdhsa_exception_int_div_zero 0
	.end_amdhsa_kernel
	.text
.Lfunc_end1:
	.size	_ZN2at6native25_assert_async_cuda_kernelEPKN3c107complexIdEENS0_3MsgE, .Lfunc_end1-_ZN2at6native25_assert_async_cuda_kernelEPKN3c107complexIdEENS0_3MsgE
                                        ; -- End function
	.set _ZN2at6native25_assert_async_cuda_kernelEPKN3c107complexIdEENS0_3MsgE.num_vgpr, 0
	.set _ZN2at6native25_assert_async_cuda_kernelEPKN3c107complexIdEENS0_3MsgE.num_agpr, 0
	.set _ZN2at6native25_assert_async_cuda_kernelEPKN3c107complexIdEENS0_3MsgE.numbered_sgpr, 4
	.set _ZN2at6native25_assert_async_cuda_kernelEPKN3c107complexIdEENS0_3MsgE.num_named_barrier, 0
	.set _ZN2at6native25_assert_async_cuda_kernelEPKN3c107complexIdEENS0_3MsgE.private_seg_size, 0
	.set _ZN2at6native25_assert_async_cuda_kernelEPKN3c107complexIdEENS0_3MsgE.uses_vcc, 1
	.set _ZN2at6native25_assert_async_cuda_kernelEPKN3c107complexIdEENS0_3MsgE.uses_flat_scratch, 0
	.set _ZN2at6native25_assert_async_cuda_kernelEPKN3c107complexIdEENS0_3MsgE.has_dyn_sized_stack, 0
	.set _ZN2at6native25_assert_async_cuda_kernelEPKN3c107complexIdEENS0_3MsgE.has_recursion, 0
	.set _ZN2at6native25_assert_async_cuda_kernelEPKN3c107complexIdEENS0_3MsgE.has_indirect_call, 0
	.section	.AMDGPU.csdata,"",@progbits
; Kernel info:
; codeLenInByte = 64
; TotalNumSgprs: 6
; NumVgprs: 0
; ScratchSize: 0
; MemoryBound: 0
; FloatMode: 240
; IeeeMode: 1
; LDSByteSize: 0 bytes/workgroup (compile time only)
; SGPRBlocks: 0
; VGPRBlocks: 0
; NumSGPRsForWavesPerEU: 6
; NumVGPRsForWavesPerEU: 1
; NamedBarCnt: 0
; Occupancy: 16
; WaveLimiterHint : 0
; COMPUTE_PGM_RSRC2:SCRATCH_EN: 0
; COMPUTE_PGM_RSRC2:USER_SGPR: 2
; COMPUTE_PGM_RSRC2:TRAP_HANDLER: 0
; COMPUTE_PGM_RSRC2:TGID_X_EN: 1
; COMPUTE_PGM_RSRC2:TGID_Y_EN: 0
; COMPUTE_PGM_RSRC2:TGID_Z_EN: 0
; COMPUTE_PGM_RSRC2:TIDIG_COMP_CNT: 0
	.section	.text._ZN2at6native29vectorized_elementwise_kernelILi16EZZZNS0_12_GLOBAL__N_117where_kernel_implERNS_14TensorIteratorEENKUlvE_clEvENKUlvE_clEvEUlbhhE_St5arrayIPcLm4EEEEviT0_T1_,"axG",@progbits,_ZN2at6native29vectorized_elementwise_kernelILi16EZZZNS0_12_GLOBAL__N_117where_kernel_implERNS_14TensorIteratorEENKUlvE_clEvENKUlvE_clEvEUlbhhE_St5arrayIPcLm4EEEEviT0_T1_,comdat
	.globl	_ZN2at6native29vectorized_elementwise_kernelILi16EZZZNS0_12_GLOBAL__N_117where_kernel_implERNS_14TensorIteratorEENKUlvE_clEvENKUlvE_clEvEUlbhhE_St5arrayIPcLm4EEEEviT0_T1_ ; -- Begin function _ZN2at6native29vectorized_elementwise_kernelILi16EZZZNS0_12_GLOBAL__N_117where_kernel_implERNS_14TensorIteratorEENKUlvE_clEvENKUlvE_clEvEUlbhhE_St5arrayIPcLm4EEEEviT0_T1_
	.p2align	8
	.type	_ZN2at6native29vectorized_elementwise_kernelILi16EZZZNS0_12_GLOBAL__N_117where_kernel_implERNS_14TensorIteratorEENKUlvE_clEvENKUlvE_clEvEUlbhhE_St5arrayIPcLm4EEEEviT0_T1_,@function
_ZN2at6native29vectorized_elementwise_kernelILi16EZZZNS0_12_GLOBAL__N_117where_kernel_implERNS_14TensorIteratorEENKUlvE_clEvENKUlvE_clEvEUlbhhE_St5arrayIPcLm4EEEEviT0_T1_: ; @_ZN2at6native29vectorized_elementwise_kernelILi16EZZZNS0_12_GLOBAL__N_117where_kernel_implERNS_14TensorIteratorEENKUlvE_clEvENKUlvE_clEvEUlbhhE_St5arrayIPcLm4EEEEviT0_T1_
; %bb.0:
	s_clause 0x1
	s_load_b32 s2, s[0:1], 0x0
	s_load_b256 s[16:23], s[0:1], 0x8
	s_wait_xcnt 0x0
	s_bfe_u32 s0, ttmp6, 0x4000c
	s_and_b32 s1, ttmp6, 15
	s_add_co_i32 s0, s0, 1
	s_getreg_b32 s3, hwreg(HW_REG_IB_STS2, 6, 4)
	s_mul_i32 s0, ttmp9, s0
	s_delay_alu instid0(SALU_CYCLE_1) | instskip(SKIP_2) | instid1(SALU_CYCLE_1)
	s_add_co_i32 s1, s1, s0
	s_cmp_eq_u32 s3, 0
	s_cselect_b32 s0, ttmp9, s1
	s_lshl_b32 s24, s0, 12
	s_mov_b32 s0, -1
	s_wait_kmcnt 0x0
	s_sub_co_i32 s26, s2, s24
	s_delay_alu instid0(SALU_CYCLE_1)
	s_cmp_gt_i32 s26, 0xfff
	s_cbranch_scc0 .LBB2_2
; %bb.1:
	s_ashr_i32 s25, s24, 31
	s_delay_alu instid0(SALU_CYCLE_1)
	s_add_nc_u64 s[0:1], s[18:19], s[24:25]
	s_add_nc_u64 s[2:3], s[16:17], s[24:25]
	global_load_b128 v[2:5], v0, s[0:1] scale_offset
	s_wait_xcnt 0x0
	s_add_nc_u64 s[0:1], s[20:21], s[24:25]
	global_load_b128 v[6:9], v0, s[0:1] scale_offset
	s_wait_xcnt 0x0
	;; [unrolled: 3-line block ×3, first 2 shown]
	s_mov_b32 s0, 0
	s_wait_loadcnt 0x2
	v_lshrrev_b16 v1, 8, v3
	v_and_b32_e32 v14, 0xff, v3
	v_dual_lshrrev_b32 v15, 24, v3 :: v_dual_lshrrev_b32 v3, 16, v3
	v_lshrrev_b16 v16, 8, v2
	s_delay_alu instid0(VALU_DEP_4)
	v_cmp_eq_u16_e32 vcc_lo, 0, v1
	s_wait_loadcnt 0x1
	v_dual_lshrrev_b32 v25, 16, v6 :: v_dual_lshrrev_b32 v26, 16, v7
	s_wait_loadcnt 0x0
	v_dual_lshrrev_b32 v29, 16, v10 :: v_dual_lshrrev_b32 v30, 16, v11
	v_cndmask_b32_e32 v1, v7, v11, vcc_lo
	v_cmp_eq_u16_e32 vcc_lo, 0, v14
	v_and_b32_e32 v17, 0xff, v2
	v_dual_lshrrev_b32 v18, 24, v2 :: v_dual_lshrrev_b32 v2, 16, v2
	v_lshrrev_b16 v19, 8, v5
	v_cndmask_b32_e32 v7, v7, v11, vcc_lo
	v_cmp_eq_u16_e32 vcc_lo, 0, v15
	v_and_b32_e32 v20, 0xff, v5
	v_dual_lshrrev_b32 v21, 16, v5 :: v_dual_lshrrev_b32 v5, 24, v5
	v_lshrrev_b16 v22, 8, v4
	v_cndmask_b32_e32 v11, v26, v30, vcc_lo
	v_cmp_eq_u16_e32 vcc_lo, 0, v16
	v_dual_lshrrev_b32 v27, 16, v8 :: v_dual_lshrrev_b32 v28, 16, v9
	v_dual_lshrrev_b32 v31, 16, v12 :: v_dual_lshrrev_b32 v32, 16, v13
	v_cndmask_b32_e32 v14, v6, v10, vcc_lo
	v_cmp_eq_u16_e32 vcc_lo, 0, v17
	v_and_b32_e32 v23, 0xff, v4
	v_dual_lshrrev_b32 v24, 16, v4 :: v_dual_lshrrev_b32 v4, 24, v4
	v_and_b32_e32 v3, 0xff, v3
	v_cndmask_b32_e32 v6, v6, v10, vcc_lo
	v_cmp_eq_u16_e32 vcc_lo, 0, v18
	v_and_b32_e32 v21, 0xff, v21
	v_and_b32_e32 v24, 0xff, v24
	;; [unrolled: 1-line block ×3, first 2 shown]
	v_perm_b32 v1, v7, v1, 0xc0c0104
	v_cndmask_b32_e32 v10, v25, v29, vcc_lo
	v_cmp_eq_u16_e32 vcc_lo, 0, v19
	v_perm_b32 v6, v6, v14, 0xc0c0104
	v_cndmask_b32_e32 v15, v9, v13, vcc_lo
	v_cmp_eq_u16_e32 vcc_lo, 0, v20
	v_cndmask_b32_e32 v9, v9, v13, vcc_lo
	v_cmp_eq_u16_e32 vcc_lo, 0, v5
	s_delay_alu instid0(VALU_DEP_2)
	v_perm_b32 v9, v9, v15, 0xc0c0104
	v_cndmask_b32_e32 v5, v28, v32, vcc_lo
	v_cmp_eq_u16_e32 vcc_lo, 0, v22
	v_cndmask_b32_e32 v13, v8, v12, vcc_lo
	v_cmp_eq_u16_e32 vcc_lo, 0, v23
	;; [unrolled: 2-line block ×4, first 2 shown]
	v_and_b32_e32 v5, 0xffffff00, v5
	s_delay_alu instid0(VALU_DEP_3) | instskip(SKIP_4) | instid1(VALU_DEP_4)
	v_and_b32_e32 v4, 0xffffff00, v4
	v_cndmask_b32_e32 v3, v26, v30, vcc_lo
	v_cmp_eq_u16_e32 vcc_lo, 0, v21
	v_cndmask_b32_e32 v7, v28, v32, vcc_lo
	v_cmp_eq_u16_e32 vcc_lo, 0, v24
	v_perm_b32 v3, v3, v11, 0xc0c0104
	s_delay_alu instid0(VALU_DEP_3)
	v_bitop3_b16 v5, v7, v5, 0xff bitop3:0xec
	v_cndmask_b32_e32 v12, v27, v31, vcc_lo
	v_cmp_eq_u16_e32 vcc_lo, 0, v2
	v_perm_b32 v7, v8, v13, 0xc0c0104
	v_lshl_or_b32 v3, v3, 16, v1
	v_cndmask_b32_e32 v2, v25, v29, vcc_lo
	v_bitop3_b16 v4, v12, v4, 0xff bitop3:0xec
	v_lshlrev_b32_e32 v5, 16, v5
	s_delay_alu instid0(VALU_DEP_3) | instskip(NEXT) | instid1(VALU_DEP_2)
	v_perm_b32 v2, v2, v10, 0xc0c0104
	v_dual_lshlrev_b32 v4, 16, v4 :: v_dual_bitop2_b32 v5, v9, v5 bitop3:0x54
	s_delay_alu instid0(VALU_DEP_2) | instskip(NEXT) | instid1(VALU_DEP_2)
	v_lshl_or_b32 v2, v2, 16, v6
	v_or_b32_e32 v4, v7, v4
	global_store_b128 v0, v[2:5], s[2:3] scale_offset
.LBB2_2:
	s_and_not1_b32 vcc_lo, exec_lo, s0
	s_cbranch_vccnz .LBB2_54
; %bb.3:
	v_cmp_le_i32_e64 s0, s26, v0
	v_or_b32_e32 v1, 0x100, v0
	v_cmp_gt_i32_e32 vcc_lo, s26, v0
	s_wait_xcnt 0x0
	s_and_saveexec_b32 s1, s0
	s_delay_alu instid0(SALU_CYCLE_1)
	s_xor_b32 s0, exec_lo, s1
; %bb.4:
	v_or_b32_e32 v1, 0x100, v0
; %bb.5:
	s_or_saveexec_b32 s25, s0
	v_dual_mov_b32 v39, 0 :: v_dual_bitop2_b32 v10, s24, v0 bitop3:0x54
	v_dual_mov_b32 v38, 0 :: v_dual_mov_b32 v37, 0
	v_dual_mov_b32 v36, 0 :: v_dual_mov_b32 v35, 0
	;; [unrolled: 1-line block ×15, first 2 shown]
	s_mov_b32 s0, 0
	s_mov_b32 s14, 0
	;; [unrolled: 1-line block ×15, first 2 shown]
	s_xor_b32 exec_lo, exec_lo, s25
	s_cbranch_execz .LBB2_37
; %bb.6:
	s_clause 0x2
	global_load_u8 v2, v10, s[18:19]
	global_load_u8 v12, v10, s[20:21]
	;; [unrolled: 1-line block ×3, first 2 shown]
	v_dual_mov_b32 v11, 0 :: v_dual_mov_b32 v14, 0
	v_cmp_gt_u32_e64 s1, s26, v1
	v_dual_mov_b32 v3, 0 :: v_dual_mov_b32 v15, 0
	v_dual_mov_b32 v4, 0 :: v_dual_mov_b32 v17, 0
	v_dual_mov_b32 v16, 0 :: v_dual_mov_b32 v19, 0
	v_dual_mov_b32 v18, 0 :: v_dual_mov_b32 v20, 0
	v_dual_mov_b32 v21, 0 :: v_dual_mov_b32 v22, 0
	v_dual_mov_b32 v23, 0 :: v_dual_mov_b32 v24, 0
	v_dual_mov_b32 v25, 0 :: v_dual_mov_b32 v26, 0
	v_dual_mov_b32 v27, 0 :: v_dual_mov_b32 v28, 0
	v_dual_mov_b32 v29, 0 :: v_dual_mov_b32 v30, 0
	v_dual_mov_b32 v31, 0 :: v_dual_mov_b32 v32, 0
	v_dual_mov_b32 v33, 0 :: v_dual_mov_b32 v34, 0
	v_dual_mov_b32 v35, 0 :: v_dual_mov_b32 v36, 0
	v_dual_mov_b32 v37, 0 :: v_dual_mov_b32 v38, 0
	v_mov_b32_e32 v39, 0
	s_mov_b32 s28, 0
	s_mov_b32 s15, 0
	s_wait_loadcnt 0x2
	v_cmp_ne_u16_e64 s0, 0, v2
	s_wait_xcnt 0x0
	s_and_saveexec_b32 s27, s1
	s_cbranch_execz .LBB2_36
; %bb.7:
	v_dual_mov_b32 v3, 0 :: v_dual_add_nc_u32 v2, s24, v0
	v_or_b32_e32 v6, 0x200, v0
	v_dual_mov_b32 v15, 0 :: v_dual_mov_b32 v4, 0
	s_clause 0x2
	global_load_u8 v5, v2, s[18:19] offset:256
	global_load_u8 v14, v2, s[20:21] offset:256
	;; [unrolled: 1-line block ×3, first 2 shown]
	v_dual_mov_b32 v17, 0 :: v_dual_mov_b32 v16, 0
	v_dual_mov_b32 v19, 0 :: v_dual_mov_b32 v18, 0
	;; [unrolled: 1-line block ×12, first 2 shown]
	s_mov_b32 s29, 0
	s_mov_b32 s30, 0
	;; [unrolled: 1-line block ×4, first 2 shown]
	s_mov_b32 s28, exec_lo
	s_wait_loadcnt 0x2
	v_cmp_ne_u16_e64 s1, 0, v5
	s_wait_xcnt 0x0
	v_cmpx_gt_u32_e64 s26, v6
	s_cbranch_execz .LBB2_35
; %bb.8:
	v_add_nc_u64_e32 v[4:5], s[18:19], v[2:3]
	v_add_nc_u64_e32 v[6:7], s[20:21], v[2:3]
	;; [unrolled: 1-line block ×3, first 2 shown]
	v_or_b32_e32 v40, 0x300, v0
	v_dual_mov_b32 v17, 0 :: v_dual_mov_b32 v16, 0
	v_dual_mov_b32 v19, 0 :: v_dual_mov_b32 v18, 0
	global_load_u8 v39, v[4:5], off offset:512
	global_load_u8 v15, v[6:7], off offset:512
	;; [unrolled: 1-line block ×3, first 2 shown]
	v_dual_mov_b32 v20, 0 :: v_dual_mov_b32 v21, 0
	v_dual_mov_b32 v22, 0 :: v_dual_mov_b32 v23, 0
	;; [unrolled: 1-line block ×9, first 2 shown]
	v_mov_b32_e32 v38, 0
	s_mov_b32 s19, 0
	s_mov_b32 s20, 0
	s_mov_b32 s18, exec_lo
	s_wait_loadcnt 0x2
	v_cmp_ne_u16_e64 s2, 0, v39
	v_mov_b32_e32 v39, 0
	s_wait_xcnt 0x0
	v_cmpx_gt_u32_e64 s26, v40
	s_cbranch_execz .LBB2_34
; %bb.9:
	global_load_u8 v39, v[4:5], off offset:768
	global_load_u8 v17, v[6:7], off offset:768
	global_load_u8 v3, v[8:9], off offset:768
	v_dual_mov_b32 v16, 0 :: v_dual_mov_b32 v19, 0
	v_or_b32_e32 v40, 0x400, v0
	v_dual_mov_b32 v18, 0 :: v_dual_mov_b32 v20, 0
	v_dual_mov_b32 v21, 0 :: v_dual_mov_b32 v22, 0
	;; [unrolled: 1-line block ×10, first 2 shown]
	s_mov_b32 s21, 0
	s_mov_b32 s19, exec_lo
	s_wait_loadcnt 0x2
	v_cmp_ne_u16_e64 s3, 0, v39
	v_mov_b32_e32 v39, 0
	s_wait_xcnt 0x0
	v_cmpx_gt_u32_e64 s26, v40
	s_cbranch_execz .LBB2_33
; %bb.10:
	global_load_u8 v39, v[4:5], off offset:1024
	global_load_u8 v19, v[6:7], off offset:1024
	;; [unrolled: 1-line block ×3, first 2 shown]
	v_dual_mov_b32 v18, 0 :: v_dual_mov_b32 v20, 0
	v_or_b32_e32 v40, 0x500, v0
	v_dual_mov_b32 v21, 0 :: v_dual_mov_b32 v22, 0
	v_dual_mov_b32 v23, 0 :: v_dual_mov_b32 v24, 0
	;; [unrolled: 1-line block ×9, first 2 shown]
	s_mov_b32 s22, 0
	s_mov_b32 s20, exec_lo
	s_wait_loadcnt 0x2
	v_cmp_ne_u16_e64 s4, 0, v39
	v_mov_b32_e32 v39, 0
	s_wait_xcnt 0x0
	v_cmpx_gt_u32_e64 s26, v40
	s_cbranch_execz .LBB2_32
; %bb.11:
	global_load_u8 v39, v[4:5], off offset:1280
	global_load_u8 v20, v[6:7], off offset:1280
	global_load_u8 v18, v[8:9], off offset:1280
	v_dual_mov_b32 v21, 0 :: v_dual_mov_b32 v22, 0
	v_or_b32_e32 v40, 0x600, v0
	v_dual_mov_b32 v23, 0 :: v_dual_mov_b32 v24, 0
	v_dual_mov_b32 v25, 0 :: v_dual_mov_b32 v26, 0
	;; [unrolled: 1-line block ×8, first 2 shown]
	s_mov_b32 s21, exec_lo
	s_wait_loadcnt 0x2
	v_cmp_ne_u16_e64 s5, 0, v39
	v_mov_b32_e32 v39, 0
	s_wait_xcnt 0x0
	v_cmpx_gt_u32_e64 s26, v40
	s_cbranch_execz .LBB2_31
; %bb.12:
	global_load_u8 v39, v[4:5], off offset:1536
	global_load_u8 v22, v[6:7], off offset:1536
	global_load_u8 v21, v[8:9], off offset:1536
	v_dual_mov_b32 v23, 0 :: v_dual_mov_b32 v24, 0
	v_or_b32_e32 v40, 0x700, v0
	v_dual_mov_b32 v25, 0 :: v_dual_mov_b32 v26, 0
	v_dual_mov_b32 v27, 0 :: v_dual_mov_b32 v28, 0
	;; [unrolled: 1-line block ×7, first 2 shown]
	s_mov_b32 s23, 0
	s_mov_b32 s22, exec_lo
	s_wait_loadcnt 0x2
	v_cmp_ne_u16_e64 s6, 0, v39
	v_mov_b32_e32 v39, 0
	s_wait_xcnt 0x0
	v_cmpx_gt_u32_e64 s26, v40
	s_cbranch_execz .LBB2_30
; %bb.13:
	global_load_u8 v39, v[4:5], off offset:1792
	global_load_u8 v24, v[6:7], off offset:1792
	;; [unrolled: 1-line block ×3, first 2 shown]
	v_dual_mov_b32 v25, 0 :: v_dual_mov_b32 v26, 0
	v_or_b32_e32 v40, 0x800, v0
	v_dual_mov_b32 v27, 0 :: v_dual_mov_b32 v28, 0
	v_dual_mov_b32 v29, 0 :: v_dual_mov_b32 v30, 0
	;; [unrolled: 1-line block ×6, first 2 shown]
	s_mov_b32 s23, exec_lo
	s_wait_loadcnt 0x2
	v_cmp_ne_u16_e64 s7, 0, v39
	v_mov_b32_e32 v39, 0
	s_wait_xcnt 0x0
	v_cmpx_gt_u32_e64 s26, v40
	s_cbranch_execz .LBB2_29
; %bb.14:
	global_load_u8 v39, v[4:5], off offset:2048
	global_load_u8 v26, v[6:7], off offset:2048
	;; [unrolled: 1-line block ×3, first 2 shown]
	v_dual_mov_b32 v27, 0 :: v_dual_mov_b32 v28, 0
	v_or_b32_e32 v40, 0x900, v0
	v_dual_mov_b32 v29, 0 :: v_dual_mov_b32 v30, 0
	v_dual_mov_b32 v31, 0 :: v_dual_mov_b32 v32, 0
	;; [unrolled: 1-line block ×5, first 2 shown]
	s_mov_b32 s29, exec_lo
	s_wait_loadcnt 0x2
	v_cmp_ne_u16_e64 s8, 0, v39
	v_mov_b32_e32 v39, 0
	s_wait_xcnt 0x0
	v_cmpx_gt_u32_e64 s26, v40
	s_cbranch_execz .LBB2_28
; %bb.15:
	global_load_u8 v39, v[4:5], off offset:2304
	global_load_u8 v28, v[6:7], off offset:2304
	;; [unrolled: 1-line block ×3, first 2 shown]
	v_dual_mov_b32 v29, 0 :: v_dual_mov_b32 v30, 0
	v_or_b32_e32 v40, 0xa00, v0
	v_dual_mov_b32 v31, 0 :: v_dual_mov_b32 v32, 0
	v_dual_mov_b32 v33, 0 :: v_dual_mov_b32 v34, 0
	;; [unrolled: 1-line block ×4, first 2 shown]
	s_mov_b32 s30, exec_lo
	s_wait_loadcnt 0x2
	v_cmp_ne_u16_e64 s9, 0, v39
	v_mov_b32_e32 v39, 0
	s_wait_xcnt 0x0
	v_cmpx_gt_u32_e64 s26, v40
	s_cbranch_execz .LBB2_27
; %bb.16:
	global_load_u8 v39, v[4:5], off offset:2560
	global_load_u8 v30, v[6:7], off offset:2560
	;; [unrolled: 1-line block ×3, first 2 shown]
	v_dual_mov_b32 v31, 0 :: v_dual_mov_b32 v32, 0
	v_or_b32_e32 v40, 0xb00, v0
	v_dual_mov_b32 v33, 0 :: v_dual_mov_b32 v34, 0
	v_dual_mov_b32 v35, 0 :: v_dual_mov_b32 v36, 0
	;; [unrolled: 1-line block ×3, first 2 shown]
	s_mov_b32 s31, exec_lo
	s_wait_loadcnt 0x2
	v_cmp_ne_u16_e64 s10, 0, v39
	v_mov_b32_e32 v39, 0
	s_wait_xcnt 0x0
	v_cmpx_gt_u32_e64 s26, v40
	s_cbranch_execz .LBB2_26
; %bb.17:
	global_load_u8 v39, v[4:5], off offset:2816
	global_load_u8 v32, v[6:7], off offset:2816
	;; [unrolled: 1-line block ×3, first 2 shown]
	v_dual_mov_b32 v33, 0 :: v_dual_mov_b32 v34, 0
	v_or_b32_e32 v40, 0xc00, v0
	v_dual_mov_b32 v35, 0 :: v_dual_mov_b32 v36, 0
	v_dual_mov_b32 v37, 0 :: v_dual_mov_b32 v38, 0
	s_mov_b32 s33, exec_lo
	s_wait_loadcnt 0x2
	v_cmp_ne_u16_e64 s11, 0, v39
	v_mov_b32_e32 v39, 0
	s_wait_xcnt 0x0
	v_cmpx_gt_u32_e64 s26, v40
	s_cbranch_execz .LBB2_25
; %bb.18:
	global_load_u8 v39, v[4:5], off offset:3072
	global_load_u8 v34, v[6:7], off offset:3072
	;; [unrolled: 1-line block ×3, first 2 shown]
	v_or_b32_e32 v40, 0xd00, v0
	v_dual_mov_b32 v35, 0 :: v_dual_mov_b32 v36, 0
	v_dual_mov_b32 v37, 0 :: v_dual_mov_b32 v38, 0
	s_mov_b32 s35, 0
	s_mov_b32 s34, exec_lo
	s_wait_loadcnt 0x2
	v_cmp_ne_u16_e64 s12, 0, v39
	v_mov_b32_e32 v39, 0
	s_wait_xcnt 0x0
	v_cmpx_gt_u32_e64 s26, v40
	s_cbranch_execz .LBB2_24
; %bb.19:
	global_load_u8 v39, v[4:5], off offset:3328
	global_load_u8 v36, v[6:7], off offset:3328
	;; [unrolled: 1-line block ×3, first 2 shown]
	v_or_b32_e32 v40, 0xe00, v0
	v_dual_mov_b32 v37, 0 :: v_dual_mov_b32 v38, 0
	s_mov_b32 s36, 0
	s_mov_b32 s35, exec_lo
	s_wait_loadcnt 0x2
	v_cmp_ne_u16_e64 s13, 0, v39
	v_mov_b32_e32 v39, 0
	s_wait_xcnt 0x0
	v_cmpx_gt_u32_e64 s26, v40
	s_cbranch_execz .LBB2_23
; %bb.20:
	global_load_u8 v40, v[4:5], off offset:3584
	global_load_u8 v38, v[6:7], off offset:3584
	global_load_u8 v37, v[8:9], off offset:3584
	v_or_b32_e32 v41, 0xf00, v0
	v_mov_b32_e32 v39, 0
	s_mov_b32 s36, exec_lo
	s_wait_loadcnt 0x2
	v_cmp_ne_u16_e64 s14, 0, v40
	s_wait_xcnt 0x0
	v_cmpx_gt_u32_e64 s26, v41
	s_cbranch_execz .LBB2_22
; %bb.21:
	global_load_u8 v39, v[4:5], off offset:3840
	global_load_u8 v40, v[8:9], off offset:3840
	global_load_u8 v41, v[6:7], off offset:3840
	s_wait_loadcnt 0x2
	v_cmp_eq_u16_e64 s15, 0, v39
	s_wait_loadcnt 0x0
	s_delay_alu instid0(VALU_DEP_1)
	v_cndmask_b32_e64 v39, v41, v40, s15
.LBB2_22:
	s_wait_xcnt 0x0
	s_or_b32 exec_lo, exec_lo, s36
	s_delay_alu instid0(SALU_CYCLE_1)
	s_and_b32 s36, s14, exec_lo
.LBB2_23:
	s_or_b32 exec_lo, exec_lo, s35
	s_delay_alu instid0(SALU_CYCLE_1)
	s_and_b32 s15, s13, exec_lo
	s_and_b32 s35, s36, exec_lo
.LBB2_24:
	s_or_b32 exec_lo, exec_lo, s34
	s_delay_alu instid0(SALU_CYCLE_1)
	s_and_b32 s14, s12, exec_lo
	s_and_b32 s15, s15, exec_lo
	;; [unrolled: 1-line block ×3, first 2 shown]
.LBB2_25:
	s_or_b32 exec_lo, exec_lo, s33
	s_delay_alu instid0(SALU_CYCLE_1)
	s_and_b32 s33, s11, exec_lo
	s_and_b32 s14, s14, exec_lo
	;; [unrolled: 1-line block ×4, first 2 shown]
.LBB2_26:
	s_or_b32 exec_lo, exec_lo, s31
	s_delay_alu instid0(SALU_CYCLE_1)
	s_and_b32 s15, s10, exec_lo
	s_and_b32 s31, s33, exec_lo
	;; [unrolled: 1-line block ×5, first 2 shown]
.LBB2_27:
	s_or_b32 exec_lo, exec_lo, s30
	s_delay_alu instid0(SALU_CYCLE_1)
	s_and_b32 s14, s9, exec_lo
	s_and_b32 s15, s15, exec_lo
	;; [unrolled: 1-line block ×6, first 2 shown]
.LBB2_28:
	s_or_b32 exec_lo, exec_lo, s29
	s_delay_alu instid0(SALU_CYCLE_1)
	s_and_b32 s30, s8, exec_lo
	s_and_b32 s14, s14, exec_lo
	s_and_b32 s15, s15, exec_lo
	s_and_b32 s11, s31, exec_lo
	s_and_b32 s10, s10, exec_lo
	s_and_b32 s9, s13, exec_lo
	s_and_b32 s13, s12, exec_lo
.LBB2_29:
	s_or_b32 exec_lo, exec_lo, s23
	s_delay_alu instid0(SALU_CYCLE_1)
	s_and_b32 s29, s7, exec_lo
	s_and_b32 s23, s30, exec_lo
	;; [unrolled: 1-line block ×8, first 2 shown]
.LBB2_30:
	s_or_b32 exec_lo, exec_lo, s22
	s_delay_alu instid0(SALU_CYCLE_1)
	s_and_b32 s15, s6, exec_lo
	s_and_b32 s22, s29, exec_lo
	;; [unrolled: 1-line block ×9, first 2 shown]
.LBB2_31:
	s_or_b32 exec_lo, exec_lo, s21
	s_delay_alu instid0(SALU_CYCLE_1)
	s_and_b32 s14, s5, exec_lo
	s_and_b32 s15, s15, exec_lo
	;; [unrolled: 1-line block ×10, first 2 shown]
.LBB2_32:
	s_or_b32 exec_lo, exec_lo, s20
	s_delay_alu instid0(SALU_CYCLE_1)
	s_and_b32 s21, s4, exec_lo
	s_and_b32 s14, s14, exec_lo
	;; [unrolled: 1-line block ×11, first 2 shown]
.LBB2_33:
	s_or_b32 exec_lo, exec_lo, s19
	s_delay_alu instid0(SALU_CYCLE_1)
	s_and_b32 s20, s3, exec_lo
	s_and_b32 s19, s21, exec_lo
	s_and_b32 s14, s14, exec_lo
	s_and_b32 s9, s15, exec_lo
	s_and_b32 s8, s8, exec_lo
	s_and_b32 s7, s7, exec_lo
	s_and_b32 s13, s13, exec_lo
	s_and_b32 s12, s12, exec_lo
	s_and_b32 s11, s11, exec_lo
	s_and_b32 s6, s6, exec_lo
	s_and_b32 s5, s5, exec_lo
	s_and_b32 s4, s10, exec_lo
.LBB2_34:
	s_or_b32 exec_lo, exec_lo, s18
	s_wait_loadcnt 0x0
	v_dual_mov_b32 v4, v3 :: v_dual_mov_b32 v3, v2
	s_and_b32 s15, s2, exec_lo
	s_and_b32 s33, s20, exec_lo
	;; [unrolled: 1-line block ×13, first 2 shown]
.LBB2_35:
	s_or_b32 exec_lo, exec_lo, s28
	s_delay_alu instid0(SALU_CYCLE_1)
	s_and_b32 s14, s1, exec_lo
	s_and_b32 s15, s15, exec_lo
	;; [unrolled: 1-line block ×14, first 2 shown]
.LBB2_36:
	s_or_b32 exec_lo, exec_lo, s27
	s_delay_alu instid0(SALU_CYCLE_1)
	s_and_b32 s2, s2, exec_lo
	s_and_b32 s4, s13, exec_lo
	;; [unrolled: 1-line block ×15, first 2 shown]
.LBB2_37:
	s_or_b32 exec_lo, exec_lo, s25
	s_and_saveexec_b32 s15, vcc_lo
	s_cbranch_execz .LBB2_54
; %bb.38:
	s_wait_loadcnt 0x0
	v_cndmask_b32_e64 v2, v13, v12, s0
	v_cmp_gt_u32_e32 vcc_lo, s26, v1
	global_store_b8 v10, v2, s[16:17]
	s_wait_xcnt 0x0
	s_and_b32 exec_lo, exec_lo, vcc_lo
	s_cbranch_execz .LBB2_54
; %bb.39:
	v_or_b32_e32 v2, 0x200, v0
	v_dual_cndmask_b32 v5, v11, v14, s14 :: v_dual_bitop2_b32 v1, s24, v1 bitop3:0x54
	s_delay_alu instid0(VALU_DEP_2)
	v_cmp_gt_i32_e32 vcc_lo, s26, v2
	global_store_b8 v1, v5, s[16:17]
	s_wait_xcnt 0x0
	s_and_b32 exec_lo, exec_lo, vcc_lo
	s_cbranch_execz .LBB2_54
; %bb.40:
	v_or_b32_e32 v1, 0x300, v0
	v_dual_cndmask_b32 v3, v3, v15, s13 :: v_dual_add_nc_u32 v2, s24, v0
	s_delay_alu instid0(VALU_DEP_2)
	v_cmp_gt_i32_e32 vcc_lo, s26, v1
	global_store_b8 v2, v3, s[16:17] offset:512
	s_wait_xcnt 0x0
	s_and_b32 exec_lo, exec_lo, vcc_lo
	s_cbranch_execz .LBB2_54
; %bb.41:
	v_dual_mov_b32 v3, 0 :: v_dual_cndmask_b32 v4, v4, v17, s12
	v_or_b32_e32 v1, 0x400, v0
	s_delay_alu instid0(VALU_DEP_2) | instskip(NEXT) | instid1(VALU_DEP_2)
	v_add_nc_u64_e32 v[2:3], s[16:17], v[2:3]
	v_cmp_gt_u32_e32 vcc_lo, s26, v1
	global_store_b8 v[2:3], v4, off offset:768
	s_wait_xcnt 0x0
	s_and_b32 exec_lo, exec_lo, vcc_lo
	s_cbranch_execz .LBB2_54
; %bb.42:
	v_or_b32_e32 v1, 0x500, v0
	v_cndmask_b32_e64 v4, v16, v19, s11
	s_delay_alu instid0(VALU_DEP_2)
	v_cmp_gt_i32_e32 vcc_lo, s26, v1
	global_store_b8 v[2:3], v4, off offset:1024
	s_wait_xcnt 0x0
	s_and_b32 exec_lo, exec_lo, vcc_lo
	s_cbranch_execz .LBB2_54
; %bb.43:
	v_or_b32_e32 v1, 0x600, v0
	v_cndmask_b32_e64 v4, v18, v20, s10
	s_delay_alu instid0(VALU_DEP_2)
	v_cmp_gt_i32_e32 vcc_lo, s26, v1
	;; [unrolled: 9-line block ×3, first 2 shown]
	global_store_b8 v[2:3], v4, off offset:1536
	s_wait_xcnt 0x0
	s_and_b32 exec_lo, exec_lo, vcc_lo
	s_cbranch_execz .LBB2_54
; %bb.45:
	v_or_b32_e32 v1, 0x800, v0
	v_cndmask_b32_e64 v4, v23, v24, s8
	s_delay_alu instid0(VALU_DEP_2)
	v_cmp_gt_u32_e32 vcc_lo, s26, v1
	global_store_b8 v[2:3], v4, off offset:1792
	s_wait_xcnt 0x0
	s_and_b32 exec_lo, exec_lo, vcc_lo
	s_cbranch_execz .LBB2_54
; %bb.46:
	v_or_b32_e32 v1, 0x900, v0
	v_cndmask_b32_e64 v4, v25, v26, s7
	s_delay_alu instid0(VALU_DEP_2)
	v_cmp_gt_i32_e32 vcc_lo, s26, v1
	global_store_b8 v[2:3], v4, off offset:2048
	s_wait_xcnt 0x0
	s_and_b32 exec_lo, exec_lo, vcc_lo
	s_cbranch_execz .LBB2_54
; %bb.47:
	v_or_b32_e32 v1, 0xa00, v0
	v_cndmask_b32_e64 v4, v27, v28, s6
	s_delay_alu instid0(VALU_DEP_2)
	v_cmp_gt_i32_e32 vcc_lo, s26, v1
	;; [unrolled: 9-line block ×3, first 2 shown]
	global_store_b8 v[2:3], v4, off offset:2560
	s_wait_xcnt 0x0
	s_and_b32 exec_lo, exec_lo, vcc_lo
	s_cbranch_execz .LBB2_54
; %bb.49:
	v_or_b32_e32 v1, 0xc00, v0
	v_cndmask_b32_e64 v4, v31, v32, s3
	s_delay_alu instid0(VALU_DEP_2)
	v_cmp_gt_u32_e32 vcc_lo, s26, v1
	global_store_b8 v[2:3], v4, off offset:2816
	s_wait_xcnt 0x0
	s_and_b32 exec_lo, exec_lo, vcc_lo
	s_cbranch_execz .LBB2_54
; %bb.50:
	v_or_b32_e32 v1, 0xd00, v0
	v_cndmask_b32_e64 v4, v33, v34, s1
	s_delay_alu instid0(VALU_DEP_2)
	v_cmp_gt_i32_e32 vcc_lo, s26, v1
	global_store_b8 v[2:3], v4, off offset:3072
	s_wait_xcnt 0x0
	s_and_b32 exec_lo, exec_lo, vcc_lo
	s_cbranch_execz .LBB2_54
; %bb.51:
	v_or_b32_e32 v1, 0xe00, v0
	v_cndmask_b32_e64 v4, v35, v36, s4
	s_delay_alu instid0(VALU_DEP_2)
	v_cmp_gt_i32_e32 vcc_lo, s26, v1
	;; [unrolled: 9-line block ×3, first 2 shown]
	global_store_b8 v[2:3], v1, off offset:3584
	s_wait_xcnt 0x0
	s_and_b32 exec_lo, exec_lo, vcc_lo
	s_cbranch_execz .LBB2_54
; %bb.53:
	global_store_b8 v[2:3], v39, off offset:3840
.LBB2_54:
	s_endpgm
	.section	.rodata,"a",@progbits
	.p2align	6, 0x0
	.amdhsa_kernel _ZN2at6native29vectorized_elementwise_kernelILi16EZZZNS0_12_GLOBAL__N_117where_kernel_implERNS_14TensorIteratorEENKUlvE_clEvENKUlvE_clEvEUlbhhE_St5arrayIPcLm4EEEEviT0_T1_
		.amdhsa_group_segment_fixed_size 0
		.amdhsa_private_segment_fixed_size 0
		.amdhsa_kernarg_size 40
		.amdhsa_user_sgpr_count 2
		.amdhsa_user_sgpr_dispatch_ptr 0
		.amdhsa_user_sgpr_queue_ptr 0
		.amdhsa_user_sgpr_kernarg_segment_ptr 1
		.amdhsa_user_sgpr_dispatch_id 0
		.amdhsa_user_sgpr_kernarg_preload_length 0
		.amdhsa_user_sgpr_kernarg_preload_offset 0
		.amdhsa_user_sgpr_private_segment_size 0
		.amdhsa_wavefront_size32 1
		.amdhsa_uses_dynamic_stack 0
		.amdhsa_enable_private_segment 0
		.amdhsa_system_sgpr_workgroup_id_x 1
		.amdhsa_system_sgpr_workgroup_id_y 0
		.amdhsa_system_sgpr_workgroup_id_z 0
		.amdhsa_system_sgpr_workgroup_info 0
		.amdhsa_system_vgpr_workitem_id 0
		.amdhsa_next_free_vgpr 42
		.amdhsa_next_free_sgpr 37
		.amdhsa_named_barrier_count 0
		.amdhsa_reserve_vcc 1
		.amdhsa_float_round_mode_32 0
		.amdhsa_float_round_mode_16_64 0
		.amdhsa_float_denorm_mode_32 3
		.amdhsa_float_denorm_mode_16_64 3
		.amdhsa_fp16_overflow 0
		.amdhsa_memory_ordered 1
		.amdhsa_forward_progress 1
		.amdhsa_inst_pref_size 36
		.amdhsa_round_robin_scheduling 0
		.amdhsa_exception_fp_ieee_invalid_op 0
		.amdhsa_exception_fp_denorm_src 0
		.amdhsa_exception_fp_ieee_div_zero 0
		.amdhsa_exception_fp_ieee_overflow 0
		.amdhsa_exception_fp_ieee_underflow 0
		.amdhsa_exception_fp_ieee_inexact 0
		.amdhsa_exception_int_div_zero 0
	.end_amdhsa_kernel
	.section	.text._ZN2at6native29vectorized_elementwise_kernelILi16EZZZNS0_12_GLOBAL__N_117where_kernel_implERNS_14TensorIteratorEENKUlvE_clEvENKUlvE_clEvEUlbhhE_St5arrayIPcLm4EEEEviT0_T1_,"axG",@progbits,_ZN2at6native29vectorized_elementwise_kernelILi16EZZZNS0_12_GLOBAL__N_117where_kernel_implERNS_14TensorIteratorEENKUlvE_clEvENKUlvE_clEvEUlbhhE_St5arrayIPcLm4EEEEviT0_T1_,comdat
.Lfunc_end2:
	.size	_ZN2at6native29vectorized_elementwise_kernelILi16EZZZNS0_12_GLOBAL__N_117where_kernel_implERNS_14TensorIteratorEENKUlvE_clEvENKUlvE_clEvEUlbhhE_St5arrayIPcLm4EEEEviT0_T1_, .Lfunc_end2-_ZN2at6native29vectorized_elementwise_kernelILi16EZZZNS0_12_GLOBAL__N_117where_kernel_implERNS_14TensorIteratorEENKUlvE_clEvENKUlvE_clEvEUlbhhE_St5arrayIPcLm4EEEEviT0_T1_
                                        ; -- End function
	.set _ZN2at6native29vectorized_elementwise_kernelILi16EZZZNS0_12_GLOBAL__N_117where_kernel_implERNS_14TensorIteratorEENKUlvE_clEvENKUlvE_clEvEUlbhhE_St5arrayIPcLm4EEEEviT0_T1_.num_vgpr, 42
	.set _ZN2at6native29vectorized_elementwise_kernelILi16EZZZNS0_12_GLOBAL__N_117where_kernel_implERNS_14TensorIteratorEENKUlvE_clEvENKUlvE_clEvEUlbhhE_St5arrayIPcLm4EEEEviT0_T1_.num_agpr, 0
	.set _ZN2at6native29vectorized_elementwise_kernelILi16EZZZNS0_12_GLOBAL__N_117where_kernel_implERNS_14TensorIteratorEENKUlvE_clEvENKUlvE_clEvEUlbhhE_St5arrayIPcLm4EEEEviT0_T1_.numbered_sgpr, 37
	.set _ZN2at6native29vectorized_elementwise_kernelILi16EZZZNS0_12_GLOBAL__N_117where_kernel_implERNS_14TensorIteratorEENKUlvE_clEvENKUlvE_clEvEUlbhhE_St5arrayIPcLm4EEEEviT0_T1_.num_named_barrier, 0
	.set _ZN2at6native29vectorized_elementwise_kernelILi16EZZZNS0_12_GLOBAL__N_117where_kernel_implERNS_14TensorIteratorEENKUlvE_clEvENKUlvE_clEvEUlbhhE_St5arrayIPcLm4EEEEviT0_T1_.private_seg_size, 0
	.set _ZN2at6native29vectorized_elementwise_kernelILi16EZZZNS0_12_GLOBAL__N_117where_kernel_implERNS_14TensorIteratorEENKUlvE_clEvENKUlvE_clEvEUlbhhE_St5arrayIPcLm4EEEEviT0_T1_.uses_vcc, 1
	.set _ZN2at6native29vectorized_elementwise_kernelILi16EZZZNS0_12_GLOBAL__N_117where_kernel_implERNS_14TensorIteratorEENKUlvE_clEvENKUlvE_clEvEUlbhhE_St5arrayIPcLm4EEEEviT0_T1_.uses_flat_scratch, 0
	.set _ZN2at6native29vectorized_elementwise_kernelILi16EZZZNS0_12_GLOBAL__N_117where_kernel_implERNS_14TensorIteratorEENKUlvE_clEvENKUlvE_clEvEUlbhhE_St5arrayIPcLm4EEEEviT0_T1_.has_dyn_sized_stack, 0
	.set _ZN2at6native29vectorized_elementwise_kernelILi16EZZZNS0_12_GLOBAL__N_117where_kernel_implERNS_14TensorIteratorEENKUlvE_clEvENKUlvE_clEvEUlbhhE_St5arrayIPcLm4EEEEviT0_T1_.has_recursion, 0
	.set _ZN2at6native29vectorized_elementwise_kernelILi16EZZZNS0_12_GLOBAL__N_117where_kernel_implERNS_14TensorIteratorEENKUlvE_clEvENKUlvE_clEvEUlbhhE_St5arrayIPcLm4EEEEviT0_T1_.has_indirect_call, 0
	.section	.AMDGPU.csdata,"",@progbits
; Kernel info:
; codeLenInByte = 4504
; TotalNumSgprs: 39
; NumVgprs: 42
; ScratchSize: 0
; MemoryBound: 0
; FloatMode: 240
; IeeeMode: 1
; LDSByteSize: 0 bytes/workgroup (compile time only)
; SGPRBlocks: 0
; VGPRBlocks: 2
; NumSGPRsForWavesPerEU: 39
; NumVGPRsForWavesPerEU: 42
; NamedBarCnt: 0
; Occupancy: 16
; WaveLimiterHint : 0
; COMPUTE_PGM_RSRC2:SCRATCH_EN: 0
; COMPUTE_PGM_RSRC2:USER_SGPR: 2
; COMPUTE_PGM_RSRC2:TRAP_HANDLER: 0
; COMPUTE_PGM_RSRC2:TGID_X_EN: 1
; COMPUTE_PGM_RSRC2:TGID_Y_EN: 0
; COMPUTE_PGM_RSRC2:TGID_Z_EN: 0
; COMPUTE_PGM_RSRC2:TIDIG_COMP_CNT: 0
	.section	.text._ZN2at6native29vectorized_elementwise_kernelILi8EZZZNS0_12_GLOBAL__N_117where_kernel_implERNS_14TensorIteratorEENKUlvE_clEvENKUlvE_clEvEUlbhhE_St5arrayIPcLm4EEEEviT0_T1_,"axG",@progbits,_ZN2at6native29vectorized_elementwise_kernelILi8EZZZNS0_12_GLOBAL__N_117where_kernel_implERNS_14TensorIteratorEENKUlvE_clEvENKUlvE_clEvEUlbhhE_St5arrayIPcLm4EEEEviT0_T1_,comdat
	.globl	_ZN2at6native29vectorized_elementwise_kernelILi8EZZZNS0_12_GLOBAL__N_117where_kernel_implERNS_14TensorIteratorEENKUlvE_clEvENKUlvE_clEvEUlbhhE_St5arrayIPcLm4EEEEviT0_T1_ ; -- Begin function _ZN2at6native29vectorized_elementwise_kernelILi8EZZZNS0_12_GLOBAL__N_117where_kernel_implERNS_14TensorIteratorEENKUlvE_clEvENKUlvE_clEvEUlbhhE_St5arrayIPcLm4EEEEviT0_T1_
	.p2align	8
	.type	_ZN2at6native29vectorized_elementwise_kernelILi8EZZZNS0_12_GLOBAL__N_117where_kernel_implERNS_14TensorIteratorEENKUlvE_clEvENKUlvE_clEvEUlbhhE_St5arrayIPcLm4EEEEviT0_T1_,@function
_ZN2at6native29vectorized_elementwise_kernelILi8EZZZNS0_12_GLOBAL__N_117where_kernel_implERNS_14TensorIteratorEENKUlvE_clEvENKUlvE_clEvEUlbhhE_St5arrayIPcLm4EEEEviT0_T1_: ; @_ZN2at6native29vectorized_elementwise_kernelILi8EZZZNS0_12_GLOBAL__N_117where_kernel_implERNS_14TensorIteratorEENKUlvE_clEvENKUlvE_clEvEUlbhhE_St5arrayIPcLm4EEEEviT0_T1_
; %bb.0:
	s_clause 0x1
	s_load_b32 s2, s[0:1], 0x0
	s_load_b256 s[16:23], s[0:1], 0x8
	s_wait_xcnt 0x0
	s_bfe_u32 s0, ttmp6, 0x4000c
	s_and_b32 s1, ttmp6, 15
	s_add_co_i32 s0, s0, 1
	s_getreg_b32 s3, hwreg(HW_REG_IB_STS2, 6, 4)
	s_mul_i32 s0, ttmp9, s0
	s_delay_alu instid0(SALU_CYCLE_1) | instskip(SKIP_2) | instid1(SALU_CYCLE_1)
	s_add_co_i32 s1, s1, s0
	s_cmp_eq_u32 s3, 0
	s_cselect_b32 s0, ttmp9, s1
	s_lshl_b32 s24, s0, 12
	s_mov_b32 s0, -1
	s_wait_kmcnt 0x0
	s_sub_co_i32 s26, s2, s24
	s_delay_alu instid0(SALU_CYCLE_1)
	s_cmp_gt_i32 s26, 0xfff
	s_cbranch_scc0 .LBB3_2
; %bb.1:
	s_ashr_i32 s25, s24, 31
	s_delay_alu instid0(SALU_CYCLE_1)
	s_add_nc_u64 s[0:1], s[18:19], s[24:25]
	s_add_nc_u64 s[2:3], s[20:21], s[24:25]
	s_clause 0x1
	global_load_b64 v[2:3], v0, s[0:1] scale_offset
	global_load_b64 v[4:5], v0, s[0:1] offset:2048 scale_offset
	s_wait_xcnt 0x0
	s_add_nc_u64 s[0:1], s[22:23], s[24:25]
	s_clause 0x3
	global_load_b64 v[6:7], v0, s[0:1] scale_offset
	global_load_b64 v[8:9], v0, s[2:3] scale_offset
	global_load_b64 v[10:11], v0, s[2:3] offset:2048 scale_offset
	global_load_b64 v[12:13], v0, s[0:1] offset:2048 scale_offset
	s_wait_xcnt 0x1
	s_add_nc_u64 s[2:3], s[16:17], s[24:25]
	s_wait_xcnt 0x0
	s_mov_b32 s0, 0
	s_wait_loadcnt 0x5
	v_cmp_lt_u32_e32 vcc_lo, 0xffffff, v2
	v_and_b32_e32 v1, 0xff, v2
	v_and_b32_e32 v14, 0xff00, v2
	;; [unrolled: 1-line block ×4, first 2 shown]
	s_wait_loadcnt 0x2
	v_cndmask_b32_e32 v2, v6, v8, vcc_lo
	v_cmp_lt_u32_e32 vcc_lo, 0xffffff, v3
	v_and_b32_e32 v17, 0xff00, v3
	v_and_b32_e32 v18, 0xff0000, v3
	;; [unrolled: 1-line block ×4, first 2 shown]
	v_cndmask_b32_e32 v3, v7, v9, vcc_lo
	v_cmp_lt_u32_e32 vcc_lo, 0xffffff, v4
	v_and_b32_e32 v21, 0xff0000, v4
	v_and_b32_e32 v22, 0xff, v5
	;; [unrolled: 1-line block ×4, first 2 shown]
	s_wait_loadcnt 0x0
	v_cndmask_b32_e32 v4, v12, v10, vcc_lo
	v_cmp_lt_u32_e32 vcc_lo, 0xffffff, v5
	v_and_b32_e32 v2, 0xff000000, v2
	v_and_b32_e32 v3, 0xff000000, v3
	v_cndmask_b32_e32 v5, v13, v11, vcc_lo
	v_cmp_eq_u32_e32 vcc_lo, 0, v1
	v_and_b32_e32 v4, 0xff000000, v4
	s_delay_alu instid0(VALU_DEP_3) | instskip(SKIP_4) | instid1(VALU_DEP_2)
	v_and_b32_e32 v5, 0xff000000, v5
	v_cndmask_b32_e32 v1, v8, v6, vcc_lo
	v_cmp_eq_u32_e32 vcc_lo, 0, v14
	v_cndmask_b32_e32 v14, v8, v6, vcc_lo
	v_cmp_eq_u32_e32 vcc_lo, 0, v15
	v_perm_b32 v1, v14, v1, 0xc0c0500
	v_cndmask_b32_e32 v6, v8, v6, vcc_lo
	v_cmp_eq_u32_e32 vcc_lo, 0, v16
	v_cndmask_b32_e32 v8, v9, v7, vcc_lo
	v_cmp_eq_u32_e32 vcc_lo, 0, v17
	s_delay_alu instid0(VALU_DEP_4) | instskip(NEXT) | instid1(VALU_DEP_3)
	v_and_b32_e32 v6, 0xff0000, v6
	v_and_b32_e32 v8, 0xff, v8
	v_cndmask_b32_e32 v15, v9, v7, vcc_lo
	v_cmp_eq_u32_e32 vcc_lo, 0, v18
	s_delay_alu instid0(VALU_DEP_4) | instskip(SKIP_2) | instid1(VALU_DEP_3)
	v_or3_b32 v1, v1, v6, v2
	v_cndmask_b32_e32 v7, v9, v7, vcc_lo
	v_cmp_eq_u32_e32 vcc_lo, 0, v19
	v_or3_b32 v2, v1, 0, 0
	s_delay_alu instid0(VALU_DEP_3) | instskip(SKIP_4) | instid1(VALU_DEP_2)
	v_and_b32_e32 v7, 0xff0000, v7
	v_cndmask_b32_e32 v9, v10, v12, vcc_lo
	v_cmp_eq_u32_e32 vcc_lo, 0, v20
	v_cndmask_b32_e32 v16, v10, v12, vcc_lo
	v_cmp_eq_u32_e32 vcc_lo, 0, v21
	v_perm_b32 v9, v16, v9, 0xc0c0500
	v_cndmask_b32_e32 v10, v10, v12, vcc_lo
	v_cmp_eq_u32_e32 vcc_lo, 0, v22
	v_cndmask_b32_e32 v12, v11, v13, vcc_lo
	v_cmp_eq_u32_e32 vcc_lo, 0, v23
	s_delay_alu instid0(VALU_DEP_4) | instskip(NEXT) | instid1(VALU_DEP_3)
	v_and_b32_e32 v10, 0xff0000, v10
	v_and_b32_e32 v12, 0xff, v12
	v_cndmask_b32_e32 v17, v11, v13, vcc_lo
	v_cmp_eq_u32_e32 vcc_lo, 0, v24
	s_delay_alu instid0(VALU_DEP_4) | instskip(SKIP_3) | instid1(VALU_DEP_4)
	v_or3_b32 v4, v9, v10, v4
	v_cndmask_b32_e32 v11, v11, v13, vcc_lo
	v_and_b32_e32 v13, 0xff00, v15
	v_and_b32_e32 v14, 0xff00, v17
	v_or3_b32 v4, v4, 0, 0
	s_delay_alu instid0(VALU_DEP_4) | instskip(NEXT) | instid1(VALU_DEP_4)
	v_and_b32_e32 v11, 0xff0000, v11
	v_or_b32_e32 v8, v8, v13
	s_delay_alu instid0(VALU_DEP_4) | instskip(NEXT) | instid1(VALU_DEP_2)
	v_or_b32_e32 v6, v12, v14
	v_or3_b32 v3, v8, v7, v3
	s_delay_alu instid0(VALU_DEP_2)
	v_or3_b32 v5, v6, v11, v5
	s_clause 0x1
	global_store_b64 v0, v[2:3], s[2:3] scale_offset
	global_store_b64 v0, v[4:5], s[2:3] offset:2048 scale_offset
.LBB3_2:
	s_and_not1_b32 vcc_lo, exec_lo, s0
	s_cbranch_vccnz .LBB3_54
; %bb.3:
	v_cmp_le_i32_e64 s0, s26, v0
	v_or_b32_e32 v1, 0x100, v0
	v_cmp_gt_i32_e32 vcc_lo, s26, v0
	s_wait_xcnt 0x0
	s_and_saveexec_b32 s1, s0
	s_delay_alu instid0(SALU_CYCLE_1)
	s_xor_b32 s0, exec_lo, s1
; %bb.4:
	v_or_b32_e32 v1, 0x100, v0
; %bb.5:
	s_or_saveexec_b32 s25, s0
	v_dual_mov_b32 v39, 0 :: v_dual_bitop2_b32 v10, s24, v0 bitop3:0x54
	v_dual_mov_b32 v38, 0 :: v_dual_mov_b32 v37, 0
	v_dual_mov_b32 v36, 0 :: v_dual_mov_b32 v35, 0
	;; [unrolled: 1-line block ×15, first 2 shown]
	s_mov_b32 s0, 0
	s_mov_b32 s14, 0
	;; [unrolled: 1-line block ×15, first 2 shown]
	s_xor_b32 exec_lo, exec_lo, s25
	s_cbranch_execz .LBB3_37
; %bb.6:
	s_clause 0x2
	global_load_u8 v2, v10, s[18:19]
	global_load_u8 v12, v10, s[20:21]
	;; [unrolled: 1-line block ×3, first 2 shown]
	v_dual_mov_b32 v11, 0 :: v_dual_mov_b32 v14, 0
	v_cmp_gt_u32_e64 s1, s26, v1
	v_dual_mov_b32 v3, 0 :: v_dual_mov_b32 v15, 0
	v_dual_mov_b32 v4, 0 :: v_dual_mov_b32 v17, 0
	;; [unrolled: 1-line block ×13, first 2 shown]
	v_mov_b32_e32 v39, 0
	s_mov_b32 s28, 0
	s_mov_b32 s15, 0
	s_wait_loadcnt 0x2
	v_cmp_ne_u16_e64 s0, 0, v2
	s_wait_xcnt 0x0
	s_and_saveexec_b32 s27, s1
	s_cbranch_execz .LBB3_36
; %bb.7:
	v_dual_mov_b32 v3, 0 :: v_dual_add_nc_u32 v2, s24, v0
	v_or_b32_e32 v6, 0x200, v0
	v_dual_mov_b32 v15, 0 :: v_dual_mov_b32 v4, 0
	s_clause 0x2
	global_load_u8 v5, v2, s[18:19] offset:256
	global_load_u8 v14, v2, s[20:21] offset:256
	;; [unrolled: 1-line block ×3, first 2 shown]
	v_dual_mov_b32 v17, 0 :: v_dual_mov_b32 v16, 0
	v_dual_mov_b32 v19, 0 :: v_dual_mov_b32 v18, 0
	;; [unrolled: 1-line block ×12, first 2 shown]
	s_mov_b32 s29, 0
	s_mov_b32 s30, 0
	s_mov_b32 s31, 0
	s_mov_b32 s33, 0
	s_mov_b32 s28, exec_lo
	s_wait_loadcnt 0x2
	v_cmp_ne_u16_e64 s1, 0, v5
	s_wait_xcnt 0x0
	v_cmpx_gt_u32_e64 s26, v6
	s_cbranch_execz .LBB3_35
; %bb.8:
	v_add_nc_u64_e32 v[4:5], s[18:19], v[2:3]
	v_add_nc_u64_e32 v[6:7], s[20:21], v[2:3]
	;; [unrolled: 1-line block ×3, first 2 shown]
	v_or_b32_e32 v40, 0x300, v0
	v_dual_mov_b32 v17, 0 :: v_dual_mov_b32 v16, 0
	v_dual_mov_b32 v19, 0 :: v_dual_mov_b32 v18, 0
	global_load_u8 v39, v[4:5], off offset:512
	global_load_u8 v15, v[6:7], off offset:512
	;; [unrolled: 1-line block ×3, first 2 shown]
	v_dual_mov_b32 v20, 0 :: v_dual_mov_b32 v21, 0
	v_dual_mov_b32 v22, 0 :: v_dual_mov_b32 v23, 0
	;; [unrolled: 1-line block ×9, first 2 shown]
	v_mov_b32_e32 v38, 0
	s_mov_b32 s19, 0
	s_mov_b32 s20, 0
	s_mov_b32 s18, exec_lo
	s_wait_loadcnt 0x2
	v_cmp_ne_u16_e64 s2, 0, v39
	v_mov_b32_e32 v39, 0
	s_wait_xcnt 0x0
	v_cmpx_gt_u32_e64 s26, v40
	s_cbranch_execz .LBB3_34
; %bb.9:
	global_load_u8 v39, v[4:5], off offset:768
	global_load_u8 v17, v[6:7], off offset:768
	;; [unrolled: 1-line block ×3, first 2 shown]
	v_dual_mov_b32 v16, 0 :: v_dual_mov_b32 v19, 0
	v_or_b32_e32 v40, 0x400, v0
	v_dual_mov_b32 v18, 0 :: v_dual_mov_b32 v20, 0
	v_dual_mov_b32 v21, 0 :: v_dual_mov_b32 v22, 0
	;; [unrolled: 1-line block ×10, first 2 shown]
	s_mov_b32 s21, 0
	s_mov_b32 s19, exec_lo
	s_wait_loadcnt 0x2
	v_cmp_ne_u16_e64 s3, 0, v39
	v_mov_b32_e32 v39, 0
	s_wait_xcnt 0x0
	v_cmpx_gt_u32_e64 s26, v40
	s_cbranch_execz .LBB3_33
; %bb.10:
	global_load_u8 v39, v[4:5], off offset:1024
	global_load_u8 v19, v[6:7], off offset:1024
	;; [unrolled: 1-line block ×3, first 2 shown]
	v_dual_mov_b32 v18, 0 :: v_dual_mov_b32 v20, 0
	v_or_b32_e32 v40, 0x500, v0
	v_dual_mov_b32 v21, 0 :: v_dual_mov_b32 v22, 0
	v_dual_mov_b32 v23, 0 :: v_dual_mov_b32 v24, 0
	;; [unrolled: 1-line block ×9, first 2 shown]
	s_mov_b32 s22, 0
	s_mov_b32 s20, exec_lo
	s_wait_loadcnt 0x2
	v_cmp_ne_u16_e64 s4, 0, v39
	v_mov_b32_e32 v39, 0
	s_wait_xcnt 0x0
	v_cmpx_gt_u32_e64 s26, v40
	s_cbranch_execz .LBB3_32
; %bb.11:
	global_load_u8 v39, v[4:5], off offset:1280
	global_load_u8 v20, v[6:7], off offset:1280
	global_load_u8 v18, v[8:9], off offset:1280
	v_dual_mov_b32 v21, 0 :: v_dual_mov_b32 v22, 0
	v_or_b32_e32 v40, 0x600, v0
	v_dual_mov_b32 v23, 0 :: v_dual_mov_b32 v24, 0
	v_dual_mov_b32 v25, 0 :: v_dual_mov_b32 v26, 0
	;; [unrolled: 1-line block ×8, first 2 shown]
	s_mov_b32 s21, exec_lo
	s_wait_loadcnt 0x2
	v_cmp_ne_u16_e64 s5, 0, v39
	v_mov_b32_e32 v39, 0
	s_wait_xcnt 0x0
	v_cmpx_gt_u32_e64 s26, v40
	s_cbranch_execz .LBB3_31
; %bb.12:
	global_load_u8 v39, v[4:5], off offset:1536
	global_load_u8 v22, v[6:7], off offset:1536
	;; [unrolled: 1-line block ×3, first 2 shown]
	v_dual_mov_b32 v23, 0 :: v_dual_mov_b32 v24, 0
	v_or_b32_e32 v40, 0x700, v0
	v_dual_mov_b32 v25, 0 :: v_dual_mov_b32 v26, 0
	v_dual_mov_b32 v27, 0 :: v_dual_mov_b32 v28, 0
	;; [unrolled: 1-line block ×7, first 2 shown]
	s_mov_b32 s23, 0
	s_mov_b32 s22, exec_lo
	s_wait_loadcnt 0x2
	v_cmp_ne_u16_e64 s6, 0, v39
	v_mov_b32_e32 v39, 0
	s_wait_xcnt 0x0
	v_cmpx_gt_u32_e64 s26, v40
	s_cbranch_execz .LBB3_30
; %bb.13:
	global_load_u8 v39, v[4:5], off offset:1792
	global_load_u8 v24, v[6:7], off offset:1792
	;; [unrolled: 1-line block ×3, first 2 shown]
	v_dual_mov_b32 v25, 0 :: v_dual_mov_b32 v26, 0
	v_or_b32_e32 v40, 0x800, v0
	v_dual_mov_b32 v27, 0 :: v_dual_mov_b32 v28, 0
	v_dual_mov_b32 v29, 0 :: v_dual_mov_b32 v30, 0
	;; [unrolled: 1-line block ×6, first 2 shown]
	s_mov_b32 s23, exec_lo
	s_wait_loadcnt 0x2
	v_cmp_ne_u16_e64 s7, 0, v39
	v_mov_b32_e32 v39, 0
	s_wait_xcnt 0x0
	v_cmpx_gt_u32_e64 s26, v40
	s_cbranch_execz .LBB3_29
; %bb.14:
	global_load_u8 v39, v[4:5], off offset:2048
	global_load_u8 v26, v[6:7], off offset:2048
	;; [unrolled: 1-line block ×3, first 2 shown]
	v_dual_mov_b32 v27, 0 :: v_dual_mov_b32 v28, 0
	v_or_b32_e32 v40, 0x900, v0
	v_dual_mov_b32 v29, 0 :: v_dual_mov_b32 v30, 0
	v_dual_mov_b32 v31, 0 :: v_dual_mov_b32 v32, 0
	;; [unrolled: 1-line block ×5, first 2 shown]
	s_mov_b32 s29, exec_lo
	s_wait_loadcnt 0x2
	v_cmp_ne_u16_e64 s8, 0, v39
	v_mov_b32_e32 v39, 0
	s_wait_xcnt 0x0
	v_cmpx_gt_u32_e64 s26, v40
	s_cbranch_execz .LBB3_28
; %bb.15:
	global_load_u8 v39, v[4:5], off offset:2304
	global_load_u8 v28, v[6:7], off offset:2304
	;; [unrolled: 1-line block ×3, first 2 shown]
	v_dual_mov_b32 v29, 0 :: v_dual_mov_b32 v30, 0
	v_or_b32_e32 v40, 0xa00, v0
	v_dual_mov_b32 v31, 0 :: v_dual_mov_b32 v32, 0
	v_dual_mov_b32 v33, 0 :: v_dual_mov_b32 v34, 0
	;; [unrolled: 1-line block ×4, first 2 shown]
	s_mov_b32 s30, exec_lo
	s_wait_loadcnt 0x2
	v_cmp_ne_u16_e64 s9, 0, v39
	v_mov_b32_e32 v39, 0
	s_wait_xcnt 0x0
	v_cmpx_gt_u32_e64 s26, v40
	s_cbranch_execz .LBB3_27
; %bb.16:
	global_load_u8 v39, v[4:5], off offset:2560
	global_load_u8 v30, v[6:7], off offset:2560
	;; [unrolled: 1-line block ×3, first 2 shown]
	v_dual_mov_b32 v31, 0 :: v_dual_mov_b32 v32, 0
	v_or_b32_e32 v40, 0xb00, v0
	v_dual_mov_b32 v33, 0 :: v_dual_mov_b32 v34, 0
	v_dual_mov_b32 v35, 0 :: v_dual_mov_b32 v36, 0
	;; [unrolled: 1-line block ×3, first 2 shown]
	s_mov_b32 s31, exec_lo
	s_wait_loadcnt 0x2
	v_cmp_ne_u16_e64 s10, 0, v39
	v_mov_b32_e32 v39, 0
	s_wait_xcnt 0x0
	v_cmpx_gt_u32_e64 s26, v40
	s_cbranch_execz .LBB3_26
; %bb.17:
	global_load_u8 v39, v[4:5], off offset:2816
	global_load_u8 v32, v[6:7], off offset:2816
	;; [unrolled: 1-line block ×3, first 2 shown]
	v_dual_mov_b32 v33, 0 :: v_dual_mov_b32 v34, 0
	v_or_b32_e32 v40, 0xc00, v0
	v_dual_mov_b32 v35, 0 :: v_dual_mov_b32 v36, 0
	v_dual_mov_b32 v37, 0 :: v_dual_mov_b32 v38, 0
	s_mov_b32 s33, exec_lo
	s_wait_loadcnt 0x2
	v_cmp_ne_u16_e64 s11, 0, v39
	v_mov_b32_e32 v39, 0
	s_wait_xcnt 0x0
	v_cmpx_gt_u32_e64 s26, v40
	s_cbranch_execz .LBB3_25
; %bb.18:
	global_load_u8 v39, v[4:5], off offset:3072
	global_load_u8 v34, v[6:7], off offset:3072
	;; [unrolled: 1-line block ×3, first 2 shown]
	v_or_b32_e32 v40, 0xd00, v0
	v_dual_mov_b32 v35, 0 :: v_dual_mov_b32 v36, 0
	v_dual_mov_b32 v37, 0 :: v_dual_mov_b32 v38, 0
	s_mov_b32 s35, 0
	s_mov_b32 s34, exec_lo
	s_wait_loadcnt 0x2
	v_cmp_ne_u16_e64 s12, 0, v39
	v_mov_b32_e32 v39, 0
	s_wait_xcnt 0x0
	v_cmpx_gt_u32_e64 s26, v40
	s_cbranch_execz .LBB3_24
; %bb.19:
	global_load_u8 v39, v[4:5], off offset:3328
	global_load_u8 v36, v[6:7], off offset:3328
	;; [unrolled: 1-line block ×3, first 2 shown]
	v_or_b32_e32 v40, 0xe00, v0
	v_dual_mov_b32 v37, 0 :: v_dual_mov_b32 v38, 0
	s_mov_b32 s36, 0
	s_mov_b32 s35, exec_lo
	s_wait_loadcnt 0x2
	v_cmp_ne_u16_e64 s13, 0, v39
	v_mov_b32_e32 v39, 0
	s_wait_xcnt 0x0
	v_cmpx_gt_u32_e64 s26, v40
	s_cbranch_execz .LBB3_23
; %bb.20:
	global_load_u8 v40, v[4:5], off offset:3584
	global_load_u8 v38, v[6:7], off offset:3584
	;; [unrolled: 1-line block ×3, first 2 shown]
	v_or_b32_e32 v41, 0xf00, v0
	v_mov_b32_e32 v39, 0
	s_mov_b32 s36, exec_lo
	s_wait_loadcnt 0x2
	v_cmp_ne_u16_e64 s14, 0, v40
	s_wait_xcnt 0x0
	v_cmpx_gt_u32_e64 s26, v41
	s_cbranch_execz .LBB3_22
; %bb.21:
	global_load_u8 v39, v[4:5], off offset:3840
	global_load_u8 v40, v[8:9], off offset:3840
	;; [unrolled: 1-line block ×3, first 2 shown]
	s_wait_loadcnt 0x2
	v_cmp_eq_u16_e64 s15, 0, v39
	s_wait_loadcnt 0x0
	s_delay_alu instid0(VALU_DEP_1)
	v_cndmask_b32_e64 v39, v41, v40, s15
.LBB3_22:
	s_wait_xcnt 0x0
	s_or_b32 exec_lo, exec_lo, s36
	s_delay_alu instid0(SALU_CYCLE_1)
	s_and_b32 s36, s14, exec_lo
.LBB3_23:
	s_or_b32 exec_lo, exec_lo, s35
	s_delay_alu instid0(SALU_CYCLE_1)
	s_and_b32 s15, s13, exec_lo
	s_and_b32 s35, s36, exec_lo
.LBB3_24:
	s_or_b32 exec_lo, exec_lo, s34
	s_delay_alu instid0(SALU_CYCLE_1)
	s_and_b32 s14, s12, exec_lo
	s_and_b32 s15, s15, exec_lo
	;; [unrolled: 1-line block ×3, first 2 shown]
.LBB3_25:
	s_or_b32 exec_lo, exec_lo, s33
	s_delay_alu instid0(SALU_CYCLE_1)
	s_and_b32 s33, s11, exec_lo
	s_and_b32 s14, s14, exec_lo
	;; [unrolled: 1-line block ×4, first 2 shown]
.LBB3_26:
	s_or_b32 exec_lo, exec_lo, s31
	s_delay_alu instid0(SALU_CYCLE_1)
	s_and_b32 s15, s10, exec_lo
	s_and_b32 s31, s33, exec_lo
	;; [unrolled: 1-line block ×5, first 2 shown]
.LBB3_27:
	s_or_b32 exec_lo, exec_lo, s30
	s_delay_alu instid0(SALU_CYCLE_1)
	s_and_b32 s14, s9, exec_lo
	s_and_b32 s15, s15, exec_lo
	s_and_b32 s31, s31, exec_lo
	s_and_b32 s10, s33, exec_lo
	s_and_b32 s13, s12, exec_lo
	s_and_b32 s12, s11, exec_lo
.LBB3_28:
	s_or_b32 exec_lo, exec_lo, s29
	s_delay_alu instid0(SALU_CYCLE_1)
	s_and_b32 s30, s8, exec_lo
	s_and_b32 s14, s14, exec_lo
	;; [unrolled: 1-line block ×7, first 2 shown]
.LBB3_29:
	s_or_b32 exec_lo, exec_lo, s23
	s_delay_alu instid0(SALU_CYCLE_1)
	s_and_b32 s29, s7, exec_lo
	s_and_b32 s23, s30, exec_lo
	;; [unrolled: 1-line block ×8, first 2 shown]
.LBB3_30:
	s_or_b32 exec_lo, exec_lo, s22
	s_delay_alu instid0(SALU_CYCLE_1)
	s_and_b32 s15, s6, exec_lo
	s_and_b32 s22, s29, exec_lo
	;; [unrolled: 1-line block ×9, first 2 shown]
.LBB3_31:
	s_or_b32 exec_lo, exec_lo, s21
	s_delay_alu instid0(SALU_CYCLE_1)
	s_and_b32 s14, s5, exec_lo
	s_and_b32 s15, s15, exec_lo
	;; [unrolled: 1-line block ×10, first 2 shown]
.LBB3_32:
	s_or_b32 exec_lo, exec_lo, s20
	s_delay_alu instid0(SALU_CYCLE_1)
	s_and_b32 s21, s4, exec_lo
	s_and_b32 s14, s14, exec_lo
	;; [unrolled: 1-line block ×11, first 2 shown]
.LBB3_33:
	s_or_b32 exec_lo, exec_lo, s19
	s_delay_alu instid0(SALU_CYCLE_1)
	s_and_b32 s20, s3, exec_lo
	s_and_b32 s19, s21, exec_lo
	;; [unrolled: 1-line block ×12, first 2 shown]
.LBB3_34:
	s_or_b32 exec_lo, exec_lo, s18
	s_wait_loadcnt 0x0
	v_dual_mov_b32 v4, v3 :: v_dual_mov_b32 v3, v2
	s_and_b32 s15, s2, exec_lo
	s_and_b32 s33, s20, exec_lo
	;; [unrolled: 1-line block ×13, first 2 shown]
.LBB3_35:
	s_or_b32 exec_lo, exec_lo, s28
	s_delay_alu instid0(SALU_CYCLE_1)
	s_and_b32 s14, s1, exec_lo
	s_and_b32 s15, s15, exec_lo
	;; [unrolled: 1-line block ×14, first 2 shown]
.LBB3_36:
	s_or_b32 exec_lo, exec_lo, s27
	s_delay_alu instid0(SALU_CYCLE_1)
	s_and_b32 s2, s2, exec_lo
	s_and_b32 s4, s13, exec_lo
	;; [unrolled: 1-line block ×15, first 2 shown]
.LBB3_37:
	s_or_b32 exec_lo, exec_lo, s25
	s_and_saveexec_b32 s15, vcc_lo
	s_cbranch_execz .LBB3_54
; %bb.38:
	s_wait_loadcnt 0x0
	v_cndmask_b32_e64 v2, v13, v12, s0
	v_cmp_gt_u32_e32 vcc_lo, s26, v1
	global_store_b8 v10, v2, s[16:17]
	s_wait_xcnt 0x0
	s_and_b32 exec_lo, exec_lo, vcc_lo
	s_cbranch_execz .LBB3_54
; %bb.39:
	v_or_b32_e32 v2, 0x200, v0
	v_dual_cndmask_b32 v5, v11, v14, s14 :: v_dual_bitop2_b32 v1, s24, v1 bitop3:0x54
	s_delay_alu instid0(VALU_DEP_2)
	v_cmp_gt_i32_e32 vcc_lo, s26, v2
	global_store_b8 v1, v5, s[16:17]
	s_wait_xcnt 0x0
	s_and_b32 exec_lo, exec_lo, vcc_lo
	s_cbranch_execz .LBB3_54
; %bb.40:
	v_or_b32_e32 v1, 0x300, v0
	v_dual_cndmask_b32 v3, v3, v15, s13 :: v_dual_add_nc_u32 v2, s24, v0
	s_delay_alu instid0(VALU_DEP_2)
	v_cmp_gt_i32_e32 vcc_lo, s26, v1
	global_store_b8 v2, v3, s[16:17] offset:512
	s_wait_xcnt 0x0
	s_and_b32 exec_lo, exec_lo, vcc_lo
	s_cbranch_execz .LBB3_54
; %bb.41:
	v_dual_mov_b32 v3, 0 :: v_dual_cndmask_b32 v4, v4, v17, s12
	v_or_b32_e32 v1, 0x400, v0
	s_delay_alu instid0(VALU_DEP_2) | instskip(NEXT) | instid1(VALU_DEP_2)
	v_add_nc_u64_e32 v[2:3], s[16:17], v[2:3]
	v_cmp_gt_u32_e32 vcc_lo, s26, v1
	global_store_b8 v[2:3], v4, off offset:768
	s_wait_xcnt 0x0
	s_and_b32 exec_lo, exec_lo, vcc_lo
	s_cbranch_execz .LBB3_54
; %bb.42:
	v_or_b32_e32 v1, 0x500, v0
	v_cndmask_b32_e64 v4, v16, v19, s11
	s_delay_alu instid0(VALU_DEP_2)
	v_cmp_gt_i32_e32 vcc_lo, s26, v1
	global_store_b8 v[2:3], v4, off offset:1024
	s_wait_xcnt 0x0
	s_and_b32 exec_lo, exec_lo, vcc_lo
	s_cbranch_execz .LBB3_54
; %bb.43:
	v_or_b32_e32 v1, 0x600, v0
	v_cndmask_b32_e64 v4, v18, v20, s10
	s_delay_alu instid0(VALU_DEP_2)
	v_cmp_gt_i32_e32 vcc_lo, s26, v1
	;; [unrolled: 9-line block ×3, first 2 shown]
	global_store_b8 v[2:3], v4, off offset:1536
	s_wait_xcnt 0x0
	s_and_b32 exec_lo, exec_lo, vcc_lo
	s_cbranch_execz .LBB3_54
; %bb.45:
	v_or_b32_e32 v1, 0x800, v0
	v_cndmask_b32_e64 v4, v23, v24, s8
	s_delay_alu instid0(VALU_DEP_2)
	v_cmp_gt_u32_e32 vcc_lo, s26, v1
	global_store_b8 v[2:3], v4, off offset:1792
	s_wait_xcnt 0x0
	s_and_b32 exec_lo, exec_lo, vcc_lo
	s_cbranch_execz .LBB3_54
; %bb.46:
	v_or_b32_e32 v1, 0x900, v0
	v_cndmask_b32_e64 v4, v25, v26, s7
	s_delay_alu instid0(VALU_DEP_2)
	v_cmp_gt_i32_e32 vcc_lo, s26, v1
	global_store_b8 v[2:3], v4, off offset:2048
	s_wait_xcnt 0x0
	s_and_b32 exec_lo, exec_lo, vcc_lo
	s_cbranch_execz .LBB3_54
; %bb.47:
	v_or_b32_e32 v1, 0xa00, v0
	v_cndmask_b32_e64 v4, v27, v28, s6
	s_delay_alu instid0(VALU_DEP_2)
	v_cmp_gt_i32_e32 vcc_lo, s26, v1
	;; [unrolled: 9-line block ×3, first 2 shown]
	global_store_b8 v[2:3], v4, off offset:2560
	s_wait_xcnt 0x0
	s_and_b32 exec_lo, exec_lo, vcc_lo
	s_cbranch_execz .LBB3_54
; %bb.49:
	v_or_b32_e32 v1, 0xc00, v0
	v_cndmask_b32_e64 v4, v31, v32, s3
	s_delay_alu instid0(VALU_DEP_2)
	v_cmp_gt_u32_e32 vcc_lo, s26, v1
	global_store_b8 v[2:3], v4, off offset:2816
	s_wait_xcnt 0x0
	s_and_b32 exec_lo, exec_lo, vcc_lo
	s_cbranch_execz .LBB3_54
; %bb.50:
	v_or_b32_e32 v1, 0xd00, v0
	v_cndmask_b32_e64 v4, v33, v34, s1
	s_delay_alu instid0(VALU_DEP_2)
	v_cmp_gt_i32_e32 vcc_lo, s26, v1
	global_store_b8 v[2:3], v4, off offset:3072
	s_wait_xcnt 0x0
	s_and_b32 exec_lo, exec_lo, vcc_lo
	s_cbranch_execz .LBB3_54
; %bb.51:
	v_or_b32_e32 v1, 0xe00, v0
	v_cndmask_b32_e64 v4, v35, v36, s4
	s_delay_alu instid0(VALU_DEP_2)
	v_cmp_gt_i32_e32 vcc_lo, s26, v1
	;; [unrolled: 9-line block ×3, first 2 shown]
	global_store_b8 v[2:3], v1, off offset:3584
	s_wait_xcnt 0x0
	s_and_b32 exec_lo, exec_lo, vcc_lo
	s_cbranch_execz .LBB3_54
; %bb.53:
	global_store_b8 v[2:3], v39, off offset:3840
.LBB3_54:
	s_endpgm
	.section	.rodata,"a",@progbits
	.p2align	6, 0x0
	.amdhsa_kernel _ZN2at6native29vectorized_elementwise_kernelILi8EZZZNS0_12_GLOBAL__N_117where_kernel_implERNS_14TensorIteratorEENKUlvE_clEvENKUlvE_clEvEUlbhhE_St5arrayIPcLm4EEEEviT0_T1_
		.amdhsa_group_segment_fixed_size 0
		.amdhsa_private_segment_fixed_size 0
		.amdhsa_kernarg_size 40
		.amdhsa_user_sgpr_count 2
		.amdhsa_user_sgpr_dispatch_ptr 0
		.amdhsa_user_sgpr_queue_ptr 0
		.amdhsa_user_sgpr_kernarg_segment_ptr 1
		.amdhsa_user_sgpr_dispatch_id 0
		.amdhsa_user_sgpr_kernarg_preload_length 0
		.amdhsa_user_sgpr_kernarg_preload_offset 0
		.amdhsa_user_sgpr_private_segment_size 0
		.amdhsa_wavefront_size32 1
		.amdhsa_uses_dynamic_stack 0
		.amdhsa_enable_private_segment 0
		.amdhsa_system_sgpr_workgroup_id_x 1
		.amdhsa_system_sgpr_workgroup_id_y 0
		.amdhsa_system_sgpr_workgroup_id_z 0
		.amdhsa_system_sgpr_workgroup_info 0
		.amdhsa_system_vgpr_workitem_id 0
		.amdhsa_next_free_vgpr 42
		.amdhsa_next_free_sgpr 37
		.amdhsa_named_barrier_count 0
		.amdhsa_reserve_vcc 1
		.amdhsa_float_round_mode_32 0
		.amdhsa_float_round_mode_16_64 0
		.amdhsa_float_denorm_mode_32 3
		.amdhsa_float_denorm_mode_16_64 3
		.amdhsa_fp16_overflow 0
		.amdhsa_memory_ordered 1
		.amdhsa_forward_progress 1
		.amdhsa_inst_pref_size 36
		.amdhsa_round_robin_scheduling 0
		.amdhsa_exception_fp_ieee_invalid_op 0
		.amdhsa_exception_fp_denorm_src 0
		.amdhsa_exception_fp_ieee_div_zero 0
		.amdhsa_exception_fp_ieee_overflow 0
		.amdhsa_exception_fp_ieee_underflow 0
		.amdhsa_exception_fp_ieee_inexact 0
		.amdhsa_exception_int_div_zero 0
	.end_amdhsa_kernel
	.section	.text._ZN2at6native29vectorized_elementwise_kernelILi8EZZZNS0_12_GLOBAL__N_117where_kernel_implERNS_14TensorIteratorEENKUlvE_clEvENKUlvE_clEvEUlbhhE_St5arrayIPcLm4EEEEviT0_T1_,"axG",@progbits,_ZN2at6native29vectorized_elementwise_kernelILi8EZZZNS0_12_GLOBAL__N_117where_kernel_implERNS_14TensorIteratorEENKUlvE_clEvENKUlvE_clEvEUlbhhE_St5arrayIPcLm4EEEEviT0_T1_,comdat
.Lfunc_end3:
	.size	_ZN2at6native29vectorized_elementwise_kernelILi8EZZZNS0_12_GLOBAL__N_117where_kernel_implERNS_14TensorIteratorEENKUlvE_clEvENKUlvE_clEvEUlbhhE_St5arrayIPcLm4EEEEviT0_T1_, .Lfunc_end3-_ZN2at6native29vectorized_elementwise_kernelILi8EZZZNS0_12_GLOBAL__N_117where_kernel_implERNS_14TensorIteratorEENKUlvE_clEvENKUlvE_clEvEUlbhhE_St5arrayIPcLm4EEEEviT0_T1_
                                        ; -- End function
	.set _ZN2at6native29vectorized_elementwise_kernelILi8EZZZNS0_12_GLOBAL__N_117where_kernel_implERNS_14TensorIteratorEENKUlvE_clEvENKUlvE_clEvEUlbhhE_St5arrayIPcLm4EEEEviT0_T1_.num_vgpr, 42
	.set _ZN2at6native29vectorized_elementwise_kernelILi8EZZZNS0_12_GLOBAL__N_117where_kernel_implERNS_14TensorIteratorEENKUlvE_clEvENKUlvE_clEvEUlbhhE_St5arrayIPcLm4EEEEviT0_T1_.num_agpr, 0
	.set _ZN2at6native29vectorized_elementwise_kernelILi8EZZZNS0_12_GLOBAL__N_117where_kernel_implERNS_14TensorIteratorEENKUlvE_clEvENKUlvE_clEvEUlbhhE_St5arrayIPcLm4EEEEviT0_T1_.numbered_sgpr, 37
	.set _ZN2at6native29vectorized_elementwise_kernelILi8EZZZNS0_12_GLOBAL__N_117where_kernel_implERNS_14TensorIteratorEENKUlvE_clEvENKUlvE_clEvEUlbhhE_St5arrayIPcLm4EEEEviT0_T1_.num_named_barrier, 0
	.set _ZN2at6native29vectorized_elementwise_kernelILi8EZZZNS0_12_GLOBAL__N_117where_kernel_implERNS_14TensorIteratorEENKUlvE_clEvENKUlvE_clEvEUlbhhE_St5arrayIPcLm4EEEEviT0_T1_.private_seg_size, 0
	.set _ZN2at6native29vectorized_elementwise_kernelILi8EZZZNS0_12_GLOBAL__N_117where_kernel_implERNS_14TensorIteratorEENKUlvE_clEvENKUlvE_clEvEUlbhhE_St5arrayIPcLm4EEEEviT0_T1_.uses_vcc, 1
	.set _ZN2at6native29vectorized_elementwise_kernelILi8EZZZNS0_12_GLOBAL__N_117where_kernel_implERNS_14TensorIteratorEENKUlvE_clEvENKUlvE_clEvEUlbhhE_St5arrayIPcLm4EEEEviT0_T1_.uses_flat_scratch, 0
	.set _ZN2at6native29vectorized_elementwise_kernelILi8EZZZNS0_12_GLOBAL__N_117where_kernel_implERNS_14TensorIteratorEENKUlvE_clEvENKUlvE_clEvEUlbhhE_St5arrayIPcLm4EEEEviT0_T1_.has_dyn_sized_stack, 0
	.set _ZN2at6native29vectorized_elementwise_kernelILi8EZZZNS0_12_GLOBAL__N_117where_kernel_implERNS_14TensorIteratorEENKUlvE_clEvENKUlvE_clEvEUlbhhE_St5arrayIPcLm4EEEEviT0_T1_.has_recursion, 0
	.set _ZN2at6native29vectorized_elementwise_kernelILi8EZZZNS0_12_GLOBAL__N_117where_kernel_implERNS_14TensorIteratorEENKUlvE_clEvENKUlvE_clEvEUlbhhE_St5arrayIPcLm4EEEEviT0_T1_.has_indirect_call, 0
	.section	.AMDGPU.csdata,"",@progbits
; Kernel info:
; codeLenInByte = 4524
; TotalNumSgprs: 39
; NumVgprs: 42
; ScratchSize: 0
; MemoryBound: 0
; FloatMode: 240
; IeeeMode: 1
; LDSByteSize: 0 bytes/workgroup (compile time only)
; SGPRBlocks: 0
; VGPRBlocks: 2
; NumSGPRsForWavesPerEU: 39
; NumVGPRsForWavesPerEU: 42
; NamedBarCnt: 0
; Occupancy: 16
; WaveLimiterHint : 1
; COMPUTE_PGM_RSRC2:SCRATCH_EN: 0
; COMPUTE_PGM_RSRC2:USER_SGPR: 2
; COMPUTE_PGM_RSRC2:TRAP_HANDLER: 0
; COMPUTE_PGM_RSRC2:TGID_X_EN: 1
; COMPUTE_PGM_RSRC2:TGID_Y_EN: 0
; COMPUTE_PGM_RSRC2:TGID_Z_EN: 0
; COMPUTE_PGM_RSRC2:TIDIG_COMP_CNT: 0
	.section	.text._ZN2at6native29vectorized_elementwise_kernelILi4EZZZNS0_12_GLOBAL__N_117where_kernel_implERNS_14TensorIteratorEENKUlvE_clEvENKUlvE_clEvEUlbhhE_St5arrayIPcLm4EEEEviT0_T1_,"axG",@progbits,_ZN2at6native29vectorized_elementwise_kernelILi4EZZZNS0_12_GLOBAL__N_117where_kernel_implERNS_14TensorIteratorEENKUlvE_clEvENKUlvE_clEvEUlbhhE_St5arrayIPcLm4EEEEviT0_T1_,comdat
	.globl	_ZN2at6native29vectorized_elementwise_kernelILi4EZZZNS0_12_GLOBAL__N_117where_kernel_implERNS_14TensorIteratorEENKUlvE_clEvENKUlvE_clEvEUlbhhE_St5arrayIPcLm4EEEEviT0_T1_ ; -- Begin function _ZN2at6native29vectorized_elementwise_kernelILi4EZZZNS0_12_GLOBAL__N_117where_kernel_implERNS_14TensorIteratorEENKUlvE_clEvENKUlvE_clEvEUlbhhE_St5arrayIPcLm4EEEEviT0_T1_
	.p2align	8
	.type	_ZN2at6native29vectorized_elementwise_kernelILi4EZZZNS0_12_GLOBAL__N_117where_kernel_implERNS_14TensorIteratorEENKUlvE_clEvENKUlvE_clEvEUlbhhE_St5arrayIPcLm4EEEEviT0_T1_,@function
_ZN2at6native29vectorized_elementwise_kernelILi4EZZZNS0_12_GLOBAL__N_117where_kernel_implERNS_14TensorIteratorEENKUlvE_clEvENKUlvE_clEvEUlbhhE_St5arrayIPcLm4EEEEviT0_T1_: ; @_ZN2at6native29vectorized_elementwise_kernelILi4EZZZNS0_12_GLOBAL__N_117where_kernel_implERNS_14TensorIteratorEENKUlvE_clEvENKUlvE_clEvEUlbhhE_St5arrayIPcLm4EEEEviT0_T1_
; %bb.0:
	s_clause 0x1
	s_load_b32 s2, s[0:1], 0x0
	s_load_b256 s[16:23], s[0:1], 0x8
	s_wait_xcnt 0x0
	s_bfe_u32 s0, ttmp6, 0x4000c
	s_and_b32 s1, ttmp6, 15
	s_add_co_i32 s0, s0, 1
	s_getreg_b32 s3, hwreg(HW_REG_IB_STS2, 6, 4)
	s_mul_i32 s0, ttmp9, s0
	s_delay_alu instid0(SALU_CYCLE_1) | instskip(SKIP_2) | instid1(SALU_CYCLE_1)
	s_add_co_i32 s1, s1, s0
	s_cmp_eq_u32 s3, 0
	s_cselect_b32 s0, ttmp9, s1
	s_lshl_b32 s24, s0, 12
	s_mov_b32 s0, -1
	s_wait_kmcnt 0x0
	s_sub_co_i32 s26, s2, s24
	s_delay_alu instid0(SALU_CYCLE_1)
	s_cmp_gt_i32 s26, 0xfff
	s_cbranch_scc0 .LBB4_2
; %bb.1:
	s_ashr_i32 s25, s24, 31
	s_delay_alu instid0(SALU_CYCLE_1)
	s_add_nc_u64 s[0:1], s[18:19], s[24:25]
	s_add_nc_u64 s[2:3], s[20:21], s[24:25]
	s_clause 0x3
	global_load_b32 v1, v0, s[0:1] scale_offset
	global_load_b32 v2, v0, s[0:1] offset:1024 scale_offset
	global_load_b32 v3, v0, s[0:1] offset:2048 scale_offset
	;; [unrolled: 1-line block ×3, first 2 shown]
	s_wait_xcnt 0x0
	s_add_nc_u64 s[0:1], s[22:23], s[24:25]
	s_clause 0x7
	global_load_b32 v5, v0, s[0:1] scale_offset
	global_load_b32 v6, v0, s[2:3] scale_offset
	global_load_b32 v7, v0, s[2:3] offset:1024 scale_offset
	global_load_b32 v8, v0, s[0:1] offset:1024 scale_offset
	;; [unrolled: 1-line block ×6, first 2 shown]
	s_wait_xcnt 0x1
	s_add_nc_u64 s[2:3], s[16:17], s[24:25]
	s_wait_xcnt 0x0
	s_mov_b32 s0, 0
	s_wait_loadcnt 0xb
	v_cmp_lt_u32_e32 vcc_lo, 0xffffff, v1
	v_and_b32_e32 v13, 0xff, v1
	v_and_b32_e32 v14, 0xff00, v1
	;; [unrolled: 1-line block ×3, first 2 shown]
	s_wait_loadcnt 0xa
	v_and_b32_e32 v16, 0xff, v2
	s_wait_loadcnt 0x6
	v_cndmask_b32_e32 v1, v5, v6, vcc_lo
	v_cmp_lt_u32_e32 vcc_lo, 0xffffff, v2
	v_and_b32_e32 v17, 0xff00, v2
	v_and_b32_e32 v18, 0xff0000, v2
	;; [unrolled: 1-line block ×4, first 2 shown]
	s_wait_loadcnt 0x4
	v_cndmask_b32_e32 v2, v8, v7, vcc_lo
	v_cmp_lt_u32_e32 vcc_lo, 0xffffff, v3
	v_and_b32_e32 v21, 0xff0000, v3
	v_and_b32_e32 v22, 0xff, v4
	;; [unrolled: 1-line block ×4, first 2 shown]
	s_wait_loadcnt 0x2
	v_cndmask_b32_e32 v3, v9, v10, vcc_lo
	v_cmp_lt_u32_e32 vcc_lo, 0xffffff, v4
	v_and_b32_e32 v1, 0xff000000, v1
	v_and_b32_e32 v2, 0xff000000, v2
	s_wait_loadcnt 0x0
	v_cndmask_b32_e32 v4, v12, v11, vcc_lo
	v_cmp_eq_u32_e32 vcc_lo, 0, v13
	v_and_b32_e32 v3, 0xff000000, v3
	s_delay_alu instid0(VALU_DEP_3)
	v_and_b32_e32 v4, 0xff000000, v4
	v_cndmask_b32_e32 v13, v6, v5, vcc_lo
	v_cmp_eq_u32_e32 vcc_lo, 0, v14
	v_cndmask_b32_e32 v14, v6, v5, vcc_lo
	v_cmp_eq_u32_e32 vcc_lo, 0, v15
	;; [unrolled: 2-line block ×4, first 2 shown]
	s_delay_alu instid0(VALU_DEP_4) | instskip(SKIP_4) | instid1(VALU_DEP_4)
	v_and_b32_e32 v5, 0xff0000, v5
	v_cndmask_b32_e32 v15, v7, v8, vcc_lo
	v_cmp_eq_u32_e32 vcc_lo, 0, v18
	v_cndmask_b32_e32 v7, v7, v8, vcc_lo
	v_cmp_eq_u32_e32 vcc_lo, 0, v19
	v_perm_b32 v6, v15, v6, 0xc0c0500
	s_delay_alu instid0(VALU_DEP_3) | instskip(SKIP_2) | instid1(VALU_DEP_3)
	v_and_b32_e32 v7, 0xff0000, v7
	v_cndmask_b32_e32 v8, v10, v9, vcc_lo
	v_cmp_eq_u32_e32 vcc_lo, 0, v20
	v_or3_b32 v2, v6, v7, v2
	v_cndmask_b32_e32 v16, v10, v9, vcc_lo
	v_cmp_eq_u32_e32 vcc_lo, 0, v21
	s_delay_alu instid0(VALU_DEP_2) | instskip(SKIP_4) | instid1(VALU_DEP_4)
	v_perm_b32 v8, v16, v8, 0xc0c0500
	v_cndmask_b32_e32 v9, v10, v9, vcc_lo
	v_cmp_eq_u32_e32 vcc_lo, 0, v22
	v_cndmask_b32_e32 v10, v11, v12, vcc_lo
	v_cmp_eq_u32_e32 vcc_lo, 0, v23
	v_and_b32_e32 v9, 0xff0000, v9
	v_cndmask_b32_e32 v17, v11, v12, vcc_lo
	v_cmp_eq_u32_e32 vcc_lo, 0, v24
	s_delay_alu instid0(VALU_DEP_3) | instskip(SKIP_3) | instid1(VALU_DEP_3)
	v_or3_b32 v3, v8, v9, v3
	v_cndmask_b32_e32 v11, v11, v12, vcc_lo
	v_perm_b32 v12, v14, v13, 0xc0c0500
	v_perm_b32 v10, v17, v10, 0xc0c0500
	v_and_b32_e32 v11, 0xff0000, v11
	s_delay_alu instid0(VALU_DEP_3) | instskip(NEXT) | instid1(VALU_DEP_2)
	v_or3_b32 v1, v12, v5, v1
	v_or3_b32 v4, v10, v11, v4
	s_clause 0x3
	global_store_b32 v0, v1, s[2:3] scale_offset
	global_store_b32 v0, v2, s[2:3] offset:1024 scale_offset
	global_store_b32 v0, v3, s[2:3] offset:2048 scale_offset
	;; [unrolled: 1-line block ×3, first 2 shown]
.LBB4_2:
	s_and_not1_b32 vcc_lo, exec_lo, s0
	s_cbranch_vccnz .LBB4_54
; %bb.3:
	v_cmp_le_i32_e64 s0, s26, v0
	s_wait_xcnt 0x3
	v_or_b32_e32 v1, 0x100, v0
	v_cmp_gt_i32_e32 vcc_lo, s26, v0
	s_wait_xcnt 0x0
	s_and_saveexec_b32 s1, s0
	s_delay_alu instid0(SALU_CYCLE_1)
	s_xor_b32 s0, exec_lo, s1
; %bb.4:
	v_or_b32_e32 v1, 0x100, v0
; %bb.5:
	s_or_saveexec_b32 s25, s0
	v_dual_mov_b32 v39, 0 :: v_dual_bitop2_b32 v10, s24, v0 bitop3:0x54
	v_dual_mov_b32 v38, 0 :: v_dual_mov_b32 v37, 0
	v_dual_mov_b32 v36, 0 :: v_dual_mov_b32 v35, 0
	;; [unrolled: 1-line block ×15, first 2 shown]
	s_mov_b32 s0, 0
	s_mov_b32 s14, 0
	;; [unrolled: 1-line block ×15, first 2 shown]
	s_xor_b32 exec_lo, exec_lo, s25
	s_cbranch_execz .LBB4_37
; %bb.6:
	s_clause 0x2
	global_load_u8 v2, v10, s[18:19]
	global_load_u8 v12, v10, s[20:21]
	;; [unrolled: 1-line block ×3, first 2 shown]
	v_dual_mov_b32 v11, 0 :: v_dual_mov_b32 v14, 0
	v_cmp_gt_u32_e64 s1, s26, v1
	v_dual_mov_b32 v3, 0 :: v_dual_mov_b32 v15, 0
	v_dual_mov_b32 v4, 0 :: v_dual_mov_b32 v17, 0
	;; [unrolled: 1-line block ×13, first 2 shown]
	v_mov_b32_e32 v39, 0
	s_mov_b32 s28, 0
	s_mov_b32 s15, 0
	s_wait_loadcnt 0x2
	v_cmp_ne_u16_e64 s0, 0, v2
	s_wait_xcnt 0x0
	s_and_saveexec_b32 s27, s1
	s_cbranch_execz .LBB4_36
; %bb.7:
	v_dual_mov_b32 v3, 0 :: v_dual_add_nc_u32 v2, s24, v0
	v_or_b32_e32 v6, 0x200, v0
	v_dual_mov_b32 v15, 0 :: v_dual_mov_b32 v4, 0
	s_clause 0x2
	global_load_u8 v5, v2, s[18:19] offset:256
	global_load_u8 v14, v2, s[20:21] offset:256
	;; [unrolled: 1-line block ×3, first 2 shown]
	v_dual_mov_b32 v17, 0 :: v_dual_mov_b32 v16, 0
	v_dual_mov_b32 v19, 0 :: v_dual_mov_b32 v18, 0
	;; [unrolled: 1-line block ×12, first 2 shown]
	s_mov_b32 s29, 0
	s_mov_b32 s30, 0
	;; [unrolled: 1-line block ×4, first 2 shown]
	s_mov_b32 s28, exec_lo
	s_wait_loadcnt 0x2
	v_cmp_ne_u16_e64 s1, 0, v5
	s_wait_xcnt 0x0
	v_cmpx_gt_u32_e64 s26, v6
	s_cbranch_execz .LBB4_35
; %bb.8:
	v_add_nc_u64_e32 v[4:5], s[18:19], v[2:3]
	v_add_nc_u64_e32 v[6:7], s[20:21], v[2:3]
	;; [unrolled: 1-line block ×3, first 2 shown]
	v_or_b32_e32 v40, 0x300, v0
	v_dual_mov_b32 v17, 0 :: v_dual_mov_b32 v16, 0
	v_dual_mov_b32 v19, 0 :: v_dual_mov_b32 v18, 0
	global_load_u8 v39, v[4:5], off offset:512
	global_load_u8 v15, v[6:7], off offset:512
	;; [unrolled: 1-line block ×3, first 2 shown]
	v_dual_mov_b32 v20, 0 :: v_dual_mov_b32 v21, 0
	v_dual_mov_b32 v22, 0 :: v_dual_mov_b32 v23, 0
	;; [unrolled: 1-line block ×9, first 2 shown]
	v_mov_b32_e32 v38, 0
	s_mov_b32 s19, 0
	s_mov_b32 s20, 0
	s_mov_b32 s18, exec_lo
	s_wait_loadcnt 0x2
	v_cmp_ne_u16_e64 s2, 0, v39
	v_mov_b32_e32 v39, 0
	s_wait_xcnt 0x0
	v_cmpx_gt_u32_e64 s26, v40
	s_cbranch_execz .LBB4_34
; %bb.9:
	global_load_u8 v39, v[4:5], off offset:768
	global_load_u8 v17, v[6:7], off offset:768
	;; [unrolled: 1-line block ×3, first 2 shown]
	v_dual_mov_b32 v16, 0 :: v_dual_mov_b32 v19, 0
	v_or_b32_e32 v40, 0x400, v0
	v_dual_mov_b32 v18, 0 :: v_dual_mov_b32 v20, 0
	v_dual_mov_b32 v21, 0 :: v_dual_mov_b32 v22, 0
	;; [unrolled: 1-line block ×10, first 2 shown]
	s_mov_b32 s21, 0
	s_mov_b32 s19, exec_lo
	s_wait_loadcnt 0x2
	v_cmp_ne_u16_e64 s3, 0, v39
	v_mov_b32_e32 v39, 0
	s_wait_xcnt 0x0
	v_cmpx_gt_u32_e64 s26, v40
	s_cbranch_execz .LBB4_33
; %bb.10:
	global_load_u8 v39, v[4:5], off offset:1024
	global_load_u8 v19, v[6:7], off offset:1024
	;; [unrolled: 1-line block ×3, first 2 shown]
	v_dual_mov_b32 v18, 0 :: v_dual_mov_b32 v20, 0
	v_or_b32_e32 v40, 0x500, v0
	v_dual_mov_b32 v21, 0 :: v_dual_mov_b32 v22, 0
	v_dual_mov_b32 v23, 0 :: v_dual_mov_b32 v24, 0
	;; [unrolled: 1-line block ×9, first 2 shown]
	s_mov_b32 s22, 0
	s_mov_b32 s20, exec_lo
	s_wait_loadcnt 0x2
	v_cmp_ne_u16_e64 s4, 0, v39
	v_mov_b32_e32 v39, 0
	s_wait_xcnt 0x0
	v_cmpx_gt_u32_e64 s26, v40
	s_cbranch_execz .LBB4_32
; %bb.11:
	global_load_u8 v39, v[4:5], off offset:1280
	global_load_u8 v20, v[6:7], off offset:1280
	;; [unrolled: 1-line block ×3, first 2 shown]
	v_dual_mov_b32 v21, 0 :: v_dual_mov_b32 v22, 0
	v_or_b32_e32 v40, 0x600, v0
	v_dual_mov_b32 v23, 0 :: v_dual_mov_b32 v24, 0
	v_dual_mov_b32 v25, 0 :: v_dual_mov_b32 v26, 0
	;; [unrolled: 1-line block ×8, first 2 shown]
	s_mov_b32 s21, exec_lo
	s_wait_loadcnt 0x2
	v_cmp_ne_u16_e64 s5, 0, v39
	v_mov_b32_e32 v39, 0
	s_wait_xcnt 0x0
	v_cmpx_gt_u32_e64 s26, v40
	s_cbranch_execz .LBB4_31
; %bb.12:
	global_load_u8 v39, v[4:5], off offset:1536
	global_load_u8 v22, v[6:7], off offset:1536
	;; [unrolled: 1-line block ×3, first 2 shown]
	v_dual_mov_b32 v23, 0 :: v_dual_mov_b32 v24, 0
	v_or_b32_e32 v40, 0x700, v0
	v_dual_mov_b32 v25, 0 :: v_dual_mov_b32 v26, 0
	v_dual_mov_b32 v27, 0 :: v_dual_mov_b32 v28, 0
	;; [unrolled: 1-line block ×7, first 2 shown]
	s_mov_b32 s23, 0
	s_mov_b32 s22, exec_lo
	s_wait_loadcnt 0x2
	v_cmp_ne_u16_e64 s6, 0, v39
	v_mov_b32_e32 v39, 0
	s_wait_xcnt 0x0
	v_cmpx_gt_u32_e64 s26, v40
	s_cbranch_execz .LBB4_30
; %bb.13:
	global_load_u8 v39, v[4:5], off offset:1792
	global_load_u8 v24, v[6:7], off offset:1792
	;; [unrolled: 1-line block ×3, first 2 shown]
	v_dual_mov_b32 v25, 0 :: v_dual_mov_b32 v26, 0
	v_or_b32_e32 v40, 0x800, v0
	v_dual_mov_b32 v27, 0 :: v_dual_mov_b32 v28, 0
	v_dual_mov_b32 v29, 0 :: v_dual_mov_b32 v30, 0
	;; [unrolled: 1-line block ×6, first 2 shown]
	s_mov_b32 s23, exec_lo
	s_wait_loadcnt 0x2
	v_cmp_ne_u16_e64 s7, 0, v39
	v_mov_b32_e32 v39, 0
	s_wait_xcnt 0x0
	v_cmpx_gt_u32_e64 s26, v40
	s_cbranch_execz .LBB4_29
; %bb.14:
	global_load_u8 v39, v[4:5], off offset:2048
	global_load_u8 v26, v[6:7], off offset:2048
	global_load_u8 v25, v[8:9], off offset:2048
	v_dual_mov_b32 v27, 0 :: v_dual_mov_b32 v28, 0
	v_or_b32_e32 v40, 0x900, v0
	v_dual_mov_b32 v29, 0 :: v_dual_mov_b32 v30, 0
	v_dual_mov_b32 v31, 0 :: v_dual_mov_b32 v32, 0
	;; [unrolled: 1-line block ×5, first 2 shown]
	s_mov_b32 s29, exec_lo
	s_wait_loadcnt 0x2
	v_cmp_ne_u16_e64 s8, 0, v39
	v_mov_b32_e32 v39, 0
	s_wait_xcnt 0x0
	v_cmpx_gt_u32_e64 s26, v40
	s_cbranch_execz .LBB4_28
; %bb.15:
	global_load_u8 v39, v[4:5], off offset:2304
	global_load_u8 v28, v[6:7], off offset:2304
	;; [unrolled: 1-line block ×3, first 2 shown]
	v_dual_mov_b32 v29, 0 :: v_dual_mov_b32 v30, 0
	v_or_b32_e32 v40, 0xa00, v0
	v_dual_mov_b32 v31, 0 :: v_dual_mov_b32 v32, 0
	v_dual_mov_b32 v33, 0 :: v_dual_mov_b32 v34, 0
	;; [unrolled: 1-line block ×4, first 2 shown]
	s_mov_b32 s30, exec_lo
	s_wait_loadcnt 0x2
	v_cmp_ne_u16_e64 s9, 0, v39
	v_mov_b32_e32 v39, 0
	s_wait_xcnt 0x0
	v_cmpx_gt_u32_e64 s26, v40
	s_cbranch_execz .LBB4_27
; %bb.16:
	global_load_u8 v39, v[4:5], off offset:2560
	global_load_u8 v30, v[6:7], off offset:2560
	;; [unrolled: 1-line block ×3, first 2 shown]
	v_dual_mov_b32 v31, 0 :: v_dual_mov_b32 v32, 0
	v_or_b32_e32 v40, 0xb00, v0
	v_dual_mov_b32 v33, 0 :: v_dual_mov_b32 v34, 0
	v_dual_mov_b32 v35, 0 :: v_dual_mov_b32 v36, 0
	v_dual_mov_b32 v37, 0 :: v_dual_mov_b32 v38, 0
	s_mov_b32 s31, exec_lo
	s_wait_loadcnt 0x2
	v_cmp_ne_u16_e64 s10, 0, v39
	v_mov_b32_e32 v39, 0
	s_wait_xcnt 0x0
	v_cmpx_gt_u32_e64 s26, v40
	s_cbranch_execz .LBB4_26
; %bb.17:
	global_load_u8 v39, v[4:5], off offset:2816
	global_load_u8 v32, v[6:7], off offset:2816
	;; [unrolled: 1-line block ×3, first 2 shown]
	v_dual_mov_b32 v33, 0 :: v_dual_mov_b32 v34, 0
	v_or_b32_e32 v40, 0xc00, v0
	v_dual_mov_b32 v35, 0 :: v_dual_mov_b32 v36, 0
	v_dual_mov_b32 v37, 0 :: v_dual_mov_b32 v38, 0
	s_mov_b32 s33, exec_lo
	s_wait_loadcnt 0x2
	v_cmp_ne_u16_e64 s11, 0, v39
	v_mov_b32_e32 v39, 0
	s_wait_xcnt 0x0
	v_cmpx_gt_u32_e64 s26, v40
	s_cbranch_execz .LBB4_25
; %bb.18:
	global_load_u8 v39, v[4:5], off offset:3072
	global_load_u8 v34, v[6:7], off offset:3072
	;; [unrolled: 1-line block ×3, first 2 shown]
	v_or_b32_e32 v40, 0xd00, v0
	v_dual_mov_b32 v35, 0 :: v_dual_mov_b32 v36, 0
	v_dual_mov_b32 v37, 0 :: v_dual_mov_b32 v38, 0
	s_mov_b32 s35, 0
	s_mov_b32 s34, exec_lo
	s_wait_loadcnt 0x2
	v_cmp_ne_u16_e64 s12, 0, v39
	v_mov_b32_e32 v39, 0
	s_wait_xcnt 0x0
	v_cmpx_gt_u32_e64 s26, v40
	s_cbranch_execz .LBB4_24
; %bb.19:
	global_load_u8 v39, v[4:5], off offset:3328
	global_load_u8 v36, v[6:7], off offset:3328
	;; [unrolled: 1-line block ×3, first 2 shown]
	v_or_b32_e32 v40, 0xe00, v0
	v_dual_mov_b32 v37, 0 :: v_dual_mov_b32 v38, 0
	s_mov_b32 s36, 0
	s_mov_b32 s35, exec_lo
	s_wait_loadcnt 0x2
	v_cmp_ne_u16_e64 s13, 0, v39
	v_mov_b32_e32 v39, 0
	s_wait_xcnt 0x0
	v_cmpx_gt_u32_e64 s26, v40
	s_cbranch_execz .LBB4_23
; %bb.20:
	global_load_u8 v40, v[4:5], off offset:3584
	global_load_u8 v38, v[6:7], off offset:3584
	;; [unrolled: 1-line block ×3, first 2 shown]
	v_or_b32_e32 v41, 0xf00, v0
	v_mov_b32_e32 v39, 0
	s_mov_b32 s36, exec_lo
	s_wait_loadcnt 0x2
	v_cmp_ne_u16_e64 s14, 0, v40
	s_wait_xcnt 0x0
	v_cmpx_gt_u32_e64 s26, v41
	s_cbranch_execz .LBB4_22
; %bb.21:
	global_load_u8 v39, v[4:5], off offset:3840
	global_load_u8 v40, v[8:9], off offset:3840
	;; [unrolled: 1-line block ×3, first 2 shown]
	s_wait_loadcnt 0x2
	v_cmp_eq_u16_e64 s15, 0, v39
	s_wait_loadcnt 0x0
	s_delay_alu instid0(VALU_DEP_1)
	v_cndmask_b32_e64 v39, v41, v40, s15
.LBB4_22:
	s_wait_xcnt 0x0
	s_or_b32 exec_lo, exec_lo, s36
	s_delay_alu instid0(SALU_CYCLE_1)
	s_and_b32 s36, s14, exec_lo
.LBB4_23:
	s_or_b32 exec_lo, exec_lo, s35
	s_delay_alu instid0(SALU_CYCLE_1)
	s_and_b32 s15, s13, exec_lo
	s_and_b32 s35, s36, exec_lo
.LBB4_24:
	s_or_b32 exec_lo, exec_lo, s34
	s_delay_alu instid0(SALU_CYCLE_1)
	s_and_b32 s14, s12, exec_lo
	s_and_b32 s15, s15, exec_lo
	;; [unrolled: 1-line block ×3, first 2 shown]
.LBB4_25:
	s_or_b32 exec_lo, exec_lo, s33
	s_delay_alu instid0(SALU_CYCLE_1)
	s_and_b32 s33, s11, exec_lo
	s_and_b32 s14, s14, exec_lo
	;; [unrolled: 1-line block ×4, first 2 shown]
.LBB4_26:
	s_or_b32 exec_lo, exec_lo, s31
	s_delay_alu instid0(SALU_CYCLE_1)
	s_and_b32 s15, s10, exec_lo
	s_and_b32 s31, s33, exec_lo
	;; [unrolled: 1-line block ×5, first 2 shown]
.LBB4_27:
	s_or_b32 exec_lo, exec_lo, s30
	s_delay_alu instid0(SALU_CYCLE_1)
	s_and_b32 s14, s9, exec_lo
	s_and_b32 s15, s15, exec_lo
	;; [unrolled: 1-line block ×6, first 2 shown]
.LBB4_28:
	s_or_b32 exec_lo, exec_lo, s29
	s_delay_alu instid0(SALU_CYCLE_1)
	s_and_b32 s30, s8, exec_lo
	s_and_b32 s14, s14, exec_lo
	;; [unrolled: 1-line block ×7, first 2 shown]
.LBB4_29:
	s_or_b32 exec_lo, exec_lo, s23
	s_delay_alu instid0(SALU_CYCLE_1)
	s_and_b32 s29, s7, exec_lo
	s_and_b32 s23, s30, exec_lo
	;; [unrolled: 1-line block ×8, first 2 shown]
.LBB4_30:
	s_or_b32 exec_lo, exec_lo, s22
	s_delay_alu instid0(SALU_CYCLE_1)
	s_and_b32 s15, s6, exec_lo
	s_and_b32 s22, s29, exec_lo
	;; [unrolled: 1-line block ×9, first 2 shown]
.LBB4_31:
	s_or_b32 exec_lo, exec_lo, s21
	s_delay_alu instid0(SALU_CYCLE_1)
	s_and_b32 s14, s5, exec_lo
	s_and_b32 s15, s15, exec_lo
	;; [unrolled: 1-line block ×10, first 2 shown]
.LBB4_32:
	s_or_b32 exec_lo, exec_lo, s20
	s_delay_alu instid0(SALU_CYCLE_1)
	s_and_b32 s21, s4, exec_lo
	s_and_b32 s14, s14, exec_lo
	;; [unrolled: 1-line block ×11, first 2 shown]
.LBB4_33:
	s_or_b32 exec_lo, exec_lo, s19
	s_delay_alu instid0(SALU_CYCLE_1)
	s_and_b32 s20, s3, exec_lo
	s_and_b32 s19, s21, exec_lo
	;; [unrolled: 1-line block ×12, first 2 shown]
.LBB4_34:
	s_or_b32 exec_lo, exec_lo, s18
	s_wait_loadcnt 0x0
	v_dual_mov_b32 v4, v3 :: v_dual_mov_b32 v3, v2
	s_and_b32 s15, s2, exec_lo
	s_and_b32 s33, s20, exec_lo
	;; [unrolled: 1-line block ×13, first 2 shown]
.LBB4_35:
	s_or_b32 exec_lo, exec_lo, s28
	s_delay_alu instid0(SALU_CYCLE_1)
	s_and_b32 s14, s1, exec_lo
	s_and_b32 s15, s15, exec_lo
	;; [unrolled: 1-line block ×14, first 2 shown]
.LBB4_36:
	s_or_b32 exec_lo, exec_lo, s27
	s_delay_alu instid0(SALU_CYCLE_1)
	s_and_b32 s2, s2, exec_lo
	s_and_b32 s4, s13, exec_lo
	;; [unrolled: 1-line block ×15, first 2 shown]
.LBB4_37:
	s_or_b32 exec_lo, exec_lo, s25
	s_and_saveexec_b32 s15, vcc_lo
	s_cbranch_execz .LBB4_54
; %bb.38:
	s_wait_loadcnt 0x0
	v_cndmask_b32_e64 v2, v13, v12, s0
	v_cmp_gt_u32_e32 vcc_lo, s26, v1
	global_store_b8 v10, v2, s[16:17]
	s_wait_xcnt 0x0
	s_and_b32 exec_lo, exec_lo, vcc_lo
	s_cbranch_execz .LBB4_54
; %bb.39:
	v_or_b32_e32 v2, 0x200, v0
	v_dual_cndmask_b32 v5, v11, v14, s14 :: v_dual_bitop2_b32 v1, s24, v1 bitop3:0x54
	s_delay_alu instid0(VALU_DEP_2)
	v_cmp_gt_i32_e32 vcc_lo, s26, v2
	global_store_b8 v1, v5, s[16:17]
	s_wait_xcnt 0x0
	s_and_b32 exec_lo, exec_lo, vcc_lo
	s_cbranch_execz .LBB4_54
; %bb.40:
	v_or_b32_e32 v1, 0x300, v0
	v_dual_cndmask_b32 v3, v3, v15, s13 :: v_dual_add_nc_u32 v2, s24, v0
	s_delay_alu instid0(VALU_DEP_2)
	v_cmp_gt_i32_e32 vcc_lo, s26, v1
	global_store_b8 v2, v3, s[16:17] offset:512
	s_wait_xcnt 0x0
	s_and_b32 exec_lo, exec_lo, vcc_lo
	s_cbranch_execz .LBB4_54
; %bb.41:
	v_dual_mov_b32 v3, 0 :: v_dual_cndmask_b32 v4, v4, v17, s12
	v_or_b32_e32 v1, 0x400, v0
	s_delay_alu instid0(VALU_DEP_2) | instskip(NEXT) | instid1(VALU_DEP_2)
	v_add_nc_u64_e32 v[2:3], s[16:17], v[2:3]
	v_cmp_gt_u32_e32 vcc_lo, s26, v1
	global_store_b8 v[2:3], v4, off offset:768
	s_wait_xcnt 0x0
	s_and_b32 exec_lo, exec_lo, vcc_lo
	s_cbranch_execz .LBB4_54
; %bb.42:
	v_or_b32_e32 v1, 0x500, v0
	v_cndmask_b32_e64 v4, v16, v19, s11
	s_delay_alu instid0(VALU_DEP_2)
	v_cmp_gt_i32_e32 vcc_lo, s26, v1
	global_store_b8 v[2:3], v4, off offset:1024
	s_wait_xcnt 0x0
	s_and_b32 exec_lo, exec_lo, vcc_lo
	s_cbranch_execz .LBB4_54
; %bb.43:
	v_or_b32_e32 v1, 0x600, v0
	v_cndmask_b32_e64 v4, v18, v20, s10
	s_delay_alu instid0(VALU_DEP_2)
	v_cmp_gt_i32_e32 vcc_lo, s26, v1
	;; [unrolled: 9-line block ×3, first 2 shown]
	global_store_b8 v[2:3], v4, off offset:1536
	s_wait_xcnt 0x0
	s_and_b32 exec_lo, exec_lo, vcc_lo
	s_cbranch_execz .LBB4_54
; %bb.45:
	v_or_b32_e32 v1, 0x800, v0
	v_cndmask_b32_e64 v4, v23, v24, s8
	s_delay_alu instid0(VALU_DEP_2)
	v_cmp_gt_u32_e32 vcc_lo, s26, v1
	global_store_b8 v[2:3], v4, off offset:1792
	s_wait_xcnt 0x0
	s_and_b32 exec_lo, exec_lo, vcc_lo
	s_cbranch_execz .LBB4_54
; %bb.46:
	v_or_b32_e32 v1, 0x900, v0
	v_cndmask_b32_e64 v4, v25, v26, s7
	s_delay_alu instid0(VALU_DEP_2)
	v_cmp_gt_i32_e32 vcc_lo, s26, v1
	global_store_b8 v[2:3], v4, off offset:2048
	s_wait_xcnt 0x0
	s_and_b32 exec_lo, exec_lo, vcc_lo
	s_cbranch_execz .LBB4_54
; %bb.47:
	v_or_b32_e32 v1, 0xa00, v0
	v_cndmask_b32_e64 v4, v27, v28, s6
	s_delay_alu instid0(VALU_DEP_2)
	v_cmp_gt_i32_e32 vcc_lo, s26, v1
	;; [unrolled: 9-line block ×3, first 2 shown]
	global_store_b8 v[2:3], v4, off offset:2560
	s_wait_xcnt 0x0
	s_and_b32 exec_lo, exec_lo, vcc_lo
	s_cbranch_execz .LBB4_54
; %bb.49:
	v_or_b32_e32 v1, 0xc00, v0
	v_cndmask_b32_e64 v4, v31, v32, s3
	s_delay_alu instid0(VALU_DEP_2)
	v_cmp_gt_u32_e32 vcc_lo, s26, v1
	global_store_b8 v[2:3], v4, off offset:2816
	s_wait_xcnt 0x0
	s_and_b32 exec_lo, exec_lo, vcc_lo
	s_cbranch_execz .LBB4_54
; %bb.50:
	v_or_b32_e32 v1, 0xd00, v0
	v_cndmask_b32_e64 v4, v33, v34, s1
	s_delay_alu instid0(VALU_DEP_2)
	v_cmp_gt_i32_e32 vcc_lo, s26, v1
	global_store_b8 v[2:3], v4, off offset:3072
	s_wait_xcnt 0x0
	s_and_b32 exec_lo, exec_lo, vcc_lo
	s_cbranch_execz .LBB4_54
; %bb.51:
	v_or_b32_e32 v1, 0xe00, v0
	v_cndmask_b32_e64 v4, v35, v36, s4
	s_delay_alu instid0(VALU_DEP_2)
	v_cmp_gt_i32_e32 vcc_lo, s26, v1
	;; [unrolled: 9-line block ×3, first 2 shown]
	global_store_b8 v[2:3], v1, off offset:3584
	s_wait_xcnt 0x0
	s_and_b32 exec_lo, exec_lo, vcc_lo
	s_cbranch_execz .LBB4_54
; %bb.53:
	global_store_b8 v[2:3], v39, off offset:3840
.LBB4_54:
	s_endpgm
	.section	.rodata,"a",@progbits
	.p2align	6, 0x0
	.amdhsa_kernel _ZN2at6native29vectorized_elementwise_kernelILi4EZZZNS0_12_GLOBAL__N_117where_kernel_implERNS_14TensorIteratorEENKUlvE_clEvENKUlvE_clEvEUlbhhE_St5arrayIPcLm4EEEEviT0_T1_
		.amdhsa_group_segment_fixed_size 0
		.amdhsa_private_segment_fixed_size 0
		.amdhsa_kernarg_size 40
		.amdhsa_user_sgpr_count 2
		.amdhsa_user_sgpr_dispatch_ptr 0
		.amdhsa_user_sgpr_queue_ptr 0
		.amdhsa_user_sgpr_kernarg_segment_ptr 1
		.amdhsa_user_sgpr_dispatch_id 0
		.amdhsa_user_sgpr_kernarg_preload_length 0
		.amdhsa_user_sgpr_kernarg_preload_offset 0
		.amdhsa_user_sgpr_private_segment_size 0
		.amdhsa_wavefront_size32 1
		.amdhsa_uses_dynamic_stack 0
		.amdhsa_enable_private_segment 0
		.amdhsa_system_sgpr_workgroup_id_x 1
		.amdhsa_system_sgpr_workgroup_id_y 0
		.amdhsa_system_sgpr_workgroup_id_z 0
		.amdhsa_system_sgpr_workgroup_info 0
		.amdhsa_system_vgpr_workitem_id 0
		.amdhsa_next_free_vgpr 42
		.amdhsa_next_free_sgpr 37
		.amdhsa_named_barrier_count 0
		.amdhsa_reserve_vcc 1
		.amdhsa_float_round_mode_32 0
		.amdhsa_float_round_mode_16_64 0
		.amdhsa_float_denorm_mode_32 3
		.amdhsa_float_denorm_mode_16_64 3
		.amdhsa_fp16_overflow 0
		.amdhsa_memory_ordered 1
		.amdhsa_forward_progress 1
		.amdhsa_inst_pref_size 36
		.amdhsa_round_robin_scheduling 0
		.amdhsa_exception_fp_ieee_invalid_op 0
		.amdhsa_exception_fp_denorm_src 0
		.amdhsa_exception_fp_ieee_div_zero 0
		.amdhsa_exception_fp_ieee_overflow 0
		.amdhsa_exception_fp_ieee_underflow 0
		.amdhsa_exception_fp_ieee_inexact 0
		.amdhsa_exception_int_div_zero 0
	.end_amdhsa_kernel
	.section	.text._ZN2at6native29vectorized_elementwise_kernelILi4EZZZNS0_12_GLOBAL__N_117where_kernel_implERNS_14TensorIteratorEENKUlvE_clEvENKUlvE_clEvEUlbhhE_St5arrayIPcLm4EEEEviT0_T1_,"axG",@progbits,_ZN2at6native29vectorized_elementwise_kernelILi4EZZZNS0_12_GLOBAL__N_117where_kernel_implERNS_14TensorIteratorEENKUlvE_clEvENKUlvE_clEvEUlbhhE_St5arrayIPcLm4EEEEviT0_T1_,comdat
.Lfunc_end4:
	.size	_ZN2at6native29vectorized_elementwise_kernelILi4EZZZNS0_12_GLOBAL__N_117where_kernel_implERNS_14TensorIteratorEENKUlvE_clEvENKUlvE_clEvEUlbhhE_St5arrayIPcLm4EEEEviT0_T1_, .Lfunc_end4-_ZN2at6native29vectorized_elementwise_kernelILi4EZZZNS0_12_GLOBAL__N_117where_kernel_implERNS_14TensorIteratorEENKUlvE_clEvENKUlvE_clEvEUlbhhE_St5arrayIPcLm4EEEEviT0_T1_
                                        ; -- End function
	.set _ZN2at6native29vectorized_elementwise_kernelILi4EZZZNS0_12_GLOBAL__N_117where_kernel_implERNS_14TensorIteratorEENKUlvE_clEvENKUlvE_clEvEUlbhhE_St5arrayIPcLm4EEEEviT0_T1_.num_vgpr, 42
	.set _ZN2at6native29vectorized_elementwise_kernelILi4EZZZNS0_12_GLOBAL__N_117where_kernel_implERNS_14TensorIteratorEENKUlvE_clEvENKUlvE_clEvEUlbhhE_St5arrayIPcLm4EEEEviT0_T1_.num_agpr, 0
	.set _ZN2at6native29vectorized_elementwise_kernelILi4EZZZNS0_12_GLOBAL__N_117where_kernel_implERNS_14TensorIteratorEENKUlvE_clEvENKUlvE_clEvEUlbhhE_St5arrayIPcLm4EEEEviT0_T1_.numbered_sgpr, 37
	.set _ZN2at6native29vectorized_elementwise_kernelILi4EZZZNS0_12_GLOBAL__N_117where_kernel_implERNS_14TensorIteratorEENKUlvE_clEvENKUlvE_clEvEUlbhhE_St5arrayIPcLm4EEEEviT0_T1_.num_named_barrier, 0
	.set _ZN2at6native29vectorized_elementwise_kernelILi4EZZZNS0_12_GLOBAL__N_117where_kernel_implERNS_14TensorIteratorEENKUlvE_clEvENKUlvE_clEvEUlbhhE_St5arrayIPcLm4EEEEviT0_T1_.private_seg_size, 0
	.set _ZN2at6native29vectorized_elementwise_kernelILi4EZZZNS0_12_GLOBAL__N_117where_kernel_implERNS_14TensorIteratorEENKUlvE_clEvENKUlvE_clEvEUlbhhE_St5arrayIPcLm4EEEEviT0_T1_.uses_vcc, 1
	.set _ZN2at6native29vectorized_elementwise_kernelILi4EZZZNS0_12_GLOBAL__N_117where_kernel_implERNS_14TensorIteratorEENKUlvE_clEvENKUlvE_clEvEUlbhhE_St5arrayIPcLm4EEEEviT0_T1_.uses_flat_scratch, 0
	.set _ZN2at6native29vectorized_elementwise_kernelILi4EZZZNS0_12_GLOBAL__N_117where_kernel_implERNS_14TensorIteratorEENKUlvE_clEvENKUlvE_clEvEUlbhhE_St5arrayIPcLm4EEEEviT0_T1_.has_dyn_sized_stack, 0
	.set _ZN2at6native29vectorized_elementwise_kernelILi4EZZZNS0_12_GLOBAL__N_117where_kernel_implERNS_14TensorIteratorEENKUlvE_clEvENKUlvE_clEvEUlbhhE_St5arrayIPcLm4EEEEviT0_T1_.has_recursion, 0
	.set _ZN2at6native29vectorized_elementwise_kernelILi4EZZZNS0_12_GLOBAL__N_117where_kernel_implERNS_14TensorIteratorEENKUlvE_clEvENKUlvE_clEvEUlbhhE_St5arrayIPcLm4EEEEviT0_T1_.has_indirect_call, 0
	.section	.AMDGPU.csdata,"",@progbits
; Kernel info:
; codeLenInByte = 4592
; TotalNumSgprs: 39
; NumVgprs: 42
; ScratchSize: 0
; MemoryBound: 0
; FloatMode: 240
; IeeeMode: 1
; LDSByteSize: 0 bytes/workgroup (compile time only)
; SGPRBlocks: 0
; VGPRBlocks: 2
; NumSGPRsForWavesPerEU: 39
; NumVGPRsForWavesPerEU: 42
; NamedBarCnt: 0
; Occupancy: 16
; WaveLimiterHint : 1
; COMPUTE_PGM_RSRC2:SCRATCH_EN: 0
; COMPUTE_PGM_RSRC2:USER_SGPR: 2
; COMPUTE_PGM_RSRC2:TRAP_HANDLER: 0
; COMPUTE_PGM_RSRC2:TGID_X_EN: 1
; COMPUTE_PGM_RSRC2:TGID_Y_EN: 0
; COMPUTE_PGM_RSRC2:TGID_Z_EN: 0
; COMPUTE_PGM_RSRC2:TIDIG_COMP_CNT: 0
	.section	.text._ZN2at6native29vectorized_elementwise_kernelILi2EZZZNS0_12_GLOBAL__N_117where_kernel_implERNS_14TensorIteratorEENKUlvE_clEvENKUlvE_clEvEUlbhhE_St5arrayIPcLm4EEEEviT0_T1_,"axG",@progbits,_ZN2at6native29vectorized_elementwise_kernelILi2EZZZNS0_12_GLOBAL__N_117where_kernel_implERNS_14TensorIteratorEENKUlvE_clEvENKUlvE_clEvEUlbhhE_St5arrayIPcLm4EEEEviT0_T1_,comdat
	.globl	_ZN2at6native29vectorized_elementwise_kernelILi2EZZZNS0_12_GLOBAL__N_117where_kernel_implERNS_14TensorIteratorEENKUlvE_clEvENKUlvE_clEvEUlbhhE_St5arrayIPcLm4EEEEviT0_T1_ ; -- Begin function _ZN2at6native29vectorized_elementwise_kernelILi2EZZZNS0_12_GLOBAL__N_117where_kernel_implERNS_14TensorIteratorEENKUlvE_clEvENKUlvE_clEvEUlbhhE_St5arrayIPcLm4EEEEviT0_T1_
	.p2align	8
	.type	_ZN2at6native29vectorized_elementwise_kernelILi2EZZZNS0_12_GLOBAL__N_117where_kernel_implERNS_14TensorIteratorEENKUlvE_clEvENKUlvE_clEvEUlbhhE_St5arrayIPcLm4EEEEviT0_T1_,@function
_ZN2at6native29vectorized_elementwise_kernelILi2EZZZNS0_12_GLOBAL__N_117where_kernel_implERNS_14TensorIteratorEENKUlvE_clEvENKUlvE_clEvEUlbhhE_St5arrayIPcLm4EEEEviT0_T1_: ; @_ZN2at6native29vectorized_elementwise_kernelILi2EZZZNS0_12_GLOBAL__N_117where_kernel_implERNS_14TensorIteratorEENKUlvE_clEvENKUlvE_clEvEUlbhhE_St5arrayIPcLm4EEEEviT0_T1_
; %bb.0:
	s_clause 0x1
	s_load_b32 s2, s[0:1], 0x0
	s_load_b256 s[16:23], s[0:1], 0x8
	s_wait_xcnt 0x0
	s_bfe_u32 s0, ttmp6, 0x4000c
	s_and_b32 s1, ttmp6, 15
	s_add_co_i32 s0, s0, 1
	s_getreg_b32 s3, hwreg(HW_REG_IB_STS2, 6, 4)
	s_mul_i32 s0, ttmp9, s0
	s_delay_alu instid0(SALU_CYCLE_1) | instskip(SKIP_2) | instid1(SALU_CYCLE_1)
	s_add_co_i32 s1, s1, s0
	s_cmp_eq_u32 s3, 0
	s_cselect_b32 s0, ttmp9, s1
	s_lshl_b32 s24, s0, 12
	s_mov_b32 s0, -1
	s_wait_kmcnt 0x0
	s_sub_co_i32 s26, s2, s24
	s_delay_alu instid0(SALU_CYCLE_1)
	s_cmp_gt_i32 s26, 0xfff
	s_cbranch_scc0 .LBB5_2
; %bb.1:
	s_ashr_i32 s25, s24, 31
	s_delay_alu instid0(SALU_CYCLE_1)
	s_add_nc_u64 s[0:1], s[18:19], s[24:25]
	s_add_nc_u64 s[2:3], s[20:21], s[24:25]
	;; [unrolled: 1-line block ×3, first 2 shown]
	s_clause 0x17
	global_load_u16 v1, v0, s[0:1] scale_offset
	global_load_u16 v2, v0, s[0:1] offset:512 scale_offset
	global_load_u16 v3, v0, s[0:1] offset:1024 scale_offset
	global_load_u16 v4, v0, s[0:1] offset:1536 scale_offset
	global_load_u16 v5, v0, s[0:1] offset:2048 scale_offset
	global_load_u16 v6, v0, s[0:1] offset:2560 scale_offset
	global_load_u16 v7, v0, s[0:1] offset:3072 scale_offset
	global_load_u16 v8, v0, s[0:1] offset:3584 scale_offset
	global_load_u16 v9, v0, s[4:5] scale_offset
	global_load_u16 v10, v0, s[2:3] scale_offset
	global_load_u16 v11, v0, s[2:3] offset:512 scale_offset
	global_load_u16 v12, v0, s[4:5] offset:512 scale_offset
	;; [unrolled: 1-line block ×5, first 2 shown]
	; meta instruction
	global_load_u16 v16, v0, s[4:5] offset:1536 scale_offset
	global_load_u16 v17, v0, s[4:5] offset:2048 scale_offset
	;; [unrolled: 1-line block ×9, first 2 shown]
	s_wait_xcnt 0x1
	s_add_nc_u64 s[2:3], s[16:17], s[24:25]
	s_mov_b32 s0, 0
	s_wait_loadcnt 0x17
	v_cmp_lt_u16_e32 vcc_lo, 0xff, v1
	v_and_b32_e32 v25, 0xff, v1
	s_wait_loadcnt 0x16
	v_and_b32_e32 v26, 0xff, v2
	s_wait_loadcnt 0x15
	;; [unrolled: 2-line block ×8, first 2 shown]
	v_cndmask_b32_e32 v1, v9, v10, vcc_lo
	v_cmp_lt_u16_e32 vcc_lo, 0xff, v2
	s_wait_loadcnt 0xc
	v_cndmask_b32_e32 v2, v12, v11, vcc_lo
	v_cmp_lt_u16_e32 vcc_lo, 0xff, v3
	v_and_b32_e32 v1, 0xffffff00, v1
	s_delay_alu instid0(VALU_DEP_3)
	v_and_b32_e32 v2, 0xffffff00, v2
	s_wait_loadcnt 0xa
	v_cndmask_b32_e32 v3, v13, v14, vcc_lo
	v_cmp_lt_u16_e32 vcc_lo, 0xff, v4
	s_wait_loadcnt 0x8
	v_cndmask_b32_e32 v4, v16, v15, vcc_lo
	v_cmp_lt_u16_e32 vcc_lo, 0xff, v5
	v_and_b32_e32 v3, 0xffffff00, v3
	s_delay_alu instid0(VALU_DEP_3)
	v_and_b32_e32 v4, 0xffffff00, v4
	s_wait_loadcnt 0x6
	;; [unrolled: 9-line block ×3, first 2 shown]
	v_cndmask_b32_e32 v7, v21, v22, vcc_lo
	v_cmp_lt_u16_e32 vcc_lo, 0xff, v8
	s_wait_loadcnt 0x0
	v_cndmask_b32_e32 v8, v24, v23, vcc_lo
	v_cmp_eq_u16_e32 vcc_lo, 0, v25
	v_and_b32_e32 v7, 0xffffff00, v7
	s_delay_alu instid0(VALU_DEP_3) | instskip(SKIP_4) | instid1(VALU_DEP_4)
	v_and_b32_e32 v8, 0xffffff00, v8
	v_cndmask_b32_e32 v9, v10, v9, vcc_lo
	v_cmp_eq_u16_e32 vcc_lo, 0, v26
	v_cndmask_b32_e32 v10, v11, v12, vcc_lo
	v_cmp_eq_u16_e32 vcc_lo, 0, v27
	v_bitop3_b16 v1, v9, v1, 0xff bitop3:0xec
	s_delay_alu instid0(VALU_DEP_3) | instskip(SKIP_4) | instid1(VALU_DEP_4)
	v_bitop3_b16 v2, v10, v2, 0xff bitop3:0xec
	v_cndmask_b32_e32 v11, v14, v13, vcc_lo
	v_cmp_eq_u16_e32 vcc_lo, 0, v28
	v_cndmask_b32_e32 v12, v15, v16, vcc_lo
	v_cmp_eq_u16_e32 vcc_lo, 0, v29
	v_bitop3_b16 v3, v11, v3, 0xff bitop3:0xec
	s_delay_alu instid0(VALU_DEP_3) | instskip(SKIP_4) | instid1(VALU_DEP_4)
	v_bitop3_b16 v4, v12, v4, 0xff bitop3:0xec
	v_cndmask_b32_e32 v13, v18, v17, vcc_lo
	v_cmp_eq_u16_e32 vcc_lo, 0, v30
	v_cndmask_b32_e32 v14, v19, v20, vcc_lo
	v_cmp_eq_u16_e32 vcc_lo, 0, v31
	v_bitop3_b16 v5, v13, v5, 0xff bitop3:0xec
	s_delay_alu instid0(VALU_DEP_3) | instskip(SKIP_3) | instid1(VALU_DEP_3)
	v_bitop3_b16 v6, v14, v6, 0xff bitop3:0xec
	v_cndmask_b32_e32 v15, v22, v21, vcc_lo
	v_cmp_eq_u16_e32 vcc_lo, 0, v32
	v_cndmask_b32_e32 v16, v23, v24, vcc_lo
	v_bitop3_b16 v7, v15, v7, 0xff bitop3:0xec
	s_delay_alu instid0(VALU_DEP_2)
	v_bitop3_b16 v8, v16, v8, 0xff bitop3:0xec
	s_clause 0x7
	global_store_b16 v0, v1, s[2:3] scale_offset
	global_store_b16 v0, v2, s[2:3] offset:512 scale_offset
	global_store_b16 v0, v3, s[2:3] offset:1024 scale_offset
	;; [unrolled: 1-line block ×7, first 2 shown]
.LBB5_2:
	s_and_not1_b32 vcc_lo, exec_lo, s0
	s_cbranch_vccnz .LBB5_54
; %bb.3:
	v_cmp_le_i32_e64 s0, s26, v0
	s_wait_xcnt 0x7
	v_or_b32_e32 v1, 0x100, v0
	v_cmp_gt_i32_e32 vcc_lo, s26, v0
	s_wait_xcnt 0x0
	s_and_saveexec_b32 s1, s0
	s_delay_alu instid0(SALU_CYCLE_1)
	s_xor_b32 s0, exec_lo, s1
; %bb.4:
	v_or_b32_e32 v1, 0x100, v0
; %bb.5:
	s_or_saveexec_b32 s25, s0
	v_dual_mov_b32 v39, 0 :: v_dual_bitop2_b32 v10, s24, v0 bitop3:0x54
	v_dual_mov_b32 v38, 0 :: v_dual_mov_b32 v37, 0
	v_dual_mov_b32 v36, 0 :: v_dual_mov_b32 v35, 0
	;; [unrolled: 1-line block ×15, first 2 shown]
	s_mov_b32 s0, 0
	s_mov_b32 s14, 0
	;; [unrolled: 1-line block ×15, first 2 shown]
	s_xor_b32 exec_lo, exec_lo, s25
	s_cbranch_execz .LBB5_37
; %bb.6:
	s_clause 0x2
	global_load_u8 v2, v10, s[18:19]
	global_load_u8 v12, v10, s[20:21]
	;; [unrolled: 1-line block ×3, first 2 shown]
	v_dual_mov_b32 v11, 0 :: v_dual_mov_b32 v14, 0
	v_cmp_gt_u32_e64 s1, s26, v1
	v_dual_mov_b32 v3, 0 :: v_dual_mov_b32 v15, 0
	v_dual_mov_b32 v4, 0 :: v_dual_mov_b32 v17, 0
	;; [unrolled: 1-line block ×13, first 2 shown]
	v_mov_b32_e32 v39, 0
	s_mov_b32 s28, 0
	s_mov_b32 s15, 0
	s_wait_loadcnt 0x2
	v_cmp_ne_u16_e64 s0, 0, v2
	s_wait_xcnt 0x0
	s_and_saveexec_b32 s27, s1
	s_cbranch_execz .LBB5_36
; %bb.7:
	v_dual_mov_b32 v3, 0 :: v_dual_add_nc_u32 v2, s24, v0
	v_or_b32_e32 v6, 0x200, v0
	v_dual_mov_b32 v15, 0 :: v_dual_mov_b32 v4, 0
	s_clause 0x2
	global_load_u8 v5, v2, s[18:19] offset:256
	global_load_u8 v14, v2, s[20:21] offset:256
	;; [unrolled: 1-line block ×3, first 2 shown]
	v_dual_mov_b32 v17, 0 :: v_dual_mov_b32 v16, 0
	v_dual_mov_b32 v19, 0 :: v_dual_mov_b32 v18, 0
	;; [unrolled: 1-line block ×12, first 2 shown]
	s_mov_b32 s29, 0
	s_mov_b32 s30, 0
	;; [unrolled: 1-line block ×4, first 2 shown]
	s_mov_b32 s28, exec_lo
	s_wait_loadcnt 0x2
	v_cmp_ne_u16_e64 s1, 0, v5
	s_wait_xcnt 0x0
	v_cmpx_gt_u32_e64 s26, v6
	s_cbranch_execz .LBB5_35
; %bb.8:
	v_add_nc_u64_e32 v[4:5], s[18:19], v[2:3]
	v_add_nc_u64_e32 v[6:7], s[20:21], v[2:3]
	;; [unrolled: 1-line block ×3, first 2 shown]
	v_or_b32_e32 v40, 0x300, v0
	v_dual_mov_b32 v17, 0 :: v_dual_mov_b32 v16, 0
	v_dual_mov_b32 v19, 0 :: v_dual_mov_b32 v18, 0
	global_load_u8 v39, v[4:5], off offset:512
	global_load_u8 v15, v[6:7], off offset:512
	;; [unrolled: 1-line block ×3, first 2 shown]
	v_dual_mov_b32 v20, 0 :: v_dual_mov_b32 v21, 0
	v_dual_mov_b32 v22, 0 :: v_dual_mov_b32 v23, 0
	;; [unrolled: 1-line block ×9, first 2 shown]
	v_mov_b32_e32 v38, 0
	s_mov_b32 s19, 0
	s_mov_b32 s20, 0
	s_mov_b32 s18, exec_lo
	s_wait_loadcnt 0x2
	v_cmp_ne_u16_e64 s2, 0, v39
	v_mov_b32_e32 v39, 0
	s_wait_xcnt 0x0
	v_cmpx_gt_u32_e64 s26, v40
	s_cbranch_execz .LBB5_34
; %bb.9:
	global_load_u8 v39, v[4:5], off offset:768
	global_load_u8 v17, v[6:7], off offset:768
	;; [unrolled: 1-line block ×3, first 2 shown]
	v_dual_mov_b32 v16, 0 :: v_dual_mov_b32 v19, 0
	v_or_b32_e32 v40, 0x400, v0
	v_dual_mov_b32 v18, 0 :: v_dual_mov_b32 v20, 0
	v_dual_mov_b32 v21, 0 :: v_dual_mov_b32 v22, 0
	;; [unrolled: 1-line block ×10, first 2 shown]
	s_mov_b32 s21, 0
	s_mov_b32 s19, exec_lo
	s_wait_loadcnt 0x2
	v_cmp_ne_u16_e64 s3, 0, v39
	v_mov_b32_e32 v39, 0
	s_wait_xcnt 0x0
	v_cmpx_gt_u32_e64 s26, v40
	s_cbranch_execz .LBB5_33
; %bb.10:
	global_load_u8 v39, v[4:5], off offset:1024
	global_load_u8 v19, v[6:7], off offset:1024
	;; [unrolled: 1-line block ×3, first 2 shown]
	v_dual_mov_b32 v18, 0 :: v_dual_mov_b32 v20, 0
	v_or_b32_e32 v40, 0x500, v0
	v_dual_mov_b32 v21, 0 :: v_dual_mov_b32 v22, 0
	v_dual_mov_b32 v23, 0 :: v_dual_mov_b32 v24, 0
	v_dual_mov_b32 v25, 0 :: v_dual_mov_b32 v26, 0
	v_dual_mov_b32 v27, 0 :: v_dual_mov_b32 v28, 0
	v_dual_mov_b32 v29, 0 :: v_dual_mov_b32 v30, 0
	v_dual_mov_b32 v31, 0 :: v_dual_mov_b32 v32, 0
	v_dual_mov_b32 v33, 0 :: v_dual_mov_b32 v34, 0
	v_dual_mov_b32 v35, 0 :: v_dual_mov_b32 v36, 0
	v_dual_mov_b32 v37, 0 :: v_dual_mov_b32 v38, 0
	s_mov_b32 s22, 0
	s_mov_b32 s20, exec_lo
	s_wait_loadcnt 0x2
	v_cmp_ne_u16_e64 s4, 0, v39
	v_mov_b32_e32 v39, 0
	s_wait_xcnt 0x0
	v_cmpx_gt_u32_e64 s26, v40
	s_cbranch_execz .LBB5_32
; %bb.11:
	global_load_u8 v39, v[4:5], off offset:1280
	global_load_u8 v20, v[6:7], off offset:1280
	global_load_u8 v18, v[8:9], off offset:1280
	v_dual_mov_b32 v21, 0 :: v_dual_mov_b32 v22, 0
	v_or_b32_e32 v40, 0x600, v0
	v_dual_mov_b32 v23, 0 :: v_dual_mov_b32 v24, 0
	v_dual_mov_b32 v25, 0 :: v_dual_mov_b32 v26, 0
	;; [unrolled: 1-line block ×8, first 2 shown]
	s_mov_b32 s21, exec_lo
	s_wait_loadcnt 0x2
	v_cmp_ne_u16_e64 s5, 0, v39
	v_mov_b32_e32 v39, 0
	s_wait_xcnt 0x0
	v_cmpx_gt_u32_e64 s26, v40
	s_cbranch_execz .LBB5_31
; %bb.12:
	global_load_u8 v39, v[4:5], off offset:1536
	global_load_u8 v22, v[6:7], off offset:1536
	;; [unrolled: 1-line block ×3, first 2 shown]
	v_dual_mov_b32 v23, 0 :: v_dual_mov_b32 v24, 0
	v_or_b32_e32 v40, 0x700, v0
	v_dual_mov_b32 v25, 0 :: v_dual_mov_b32 v26, 0
	v_dual_mov_b32 v27, 0 :: v_dual_mov_b32 v28, 0
	;; [unrolled: 1-line block ×7, first 2 shown]
	s_mov_b32 s23, 0
	s_mov_b32 s22, exec_lo
	s_wait_loadcnt 0x2
	v_cmp_ne_u16_e64 s6, 0, v39
	v_mov_b32_e32 v39, 0
	s_wait_xcnt 0x0
	v_cmpx_gt_u32_e64 s26, v40
	s_cbranch_execz .LBB5_30
; %bb.13:
	global_load_u8 v39, v[4:5], off offset:1792
	global_load_u8 v24, v[6:7], off offset:1792
	;; [unrolled: 1-line block ×3, first 2 shown]
	v_dual_mov_b32 v25, 0 :: v_dual_mov_b32 v26, 0
	v_or_b32_e32 v40, 0x800, v0
	v_dual_mov_b32 v27, 0 :: v_dual_mov_b32 v28, 0
	v_dual_mov_b32 v29, 0 :: v_dual_mov_b32 v30, 0
	v_dual_mov_b32 v31, 0 :: v_dual_mov_b32 v32, 0
	v_dual_mov_b32 v33, 0 :: v_dual_mov_b32 v34, 0
	v_dual_mov_b32 v35, 0 :: v_dual_mov_b32 v36, 0
	v_dual_mov_b32 v37, 0 :: v_dual_mov_b32 v38, 0
	s_mov_b32 s23, exec_lo
	s_wait_loadcnt 0x2
	v_cmp_ne_u16_e64 s7, 0, v39
	v_mov_b32_e32 v39, 0
	s_wait_xcnt 0x0
	v_cmpx_gt_u32_e64 s26, v40
	s_cbranch_execz .LBB5_29
; %bb.14:
	global_load_u8 v39, v[4:5], off offset:2048
	global_load_u8 v26, v[6:7], off offset:2048
	;; [unrolled: 1-line block ×3, first 2 shown]
	v_dual_mov_b32 v27, 0 :: v_dual_mov_b32 v28, 0
	v_or_b32_e32 v40, 0x900, v0
	v_dual_mov_b32 v29, 0 :: v_dual_mov_b32 v30, 0
	v_dual_mov_b32 v31, 0 :: v_dual_mov_b32 v32, 0
	;; [unrolled: 1-line block ×5, first 2 shown]
	s_mov_b32 s29, exec_lo
	s_wait_loadcnt 0x2
	v_cmp_ne_u16_e64 s8, 0, v39
	v_mov_b32_e32 v39, 0
	s_wait_xcnt 0x0
	v_cmpx_gt_u32_e64 s26, v40
	s_cbranch_execz .LBB5_28
; %bb.15:
	global_load_u8 v39, v[4:5], off offset:2304
	global_load_u8 v28, v[6:7], off offset:2304
	;; [unrolled: 1-line block ×3, first 2 shown]
	v_dual_mov_b32 v29, 0 :: v_dual_mov_b32 v30, 0
	v_or_b32_e32 v40, 0xa00, v0
	v_dual_mov_b32 v31, 0 :: v_dual_mov_b32 v32, 0
	v_dual_mov_b32 v33, 0 :: v_dual_mov_b32 v34, 0
	;; [unrolled: 1-line block ×4, first 2 shown]
	s_mov_b32 s30, exec_lo
	s_wait_loadcnt 0x2
	v_cmp_ne_u16_e64 s9, 0, v39
	v_mov_b32_e32 v39, 0
	s_wait_xcnt 0x0
	v_cmpx_gt_u32_e64 s26, v40
	s_cbranch_execz .LBB5_27
; %bb.16:
	global_load_u8 v39, v[4:5], off offset:2560
	global_load_u8 v30, v[6:7], off offset:2560
	;; [unrolled: 1-line block ×3, first 2 shown]
	v_dual_mov_b32 v31, 0 :: v_dual_mov_b32 v32, 0
	v_or_b32_e32 v40, 0xb00, v0
	v_dual_mov_b32 v33, 0 :: v_dual_mov_b32 v34, 0
	v_dual_mov_b32 v35, 0 :: v_dual_mov_b32 v36, 0
	;; [unrolled: 1-line block ×3, first 2 shown]
	s_mov_b32 s31, exec_lo
	s_wait_loadcnt 0x2
	v_cmp_ne_u16_e64 s10, 0, v39
	v_mov_b32_e32 v39, 0
	s_wait_xcnt 0x0
	v_cmpx_gt_u32_e64 s26, v40
	s_cbranch_execz .LBB5_26
; %bb.17:
	global_load_u8 v39, v[4:5], off offset:2816
	global_load_u8 v32, v[6:7], off offset:2816
	;; [unrolled: 1-line block ×3, first 2 shown]
	v_dual_mov_b32 v33, 0 :: v_dual_mov_b32 v34, 0
	v_or_b32_e32 v40, 0xc00, v0
	v_dual_mov_b32 v35, 0 :: v_dual_mov_b32 v36, 0
	v_dual_mov_b32 v37, 0 :: v_dual_mov_b32 v38, 0
	s_mov_b32 s33, exec_lo
	s_wait_loadcnt 0x2
	v_cmp_ne_u16_e64 s11, 0, v39
	v_mov_b32_e32 v39, 0
	s_wait_xcnt 0x0
	v_cmpx_gt_u32_e64 s26, v40
	s_cbranch_execz .LBB5_25
; %bb.18:
	global_load_u8 v39, v[4:5], off offset:3072
	global_load_u8 v34, v[6:7], off offset:3072
	;; [unrolled: 1-line block ×3, first 2 shown]
	v_or_b32_e32 v40, 0xd00, v0
	v_dual_mov_b32 v35, 0 :: v_dual_mov_b32 v36, 0
	v_dual_mov_b32 v37, 0 :: v_dual_mov_b32 v38, 0
	s_mov_b32 s35, 0
	s_mov_b32 s34, exec_lo
	s_wait_loadcnt 0x2
	v_cmp_ne_u16_e64 s12, 0, v39
	v_mov_b32_e32 v39, 0
	s_wait_xcnt 0x0
	v_cmpx_gt_u32_e64 s26, v40
	s_cbranch_execz .LBB5_24
; %bb.19:
	global_load_u8 v39, v[4:5], off offset:3328
	global_load_u8 v36, v[6:7], off offset:3328
	global_load_u8 v35, v[8:9], off offset:3328
	v_or_b32_e32 v40, 0xe00, v0
	v_dual_mov_b32 v37, 0 :: v_dual_mov_b32 v38, 0
	s_mov_b32 s36, 0
	s_mov_b32 s35, exec_lo
	s_wait_loadcnt 0x2
	v_cmp_ne_u16_e64 s13, 0, v39
	v_mov_b32_e32 v39, 0
	s_wait_xcnt 0x0
	v_cmpx_gt_u32_e64 s26, v40
	s_cbranch_execz .LBB5_23
; %bb.20:
	global_load_u8 v40, v[4:5], off offset:3584
	global_load_u8 v38, v[6:7], off offset:3584
	;; [unrolled: 1-line block ×3, first 2 shown]
	v_or_b32_e32 v41, 0xf00, v0
	v_mov_b32_e32 v39, 0
	s_mov_b32 s36, exec_lo
	s_wait_loadcnt 0x2
	v_cmp_ne_u16_e64 s14, 0, v40
	s_wait_xcnt 0x0
	v_cmpx_gt_u32_e64 s26, v41
	s_cbranch_execz .LBB5_22
; %bb.21:
	global_load_u8 v39, v[4:5], off offset:3840
	global_load_u8 v40, v[8:9], off offset:3840
	;; [unrolled: 1-line block ×3, first 2 shown]
	s_wait_loadcnt 0x2
	v_cmp_eq_u16_e64 s15, 0, v39
	s_wait_loadcnt 0x0
	s_delay_alu instid0(VALU_DEP_1)
	v_cndmask_b32_e64 v39, v41, v40, s15
.LBB5_22:
	s_wait_xcnt 0x0
	s_or_b32 exec_lo, exec_lo, s36
	s_delay_alu instid0(SALU_CYCLE_1)
	s_and_b32 s36, s14, exec_lo
.LBB5_23:
	s_or_b32 exec_lo, exec_lo, s35
	s_delay_alu instid0(SALU_CYCLE_1)
	s_and_b32 s15, s13, exec_lo
	s_and_b32 s35, s36, exec_lo
.LBB5_24:
	s_or_b32 exec_lo, exec_lo, s34
	s_delay_alu instid0(SALU_CYCLE_1)
	s_and_b32 s14, s12, exec_lo
	s_and_b32 s15, s15, exec_lo
	;; [unrolled: 1-line block ×3, first 2 shown]
.LBB5_25:
	s_or_b32 exec_lo, exec_lo, s33
	s_delay_alu instid0(SALU_CYCLE_1)
	s_and_b32 s33, s11, exec_lo
	s_and_b32 s14, s14, exec_lo
	;; [unrolled: 1-line block ×4, first 2 shown]
.LBB5_26:
	s_or_b32 exec_lo, exec_lo, s31
	s_delay_alu instid0(SALU_CYCLE_1)
	s_and_b32 s15, s10, exec_lo
	s_and_b32 s31, s33, exec_lo
	;; [unrolled: 1-line block ×5, first 2 shown]
.LBB5_27:
	s_or_b32 exec_lo, exec_lo, s30
	s_delay_alu instid0(SALU_CYCLE_1)
	s_and_b32 s14, s9, exec_lo
	s_and_b32 s15, s15, exec_lo
	;; [unrolled: 1-line block ×6, first 2 shown]
.LBB5_28:
	s_or_b32 exec_lo, exec_lo, s29
	s_delay_alu instid0(SALU_CYCLE_1)
	s_and_b32 s30, s8, exec_lo
	s_and_b32 s14, s14, exec_lo
	s_and_b32 s15, s15, exec_lo
	s_and_b32 s11, s31, exec_lo
	s_and_b32 s10, s10, exec_lo
	s_and_b32 s9, s13, exec_lo
	s_and_b32 s13, s12, exec_lo
.LBB5_29:
	s_or_b32 exec_lo, exec_lo, s23
	s_delay_alu instid0(SALU_CYCLE_1)
	s_and_b32 s29, s7, exec_lo
	s_and_b32 s23, s30, exec_lo
	;; [unrolled: 1-line block ×8, first 2 shown]
.LBB5_30:
	s_or_b32 exec_lo, exec_lo, s22
	s_delay_alu instid0(SALU_CYCLE_1)
	s_and_b32 s15, s6, exec_lo
	s_and_b32 s22, s29, exec_lo
	;; [unrolled: 1-line block ×9, first 2 shown]
.LBB5_31:
	s_or_b32 exec_lo, exec_lo, s21
	s_delay_alu instid0(SALU_CYCLE_1)
	s_and_b32 s14, s5, exec_lo
	s_and_b32 s15, s15, exec_lo
	;; [unrolled: 1-line block ×10, first 2 shown]
.LBB5_32:
	s_or_b32 exec_lo, exec_lo, s20
	s_delay_alu instid0(SALU_CYCLE_1)
	s_and_b32 s21, s4, exec_lo
	s_and_b32 s14, s14, exec_lo
	;; [unrolled: 1-line block ×11, first 2 shown]
.LBB5_33:
	s_or_b32 exec_lo, exec_lo, s19
	s_delay_alu instid0(SALU_CYCLE_1)
	s_and_b32 s20, s3, exec_lo
	s_and_b32 s19, s21, exec_lo
	;; [unrolled: 1-line block ×12, first 2 shown]
.LBB5_34:
	s_or_b32 exec_lo, exec_lo, s18
	s_wait_loadcnt 0x0
	v_dual_mov_b32 v4, v3 :: v_dual_mov_b32 v3, v2
	s_and_b32 s15, s2, exec_lo
	s_and_b32 s33, s20, exec_lo
	;; [unrolled: 1-line block ×13, first 2 shown]
.LBB5_35:
	s_or_b32 exec_lo, exec_lo, s28
	s_delay_alu instid0(SALU_CYCLE_1)
	s_and_b32 s14, s1, exec_lo
	s_and_b32 s15, s15, exec_lo
	;; [unrolled: 1-line block ×14, first 2 shown]
.LBB5_36:
	s_or_b32 exec_lo, exec_lo, s27
	s_delay_alu instid0(SALU_CYCLE_1)
	s_and_b32 s2, s2, exec_lo
	s_and_b32 s4, s13, exec_lo
	;; [unrolled: 1-line block ×15, first 2 shown]
.LBB5_37:
	s_or_b32 exec_lo, exec_lo, s25
	s_and_saveexec_b32 s15, vcc_lo
	s_cbranch_execz .LBB5_54
; %bb.38:
	s_wait_loadcnt 0x0
	v_cndmask_b32_e64 v2, v13, v12, s0
	v_cmp_gt_u32_e32 vcc_lo, s26, v1
	global_store_b8 v10, v2, s[16:17]
	s_wait_xcnt 0x0
	s_and_b32 exec_lo, exec_lo, vcc_lo
	s_cbranch_execz .LBB5_54
; %bb.39:
	v_or_b32_e32 v2, 0x200, v0
	v_dual_cndmask_b32 v5, v11, v14, s14 :: v_dual_bitop2_b32 v1, s24, v1 bitop3:0x54
	s_delay_alu instid0(VALU_DEP_2)
	v_cmp_gt_i32_e32 vcc_lo, s26, v2
	global_store_b8 v1, v5, s[16:17]
	s_wait_xcnt 0x0
	s_and_b32 exec_lo, exec_lo, vcc_lo
	s_cbranch_execz .LBB5_54
; %bb.40:
	v_or_b32_e32 v1, 0x300, v0
	v_dual_cndmask_b32 v3, v3, v15, s13 :: v_dual_add_nc_u32 v2, s24, v0
	s_delay_alu instid0(VALU_DEP_2)
	v_cmp_gt_i32_e32 vcc_lo, s26, v1
	global_store_b8 v2, v3, s[16:17] offset:512
	s_wait_xcnt 0x0
	s_and_b32 exec_lo, exec_lo, vcc_lo
	s_cbranch_execz .LBB5_54
; %bb.41:
	v_dual_mov_b32 v3, 0 :: v_dual_cndmask_b32 v4, v4, v17, s12
	v_or_b32_e32 v1, 0x400, v0
	s_delay_alu instid0(VALU_DEP_2) | instskip(NEXT) | instid1(VALU_DEP_2)
	v_add_nc_u64_e32 v[2:3], s[16:17], v[2:3]
	v_cmp_gt_u32_e32 vcc_lo, s26, v1
	global_store_b8 v[2:3], v4, off offset:768
	s_wait_xcnt 0x0
	s_and_b32 exec_lo, exec_lo, vcc_lo
	s_cbranch_execz .LBB5_54
; %bb.42:
	v_or_b32_e32 v1, 0x500, v0
	v_cndmask_b32_e64 v4, v16, v19, s11
	s_delay_alu instid0(VALU_DEP_2)
	v_cmp_gt_i32_e32 vcc_lo, s26, v1
	global_store_b8 v[2:3], v4, off offset:1024
	s_wait_xcnt 0x0
	s_and_b32 exec_lo, exec_lo, vcc_lo
	s_cbranch_execz .LBB5_54
; %bb.43:
	v_or_b32_e32 v1, 0x600, v0
	v_cndmask_b32_e64 v4, v18, v20, s10
	s_delay_alu instid0(VALU_DEP_2)
	v_cmp_gt_i32_e32 vcc_lo, s26, v1
	;; [unrolled: 9-line block ×3, first 2 shown]
	global_store_b8 v[2:3], v4, off offset:1536
	s_wait_xcnt 0x0
	s_and_b32 exec_lo, exec_lo, vcc_lo
	s_cbranch_execz .LBB5_54
; %bb.45:
	v_or_b32_e32 v1, 0x800, v0
	v_cndmask_b32_e64 v4, v23, v24, s8
	s_delay_alu instid0(VALU_DEP_2)
	v_cmp_gt_u32_e32 vcc_lo, s26, v1
	global_store_b8 v[2:3], v4, off offset:1792
	s_wait_xcnt 0x0
	s_and_b32 exec_lo, exec_lo, vcc_lo
	s_cbranch_execz .LBB5_54
; %bb.46:
	v_or_b32_e32 v1, 0x900, v0
	v_cndmask_b32_e64 v4, v25, v26, s7
	s_delay_alu instid0(VALU_DEP_2)
	v_cmp_gt_i32_e32 vcc_lo, s26, v1
	global_store_b8 v[2:3], v4, off offset:2048
	s_wait_xcnt 0x0
	s_and_b32 exec_lo, exec_lo, vcc_lo
	s_cbranch_execz .LBB5_54
; %bb.47:
	v_or_b32_e32 v1, 0xa00, v0
	v_cndmask_b32_e64 v4, v27, v28, s6
	s_delay_alu instid0(VALU_DEP_2)
	v_cmp_gt_i32_e32 vcc_lo, s26, v1
	;; [unrolled: 9-line block ×3, first 2 shown]
	global_store_b8 v[2:3], v4, off offset:2560
	s_wait_xcnt 0x0
	s_and_b32 exec_lo, exec_lo, vcc_lo
	s_cbranch_execz .LBB5_54
; %bb.49:
	v_or_b32_e32 v1, 0xc00, v0
	v_cndmask_b32_e64 v4, v31, v32, s3
	s_delay_alu instid0(VALU_DEP_2)
	v_cmp_gt_u32_e32 vcc_lo, s26, v1
	global_store_b8 v[2:3], v4, off offset:2816
	s_wait_xcnt 0x0
	s_and_b32 exec_lo, exec_lo, vcc_lo
	s_cbranch_execz .LBB5_54
; %bb.50:
	v_or_b32_e32 v1, 0xd00, v0
	v_cndmask_b32_e64 v4, v33, v34, s1
	s_delay_alu instid0(VALU_DEP_2)
	v_cmp_gt_i32_e32 vcc_lo, s26, v1
	global_store_b8 v[2:3], v4, off offset:3072
	s_wait_xcnt 0x0
	s_and_b32 exec_lo, exec_lo, vcc_lo
	s_cbranch_execz .LBB5_54
; %bb.51:
	v_or_b32_e32 v1, 0xe00, v0
	v_cndmask_b32_e64 v4, v35, v36, s4
	s_delay_alu instid0(VALU_DEP_2)
	v_cmp_gt_i32_e32 vcc_lo, s26, v1
	;; [unrolled: 9-line block ×3, first 2 shown]
	global_store_b8 v[2:3], v1, off offset:3584
	s_wait_xcnt 0x0
	s_and_b32 exec_lo, exec_lo, vcc_lo
	s_cbranch_execz .LBB5_54
; %bb.53:
	global_store_b8 v[2:3], v39, off offset:3840
.LBB5_54:
	s_endpgm
	.section	.rodata,"a",@progbits
	.p2align	6, 0x0
	.amdhsa_kernel _ZN2at6native29vectorized_elementwise_kernelILi2EZZZNS0_12_GLOBAL__N_117where_kernel_implERNS_14TensorIteratorEENKUlvE_clEvENKUlvE_clEvEUlbhhE_St5arrayIPcLm4EEEEviT0_T1_
		.amdhsa_group_segment_fixed_size 0
		.amdhsa_private_segment_fixed_size 0
		.amdhsa_kernarg_size 40
		.amdhsa_user_sgpr_count 2
		.amdhsa_user_sgpr_dispatch_ptr 0
		.amdhsa_user_sgpr_queue_ptr 0
		.amdhsa_user_sgpr_kernarg_segment_ptr 1
		.amdhsa_user_sgpr_dispatch_id 0
		.amdhsa_user_sgpr_kernarg_preload_length 0
		.amdhsa_user_sgpr_kernarg_preload_offset 0
		.amdhsa_user_sgpr_private_segment_size 0
		.amdhsa_wavefront_size32 1
		.amdhsa_uses_dynamic_stack 0
		.amdhsa_enable_private_segment 0
		.amdhsa_system_sgpr_workgroup_id_x 1
		.amdhsa_system_sgpr_workgroup_id_y 0
		.amdhsa_system_sgpr_workgroup_id_z 0
		.amdhsa_system_sgpr_workgroup_info 0
		.amdhsa_system_vgpr_workitem_id 0
		.amdhsa_next_free_vgpr 42
		.amdhsa_next_free_sgpr 37
		.amdhsa_named_barrier_count 0
		.amdhsa_reserve_vcc 1
		.amdhsa_float_round_mode_32 0
		.amdhsa_float_round_mode_16_64 0
		.amdhsa_float_denorm_mode_32 3
		.amdhsa_float_denorm_mode_16_64 3
		.amdhsa_fp16_overflow 0
		.amdhsa_memory_ordered 1
		.amdhsa_forward_progress 1
		.amdhsa_inst_pref_size 38
		.amdhsa_round_robin_scheduling 0
		.amdhsa_exception_fp_ieee_invalid_op 0
		.amdhsa_exception_fp_denorm_src 0
		.amdhsa_exception_fp_ieee_div_zero 0
		.amdhsa_exception_fp_ieee_overflow 0
		.amdhsa_exception_fp_ieee_underflow 0
		.amdhsa_exception_fp_ieee_inexact 0
		.amdhsa_exception_int_div_zero 0
	.end_amdhsa_kernel
	.section	.text._ZN2at6native29vectorized_elementwise_kernelILi2EZZZNS0_12_GLOBAL__N_117where_kernel_implERNS_14TensorIteratorEENKUlvE_clEvENKUlvE_clEvEUlbhhE_St5arrayIPcLm4EEEEviT0_T1_,"axG",@progbits,_ZN2at6native29vectorized_elementwise_kernelILi2EZZZNS0_12_GLOBAL__N_117where_kernel_implERNS_14TensorIteratorEENKUlvE_clEvENKUlvE_clEvEUlbhhE_St5arrayIPcLm4EEEEviT0_T1_,comdat
.Lfunc_end5:
	.size	_ZN2at6native29vectorized_elementwise_kernelILi2EZZZNS0_12_GLOBAL__N_117where_kernel_implERNS_14TensorIteratorEENKUlvE_clEvENKUlvE_clEvEUlbhhE_St5arrayIPcLm4EEEEviT0_T1_, .Lfunc_end5-_ZN2at6native29vectorized_elementwise_kernelILi2EZZZNS0_12_GLOBAL__N_117where_kernel_implERNS_14TensorIteratorEENKUlvE_clEvENKUlvE_clEvEUlbhhE_St5arrayIPcLm4EEEEviT0_T1_
                                        ; -- End function
	.set _ZN2at6native29vectorized_elementwise_kernelILi2EZZZNS0_12_GLOBAL__N_117where_kernel_implERNS_14TensorIteratorEENKUlvE_clEvENKUlvE_clEvEUlbhhE_St5arrayIPcLm4EEEEviT0_T1_.num_vgpr, 42
	.set _ZN2at6native29vectorized_elementwise_kernelILi2EZZZNS0_12_GLOBAL__N_117where_kernel_implERNS_14TensorIteratorEENKUlvE_clEvENKUlvE_clEvEUlbhhE_St5arrayIPcLm4EEEEviT0_T1_.num_agpr, 0
	.set _ZN2at6native29vectorized_elementwise_kernelILi2EZZZNS0_12_GLOBAL__N_117where_kernel_implERNS_14TensorIteratorEENKUlvE_clEvENKUlvE_clEvEUlbhhE_St5arrayIPcLm4EEEEviT0_T1_.numbered_sgpr, 37
	.set _ZN2at6native29vectorized_elementwise_kernelILi2EZZZNS0_12_GLOBAL__N_117where_kernel_implERNS_14TensorIteratorEENKUlvE_clEvENKUlvE_clEvEUlbhhE_St5arrayIPcLm4EEEEviT0_T1_.num_named_barrier, 0
	.set _ZN2at6native29vectorized_elementwise_kernelILi2EZZZNS0_12_GLOBAL__N_117where_kernel_implERNS_14TensorIteratorEENKUlvE_clEvENKUlvE_clEvEUlbhhE_St5arrayIPcLm4EEEEviT0_T1_.private_seg_size, 0
	.set _ZN2at6native29vectorized_elementwise_kernelILi2EZZZNS0_12_GLOBAL__N_117where_kernel_implERNS_14TensorIteratorEENKUlvE_clEvENKUlvE_clEvEUlbhhE_St5arrayIPcLm4EEEEviT0_T1_.uses_vcc, 1
	.set _ZN2at6native29vectorized_elementwise_kernelILi2EZZZNS0_12_GLOBAL__N_117where_kernel_implERNS_14TensorIteratorEENKUlvE_clEvENKUlvE_clEvEUlbhhE_St5arrayIPcLm4EEEEviT0_T1_.uses_flat_scratch, 0
	.set _ZN2at6native29vectorized_elementwise_kernelILi2EZZZNS0_12_GLOBAL__N_117where_kernel_implERNS_14TensorIteratorEENKUlvE_clEvENKUlvE_clEvEUlbhhE_St5arrayIPcLm4EEEEviT0_T1_.has_dyn_sized_stack, 0
	.set _ZN2at6native29vectorized_elementwise_kernelILi2EZZZNS0_12_GLOBAL__N_117where_kernel_implERNS_14TensorIteratorEENKUlvE_clEvENKUlvE_clEvEUlbhhE_St5arrayIPcLm4EEEEviT0_T1_.has_recursion, 0
	.set _ZN2at6native29vectorized_elementwise_kernelILi2EZZZNS0_12_GLOBAL__N_117where_kernel_implERNS_14TensorIteratorEENKUlvE_clEvENKUlvE_clEvEUlbhhE_St5arrayIPcLm4EEEEviT0_T1_.has_indirect_call, 0
	.section	.AMDGPU.csdata,"",@progbits
; Kernel info:
; codeLenInByte = 4820
; TotalNumSgprs: 39
; NumVgprs: 42
; ScratchSize: 0
; MemoryBound: 0
; FloatMode: 240
; IeeeMode: 1
; LDSByteSize: 0 bytes/workgroup (compile time only)
; SGPRBlocks: 0
; VGPRBlocks: 2
; NumSGPRsForWavesPerEU: 39
; NumVGPRsForWavesPerEU: 42
; NamedBarCnt: 0
; Occupancy: 16
; WaveLimiterHint : 1
; COMPUTE_PGM_RSRC2:SCRATCH_EN: 0
; COMPUTE_PGM_RSRC2:USER_SGPR: 2
; COMPUTE_PGM_RSRC2:TRAP_HANDLER: 0
; COMPUTE_PGM_RSRC2:TGID_X_EN: 1
; COMPUTE_PGM_RSRC2:TGID_Y_EN: 0
; COMPUTE_PGM_RSRC2:TGID_Z_EN: 0
; COMPUTE_PGM_RSRC2:TIDIG_COMP_CNT: 0
	.section	.text._ZN2at6native27unrolled_elementwise_kernelIZZZNS0_12_GLOBAL__N_117where_kernel_implERNS_14TensorIteratorEENKUlvE_clEvENKUlvE_clEvEUlbhhE_St5arrayIPcLm4EELi4E23TrivialOffsetCalculatorILi3EjESB_ILi1EjENS0_6memory15LoadWithoutCastENSE_16StoreWithoutCastEEEviT_T0_T2_T3_T4_T5_,"axG",@progbits,_ZN2at6native27unrolled_elementwise_kernelIZZZNS0_12_GLOBAL__N_117where_kernel_implERNS_14TensorIteratorEENKUlvE_clEvENKUlvE_clEvEUlbhhE_St5arrayIPcLm4EELi4E23TrivialOffsetCalculatorILi3EjESB_ILi1EjENS0_6memory15LoadWithoutCastENSE_16StoreWithoutCastEEEviT_T0_T2_T3_T4_T5_,comdat
	.globl	_ZN2at6native27unrolled_elementwise_kernelIZZZNS0_12_GLOBAL__N_117where_kernel_implERNS_14TensorIteratorEENKUlvE_clEvENKUlvE_clEvEUlbhhE_St5arrayIPcLm4EELi4E23TrivialOffsetCalculatorILi3EjESB_ILi1EjENS0_6memory15LoadWithoutCastENSE_16StoreWithoutCastEEEviT_T0_T2_T3_T4_T5_ ; -- Begin function _ZN2at6native27unrolled_elementwise_kernelIZZZNS0_12_GLOBAL__N_117where_kernel_implERNS_14TensorIteratorEENKUlvE_clEvENKUlvE_clEvEUlbhhE_St5arrayIPcLm4EELi4E23TrivialOffsetCalculatorILi3EjESB_ILi1EjENS0_6memory15LoadWithoutCastENSE_16StoreWithoutCastEEEviT_T0_T2_T3_T4_T5_
	.p2align	8
	.type	_ZN2at6native27unrolled_elementwise_kernelIZZZNS0_12_GLOBAL__N_117where_kernel_implERNS_14TensorIteratorEENKUlvE_clEvENKUlvE_clEvEUlbhhE_St5arrayIPcLm4EELi4E23TrivialOffsetCalculatorILi3EjESB_ILi1EjENS0_6memory15LoadWithoutCastENSE_16StoreWithoutCastEEEviT_T0_T2_T3_T4_T5_,@function
_ZN2at6native27unrolled_elementwise_kernelIZZZNS0_12_GLOBAL__N_117where_kernel_implERNS_14TensorIteratorEENKUlvE_clEvENKUlvE_clEvEUlbhhE_St5arrayIPcLm4EELi4E23TrivialOffsetCalculatorILi3EjESB_ILi1EjENS0_6memory15LoadWithoutCastENSE_16StoreWithoutCastEEEviT_T0_T2_T3_T4_T5_: ; @_ZN2at6native27unrolled_elementwise_kernelIZZZNS0_12_GLOBAL__N_117where_kernel_implERNS_14TensorIteratorEENKUlvE_clEvENKUlvE_clEvEUlbhhE_St5arrayIPcLm4EELi4E23TrivialOffsetCalculatorILi3EjESB_ILi1EjENS0_6memory15LoadWithoutCastENSE_16StoreWithoutCastEEEviT_T0_T2_T3_T4_T5_
; %bb.0:
	s_load_b32 s2, s[0:1], 0x0
	s_bfe_u32 s3, ttmp6, 0x4000c
	s_and_b32 s4, ttmp6, 15
	s_add_co_i32 s3, s3, 1
	s_getreg_b32 s5, hwreg(HW_REG_IB_STS2, 6, 4)
	s_mul_i32 s3, ttmp9, s3
	s_delay_alu instid0(SALU_CYCLE_1) | instskip(SKIP_2) | instid1(SALU_CYCLE_1)
	s_add_co_i32 s4, s4, s3
	s_cmp_eq_u32 s5, 0
	s_cselect_b32 s3, ttmp9, s4
	s_lshl_b32 s3, s3, 10
	s_wait_kmcnt 0x0
	s_sub_co_i32 s12, s2, s3
	s_mov_b32 s2, exec_lo
	v_cmpx_gt_i32_e64 s12, v0
	s_cbranch_execz .LBB6_13
; %bb.1:
	s_load_b256 s[4:11], s[0:1], 0x8
	v_dual_mov_b32 v3, 0 :: v_dual_bitop2_b32 v2, s3, v0 bitop3:0x54
	v_or_b32_e32 v7, 0x100, v0
	v_or_b32_e32 v1, 0x200, v0
	s_wait_kmcnt 0x0
	s_clause 0x2
	global_load_u8 v6, v2, s[6:7]
	global_load_u8 v4, v2, s[8:9]
	;; [unrolled: 1-line block ×3, first 2 shown]
	v_cmp_le_u32_e64 s0, s12, v7
	v_cmp_gt_u32_e32 vcc_lo, s12, v7
	s_wait_xcnt 0x0
	s_and_saveexec_b32 s1, s0
	s_delay_alu instid0(SALU_CYCLE_1)
	s_xor_b32 s0, exec_lo, s1
; %bb.2:
	v_or_b32_e32 v1, 0x200, v0
; %bb.3:
	s_or_saveexec_b32 s13, s0
	v_dual_add_nc_u32 v7, s3, v7 :: v_dual_mov_b32 v11, v3
	v_dual_mov_b32 v9, v3 :: v_dual_mov_b32 v8, v3
	v_dual_mov_b32 v10, v3 :: v_dual_mov_b32 v12, v3
	s_mov_b32 s2, 0
	s_mov_b32 s1, 0
	s_xor_b32 exec_lo, exec_lo, s13
	s_cbranch_execz .LBB6_9
; %bb.4:
	s_clause 0x2
	global_load_u8 v11, v7, s[6:7]
	global_load_u8 v10, v7, s[8:9]
	;; [unrolled: 1-line block ×3, first 2 shown]
	v_dual_mov_b32 v8, 0 :: v_dual_mov_b32 v9, 0
	s_mov_b32 s14, exec_lo
	s_wait_loadcnt 0x2
	v_cmp_ne_u16_e64 s0, 0, v11
	v_mov_b32_e32 v11, 0
	s_wait_xcnt 0x0
	v_cmpx_gt_u32_e64 s12, v1
	s_cbranch_execz .LBB6_8
; %bb.5:
	v_add_nc_u32_e32 v11, s3, v1
	v_or_b32_e32 v13, 0x300, v0
	s_mov_b32 s15, exec_lo
	s_clause 0x2
	global_load_u8 v14, v11, s[6:7]
	global_load_u8 v9, v11, s[8:9]
	;; [unrolled: 1-line block ×3, first 2 shown]
	s_wait_xcnt 0x0
	v_mov_b32_e32 v11, 0
	s_wait_loadcnt 0x2
	v_cmp_ne_u16_e64 s1, 0, v14
	v_cmpx_gt_u32_e64 s12, v13
	s_cbranch_execz .LBB6_7
; %bb.6:
	v_add_nc_u32_e32 v11, s3, v13
	s_clause 0x2
	global_load_u8 v13, v11, s[6:7]
	global_load_u8 v14, v11, s[10:11]
	;; [unrolled: 1-line block ×3, first 2 shown]
	s_wait_loadcnt 0x2
	v_cmp_eq_u16_e64 s2, 0, v13
	s_wait_loadcnt 0x0
	s_delay_alu instid0(VALU_DEP_1)
	v_cndmask_b32_e64 v11, v15, v14, s2
.LBB6_7:
	s_or_b32 exec_lo, exec_lo, s15
	s_delay_alu instid0(SALU_CYCLE_1)
	s_and_b32 s2, s1, exec_lo
.LBB6_8:
	s_or_b32 exec_lo, exec_lo, s14
	s_delay_alu instid0(SALU_CYCLE_1)
	s_and_b32 s1, s2, exec_lo
	s_and_b32 s2, s0, exec_lo
.LBB6_9:
	s_or_b32 exec_lo, exec_lo, s13
	s_wait_loadcnt 0x2
	v_and_b32_e32 v6, 0xff, v6
	v_add_nc_u64_e32 v[2:3], s[4:5], v[2:3]
	s_delay_alu instid0(VALU_DEP_2) | instskip(SKIP_1) | instid1(VALU_DEP_1)
	v_cmp_eq_u16_e64 s0, 0, v6
	s_wait_loadcnt 0x0
	v_cndmask_b32_e64 v4, v4, v5, s0
	global_store_b8 v[2:3], v4, off
	s_wait_xcnt 0x0
	s_and_b32 exec_lo, exec_lo, vcc_lo
	s_cbranch_execz .LBB6_13
; %bb.10:
	v_cndmask_b32_e64 v2, v12, v10, s2
	v_cmp_gt_u32_e32 vcc_lo, s12, v1
	global_store_b8 v7, v2, s[4:5]
	s_wait_xcnt 0x0
	s_and_b32 exec_lo, exec_lo, vcc_lo
	s_cbranch_execz .LBB6_13
; %bb.11:
	v_or_b32_e32 v0, 0x300, v0
	v_cndmask_b32_e64 v2, v8, v9, s1
	v_add_nc_u32_e32 v1, s3, v1
	s_delay_alu instid0(VALU_DEP_3)
	v_cmp_gt_u32_e32 vcc_lo, s12, v0
	global_store_b8 v1, v2, s[4:5]
	s_wait_xcnt 0x0
	s_and_b32 exec_lo, exec_lo, vcc_lo
	s_cbranch_execz .LBB6_13
; %bb.12:
	v_add_nc_u32_e32 v0, s3, v0
	global_store_b8 v0, v11, s[4:5]
.LBB6_13:
	s_endpgm
	.section	.rodata,"a",@progbits
	.p2align	6, 0x0
	.amdhsa_kernel _ZN2at6native27unrolled_elementwise_kernelIZZZNS0_12_GLOBAL__N_117where_kernel_implERNS_14TensorIteratorEENKUlvE_clEvENKUlvE_clEvEUlbhhE_St5arrayIPcLm4EELi4E23TrivialOffsetCalculatorILi3EjESB_ILi1EjENS0_6memory15LoadWithoutCastENSE_16StoreWithoutCastEEEviT_T0_T2_T3_T4_T5_
		.amdhsa_group_segment_fixed_size 0
		.amdhsa_private_segment_fixed_size 0
		.amdhsa_kernarg_size 44
		.amdhsa_user_sgpr_count 2
		.amdhsa_user_sgpr_dispatch_ptr 0
		.amdhsa_user_sgpr_queue_ptr 0
		.amdhsa_user_sgpr_kernarg_segment_ptr 1
		.amdhsa_user_sgpr_dispatch_id 0
		.amdhsa_user_sgpr_kernarg_preload_length 0
		.amdhsa_user_sgpr_kernarg_preload_offset 0
		.amdhsa_user_sgpr_private_segment_size 0
		.amdhsa_wavefront_size32 1
		.amdhsa_uses_dynamic_stack 0
		.amdhsa_enable_private_segment 0
		.amdhsa_system_sgpr_workgroup_id_x 1
		.amdhsa_system_sgpr_workgroup_id_y 0
		.amdhsa_system_sgpr_workgroup_id_z 0
		.amdhsa_system_sgpr_workgroup_info 0
		.amdhsa_system_vgpr_workitem_id 0
		.amdhsa_next_free_vgpr 16
		.amdhsa_next_free_sgpr 16
		.amdhsa_named_barrier_count 0
		.amdhsa_reserve_vcc 1
		.amdhsa_float_round_mode_32 0
		.amdhsa_float_round_mode_16_64 0
		.amdhsa_float_denorm_mode_32 3
		.amdhsa_float_denorm_mode_16_64 3
		.amdhsa_fp16_overflow 0
		.amdhsa_memory_ordered 1
		.amdhsa_forward_progress 1
		.amdhsa_inst_pref_size 6
		.amdhsa_round_robin_scheduling 0
		.amdhsa_exception_fp_ieee_invalid_op 0
		.amdhsa_exception_fp_denorm_src 0
		.amdhsa_exception_fp_ieee_div_zero 0
		.amdhsa_exception_fp_ieee_overflow 0
		.amdhsa_exception_fp_ieee_underflow 0
		.amdhsa_exception_fp_ieee_inexact 0
		.amdhsa_exception_int_div_zero 0
	.end_amdhsa_kernel
	.section	.text._ZN2at6native27unrolled_elementwise_kernelIZZZNS0_12_GLOBAL__N_117where_kernel_implERNS_14TensorIteratorEENKUlvE_clEvENKUlvE_clEvEUlbhhE_St5arrayIPcLm4EELi4E23TrivialOffsetCalculatorILi3EjESB_ILi1EjENS0_6memory15LoadWithoutCastENSE_16StoreWithoutCastEEEviT_T0_T2_T3_T4_T5_,"axG",@progbits,_ZN2at6native27unrolled_elementwise_kernelIZZZNS0_12_GLOBAL__N_117where_kernel_implERNS_14TensorIteratorEENKUlvE_clEvENKUlvE_clEvEUlbhhE_St5arrayIPcLm4EELi4E23TrivialOffsetCalculatorILi3EjESB_ILi1EjENS0_6memory15LoadWithoutCastENSE_16StoreWithoutCastEEEviT_T0_T2_T3_T4_T5_,comdat
.Lfunc_end6:
	.size	_ZN2at6native27unrolled_elementwise_kernelIZZZNS0_12_GLOBAL__N_117where_kernel_implERNS_14TensorIteratorEENKUlvE_clEvENKUlvE_clEvEUlbhhE_St5arrayIPcLm4EELi4E23TrivialOffsetCalculatorILi3EjESB_ILi1EjENS0_6memory15LoadWithoutCastENSE_16StoreWithoutCastEEEviT_T0_T2_T3_T4_T5_, .Lfunc_end6-_ZN2at6native27unrolled_elementwise_kernelIZZZNS0_12_GLOBAL__N_117where_kernel_implERNS_14TensorIteratorEENKUlvE_clEvENKUlvE_clEvEUlbhhE_St5arrayIPcLm4EELi4E23TrivialOffsetCalculatorILi3EjESB_ILi1EjENS0_6memory15LoadWithoutCastENSE_16StoreWithoutCastEEEviT_T0_T2_T3_T4_T5_
                                        ; -- End function
	.set _ZN2at6native27unrolled_elementwise_kernelIZZZNS0_12_GLOBAL__N_117where_kernel_implERNS_14TensorIteratorEENKUlvE_clEvENKUlvE_clEvEUlbhhE_St5arrayIPcLm4EELi4E23TrivialOffsetCalculatorILi3EjESB_ILi1EjENS0_6memory15LoadWithoutCastENSE_16StoreWithoutCastEEEviT_T0_T2_T3_T4_T5_.num_vgpr, 16
	.set _ZN2at6native27unrolled_elementwise_kernelIZZZNS0_12_GLOBAL__N_117where_kernel_implERNS_14TensorIteratorEENKUlvE_clEvENKUlvE_clEvEUlbhhE_St5arrayIPcLm4EELi4E23TrivialOffsetCalculatorILi3EjESB_ILi1EjENS0_6memory15LoadWithoutCastENSE_16StoreWithoutCastEEEviT_T0_T2_T3_T4_T5_.num_agpr, 0
	.set _ZN2at6native27unrolled_elementwise_kernelIZZZNS0_12_GLOBAL__N_117where_kernel_implERNS_14TensorIteratorEENKUlvE_clEvENKUlvE_clEvEUlbhhE_St5arrayIPcLm4EELi4E23TrivialOffsetCalculatorILi3EjESB_ILi1EjENS0_6memory15LoadWithoutCastENSE_16StoreWithoutCastEEEviT_T0_T2_T3_T4_T5_.numbered_sgpr, 16
	.set _ZN2at6native27unrolled_elementwise_kernelIZZZNS0_12_GLOBAL__N_117where_kernel_implERNS_14TensorIteratorEENKUlvE_clEvENKUlvE_clEvEUlbhhE_St5arrayIPcLm4EELi4E23TrivialOffsetCalculatorILi3EjESB_ILi1EjENS0_6memory15LoadWithoutCastENSE_16StoreWithoutCastEEEviT_T0_T2_T3_T4_T5_.num_named_barrier, 0
	.set _ZN2at6native27unrolled_elementwise_kernelIZZZNS0_12_GLOBAL__N_117where_kernel_implERNS_14TensorIteratorEENKUlvE_clEvENKUlvE_clEvEUlbhhE_St5arrayIPcLm4EELi4E23TrivialOffsetCalculatorILi3EjESB_ILi1EjENS0_6memory15LoadWithoutCastENSE_16StoreWithoutCastEEEviT_T0_T2_T3_T4_T5_.private_seg_size, 0
	.set _ZN2at6native27unrolled_elementwise_kernelIZZZNS0_12_GLOBAL__N_117where_kernel_implERNS_14TensorIteratorEENKUlvE_clEvENKUlvE_clEvEUlbhhE_St5arrayIPcLm4EELi4E23TrivialOffsetCalculatorILi3EjESB_ILi1EjENS0_6memory15LoadWithoutCastENSE_16StoreWithoutCastEEEviT_T0_T2_T3_T4_T5_.uses_vcc, 1
	.set _ZN2at6native27unrolled_elementwise_kernelIZZZNS0_12_GLOBAL__N_117where_kernel_implERNS_14TensorIteratorEENKUlvE_clEvENKUlvE_clEvEUlbhhE_St5arrayIPcLm4EELi4E23TrivialOffsetCalculatorILi3EjESB_ILi1EjENS0_6memory15LoadWithoutCastENSE_16StoreWithoutCastEEEviT_T0_T2_T3_T4_T5_.uses_flat_scratch, 0
	.set _ZN2at6native27unrolled_elementwise_kernelIZZZNS0_12_GLOBAL__N_117where_kernel_implERNS_14TensorIteratorEENKUlvE_clEvENKUlvE_clEvEUlbhhE_St5arrayIPcLm4EELi4E23TrivialOffsetCalculatorILi3EjESB_ILi1EjENS0_6memory15LoadWithoutCastENSE_16StoreWithoutCastEEEviT_T0_T2_T3_T4_T5_.has_dyn_sized_stack, 0
	.set _ZN2at6native27unrolled_elementwise_kernelIZZZNS0_12_GLOBAL__N_117where_kernel_implERNS_14TensorIteratorEENKUlvE_clEvENKUlvE_clEvEUlbhhE_St5arrayIPcLm4EELi4E23TrivialOffsetCalculatorILi3EjESB_ILi1EjENS0_6memory15LoadWithoutCastENSE_16StoreWithoutCastEEEviT_T0_T2_T3_T4_T5_.has_recursion, 0
	.set _ZN2at6native27unrolled_elementwise_kernelIZZZNS0_12_GLOBAL__N_117where_kernel_implERNS_14TensorIteratorEENKUlvE_clEvENKUlvE_clEvEUlbhhE_St5arrayIPcLm4EELi4E23TrivialOffsetCalculatorILi3EjESB_ILi1EjENS0_6memory15LoadWithoutCastENSE_16StoreWithoutCastEEEviT_T0_T2_T3_T4_T5_.has_indirect_call, 0
	.section	.AMDGPU.csdata,"",@progbits
; Kernel info:
; codeLenInByte = 692
; TotalNumSgprs: 18
; NumVgprs: 16
; ScratchSize: 0
; MemoryBound: 0
; FloatMode: 240
; IeeeMode: 1
; LDSByteSize: 0 bytes/workgroup (compile time only)
; SGPRBlocks: 0
; VGPRBlocks: 0
; NumSGPRsForWavesPerEU: 18
; NumVGPRsForWavesPerEU: 16
; NamedBarCnt: 0
; Occupancy: 16
; WaveLimiterHint : 0
; COMPUTE_PGM_RSRC2:SCRATCH_EN: 0
; COMPUTE_PGM_RSRC2:USER_SGPR: 2
; COMPUTE_PGM_RSRC2:TRAP_HANDLER: 0
; COMPUTE_PGM_RSRC2:TGID_X_EN: 1
; COMPUTE_PGM_RSRC2:TGID_Y_EN: 0
; COMPUTE_PGM_RSRC2:TGID_Z_EN: 0
; COMPUTE_PGM_RSRC2:TIDIG_COMP_CNT: 0
	.section	.text._ZN2at6native32elementwise_kernel_manual_unrollILi128ELi8EZNS0_22gpu_kernel_impl_nocastIZZZNS0_12_GLOBAL__N_117where_kernel_implERNS_14TensorIteratorEENKUlvE_clEvENKUlvE_clEvEUlbhhE_EEvRNS_18TensorIteratorBaseERKT_EUlibE_EEviT1_,"axG",@progbits,_ZN2at6native32elementwise_kernel_manual_unrollILi128ELi8EZNS0_22gpu_kernel_impl_nocastIZZZNS0_12_GLOBAL__N_117where_kernel_implERNS_14TensorIteratorEENKUlvE_clEvENKUlvE_clEvEUlbhhE_EEvRNS_18TensorIteratorBaseERKT_EUlibE_EEviT1_,comdat
	.globl	_ZN2at6native32elementwise_kernel_manual_unrollILi128ELi8EZNS0_22gpu_kernel_impl_nocastIZZZNS0_12_GLOBAL__N_117where_kernel_implERNS_14TensorIteratorEENKUlvE_clEvENKUlvE_clEvEUlbhhE_EEvRNS_18TensorIteratorBaseERKT_EUlibE_EEviT1_ ; -- Begin function _ZN2at6native32elementwise_kernel_manual_unrollILi128ELi8EZNS0_22gpu_kernel_impl_nocastIZZZNS0_12_GLOBAL__N_117where_kernel_implERNS_14TensorIteratorEENKUlvE_clEvENKUlvE_clEvEUlbhhE_EEvRNS_18TensorIteratorBaseERKT_EUlibE_EEviT1_
	.p2align	8
	.type	_ZN2at6native32elementwise_kernel_manual_unrollILi128ELi8EZNS0_22gpu_kernel_impl_nocastIZZZNS0_12_GLOBAL__N_117where_kernel_implERNS_14TensorIteratorEENKUlvE_clEvENKUlvE_clEvEUlbhhE_EEvRNS_18TensorIteratorBaseERKT_EUlibE_EEviT1_,@function
_ZN2at6native32elementwise_kernel_manual_unrollILi128ELi8EZNS0_22gpu_kernel_impl_nocastIZZZNS0_12_GLOBAL__N_117where_kernel_implERNS_14TensorIteratorEENKUlvE_clEvENKUlvE_clEvEUlbhhE_EEvRNS_18TensorIteratorBaseERKT_EUlibE_EEviT1_: ; @_ZN2at6native32elementwise_kernel_manual_unrollILi128ELi8EZNS0_22gpu_kernel_impl_nocastIZZZNS0_12_GLOBAL__N_117where_kernel_implERNS_14TensorIteratorEENKUlvE_clEvENKUlvE_clEvEUlbhhE_EEvRNS_18TensorIteratorBaseERKT_EUlibE_EEviT1_
; %bb.0:
	s_clause 0x1
	s_load_b32 s33, s[0:1], 0x8
	s_load_b32 s39, s[0:1], 0x0
	s_bfe_u32 s2, ttmp6, 0x4000c
	s_and_b32 s3, ttmp6, 15
	s_add_co_i32 s2, s2, 1
	s_getreg_b32 s4, hwreg(HW_REG_IB_STS2, 6, 4)
	s_mul_i32 s2, ttmp9, s2
	s_add_nc_u64 s[20:21], s[0:1], 8
	s_add_co_i32 s3, s3, s2
	s_cmp_eq_u32 s4, 0
	s_mov_b32 s25, 0
	s_cselect_b32 s2, ttmp9, s3
	s_wait_xcnt 0x0
	s_mov_b32 s0, exec_lo
	v_lshl_or_b32 v0, s2, 10, v0
	s_delay_alu instid0(VALU_DEP_1) | instskip(SKIP_2) | instid1(SALU_CYCLE_1)
	v_or_b32_e32 v5, 0x380, v0
	s_wait_kmcnt 0x0
	s_add_co_i32 s34, s33, -1
	s_cmp_gt_u32 s34, 1
	s_cselect_b32 s35, -1, 0
	v_cmpx_le_i32_e64 s39, v5
	s_xor_b32 s36, exec_lo, s0
	s_cbranch_execz .LBB7_106
; %bb.1:
	s_clause 0x3
	s_load_b128 s[16:19], s[20:21], 0x4
	s_load_b64 s[22:23], s[20:21], 0x14
	s_load_b256 s[8:15], s[20:21], 0xc4
	s_load_b256 s[0:7], s[20:21], 0x1c8
	s_cmp_lg_u32 s33, 0
	s_mov_b32 s27, s25
	s_cselect_b32 s40, -1, 0
	s_min_u32 s38, s34, 15
	s_cmp_gt_u32 s33, 1
	s_cselect_b32 s37, -1, 0
	s_wait_kmcnt 0x0
	s_mov_b32 s24, s17
	s_mov_b32 s26, s22
	s_mov_b32 s17, exec_lo
	v_cmpx_gt_i32_e64 s39, v0
	s_cbranch_execnz .LBB7_9
; %bb.2:
	s_or_b32 exec_lo, exec_lo, s17
	s_delay_alu instid0(SALU_CYCLE_1)
	s_mov_b32 s17, exec_lo
	v_cmpx_gt_i32_e64 s39, v0
	s_cbranch_execnz .LBB7_21
.LBB7_3:
	s_or_b32 exec_lo, exec_lo, s17
	s_delay_alu instid0(SALU_CYCLE_1)
	s_mov_b32 s17, exec_lo
	v_cmpx_gt_i32_e64 s39, v0
	s_cbranch_execnz .LBB7_33
.LBB7_4:
	s_or_b32 exec_lo, exec_lo, s17
	s_delay_alu instid0(SALU_CYCLE_1)
	s_mov_b32 s17, exec_lo
	v_cmpx_gt_i32_e64 s39, v0
	s_cbranch_execnz .LBB7_45
.LBB7_5:
	s_or_b32 exec_lo, exec_lo, s17
	s_delay_alu instid0(SALU_CYCLE_1)
	s_mov_b32 s17, exec_lo
	v_cmpx_gt_i32_e64 s39, v0
	s_cbranch_execnz .LBB7_57
.LBB7_6:
	s_or_b32 exec_lo, exec_lo, s17
	s_delay_alu instid0(SALU_CYCLE_1)
	s_mov_b32 s17, exec_lo
	v_cmpx_gt_i32_e64 s39, v0
	s_cbranch_execnz .LBB7_69
.LBB7_7:
	s_or_b32 exec_lo, exec_lo, s17
	s_delay_alu instid0(SALU_CYCLE_1)
	s_mov_b32 s17, exec_lo
	v_cmpx_gt_i32_e64 s39, v0
	s_cbranch_execnz .LBB7_81
.LBB7_8:
	s_or_b32 exec_lo, exec_lo, s17
	s_delay_alu instid0(SALU_CYCLE_1)
	s_mov_b32 s17, exec_lo
	v_cmpx_gt_i32_e64 s39, v0
	s_cbranch_execnz .LBB7_93
	s_branch .LBB7_105
.LBB7_9:
	s_and_not1_b32 vcc_lo, exec_lo, s35
	s_cbranch_vccnz .LBB7_15
; %bb.10:
	s_and_not1_b32 vcc_lo, exec_lo, s40
	s_cbranch_vccnz .LBB7_16
; %bb.11:
	v_dual_mov_b32 v5, 0 :: v_dual_mov_b32 v1, v0
	v_dual_mov_b32 v7, 0 :: v_dual_mov_b32 v4, 0
	v_mov_b32_e32 v6, 0
	s_add_co_i32 s22, s38, 1
	s_mov_b64 s[28:29], 0xffffffffffffffe0
	s_and_b32 s22, s22, 30
	s_add_nc_u64 s[28:29], s[20:21], s[28:29]
	s_mov_b64 s[30:31], s[20:21]
.LBB7_12:                               ; =>This Inner Loop Header: Depth=1
	s_clause 0x1
	s_load_b128 s[52:55], s[30:31], 0x4
	s_load_b64 s[42:43], s[30:31], 0x14
	s_load_b256 s[44:51], s[28:29], 0xe4
	s_add_co_i32 s22, s22, -2
	s_wait_xcnt 0x0
	s_add_nc_u64 s[30:31], s[30:31], 24
	s_cmp_lg_u32 s22, 0
	s_add_nc_u64 s[28:29], s[28:29], 32
	s_wait_kmcnt 0x0
	v_mul_hi_u32 v2, s53, v1
	s_delay_alu instid0(VALU_DEP_1) | instskip(NEXT) | instid1(VALU_DEP_1)
	v_add_nc_u32_e32 v2, v1, v2
	v_lshrrev_b32_e32 v2, s54, v2
	s_delay_alu instid0(VALU_DEP_1) | instskip(SKIP_1) | instid1(VALU_DEP_1)
	v_mul_hi_u32 v3, s42, v2
	v_mul_lo_u32 v8, v2, s52
	v_dual_add_nc_u32 v3, v2, v3 :: v_dual_sub_nc_u32 v8, v1, v8
	s_delay_alu instid0(VALU_DEP_1) | instskip(NEXT) | instid1(VALU_DEP_2)
	v_lshrrev_b32_e32 v1, s43, v3
	v_mad_u32 v6, v8, s45, v6
	v_mad_u32 v4, v8, s44, v4
	;; [unrolled: 1-line block ×4, first 2 shown]
	v_mul_lo_u32 v3, v1, s55
	s_delay_alu instid0(VALU_DEP_1) | instskip(NEXT) | instid1(VALU_DEP_1)
	v_sub_nc_u32_e32 v2, v2, v3
	v_mad_u32 v6, v2, s49, v6
	v_mad_u32 v4, v2, s48, v4
	;; [unrolled: 1-line block ×4, first 2 shown]
	s_cbranch_scc1 .LBB7_12
; %bb.13:
	s_bitcmp1_b32 s38, 0
	s_cselect_b32 s22, -1, 0
	s_delay_alu instid0(SALU_CYCLE_1)
	s_and_b32 vcc_lo, exec_lo, s22
	s_cbranch_vccnz .LBB7_17
; %bb.14:
	s_load_b96 s[48:50], s[30:31], 0x4
	s_load_b128 s[44:47], s[28:29], 0xe4
	s_wait_kmcnt 0x0
	v_mul_hi_u32 v2, s49, v1
	s_delay_alu instid0(VALU_DEP_1) | instskip(NEXT) | instid1(VALU_DEP_1)
	v_add_nc_u32_e32 v2, v1, v2
	v_lshrrev_b32_e32 v2, s50, v2
	s_delay_alu instid0(VALU_DEP_1) | instskip(NEXT) | instid1(VALU_DEP_1)
	v_mul_lo_u32 v2, v2, s48
	v_sub_nc_u32_e32 v1, v1, v2
	s_delay_alu instid0(VALU_DEP_1)
	v_mad_u32 v4, v1, s44, v4
	v_mad_u32 v6, v1, s45, v6
	v_mad_u32 v5, v1, s46, v5
	v_mad_u32 v7, v1, s47, v7
	s_cbranch_execz .LBB7_18
	s_branch .LBB7_20
.LBB7_15:
                                        ; implicit-def: $vgpr6
                                        ; implicit-def: $vgpr4
                                        ; implicit-def: $vgpr7
                                        ; implicit-def: $vgpr5
	s_branch .LBB7_18
.LBB7_16:
	v_dual_mov_b32 v6, 0 :: v_dual_mov_b32 v4, 0
	v_dual_mov_b32 v7, 0 :: v_dual_mov_b32 v5, 0
.LBB7_17:
	s_cbranch_execnz .LBB7_20
.LBB7_18:
	v_mov_b32_e32 v1, 0
	s_and_not1_b32 vcc_lo, exec_lo, s37
	s_delay_alu instid0(VALU_DEP_1) | instskip(NEXT) | instid1(VALU_DEP_1)
	v_mul_u64_e32 v[2:3], s[24:25], v[0:1]
	v_add_nc_u32_e32 v2, v0, v3
	s_delay_alu instid0(VALU_DEP_1) | instskip(NEXT) | instid1(VALU_DEP_1)
	v_lshrrev_b32_e32 v2, s18, v2
	v_mul_lo_u32 v3, v2, s16
	s_delay_alu instid0(VALU_DEP_1) | instskip(NEXT) | instid1(VALU_DEP_1)
	v_sub_nc_u32_e32 v3, v0, v3
	v_mul_lo_u32 v6, v3, s9
	v_mul_lo_u32 v4, v3, s8
	;; [unrolled: 1-line block ×4, first 2 shown]
	s_cbranch_vccnz .LBB7_20
; %bb.19:
	v_mov_b32_e32 v3, v1
	s_delay_alu instid0(VALU_DEP_1) | instskip(NEXT) | instid1(VALU_DEP_1)
	v_mul_u64_e32 v[8:9], s[26:27], v[2:3]
	v_add_nc_u32_e32 v1, v2, v9
	s_delay_alu instid0(VALU_DEP_1) | instskip(NEXT) | instid1(VALU_DEP_1)
	v_lshrrev_b32_e32 v1, s23, v1
	v_mul_lo_u32 v1, v1, s19
	s_delay_alu instid0(VALU_DEP_1) | instskip(NEXT) | instid1(VALU_DEP_1)
	v_sub_nc_u32_e32 v1, v2, v1
	v_mad_u32 v4, v1, s12, v4
	v_mad_u32 v6, v1, s13, v6
	;; [unrolled: 1-line block ×4, first 2 shown]
.LBB7_20:
	global_load_u8 v1, v6, s[2:3]
	global_load_u8 v2, v5, s[4:5]
	global_load_u8 v3, v7, s[6:7]
	v_add_nc_u32_e32 v0, 0x80, v0
	s_wait_loadcnt 0x2
	v_cmp_eq_u16_e32 vcc_lo, 0, v1
	s_wait_loadcnt 0x0
	v_cndmask_b32_e32 v1, v2, v3, vcc_lo
	global_store_b8 v4, v1, s[0:1]
	s_wait_xcnt 0x0
	s_or_b32 exec_lo, exec_lo, s17
	s_delay_alu instid0(SALU_CYCLE_1)
	s_mov_b32 s17, exec_lo
	v_cmpx_gt_i32_e64 s39, v0
	s_cbranch_execz .LBB7_3
.LBB7_21:
	s_and_not1_b32 vcc_lo, exec_lo, s35
	s_cbranch_vccnz .LBB7_27
; %bb.22:
	s_and_not1_b32 vcc_lo, exec_lo, s40
	s_cbranch_vccnz .LBB7_28
; %bb.23:
	v_dual_mov_b32 v6, 0 :: v_dual_mov_b32 v1, v0
	v_dual_mov_b32 v7, 0 :: v_dual_mov_b32 v4, 0
	v_mov_b32_e32 v5, 0
	s_add_co_i32 s22, s38, 1
	s_mov_b64 s[28:29], 0xffffffffffffffe0
	s_and_b32 s22, s22, 30
	s_add_nc_u64 s[28:29], s[20:21], s[28:29]
	s_mov_b64 s[30:31], s[20:21]
.LBB7_24:                               ; =>This Inner Loop Header: Depth=1
	s_clause 0x1
	s_load_b128 s[52:55], s[30:31], 0x4
	s_load_b64 s[42:43], s[30:31], 0x14
	s_load_b256 s[44:51], s[28:29], 0xe4
	s_add_co_i32 s22, s22, -2
	s_wait_xcnt 0x0
	s_add_nc_u64 s[30:31], s[30:31], 24
	s_cmp_eq_u32 s22, 0
	s_add_nc_u64 s[28:29], s[28:29], 32
	s_wait_kmcnt 0x0
	v_mul_hi_u32 v2, s53, v1
	s_delay_alu instid0(VALU_DEP_1) | instskip(NEXT) | instid1(VALU_DEP_1)
	v_add_nc_u32_e32 v2, v1, v2
	v_lshrrev_b32_e32 v2, s54, v2
	s_delay_alu instid0(VALU_DEP_1) | instskip(SKIP_1) | instid1(VALU_DEP_1)
	v_mul_hi_u32 v3, s42, v2
	v_mul_lo_u32 v8, v2, s52
	v_dual_add_nc_u32 v3, v2, v3 :: v_dual_sub_nc_u32 v8, v1, v8
	s_delay_alu instid0(VALU_DEP_1) | instskip(NEXT) | instid1(VALU_DEP_2)
	v_lshrrev_b32_e32 v1, s43, v3
	v_mad_u32 v5, v8, s45, v5
	v_mad_u32 v4, v8, s44, v4
	v_mad_u32 v7, v8, s47, v7
	v_mad_u32 v6, v8, s46, v6
	v_mul_lo_u32 v3, v1, s55
	s_delay_alu instid0(VALU_DEP_1) | instskip(NEXT) | instid1(VALU_DEP_1)
	v_sub_nc_u32_e32 v2, v2, v3
	v_mad_u32 v5, v2, s49, v5
	v_mad_u32 v4, v2, s48, v4
	;; [unrolled: 1-line block ×4, first 2 shown]
	s_cbranch_scc0 .LBB7_24
; %bb.25:
	s_bitcmp1_b32 s38, 0
	s_cselect_b32 s22, -1, 0
	s_delay_alu instid0(SALU_CYCLE_1)
	s_and_b32 vcc_lo, exec_lo, s22
	s_cbranch_vccnz .LBB7_29
; %bb.26:
	s_load_b96 s[48:50], s[30:31], 0x4
	s_load_b128 s[44:47], s[28:29], 0xe4
	s_wait_kmcnt 0x0
	v_mul_hi_u32 v2, s49, v1
	s_delay_alu instid0(VALU_DEP_1) | instskip(NEXT) | instid1(VALU_DEP_1)
	v_add_nc_u32_e32 v2, v1, v2
	v_lshrrev_b32_e32 v2, s50, v2
	s_delay_alu instid0(VALU_DEP_1) | instskip(NEXT) | instid1(VALU_DEP_1)
	v_mul_lo_u32 v2, v2, s48
	v_sub_nc_u32_e32 v1, v1, v2
	s_delay_alu instid0(VALU_DEP_1)
	v_mad_u32 v4, v1, s44, v4
	v_mad_u32 v5, v1, s45, v5
	;; [unrolled: 1-line block ×4, first 2 shown]
	s_branch .LBB7_29
.LBB7_27:
                                        ; implicit-def: $vgpr5
                                        ; implicit-def: $vgpr4
                                        ; implicit-def: $vgpr7
                                        ; implicit-def: $vgpr6
	s_branch .LBB7_30
.LBB7_28:
	v_dual_mov_b32 v5, 0 :: v_dual_mov_b32 v4, 0
	v_dual_mov_b32 v7, 0 :: v_dual_mov_b32 v6, 0
.LBB7_29:
	s_cbranch_execnz .LBB7_32
.LBB7_30:
	v_mov_b32_e32 v1, 0
	s_and_not1_b32 vcc_lo, exec_lo, s37
	s_delay_alu instid0(VALU_DEP_1) | instskip(NEXT) | instid1(VALU_DEP_1)
	v_mul_u64_e32 v[2:3], s[24:25], v[0:1]
	v_add_nc_u32_e32 v2, v0, v3
	s_delay_alu instid0(VALU_DEP_1) | instskip(NEXT) | instid1(VALU_DEP_1)
	v_lshrrev_b32_e32 v2, s18, v2
	v_mul_lo_u32 v3, v2, s16
	s_delay_alu instid0(VALU_DEP_1) | instskip(NEXT) | instid1(VALU_DEP_1)
	v_sub_nc_u32_e32 v3, v0, v3
	v_mul_lo_u32 v5, v3, s9
	v_mul_lo_u32 v4, v3, s8
	;; [unrolled: 1-line block ×4, first 2 shown]
	s_cbranch_vccnz .LBB7_32
; %bb.31:
	v_mov_b32_e32 v3, v1
	s_delay_alu instid0(VALU_DEP_1) | instskip(NEXT) | instid1(VALU_DEP_1)
	v_mul_u64_e32 v[8:9], s[26:27], v[2:3]
	v_add_nc_u32_e32 v1, v2, v9
	s_delay_alu instid0(VALU_DEP_1) | instskip(NEXT) | instid1(VALU_DEP_1)
	v_lshrrev_b32_e32 v1, s23, v1
	v_mul_lo_u32 v1, v1, s19
	s_delay_alu instid0(VALU_DEP_1) | instskip(NEXT) | instid1(VALU_DEP_1)
	v_sub_nc_u32_e32 v1, v2, v1
	v_mad_u32 v4, v1, s12, v4
	v_mad_u32 v5, v1, s13, v5
	;; [unrolled: 1-line block ×4, first 2 shown]
.LBB7_32:
	global_load_u8 v1, v5, s[2:3]
	global_load_u8 v2, v6, s[4:5]
	;; [unrolled: 1-line block ×3, first 2 shown]
	v_add_nc_u32_e32 v0, 0x80, v0
	s_wait_loadcnt 0x2
	v_cmp_eq_u16_e32 vcc_lo, 0, v1
	s_wait_loadcnt 0x0
	v_cndmask_b32_e32 v1, v2, v3, vcc_lo
	global_store_b8 v4, v1, s[0:1]
	s_wait_xcnt 0x0
	s_or_b32 exec_lo, exec_lo, s17
	s_delay_alu instid0(SALU_CYCLE_1)
	s_mov_b32 s17, exec_lo
	v_cmpx_gt_i32_e64 s39, v0
	s_cbranch_execz .LBB7_4
.LBB7_33:
	s_and_not1_b32 vcc_lo, exec_lo, s35
	s_cbranch_vccnz .LBB7_39
; %bb.34:
	s_and_not1_b32 vcc_lo, exec_lo, s40
	s_cbranch_vccnz .LBB7_40
; %bb.35:
	v_dual_mov_b32 v5, 0 :: v_dual_mov_b32 v1, v0
	v_dual_mov_b32 v7, 0 :: v_dual_mov_b32 v4, 0
	v_mov_b32_e32 v6, 0
	s_add_co_i32 s22, s38, 1
	s_mov_b64 s[28:29], 0xffffffffffffffe0
	s_and_b32 s22, s22, 30
	s_add_nc_u64 s[28:29], s[20:21], s[28:29]
	s_mov_b64 s[30:31], s[20:21]
.LBB7_36:                               ; =>This Inner Loop Header: Depth=1
	s_clause 0x1
	s_load_b128 s[52:55], s[30:31], 0x4
	s_load_b64 s[42:43], s[30:31], 0x14
	s_load_b256 s[44:51], s[28:29], 0xe4
	s_add_co_i32 s22, s22, -2
	s_wait_xcnt 0x0
	s_add_nc_u64 s[30:31], s[30:31], 24
	s_cmp_eq_u32 s22, 0
	s_add_nc_u64 s[28:29], s[28:29], 32
	s_wait_kmcnt 0x0
	v_mul_hi_u32 v2, s53, v1
	s_delay_alu instid0(VALU_DEP_1) | instskip(NEXT) | instid1(VALU_DEP_1)
	v_add_nc_u32_e32 v2, v1, v2
	v_lshrrev_b32_e32 v2, s54, v2
	s_delay_alu instid0(VALU_DEP_1) | instskip(SKIP_1) | instid1(VALU_DEP_1)
	v_mul_hi_u32 v3, s42, v2
	v_mul_lo_u32 v8, v2, s52
	v_dual_add_nc_u32 v3, v2, v3 :: v_dual_sub_nc_u32 v8, v1, v8
	s_delay_alu instid0(VALU_DEP_1) | instskip(NEXT) | instid1(VALU_DEP_2)
	v_lshrrev_b32_e32 v1, s43, v3
	v_mad_u32 v6, v8, s45, v6
	v_mad_u32 v4, v8, s44, v4
	;; [unrolled: 1-line block ×4, first 2 shown]
	v_mul_lo_u32 v3, v1, s55
	s_delay_alu instid0(VALU_DEP_1) | instskip(NEXT) | instid1(VALU_DEP_1)
	v_sub_nc_u32_e32 v2, v2, v3
	v_mad_u32 v6, v2, s49, v6
	v_mad_u32 v4, v2, s48, v4
	;; [unrolled: 1-line block ×4, first 2 shown]
	s_cbranch_scc0 .LBB7_36
; %bb.37:
	s_bitcmp1_b32 s38, 0
	s_cselect_b32 s22, -1, 0
	s_delay_alu instid0(SALU_CYCLE_1)
	s_and_b32 vcc_lo, exec_lo, s22
	s_cbranch_vccnz .LBB7_41
; %bb.38:
	s_load_b96 s[48:50], s[30:31], 0x4
	s_load_b128 s[44:47], s[28:29], 0xe4
	s_wait_kmcnt 0x0
	v_mul_hi_u32 v2, s49, v1
	s_delay_alu instid0(VALU_DEP_1) | instskip(NEXT) | instid1(VALU_DEP_1)
	v_add_nc_u32_e32 v2, v1, v2
	v_lshrrev_b32_e32 v2, s50, v2
	s_delay_alu instid0(VALU_DEP_1) | instskip(NEXT) | instid1(VALU_DEP_1)
	v_mul_lo_u32 v2, v2, s48
	v_sub_nc_u32_e32 v1, v1, v2
	s_delay_alu instid0(VALU_DEP_1)
	v_mad_u32 v4, v1, s44, v4
	v_mad_u32 v6, v1, s45, v6
	;; [unrolled: 1-line block ×4, first 2 shown]
	s_branch .LBB7_41
.LBB7_39:
                                        ; implicit-def: $vgpr6
                                        ; implicit-def: $vgpr4
                                        ; implicit-def: $vgpr7
                                        ; implicit-def: $vgpr5
	s_branch .LBB7_42
.LBB7_40:
	v_dual_mov_b32 v6, 0 :: v_dual_mov_b32 v4, 0
	v_dual_mov_b32 v7, 0 :: v_dual_mov_b32 v5, 0
.LBB7_41:
	s_cbranch_execnz .LBB7_44
.LBB7_42:
	v_mov_b32_e32 v1, 0
	s_and_not1_b32 vcc_lo, exec_lo, s37
	s_delay_alu instid0(VALU_DEP_1) | instskip(NEXT) | instid1(VALU_DEP_1)
	v_mul_u64_e32 v[2:3], s[24:25], v[0:1]
	v_add_nc_u32_e32 v2, v0, v3
	s_delay_alu instid0(VALU_DEP_1) | instskip(NEXT) | instid1(VALU_DEP_1)
	v_lshrrev_b32_e32 v2, s18, v2
	v_mul_lo_u32 v3, v2, s16
	s_delay_alu instid0(VALU_DEP_1) | instskip(NEXT) | instid1(VALU_DEP_1)
	v_sub_nc_u32_e32 v3, v0, v3
	v_mul_lo_u32 v6, v3, s9
	v_mul_lo_u32 v4, v3, s8
	v_mul_lo_u32 v7, v3, s11
	v_mul_lo_u32 v5, v3, s10
	s_cbranch_vccnz .LBB7_44
; %bb.43:
	v_mov_b32_e32 v3, v1
	s_delay_alu instid0(VALU_DEP_1) | instskip(NEXT) | instid1(VALU_DEP_1)
	v_mul_u64_e32 v[8:9], s[26:27], v[2:3]
	v_add_nc_u32_e32 v1, v2, v9
	s_delay_alu instid0(VALU_DEP_1) | instskip(NEXT) | instid1(VALU_DEP_1)
	v_lshrrev_b32_e32 v1, s23, v1
	v_mul_lo_u32 v1, v1, s19
	s_delay_alu instid0(VALU_DEP_1) | instskip(NEXT) | instid1(VALU_DEP_1)
	v_sub_nc_u32_e32 v1, v2, v1
	v_mad_u32 v4, v1, s12, v4
	v_mad_u32 v6, v1, s13, v6
	;; [unrolled: 1-line block ×4, first 2 shown]
.LBB7_44:
	global_load_u8 v1, v6, s[2:3]
	global_load_u8 v2, v5, s[4:5]
	;; [unrolled: 1-line block ×3, first 2 shown]
	v_add_nc_u32_e32 v0, 0x80, v0
	s_wait_loadcnt 0x2
	v_cmp_eq_u16_e32 vcc_lo, 0, v1
	s_wait_loadcnt 0x0
	v_cndmask_b32_e32 v1, v2, v3, vcc_lo
	global_store_b8 v4, v1, s[0:1]
	s_wait_xcnt 0x0
	s_or_b32 exec_lo, exec_lo, s17
	s_delay_alu instid0(SALU_CYCLE_1)
	s_mov_b32 s17, exec_lo
	v_cmpx_gt_i32_e64 s39, v0
	s_cbranch_execz .LBB7_5
.LBB7_45:
	s_and_not1_b32 vcc_lo, exec_lo, s35
	s_cbranch_vccnz .LBB7_51
; %bb.46:
	s_and_not1_b32 vcc_lo, exec_lo, s40
	s_cbranch_vccnz .LBB7_52
; %bb.47:
	v_dual_mov_b32 v6, 0 :: v_dual_mov_b32 v1, v0
	v_dual_mov_b32 v7, 0 :: v_dual_mov_b32 v4, 0
	v_mov_b32_e32 v5, 0
	s_add_co_i32 s22, s38, 1
	s_mov_b64 s[28:29], 0xffffffffffffffe0
	s_and_b32 s22, s22, 30
	s_add_nc_u64 s[28:29], s[20:21], s[28:29]
	s_mov_b64 s[30:31], s[20:21]
.LBB7_48:                               ; =>This Inner Loop Header: Depth=1
	s_clause 0x1
	s_load_b128 s[52:55], s[30:31], 0x4
	s_load_b64 s[42:43], s[30:31], 0x14
	s_load_b256 s[44:51], s[28:29], 0xe4
	s_add_co_i32 s22, s22, -2
	s_wait_xcnt 0x0
	s_add_nc_u64 s[30:31], s[30:31], 24
	s_cmp_eq_u32 s22, 0
	s_add_nc_u64 s[28:29], s[28:29], 32
	s_wait_kmcnt 0x0
	v_mul_hi_u32 v2, s53, v1
	s_delay_alu instid0(VALU_DEP_1) | instskip(NEXT) | instid1(VALU_DEP_1)
	v_add_nc_u32_e32 v2, v1, v2
	v_lshrrev_b32_e32 v2, s54, v2
	s_delay_alu instid0(VALU_DEP_1) | instskip(SKIP_1) | instid1(VALU_DEP_1)
	v_mul_hi_u32 v3, s42, v2
	v_mul_lo_u32 v8, v2, s52
	v_dual_add_nc_u32 v3, v2, v3 :: v_dual_sub_nc_u32 v8, v1, v8
	s_delay_alu instid0(VALU_DEP_1) | instskip(NEXT) | instid1(VALU_DEP_2)
	v_lshrrev_b32_e32 v1, s43, v3
	v_mad_u32 v5, v8, s45, v5
	v_mad_u32 v4, v8, s44, v4
	;; [unrolled: 1-line block ×4, first 2 shown]
	v_mul_lo_u32 v3, v1, s55
	s_delay_alu instid0(VALU_DEP_1) | instskip(NEXT) | instid1(VALU_DEP_1)
	v_sub_nc_u32_e32 v2, v2, v3
	v_mad_u32 v5, v2, s49, v5
	v_mad_u32 v4, v2, s48, v4
	;; [unrolled: 1-line block ×4, first 2 shown]
	s_cbranch_scc0 .LBB7_48
; %bb.49:
	s_bitcmp1_b32 s38, 0
	s_cselect_b32 s22, -1, 0
	s_delay_alu instid0(SALU_CYCLE_1)
	s_and_b32 vcc_lo, exec_lo, s22
	s_cbranch_vccnz .LBB7_53
; %bb.50:
	s_load_b96 s[48:50], s[30:31], 0x4
	s_load_b128 s[44:47], s[28:29], 0xe4
	s_wait_kmcnt 0x0
	v_mul_hi_u32 v2, s49, v1
	s_delay_alu instid0(VALU_DEP_1) | instskip(NEXT) | instid1(VALU_DEP_1)
	v_add_nc_u32_e32 v2, v1, v2
	v_lshrrev_b32_e32 v2, s50, v2
	s_delay_alu instid0(VALU_DEP_1) | instskip(NEXT) | instid1(VALU_DEP_1)
	v_mul_lo_u32 v2, v2, s48
	v_sub_nc_u32_e32 v1, v1, v2
	s_delay_alu instid0(VALU_DEP_1)
	v_mad_u32 v4, v1, s44, v4
	v_mad_u32 v5, v1, s45, v5
	;; [unrolled: 1-line block ×4, first 2 shown]
	s_branch .LBB7_53
.LBB7_51:
                                        ; implicit-def: $vgpr5
                                        ; implicit-def: $vgpr4
                                        ; implicit-def: $vgpr7
                                        ; implicit-def: $vgpr6
	s_branch .LBB7_54
.LBB7_52:
	v_dual_mov_b32 v5, 0 :: v_dual_mov_b32 v4, 0
	v_dual_mov_b32 v7, 0 :: v_dual_mov_b32 v6, 0
.LBB7_53:
	s_cbranch_execnz .LBB7_56
.LBB7_54:
	v_mov_b32_e32 v1, 0
	s_and_not1_b32 vcc_lo, exec_lo, s37
	s_delay_alu instid0(VALU_DEP_1) | instskip(NEXT) | instid1(VALU_DEP_1)
	v_mul_u64_e32 v[2:3], s[24:25], v[0:1]
	v_add_nc_u32_e32 v2, v0, v3
	s_delay_alu instid0(VALU_DEP_1) | instskip(NEXT) | instid1(VALU_DEP_1)
	v_lshrrev_b32_e32 v2, s18, v2
	v_mul_lo_u32 v3, v2, s16
	s_delay_alu instid0(VALU_DEP_1) | instskip(NEXT) | instid1(VALU_DEP_1)
	v_sub_nc_u32_e32 v3, v0, v3
	v_mul_lo_u32 v5, v3, s9
	v_mul_lo_u32 v4, v3, s8
	;; [unrolled: 1-line block ×4, first 2 shown]
	s_cbranch_vccnz .LBB7_56
; %bb.55:
	v_mov_b32_e32 v3, v1
	s_delay_alu instid0(VALU_DEP_1) | instskip(NEXT) | instid1(VALU_DEP_1)
	v_mul_u64_e32 v[8:9], s[26:27], v[2:3]
	v_add_nc_u32_e32 v1, v2, v9
	s_delay_alu instid0(VALU_DEP_1) | instskip(NEXT) | instid1(VALU_DEP_1)
	v_lshrrev_b32_e32 v1, s23, v1
	v_mul_lo_u32 v1, v1, s19
	s_delay_alu instid0(VALU_DEP_1) | instskip(NEXT) | instid1(VALU_DEP_1)
	v_sub_nc_u32_e32 v1, v2, v1
	v_mad_u32 v4, v1, s12, v4
	v_mad_u32 v5, v1, s13, v5
	;; [unrolled: 1-line block ×4, first 2 shown]
.LBB7_56:
	global_load_u8 v1, v5, s[2:3]
	global_load_u8 v2, v6, s[4:5]
	;; [unrolled: 1-line block ×3, first 2 shown]
	v_add_nc_u32_e32 v0, 0x80, v0
	s_wait_loadcnt 0x2
	v_cmp_eq_u16_e32 vcc_lo, 0, v1
	s_wait_loadcnt 0x0
	v_cndmask_b32_e32 v1, v2, v3, vcc_lo
	global_store_b8 v4, v1, s[0:1]
	s_wait_xcnt 0x0
	s_or_b32 exec_lo, exec_lo, s17
	s_delay_alu instid0(SALU_CYCLE_1)
	s_mov_b32 s17, exec_lo
	v_cmpx_gt_i32_e64 s39, v0
	s_cbranch_execz .LBB7_6
.LBB7_57:
	s_and_not1_b32 vcc_lo, exec_lo, s35
	s_cbranch_vccnz .LBB7_63
; %bb.58:
	s_and_not1_b32 vcc_lo, exec_lo, s40
	s_cbranch_vccnz .LBB7_64
; %bb.59:
	v_dual_mov_b32 v6, 0 :: v_dual_mov_b32 v1, v0
	v_dual_mov_b32 v7, 0 :: v_dual_mov_b32 v4, 0
	v_mov_b32_e32 v5, 0
	s_add_co_i32 s22, s38, 1
	s_mov_b64 s[28:29], 0xffffffffffffffe0
	s_and_b32 s22, s22, 30
	s_add_nc_u64 s[28:29], s[20:21], s[28:29]
	s_mov_b64 s[30:31], s[20:21]
.LBB7_60:                               ; =>This Inner Loop Header: Depth=1
	s_clause 0x1
	s_load_b128 s[52:55], s[30:31], 0x4
	s_load_b64 s[42:43], s[30:31], 0x14
	s_load_b256 s[44:51], s[28:29], 0xe4
	s_add_co_i32 s22, s22, -2
	s_wait_xcnt 0x0
	s_add_nc_u64 s[30:31], s[30:31], 24
	s_cmp_eq_u32 s22, 0
	s_add_nc_u64 s[28:29], s[28:29], 32
	s_wait_kmcnt 0x0
	v_mul_hi_u32 v2, s53, v1
	s_delay_alu instid0(VALU_DEP_1) | instskip(NEXT) | instid1(VALU_DEP_1)
	v_add_nc_u32_e32 v2, v1, v2
	v_lshrrev_b32_e32 v2, s54, v2
	s_delay_alu instid0(VALU_DEP_1) | instskip(SKIP_1) | instid1(VALU_DEP_1)
	v_mul_hi_u32 v3, s42, v2
	v_mul_lo_u32 v8, v2, s52
	v_dual_add_nc_u32 v3, v2, v3 :: v_dual_sub_nc_u32 v8, v1, v8
	s_delay_alu instid0(VALU_DEP_1) | instskip(NEXT) | instid1(VALU_DEP_2)
	v_lshrrev_b32_e32 v1, s43, v3
	v_mad_u32 v5, v8, s45, v5
	v_mad_u32 v4, v8, s44, v4
	;; [unrolled: 1-line block ×4, first 2 shown]
	v_mul_lo_u32 v3, v1, s55
	s_delay_alu instid0(VALU_DEP_1) | instskip(NEXT) | instid1(VALU_DEP_1)
	v_sub_nc_u32_e32 v2, v2, v3
	v_mad_u32 v5, v2, s49, v5
	v_mad_u32 v4, v2, s48, v4
	;; [unrolled: 1-line block ×4, first 2 shown]
	s_cbranch_scc0 .LBB7_60
; %bb.61:
	s_bitcmp1_b32 s38, 0
	s_cselect_b32 s22, -1, 0
	s_delay_alu instid0(SALU_CYCLE_1)
	s_and_b32 vcc_lo, exec_lo, s22
	s_cbranch_vccnz .LBB7_65
; %bb.62:
	s_load_b96 s[48:50], s[30:31], 0x4
	s_load_b128 s[44:47], s[28:29], 0xe4
	s_wait_kmcnt 0x0
	v_mul_hi_u32 v2, s49, v1
	s_delay_alu instid0(VALU_DEP_1) | instskip(NEXT) | instid1(VALU_DEP_1)
	v_add_nc_u32_e32 v2, v1, v2
	v_lshrrev_b32_e32 v2, s50, v2
	s_delay_alu instid0(VALU_DEP_1) | instskip(NEXT) | instid1(VALU_DEP_1)
	v_mul_lo_u32 v2, v2, s48
	v_sub_nc_u32_e32 v1, v1, v2
	s_delay_alu instid0(VALU_DEP_1)
	v_mad_u32 v4, v1, s44, v4
	v_mad_u32 v5, v1, s45, v5
	;; [unrolled: 1-line block ×4, first 2 shown]
	s_branch .LBB7_65
.LBB7_63:
                                        ; implicit-def: $vgpr5
                                        ; implicit-def: $vgpr4
                                        ; implicit-def: $vgpr7
                                        ; implicit-def: $vgpr6
	s_branch .LBB7_66
.LBB7_64:
	v_dual_mov_b32 v5, 0 :: v_dual_mov_b32 v4, 0
	v_dual_mov_b32 v7, 0 :: v_dual_mov_b32 v6, 0
.LBB7_65:
	s_cbranch_execnz .LBB7_68
.LBB7_66:
	v_mov_b32_e32 v1, 0
	s_and_not1_b32 vcc_lo, exec_lo, s37
	s_delay_alu instid0(VALU_DEP_1) | instskip(NEXT) | instid1(VALU_DEP_1)
	v_mul_u64_e32 v[2:3], s[24:25], v[0:1]
	v_add_nc_u32_e32 v2, v0, v3
	s_delay_alu instid0(VALU_DEP_1) | instskip(NEXT) | instid1(VALU_DEP_1)
	v_lshrrev_b32_e32 v2, s18, v2
	v_mul_lo_u32 v3, v2, s16
	s_delay_alu instid0(VALU_DEP_1) | instskip(NEXT) | instid1(VALU_DEP_1)
	v_sub_nc_u32_e32 v3, v0, v3
	v_mul_lo_u32 v5, v3, s9
	v_mul_lo_u32 v4, v3, s8
	;; [unrolled: 1-line block ×4, first 2 shown]
	s_cbranch_vccnz .LBB7_68
; %bb.67:
	v_mov_b32_e32 v3, v1
	s_delay_alu instid0(VALU_DEP_1) | instskip(NEXT) | instid1(VALU_DEP_1)
	v_mul_u64_e32 v[8:9], s[26:27], v[2:3]
	v_add_nc_u32_e32 v1, v2, v9
	s_delay_alu instid0(VALU_DEP_1) | instskip(NEXT) | instid1(VALU_DEP_1)
	v_lshrrev_b32_e32 v1, s23, v1
	v_mul_lo_u32 v1, v1, s19
	s_delay_alu instid0(VALU_DEP_1) | instskip(NEXT) | instid1(VALU_DEP_1)
	v_sub_nc_u32_e32 v1, v2, v1
	v_mad_u32 v4, v1, s12, v4
	v_mad_u32 v5, v1, s13, v5
	;; [unrolled: 1-line block ×4, first 2 shown]
.LBB7_68:
	global_load_u8 v1, v5, s[2:3]
	global_load_u8 v2, v6, s[4:5]
	global_load_u8 v3, v7, s[6:7]
	v_add_nc_u32_e32 v0, 0x80, v0
	s_wait_loadcnt 0x2
	v_cmp_eq_u16_e32 vcc_lo, 0, v1
	s_wait_loadcnt 0x0
	v_cndmask_b32_e32 v1, v2, v3, vcc_lo
	global_store_b8 v4, v1, s[0:1]
	s_wait_xcnt 0x0
	s_or_b32 exec_lo, exec_lo, s17
	s_delay_alu instid0(SALU_CYCLE_1)
	s_mov_b32 s17, exec_lo
	v_cmpx_gt_i32_e64 s39, v0
	s_cbranch_execz .LBB7_7
.LBB7_69:
	s_and_not1_b32 vcc_lo, exec_lo, s35
	s_cbranch_vccnz .LBB7_75
; %bb.70:
	s_and_not1_b32 vcc_lo, exec_lo, s40
	s_cbranch_vccnz .LBB7_76
; %bb.71:
	v_dual_mov_b32 v5, 0 :: v_dual_mov_b32 v1, v0
	v_dual_mov_b32 v7, 0 :: v_dual_mov_b32 v4, 0
	v_mov_b32_e32 v6, 0
	s_add_co_i32 s22, s38, 1
	s_mov_b64 s[28:29], 0xffffffffffffffe0
	s_and_b32 s22, s22, 30
	s_add_nc_u64 s[28:29], s[20:21], s[28:29]
	s_mov_b64 s[30:31], s[20:21]
.LBB7_72:                               ; =>This Inner Loop Header: Depth=1
	s_clause 0x1
	s_load_b128 s[52:55], s[30:31], 0x4
	s_load_b64 s[42:43], s[30:31], 0x14
	s_load_b256 s[44:51], s[28:29], 0xe4
	s_add_co_i32 s22, s22, -2
	s_wait_xcnt 0x0
	s_add_nc_u64 s[30:31], s[30:31], 24
	s_cmp_eq_u32 s22, 0
	s_add_nc_u64 s[28:29], s[28:29], 32
	s_wait_kmcnt 0x0
	v_mul_hi_u32 v2, s53, v1
	s_delay_alu instid0(VALU_DEP_1) | instskip(NEXT) | instid1(VALU_DEP_1)
	v_add_nc_u32_e32 v2, v1, v2
	v_lshrrev_b32_e32 v2, s54, v2
	s_delay_alu instid0(VALU_DEP_1) | instskip(SKIP_1) | instid1(VALU_DEP_1)
	v_mul_hi_u32 v3, s42, v2
	v_mul_lo_u32 v8, v2, s52
	v_dual_add_nc_u32 v3, v2, v3 :: v_dual_sub_nc_u32 v8, v1, v8
	s_delay_alu instid0(VALU_DEP_1) | instskip(NEXT) | instid1(VALU_DEP_2)
	v_lshrrev_b32_e32 v1, s43, v3
	v_mad_u32 v6, v8, s45, v6
	v_mad_u32 v4, v8, s44, v4
	;; [unrolled: 1-line block ×4, first 2 shown]
	v_mul_lo_u32 v3, v1, s55
	s_delay_alu instid0(VALU_DEP_1) | instskip(NEXT) | instid1(VALU_DEP_1)
	v_sub_nc_u32_e32 v2, v2, v3
	v_mad_u32 v6, v2, s49, v6
	v_mad_u32 v4, v2, s48, v4
	;; [unrolled: 1-line block ×4, first 2 shown]
	s_cbranch_scc0 .LBB7_72
; %bb.73:
	s_bitcmp1_b32 s38, 0
	s_cselect_b32 s22, -1, 0
	s_delay_alu instid0(SALU_CYCLE_1)
	s_and_b32 vcc_lo, exec_lo, s22
	s_cbranch_vccnz .LBB7_77
; %bb.74:
	s_load_b96 s[48:50], s[30:31], 0x4
	s_load_b128 s[44:47], s[28:29], 0xe4
	s_wait_kmcnt 0x0
	v_mul_hi_u32 v2, s49, v1
	s_delay_alu instid0(VALU_DEP_1) | instskip(NEXT) | instid1(VALU_DEP_1)
	v_add_nc_u32_e32 v2, v1, v2
	v_lshrrev_b32_e32 v2, s50, v2
	s_delay_alu instid0(VALU_DEP_1) | instskip(NEXT) | instid1(VALU_DEP_1)
	v_mul_lo_u32 v2, v2, s48
	v_sub_nc_u32_e32 v1, v1, v2
	s_delay_alu instid0(VALU_DEP_1)
	v_mad_u32 v4, v1, s44, v4
	v_mad_u32 v6, v1, s45, v6
	;; [unrolled: 1-line block ×4, first 2 shown]
	s_branch .LBB7_77
.LBB7_75:
                                        ; implicit-def: $vgpr6
                                        ; implicit-def: $vgpr4
                                        ; implicit-def: $vgpr7
                                        ; implicit-def: $vgpr5
	s_branch .LBB7_78
.LBB7_76:
	v_dual_mov_b32 v6, 0 :: v_dual_mov_b32 v4, 0
	v_dual_mov_b32 v7, 0 :: v_dual_mov_b32 v5, 0
.LBB7_77:
	s_cbranch_execnz .LBB7_80
.LBB7_78:
	v_mov_b32_e32 v1, 0
	s_and_not1_b32 vcc_lo, exec_lo, s37
	s_delay_alu instid0(VALU_DEP_1) | instskip(NEXT) | instid1(VALU_DEP_1)
	v_mul_u64_e32 v[2:3], s[24:25], v[0:1]
	v_add_nc_u32_e32 v2, v0, v3
	s_delay_alu instid0(VALU_DEP_1) | instskip(NEXT) | instid1(VALU_DEP_1)
	v_lshrrev_b32_e32 v2, s18, v2
	v_mul_lo_u32 v3, v2, s16
	s_delay_alu instid0(VALU_DEP_1) | instskip(NEXT) | instid1(VALU_DEP_1)
	v_sub_nc_u32_e32 v3, v0, v3
	v_mul_lo_u32 v6, v3, s9
	v_mul_lo_u32 v4, v3, s8
	;; [unrolled: 1-line block ×4, first 2 shown]
	s_cbranch_vccnz .LBB7_80
; %bb.79:
	v_mov_b32_e32 v3, v1
	s_delay_alu instid0(VALU_DEP_1) | instskip(NEXT) | instid1(VALU_DEP_1)
	v_mul_u64_e32 v[8:9], s[26:27], v[2:3]
	v_add_nc_u32_e32 v1, v2, v9
	s_delay_alu instid0(VALU_DEP_1) | instskip(NEXT) | instid1(VALU_DEP_1)
	v_lshrrev_b32_e32 v1, s23, v1
	v_mul_lo_u32 v1, v1, s19
	s_delay_alu instid0(VALU_DEP_1) | instskip(NEXT) | instid1(VALU_DEP_1)
	v_sub_nc_u32_e32 v1, v2, v1
	v_mad_u32 v4, v1, s12, v4
	v_mad_u32 v6, v1, s13, v6
	;; [unrolled: 1-line block ×4, first 2 shown]
.LBB7_80:
	global_load_u8 v1, v6, s[2:3]
	global_load_u8 v2, v5, s[4:5]
	;; [unrolled: 1-line block ×3, first 2 shown]
	v_add_nc_u32_e32 v0, 0x80, v0
	s_wait_loadcnt 0x2
	v_cmp_eq_u16_e32 vcc_lo, 0, v1
	s_wait_loadcnt 0x0
	v_cndmask_b32_e32 v1, v2, v3, vcc_lo
	global_store_b8 v4, v1, s[0:1]
	s_wait_xcnt 0x0
	s_or_b32 exec_lo, exec_lo, s17
	s_delay_alu instid0(SALU_CYCLE_1)
	s_mov_b32 s17, exec_lo
	v_cmpx_gt_i32_e64 s39, v0
	s_cbranch_execz .LBB7_8
.LBB7_81:
	s_and_not1_b32 vcc_lo, exec_lo, s35
	s_cbranch_vccnz .LBB7_87
; %bb.82:
	s_and_not1_b32 vcc_lo, exec_lo, s40
	s_cbranch_vccnz .LBB7_88
; %bb.83:
	v_dual_mov_b32 v6, 0 :: v_dual_mov_b32 v1, v0
	v_dual_mov_b32 v7, 0 :: v_dual_mov_b32 v4, 0
	v_mov_b32_e32 v5, 0
	s_add_co_i32 s22, s38, 1
	s_mov_b64 s[28:29], 0xffffffffffffffe0
	s_and_b32 s22, s22, 30
	s_add_nc_u64 s[28:29], s[20:21], s[28:29]
	s_mov_b64 s[30:31], s[20:21]
.LBB7_84:                               ; =>This Inner Loop Header: Depth=1
	s_clause 0x1
	s_load_b128 s[52:55], s[30:31], 0x4
	s_load_b64 s[42:43], s[30:31], 0x14
	s_load_b256 s[44:51], s[28:29], 0xe4
	s_add_co_i32 s22, s22, -2
	s_wait_xcnt 0x0
	s_add_nc_u64 s[30:31], s[30:31], 24
	s_cmp_eq_u32 s22, 0
	s_add_nc_u64 s[28:29], s[28:29], 32
	s_wait_kmcnt 0x0
	v_mul_hi_u32 v2, s53, v1
	s_delay_alu instid0(VALU_DEP_1) | instskip(NEXT) | instid1(VALU_DEP_1)
	v_add_nc_u32_e32 v2, v1, v2
	v_lshrrev_b32_e32 v2, s54, v2
	s_delay_alu instid0(VALU_DEP_1) | instskip(SKIP_1) | instid1(VALU_DEP_1)
	v_mul_hi_u32 v3, s42, v2
	v_mul_lo_u32 v8, v2, s52
	v_dual_add_nc_u32 v3, v2, v3 :: v_dual_sub_nc_u32 v8, v1, v8
	s_delay_alu instid0(VALU_DEP_1) | instskip(NEXT) | instid1(VALU_DEP_2)
	v_lshrrev_b32_e32 v1, s43, v3
	v_mad_u32 v5, v8, s45, v5
	v_mad_u32 v4, v8, s44, v4
	;; [unrolled: 1-line block ×4, first 2 shown]
	v_mul_lo_u32 v3, v1, s55
	s_delay_alu instid0(VALU_DEP_1) | instskip(NEXT) | instid1(VALU_DEP_1)
	v_sub_nc_u32_e32 v2, v2, v3
	v_mad_u32 v5, v2, s49, v5
	v_mad_u32 v4, v2, s48, v4
	;; [unrolled: 1-line block ×4, first 2 shown]
	s_cbranch_scc0 .LBB7_84
; %bb.85:
	s_bitcmp1_b32 s38, 0
	s_cselect_b32 s22, -1, 0
	s_delay_alu instid0(SALU_CYCLE_1)
	s_and_b32 vcc_lo, exec_lo, s22
	s_cbranch_vccnz .LBB7_89
; %bb.86:
	s_load_b96 s[48:50], s[30:31], 0x4
	s_load_b128 s[44:47], s[28:29], 0xe4
	s_wait_kmcnt 0x0
	v_mul_hi_u32 v2, s49, v1
	s_delay_alu instid0(VALU_DEP_1) | instskip(NEXT) | instid1(VALU_DEP_1)
	v_add_nc_u32_e32 v2, v1, v2
	v_lshrrev_b32_e32 v2, s50, v2
	s_delay_alu instid0(VALU_DEP_1) | instskip(NEXT) | instid1(VALU_DEP_1)
	v_mul_lo_u32 v2, v2, s48
	v_sub_nc_u32_e32 v1, v1, v2
	s_delay_alu instid0(VALU_DEP_1)
	v_mad_u32 v4, v1, s44, v4
	v_mad_u32 v5, v1, s45, v5
	;; [unrolled: 1-line block ×4, first 2 shown]
	s_branch .LBB7_89
.LBB7_87:
                                        ; implicit-def: $vgpr5
                                        ; implicit-def: $vgpr4
                                        ; implicit-def: $vgpr7
                                        ; implicit-def: $vgpr6
	s_branch .LBB7_90
.LBB7_88:
	v_dual_mov_b32 v5, 0 :: v_dual_mov_b32 v4, 0
	v_dual_mov_b32 v7, 0 :: v_dual_mov_b32 v6, 0
.LBB7_89:
	s_cbranch_execnz .LBB7_92
.LBB7_90:
	v_mov_b32_e32 v1, 0
	s_and_not1_b32 vcc_lo, exec_lo, s37
	s_delay_alu instid0(VALU_DEP_1) | instskip(NEXT) | instid1(VALU_DEP_1)
	v_mul_u64_e32 v[2:3], s[24:25], v[0:1]
	v_add_nc_u32_e32 v2, v0, v3
	s_delay_alu instid0(VALU_DEP_1) | instskip(NEXT) | instid1(VALU_DEP_1)
	v_lshrrev_b32_e32 v2, s18, v2
	v_mul_lo_u32 v3, v2, s16
	s_delay_alu instid0(VALU_DEP_1) | instskip(NEXT) | instid1(VALU_DEP_1)
	v_sub_nc_u32_e32 v3, v0, v3
	v_mul_lo_u32 v5, v3, s9
	v_mul_lo_u32 v4, v3, s8
	;; [unrolled: 1-line block ×4, first 2 shown]
	s_cbranch_vccnz .LBB7_92
; %bb.91:
	v_mov_b32_e32 v3, v1
	s_delay_alu instid0(VALU_DEP_1) | instskip(NEXT) | instid1(VALU_DEP_1)
	v_mul_u64_e32 v[8:9], s[26:27], v[2:3]
	v_add_nc_u32_e32 v1, v2, v9
	s_delay_alu instid0(VALU_DEP_1) | instskip(NEXT) | instid1(VALU_DEP_1)
	v_lshrrev_b32_e32 v1, s23, v1
	v_mul_lo_u32 v1, v1, s19
	s_delay_alu instid0(VALU_DEP_1) | instskip(NEXT) | instid1(VALU_DEP_1)
	v_sub_nc_u32_e32 v1, v2, v1
	v_mad_u32 v4, v1, s12, v4
	v_mad_u32 v5, v1, s13, v5
	;; [unrolled: 1-line block ×4, first 2 shown]
.LBB7_92:
	global_load_u8 v1, v5, s[2:3]
	global_load_u8 v2, v6, s[4:5]
	;; [unrolled: 1-line block ×3, first 2 shown]
	v_add_nc_u32_e32 v0, 0x80, v0
	s_wait_loadcnt 0x2
	v_cmp_eq_u16_e32 vcc_lo, 0, v1
	s_wait_loadcnt 0x0
	v_cndmask_b32_e32 v1, v2, v3, vcc_lo
	global_store_b8 v4, v1, s[0:1]
	s_wait_xcnt 0x0
	s_or_b32 exec_lo, exec_lo, s17
	s_delay_alu instid0(SALU_CYCLE_1)
	s_mov_b32 s17, exec_lo
	v_cmpx_gt_i32_e64 s39, v0
	s_cbranch_execz .LBB7_105
.LBB7_93:
	s_and_not1_b32 vcc_lo, exec_lo, s35
	s_cbranch_vccnz .LBB7_99
; %bb.94:
	s_and_not1_b32 vcc_lo, exec_lo, s40
	s_cbranch_vccnz .LBB7_100
; %bb.95:
	v_dual_mov_b32 v5, 0 :: v_dual_mov_b32 v1, v0
	v_dual_mov_b32 v7, 0 :: v_dual_mov_b32 v4, 0
	v_mov_b32_e32 v6, 0
	s_add_co_i32 s22, s38, 1
	s_mov_b64 s[28:29], 0xffffffffffffffe0
	s_and_b32 s22, s22, 30
	s_add_nc_u64 s[28:29], s[20:21], s[28:29]
	s_mov_b64 s[30:31], s[20:21]
.LBB7_96:                               ; =>This Inner Loop Header: Depth=1
	s_clause 0x1
	s_load_b128 s[48:51], s[30:31], 0x4
	s_load_b64 s[52:53], s[30:31], 0x14
	s_load_b256 s[40:47], s[28:29], 0xe4
	s_add_co_i32 s22, s22, -2
	s_wait_xcnt 0x0
	s_add_nc_u64 s[30:31], s[30:31], 24
	s_cmp_eq_u32 s22, 0
	s_add_nc_u64 s[28:29], s[28:29], 32
	s_wait_kmcnt 0x0
	v_mul_hi_u32 v2, s49, v1
	s_delay_alu instid0(VALU_DEP_1) | instskip(NEXT) | instid1(VALU_DEP_1)
	v_add_nc_u32_e32 v2, v1, v2
	v_lshrrev_b32_e32 v2, s50, v2
	s_delay_alu instid0(VALU_DEP_1) | instskip(SKIP_1) | instid1(VALU_DEP_1)
	v_mul_hi_u32 v3, s52, v2
	v_mul_lo_u32 v8, v2, s48
	v_dual_add_nc_u32 v3, v2, v3 :: v_dual_sub_nc_u32 v8, v1, v8
	s_delay_alu instid0(VALU_DEP_1) | instskip(NEXT) | instid1(VALU_DEP_2)
	v_lshrrev_b32_e32 v1, s53, v3
	v_mad_u32 v6, v8, s41, v6
	v_mad_u32 v4, v8, s40, v4
	;; [unrolled: 1-line block ×4, first 2 shown]
	v_mul_lo_u32 v3, v1, s51
	s_delay_alu instid0(VALU_DEP_1) | instskip(NEXT) | instid1(VALU_DEP_1)
	v_sub_nc_u32_e32 v2, v2, v3
	v_mad_u32 v6, v2, s45, v6
	v_mad_u32 v4, v2, s44, v4
	;; [unrolled: 1-line block ×4, first 2 shown]
	s_cbranch_scc0 .LBB7_96
; %bb.97:
	s_bitcmp1_b32 s38, 0
	s_cselect_b32 s22, -1, 0
	s_delay_alu instid0(SALU_CYCLE_1)
	s_and_b32 vcc_lo, exec_lo, s22
	s_cbranch_vccnz .LBB7_101
; %bb.98:
	s_load_b96 s[44:46], s[30:31], 0x4
	s_load_b128 s[40:43], s[28:29], 0xe4
	s_wait_kmcnt 0x0
	v_mul_hi_u32 v2, s45, v1
	s_delay_alu instid0(VALU_DEP_1) | instskip(NEXT) | instid1(VALU_DEP_1)
	v_add_nc_u32_e32 v2, v1, v2
	v_lshrrev_b32_e32 v2, s46, v2
	s_delay_alu instid0(VALU_DEP_1) | instskip(NEXT) | instid1(VALU_DEP_1)
	v_mul_lo_u32 v2, v2, s44
	v_sub_nc_u32_e32 v1, v1, v2
	s_delay_alu instid0(VALU_DEP_1)
	v_mad_u32 v4, v1, s40, v4
	v_mad_u32 v6, v1, s41, v6
	;; [unrolled: 1-line block ×4, first 2 shown]
	s_branch .LBB7_101
.LBB7_99:
                                        ; implicit-def: $vgpr6
                                        ; implicit-def: $vgpr4
                                        ; implicit-def: $vgpr7
                                        ; implicit-def: $vgpr5
	s_branch .LBB7_102
.LBB7_100:
	v_dual_mov_b32 v6, 0 :: v_dual_mov_b32 v4, 0
	v_dual_mov_b32 v7, 0 :: v_dual_mov_b32 v5, 0
.LBB7_101:
	s_cbranch_execnz .LBB7_104
.LBB7_102:
	v_mov_b32_e32 v1, 0
	s_and_not1_b32 vcc_lo, exec_lo, s37
	s_delay_alu instid0(VALU_DEP_1) | instskip(NEXT) | instid1(VALU_DEP_1)
	v_mul_u64_e32 v[2:3], s[24:25], v[0:1]
	v_add_nc_u32_e32 v2, v0, v3
	s_delay_alu instid0(VALU_DEP_1) | instskip(NEXT) | instid1(VALU_DEP_1)
	v_lshrrev_b32_e32 v2, s18, v2
	v_mul_lo_u32 v3, v2, s16
	s_delay_alu instid0(VALU_DEP_1) | instskip(NEXT) | instid1(VALU_DEP_1)
	v_sub_nc_u32_e32 v0, v0, v3
	v_mul_lo_u32 v6, v0, s9
	v_mul_lo_u32 v4, v0, s8
	v_mul_lo_u32 v7, v0, s11
	v_mul_lo_u32 v5, v0, s10
	s_cbranch_vccnz .LBB7_104
; %bb.103:
	v_mov_b32_e32 v3, v1
	s_delay_alu instid0(VALU_DEP_1) | instskip(NEXT) | instid1(VALU_DEP_1)
	v_mul_u64_e32 v[0:1], s[26:27], v[2:3]
	v_add_nc_u32_e32 v0, v2, v1
	s_delay_alu instid0(VALU_DEP_1) | instskip(NEXT) | instid1(VALU_DEP_1)
	v_lshrrev_b32_e32 v0, s23, v0
	v_mul_lo_u32 v0, v0, s19
	s_delay_alu instid0(VALU_DEP_1) | instskip(NEXT) | instid1(VALU_DEP_1)
	v_sub_nc_u32_e32 v0, v2, v0
	v_mad_u32 v4, v0, s12, v4
	v_mad_u32 v6, v0, s13, v6
	;; [unrolled: 1-line block ×4, first 2 shown]
.LBB7_104:
	global_load_u8 v0, v6, s[2:3]
	global_load_u8 v1, v5, s[4:5]
	;; [unrolled: 1-line block ×3, first 2 shown]
	s_wait_loadcnt 0x2
	v_cmp_eq_u16_e32 vcc_lo, 0, v0
	s_wait_loadcnt 0x0
	v_cndmask_b32_e32 v0, v1, v2, vcc_lo
	global_store_b8 v4, v0, s[0:1]
.LBB7_105:
	s_wait_xcnt 0x0
	s_or_b32 exec_lo, exec_lo, s17
                                        ; implicit-def: $vgpr5
                                        ; implicit-def: $vgpr0
.LBB7_106:
	s_and_not1_saveexec_b32 s0, s36
	s_cbranch_execz .LBB7_113
; %bb.107:
	v_cndmask_b32_e64 v7, 0, 1, s35
	s_and_not1_b32 vcc_lo, exec_lo, s35
	s_cbranch_vccnz .LBB7_114
; %bb.108:
	s_cmp_lg_u32 s33, 0
	s_mov_b32 s4, 0
	s_cbranch_scc0 .LBB7_118
; %bb.109:
	s_min_u32 s5, s34, 15
	v_dual_mov_b32 v4, 0 :: v_dual_mov_b32 v6, v0
	v_dual_mov_b32 v3, 0 :: v_dual_mov_b32 v1, 0
	v_mov_b32_e32 v2, 0
	s_add_co_i32 s2, s5, 1
	s_mov_b64 s[0:1], 0xffffffffffffffe0
	s_and_b32 s6, s2, 30
	s_add_nc_u64 s[0:1], s[20:21], s[0:1]
	s_mov_b64 s[2:3], s[20:21]
.LBB7_110:                              ; =>This Inner Loop Header: Depth=1
	s_clause 0x1
	s_load_b128 s[16:19], s[2:3], 0x4
	s_load_b64 s[22:23], s[2:3], 0x14
	s_load_b256 s[8:15], s[0:1], 0xe4
	s_add_co_i32 s6, s6, -2
	s_wait_xcnt 0x0
	s_add_nc_u64 s[2:3], s[2:3], 24
	s_cmp_lg_u32 s6, 0
	s_add_nc_u64 s[0:1], s[0:1], 32
	s_wait_kmcnt 0x0
	v_mul_hi_u32 v8, s17, v6
	s_delay_alu instid0(VALU_DEP_1) | instskip(NEXT) | instid1(VALU_DEP_1)
	v_add_nc_u32_e32 v8, v6, v8
	v_lshrrev_b32_e32 v8, s18, v8
	s_delay_alu instid0(VALU_DEP_1) | instskip(SKIP_1) | instid1(VALU_DEP_1)
	v_mul_hi_u32 v9, s22, v8
	v_mul_lo_u32 v10, v8, s16
	v_dual_add_nc_u32 v9, v8, v9 :: v_dual_sub_nc_u32 v10, v6, v10
	s_delay_alu instid0(VALU_DEP_1) | instskip(NEXT) | instid1(VALU_DEP_2)
	v_lshrrev_b32_e32 v6, s23, v9
	v_mad_u32 v2, v10, s9, v2
	v_mad_u32 v1, v10, s8, v1
	;; [unrolled: 1-line block ×4, first 2 shown]
	v_mul_lo_u32 v9, v6, s19
	s_delay_alu instid0(VALU_DEP_1) | instskip(NEXT) | instid1(VALU_DEP_1)
	v_sub_nc_u32_e32 v8, v8, v9
	v_mad_u32 v2, v8, s13, v2
	v_mad_u32 v1, v8, s12, v1
	;; [unrolled: 1-line block ×4, first 2 shown]
	s_cbranch_scc1 .LBB7_110
; %bb.111:
	s_bitcmp1_b32 s5, 0
	s_cselect_b32 s5, -1, 0
	s_delay_alu instid0(SALU_CYCLE_1)
	s_and_b32 vcc_lo, exec_lo, s5
	s_cbranch_vccnz .LBB7_115
; %bb.112:
	s_load_b96 s[12:14], s[2:3], 0x4
	s_load_b128 s[8:11], s[0:1], 0xe4
	s_wait_kmcnt 0x0
	v_mul_hi_u32 v8, s13, v6
	s_delay_alu instid0(VALU_DEP_1) | instskip(NEXT) | instid1(VALU_DEP_1)
	v_add_nc_u32_e32 v8, v6, v8
	v_lshrrev_b32_e32 v8, s14, v8
	s_delay_alu instid0(VALU_DEP_1) | instskip(NEXT) | instid1(VALU_DEP_1)
	v_mul_lo_u32 v8, v8, s12
	v_sub_nc_u32_e32 v6, v6, v8
	s_delay_alu instid0(VALU_DEP_1)
	v_mad_u32 v1, v6, s8, v1
	v_mad_u32 v2, v6, s9, v2
	;; [unrolled: 1-line block ×4, first 2 shown]
	s_and_not1_b32 vcc_lo, exec_lo, s4
	s_cbranch_vccz .LBB7_116
	s_branch .LBB7_119
.LBB7_113:
	s_endpgm
.LBB7_114:
	s_mov_b32 s4, -1
                                        ; implicit-def: $vgpr2
                                        ; implicit-def: $vgpr1
                                        ; implicit-def: $vgpr3
                                        ; implicit-def: $vgpr4
.LBB7_115:
	s_delay_alu instid0(SALU_CYCLE_1)
	s_and_not1_b32 vcc_lo, exec_lo, s4
	s_cbranch_vccnz .LBB7_119
.LBB7_116:
	s_clause 0x1
	s_load_b96 s[4:6], s[20:21], 0x4
	s_load_b128 s[0:3], s[20:21], 0xc4
	s_cmp_lt_u32 s33, 2
	s_wait_kmcnt 0x0
	v_mul_hi_u32 v1, s5, v0
	s_delay_alu instid0(VALU_DEP_1) | instskip(NEXT) | instid1(VALU_DEP_1)
	v_add_nc_u32_e32 v1, v0, v1
	v_lshrrev_b32_e32 v6, s6, v1
	s_delay_alu instid0(VALU_DEP_1) | instskip(NEXT) | instid1(VALU_DEP_1)
	v_mul_lo_u32 v1, v6, s4
	v_sub_nc_u32_e32 v4, v0, v1
	s_delay_alu instid0(VALU_DEP_1)
	v_mul_lo_u32 v2, v4, s1
	v_mul_lo_u32 v1, v4, s0
	;; [unrolled: 1-line block ×4, first 2 shown]
	s_cbranch_scc1 .LBB7_119
; %bb.117:
	s_clause 0x1
	s_load_b96 s[4:6], s[20:21], 0x10
	s_load_b128 s[0:3], s[20:21], 0xd4
	s_wait_kmcnt 0x0
	v_mul_hi_u32 v8, s5, v6
	s_delay_alu instid0(VALU_DEP_1) | instskip(NEXT) | instid1(VALU_DEP_1)
	v_add_nc_u32_e32 v8, v6, v8
	v_lshrrev_b32_e32 v8, s6, v8
	s_delay_alu instid0(VALU_DEP_1) | instskip(NEXT) | instid1(VALU_DEP_1)
	v_mul_lo_u32 v8, v8, s4
	v_sub_nc_u32_e32 v6, v6, v8
	s_delay_alu instid0(VALU_DEP_1)
	v_mad_u32 v1, v6, s0, v1
	v_mad_u32 v2, v6, s1, v2
	;; [unrolled: 1-line block ×4, first 2 shown]
	s_branch .LBB7_119
.LBB7_118:
	v_dual_mov_b32 v2, 0 :: v_dual_mov_b32 v1, 0
	v_dual_mov_b32 v3, 0 :: v_dual_mov_b32 v4, 0
	s_and_not1_b32 vcc_lo, exec_lo, s4
	s_cbranch_vccz .LBB7_116
.LBB7_119:
	v_cmp_ne_u32_e32 vcc_lo, 1, v7
	v_add_nc_u32_e32 v11, 0x80, v0
	s_cbranch_vccnz .LBB7_125
; %bb.120:
	s_cmp_lg_u32 s33, 0
	s_mov_b32 s4, 0
	s_cbranch_scc0 .LBB7_129
; %bb.121:
	s_min_u32 s5, s34, 15
	v_dual_mov_b32 v9, 0 :: v_dual_mov_b32 v12, v11
	v_dual_mov_b32 v10, 0 :: v_dual_mov_b32 v6, 0
	v_mov_b32_e32 v8, 0
	s_add_co_i32 s2, s5, 1
	s_mov_b64 s[0:1], 0xffffffffffffffe0
	s_and_b32 s6, s2, 30
	s_add_nc_u64 s[0:1], s[20:21], s[0:1]
	s_mov_b64 s[2:3], s[20:21]
.LBB7_122:                              ; =>This Inner Loop Header: Depth=1
	s_clause 0x1
	s_load_b128 s[16:19], s[2:3], 0x4
	s_load_b64 s[22:23], s[2:3], 0x14
	s_load_b256 s[8:15], s[0:1], 0xe4
	s_add_co_i32 s6, s6, -2
	s_wait_xcnt 0x0
	s_add_nc_u64 s[2:3], s[2:3], 24
	s_cmp_lg_u32 s6, 0
	s_add_nc_u64 s[0:1], s[0:1], 32
	s_wait_kmcnt 0x0
	v_mul_hi_u32 v13, s17, v12
	s_delay_alu instid0(VALU_DEP_1) | instskip(NEXT) | instid1(VALU_DEP_1)
	v_add_nc_u32_e32 v13, v12, v13
	v_lshrrev_b32_e32 v13, s18, v13
	s_delay_alu instid0(VALU_DEP_1) | instskip(SKIP_1) | instid1(VALU_DEP_1)
	v_mul_hi_u32 v14, s22, v13
	v_mul_lo_u32 v15, v13, s16
	v_dual_add_nc_u32 v14, v13, v14 :: v_dual_sub_nc_u32 v15, v12, v15
	s_delay_alu instid0(VALU_DEP_1) | instskip(NEXT) | instid1(VALU_DEP_2)
	v_lshrrev_b32_e32 v12, s23, v14
	v_mad_u32 v8, v15, s9, v8
	v_mad_u32 v6, v15, s8, v6
	;; [unrolled: 1-line block ×4, first 2 shown]
	v_mul_lo_u32 v14, v12, s19
	s_delay_alu instid0(VALU_DEP_1) | instskip(NEXT) | instid1(VALU_DEP_1)
	v_sub_nc_u32_e32 v13, v13, v14
	v_mad_u32 v8, v13, s13, v8
	v_mad_u32 v6, v13, s12, v6
	;; [unrolled: 1-line block ×4, first 2 shown]
	s_cbranch_scc1 .LBB7_122
; %bb.123:
	s_bitcmp1_b32 s5, 0
	s_cselect_b32 s5, -1, 0
	s_delay_alu instid0(SALU_CYCLE_1)
	s_and_b32 vcc_lo, exec_lo, s5
	s_cbranch_vccnz .LBB7_126
; %bb.124:
	s_load_b96 s[12:14], s[2:3], 0x4
	s_load_b128 s[8:11], s[0:1], 0xe4
	s_wait_kmcnt 0x0
	v_mul_hi_u32 v13, s13, v12
	s_delay_alu instid0(VALU_DEP_1) | instskip(NEXT) | instid1(VALU_DEP_1)
	v_add_nc_u32_e32 v13, v12, v13
	v_lshrrev_b32_e32 v13, s14, v13
	s_delay_alu instid0(VALU_DEP_1) | instskip(NEXT) | instid1(VALU_DEP_1)
	v_mul_lo_u32 v13, v13, s12
	v_sub_nc_u32_e32 v12, v12, v13
	s_delay_alu instid0(VALU_DEP_1)
	v_mad_u32 v6, v12, s8, v6
	v_mad_u32 v8, v12, s9, v8
	;; [unrolled: 1-line block ×4, first 2 shown]
	s_and_not1_b32 vcc_lo, exec_lo, s4
	s_cbranch_vccz .LBB7_127
	s_branch .LBB7_130
.LBB7_125:
	s_mov_b32 s4, -1
                                        ; implicit-def: $vgpr8
                                        ; implicit-def: $vgpr6
                                        ; implicit-def: $vgpr10
                                        ; implicit-def: $vgpr9
.LBB7_126:
	s_delay_alu instid0(SALU_CYCLE_1)
	s_and_not1_b32 vcc_lo, exec_lo, s4
	s_cbranch_vccnz .LBB7_130
.LBB7_127:
	s_clause 0x1
	s_load_b96 s[4:6], s[20:21], 0x4
	s_load_b128 s[0:3], s[20:21], 0xc4
	s_cmp_lt_u32 s33, 2
	s_wait_kmcnt 0x0
	v_mul_hi_u32 v6, s5, v11
	s_delay_alu instid0(VALU_DEP_1) | instskip(NEXT) | instid1(VALU_DEP_1)
	v_add_nc_u32_e32 v6, v11, v6
	v_lshrrev_b32_e32 v12, s6, v6
	s_delay_alu instid0(VALU_DEP_1) | instskip(NEXT) | instid1(VALU_DEP_1)
	v_mul_lo_u32 v6, v12, s4
	v_sub_nc_u32_e32 v9, v11, v6
	s_delay_alu instid0(VALU_DEP_1)
	v_mul_lo_u32 v8, v9, s1
	v_mul_lo_u32 v6, v9, s0
	;; [unrolled: 1-line block ×4, first 2 shown]
	s_cbranch_scc1 .LBB7_130
; %bb.128:
	s_clause 0x1
	s_load_b96 s[4:6], s[20:21], 0x10
	s_load_b128 s[0:3], s[20:21], 0xd4
	s_wait_kmcnt 0x0
	v_mul_hi_u32 v11, s5, v12
	s_delay_alu instid0(VALU_DEP_1) | instskip(NEXT) | instid1(VALU_DEP_1)
	v_add_nc_u32_e32 v11, v12, v11
	v_lshrrev_b32_e32 v11, s6, v11
	s_delay_alu instid0(VALU_DEP_1) | instskip(NEXT) | instid1(VALU_DEP_1)
	v_mul_lo_u32 v11, v11, s4
	v_sub_nc_u32_e32 v11, v12, v11
	s_delay_alu instid0(VALU_DEP_1)
	v_mad_u32 v6, v11, s0, v6
	v_mad_u32 v8, v11, s1, v8
	;; [unrolled: 1-line block ×4, first 2 shown]
	s_branch .LBB7_130
.LBB7_129:
	v_dual_mov_b32 v8, 0 :: v_dual_mov_b32 v6, 0
	v_dual_mov_b32 v10, 0 :: v_dual_mov_b32 v9, 0
	s_and_not1_b32 vcc_lo, exec_lo, s4
	s_cbranch_vccz .LBB7_127
.LBB7_130:
	v_cmp_ne_u32_e32 vcc_lo, 1, v7
	v_add_nc_u32_e32 v15, 0x100, v0
	s_cbranch_vccnz .LBB7_136
; %bb.131:
	s_cmp_lg_u32 s33, 0
	s_mov_b32 s4, 0
	s_cbranch_scc0 .LBB7_140
; %bb.132:
	s_min_u32 s5, s34, 15
	v_dual_mov_b32 v12, 0 :: v_dual_mov_b32 v16, v15
	v_dual_mov_b32 v14, 0 :: v_dual_mov_b32 v11, 0
	v_mov_b32_e32 v13, 0
	s_add_co_i32 s2, s5, 1
	s_mov_b64 s[0:1], 0xffffffffffffffe0
	s_and_b32 s6, s2, 30
	s_add_nc_u64 s[0:1], s[20:21], s[0:1]
	s_mov_b64 s[2:3], s[20:21]
.LBB7_133:                              ; =>This Inner Loop Header: Depth=1
	s_clause 0x1
	s_load_b128 s[16:19], s[2:3], 0x4
	s_load_b64 s[22:23], s[2:3], 0x14
	s_load_b256 s[8:15], s[0:1], 0xe4
	s_add_co_i32 s6, s6, -2
	s_wait_xcnt 0x0
	s_add_nc_u64 s[2:3], s[2:3], 24
	s_cmp_lg_u32 s6, 0
	s_add_nc_u64 s[0:1], s[0:1], 32
	s_wait_kmcnt 0x0
	v_mul_hi_u32 v17, s17, v16
	s_delay_alu instid0(VALU_DEP_1) | instskip(NEXT) | instid1(VALU_DEP_1)
	v_add_nc_u32_e32 v17, v16, v17
	v_lshrrev_b32_e32 v17, s18, v17
	s_delay_alu instid0(VALU_DEP_1) | instskip(SKIP_1) | instid1(VALU_DEP_1)
	v_mul_hi_u32 v18, s22, v17
	v_mul_lo_u32 v19, v17, s16
	v_dual_add_nc_u32 v18, v17, v18 :: v_dual_sub_nc_u32 v19, v16, v19
	s_delay_alu instid0(VALU_DEP_1) | instskip(NEXT) | instid1(VALU_DEP_2)
	v_lshrrev_b32_e32 v16, s23, v18
	v_mad_u32 v13, v19, s9, v13
	v_mad_u32 v11, v19, s8, v11
	;; [unrolled: 1-line block ×4, first 2 shown]
	v_mul_lo_u32 v18, v16, s19
	s_delay_alu instid0(VALU_DEP_1) | instskip(NEXT) | instid1(VALU_DEP_1)
	v_sub_nc_u32_e32 v17, v17, v18
	v_mad_u32 v13, v17, s13, v13
	v_mad_u32 v11, v17, s12, v11
	;; [unrolled: 1-line block ×4, first 2 shown]
	s_cbranch_scc1 .LBB7_133
; %bb.134:
	s_bitcmp1_b32 s5, 0
	s_cselect_b32 s5, -1, 0
	s_delay_alu instid0(SALU_CYCLE_1)
	s_and_b32 vcc_lo, exec_lo, s5
	s_cbranch_vccnz .LBB7_137
; %bb.135:
	s_load_b96 s[12:14], s[2:3], 0x4
	s_load_b128 s[8:11], s[0:1], 0xe4
	s_wait_kmcnt 0x0
	v_mul_hi_u32 v17, s13, v16
	s_delay_alu instid0(VALU_DEP_1) | instskip(NEXT) | instid1(VALU_DEP_1)
	v_add_nc_u32_e32 v17, v16, v17
	v_lshrrev_b32_e32 v17, s14, v17
	s_delay_alu instid0(VALU_DEP_1) | instskip(NEXT) | instid1(VALU_DEP_1)
	v_mul_lo_u32 v17, v17, s12
	v_sub_nc_u32_e32 v16, v16, v17
	s_delay_alu instid0(VALU_DEP_1)
	v_mad_u32 v11, v16, s8, v11
	v_mad_u32 v13, v16, s9, v13
	;; [unrolled: 1-line block ×4, first 2 shown]
	s_and_not1_b32 vcc_lo, exec_lo, s4
	s_cbranch_vccz .LBB7_138
	s_branch .LBB7_141
.LBB7_136:
	s_mov_b32 s4, -1
                                        ; implicit-def: $vgpr13
                                        ; implicit-def: $vgpr11
                                        ; implicit-def: $vgpr14
                                        ; implicit-def: $vgpr12
.LBB7_137:
	s_delay_alu instid0(SALU_CYCLE_1)
	s_and_not1_b32 vcc_lo, exec_lo, s4
	s_cbranch_vccnz .LBB7_141
.LBB7_138:
	s_clause 0x1
	s_load_b96 s[4:6], s[20:21], 0x4
	s_load_b128 s[0:3], s[20:21], 0xc4
	s_cmp_lt_u32 s33, 2
	s_wait_kmcnt 0x0
	v_mul_hi_u32 v11, s5, v15
	s_delay_alu instid0(VALU_DEP_1) | instskip(NEXT) | instid1(VALU_DEP_1)
	v_add_nc_u32_e32 v11, v15, v11
	v_lshrrev_b32_e32 v16, s6, v11
	s_delay_alu instid0(VALU_DEP_1) | instskip(NEXT) | instid1(VALU_DEP_1)
	v_mul_lo_u32 v11, v16, s4
	v_sub_nc_u32_e32 v12, v15, v11
	s_delay_alu instid0(VALU_DEP_1)
	v_mul_lo_u32 v13, v12, s1
	v_mul_lo_u32 v11, v12, s0
	;; [unrolled: 1-line block ×4, first 2 shown]
	s_cbranch_scc1 .LBB7_141
; %bb.139:
	s_clause 0x1
	s_load_b96 s[4:6], s[20:21], 0x10
	s_load_b128 s[0:3], s[20:21], 0xd4
	s_wait_kmcnt 0x0
	v_mul_hi_u32 v15, s5, v16
	s_delay_alu instid0(VALU_DEP_1) | instskip(NEXT) | instid1(VALU_DEP_1)
	v_add_nc_u32_e32 v15, v16, v15
	v_lshrrev_b32_e32 v15, s6, v15
	s_delay_alu instid0(VALU_DEP_1) | instskip(NEXT) | instid1(VALU_DEP_1)
	v_mul_lo_u32 v15, v15, s4
	v_sub_nc_u32_e32 v15, v16, v15
	s_delay_alu instid0(VALU_DEP_1)
	v_mad_u32 v11, v15, s0, v11
	v_mad_u32 v13, v15, s1, v13
	;; [unrolled: 1-line block ×4, first 2 shown]
	s_branch .LBB7_141
.LBB7_140:
	v_dual_mov_b32 v13, 0 :: v_dual_mov_b32 v11, 0
	v_dual_mov_b32 v14, 0 :: v_dual_mov_b32 v12, 0
	s_and_not1_b32 vcc_lo, exec_lo, s4
	s_cbranch_vccz .LBB7_138
.LBB7_141:
	v_cmp_ne_u32_e32 vcc_lo, 1, v7
	v_add_nc_u32_e32 v19, 0x180, v0
	s_cbranch_vccnz .LBB7_147
; %bb.142:
	s_cmp_lg_u32 s33, 0
	s_mov_b32 s4, 0
	s_cbranch_scc0 .LBB7_151
; %bb.143:
	s_min_u32 s5, s34, 15
	v_dual_mov_b32 v18, 0 :: v_dual_mov_b32 v20, v19
	v_dual_mov_b32 v17, 0 :: v_dual_mov_b32 v15, 0
	v_mov_b32_e32 v16, 0
	s_add_co_i32 s2, s5, 1
	s_mov_b64 s[0:1], 0xffffffffffffffe0
	s_and_b32 s6, s2, 30
	s_add_nc_u64 s[0:1], s[20:21], s[0:1]
	s_mov_b64 s[2:3], s[20:21]
.LBB7_144:                              ; =>This Inner Loop Header: Depth=1
	s_clause 0x1
	s_load_b128 s[16:19], s[2:3], 0x4
	s_load_b64 s[22:23], s[2:3], 0x14
	s_load_b256 s[8:15], s[0:1], 0xe4
	s_add_co_i32 s6, s6, -2
	s_wait_xcnt 0x0
	s_add_nc_u64 s[2:3], s[2:3], 24
	s_cmp_lg_u32 s6, 0
	s_add_nc_u64 s[0:1], s[0:1], 32
	s_wait_kmcnt 0x0
	v_mul_hi_u32 v21, s17, v20
	s_delay_alu instid0(VALU_DEP_1) | instskip(NEXT) | instid1(VALU_DEP_1)
	v_add_nc_u32_e32 v21, v20, v21
	v_lshrrev_b32_e32 v21, s18, v21
	s_delay_alu instid0(VALU_DEP_1) | instskip(SKIP_1) | instid1(VALU_DEP_1)
	v_mul_hi_u32 v22, s22, v21
	v_mul_lo_u32 v23, v21, s16
	v_dual_add_nc_u32 v22, v21, v22 :: v_dual_sub_nc_u32 v23, v20, v23
	s_delay_alu instid0(VALU_DEP_1) | instskip(NEXT) | instid1(VALU_DEP_2)
	v_lshrrev_b32_e32 v20, s23, v22
	v_mad_u32 v16, v23, s9, v16
	v_mad_u32 v15, v23, s8, v15
	;; [unrolled: 1-line block ×4, first 2 shown]
	v_mul_lo_u32 v22, v20, s19
	s_delay_alu instid0(VALU_DEP_1) | instskip(NEXT) | instid1(VALU_DEP_1)
	v_sub_nc_u32_e32 v21, v21, v22
	v_mad_u32 v16, v21, s13, v16
	v_mad_u32 v15, v21, s12, v15
	;; [unrolled: 1-line block ×4, first 2 shown]
	s_cbranch_scc1 .LBB7_144
; %bb.145:
	s_bitcmp1_b32 s5, 0
	s_cselect_b32 s5, -1, 0
	s_delay_alu instid0(SALU_CYCLE_1)
	s_and_b32 vcc_lo, exec_lo, s5
	s_cbranch_vccnz .LBB7_148
; %bb.146:
	s_load_b96 s[12:14], s[2:3], 0x4
	s_load_b128 s[8:11], s[0:1], 0xe4
	s_wait_kmcnt 0x0
	v_mul_hi_u32 v21, s13, v20
	s_delay_alu instid0(VALU_DEP_1) | instskip(NEXT) | instid1(VALU_DEP_1)
	v_add_nc_u32_e32 v21, v20, v21
	v_lshrrev_b32_e32 v21, s14, v21
	s_delay_alu instid0(VALU_DEP_1) | instskip(NEXT) | instid1(VALU_DEP_1)
	v_mul_lo_u32 v21, v21, s12
	v_sub_nc_u32_e32 v20, v20, v21
	s_delay_alu instid0(VALU_DEP_1)
	v_mad_u32 v15, v20, s8, v15
	v_mad_u32 v16, v20, s9, v16
	;; [unrolled: 1-line block ×4, first 2 shown]
	s_and_not1_b32 vcc_lo, exec_lo, s4
	s_cbranch_vccz .LBB7_149
	s_branch .LBB7_152
.LBB7_147:
	s_mov_b32 s4, -1
                                        ; implicit-def: $vgpr16
                                        ; implicit-def: $vgpr15
                                        ; implicit-def: $vgpr17
                                        ; implicit-def: $vgpr18
.LBB7_148:
	s_delay_alu instid0(SALU_CYCLE_1)
	s_and_not1_b32 vcc_lo, exec_lo, s4
	s_cbranch_vccnz .LBB7_152
.LBB7_149:
	s_clause 0x1
	s_load_b96 s[4:6], s[20:21], 0x4
	s_load_b128 s[0:3], s[20:21], 0xc4
	s_cmp_lt_u32 s33, 2
	s_wait_kmcnt 0x0
	v_mul_hi_u32 v15, s5, v19
	s_delay_alu instid0(VALU_DEP_1) | instskip(NEXT) | instid1(VALU_DEP_1)
	v_add_nc_u32_e32 v15, v19, v15
	v_lshrrev_b32_e32 v20, s6, v15
	s_delay_alu instid0(VALU_DEP_1) | instskip(NEXT) | instid1(VALU_DEP_1)
	v_mul_lo_u32 v15, v20, s4
	v_sub_nc_u32_e32 v18, v19, v15
	s_delay_alu instid0(VALU_DEP_1)
	v_mul_lo_u32 v16, v18, s1
	v_mul_lo_u32 v15, v18, s0
	;; [unrolled: 1-line block ×4, first 2 shown]
	s_cbranch_scc1 .LBB7_152
; %bb.150:
	s_clause 0x1
	s_load_b96 s[4:6], s[20:21], 0x10
	s_load_b128 s[0:3], s[20:21], 0xd4
	s_wait_kmcnt 0x0
	v_mul_hi_u32 v19, s5, v20
	s_delay_alu instid0(VALU_DEP_1) | instskip(NEXT) | instid1(VALU_DEP_1)
	v_add_nc_u32_e32 v19, v20, v19
	v_lshrrev_b32_e32 v19, s6, v19
	s_delay_alu instid0(VALU_DEP_1) | instskip(NEXT) | instid1(VALU_DEP_1)
	v_mul_lo_u32 v19, v19, s4
	v_sub_nc_u32_e32 v19, v20, v19
	s_delay_alu instid0(VALU_DEP_1)
	v_mad_u32 v15, v19, s0, v15
	v_mad_u32 v16, v19, s1, v16
	;; [unrolled: 1-line block ×4, first 2 shown]
	s_branch .LBB7_152
.LBB7_151:
	v_dual_mov_b32 v16, 0 :: v_dual_mov_b32 v15, 0
	v_dual_mov_b32 v17, 0 :: v_dual_mov_b32 v18, 0
	s_and_not1_b32 vcc_lo, exec_lo, s4
	s_cbranch_vccz .LBB7_149
.LBB7_152:
	v_cmp_ne_u32_e32 vcc_lo, 1, v7
	v_add_nc_u32_e32 v23, 0x200, v0
	s_cbranch_vccnz .LBB7_158
; %bb.153:
	s_cmp_lg_u32 s33, 0
	s_mov_b32 s4, 0
	s_cbranch_scc0 .LBB7_162
; %bb.154:
	s_min_u32 s5, s34, 15
	v_dual_mov_b32 v22, 0 :: v_dual_mov_b32 v24, v23
	v_dual_mov_b32 v21, 0 :: v_dual_mov_b32 v19, 0
	v_mov_b32_e32 v20, 0
	s_add_co_i32 s2, s5, 1
	s_mov_b64 s[0:1], 0xffffffffffffffe0
	s_and_b32 s6, s2, 30
	s_add_nc_u64 s[0:1], s[20:21], s[0:1]
	s_mov_b64 s[2:3], s[20:21]
.LBB7_155:                              ; =>This Inner Loop Header: Depth=1
	s_clause 0x1
	s_load_b128 s[16:19], s[2:3], 0x4
	s_load_b64 s[22:23], s[2:3], 0x14
	s_load_b256 s[8:15], s[0:1], 0xe4
	s_add_co_i32 s6, s6, -2
	s_wait_xcnt 0x0
	s_add_nc_u64 s[2:3], s[2:3], 24
	s_cmp_lg_u32 s6, 0
	s_add_nc_u64 s[0:1], s[0:1], 32
	s_wait_kmcnt 0x0
	v_mul_hi_u32 v25, s17, v24
	s_delay_alu instid0(VALU_DEP_1) | instskip(NEXT) | instid1(VALU_DEP_1)
	v_add_nc_u32_e32 v25, v24, v25
	v_lshrrev_b32_e32 v25, s18, v25
	s_delay_alu instid0(VALU_DEP_1) | instskip(SKIP_1) | instid1(VALU_DEP_1)
	v_mul_hi_u32 v26, s22, v25
	v_mul_lo_u32 v27, v25, s16
	v_dual_add_nc_u32 v26, v25, v26 :: v_dual_sub_nc_u32 v27, v24, v27
	s_delay_alu instid0(VALU_DEP_1) | instskip(NEXT) | instid1(VALU_DEP_2)
	v_lshrrev_b32_e32 v24, s23, v26
	v_mad_u32 v20, v27, s9, v20
	v_mad_u32 v19, v27, s8, v19
	;; [unrolled: 1-line block ×4, first 2 shown]
	v_mul_lo_u32 v26, v24, s19
	s_delay_alu instid0(VALU_DEP_1) | instskip(NEXT) | instid1(VALU_DEP_1)
	v_sub_nc_u32_e32 v25, v25, v26
	v_mad_u32 v20, v25, s13, v20
	v_mad_u32 v19, v25, s12, v19
	;; [unrolled: 1-line block ×4, first 2 shown]
	s_cbranch_scc1 .LBB7_155
; %bb.156:
	s_bitcmp1_b32 s5, 0
	s_cselect_b32 s5, -1, 0
	s_delay_alu instid0(SALU_CYCLE_1)
	s_and_b32 vcc_lo, exec_lo, s5
	s_cbranch_vccnz .LBB7_159
; %bb.157:
	s_load_b96 s[12:14], s[2:3], 0x4
	s_load_b128 s[8:11], s[0:1], 0xe4
	s_wait_kmcnt 0x0
	v_mul_hi_u32 v25, s13, v24
	s_delay_alu instid0(VALU_DEP_1) | instskip(NEXT) | instid1(VALU_DEP_1)
	v_add_nc_u32_e32 v25, v24, v25
	v_lshrrev_b32_e32 v25, s14, v25
	s_delay_alu instid0(VALU_DEP_1) | instskip(NEXT) | instid1(VALU_DEP_1)
	v_mul_lo_u32 v25, v25, s12
	v_sub_nc_u32_e32 v24, v24, v25
	s_delay_alu instid0(VALU_DEP_1)
	v_mad_u32 v19, v24, s8, v19
	v_mad_u32 v20, v24, s9, v20
	;; [unrolled: 1-line block ×4, first 2 shown]
	s_and_not1_b32 vcc_lo, exec_lo, s4
	s_cbranch_vccz .LBB7_160
	s_branch .LBB7_163
.LBB7_158:
	s_mov_b32 s4, -1
                                        ; implicit-def: $vgpr20
                                        ; implicit-def: $vgpr19
                                        ; implicit-def: $vgpr21
                                        ; implicit-def: $vgpr22
.LBB7_159:
	s_delay_alu instid0(SALU_CYCLE_1)
	s_and_not1_b32 vcc_lo, exec_lo, s4
	s_cbranch_vccnz .LBB7_163
.LBB7_160:
	s_clause 0x1
	s_load_b96 s[4:6], s[20:21], 0x4
	s_load_b128 s[0:3], s[20:21], 0xc4
	s_cmp_lt_u32 s33, 2
	s_wait_kmcnt 0x0
	v_mul_hi_u32 v19, s5, v23
	s_delay_alu instid0(VALU_DEP_1) | instskip(NEXT) | instid1(VALU_DEP_1)
	v_add_nc_u32_e32 v19, v23, v19
	v_lshrrev_b32_e32 v24, s6, v19
	s_delay_alu instid0(VALU_DEP_1) | instskip(NEXT) | instid1(VALU_DEP_1)
	v_mul_lo_u32 v19, v24, s4
	v_sub_nc_u32_e32 v22, v23, v19
	s_delay_alu instid0(VALU_DEP_1)
	v_mul_lo_u32 v20, v22, s1
	v_mul_lo_u32 v19, v22, s0
	;; [unrolled: 1-line block ×4, first 2 shown]
	s_cbranch_scc1 .LBB7_163
; %bb.161:
	s_clause 0x1
	s_load_b96 s[4:6], s[20:21], 0x10
	s_load_b128 s[0:3], s[20:21], 0xd4
	s_wait_kmcnt 0x0
	v_mul_hi_u32 v23, s5, v24
	s_delay_alu instid0(VALU_DEP_1) | instskip(NEXT) | instid1(VALU_DEP_1)
	v_add_nc_u32_e32 v23, v24, v23
	v_lshrrev_b32_e32 v23, s6, v23
	s_delay_alu instid0(VALU_DEP_1) | instskip(NEXT) | instid1(VALU_DEP_1)
	v_mul_lo_u32 v23, v23, s4
	v_sub_nc_u32_e32 v23, v24, v23
	s_delay_alu instid0(VALU_DEP_1)
	v_mad_u32 v19, v23, s0, v19
	v_mad_u32 v20, v23, s1, v20
	;; [unrolled: 1-line block ×4, first 2 shown]
	s_branch .LBB7_163
.LBB7_162:
	v_dual_mov_b32 v20, 0 :: v_dual_mov_b32 v19, 0
	v_dual_mov_b32 v21, 0 :: v_dual_mov_b32 v22, 0
	s_and_not1_b32 vcc_lo, exec_lo, s4
	s_cbranch_vccz .LBB7_160
.LBB7_163:
	v_cmp_ne_u32_e32 vcc_lo, 1, v7
	v_add_nc_u32_e32 v27, 0x280, v0
	s_cbranch_vccnz .LBB7_169
; %bb.164:
	s_cmp_lg_u32 s33, 0
	s_mov_b32 s4, 0
	s_cbranch_scc0 .LBB7_173
; %bb.165:
	s_min_u32 s5, s34, 15
	v_dual_mov_b32 v25, 0 :: v_dual_mov_b32 v28, v27
	v_dual_mov_b32 v26, 0 :: v_dual_mov_b32 v23, 0
	v_mov_b32_e32 v24, 0
	s_add_co_i32 s2, s5, 1
	s_mov_b64 s[0:1], 0xffffffffffffffe0
	s_and_b32 s6, s2, 30
	s_add_nc_u64 s[0:1], s[20:21], s[0:1]
	s_mov_b64 s[2:3], s[20:21]
.LBB7_166:                              ; =>This Inner Loop Header: Depth=1
	s_clause 0x1
	s_load_b128 s[16:19], s[2:3], 0x4
	s_load_b64 s[22:23], s[2:3], 0x14
	s_load_b256 s[8:15], s[0:1], 0xe4
	s_add_co_i32 s6, s6, -2
	s_wait_xcnt 0x0
	s_add_nc_u64 s[2:3], s[2:3], 24
	s_cmp_lg_u32 s6, 0
	s_add_nc_u64 s[0:1], s[0:1], 32
	s_wait_kmcnt 0x0
	v_mul_hi_u32 v29, s17, v28
	s_delay_alu instid0(VALU_DEP_1) | instskip(NEXT) | instid1(VALU_DEP_1)
	v_add_nc_u32_e32 v29, v28, v29
	v_lshrrev_b32_e32 v29, s18, v29
	s_delay_alu instid0(VALU_DEP_1) | instskip(SKIP_1) | instid1(VALU_DEP_1)
	v_mul_hi_u32 v30, s22, v29
	v_mul_lo_u32 v31, v29, s16
	v_dual_add_nc_u32 v30, v29, v30 :: v_dual_sub_nc_u32 v31, v28, v31
	s_delay_alu instid0(VALU_DEP_1) | instskip(NEXT) | instid1(VALU_DEP_2)
	v_lshrrev_b32_e32 v28, s23, v30
	v_mad_u32 v24, v31, s9, v24
	v_mad_u32 v23, v31, s8, v23
	;; [unrolled: 1-line block ×4, first 2 shown]
	v_mul_lo_u32 v30, v28, s19
	s_delay_alu instid0(VALU_DEP_1) | instskip(NEXT) | instid1(VALU_DEP_1)
	v_sub_nc_u32_e32 v29, v29, v30
	v_mad_u32 v24, v29, s13, v24
	v_mad_u32 v23, v29, s12, v23
	;; [unrolled: 1-line block ×4, first 2 shown]
	s_cbranch_scc1 .LBB7_166
; %bb.167:
	s_bitcmp1_b32 s5, 0
	s_cselect_b32 s5, -1, 0
	s_delay_alu instid0(SALU_CYCLE_1)
	s_and_b32 vcc_lo, exec_lo, s5
	s_cbranch_vccnz .LBB7_170
; %bb.168:
	s_load_b96 s[12:14], s[2:3], 0x4
	s_load_b128 s[8:11], s[0:1], 0xe4
	s_wait_kmcnt 0x0
	v_mul_hi_u32 v29, s13, v28
	s_delay_alu instid0(VALU_DEP_1) | instskip(NEXT) | instid1(VALU_DEP_1)
	v_add_nc_u32_e32 v29, v28, v29
	v_lshrrev_b32_e32 v29, s14, v29
	s_delay_alu instid0(VALU_DEP_1) | instskip(NEXT) | instid1(VALU_DEP_1)
	v_mul_lo_u32 v29, v29, s12
	v_sub_nc_u32_e32 v28, v28, v29
	s_delay_alu instid0(VALU_DEP_1)
	v_mad_u32 v23, v28, s8, v23
	v_mad_u32 v24, v28, s9, v24
	;; [unrolled: 1-line block ×4, first 2 shown]
	s_and_not1_b32 vcc_lo, exec_lo, s4
	s_cbranch_vccz .LBB7_171
	s_branch .LBB7_174
.LBB7_169:
	s_mov_b32 s4, -1
                                        ; implicit-def: $vgpr24
                                        ; implicit-def: $vgpr23
                                        ; implicit-def: $vgpr26
                                        ; implicit-def: $vgpr25
.LBB7_170:
	s_delay_alu instid0(SALU_CYCLE_1)
	s_and_not1_b32 vcc_lo, exec_lo, s4
	s_cbranch_vccnz .LBB7_174
.LBB7_171:
	s_clause 0x1
	s_load_b96 s[4:6], s[20:21], 0x4
	s_load_b128 s[0:3], s[20:21], 0xc4
	s_cmp_lt_u32 s33, 2
	s_wait_kmcnt 0x0
	v_mul_hi_u32 v23, s5, v27
	s_delay_alu instid0(VALU_DEP_1) | instskip(NEXT) | instid1(VALU_DEP_1)
	v_add_nc_u32_e32 v23, v27, v23
	v_lshrrev_b32_e32 v28, s6, v23
	s_delay_alu instid0(VALU_DEP_1) | instskip(NEXT) | instid1(VALU_DEP_1)
	v_mul_lo_u32 v23, v28, s4
	v_sub_nc_u32_e32 v25, v27, v23
	s_delay_alu instid0(VALU_DEP_1)
	v_mul_lo_u32 v24, v25, s1
	v_mul_lo_u32 v23, v25, s0
	;; [unrolled: 1-line block ×4, first 2 shown]
	s_cbranch_scc1 .LBB7_174
; %bb.172:
	s_clause 0x1
	s_load_b96 s[4:6], s[20:21], 0x10
	s_load_b128 s[0:3], s[20:21], 0xd4
	s_wait_kmcnt 0x0
	v_mul_hi_u32 v27, s5, v28
	s_delay_alu instid0(VALU_DEP_1) | instskip(NEXT) | instid1(VALU_DEP_1)
	v_add_nc_u32_e32 v27, v28, v27
	v_lshrrev_b32_e32 v27, s6, v27
	s_delay_alu instid0(VALU_DEP_1) | instskip(NEXT) | instid1(VALU_DEP_1)
	v_mul_lo_u32 v27, v27, s4
	v_sub_nc_u32_e32 v27, v28, v27
	s_delay_alu instid0(VALU_DEP_1)
	v_mad_u32 v23, v27, s0, v23
	v_mad_u32 v24, v27, s1, v24
	;; [unrolled: 1-line block ×4, first 2 shown]
	s_branch .LBB7_174
.LBB7_173:
	v_dual_mov_b32 v24, 0 :: v_dual_mov_b32 v23, 0
	v_dual_mov_b32 v26, 0 :: v_dual_mov_b32 v25, 0
	s_and_not1_b32 vcc_lo, exec_lo, s4
	s_cbranch_vccz .LBB7_171
.LBB7_174:
	v_cmp_ne_u32_e32 vcc_lo, 1, v7
	v_add_nc_u32_e32 v30, 0x300, v0
	s_cbranch_vccnz .LBB7_180
; %bb.175:
	s_cmp_lg_u32 s33, 0
	s_mov_b32 s4, 0
	s_cbranch_scc0 .LBB7_184
; %bb.176:
	s_min_u32 s5, s34, 15
	v_dual_mov_b32 v27, 0 :: v_dual_mov_b32 v31, v30
	v_dual_mov_b32 v29, 0 :: v_dual_mov_b32 v0, 0
	v_mov_b32_e32 v28, 0
	s_add_co_i32 s2, s5, 1
	s_mov_b64 s[0:1], 0xffffffffffffffe0
	s_and_b32 s6, s2, 30
	s_add_nc_u64 s[0:1], s[20:21], s[0:1]
	s_mov_b64 s[2:3], s[20:21]
.LBB7_177:                              ; =>This Inner Loop Header: Depth=1
	s_clause 0x1
	s_load_b128 s[16:19], s[2:3], 0x4
	s_load_b64 s[22:23], s[2:3], 0x14
	s_load_b256 s[8:15], s[0:1], 0xe4
	s_add_co_i32 s6, s6, -2
	s_wait_xcnt 0x0
	s_add_nc_u64 s[2:3], s[2:3], 24
	s_cmp_lg_u32 s6, 0
	s_add_nc_u64 s[0:1], s[0:1], 32
	s_wait_kmcnt 0x0
	v_mul_hi_u32 v32, s17, v31
	s_delay_alu instid0(VALU_DEP_1) | instskip(NEXT) | instid1(VALU_DEP_1)
	v_add_nc_u32_e32 v32, v31, v32
	v_lshrrev_b32_e32 v32, s18, v32
	s_delay_alu instid0(VALU_DEP_1) | instskip(SKIP_1) | instid1(VALU_DEP_1)
	v_mul_hi_u32 v33, s22, v32
	v_mul_lo_u32 v34, v32, s16
	v_dual_add_nc_u32 v33, v32, v33 :: v_dual_sub_nc_u32 v34, v31, v34
	s_delay_alu instid0(VALU_DEP_1) | instskip(NEXT) | instid1(VALU_DEP_2)
	v_lshrrev_b32_e32 v31, s23, v33
	v_mad_u32 v28, v34, s9, v28
	v_mad_u32 v0, v34, s8, v0
	;; [unrolled: 1-line block ×4, first 2 shown]
	v_mul_lo_u32 v33, v31, s19
	s_delay_alu instid0(VALU_DEP_1) | instskip(NEXT) | instid1(VALU_DEP_1)
	v_sub_nc_u32_e32 v32, v32, v33
	v_mad_u32 v28, v32, s13, v28
	v_mad_u32 v0, v32, s12, v0
	;; [unrolled: 1-line block ×4, first 2 shown]
	s_cbranch_scc1 .LBB7_177
; %bb.178:
	s_bitcmp1_b32 s5, 0
	s_cselect_b32 s5, -1, 0
	s_delay_alu instid0(SALU_CYCLE_1)
	s_and_b32 vcc_lo, exec_lo, s5
	s_cbranch_vccnz .LBB7_181
; %bb.179:
	s_load_b96 s[12:14], s[2:3], 0x4
	s_load_b128 s[8:11], s[0:1], 0xe4
	s_wait_kmcnt 0x0
	v_mul_hi_u32 v32, s13, v31
	s_delay_alu instid0(VALU_DEP_1) | instskip(NEXT) | instid1(VALU_DEP_1)
	v_add_nc_u32_e32 v32, v31, v32
	v_lshrrev_b32_e32 v32, s14, v32
	s_delay_alu instid0(VALU_DEP_1) | instskip(NEXT) | instid1(VALU_DEP_1)
	v_mul_lo_u32 v32, v32, s12
	v_sub_nc_u32_e32 v31, v31, v32
	s_delay_alu instid0(VALU_DEP_1)
	v_mad_u32 v0, v31, s8, v0
	v_mad_u32 v28, v31, s9, v28
	;; [unrolled: 1-line block ×4, first 2 shown]
	s_and_not1_b32 vcc_lo, exec_lo, s4
	s_cbranch_vccz .LBB7_182
	s_branch .LBB7_185
.LBB7_180:
	s_mov_b32 s4, -1
                                        ; implicit-def: $vgpr28
                                        ; implicit-def: $vgpr0
                                        ; implicit-def: $vgpr29
                                        ; implicit-def: $vgpr27
.LBB7_181:
	s_delay_alu instid0(SALU_CYCLE_1)
	s_and_not1_b32 vcc_lo, exec_lo, s4
	s_cbranch_vccnz .LBB7_185
.LBB7_182:
	s_clause 0x1
	s_load_b96 s[4:6], s[20:21], 0x4
	s_load_b128 s[0:3], s[20:21], 0xc4
	s_cmp_lt_u32 s33, 2
	s_wait_kmcnt 0x0
	v_mul_hi_u32 v0, s5, v30
	s_delay_alu instid0(VALU_DEP_1) | instskip(NEXT) | instid1(VALU_DEP_1)
	v_add_nc_u32_e32 v0, v30, v0
	v_lshrrev_b32_e32 v31, s6, v0
	s_delay_alu instid0(VALU_DEP_1) | instskip(NEXT) | instid1(VALU_DEP_1)
	v_mul_lo_u32 v0, v31, s4
	v_sub_nc_u32_e32 v27, v30, v0
	s_delay_alu instid0(VALU_DEP_1)
	v_mul_lo_u32 v28, v27, s1
	v_mul_lo_u32 v0, v27, s0
	;; [unrolled: 1-line block ×4, first 2 shown]
	s_cbranch_scc1 .LBB7_185
; %bb.183:
	s_clause 0x1
	s_load_b96 s[4:6], s[20:21], 0x10
	s_load_b128 s[0:3], s[20:21], 0xd4
	s_wait_kmcnt 0x0
	v_mul_hi_u32 v30, s5, v31
	s_delay_alu instid0(VALU_DEP_1) | instskip(NEXT) | instid1(VALU_DEP_1)
	v_add_nc_u32_e32 v30, v31, v30
	v_lshrrev_b32_e32 v30, s6, v30
	s_delay_alu instid0(VALU_DEP_1) | instskip(NEXT) | instid1(VALU_DEP_1)
	v_mul_lo_u32 v30, v30, s4
	v_sub_nc_u32_e32 v30, v31, v30
	s_delay_alu instid0(VALU_DEP_1)
	v_mad_u32 v0, v30, s0, v0
	v_mad_u32 v28, v30, s1, v28
	;; [unrolled: 1-line block ×4, first 2 shown]
	s_branch .LBB7_185
.LBB7_184:
	v_dual_mov_b32 v28, 0 :: v_dual_mov_b32 v0, 0
	v_dual_mov_b32 v29, 0 :: v_dual_mov_b32 v27, 0
	s_and_not1_b32 vcc_lo, exec_lo, s4
	s_cbranch_vccz .LBB7_182
.LBB7_185:
	v_cmp_ne_u32_e32 vcc_lo, 1, v7
	s_cbranch_vccnz .LBB7_191
; %bb.186:
	s_cmp_lg_u32 s33, 0
	s_mov_b32 s4, 0
	s_cbranch_scc0 .LBB7_195
; %bb.187:
	s_min_u32 s5, s34, 15
	v_dual_mov_b32 v32, 0 :: v_dual_mov_b32 v33, v5
	v_dual_mov_b32 v31, 0 :: v_dual_mov_b32 v7, 0
	v_mov_b32_e32 v30, 0
	s_add_co_i32 s2, s5, 1
	s_mov_b64 s[0:1], 0xffffffffffffffe0
	s_and_b32 s6, s2, 30
	s_add_nc_u64 s[0:1], s[20:21], s[0:1]
	s_mov_b64 s[2:3], s[20:21]
.LBB7_188:                              ; =>This Inner Loop Header: Depth=1
	s_clause 0x1
	s_load_b128 s[16:19], s[2:3], 0x4
	s_load_b64 s[22:23], s[2:3], 0x14
	s_load_b256 s[8:15], s[0:1], 0xe4
	s_add_co_i32 s6, s6, -2
	s_wait_xcnt 0x0
	s_add_nc_u64 s[2:3], s[2:3], 24
	s_cmp_lg_u32 s6, 0
	s_add_nc_u64 s[0:1], s[0:1], 32
	s_wait_kmcnt 0x0
	v_mul_hi_u32 v34, s17, v33
	s_delay_alu instid0(VALU_DEP_1) | instskip(NEXT) | instid1(VALU_DEP_1)
	v_add_nc_u32_e32 v34, v33, v34
	v_lshrrev_b32_e32 v34, s18, v34
	s_delay_alu instid0(VALU_DEP_1) | instskip(SKIP_1) | instid1(VALU_DEP_1)
	v_mul_hi_u32 v35, s22, v34
	v_mul_lo_u32 v36, v34, s16
	v_dual_add_nc_u32 v35, v34, v35 :: v_dual_sub_nc_u32 v36, v33, v36
	s_delay_alu instid0(VALU_DEP_1) | instskip(NEXT) | instid1(VALU_DEP_2)
	v_lshrrev_b32_e32 v33, s23, v35
	v_mad_u32 v30, v36, s9, v30
	v_mad_u32 v7, v36, s8, v7
	;; [unrolled: 1-line block ×4, first 2 shown]
	v_mul_lo_u32 v35, v33, s19
	s_delay_alu instid0(VALU_DEP_1) | instskip(NEXT) | instid1(VALU_DEP_1)
	v_sub_nc_u32_e32 v34, v34, v35
	v_mad_u32 v30, v34, s13, v30
	v_mad_u32 v7, v34, s12, v7
	;; [unrolled: 1-line block ×4, first 2 shown]
	s_cbranch_scc1 .LBB7_188
; %bb.189:
	s_bitcmp1_b32 s5, 0
	s_cselect_b32 s5, -1, 0
	s_delay_alu instid0(SALU_CYCLE_1)
	s_and_b32 vcc_lo, exec_lo, s5
	s_cbranch_vccnz .LBB7_192
; %bb.190:
	s_load_b96 s[12:14], s[2:3], 0x4
	s_load_b128 s[8:11], s[0:1], 0xe4
	s_wait_kmcnt 0x0
	v_mul_hi_u32 v34, s13, v33
	s_delay_alu instid0(VALU_DEP_1) | instskip(NEXT) | instid1(VALU_DEP_1)
	v_add_nc_u32_e32 v34, v33, v34
	v_lshrrev_b32_e32 v34, s14, v34
	s_delay_alu instid0(VALU_DEP_1) | instskip(NEXT) | instid1(VALU_DEP_1)
	v_mul_lo_u32 v34, v34, s12
	v_sub_nc_u32_e32 v33, v33, v34
	s_delay_alu instid0(VALU_DEP_1)
	v_mad_u32 v7, v33, s8, v7
	v_mad_u32 v30, v33, s9, v30
	;; [unrolled: 1-line block ×4, first 2 shown]
	s_and_not1_b32 vcc_lo, exec_lo, s4
	s_cbranch_vccz .LBB7_193
	s_branch .LBB7_196
.LBB7_191:
	s_mov_b32 s4, -1
                                        ; implicit-def: $vgpr30
                                        ; implicit-def: $vgpr7
                                        ; implicit-def: $vgpr31
                                        ; implicit-def: $vgpr32
.LBB7_192:
	s_delay_alu instid0(SALU_CYCLE_1)
	s_and_not1_b32 vcc_lo, exec_lo, s4
	s_cbranch_vccnz .LBB7_196
.LBB7_193:
	s_clause 0x1
	s_load_b96 s[4:6], s[20:21], 0x4
	s_load_b128 s[0:3], s[20:21], 0xc4
	s_cmp_lt_u32 s33, 2
	s_wait_kmcnt 0x0
	v_mul_hi_u32 v7, s5, v5
	s_delay_alu instid0(VALU_DEP_1) | instskip(NEXT) | instid1(VALU_DEP_1)
	v_add_nc_u32_e32 v7, v5, v7
	v_lshrrev_b32_e32 v33, s6, v7
	s_delay_alu instid0(VALU_DEP_1) | instskip(NEXT) | instid1(VALU_DEP_1)
	v_mul_lo_u32 v7, v33, s4
	v_sub_nc_u32_e32 v5, v5, v7
	s_delay_alu instid0(VALU_DEP_1)
	v_mul_lo_u32 v30, v5, s1
	v_mul_lo_u32 v7, v5, s0
	;; [unrolled: 1-line block ×4, first 2 shown]
	s_cbranch_scc1 .LBB7_196
; %bb.194:
	s_clause 0x1
	s_load_b96 s[4:6], s[20:21], 0x10
	s_load_b128 s[0:3], s[20:21], 0xd4
	s_wait_kmcnt 0x0
	v_mul_hi_u32 v5, s5, v33
	s_delay_alu instid0(VALU_DEP_1) | instskip(NEXT) | instid1(VALU_DEP_1)
	v_add_nc_u32_e32 v5, v33, v5
	v_lshrrev_b32_e32 v5, s6, v5
	s_delay_alu instid0(VALU_DEP_1) | instskip(NEXT) | instid1(VALU_DEP_1)
	v_mul_lo_u32 v5, v5, s4
	v_sub_nc_u32_e32 v5, v33, v5
	s_delay_alu instid0(VALU_DEP_1)
	v_mad_u32 v7, v5, s0, v7
	v_mad_u32 v30, v5, s1, v30
	v_mad_u32 v32, v5, s2, v32
	v_mad_u32 v31, v5, s3, v31
	s_branch .LBB7_196
.LBB7_195:
	v_dual_mov_b32 v30, 0 :: v_dual_mov_b32 v7, 0
	v_dual_mov_b32 v31, 0 :: v_dual_mov_b32 v32, 0
	s_and_not1_b32 vcc_lo, exec_lo, s4
	s_cbranch_vccz .LBB7_193
.LBB7_196:
	s_load_b256 s[0:7], s[20:21], 0x1c8
	s_wait_kmcnt 0x0
	global_load_u8 v5, v2, s[2:3]
	global_load_u8 v33, v4, s[4:5]
	;; [unrolled: 1-line block ×15, first 2 shown]
                                        ; kill: killed $vgpr10
                                        ; kill: killed $vgpr18
                                        ; kill: killed $vgpr13
                                        ; kill: killed $vgpr14
                                        ; kill: killed $vgpr22
                                        ; kill: killed $vgpr16
                                        ; kill: killed $vgpr4
                                        ; kill: killed $vgpr17
                                        ; kill: killed $vgpr20
                                        ; kill: killed $vgpr9
                                        ; kill: killed $vgpr2
                                        ; kill: killed $vgpr21
                                        ; kill: killed $vgpr3
                                        ; kill: killed $vgpr12
                                        ; kill: killed $vgpr8
	global_load_u8 v2, v24, s[2:3]
	global_load_u8 v3, v25, s[4:5]
	;; [unrolled: 1-line block ×9, first 2 shown]
	s_wait_loadcnt 0x17
	v_cmp_eq_u16_e32 vcc_lo, 0, v5
	s_wait_loadcnt 0x15
	v_cndmask_b32_e32 v5, v33, v34, vcc_lo
	s_wait_loadcnt 0x14
	v_cmp_eq_u16_e32 vcc_lo, 0, v35
	s_wait_loadcnt 0x12
	s_wait_xcnt 0xe
	v_cndmask_b32_e32 v16, v36, v37, vcc_lo
	s_wait_loadcnt 0x11
	v_cmp_eq_u16_e32 vcc_lo, 0, v38
	s_wait_loadcnt 0xf
	s_wait_xcnt 0xc
	v_cndmask_b32_e32 v17, v39, v40, vcc_lo
	s_wait_loadcnt 0xe
	v_cmp_eq_u16_e32 vcc_lo, 0, v41
	s_wait_loadcnt 0xc
	v_cndmask_b32_e32 v18, v42, v43, vcc_lo
	s_wait_loadcnt 0xb
	v_cmp_eq_u16_e32 vcc_lo, 0, v44
	s_wait_loadcnt 0x9
	s_wait_xcnt 0xb
	v_cndmask_b32_e32 v20, v45, v46, vcc_lo
	s_wait_loadcnt 0x8
	v_cmp_eq_u16_e32 vcc_lo, 0, v2
	s_wait_loadcnt 0x6
	v_cndmask_b32_e32 v2, v3, v4, vcc_lo
	s_wait_loadcnt 0x5
	v_cmp_eq_u16_e32 vcc_lo, 0, v8
	s_wait_loadcnt 0x3
	;; [unrolled: 4-line block ×3, first 2 shown]
	v_cndmask_b32_e32 v4, v13, v14, vcc_lo
	s_clause 0x7
	global_store_b8 v1, v5, s[0:1]
	global_store_b8 v6, v16, s[0:1]
	;; [unrolled: 1-line block ×8, first 2 shown]
	s_endpgm
	.section	.rodata,"a",@progbits
	.p2align	6, 0x0
	.amdhsa_kernel _ZN2at6native32elementwise_kernel_manual_unrollILi128ELi8EZNS0_22gpu_kernel_impl_nocastIZZZNS0_12_GLOBAL__N_117where_kernel_implERNS_14TensorIteratorEENKUlvE_clEvENKUlvE_clEvEUlbhhE_EEvRNS_18TensorIteratorBaseERKT_EUlibE_EEviT1_
		.amdhsa_group_segment_fixed_size 0
		.amdhsa_private_segment_fixed_size 0
		.amdhsa_kernarg_size 504
		.amdhsa_user_sgpr_count 2
		.amdhsa_user_sgpr_dispatch_ptr 0
		.amdhsa_user_sgpr_queue_ptr 0
		.amdhsa_user_sgpr_kernarg_segment_ptr 1
		.amdhsa_user_sgpr_dispatch_id 0
		.amdhsa_user_sgpr_kernarg_preload_length 0
		.amdhsa_user_sgpr_kernarg_preload_offset 0
		.amdhsa_user_sgpr_private_segment_size 0
		.amdhsa_wavefront_size32 1
		.amdhsa_uses_dynamic_stack 0
		.amdhsa_enable_private_segment 0
		.amdhsa_system_sgpr_workgroup_id_x 1
		.amdhsa_system_sgpr_workgroup_id_y 0
		.amdhsa_system_sgpr_workgroup_id_z 0
		.amdhsa_system_sgpr_workgroup_info 0
		.amdhsa_system_vgpr_workitem_id 0
		.amdhsa_next_free_vgpr 47
		.amdhsa_next_free_sgpr 56
		.amdhsa_named_barrier_count 0
		.amdhsa_reserve_vcc 1
		.amdhsa_float_round_mode_32 0
		.amdhsa_float_round_mode_16_64 0
		.amdhsa_float_denorm_mode_32 3
		.amdhsa_float_denorm_mode_16_64 3
		.amdhsa_fp16_overflow 0
		.amdhsa_memory_ordered 1
		.amdhsa_forward_progress 1
		.amdhsa_inst_pref_size 89
		.amdhsa_round_robin_scheduling 0
		.amdhsa_exception_fp_ieee_invalid_op 0
		.amdhsa_exception_fp_denorm_src 0
		.amdhsa_exception_fp_ieee_div_zero 0
		.amdhsa_exception_fp_ieee_overflow 0
		.amdhsa_exception_fp_ieee_underflow 0
		.amdhsa_exception_fp_ieee_inexact 0
		.amdhsa_exception_int_div_zero 0
	.end_amdhsa_kernel
	.section	.text._ZN2at6native32elementwise_kernel_manual_unrollILi128ELi8EZNS0_22gpu_kernel_impl_nocastIZZZNS0_12_GLOBAL__N_117where_kernel_implERNS_14TensorIteratorEENKUlvE_clEvENKUlvE_clEvEUlbhhE_EEvRNS_18TensorIteratorBaseERKT_EUlibE_EEviT1_,"axG",@progbits,_ZN2at6native32elementwise_kernel_manual_unrollILi128ELi8EZNS0_22gpu_kernel_impl_nocastIZZZNS0_12_GLOBAL__N_117where_kernel_implERNS_14TensorIteratorEENKUlvE_clEvENKUlvE_clEvEUlbhhE_EEvRNS_18TensorIteratorBaseERKT_EUlibE_EEviT1_,comdat
.Lfunc_end7:
	.size	_ZN2at6native32elementwise_kernel_manual_unrollILi128ELi8EZNS0_22gpu_kernel_impl_nocastIZZZNS0_12_GLOBAL__N_117where_kernel_implERNS_14TensorIteratorEENKUlvE_clEvENKUlvE_clEvEUlbhhE_EEvRNS_18TensorIteratorBaseERKT_EUlibE_EEviT1_, .Lfunc_end7-_ZN2at6native32elementwise_kernel_manual_unrollILi128ELi8EZNS0_22gpu_kernel_impl_nocastIZZZNS0_12_GLOBAL__N_117where_kernel_implERNS_14TensorIteratorEENKUlvE_clEvENKUlvE_clEvEUlbhhE_EEvRNS_18TensorIteratorBaseERKT_EUlibE_EEviT1_
                                        ; -- End function
	.set _ZN2at6native32elementwise_kernel_manual_unrollILi128ELi8EZNS0_22gpu_kernel_impl_nocastIZZZNS0_12_GLOBAL__N_117where_kernel_implERNS_14TensorIteratorEENKUlvE_clEvENKUlvE_clEvEUlbhhE_EEvRNS_18TensorIteratorBaseERKT_EUlibE_EEviT1_.num_vgpr, 47
	.set _ZN2at6native32elementwise_kernel_manual_unrollILi128ELi8EZNS0_22gpu_kernel_impl_nocastIZZZNS0_12_GLOBAL__N_117where_kernel_implERNS_14TensorIteratorEENKUlvE_clEvENKUlvE_clEvEUlbhhE_EEvRNS_18TensorIteratorBaseERKT_EUlibE_EEviT1_.num_agpr, 0
	.set _ZN2at6native32elementwise_kernel_manual_unrollILi128ELi8EZNS0_22gpu_kernel_impl_nocastIZZZNS0_12_GLOBAL__N_117where_kernel_implERNS_14TensorIteratorEENKUlvE_clEvENKUlvE_clEvEUlbhhE_EEvRNS_18TensorIteratorBaseERKT_EUlibE_EEviT1_.numbered_sgpr, 56
	.set _ZN2at6native32elementwise_kernel_manual_unrollILi128ELi8EZNS0_22gpu_kernel_impl_nocastIZZZNS0_12_GLOBAL__N_117where_kernel_implERNS_14TensorIteratorEENKUlvE_clEvENKUlvE_clEvEUlbhhE_EEvRNS_18TensorIteratorBaseERKT_EUlibE_EEviT1_.num_named_barrier, 0
	.set _ZN2at6native32elementwise_kernel_manual_unrollILi128ELi8EZNS0_22gpu_kernel_impl_nocastIZZZNS0_12_GLOBAL__N_117where_kernel_implERNS_14TensorIteratorEENKUlvE_clEvENKUlvE_clEvEUlbhhE_EEvRNS_18TensorIteratorBaseERKT_EUlibE_EEviT1_.private_seg_size, 0
	.set _ZN2at6native32elementwise_kernel_manual_unrollILi128ELi8EZNS0_22gpu_kernel_impl_nocastIZZZNS0_12_GLOBAL__N_117where_kernel_implERNS_14TensorIteratorEENKUlvE_clEvENKUlvE_clEvEUlbhhE_EEvRNS_18TensorIteratorBaseERKT_EUlibE_EEviT1_.uses_vcc, 1
	.set _ZN2at6native32elementwise_kernel_manual_unrollILi128ELi8EZNS0_22gpu_kernel_impl_nocastIZZZNS0_12_GLOBAL__N_117where_kernel_implERNS_14TensorIteratorEENKUlvE_clEvENKUlvE_clEvEUlbhhE_EEvRNS_18TensorIteratorBaseERKT_EUlibE_EEviT1_.uses_flat_scratch, 0
	.set _ZN2at6native32elementwise_kernel_manual_unrollILi128ELi8EZNS0_22gpu_kernel_impl_nocastIZZZNS0_12_GLOBAL__N_117where_kernel_implERNS_14TensorIteratorEENKUlvE_clEvENKUlvE_clEvEUlbhhE_EEvRNS_18TensorIteratorBaseERKT_EUlibE_EEviT1_.has_dyn_sized_stack, 0
	.set _ZN2at6native32elementwise_kernel_manual_unrollILi128ELi8EZNS0_22gpu_kernel_impl_nocastIZZZNS0_12_GLOBAL__N_117where_kernel_implERNS_14TensorIteratorEENKUlvE_clEvENKUlvE_clEvEUlbhhE_EEvRNS_18TensorIteratorBaseERKT_EUlibE_EEviT1_.has_recursion, 0
	.set _ZN2at6native32elementwise_kernel_manual_unrollILi128ELi8EZNS0_22gpu_kernel_impl_nocastIZZZNS0_12_GLOBAL__N_117where_kernel_implERNS_14TensorIteratorEENKUlvE_clEvENKUlvE_clEvEUlbhhE_EEvRNS_18TensorIteratorBaseERKT_EUlibE_EEviT1_.has_indirect_call, 0
	.section	.AMDGPU.csdata,"",@progbits
; Kernel info:
; codeLenInByte = 11320
; TotalNumSgprs: 58
; NumVgprs: 47
; ScratchSize: 0
; MemoryBound: 0
; FloatMode: 240
; IeeeMode: 1
; LDSByteSize: 0 bytes/workgroup (compile time only)
; SGPRBlocks: 0
; VGPRBlocks: 2
; NumSGPRsForWavesPerEU: 58
; NumVGPRsForWavesPerEU: 47
; NamedBarCnt: 0
; Occupancy: 16
; WaveLimiterHint : 1
; COMPUTE_PGM_RSRC2:SCRATCH_EN: 0
; COMPUTE_PGM_RSRC2:USER_SGPR: 2
; COMPUTE_PGM_RSRC2:TRAP_HANDLER: 0
; COMPUTE_PGM_RSRC2:TGID_X_EN: 1
; COMPUTE_PGM_RSRC2:TGID_Y_EN: 0
; COMPUTE_PGM_RSRC2:TGID_Z_EN: 0
; COMPUTE_PGM_RSRC2:TIDIG_COMP_CNT: 0
	.section	.text._ZN2at6native29vectorized_elementwise_kernelILi16EZZZNS0_12_GLOBAL__N_117where_kernel_implERNS_14TensorIteratorEENKUlvE_clEvENKUlvE0_clEvEUlbttE_St5arrayIPcLm4EEEEviT0_T1_,"axG",@progbits,_ZN2at6native29vectorized_elementwise_kernelILi16EZZZNS0_12_GLOBAL__N_117where_kernel_implERNS_14TensorIteratorEENKUlvE_clEvENKUlvE0_clEvEUlbttE_St5arrayIPcLm4EEEEviT0_T1_,comdat
	.globl	_ZN2at6native29vectorized_elementwise_kernelILi16EZZZNS0_12_GLOBAL__N_117where_kernel_implERNS_14TensorIteratorEENKUlvE_clEvENKUlvE0_clEvEUlbttE_St5arrayIPcLm4EEEEviT0_T1_ ; -- Begin function _ZN2at6native29vectorized_elementwise_kernelILi16EZZZNS0_12_GLOBAL__N_117where_kernel_implERNS_14TensorIteratorEENKUlvE_clEvENKUlvE0_clEvEUlbttE_St5arrayIPcLm4EEEEviT0_T1_
	.p2align	8
	.type	_ZN2at6native29vectorized_elementwise_kernelILi16EZZZNS0_12_GLOBAL__N_117where_kernel_implERNS_14TensorIteratorEENKUlvE_clEvENKUlvE0_clEvEUlbttE_St5arrayIPcLm4EEEEviT0_T1_,@function
_ZN2at6native29vectorized_elementwise_kernelILi16EZZZNS0_12_GLOBAL__N_117where_kernel_implERNS_14TensorIteratorEENKUlvE_clEvENKUlvE0_clEvEUlbttE_St5arrayIPcLm4EEEEviT0_T1_: ; @_ZN2at6native29vectorized_elementwise_kernelILi16EZZZNS0_12_GLOBAL__N_117where_kernel_implERNS_14TensorIteratorEENKUlvE_clEvENKUlvE0_clEvEUlbttE_St5arrayIPcLm4EEEEviT0_T1_
; %bb.0:
	s_clause 0x1
	s_load_b32 s3, s[0:1], 0x0
	s_load_b256 s[4:11], s[0:1], 0x8
	s_wait_xcnt 0x0
	s_bfe_u32 s0, ttmp6, 0x4000c
	s_and_b32 s1, ttmp6, 15
	s_add_co_i32 s0, s0, 1
	s_getreg_b32 s2, hwreg(HW_REG_IB_STS2, 6, 4)
	s_mul_i32 s0, ttmp9, s0
	s_delay_alu instid0(SALU_CYCLE_1) | instskip(SKIP_2) | instid1(SALU_CYCLE_1)
	s_add_co_i32 s1, s1, s0
	s_cmp_eq_u32 s2, 0
	s_cselect_b32 s0, ttmp9, s1
	s_lshl_b32 s2, s0, 12
	s_mov_b32 s0, -1
	s_wait_kmcnt 0x0
	s_sub_co_i32 s12, s3, s2
	s_delay_alu instid0(SALU_CYCLE_1)
	s_cmp_gt_i32 s12, 0xfff
	s_cbranch_scc0 .LBB8_2
; %bb.1:
	s_ashr_i32 s3, s2, 31
	s_delay_alu instid0(SALU_CYCLE_1) | instskip(SKIP_4) | instid1(SALU_CYCLE_1)
	s_add_nc_u64 s[0:1], s[6:7], s[2:3]
	global_load_b128 v[2:5], v0, s[0:1] scale_offset
	v_lshlrev_b32_e32 v1, 5, v0
	s_wait_xcnt 0x0
	s_lshl_b64 s[0:1], s[2:3], 1
	s_add_nc_u64 s[14:15], s[10:11], s[0:1]
	s_add_nc_u64 s[16:17], s[8:9], s[0:1]
	s_wait_loadcnt 0x0
	v_lshrrev_b32_e32 v22, 24, v2
	s_clause 0x3
	global_load_b128 v[6:9], v1, s[14:15]
	global_load_b128 v[10:13], v1, s[16:17]
	global_load_b128 v[14:17], v1, s[14:15] offset:16
	global_load_b128 v[18:21], v1, s[16:17] offset:16
	v_and_b32_e32 v24, 0xff, v2
	v_and_b32_e32 v27, 0xff, v3
	v_and_b32_e32 v30, 0xff, v4
	v_and_b32_e32 v33, 0xff, v5
	v_dual_lshrrev_b32 v23, 16, v2 :: v_dual_lshrrev_b32 v25, 24, v3
	v_cmp_eq_u16_e32 vcc_lo, 0, v24
	v_lshrrev_b16 v2, 8, v2
	v_dual_lshrrev_b32 v32, 16, v5 :: v_dual_lshrrev_b32 v26, 16, v3
	v_lshrrev_b32_e32 v28, 24, v4
	v_lshrrev_b16 v3, 8, v3
	v_dual_lshrrev_b32 v29, 16, v4 :: v_dual_lshrrev_b32 v31, 24, v5
	v_lshrrev_b16 v4, 8, v4
	v_lshrrev_b16 v5, 8, v5
	v_and_b32_e32 v23, 0xff, v23
	v_and_b32_e32 v26, 0xff, v26
	;; [unrolled: 1-line block ×3, first 2 shown]
	s_wait_xcnt 0x1
	s_add_nc_u64 s[14:15], s[4:5], s[0:1]
	s_mov_b32 s0, 0
	s_wait_loadcnt 0x3
	v_lshrrev_b32_e32 v34, 16, v7
	s_wait_loadcnt 0x2
	v_dual_lshrrev_b32 v35, 16, v11 :: v_dual_lshrrev_b32 v36, 16, v6
	s_wait_loadcnt 0x0
	v_dual_cndmask_b32 v6, v10, v6 :: v_dual_lshrrev_b32 v49, 16, v20
	v_cmp_eq_u16_e32 vcc_lo, 0, v27
	v_dual_lshrrev_b32 v39, 16, v13 :: v_dual_lshrrev_b32 v40, 16, v8
	v_dual_lshrrev_b32 v37, 16, v10 :: v_dual_lshrrev_b32 v38, 16, v9
	v_cndmask_b32_e32 v8, v12, v8, vcc_lo
	v_cmp_eq_u16_e32 vcc_lo, 0, v30
	v_dual_lshrrev_b32 v41, 16, v12 :: v_dual_lshrrev_b32 v42, 16, v15
	v_dual_lshrrev_b32 v43, 16, v19 :: v_dual_lshrrev_b32 v44, 16, v14
	v_cndmask_b32_e32 v10, v18, v14, vcc_lo
	;; [unrolled: 4-line block ×3, first 2 shown]
	v_cmp_eq_u16_e32 vcc_lo, 0, v22
	v_and_b32_e32 v32, 0xff, v32
	v_cndmask_b32_e32 v14, v35, v34, vcc_lo
	v_cmp_eq_u16_e32 vcc_lo, 0, v2
	v_cndmask_b32_e32 v2, v37, v36, vcc_lo
	v_cmp_eq_u16_e32 vcc_lo, 0, v25
	;; [unrolled: 2-line block ×3, first 2 shown]
	s_delay_alu instid0(VALU_DEP_4) | instskip(SKIP_4) | instid1(VALU_DEP_4)
	v_perm_b32 v2, v2, v6, 0x5040100
	v_cndmask_b32_e32 v3, v41, v40, vcc_lo
	v_cmp_eq_u16_e32 vcc_lo, 0, v28
	v_cndmask_b32_e32 v18, v43, v42, vcc_lo
	v_cmp_eq_u16_e32 vcc_lo, 0, v4
	v_perm_b32 v4, v3, v8, 0x5040100
	v_cndmask_b32_e32 v20, v45, v44, vcc_lo
	v_cmp_eq_u16_e32 vcc_lo, 0, v31
	v_cndmask_b32_e32 v22, v47, v46, vcc_lo
	v_cmp_eq_u16_e32 vcc_lo, 0, v5
	s_delay_alu instid0(VALU_DEP_4) | instskip(SKIP_4) | instid1(VALU_DEP_4)
	v_perm_b32 v6, v20, v10, 0x5040100
	v_cndmask_b32_e32 v5, v49, v48, vcc_lo
	v_cmp_eq_u16_e32 vcc_lo, 0, v23
	v_cndmask_b32_e32 v7, v11, v7, vcc_lo
	v_cmp_eq_u16_e32 vcc_lo, 0, v26
	v_perm_b32 v8, v5, v12, 0x5040100
	s_delay_alu instid0(VALU_DEP_3) | instskip(SKIP_4) | instid1(VALU_DEP_4)
	v_perm_b32 v3, v14, v7, 0x5040100
	v_cndmask_b32_e32 v9, v13, v9, vcc_lo
	v_cmp_eq_u16_e32 vcc_lo, 0, v29
	v_cndmask_b32_e32 v11, v19, v15, vcc_lo
	v_cmp_eq_u16_e32 vcc_lo, 0, v32
	v_perm_b32 v5, v16, v9, 0x5040100
	s_delay_alu instid0(VALU_DEP_3) | instskip(SKIP_1) | instid1(VALU_DEP_1)
	v_perm_b32 v7, v18, v11, 0x5040100
	v_cndmask_b32_e32 v13, v21, v17, vcc_lo
	v_perm_b32 v9, v22, v13, 0x5040100
	s_clause 0x1
	global_store_b128 v1, v[2:5], s[14:15]
	global_store_b128 v1, v[6:9], s[14:15] offset:16
.LBB8_2:
	s_and_not1_b32 vcc_lo, exec_lo, s0
	s_cbranch_vccnz .LBB8_50
; %bb.3:
	v_cmp_gt_i32_e32 vcc_lo, s12, v0
	s_wait_xcnt 0x0
	v_dual_mov_b32 v1, 0 :: v_dual_bitop2_b32 v2, s2, v0 bitop3:0x54
	v_or_b32_e32 v3, 0x100, v0
	v_dual_mov_b32 v4, 0 :: v_dual_mov_b32 v6, v0
	s_and_saveexec_b32 s1, vcc_lo
	s_cbranch_execz .LBB8_5
; %bb.4:
	s_clause 0x2
	global_load_u8 v4, v2, s[6:7]
	global_load_u16 v5, v2, s[8:9] scale_offset
	global_load_u16 v7, v2, s[10:11] scale_offset
	v_or_b32_e32 v6, 0x100, v0
	s_wait_loadcnt 0x2
	v_cmp_eq_u16_e64 s0, 0, v4
	s_wait_loadcnt 0x0
	s_delay_alu instid0(VALU_DEP_1)
	v_cndmask_b32_e64 v4, v5, v7, s0
.LBB8_5:
	s_wait_xcnt 0x0
	s_or_b32 exec_lo, exec_lo, s1
	s_delay_alu instid0(SALU_CYCLE_1)
	s_mov_b32 s1, exec_lo
	v_cmpx_gt_i32_e64 s12, v6
	s_cbranch_execz .LBB8_7
; %bb.6:
	v_add_nc_u32_e32 v1, s2, v6
	v_add_nc_u32_e32 v6, 0x100, v6
	s_clause 0x2
	global_load_u8 v5, v1, s[6:7]
	global_load_u16 v7, v1, s[8:9] scale_offset
	global_load_u16 v8, v1, s[10:11] scale_offset
	s_wait_loadcnt 0x2
	v_cmp_eq_u16_e64 s0, 0, v5
	s_wait_loadcnt 0x0
	s_delay_alu instid0(VALU_DEP_1)
	v_cndmask_b32_e64 v1, v7, v8, s0
.LBB8_7:
	s_or_b32 exec_lo, exec_lo, s1
	v_dual_mov_b32 v5, 0 :: v_dual_mov_b32 v7, 0
	s_mov_b32 s1, exec_lo
	v_cmpx_gt_i32_e64 s12, v6
	s_cbranch_execz .LBB8_9
; %bb.8:
	v_add_nc_u32_e32 v7, s2, v6
	v_add_nc_u32_e32 v6, 0x100, v6
	s_clause 0x2
	global_load_u8 v8, v7, s[6:7]
	global_load_u16 v9, v7, s[8:9] scale_offset
	global_load_u16 v10, v7, s[10:11] scale_offset
	s_wait_loadcnt 0x2
	v_cmp_eq_u16_e64 s0, 0, v8
	s_wait_loadcnt 0x0
	s_delay_alu instid0(VALU_DEP_1)
	v_cndmask_b32_e64 v7, v9, v10, s0
.LBB8_9:
	s_or_b32 exec_lo, exec_lo, s1
	s_delay_alu instid0(SALU_CYCLE_1)
	s_mov_b32 s1, exec_lo
	v_cmpx_gt_i32_e64 s12, v6
	s_cbranch_execz .LBB8_11
; %bb.10:
	v_add_nc_u32_e32 v5, s2, v6
	v_add_nc_u32_e32 v6, 0x100, v6
	s_clause 0x2
	global_load_u8 v8, v5, s[6:7]
	global_load_u16 v9, v5, s[8:9] scale_offset
	global_load_u16 v10, v5, s[10:11] scale_offset
	s_wait_loadcnt 0x2
	v_cmp_eq_u16_e64 s0, 0, v8
	s_wait_loadcnt 0x0
	s_delay_alu instid0(VALU_DEP_1)
	v_cndmask_b32_e64 v5, v9, v10, s0
.LBB8_11:
	s_or_b32 exec_lo, exec_lo, s1
	v_dual_mov_b32 v8, 0 :: v_dual_mov_b32 v9, 0
	s_mov_b32 s1, exec_lo
	v_cmpx_gt_i32_e64 s12, v6
	s_cbranch_execz .LBB8_13
; %bb.12:
	v_add_nc_u32_e32 v9, s2, v6
	v_add_nc_u32_e32 v6, 0x100, v6
	s_clause 0x2
	global_load_u8 v10, v9, s[6:7]
	global_load_u16 v11, v9, s[8:9] scale_offset
	global_load_u16 v12, v9, s[10:11] scale_offset
	s_wait_loadcnt 0x2
	v_cmp_eq_u16_e64 s0, 0, v10
	s_wait_loadcnt 0x0
	s_delay_alu instid0(VALU_DEP_1)
	v_cndmask_b32_e64 v9, v11, v12, s0
.LBB8_13:
	;; [unrolled: 36-line block ×6, first 2 shown]
	s_or_b32 exec_lo, exec_lo, s1
	s_delay_alu instid0(SALU_CYCLE_1)
	s_mov_b32 s1, exec_lo
	v_cmpx_gt_i32_e64 s12, v6
	s_cbranch_execz .LBB8_31
; %bb.30:
	v_add_nc_u32_e32 v16, s2, v6
	v_add_nc_u32_e32 v6, 0x100, v6
	s_clause 0x2
	global_load_u8 v18, v16, s[6:7]
	global_load_u16 v19, v16, s[8:9] scale_offset
	global_load_u16 v20, v16, s[10:11] scale_offset
	s_wait_loadcnt 0x2
	v_cmp_eq_u16_e64 s0, 0, v18
	s_wait_loadcnt 0x0
	s_delay_alu instid0(VALU_DEP_1)
	v_cndmask_b32_e64 v16, v19, v20, s0
.LBB8_31:
	s_or_b32 exec_lo, exec_lo, s1
	v_dual_mov_b32 v18, 0 :: v_dual_mov_b32 v19, 0
	s_mov_b32 s1, exec_lo
	v_cmpx_gt_i32_e64 s12, v6
	s_cbranch_execnz .LBB8_51
; %bb.32:
	s_or_b32 exec_lo, exec_lo, s1
	s_delay_alu instid0(SALU_CYCLE_1)
	s_mov_b32 s1, exec_lo
	v_cmpx_gt_i32_e64 s12, v6
	s_cbranch_execnz .LBB8_52
.LBB8_33:
	s_or_b32 exec_lo, exec_lo, s1
	s_and_saveexec_b32 s0, vcc_lo
	s_cbranch_execnz .LBB8_53
.LBB8_34:
	s_or_b32 exec_lo, exec_lo, s0
	s_delay_alu instid0(SALU_CYCLE_1)
	s_mov_b32 s0, exec_lo
	v_cmpx_gt_i32_e64 s12, v0
	s_cbranch_execnz .LBB8_54
.LBB8_35:
	s_or_b32 exec_lo, exec_lo, s0
	s_delay_alu instid0(SALU_CYCLE_1)
	s_mov_b32 s0, exec_lo
	v_cmpx_gt_i32_e64 s12, v0
	s_cbranch_execnz .LBB8_55
.LBB8_36:
	s_or_b32 exec_lo, exec_lo, s0
	s_delay_alu instid0(SALU_CYCLE_1)
	s_mov_b32 s0, exec_lo
	v_cmpx_gt_i32_e64 s12, v0
	s_cbranch_execnz .LBB8_56
.LBB8_37:
	s_or_b32 exec_lo, exec_lo, s0
	s_delay_alu instid0(SALU_CYCLE_1)
	s_mov_b32 s0, exec_lo
	v_cmpx_gt_i32_e64 s12, v0
	s_cbranch_execnz .LBB8_57
.LBB8_38:
	s_or_b32 exec_lo, exec_lo, s0
	s_delay_alu instid0(SALU_CYCLE_1)
	s_mov_b32 s0, exec_lo
	v_cmpx_gt_i32_e64 s12, v0
	s_cbranch_execnz .LBB8_58
.LBB8_39:
	s_or_b32 exec_lo, exec_lo, s0
	s_delay_alu instid0(SALU_CYCLE_1)
	s_mov_b32 s0, exec_lo
	v_cmpx_gt_i32_e64 s12, v0
	s_cbranch_execnz .LBB8_59
.LBB8_40:
	s_or_b32 exec_lo, exec_lo, s0
	s_delay_alu instid0(SALU_CYCLE_1)
	s_mov_b32 s0, exec_lo
	v_cmpx_gt_i32_e64 s12, v0
	s_cbranch_execnz .LBB8_60
.LBB8_41:
	s_or_b32 exec_lo, exec_lo, s0
	s_delay_alu instid0(SALU_CYCLE_1)
	s_mov_b32 s0, exec_lo
	v_cmpx_gt_i32_e64 s12, v0
	s_cbranch_execnz .LBB8_61
.LBB8_42:
	s_or_b32 exec_lo, exec_lo, s0
	s_delay_alu instid0(SALU_CYCLE_1)
	s_mov_b32 s0, exec_lo
	v_cmpx_gt_i32_e64 s12, v0
	s_cbranch_execnz .LBB8_62
.LBB8_43:
	s_or_b32 exec_lo, exec_lo, s0
	s_delay_alu instid0(SALU_CYCLE_1)
	s_mov_b32 s0, exec_lo
	v_cmpx_gt_i32_e64 s12, v0
	s_cbranch_execnz .LBB8_63
.LBB8_44:
	s_or_b32 exec_lo, exec_lo, s0
	s_delay_alu instid0(SALU_CYCLE_1)
	s_mov_b32 s0, exec_lo
	v_cmpx_gt_i32_e64 s12, v0
	s_cbranch_execnz .LBB8_64
.LBB8_45:
	s_or_b32 exec_lo, exec_lo, s0
	s_delay_alu instid0(SALU_CYCLE_1)
	s_mov_b32 s0, exec_lo
	v_cmpx_gt_i32_e64 s12, v0
	s_cbranch_execnz .LBB8_65
.LBB8_46:
	s_or_b32 exec_lo, exec_lo, s0
	s_delay_alu instid0(SALU_CYCLE_1)
	s_mov_b32 s0, exec_lo
	v_cmpx_gt_i32_e64 s12, v0
	s_cbranch_execnz .LBB8_66
.LBB8_47:
	s_or_b32 exec_lo, exec_lo, s0
	s_delay_alu instid0(SALU_CYCLE_1)
	s_mov_b32 s0, exec_lo
	v_cmpx_gt_i32_e64 s12, v0
	s_cbranch_execnz .LBB8_67
.LBB8_48:
	s_or_b32 exec_lo, exec_lo, s0
	s_delay_alu instid0(SALU_CYCLE_1)
	s_mov_b32 s0, exec_lo
	v_cmpx_gt_i32_e64 s12, v0
	s_cbranch_execz .LBB8_50
.LBB8_49:
	v_add_nc_u32_e32 v0, s2, v0
	global_store_b16 v0, v18, s[4:5] scale_offset
.LBB8_50:
	s_endpgm
.LBB8_51:
	v_add_nc_u32_e32 v19, s2, v6
	v_add_nc_u32_e32 v6, 0x100, v6
	s_clause 0x2
	global_load_u8 v20, v19, s[6:7]
	global_load_u16 v21, v19, s[8:9] scale_offset
	global_load_u16 v22, v19, s[10:11] scale_offset
	s_wait_loadcnt 0x2
	v_cmp_eq_u16_e64 s0, 0, v20
	s_wait_loadcnt 0x0
	s_delay_alu instid0(VALU_DEP_1) | instskip(SKIP_1) | instid1(SALU_CYCLE_1)
	v_cndmask_b32_e64 v19, v21, v22, s0
	s_or_b32 exec_lo, exec_lo, s1
	s_mov_b32 s1, exec_lo
	v_cmpx_gt_i32_e64 s12, v6
	s_cbranch_execz .LBB8_33
.LBB8_52:
	v_add_nc_u32_e32 v6, s2, v6
	s_clause 0x2
	global_load_u8 v18, v6, s[6:7]
	global_load_u16 v20, v6, s[8:9] scale_offset
	global_load_u16 v21, v6, s[10:11] scale_offset
	s_wait_loadcnt 0x2
	v_cmp_eq_u16_e64 s0, 0, v18
	s_wait_loadcnt 0x0
	s_delay_alu instid0(VALU_DEP_1)
	v_cndmask_b32_e64 v18, v20, v21, s0
	s_wait_xcnt 0x0
	s_or_b32 exec_lo, exec_lo, s1
	s_and_saveexec_b32 s0, vcc_lo
	s_cbranch_execz .LBB8_34
.LBB8_53:
	v_mov_b32_e32 v0, v3
	global_store_b16 v2, v4, s[4:5] scale_offset
	s_wait_xcnt 0x0
	s_or_b32 exec_lo, exec_lo, s0
	s_delay_alu instid0(SALU_CYCLE_1)
	s_mov_b32 s0, exec_lo
	v_cmpx_gt_i32_e64 s12, v0
	s_cbranch_execz .LBB8_35
.LBB8_54:
	v_add_nc_u32_e32 v2, s2, v0
	v_add_nc_u32_e32 v0, 0x100, v0
	global_store_b16 v2, v1, s[4:5] scale_offset
	s_wait_xcnt 0x0
	s_or_b32 exec_lo, exec_lo, s0
	s_delay_alu instid0(SALU_CYCLE_1)
	s_mov_b32 s0, exec_lo
	v_cmpx_gt_i32_e64 s12, v0
	s_cbranch_execz .LBB8_36
.LBB8_55:
	v_add_nc_u32_e32 v1, s2, v0
	v_add_nc_u32_e32 v0, 0x100, v0
	global_store_b16 v1, v7, s[4:5] scale_offset
	s_wait_xcnt 0x0
	s_or_b32 exec_lo, exec_lo, s0
	s_delay_alu instid0(SALU_CYCLE_1)
	s_mov_b32 s0, exec_lo
	v_cmpx_gt_i32_e64 s12, v0
	s_cbranch_execz .LBB8_37
.LBB8_56:
	v_add_nc_u32_e32 v1, s2, v0
	v_add_nc_u32_e32 v0, 0x100, v0
	global_store_b16 v1, v5, s[4:5] scale_offset
	s_wait_xcnt 0x0
	s_or_b32 exec_lo, exec_lo, s0
	s_delay_alu instid0(SALU_CYCLE_1)
	s_mov_b32 s0, exec_lo
	v_cmpx_gt_i32_e64 s12, v0
	s_cbranch_execz .LBB8_38
.LBB8_57:
	v_add_nc_u32_e32 v1, s2, v0
	v_add_nc_u32_e32 v0, 0x100, v0
	global_store_b16 v1, v9, s[4:5] scale_offset
	s_wait_xcnt 0x0
	s_or_b32 exec_lo, exec_lo, s0
	s_delay_alu instid0(SALU_CYCLE_1)
	s_mov_b32 s0, exec_lo
	v_cmpx_gt_i32_e64 s12, v0
	s_cbranch_execz .LBB8_39
.LBB8_58:
	v_add_nc_u32_e32 v1, s2, v0
	v_add_nc_u32_e32 v0, 0x100, v0
	global_store_b16 v1, v8, s[4:5] scale_offset
	s_wait_xcnt 0x0
	s_or_b32 exec_lo, exec_lo, s0
	s_delay_alu instid0(SALU_CYCLE_1)
	s_mov_b32 s0, exec_lo
	v_cmpx_gt_i32_e64 s12, v0
	s_cbranch_execz .LBB8_40
.LBB8_59:
	v_add_nc_u32_e32 v1, s2, v0
	v_add_nc_u32_e32 v0, 0x100, v0
	global_store_b16 v1, v11, s[4:5] scale_offset
	s_wait_xcnt 0x0
	s_or_b32 exec_lo, exec_lo, s0
	s_delay_alu instid0(SALU_CYCLE_1)
	s_mov_b32 s0, exec_lo
	v_cmpx_gt_i32_e64 s12, v0
	s_cbranch_execz .LBB8_41
.LBB8_60:
	v_add_nc_u32_e32 v1, s2, v0
	v_add_nc_u32_e32 v0, 0x100, v0
	global_store_b16 v1, v10, s[4:5] scale_offset
	s_wait_xcnt 0x0
	s_or_b32 exec_lo, exec_lo, s0
	s_delay_alu instid0(SALU_CYCLE_1)
	s_mov_b32 s0, exec_lo
	v_cmpx_gt_i32_e64 s12, v0
	s_cbranch_execz .LBB8_42
.LBB8_61:
	v_add_nc_u32_e32 v1, s2, v0
	v_add_nc_u32_e32 v0, 0x100, v0
	global_store_b16 v1, v13, s[4:5] scale_offset
	s_wait_xcnt 0x0
	s_or_b32 exec_lo, exec_lo, s0
	s_delay_alu instid0(SALU_CYCLE_1)
	s_mov_b32 s0, exec_lo
	v_cmpx_gt_i32_e64 s12, v0
	s_cbranch_execz .LBB8_43
.LBB8_62:
	v_add_nc_u32_e32 v1, s2, v0
	v_add_nc_u32_e32 v0, 0x100, v0
	global_store_b16 v1, v12, s[4:5] scale_offset
	s_wait_xcnt 0x0
	s_or_b32 exec_lo, exec_lo, s0
	s_delay_alu instid0(SALU_CYCLE_1)
	s_mov_b32 s0, exec_lo
	v_cmpx_gt_i32_e64 s12, v0
	s_cbranch_execz .LBB8_44
.LBB8_63:
	v_add_nc_u32_e32 v1, s2, v0
	v_add_nc_u32_e32 v0, 0x100, v0
	global_store_b16 v1, v15, s[4:5] scale_offset
	s_wait_xcnt 0x0
	s_or_b32 exec_lo, exec_lo, s0
	s_delay_alu instid0(SALU_CYCLE_1)
	s_mov_b32 s0, exec_lo
	v_cmpx_gt_i32_e64 s12, v0
	s_cbranch_execz .LBB8_45
.LBB8_64:
	v_add_nc_u32_e32 v1, s2, v0
	v_add_nc_u32_e32 v0, 0x100, v0
	global_store_b16 v1, v14, s[4:5] scale_offset
	s_wait_xcnt 0x0
	s_or_b32 exec_lo, exec_lo, s0
	s_delay_alu instid0(SALU_CYCLE_1)
	s_mov_b32 s0, exec_lo
	v_cmpx_gt_i32_e64 s12, v0
	s_cbranch_execz .LBB8_46
.LBB8_65:
	v_add_nc_u32_e32 v1, s2, v0
	v_add_nc_u32_e32 v0, 0x100, v0
	global_store_b16 v1, v17, s[4:5] scale_offset
	s_wait_xcnt 0x0
	s_or_b32 exec_lo, exec_lo, s0
	s_delay_alu instid0(SALU_CYCLE_1)
	s_mov_b32 s0, exec_lo
	v_cmpx_gt_i32_e64 s12, v0
	s_cbranch_execz .LBB8_47
.LBB8_66:
	v_add_nc_u32_e32 v1, s2, v0
	v_add_nc_u32_e32 v0, 0x100, v0
	global_store_b16 v1, v16, s[4:5] scale_offset
	s_wait_xcnt 0x0
	s_or_b32 exec_lo, exec_lo, s0
	s_delay_alu instid0(SALU_CYCLE_1)
	s_mov_b32 s0, exec_lo
	v_cmpx_gt_i32_e64 s12, v0
	s_cbranch_execz .LBB8_48
.LBB8_67:
	v_add_nc_u32_e32 v1, s2, v0
	v_add_nc_u32_e32 v0, 0x100, v0
	global_store_b16 v1, v19, s[4:5] scale_offset
	s_wait_xcnt 0x0
	s_or_b32 exec_lo, exec_lo, s0
	s_delay_alu instid0(SALU_CYCLE_1)
	s_mov_b32 s0, exec_lo
	v_cmpx_gt_i32_e64 s12, v0
	s_cbranch_execnz .LBB8_49
	s_branch .LBB8_50
	.section	.rodata,"a",@progbits
	.p2align	6, 0x0
	.amdhsa_kernel _ZN2at6native29vectorized_elementwise_kernelILi16EZZZNS0_12_GLOBAL__N_117where_kernel_implERNS_14TensorIteratorEENKUlvE_clEvENKUlvE0_clEvEUlbttE_St5arrayIPcLm4EEEEviT0_T1_
		.amdhsa_group_segment_fixed_size 0
		.amdhsa_private_segment_fixed_size 0
		.amdhsa_kernarg_size 40
		.amdhsa_user_sgpr_count 2
		.amdhsa_user_sgpr_dispatch_ptr 0
		.amdhsa_user_sgpr_queue_ptr 0
		.amdhsa_user_sgpr_kernarg_segment_ptr 1
		.amdhsa_user_sgpr_dispatch_id 0
		.amdhsa_user_sgpr_kernarg_preload_length 0
		.amdhsa_user_sgpr_kernarg_preload_offset 0
		.amdhsa_user_sgpr_private_segment_size 0
		.amdhsa_wavefront_size32 1
		.amdhsa_uses_dynamic_stack 0
		.amdhsa_enable_private_segment 0
		.amdhsa_system_sgpr_workgroup_id_x 1
		.amdhsa_system_sgpr_workgroup_id_y 0
		.amdhsa_system_sgpr_workgroup_id_z 0
		.amdhsa_system_sgpr_workgroup_info 0
		.amdhsa_system_vgpr_workitem_id 0
		.amdhsa_next_free_vgpr 50
		.amdhsa_next_free_sgpr 18
		.amdhsa_named_barrier_count 0
		.amdhsa_reserve_vcc 1
		.amdhsa_float_round_mode_32 0
		.amdhsa_float_round_mode_16_64 0
		.amdhsa_float_denorm_mode_32 3
		.amdhsa_float_denorm_mode_16_64 3
		.amdhsa_fp16_overflow 0
		.amdhsa_memory_ordered 1
		.amdhsa_forward_progress 1
		.amdhsa_inst_pref_size 29
		.amdhsa_round_robin_scheduling 0
		.amdhsa_exception_fp_ieee_invalid_op 0
		.amdhsa_exception_fp_denorm_src 0
		.amdhsa_exception_fp_ieee_div_zero 0
		.amdhsa_exception_fp_ieee_overflow 0
		.amdhsa_exception_fp_ieee_underflow 0
		.amdhsa_exception_fp_ieee_inexact 0
		.amdhsa_exception_int_div_zero 0
	.end_amdhsa_kernel
	.section	.text._ZN2at6native29vectorized_elementwise_kernelILi16EZZZNS0_12_GLOBAL__N_117where_kernel_implERNS_14TensorIteratorEENKUlvE_clEvENKUlvE0_clEvEUlbttE_St5arrayIPcLm4EEEEviT0_T1_,"axG",@progbits,_ZN2at6native29vectorized_elementwise_kernelILi16EZZZNS0_12_GLOBAL__N_117where_kernel_implERNS_14TensorIteratorEENKUlvE_clEvENKUlvE0_clEvEUlbttE_St5arrayIPcLm4EEEEviT0_T1_,comdat
.Lfunc_end8:
	.size	_ZN2at6native29vectorized_elementwise_kernelILi16EZZZNS0_12_GLOBAL__N_117where_kernel_implERNS_14TensorIteratorEENKUlvE_clEvENKUlvE0_clEvEUlbttE_St5arrayIPcLm4EEEEviT0_T1_, .Lfunc_end8-_ZN2at6native29vectorized_elementwise_kernelILi16EZZZNS0_12_GLOBAL__N_117where_kernel_implERNS_14TensorIteratorEENKUlvE_clEvENKUlvE0_clEvEUlbttE_St5arrayIPcLm4EEEEviT0_T1_
                                        ; -- End function
	.set _ZN2at6native29vectorized_elementwise_kernelILi16EZZZNS0_12_GLOBAL__N_117where_kernel_implERNS_14TensorIteratorEENKUlvE_clEvENKUlvE0_clEvEUlbttE_St5arrayIPcLm4EEEEviT0_T1_.num_vgpr, 50
	.set _ZN2at6native29vectorized_elementwise_kernelILi16EZZZNS0_12_GLOBAL__N_117where_kernel_implERNS_14TensorIteratorEENKUlvE_clEvENKUlvE0_clEvEUlbttE_St5arrayIPcLm4EEEEviT0_T1_.num_agpr, 0
	.set _ZN2at6native29vectorized_elementwise_kernelILi16EZZZNS0_12_GLOBAL__N_117where_kernel_implERNS_14TensorIteratorEENKUlvE_clEvENKUlvE0_clEvEUlbttE_St5arrayIPcLm4EEEEviT0_T1_.numbered_sgpr, 18
	.set _ZN2at6native29vectorized_elementwise_kernelILi16EZZZNS0_12_GLOBAL__N_117where_kernel_implERNS_14TensorIteratorEENKUlvE_clEvENKUlvE0_clEvEUlbttE_St5arrayIPcLm4EEEEviT0_T1_.num_named_barrier, 0
	.set _ZN2at6native29vectorized_elementwise_kernelILi16EZZZNS0_12_GLOBAL__N_117where_kernel_implERNS_14TensorIteratorEENKUlvE_clEvENKUlvE0_clEvEUlbttE_St5arrayIPcLm4EEEEviT0_T1_.private_seg_size, 0
	.set _ZN2at6native29vectorized_elementwise_kernelILi16EZZZNS0_12_GLOBAL__N_117where_kernel_implERNS_14TensorIteratorEENKUlvE_clEvENKUlvE0_clEvEUlbttE_St5arrayIPcLm4EEEEviT0_T1_.uses_vcc, 1
	.set _ZN2at6native29vectorized_elementwise_kernelILi16EZZZNS0_12_GLOBAL__N_117where_kernel_implERNS_14TensorIteratorEENKUlvE_clEvENKUlvE0_clEvEUlbttE_St5arrayIPcLm4EEEEviT0_T1_.uses_flat_scratch, 0
	.set _ZN2at6native29vectorized_elementwise_kernelILi16EZZZNS0_12_GLOBAL__N_117where_kernel_implERNS_14TensorIteratorEENKUlvE_clEvENKUlvE0_clEvEUlbttE_St5arrayIPcLm4EEEEviT0_T1_.has_dyn_sized_stack, 0
	.set _ZN2at6native29vectorized_elementwise_kernelILi16EZZZNS0_12_GLOBAL__N_117where_kernel_implERNS_14TensorIteratorEENKUlvE_clEvENKUlvE0_clEvEUlbttE_St5arrayIPcLm4EEEEviT0_T1_.has_recursion, 0
	.set _ZN2at6native29vectorized_elementwise_kernelILi16EZZZNS0_12_GLOBAL__N_117where_kernel_implERNS_14TensorIteratorEENKUlvE_clEvENKUlvE0_clEvEUlbttE_St5arrayIPcLm4EEEEviT0_T1_.has_indirect_call, 0
	.section	.AMDGPU.csdata,"",@progbits
; Kernel info:
; codeLenInByte = 3644
; TotalNumSgprs: 20
; NumVgprs: 50
; ScratchSize: 0
; MemoryBound: 0
; FloatMode: 240
; IeeeMode: 1
; LDSByteSize: 0 bytes/workgroup (compile time only)
; SGPRBlocks: 0
; VGPRBlocks: 3
; NumSGPRsForWavesPerEU: 20
; NumVGPRsForWavesPerEU: 50
; NamedBarCnt: 0
; Occupancy: 16
; WaveLimiterHint : 0
; COMPUTE_PGM_RSRC2:SCRATCH_EN: 0
; COMPUTE_PGM_RSRC2:USER_SGPR: 2
; COMPUTE_PGM_RSRC2:TRAP_HANDLER: 0
; COMPUTE_PGM_RSRC2:TGID_X_EN: 1
; COMPUTE_PGM_RSRC2:TGID_Y_EN: 0
; COMPUTE_PGM_RSRC2:TGID_Z_EN: 0
; COMPUTE_PGM_RSRC2:TIDIG_COMP_CNT: 0
	.section	.text._ZN2at6native29vectorized_elementwise_kernelILi8EZZZNS0_12_GLOBAL__N_117where_kernel_implERNS_14TensorIteratorEENKUlvE_clEvENKUlvE0_clEvEUlbttE_St5arrayIPcLm4EEEEviT0_T1_,"axG",@progbits,_ZN2at6native29vectorized_elementwise_kernelILi8EZZZNS0_12_GLOBAL__N_117where_kernel_implERNS_14TensorIteratorEENKUlvE_clEvENKUlvE0_clEvEUlbttE_St5arrayIPcLm4EEEEviT0_T1_,comdat
	.globl	_ZN2at6native29vectorized_elementwise_kernelILi8EZZZNS0_12_GLOBAL__N_117where_kernel_implERNS_14TensorIteratorEENKUlvE_clEvENKUlvE0_clEvEUlbttE_St5arrayIPcLm4EEEEviT0_T1_ ; -- Begin function _ZN2at6native29vectorized_elementwise_kernelILi8EZZZNS0_12_GLOBAL__N_117where_kernel_implERNS_14TensorIteratorEENKUlvE_clEvENKUlvE0_clEvEUlbttE_St5arrayIPcLm4EEEEviT0_T1_
	.p2align	8
	.type	_ZN2at6native29vectorized_elementwise_kernelILi8EZZZNS0_12_GLOBAL__N_117where_kernel_implERNS_14TensorIteratorEENKUlvE_clEvENKUlvE0_clEvEUlbttE_St5arrayIPcLm4EEEEviT0_T1_,@function
_ZN2at6native29vectorized_elementwise_kernelILi8EZZZNS0_12_GLOBAL__N_117where_kernel_implERNS_14TensorIteratorEENKUlvE_clEvENKUlvE0_clEvEUlbttE_St5arrayIPcLm4EEEEviT0_T1_: ; @_ZN2at6native29vectorized_elementwise_kernelILi8EZZZNS0_12_GLOBAL__N_117where_kernel_implERNS_14TensorIteratorEENKUlvE_clEvENKUlvE0_clEvEUlbttE_St5arrayIPcLm4EEEEviT0_T1_
; %bb.0:
	s_clause 0x1
	s_load_b32 s3, s[0:1], 0x0
	s_load_b256 s[4:11], s[0:1], 0x8
	s_wait_xcnt 0x0
	s_bfe_u32 s0, ttmp6, 0x4000c
	s_and_b32 s1, ttmp6, 15
	s_add_co_i32 s0, s0, 1
	s_getreg_b32 s2, hwreg(HW_REG_IB_STS2, 6, 4)
	s_mul_i32 s0, ttmp9, s0
	s_delay_alu instid0(SALU_CYCLE_1) | instskip(SKIP_2) | instid1(SALU_CYCLE_1)
	s_add_co_i32 s1, s1, s0
	s_cmp_eq_u32 s2, 0
	s_cselect_b32 s0, ttmp9, s1
	s_lshl_b32 s2, s0, 12
	s_mov_b32 s0, -1
	s_wait_kmcnt 0x0
	s_sub_co_i32 s12, s3, s2
	s_delay_alu instid0(SALU_CYCLE_1)
	s_cmp_gt_i32 s12, 0xfff
	s_cbranch_scc0 .LBB9_2
; %bb.1:
	s_ashr_i32 s3, s2, 31
	s_delay_alu instid0(SALU_CYCLE_1)
	s_add_nc_u64 s[0:1], s[6:7], s[2:3]
	s_clause 0x1
	global_load_b64 v[18:19], v0, s[0:1] scale_offset
	global_load_b64 v[20:21], v0, s[0:1] offset:2048 scale_offset
	s_wait_xcnt 0x0
	s_lshl_b64 s[0:1], s[2:3], 1
	s_delay_alu instid0(SALU_CYCLE_1)
	s_add_nc_u64 s[14:15], s[8:9], s[0:1]
	s_add_nc_u64 s[16:17], s[10:11], s[0:1]
	s_clause 0x3
	global_load_b128 v[2:5], v0, s[14:15] scale_offset
	global_load_b128 v[6:9], v0, s[16:17] scale_offset
	global_load_b128 v[10:13], v0, s[14:15] offset:4096 scale_offset
	global_load_b128 v[14:17], v0, s[16:17] offset:4096 scale_offset
	s_wait_xcnt 0x1
	s_add_nc_u64 s[14:15], s[4:5], s[0:1]
	s_mov_b32 s0, 0
	s_wait_loadcnt 0x5
	v_and_b32_e32 v1, 0xff0000, v18
	v_and_b32_e32 v26, 0xff, v18
	;; [unrolled: 1-line block ×4, first 2 shown]
	s_wait_loadcnt 0x2
	v_dual_lshrrev_b32 v34, 16, v7 :: v_dual_lshrrev_b32 v36, 16, v2
	v_cmp_eq_u32_e32 vcc_lo, 0, v1
	v_and_b32_e32 v23, 0xff0000, v20
	v_dual_lshrrev_b32 v33, 16, v3 :: v_dual_lshrrev_b32 v35, 16, v6
	v_and_b32_e32 v30, 0xff, v20
	v_cndmask_b32_e32 v1, v3, v7, vcc_lo
	v_cmp_eq_u32_e32 vcc_lo, 0, v26
	v_dual_lshrrev_b32 v38, 16, v9 :: v_dual_lshrrev_b32 v40, 16, v4
	v_and_b32_e32 v24, 0xff0000, v21
	v_and_b32_e32 v32, 0xff, v21
	v_cndmask_b32_e32 v2, v2, v6, vcc_lo
	v_cmp_eq_u32_e32 vcc_lo, 0, v22
	s_wait_loadcnt 0x0
	v_dual_lshrrev_b32 v42, 16, v15 :: v_dual_lshrrev_b32 v44, 16, v10
	v_and_b32_e32 v25, 0xff00, v18
	v_dual_lshrrev_b32 v37, 16, v5 :: v_dual_lshrrev_b32 v39, 16, v8
	v_cndmask_b32_e32 v3, v5, v9, vcc_lo
	v_cmp_eq_u32_e32 vcc_lo, 0, v28
	v_and_b32_e32 v27, 0xff00, v19
	v_dual_lshrrev_b32 v41, 16, v11 :: v_dual_lshrrev_b32 v43, 16, v14
	v_and_b32_e32 v29, 0xff00, v20
	v_cndmask_b32_e32 v4, v4, v8, vcc_lo
	v_cmp_eq_u32_e32 vcc_lo, 0, v23
	v_dual_lshrrev_b32 v46, 16, v17 :: v_dual_lshrrev_b32 v48, 16, v12
	v_dual_lshrrev_b32 v45, 16, v13 :: v_dual_lshrrev_b32 v47, 16, v16
	v_cndmask_b32_e32 v6, v11, v15, vcc_lo
	v_cmp_eq_u32_e32 vcc_lo, 0, v30
	v_and_b32_e32 v31, 0xff00, v21
	v_cndmask_b32_e32 v10, v10, v14, vcc_lo
	v_cmp_eq_u32_e32 vcc_lo, 0, v24
	v_cndmask_b32_e32 v7, v13, v17, vcc_lo
	v_cmp_eq_u32_e32 vcc_lo, 0, v32
	v_cndmask_b32_e32 v8, v12, v16, vcc_lo
	v_cmp_lt_u32_e32 vcc_lo, 0xffffff, v18
	v_cndmask_b32_e32 v9, v34, v33, vcc_lo
	v_cmp_eq_u32_e32 vcc_lo, 0, v25
	v_cndmask_b32_e32 v11, v36, v35, vcc_lo
	v_cmp_lt_u32_e32 vcc_lo, 0xffffff, v19
	s_delay_alu instid0(VALU_DEP_2) | instskip(SKIP_4) | instid1(VALU_DEP_4)
	v_perm_b32 v2, v11, v2, 0x5040100
	v_cndmask_b32_e32 v5, v38, v37, vcc_lo
	v_cmp_eq_u32_e32 vcc_lo, 0, v27
	v_cndmask_b32_e32 v12, v40, v39, vcc_lo
	v_cmp_lt_u32_e32 vcc_lo, 0xffffff, v20
	v_perm_b32 v5, v5, v3, 0x5040100
	v_perm_b32 v3, v9, v1, 0x5040100
	s_delay_alu instid0(VALU_DEP_4)
	v_perm_b32 v4, v12, v4, 0x5040100
	v_cndmask_b32_e32 v13, v42, v41, vcc_lo
	v_cmp_eq_u32_e32 vcc_lo, 0, v29
	v_cndmask_b32_e32 v14, v44, v43, vcc_lo
	v_cmp_lt_u32_e32 vcc_lo, 0xffffff, v21
	v_cndmask_b32_e32 v15, v46, v45, vcc_lo
	v_cmp_eq_u32_e32 vcc_lo, 0, v31
	v_cndmask_b32_e32 v16, v48, v47, vcc_lo
	s_delay_alu instid0(VALU_DEP_3) | instskip(SKIP_2) | instid1(VALU_DEP_4)
	v_perm_b32 v9, v15, v7, 0x5040100
	v_perm_b32 v7, v13, v6, 0x5040100
	;; [unrolled: 1-line block ×4, first 2 shown]
	s_clause 0x1
	global_store_b128 v0, v[2:5], s[14:15] scale_offset
	global_store_b128 v0, v[6:9], s[14:15] offset:4096 scale_offset
.LBB9_2:
	s_and_not1_b32 vcc_lo, exec_lo, s0
	s_cbranch_vccnz .LBB9_50
; %bb.3:
	v_cmp_gt_i32_e32 vcc_lo, s12, v0
	s_wait_xcnt 0x1
	v_dual_mov_b32 v1, 0 :: v_dual_bitop2_b32 v2, s2, v0 bitop3:0x54
	v_or_b32_e32 v3, 0x100, v0
	s_wait_xcnt 0x0
	v_dual_mov_b32 v4, 0 :: v_dual_mov_b32 v6, v0
	s_and_saveexec_b32 s1, vcc_lo
	s_cbranch_execz .LBB9_5
; %bb.4:
	s_clause 0x2
	global_load_u8 v4, v2, s[6:7]
	global_load_u16 v5, v2, s[8:9] scale_offset
	global_load_u16 v7, v2, s[10:11] scale_offset
	v_or_b32_e32 v6, 0x100, v0
	s_wait_loadcnt 0x2
	v_cmp_eq_u16_e64 s0, 0, v4
	s_wait_loadcnt 0x0
	s_delay_alu instid0(VALU_DEP_1)
	v_cndmask_b32_e64 v4, v5, v7, s0
.LBB9_5:
	s_wait_xcnt 0x0
	s_or_b32 exec_lo, exec_lo, s1
	s_delay_alu instid0(SALU_CYCLE_1)
	s_mov_b32 s1, exec_lo
	v_cmpx_gt_i32_e64 s12, v6
	s_cbranch_execz .LBB9_7
; %bb.6:
	v_add_nc_u32_e32 v1, s2, v6
	v_add_nc_u32_e32 v6, 0x100, v6
	s_clause 0x2
	global_load_u8 v5, v1, s[6:7]
	global_load_u16 v7, v1, s[8:9] scale_offset
	global_load_u16 v8, v1, s[10:11] scale_offset
	s_wait_loadcnt 0x2
	v_cmp_eq_u16_e64 s0, 0, v5
	s_wait_loadcnt 0x0
	s_delay_alu instid0(VALU_DEP_1)
	v_cndmask_b32_e64 v1, v7, v8, s0
.LBB9_7:
	s_or_b32 exec_lo, exec_lo, s1
	v_dual_mov_b32 v5, 0 :: v_dual_mov_b32 v7, 0
	s_mov_b32 s1, exec_lo
	v_cmpx_gt_i32_e64 s12, v6
	s_cbranch_execz .LBB9_9
; %bb.8:
	v_add_nc_u32_e32 v7, s2, v6
	v_add_nc_u32_e32 v6, 0x100, v6
	s_clause 0x2
	global_load_u8 v8, v7, s[6:7]
	global_load_u16 v9, v7, s[8:9] scale_offset
	global_load_u16 v10, v7, s[10:11] scale_offset
	s_wait_loadcnt 0x2
	v_cmp_eq_u16_e64 s0, 0, v8
	s_wait_loadcnt 0x0
	s_delay_alu instid0(VALU_DEP_1)
	v_cndmask_b32_e64 v7, v9, v10, s0
.LBB9_9:
	s_or_b32 exec_lo, exec_lo, s1
	s_delay_alu instid0(SALU_CYCLE_1)
	s_mov_b32 s1, exec_lo
	v_cmpx_gt_i32_e64 s12, v6
	s_cbranch_execz .LBB9_11
; %bb.10:
	v_add_nc_u32_e32 v5, s2, v6
	v_add_nc_u32_e32 v6, 0x100, v6
	s_clause 0x2
	global_load_u8 v8, v5, s[6:7]
	global_load_u16 v9, v5, s[8:9] scale_offset
	global_load_u16 v10, v5, s[10:11] scale_offset
	s_wait_loadcnt 0x2
	v_cmp_eq_u16_e64 s0, 0, v8
	s_wait_loadcnt 0x0
	s_delay_alu instid0(VALU_DEP_1)
	v_cndmask_b32_e64 v5, v9, v10, s0
.LBB9_11:
	s_or_b32 exec_lo, exec_lo, s1
	v_dual_mov_b32 v8, 0 :: v_dual_mov_b32 v9, 0
	s_mov_b32 s1, exec_lo
	v_cmpx_gt_i32_e64 s12, v6
	s_cbranch_execz .LBB9_13
; %bb.12:
	v_add_nc_u32_e32 v9, s2, v6
	v_add_nc_u32_e32 v6, 0x100, v6
	s_clause 0x2
	global_load_u8 v10, v9, s[6:7]
	global_load_u16 v11, v9, s[8:9] scale_offset
	global_load_u16 v12, v9, s[10:11] scale_offset
	s_wait_loadcnt 0x2
	v_cmp_eq_u16_e64 s0, 0, v10
	s_wait_loadcnt 0x0
	s_delay_alu instid0(VALU_DEP_1)
	v_cndmask_b32_e64 v9, v11, v12, s0
.LBB9_13:
	;; [unrolled: 36-line block ×6, first 2 shown]
	s_or_b32 exec_lo, exec_lo, s1
	s_delay_alu instid0(SALU_CYCLE_1)
	s_mov_b32 s1, exec_lo
	v_cmpx_gt_i32_e64 s12, v6
	s_cbranch_execz .LBB9_31
; %bb.30:
	v_add_nc_u32_e32 v16, s2, v6
	v_add_nc_u32_e32 v6, 0x100, v6
	s_clause 0x2
	global_load_u8 v18, v16, s[6:7]
	global_load_u16 v19, v16, s[8:9] scale_offset
	global_load_u16 v20, v16, s[10:11] scale_offset
	s_wait_loadcnt 0x2
	v_cmp_eq_u16_e64 s0, 0, v18
	s_wait_loadcnt 0x0
	s_delay_alu instid0(VALU_DEP_1)
	v_cndmask_b32_e64 v16, v19, v20, s0
.LBB9_31:
	s_or_b32 exec_lo, exec_lo, s1
	v_dual_mov_b32 v18, 0 :: v_dual_mov_b32 v19, 0
	s_mov_b32 s1, exec_lo
	v_cmpx_gt_i32_e64 s12, v6
	s_cbranch_execnz .LBB9_51
; %bb.32:
	s_or_b32 exec_lo, exec_lo, s1
	s_delay_alu instid0(SALU_CYCLE_1)
	s_mov_b32 s1, exec_lo
	v_cmpx_gt_i32_e64 s12, v6
	s_cbranch_execnz .LBB9_52
.LBB9_33:
	s_or_b32 exec_lo, exec_lo, s1
	s_and_saveexec_b32 s0, vcc_lo
	s_cbranch_execnz .LBB9_53
.LBB9_34:
	s_or_b32 exec_lo, exec_lo, s0
	s_delay_alu instid0(SALU_CYCLE_1)
	s_mov_b32 s0, exec_lo
	v_cmpx_gt_i32_e64 s12, v0
	s_cbranch_execnz .LBB9_54
.LBB9_35:
	s_or_b32 exec_lo, exec_lo, s0
	s_delay_alu instid0(SALU_CYCLE_1)
	s_mov_b32 s0, exec_lo
	v_cmpx_gt_i32_e64 s12, v0
	s_cbranch_execnz .LBB9_55
.LBB9_36:
	s_or_b32 exec_lo, exec_lo, s0
	s_delay_alu instid0(SALU_CYCLE_1)
	s_mov_b32 s0, exec_lo
	v_cmpx_gt_i32_e64 s12, v0
	s_cbranch_execnz .LBB9_56
.LBB9_37:
	s_or_b32 exec_lo, exec_lo, s0
	s_delay_alu instid0(SALU_CYCLE_1)
	s_mov_b32 s0, exec_lo
	v_cmpx_gt_i32_e64 s12, v0
	s_cbranch_execnz .LBB9_57
.LBB9_38:
	s_or_b32 exec_lo, exec_lo, s0
	s_delay_alu instid0(SALU_CYCLE_1)
	s_mov_b32 s0, exec_lo
	v_cmpx_gt_i32_e64 s12, v0
	s_cbranch_execnz .LBB9_58
.LBB9_39:
	s_or_b32 exec_lo, exec_lo, s0
	s_delay_alu instid0(SALU_CYCLE_1)
	s_mov_b32 s0, exec_lo
	v_cmpx_gt_i32_e64 s12, v0
	s_cbranch_execnz .LBB9_59
.LBB9_40:
	s_or_b32 exec_lo, exec_lo, s0
	s_delay_alu instid0(SALU_CYCLE_1)
	s_mov_b32 s0, exec_lo
	v_cmpx_gt_i32_e64 s12, v0
	s_cbranch_execnz .LBB9_60
.LBB9_41:
	s_or_b32 exec_lo, exec_lo, s0
	s_delay_alu instid0(SALU_CYCLE_1)
	s_mov_b32 s0, exec_lo
	v_cmpx_gt_i32_e64 s12, v0
	s_cbranch_execnz .LBB9_61
.LBB9_42:
	s_or_b32 exec_lo, exec_lo, s0
	s_delay_alu instid0(SALU_CYCLE_1)
	s_mov_b32 s0, exec_lo
	v_cmpx_gt_i32_e64 s12, v0
	s_cbranch_execnz .LBB9_62
.LBB9_43:
	s_or_b32 exec_lo, exec_lo, s0
	s_delay_alu instid0(SALU_CYCLE_1)
	s_mov_b32 s0, exec_lo
	v_cmpx_gt_i32_e64 s12, v0
	s_cbranch_execnz .LBB9_63
.LBB9_44:
	s_or_b32 exec_lo, exec_lo, s0
	s_delay_alu instid0(SALU_CYCLE_1)
	s_mov_b32 s0, exec_lo
	v_cmpx_gt_i32_e64 s12, v0
	s_cbranch_execnz .LBB9_64
.LBB9_45:
	s_or_b32 exec_lo, exec_lo, s0
	s_delay_alu instid0(SALU_CYCLE_1)
	s_mov_b32 s0, exec_lo
	v_cmpx_gt_i32_e64 s12, v0
	s_cbranch_execnz .LBB9_65
.LBB9_46:
	s_or_b32 exec_lo, exec_lo, s0
	s_delay_alu instid0(SALU_CYCLE_1)
	s_mov_b32 s0, exec_lo
	v_cmpx_gt_i32_e64 s12, v0
	s_cbranch_execnz .LBB9_66
.LBB9_47:
	s_or_b32 exec_lo, exec_lo, s0
	s_delay_alu instid0(SALU_CYCLE_1)
	s_mov_b32 s0, exec_lo
	v_cmpx_gt_i32_e64 s12, v0
	s_cbranch_execnz .LBB9_67
.LBB9_48:
	s_or_b32 exec_lo, exec_lo, s0
	s_delay_alu instid0(SALU_CYCLE_1)
	s_mov_b32 s0, exec_lo
	v_cmpx_gt_i32_e64 s12, v0
	s_cbranch_execz .LBB9_50
.LBB9_49:
	v_add_nc_u32_e32 v0, s2, v0
	global_store_b16 v0, v18, s[4:5] scale_offset
.LBB9_50:
	s_endpgm
.LBB9_51:
	v_add_nc_u32_e32 v19, s2, v6
	v_add_nc_u32_e32 v6, 0x100, v6
	s_clause 0x2
	global_load_u8 v20, v19, s[6:7]
	global_load_u16 v21, v19, s[8:9] scale_offset
	global_load_u16 v22, v19, s[10:11] scale_offset
	s_wait_loadcnt 0x2
	v_cmp_eq_u16_e64 s0, 0, v20
	s_wait_loadcnt 0x0
	s_delay_alu instid0(VALU_DEP_1) | instskip(SKIP_1) | instid1(SALU_CYCLE_1)
	v_cndmask_b32_e64 v19, v21, v22, s0
	s_or_b32 exec_lo, exec_lo, s1
	s_mov_b32 s1, exec_lo
	v_cmpx_gt_i32_e64 s12, v6
	s_cbranch_execz .LBB9_33
.LBB9_52:
	v_add_nc_u32_e32 v6, s2, v6
	s_clause 0x2
	global_load_u8 v18, v6, s[6:7]
	global_load_u16 v20, v6, s[8:9] scale_offset
	global_load_u16 v21, v6, s[10:11] scale_offset
	s_wait_loadcnt 0x2
	v_cmp_eq_u16_e64 s0, 0, v18
	s_wait_loadcnt 0x0
	s_delay_alu instid0(VALU_DEP_1)
	v_cndmask_b32_e64 v18, v20, v21, s0
	s_wait_xcnt 0x0
	s_or_b32 exec_lo, exec_lo, s1
	s_and_saveexec_b32 s0, vcc_lo
	s_cbranch_execz .LBB9_34
.LBB9_53:
	v_mov_b32_e32 v0, v3
	global_store_b16 v2, v4, s[4:5] scale_offset
	s_wait_xcnt 0x0
	s_or_b32 exec_lo, exec_lo, s0
	s_delay_alu instid0(SALU_CYCLE_1)
	s_mov_b32 s0, exec_lo
	v_cmpx_gt_i32_e64 s12, v0
	s_cbranch_execz .LBB9_35
.LBB9_54:
	v_add_nc_u32_e32 v2, s2, v0
	v_add_nc_u32_e32 v0, 0x100, v0
	global_store_b16 v2, v1, s[4:5] scale_offset
	s_wait_xcnt 0x0
	s_or_b32 exec_lo, exec_lo, s0
	s_delay_alu instid0(SALU_CYCLE_1)
	s_mov_b32 s0, exec_lo
	v_cmpx_gt_i32_e64 s12, v0
	s_cbranch_execz .LBB9_36
.LBB9_55:
	v_add_nc_u32_e32 v1, s2, v0
	v_add_nc_u32_e32 v0, 0x100, v0
	global_store_b16 v1, v7, s[4:5] scale_offset
	s_wait_xcnt 0x0
	s_or_b32 exec_lo, exec_lo, s0
	s_delay_alu instid0(SALU_CYCLE_1)
	s_mov_b32 s0, exec_lo
	v_cmpx_gt_i32_e64 s12, v0
	s_cbranch_execz .LBB9_37
.LBB9_56:
	v_add_nc_u32_e32 v1, s2, v0
	v_add_nc_u32_e32 v0, 0x100, v0
	global_store_b16 v1, v5, s[4:5] scale_offset
	s_wait_xcnt 0x0
	s_or_b32 exec_lo, exec_lo, s0
	s_delay_alu instid0(SALU_CYCLE_1)
	s_mov_b32 s0, exec_lo
	v_cmpx_gt_i32_e64 s12, v0
	s_cbranch_execz .LBB9_38
.LBB9_57:
	v_add_nc_u32_e32 v1, s2, v0
	v_add_nc_u32_e32 v0, 0x100, v0
	global_store_b16 v1, v9, s[4:5] scale_offset
	s_wait_xcnt 0x0
	s_or_b32 exec_lo, exec_lo, s0
	s_delay_alu instid0(SALU_CYCLE_1)
	s_mov_b32 s0, exec_lo
	v_cmpx_gt_i32_e64 s12, v0
	s_cbranch_execz .LBB9_39
.LBB9_58:
	v_add_nc_u32_e32 v1, s2, v0
	v_add_nc_u32_e32 v0, 0x100, v0
	global_store_b16 v1, v8, s[4:5] scale_offset
	s_wait_xcnt 0x0
	s_or_b32 exec_lo, exec_lo, s0
	s_delay_alu instid0(SALU_CYCLE_1)
	s_mov_b32 s0, exec_lo
	v_cmpx_gt_i32_e64 s12, v0
	s_cbranch_execz .LBB9_40
.LBB9_59:
	v_add_nc_u32_e32 v1, s2, v0
	v_add_nc_u32_e32 v0, 0x100, v0
	global_store_b16 v1, v11, s[4:5] scale_offset
	s_wait_xcnt 0x0
	s_or_b32 exec_lo, exec_lo, s0
	s_delay_alu instid0(SALU_CYCLE_1)
	s_mov_b32 s0, exec_lo
	v_cmpx_gt_i32_e64 s12, v0
	s_cbranch_execz .LBB9_41
.LBB9_60:
	v_add_nc_u32_e32 v1, s2, v0
	v_add_nc_u32_e32 v0, 0x100, v0
	global_store_b16 v1, v10, s[4:5] scale_offset
	s_wait_xcnt 0x0
	s_or_b32 exec_lo, exec_lo, s0
	s_delay_alu instid0(SALU_CYCLE_1)
	s_mov_b32 s0, exec_lo
	v_cmpx_gt_i32_e64 s12, v0
	s_cbranch_execz .LBB9_42
.LBB9_61:
	v_add_nc_u32_e32 v1, s2, v0
	v_add_nc_u32_e32 v0, 0x100, v0
	global_store_b16 v1, v13, s[4:5] scale_offset
	s_wait_xcnt 0x0
	s_or_b32 exec_lo, exec_lo, s0
	s_delay_alu instid0(SALU_CYCLE_1)
	s_mov_b32 s0, exec_lo
	v_cmpx_gt_i32_e64 s12, v0
	s_cbranch_execz .LBB9_43
.LBB9_62:
	v_add_nc_u32_e32 v1, s2, v0
	v_add_nc_u32_e32 v0, 0x100, v0
	global_store_b16 v1, v12, s[4:5] scale_offset
	s_wait_xcnt 0x0
	s_or_b32 exec_lo, exec_lo, s0
	s_delay_alu instid0(SALU_CYCLE_1)
	s_mov_b32 s0, exec_lo
	v_cmpx_gt_i32_e64 s12, v0
	s_cbranch_execz .LBB9_44
.LBB9_63:
	v_add_nc_u32_e32 v1, s2, v0
	v_add_nc_u32_e32 v0, 0x100, v0
	global_store_b16 v1, v15, s[4:5] scale_offset
	s_wait_xcnt 0x0
	s_or_b32 exec_lo, exec_lo, s0
	s_delay_alu instid0(SALU_CYCLE_1)
	s_mov_b32 s0, exec_lo
	v_cmpx_gt_i32_e64 s12, v0
	s_cbranch_execz .LBB9_45
.LBB9_64:
	v_add_nc_u32_e32 v1, s2, v0
	v_add_nc_u32_e32 v0, 0x100, v0
	global_store_b16 v1, v14, s[4:5] scale_offset
	s_wait_xcnt 0x0
	s_or_b32 exec_lo, exec_lo, s0
	s_delay_alu instid0(SALU_CYCLE_1)
	s_mov_b32 s0, exec_lo
	v_cmpx_gt_i32_e64 s12, v0
	s_cbranch_execz .LBB9_46
.LBB9_65:
	v_add_nc_u32_e32 v1, s2, v0
	v_add_nc_u32_e32 v0, 0x100, v0
	global_store_b16 v1, v17, s[4:5] scale_offset
	s_wait_xcnt 0x0
	s_or_b32 exec_lo, exec_lo, s0
	s_delay_alu instid0(SALU_CYCLE_1)
	s_mov_b32 s0, exec_lo
	v_cmpx_gt_i32_e64 s12, v0
	s_cbranch_execz .LBB9_47
.LBB9_66:
	v_add_nc_u32_e32 v1, s2, v0
	v_add_nc_u32_e32 v0, 0x100, v0
	global_store_b16 v1, v16, s[4:5] scale_offset
	s_wait_xcnt 0x0
	s_or_b32 exec_lo, exec_lo, s0
	s_delay_alu instid0(SALU_CYCLE_1)
	s_mov_b32 s0, exec_lo
	v_cmpx_gt_i32_e64 s12, v0
	s_cbranch_execz .LBB9_48
.LBB9_67:
	v_add_nc_u32_e32 v1, s2, v0
	v_add_nc_u32_e32 v0, 0x100, v0
	global_store_b16 v1, v19, s[4:5] scale_offset
	s_wait_xcnt 0x0
	s_or_b32 exec_lo, exec_lo, s0
	s_delay_alu instid0(SALU_CYCLE_1)
	s_mov_b32 s0, exec_lo
	v_cmpx_gt_i32_e64 s12, v0
	s_cbranch_execnz .LBB9_49
	s_branch .LBB9_50
	.section	.rodata,"a",@progbits
	.p2align	6, 0x0
	.amdhsa_kernel _ZN2at6native29vectorized_elementwise_kernelILi8EZZZNS0_12_GLOBAL__N_117where_kernel_implERNS_14TensorIteratorEENKUlvE_clEvENKUlvE0_clEvEUlbttE_St5arrayIPcLm4EEEEviT0_T1_
		.amdhsa_group_segment_fixed_size 0
		.amdhsa_private_segment_fixed_size 0
		.amdhsa_kernarg_size 40
		.amdhsa_user_sgpr_count 2
		.amdhsa_user_sgpr_dispatch_ptr 0
		.amdhsa_user_sgpr_queue_ptr 0
		.amdhsa_user_sgpr_kernarg_segment_ptr 1
		.amdhsa_user_sgpr_dispatch_id 0
		.amdhsa_user_sgpr_kernarg_preload_length 0
		.amdhsa_user_sgpr_kernarg_preload_offset 0
		.amdhsa_user_sgpr_private_segment_size 0
		.amdhsa_wavefront_size32 1
		.amdhsa_uses_dynamic_stack 0
		.amdhsa_enable_private_segment 0
		.amdhsa_system_sgpr_workgroup_id_x 1
		.amdhsa_system_sgpr_workgroup_id_y 0
		.amdhsa_system_sgpr_workgroup_id_z 0
		.amdhsa_system_sgpr_workgroup_info 0
		.amdhsa_system_vgpr_workitem_id 0
		.amdhsa_next_free_vgpr 49
		.amdhsa_next_free_sgpr 18
		.amdhsa_named_barrier_count 0
		.amdhsa_reserve_vcc 1
		.amdhsa_float_round_mode_32 0
		.amdhsa_float_round_mode_16_64 0
		.amdhsa_float_denorm_mode_32 3
		.amdhsa_float_denorm_mode_16_64 3
		.amdhsa_fp16_overflow 0
		.amdhsa_memory_ordered 1
		.amdhsa_forward_progress 1
		.amdhsa_inst_pref_size 29
		.amdhsa_round_robin_scheduling 0
		.amdhsa_exception_fp_ieee_invalid_op 0
		.amdhsa_exception_fp_denorm_src 0
		.amdhsa_exception_fp_ieee_div_zero 0
		.amdhsa_exception_fp_ieee_overflow 0
		.amdhsa_exception_fp_ieee_underflow 0
		.amdhsa_exception_fp_ieee_inexact 0
		.amdhsa_exception_int_div_zero 0
	.end_amdhsa_kernel
	.section	.text._ZN2at6native29vectorized_elementwise_kernelILi8EZZZNS0_12_GLOBAL__N_117where_kernel_implERNS_14TensorIteratorEENKUlvE_clEvENKUlvE0_clEvEUlbttE_St5arrayIPcLm4EEEEviT0_T1_,"axG",@progbits,_ZN2at6native29vectorized_elementwise_kernelILi8EZZZNS0_12_GLOBAL__N_117where_kernel_implERNS_14TensorIteratorEENKUlvE_clEvENKUlvE0_clEvEUlbttE_St5arrayIPcLm4EEEEviT0_T1_,comdat
.Lfunc_end9:
	.size	_ZN2at6native29vectorized_elementwise_kernelILi8EZZZNS0_12_GLOBAL__N_117where_kernel_implERNS_14TensorIteratorEENKUlvE_clEvENKUlvE0_clEvEUlbttE_St5arrayIPcLm4EEEEviT0_T1_, .Lfunc_end9-_ZN2at6native29vectorized_elementwise_kernelILi8EZZZNS0_12_GLOBAL__N_117where_kernel_implERNS_14TensorIteratorEENKUlvE_clEvENKUlvE0_clEvEUlbttE_St5arrayIPcLm4EEEEviT0_T1_
                                        ; -- End function
	.set _ZN2at6native29vectorized_elementwise_kernelILi8EZZZNS0_12_GLOBAL__N_117where_kernel_implERNS_14TensorIteratorEENKUlvE_clEvENKUlvE0_clEvEUlbttE_St5arrayIPcLm4EEEEviT0_T1_.num_vgpr, 49
	.set _ZN2at6native29vectorized_elementwise_kernelILi8EZZZNS0_12_GLOBAL__N_117where_kernel_implERNS_14TensorIteratorEENKUlvE_clEvENKUlvE0_clEvEUlbttE_St5arrayIPcLm4EEEEviT0_T1_.num_agpr, 0
	.set _ZN2at6native29vectorized_elementwise_kernelILi8EZZZNS0_12_GLOBAL__N_117where_kernel_implERNS_14TensorIteratorEENKUlvE_clEvENKUlvE0_clEvEUlbttE_St5arrayIPcLm4EEEEviT0_T1_.numbered_sgpr, 18
	.set _ZN2at6native29vectorized_elementwise_kernelILi8EZZZNS0_12_GLOBAL__N_117where_kernel_implERNS_14TensorIteratorEENKUlvE_clEvENKUlvE0_clEvEUlbttE_St5arrayIPcLm4EEEEviT0_T1_.num_named_barrier, 0
	.set _ZN2at6native29vectorized_elementwise_kernelILi8EZZZNS0_12_GLOBAL__N_117where_kernel_implERNS_14TensorIteratorEENKUlvE_clEvENKUlvE0_clEvEUlbttE_St5arrayIPcLm4EEEEviT0_T1_.private_seg_size, 0
	.set _ZN2at6native29vectorized_elementwise_kernelILi8EZZZNS0_12_GLOBAL__N_117where_kernel_implERNS_14TensorIteratorEENKUlvE_clEvENKUlvE0_clEvEUlbttE_St5arrayIPcLm4EEEEviT0_T1_.uses_vcc, 1
	.set _ZN2at6native29vectorized_elementwise_kernelILi8EZZZNS0_12_GLOBAL__N_117where_kernel_implERNS_14TensorIteratorEENKUlvE_clEvENKUlvE0_clEvEUlbttE_St5arrayIPcLm4EEEEviT0_T1_.uses_flat_scratch, 0
	.set _ZN2at6native29vectorized_elementwise_kernelILi8EZZZNS0_12_GLOBAL__N_117where_kernel_implERNS_14TensorIteratorEENKUlvE_clEvENKUlvE0_clEvEUlbttE_St5arrayIPcLm4EEEEviT0_T1_.has_dyn_sized_stack, 0
	.set _ZN2at6native29vectorized_elementwise_kernelILi8EZZZNS0_12_GLOBAL__N_117where_kernel_implERNS_14TensorIteratorEENKUlvE_clEvENKUlvE0_clEvEUlbttE_St5arrayIPcLm4EEEEviT0_T1_.has_recursion, 0
	.set _ZN2at6native29vectorized_elementwise_kernelILi8EZZZNS0_12_GLOBAL__N_117where_kernel_implERNS_14TensorIteratorEENKUlvE_clEvENKUlvE0_clEvEUlbttE_St5arrayIPcLm4EEEEviT0_T1_.has_indirect_call, 0
	.section	.AMDGPU.csdata,"",@progbits
; Kernel info:
; codeLenInByte = 3632
; TotalNumSgprs: 20
; NumVgprs: 49
; ScratchSize: 0
; MemoryBound: 0
; FloatMode: 240
; IeeeMode: 1
; LDSByteSize: 0 bytes/workgroup (compile time only)
; SGPRBlocks: 0
; VGPRBlocks: 3
; NumSGPRsForWavesPerEU: 20
; NumVGPRsForWavesPerEU: 49
; NamedBarCnt: 0
; Occupancy: 16
; WaveLimiterHint : 1
; COMPUTE_PGM_RSRC2:SCRATCH_EN: 0
; COMPUTE_PGM_RSRC2:USER_SGPR: 2
; COMPUTE_PGM_RSRC2:TRAP_HANDLER: 0
; COMPUTE_PGM_RSRC2:TGID_X_EN: 1
; COMPUTE_PGM_RSRC2:TGID_Y_EN: 0
; COMPUTE_PGM_RSRC2:TGID_Z_EN: 0
; COMPUTE_PGM_RSRC2:TIDIG_COMP_CNT: 0
	.section	.text._ZN2at6native29vectorized_elementwise_kernelILi4EZZZNS0_12_GLOBAL__N_117where_kernel_implERNS_14TensorIteratorEENKUlvE_clEvENKUlvE0_clEvEUlbttE_St5arrayIPcLm4EEEEviT0_T1_,"axG",@progbits,_ZN2at6native29vectorized_elementwise_kernelILi4EZZZNS0_12_GLOBAL__N_117where_kernel_implERNS_14TensorIteratorEENKUlvE_clEvENKUlvE0_clEvEUlbttE_St5arrayIPcLm4EEEEviT0_T1_,comdat
	.globl	_ZN2at6native29vectorized_elementwise_kernelILi4EZZZNS0_12_GLOBAL__N_117where_kernel_implERNS_14TensorIteratorEENKUlvE_clEvENKUlvE0_clEvEUlbttE_St5arrayIPcLm4EEEEviT0_T1_ ; -- Begin function _ZN2at6native29vectorized_elementwise_kernelILi4EZZZNS0_12_GLOBAL__N_117where_kernel_implERNS_14TensorIteratorEENKUlvE_clEvENKUlvE0_clEvEUlbttE_St5arrayIPcLm4EEEEviT0_T1_
	.p2align	8
	.type	_ZN2at6native29vectorized_elementwise_kernelILi4EZZZNS0_12_GLOBAL__N_117where_kernel_implERNS_14TensorIteratorEENKUlvE_clEvENKUlvE0_clEvEUlbttE_St5arrayIPcLm4EEEEviT0_T1_,@function
_ZN2at6native29vectorized_elementwise_kernelILi4EZZZNS0_12_GLOBAL__N_117where_kernel_implERNS_14TensorIteratorEENKUlvE_clEvENKUlvE0_clEvEUlbttE_St5arrayIPcLm4EEEEviT0_T1_: ; @_ZN2at6native29vectorized_elementwise_kernelILi4EZZZNS0_12_GLOBAL__N_117where_kernel_implERNS_14TensorIteratorEENKUlvE_clEvENKUlvE0_clEvEUlbttE_St5arrayIPcLm4EEEEviT0_T1_
; %bb.0:
	s_clause 0x1
	s_load_b32 s3, s[0:1], 0x0
	s_load_b256 s[4:11], s[0:1], 0x8
	s_wait_xcnt 0x0
	s_bfe_u32 s0, ttmp6, 0x4000c
	s_and_b32 s1, ttmp6, 15
	s_add_co_i32 s0, s0, 1
	s_getreg_b32 s2, hwreg(HW_REG_IB_STS2, 6, 4)
	s_mul_i32 s0, ttmp9, s0
	s_delay_alu instid0(SALU_CYCLE_1) | instskip(SKIP_2) | instid1(SALU_CYCLE_1)
	s_add_co_i32 s1, s1, s0
	s_cmp_eq_u32 s2, 0
	s_cselect_b32 s0, ttmp9, s1
	s_lshl_b32 s2, s0, 12
	s_mov_b32 s0, -1
	s_wait_kmcnt 0x0
	s_sub_co_i32 s1, s3, s2
	s_delay_alu instid0(SALU_CYCLE_1)
	s_cmp_gt_i32 s1, 0xfff
	s_cbranch_scc0 .LBB10_2
; %bb.1:
	s_ashr_i32 s3, s2, 31
	s_mov_b32 s0, 0
	s_add_nc_u64 s[12:13], s[6:7], s[2:3]
	s_lshl_b64 s[14:15], s[2:3], 1
	s_clause 0x3
	global_load_b32 v1, v0, s[12:13] scale_offset
	global_load_b32 v18, v0, s[12:13] offset:1024 scale_offset
	global_load_b32 v19, v0, s[12:13] offset:2048 scale_offset
	;; [unrolled: 1-line block ×3, first 2 shown]
	s_wait_xcnt 0x0
	s_add_nc_u64 s[12:13], s[8:9], s[14:15]
	s_add_nc_u64 s[16:17], s[10:11], s[14:15]
	s_clause 0x7
	global_load_b64 v[2:3], v0, s[12:13] scale_offset
	global_load_b64 v[4:5], v0, s[16:17] scale_offset
	global_load_b64 v[6:7], v0, s[12:13] offset:2048 scale_offset
	global_load_b64 v[8:9], v0, s[16:17] offset:2048 scale_offset
	global_load_b64 v[10:11], v0, s[16:17] offset:4096 scale_offset
	global_load_b64 v[12:13], v0, s[12:13] offset:4096 scale_offset
	global_load_b64 v[14:15], v0, s[12:13] offset:6144 scale_offset
	global_load_b64 v[16:17], v0, s[16:17] offset:6144 scale_offset
	s_wait_xcnt 0x1
	s_add_nc_u64 s[12:13], s[4:5], s[14:15]
	s_wait_loadcnt 0xb
	v_cmp_lt_u32_e32 vcc_lo, 0xffffff, v1
	v_and_b32_e32 v21, 0xff, v1
	v_and_b32_e32 v22, 0xff00, v1
	;; [unrolled: 1-line block ×3, first 2 shown]
	s_wait_loadcnt 0xa
	v_and_b32_e32 v24, 0xff, v18
	s_wait_loadcnt 0x6
	v_cndmask_b32_e32 v1, v5, v3, vcc_lo
	v_cmp_lt_u32_e32 vcc_lo, 0xffffff, v18
	v_and_b32_e32 v25, 0xff00, v18
	v_and_b32_e32 v26, 0xff0000, v18
	;; [unrolled: 1-line block ×4, first 2 shown]
	s_wait_loadcnt 0x4
	v_cndmask_b32_e32 v18, v9, v7, vcc_lo
	v_cmp_lt_u32_e32 vcc_lo, 0xffffff, v19
	v_and_b32_e32 v29, 0xff0000, v19
	v_and_b32_e32 v30, 0xff, v20
	;; [unrolled: 1-line block ×4, first 2 shown]
	s_wait_loadcnt 0x2
	v_cndmask_b32_e32 v19, v11, v13, vcc_lo
	v_cmp_lt_u32_e32 vcc_lo, 0xffffff, v20
	v_and_b32_e32 v1, 0xffff0000, v1
	s_wait_loadcnt 0x0
	v_cndmask_b32_e32 v20, v17, v15, vcc_lo
	v_cmp_eq_u32_e32 vcc_lo, 0, v21
	v_cndmask_b32_e32 v21, v2, v4, vcc_lo
	v_cmp_eq_u32_e32 vcc_lo, 0, v22
	;; [unrolled: 2-line block ×3, first 2 shown]
	s_delay_alu instid0(VALU_DEP_2) | instskip(SKIP_4) | instid1(VALU_DEP_4)
	v_bfi_b32 v2, 0xffff, v21, v2
	v_cndmask_b32_e32 v3, v3, v5, vcc_lo
	v_cmp_eq_u32_e32 vcc_lo, 0, v24
	v_cndmask_b32_e32 v4, v6, v8, vcc_lo
	v_cmp_eq_u32_e32 vcc_lo, 0, v25
	v_and_b32_e32 v3, 0xffff, v3
	v_cndmask_b32_e32 v5, v6, v8, vcc_lo
	v_cmp_eq_u32_e32 vcc_lo, 0, v26
	s_delay_alu instid0(VALU_DEP_3) | instskip(SKIP_3) | instid1(VALU_DEP_3)
	v_or_b32_e32 v3, v3, v1
	v_cndmask_b32_e32 v6, v7, v9, vcc_lo
	v_cmp_eq_u32_e32 vcc_lo, 0, v27
	v_bfi_b32 v4, 0xffff, v4, v5
	v_and_b32_e32 v5, 0xffff, v6
	v_cndmask_b32_e32 v7, v12, v10, vcc_lo
	v_cmp_eq_u32_e32 vcc_lo, 0, v28
	v_cndmask_b32_e32 v8, v12, v10, vcc_lo
	v_cmp_eq_u32_e32 vcc_lo, 0, v29
	s_delay_alu instid0(VALU_DEP_2)
	v_bfi_b32 v6, 0xffff, v7, v8
	v_cndmask_b32_e32 v9, v13, v11, vcc_lo
	v_cmp_eq_u32_e32 vcc_lo, 0, v30
	v_and_b32_e32 v13, 0xffff0000, v18
	v_cndmask_b32_e32 v10, v14, v16, vcc_lo
	v_cmp_eq_u32_e32 vcc_lo, 0, v31
	v_and_b32_e32 v7, 0xffff, v9
	s_delay_alu instid0(VALU_DEP_4) | instskip(SKIP_4) | instid1(VALU_DEP_3)
	v_dual_cndmask_b32 v11, v14, v16, vcc_lo :: v_dual_bitop2_b32 v5, v5, v13 bitop3:0x54
	v_cmp_eq_u32_e32 vcc_lo, 0, v32
	v_and_b32_e32 v14, 0xffff0000, v19
	v_cndmask_b32_e32 v12, v15, v17, vcc_lo
	v_and_b32_e32 v15, 0xffff0000, v20
	v_or_b32_e32 v7, v7, v14
	v_bfi_b32 v8, 0xffff, v10, v11
	s_delay_alu instid0(VALU_DEP_4) | instskip(NEXT) | instid1(VALU_DEP_1)
	v_and_b32_e32 v9, 0xffff, v12
	v_or_b32_e32 v9, v9, v15
	s_clause 0x3
	global_store_b64 v0, v[2:3], s[12:13] scale_offset
	global_store_b64 v0, v[4:5], s[12:13] offset:2048 scale_offset
	global_store_b64 v0, v[6:7], s[12:13] offset:4096 scale_offset
	;; [unrolled: 1-line block ×3, first 2 shown]
.LBB10_2:
	s_and_not1_b32 vcc_lo, exec_lo, s0
	s_cbranch_vccnz .LBB10_50
; %bb.3:
	v_cmp_gt_i32_e32 vcc_lo, s1, v0
	s_wait_xcnt 0x3
	v_dual_mov_b32 v1, 0 :: v_dual_bitop2_b32 v2, s2, v0 bitop3:0x54
	v_or_b32_e32 v3, 0x100, v0
	s_wait_xcnt 0x1
	v_dual_mov_b32 v4, 0 :: v_dual_mov_b32 v6, v0
	s_wait_xcnt 0x0
	s_and_saveexec_b32 s3, vcc_lo
	s_cbranch_execz .LBB10_5
; %bb.4:
	s_clause 0x2
	global_load_u8 v4, v2, s[6:7]
	global_load_u16 v5, v2, s[8:9] scale_offset
	global_load_u16 v7, v2, s[10:11] scale_offset
	v_or_b32_e32 v6, 0x100, v0
	s_wait_loadcnt 0x2
	v_cmp_eq_u16_e64 s0, 0, v4
	s_wait_loadcnt 0x0
	s_delay_alu instid0(VALU_DEP_1)
	v_cndmask_b32_e64 v4, v5, v7, s0
.LBB10_5:
	s_wait_xcnt 0x0
	s_or_b32 exec_lo, exec_lo, s3
	s_delay_alu instid0(SALU_CYCLE_1)
	s_mov_b32 s3, exec_lo
	v_cmpx_gt_i32_e64 s1, v6
	s_cbranch_execz .LBB10_7
; %bb.6:
	v_add_nc_u32_e32 v1, s2, v6
	v_add_nc_u32_e32 v6, 0x100, v6
	s_clause 0x2
	global_load_u8 v5, v1, s[6:7]
	global_load_u16 v7, v1, s[8:9] scale_offset
	global_load_u16 v8, v1, s[10:11] scale_offset
	s_wait_loadcnt 0x2
	v_cmp_eq_u16_e64 s0, 0, v5
	s_wait_loadcnt 0x0
	s_delay_alu instid0(VALU_DEP_1)
	v_cndmask_b32_e64 v1, v7, v8, s0
.LBB10_7:
	s_or_b32 exec_lo, exec_lo, s3
	v_dual_mov_b32 v5, 0 :: v_dual_mov_b32 v7, 0
	s_mov_b32 s3, exec_lo
	v_cmpx_gt_i32_e64 s1, v6
	s_cbranch_execz .LBB10_9
; %bb.8:
	v_add_nc_u32_e32 v7, s2, v6
	v_add_nc_u32_e32 v6, 0x100, v6
	s_clause 0x2
	global_load_u8 v8, v7, s[6:7]
	global_load_u16 v9, v7, s[8:9] scale_offset
	global_load_u16 v10, v7, s[10:11] scale_offset
	s_wait_loadcnt 0x2
	v_cmp_eq_u16_e64 s0, 0, v8
	s_wait_loadcnt 0x0
	s_delay_alu instid0(VALU_DEP_1)
	v_cndmask_b32_e64 v7, v9, v10, s0
.LBB10_9:
	s_or_b32 exec_lo, exec_lo, s3
	s_delay_alu instid0(SALU_CYCLE_1)
	s_mov_b32 s3, exec_lo
	v_cmpx_gt_i32_e64 s1, v6
	s_cbranch_execz .LBB10_11
; %bb.10:
	v_add_nc_u32_e32 v5, s2, v6
	v_add_nc_u32_e32 v6, 0x100, v6
	s_clause 0x2
	global_load_u8 v8, v5, s[6:7]
	global_load_u16 v9, v5, s[8:9] scale_offset
	global_load_u16 v10, v5, s[10:11] scale_offset
	s_wait_loadcnt 0x2
	v_cmp_eq_u16_e64 s0, 0, v8
	s_wait_loadcnt 0x0
	s_delay_alu instid0(VALU_DEP_1)
	v_cndmask_b32_e64 v5, v9, v10, s0
.LBB10_11:
	s_or_b32 exec_lo, exec_lo, s3
	v_dual_mov_b32 v8, 0 :: v_dual_mov_b32 v9, 0
	s_mov_b32 s3, exec_lo
	v_cmpx_gt_i32_e64 s1, v6
	s_cbranch_execz .LBB10_13
; %bb.12:
	v_add_nc_u32_e32 v9, s2, v6
	v_add_nc_u32_e32 v6, 0x100, v6
	s_clause 0x2
	global_load_u8 v10, v9, s[6:7]
	global_load_u16 v11, v9, s[8:9] scale_offset
	global_load_u16 v12, v9, s[10:11] scale_offset
	s_wait_loadcnt 0x2
	v_cmp_eq_u16_e64 s0, 0, v10
	s_wait_loadcnt 0x0
	s_delay_alu instid0(VALU_DEP_1)
	v_cndmask_b32_e64 v9, v11, v12, s0
.LBB10_13:
	;; [unrolled: 36-line block ×6, first 2 shown]
	s_or_b32 exec_lo, exec_lo, s3
	s_delay_alu instid0(SALU_CYCLE_1)
	s_mov_b32 s3, exec_lo
	v_cmpx_gt_i32_e64 s1, v6
	s_cbranch_execz .LBB10_31
; %bb.30:
	v_add_nc_u32_e32 v16, s2, v6
	v_add_nc_u32_e32 v6, 0x100, v6
	s_clause 0x2
	global_load_u8 v18, v16, s[6:7]
	global_load_u16 v19, v16, s[8:9] scale_offset
	global_load_u16 v20, v16, s[10:11] scale_offset
	s_wait_loadcnt 0x2
	v_cmp_eq_u16_e64 s0, 0, v18
	s_wait_loadcnt 0x0
	s_delay_alu instid0(VALU_DEP_1)
	v_cndmask_b32_e64 v16, v19, v20, s0
.LBB10_31:
	s_or_b32 exec_lo, exec_lo, s3
	v_dual_mov_b32 v18, 0 :: v_dual_mov_b32 v19, 0
	s_mov_b32 s3, exec_lo
	v_cmpx_gt_i32_e64 s1, v6
	s_cbranch_execnz .LBB10_51
; %bb.32:
	s_or_b32 exec_lo, exec_lo, s3
	s_delay_alu instid0(SALU_CYCLE_1)
	s_mov_b32 s3, exec_lo
	v_cmpx_gt_i32_e64 s1, v6
	s_cbranch_execnz .LBB10_52
.LBB10_33:
	s_or_b32 exec_lo, exec_lo, s3
	s_and_saveexec_b32 s0, vcc_lo
	s_cbranch_execnz .LBB10_53
.LBB10_34:
	s_or_b32 exec_lo, exec_lo, s0
	s_delay_alu instid0(SALU_CYCLE_1)
	s_mov_b32 s0, exec_lo
	v_cmpx_gt_i32_e64 s1, v0
	s_cbranch_execnz .LBB10_54
.LBB10_35:
	s_or_b32 exec_lo, exec_lo, s0
	s_delay_alu instid0(SALU_CYCLE_1)
	s_mov_b32 s0, exec_lo
	v_cmpx_gt_i32_e64 s1, v0
	s_cbranch_execnz .LBB10_55
.LBB10_36:
	s_or_b32 exec_lo, exec_lo, s0
	s_delay_alu instid0(SALU_CYCLE_1)
	s_mov_b32 s0, exec_lo
	v_cmpx_gt_i32_e64 s1, v0
	s_cbranch_execnz .LBB10_56
.LBB10_37:
	s_or_b32 exec_lo, exec_lo, s0
	s_delay_alu instid0(SALU_CYCLE_1)
	s_mov_b32 s0, exec_lo
	v_cmpx_gt_i32_e64 s1, v0
	s_cbranch_execnz .LBB10_57
.LBB10_38:
	s_or_b32 exec_lo, exec_lo, s0
	s_delay_alu instid0(SALU_CYCLE_1)
	s_mov_b32 s0, exec_lo
	v_cmpx_gt_i32_e64 s1, v0
	s_cbranch_execnz .LBB10_58
.LBB10_39:
	s_or_b32 exec_lo, exec_lo, s0
	s_delay_alu instid0(SALU_CYCLE_1)
	s_mov_b32 s0, exec_lo
	v_cmpx_gt_i32_e64 s1, v0
	s_cbranch_execnz .LBB10_59
.LBB10_40:
	s_or_b32 exec_lo, exec_lo, s0
	s_delay_alu instid0(SALU_CYCLE_1)
	s_mov_b32 s0, exec_lo
	v_cmpx_gt_i32_e64 s1, v0
	s_cbranch_execnz .LBB10_60
.LBB10_41:
	s_or_b32 exec_lo, exec_lo, s0
	s_delay_alu instid0(SALU_CYCLE_1)
	s_mov_b32 s0, exec_lo
	v_cmpx_gt_i32_e64 s1, v0
	s_cbranch_execnz .LBB10_61
.LBB10_42:
	s_or_b32 exec_lo, exec_lo, s0
	s_delay_alu instid0(SALU_CYCLE_1)
	s_mov_b32 s0, exec_lo
	v_cmpx_gt_i32_e64 s1, v0
	s_cbranch_execnz .LBB10_62
.LBB10_43:
	s_or_b32 exec_lo, exec_lo, s0
	s_delay_alu instid0(SALU_CYCLE_1)
	s_mov_b32 s0, exec_lo
	v_cmpx_gt_i32_e64 s1, v0
	s_cbranch_execnz .LBB10_63
.LBB10_44:
	s_or_b32 exec_lo, exec_lo, s0
	s_delay_alu instid0(SALU_CYCLE_1)
	s_mov_b32 s0, exec_lo
	v_cmpx_gt_i32_e64 s1, v0
	s_cbranch_execnz .LBB10_64
.LBB10_45:
	s_or_b32 exec_lo, exec_lo, s0
	s_delay_alu instid0(SALU_CYCLE_1)
	s_mov_b32 s0, exec_lo
	v_cmpx_gt_i32_e64 s1, v0
	s_cbranch_execnz .LBB10_65
.LBB10_46:
	s_or_b32 exec_lo, exec_lo, s0
	s_delay_alu instid0(SALU_CYCLE_1)
	s_mov_b32 s0, exec_lo
	v_cmpx_gt_i32_e64 s1, v0
	s_cbranch_execnz .LBB10_66
.LBB10_47:
	s_or_b32 exec_lo, exec_lo, s0
	s_delay_alu instid0(SALU_CYCLE_1)
	s_mov_b32 s0, exec_lo
	v_cmpx_gt_i32_e64 s1, v0
	s_cbranch_execnz .LBB10_67
.LBB10_48:
	s_or_b32 exec_lo, exec_lo, s0
	s_delay_alu instid0(SALU_CYCLE_1)
	s_mov_b32 s0, exec_lo
	v_cmpx_gt_i32_e64 s1, v0
	s_cbranch_execz .LBB10_50
.LBB10_49:
	v_add_nc_u32_e32 v0, s2, v0
	global_store_b16 v0, v18, s[4:5] scale_offset
.LBB10_50:
	s_endpgm
.LBB10_51:
	v_add_nc_u32_e32 v19, s2, v6
	v_add_nc_u32_e32 v6, 0x100, v6
	s_clause 0x2
	global_load_u8 v20, v19, s[6:7]
	global_load_u16 v21, v19, s[8:9] scale_offset
	global_load_u16 v22, v19, s[10:11] scale_offset
	s_wait_loadcnt 0x2
	v_cmp_eq_u16_e64 s0, 0, v20
	s_wait_loadcnt 0x0
	s_delay_alu instid0(VALU_DEP_1) | instskip(SKIP_1) | instid1(SALU_CYCLE_1)
	v_cndmask_b32_e64 v19, v21, v22, s0
	s_or_b32 exec_lo, exec_lo, s3
	s_mov_b32 s3, exec_lo
	v_cmpx_gt_i32_e64 s1, v6
	s_cbranch_execz .LBB10_33
.LBB10_52:
	v_add_nc_u32_e32 v6, s2, v6
	s_clause 0x2
	global_load_u8 v18, v6, s[6:7]
	global_load_u16 v20, v6, s[8:9] scale_offset
	global_load_u16 v21, v6, s[10:11] scale_offset
	s_wait_loadcnt 0x2
	v_cmp_eq_u16_e64 s0, 0, v18
	s_wait_loadcnt 0x0
	s_delay_alu instid0(VALU_DEP_1)
	v_cndmask_b32_e64 v18, v20, v21, s0
	s_wait_xcnt 0x0
	s_or_b32 exec_lo, exec_lo, s3
	s_and_saveexec_b32 s0, vcc_lo
	s_cbranch_execz .LBB10_34
.LBB10_53:
	v_mov_b32_e32 v0, v3
	global_store_b16 v2, v4, s[4:5] scale_offset
	s_wait_xcnt 0x0
	s_or_b32 exec_lo, exec_lo, s0
	s_delay_alu instid0(SALU_CYCLE_1)
	s_mov_b32 s0, exec_lo
	v_cmpx_gt_i32_e64 s1, v0
	s_cbranch_execz .LBB10_35
.LBB10_54:
	v_add_nc_u32_e32 v2, s2, v0
	v_add_nc_u32_e32 v0, 0x100, v0
	global_store_b16 v2, v1, s[4:5] scale_offset
	s_wait_xcnt 0x0
	s_or_b32 exec_lo, exec_lo, s0
	s_delay_alu instid0(SALU_CYCLE_1)
	s_mov_b32 s0, exec_lo
	v_cmpx_gt_i32_e64 s1, v0
	s_cbranch_execz .LBB10_36
.LBB10_55:
	v_add_nc_u32_e32 v1, s2, v0
	v_add_nc_u32_e32 v0, 0x100, v0
	global_store_b16 v1, v7, s[4:5] scale_offset
	s_wait_xcnt 0x0
	s_or_b32 exec_lo, exec_lo, s0
	s_delay_alu instid0(SALU_CYCLE_1)
	s_mov_b32 s0, exec_lo
	v_cmpx_gt_i32_e64 s1, v0
	s_cbranch_execz .LBB10_37
.LBB10_56:
	v_add_nc_u32_e32 v1, s2, v0
	v_add_nc_u32_e32 v0, 0x100, v0
	global_store_b16 v1, v5, s[4:5] scale_offset
	s_wait_xcnt 0x0
	s_or_b32 exec_lo, exec_lo, s0
	s_delay_alu instid0(SALU_CYCLE_1)
	s_mov_b32 s0, exec_lo
	v_cmpx_gt_i32_e64 s1, v0
	s_cbranch_execz .LBB10_38
.LBB10_57:
	v_add_nc_u32_e32 v1, s2, v0
	v_add_nc_u32_e32 v0, 0x100, v0
	global_store_b16 v1, v9, s[4:5] scale_offset
	s_wait_xcnt 0x0
	s_or_b32 exec_lo, exec_lo, s0
	s_delay_alu instid0(SALU_CYCLE_1)
	s_mov_b32 s0, exec_lo
	v_cmpx_gt_i32_e64 s1, v0
	s_cbranch_execz .LBB10_39
.LBB10_58:
	v_add_nc_u32_e32 v1, s2, v0
	v_add_nc_u32_e32 v0, 0x100, v0
	global_store_b16 v1, v8, s[4:5] scale_offset
	s_wait_xcnt 0x0
	s_or_b32 exec_lo, exec_lo, s0
	s_delay_alu instid0(SALU_CYCLE_1)
	s_mov_b32 s0, exec_lo
	v_cmpx_gt_i32_e64 s1, v0
	s_cbranch_execz .LBB10_40
.LBB10_59:
	v_add_nc_u32_e32 v1, s2, v0
	v_add_nc_u32_e32 v0, 0x100, v0
	global_store_b16 v1, v11, s[4:5] scale_offset
	s_wait_xcnt 0x0
	s_or_b32 exec_lo, exec_lo, s0
	s_delay_alu instid0(SALU_CYCLE_1)
	s_mov_b32 s0, exec_lo
	v_cmpx_gt_i32_e64 s1, v0
	s_cbranch_execz .LBB10_41
.LBB10_60:
	v_add_nc_u32_e32 v1, s2, v0
	v_add_nc_u32_e32 v0, 0x100, v0
	global_store_b16 v1, v10, s[4:5] scale_offset
	s_wait_xcnt 0x0
	s_or_b32 exec_lo, exec_lo, s0
	s_delay_alu instid0(SALU_CYCLE_1)
	s_mov_b32 s0, exec_lo
	v_cmpx_gt_i32_e64 s1, v0
	s_cbranch_execz .LBB10_42
.LBB10_61:
	v_add_nc_u32_e32 v1, s2, v0
	v_add_nc_u32_e32 v0, 0x100, v0
	global_store_b16 v1, v13, s[4:5] scale_offset
	s_wait_xcnt 0x0
	s_or_b32 exec_lo, exec_lo, s0
	s_delay_alu instid0(SALU_CYCLE_1)
	s_mov_b32 s0, exec_lo
	v_cmpx_gt_i32_e64 s1, v0
	s_cbranch_execz .LBB10_43
.LBB10_62:
	v_add_nc_u32_e32 v1, s2, v0
	v_add_nc_u32_e32 v0, 0x100, v0
	global_store_b16 v1, v12, s[4:5] scale_offset
	s_wait_xcnt 0x0
	s_or_b32 exec_lo, exec_lo, s0
	s_delay_alu instid0(SALU_CYCLE_1)
	s_mov_b32 s0, exec_lo
	v_cmpx_gt_i32_e64 s1, v0
	s_cbranch_execz .LBB10_44
.LBB10_63:
	v_add_nc_u32_e32 v1, s2, v0
	v_add_nc_u32_e32 v0, 0x100, v0
	global_store_b16 v1, v15, s[4:5] scale_offset
	s_wait_xcnt 0x0
	s_or_b32 exec_lo, exec_lo, s0
	s_delay_alu instid0(SALU_CYCLE_1)
	s_mov_b32 s0, exec_lo
	v_cmpx_gt_i32_e64 s1, v0
	s_cbranch_execz .LBB10_45
.LBB10_64:
	v_add_nc_u32_e32 v1, s2, v0
	v_add_nc_u32_e32 v0, 0x100, v0
	global_store_b16 v1, v14, s[4:5] scale_offset
	s_wait_xcnt 0x0
	s_or_b32 exec_lo, exec_lo, s0
	s_delay_alu instid0(SALU_CYCLE_1)
	s_mov_b32 s0, exec_lo
	v_cmpx_gt_i32_e64 s1, v0
	s_cbranch_execz .LBB10_46
.LBB10_65:
	v_add_nc_u32_e32 v1, s2, v0
	v_add_nc_u32_e32 v0, 0x100, v0
	global_store_b16 v1, v17, s[4:5] scale_offset
	s_wait_xcnt 0x0
	s_or_b32 exec_lo, exec_lo, s0
	s_delay_alu instid0(SALU_CYCLE_1)
	s_mov_b32 s0, exec_lo
	v_cmpx_gt_i32_e64 s1, v0
	s_cbranch_execz .LBB10_47
.LBB10_66:
	v_add_nc_u32_e32 v1, s2, v0
	v_add_nc_u32_e32 v0, 0x100, v0
	global_store_b16 v1, v16, s[4:5] scale_offset
	s_wait_xcnt 0x0
	s_or_b32 exec_lo, exec_lo, s0
	s_delay_alu instid0(SALU_CYCLE_1)
	s_mov_b32 s0, exec_lo
	v_cmpx_gt_i32_e64 s1, v0
	s_cbranch_execz .LBB10_48
.LBB10_67:
	v_add_nc_u32_e32 v1, s2, v0
	v_add_nc_u32_e32 v0, 0x100, v0
	global_store_b16 v1, v19, s[4:5] scale_offset
	s_wait_xcnt 0x0
	s_or_b32 exec_lo, exec_lo, s0
	s_delay_alu instid0(SALU_CYCLE_1)
	s_mov_b32 s0, exec_lo
	v_cmpx_gt_i32_e64 s1, v0
	s_cbranch_execnz .LBB10_49
	s_branch .LBB10_50
	.section	.rodata,"a",@progbits
	.p2align	6, 0x0
	.amdhsa_kernel _ZN2at6native29vectorized_elementwise_kernelILi4EZZZNS0_12_GLOBAL__N_117where_kernel_implERNS_14TensorIteratorEENKUlvE_clEvENKUlvE0_clEvEUlbttE_St5arrayIPcLm4EEEEviT0_T1_
		.amdhsa_group_segment_fixed_size 0
		.amdhsa_private_segment_fixed_size 0
		.amdhsa_kernarg_size 40
		.amdhsa_user_sgpr_count 2
		.amdhsa_user_sgpr_dispatch_ptr 0
		.amdhsa_user_sgpr_queue_ptr 0
		.amdhsa_user_sgpr_kernarg_segment_ptr 1
		.amdhsa_user_sgpr_dispatch_id 0
		.amdhsa_user_sgpr_kernarg_preload_length 0
		.amdhsa_user_sgpr_kernarg_preload_offset 0
		.amdhsa_user_sgpr_private_segment_size 0
		.amdhsa_wavefront_size32 1
		.amdhsa_uses_dynamic_stack 0
		.amdhsa_enable_private_segment 0
		.amdhsa_system_sgpr_workgroup_id_x 1
		.amdhsa_system_sgpr_workgroup_id_y 0
		.amdhsa_system_sgpr_workgroup_id_z 0
		.amdhsa_system_sgpr_workgroup_info 0
		.amdhsa_system_vgpr_workitem_id 0
		.amdhsa_next_free_vgpr 33
		.amdhsa_next_free_sgpr 18
		.amdhsa_named_barrier_count 0
		.amdhsa_reserve_vcc 1
		.amdhsa_float_round_mode_32 0
		.amdhsa_float_round_mode_16_64 0
		.amdhsa_float_denorm_mode_32 3
		.amdhsa_float_denorm_mode_16_64 3
		.amdhsa_fp16_overflow 0
		.amdhsa_memory_ordered 1
		.amdhsa_forward_progress 1
		.amdhsa_inst_pref_size 29
		.amdhsa_round_robin_scheduling 0
		.amdhsa_exception_fp_ieee_invalid_op 0
		.amdhsa_exception_fp_denorm_src 0
		.amdhsa_exception_fp_ieee_div_zero 0
		.amdhsa_exception_fp_ieee_overflow 0
		.amdhsa_exception_fp_ieee_underflow 0
		.amdhsa_exception_fp_ieee_inexact 0
		.amdhsa_exception_int_div_zero 0
	.end_amdhsa_kernel
	.section	.text._ZN2at6native29vectorized_elementwise_kernelILi4EZZZNS0_12_GLOBAL__N_117where_kernel_implERNS_14TensorIteratorEENKUlvE_clEvENKUlvE0_clEvEUlbttE_St5arrayIPcLm4EEEEviT0_T1_,"axG",@progbits,_ZN2at6native29vectorized_elementwise_kernelILi4EZZZNS0_12_GLOBAL__N_117where_kernel_implERNS_14TensorIteratorEENKUlvE_clEvENKUlvE0_clEvEUlbttE_St5arrayIPcLm4EEEEviT0_T1_,comdat
.Lfunc_end10:
	.size	_ZN2at6native29vectorized_elementwise_kernelILi4EZZZNS0_12_GLOBAL__N_117where_kernel_implERNS_14TensorIteratorEENKUlvE_clEvENKUlvE0_clEvEUlbttE_St5arrayIPcLm4EEEEviT0_T1_, .Lfunc_end10-_ZN2at6native29vectorized_elementwise_kernelILi4EZZZNS0_12_GLOBAL__N_117where_kernel_implERNS_14TensorIteratorEENKUlvE_clEvENKUlvE0_clEvEUlbttE_St5arrayIPcLm4EEEEviT0_T1_
                                        ; -- End function
	.set _ZN2at6native29vectorized_elementwise_kernelILi4EZZZNS0_12_GLOBAL__N_117where_kernel_implERNS_14TensorIteratorEENKUlvE_clEvENKUlvE0_clEvEUlbttE_St5arrayIPcLm4EEEEviT0_T1_.num_vgpr, 33
	.set _ZN2at6native29vectorized_elementwise_kernelILi4EZZZNS0_12_GLOBAL__N_117where_kernel_implERNS_14TensorIteratorEENKUlvE_clEvENKUlvE0_clEvEUlbttE_St5arrayIPcLm4EEEEviT0_T1_.num_agpr, 0
	.set _ZN2at6native29vectorized_elementwise_kernelILi4EZZZNS0_12_GLOBAL__N_117where_kernel_implERNS_14TensorIteratorEENKUlvE_clEvENKUlvE0_clEvEUlbttE_St5arrayIPcLm4EEEEviT0_T1_.numbered_sgpr, 18
	.set _ZN2at6native29vectorized_elementwise_kernelILi4EZZZNS0_12_GLOBAL__N_117where_kernel_implERNS_14TensorIteratorEENKUlvE_clEvENKUlvE0_clEvEUlbttE_St5arrayIPcLm4EEEEviT0_T1_.num_named_barrier, 0
	.set _ZN2at6native29vectorized_elementwise_kernelILi4EZZZNS0_12_GLOBAL__N_117where_kernel_implERNS_14TensorIteratorEENKUlvE_clEvENKUlvE0_clEvEUlbttE_St5arrayIPcLm4EEEEviT0_T1_.private_seg_size, 0
	.set _ZN2at6native29vectorized_elementwise_kernelILi4EZZZNS0_12_GLOBAL__N_117where_kernel_implERNS_14TensorIteratorEENKUlvE_clEvENKUlvE0_clEvEUlbttE_St5arrayIPcLm4EEEEviT0_T1_.uses_vcc, 1
	.set _ZN2at6native29vectorized_elementwise_kernelILi4EZZZNS0_12_GLOBAL__N_117where_kernel_implERNS_14TensorIteratorEENKUlvE_clEvENKUlvE0_clEvEUlbttE_St5arrayIPcLm4EEEEviT0_T1_.uses_flat_scratch, 0
	.set _ZN2at6native29vectorized_elementwise_kernelILi4EZZZNS0_12_GLOBAL__N_117where_kernel_implERNS_14TensorIteratorEENKUlvE_clEvENKUlvE0_clEvEUlbttE_St5arrayIPcLm4EEEEviT0_T1_.has_dyn_sized_stack, 0
	.set _ZN2at6native29vectorized_elementwise_kernelILi4EZZZNS0_12_GLOBAL__N_117where_kernel_implERNS_14TensorIteratorEENKUlvE_clEvENKUlvE0_clEvEUlbttE_St5arrayIPcLm4EEEEviT0_T1_.has_recursion, 0
	.set _ZN2at6native29vectorized_elementwise_kernelILi4EZZZNS0_12_GLOBAL__N_117where_kernel_implERNS_14TensorIteratorEENKUlvE_clEvENKUlvE0_clEvEUlbttE_St5arrayIPcLm4EEEEviT0_T1_.has_indirect_call, 0
	.section	.AMDGPU.csdata,"",@progbits
; Kernel info:
; codeLenInByte = 3684
; TotalNumSgprs: 20
; NumVgprs: 33
; ScratchSize: 0
; MemoryBound: 0
; FloatMode: 240
; IeeeMode: 1
; LDSByteSize: 0 bytes/workgroup (compile time only)
; SGPRBlocks: 0
; VGPRBlocks: 2
; NumSGPRsForWavesPerEU: 20
; NumVGPRsForWavesPerEU: 33
; NamedBarCnt: 0
; Occupancy: 16
; WaveLimiterHint : 1
; COMPUTE_PGM_RSRC2:SCRATCH_EN: 0
; COMPUTE_PGM_RSRC2:USER_SGPR: 2
; COMPUTE_PGM_RSRC2:TRAP_HANDLER: 0
; COMPUTE_PGM_RSRC2:TGID_X_EN: 1
; COMPUTE_PGM_RSRC2:TGID_Y_EN: 0
; COMPUTE_PGM_RSRC2:TGID_Z_EN: 0
; COMPUTE_PGM_RSRC2:TIDIG_COMP_CNT: 0
	.section	.text._ZN2at6native29vectorized_elementwise_kernelILi2EZZZNS0_12_GLOBAL__N_117where_kernel_implERNS_14TensorIteratorEENKUlvE_clEvENKUlvE0_clEvEUlbttE_St5arrayIPcLm4EEEEviT0_T1_,"axG",@progbits,_ZN2at6native29vectorized_elementwise_kernelILi2EZZZNS0_12_GLOBAL__N_117where_kernel_implERNS_14TensorIteratorEENKUlvE_clEvENKUlvE0_clEvEUlbttE_St5arrayIPcLm4EEEEviT0_T1_,comdat
	.globl	_ZN2at6native29vectorized_elementwise_kernelILi2EZZZNS0_12_GLOBAL__N_117where_kernel_implERNS_14TensorIteratorEENKUlvE_clEvENKUlvE0_clEvEUlbttE_St5arrayIPcLm4EEEEviT0_T1_ ; -- Begin function _ZN2at6native29vectorized_elementwise_kernelILi2EZZZNS0_12_GLOBAL__N_117where_kernel_implERNS_14TensorIteratorEENKUlvE_clEvENKUlvE0_clEvEUlbttE_St5arrayIPcLm4EEEEviT0_T1_
	.p2align	8
	.type	_ZN2at6native29vectorized_elementwise_kernelILi2EZZZNS0_12_GLOBAL__N_117where_kernel_implERNS_14TensorIteratorEENKUlvE_clEvENKUlvE0_clEvEUlbttE_St5arrayIPcLm4EEEEviT0_T1_,@function
_ZN2at6native29vectorized_elementwise_kernelILi2EZZZNS0_12_GLOBAL__N_117where_kernel_implERNS_14TensorIteratorEENKUlvE_clEvENKUlvE0_clEvEUlbttE_St5arrayIPcLm4EEEEviT0_T1_: ; @_ZN2at6native29vectorized_elementwise_kernelILi2EZZZNS0_12_GLOBAL__N_117where_kernel_implERNS_14TensorIteratorEENKUlvE_clEvENKUlvE0_clEvEUlbttE_St5arrayIPcLm4EEEEviT0_T1_
; %bb.0:
	s_clause 0x1
	s_load_b32 s3, s[0:1], 0x0
	s_load_b256 s[4:11], s[0:1], 0x8
	s_wait_xcnt 0x0
	s_bfe_u32 s0, ttmp6, 0x4000c
	s_and_b32 s1, ttmp6, 15
	s_add_co_i32 s0, s0, 1
	s_getreg_b32 s2, hwreg(HW_REG_IB_STS2, 6, 4)
	s_mul_i32 s0, ttmp9, s0
	s_delay_alu instid0(SALU_CYCLE_1) | instskip(SKIP_2) | instid1(SALU_CYCLE_1)
	s_add_co_i32 s1, s1, s0
	s_cmp_eq_u32 s2, 0
	s_cselect_b32 s0, ttmp9, s1
	s_lshl_b32 s2, s0, 12
	s_mov_b32 s0, -1
	s_wait_kmcnt 0x0
	s_sub_co_i32 s1, s3, s2
	s_delay_alu instid0(SALU_CYCLE_1)
	s_cmp_gt_i32 s1, 0xfff
	s_cbranch_scc0 .LBB11_2
; %bb.1:
	s_ashr_i32 s3, s2, 31
	s_mov_b32 s0, 0
	s_add_nc_u64 s[12:13], s[6:7], s[2:3]
	s_lshl_b64 s[14:15], s[2:3], 1
	s_clause 0x7
	global_load_u16 v1, v0, s[12:13] scale_offset
	global_load_u16 v2, v0, s[12:13] offset:512 scale_offset
	global_load_u16 v3, v0, s[12:13] offset:1024 scale_offset
	;; [unrolled: 1-line block ×7, first 2 shown]
	s_wait_xcnt 0x0
	s_add_nc_u64 s[12:13], s[10:11], s[14:15]
	s_add_nc_u64 s[16:17], s[8:9], s[14:15]
	s_clause 0xf
	global_load_b32 v9, v0, s[12:13] scale_offset
	global_load_b32 v10, v0, s[16:17] scale_offset
	global_load_b32 v11, v0, s[16:17] offset:1024 scale_offset
	global_load_b32 v12, v0, s[12:13] offset:1024 scale_offset
	;; [unrolled: 1-line block ×13, first 2 shown]
	; meta instruction
	global_load_b32 v24, v0, s[12:13] offset:7168 scale_offset
	s_wait_xcnt 0x0
	s_add_nc_u64 s[12:13], s[4:5], s[14:15]
	s_wait_loadcnt 0x17
	v_cmp_lt_u16_e32 vcc_lo, 0xff, v1
	v_and_b32_e32 v25, 0xff, v1
	s_wait_loadcnt 0x16
	v_and_b32_e32 v26, 0xff, v2
	s_wait_loadcnt 0x15
	v_and_b32_e32 v27, 0xff, v3
	s_wait_loadcnt 0x14
	v_and_b32_e32 v28, 0xff, v4
	s_wait_loadcnt 0xe
	v_cndmask_b32_e32 v1, v9, v10, vcc_lo
	v_cmp_lt_u16_e32 vcc_lo, 0xff, v2
	v_and_b32_e32 v29, 0xff, v5
	v_and_b32_e32 v30, 0xff, v6
	v_and_b32_e32 v31, 0xff, v7
	v_and_b32_e32 v32, 0xff, v8
	s_wait_loadcnt 0xc
	v_cndmask_b32_e32 v2, v12, v11, vcc_lo
	v_cmp_lt_u16_e32 vcc_lo, 0xff, v3
	s_wait_loadcnt 0xa
	v_cndmask_b32_e32 v3, v13, v14, vcc_lo
	v_cmp_lt_u16_e32 vcc_lo, 0xff, v4
	;; [unrolled: 3-line block ×6, first 2 shown]
	s_wait_loadcnt 0x0
	v_cndmask_b32_e32 v8, v24, v23, vcc_lo
	v_cmp_eq_u16_e32 vcc_lo, 0, v25
	v_cndmask_b32_e32 v9, v10, v9, vcc_lo
	v_cmp_eq_u16_e32 vcc_lo, 0, v26
	;; [unrolled: 2-line block ×3, first 2 shown]
	s_delay_alu instid0(VALU_DEP_4) | instskip(NEXT) | instid1(VALU_DEP_3)
	v_bfi_b32 v1, 0xffff, v9, v1
	v_bfi_b32 v2, 0xffff, v10, v2
	v_cndmask_b32_e32 v11, v14, v13, vcc_lo
	v_cmp_eq_u16_e32 vcc_lo, 0, v28
	v_cndmask_b32_e32 v12, v15, v16, vcc_lo
	v_cmp_eq_u16_e32 vcc_lo, 0, v29
	s_delay_alu instid0(VALU_DEP_4) | instskip(NEXT) | instid1(VALU_DEP_3)
	v_bfi_b32 v3, 0xffff, v11, v3
	v_bfi_b32 v4, 0xffff, v12, v4
	v_cndmask_b32_e32 v13, v18, v17, vcc_lo
	v_cmp_eq_u16_e32 vcc_lo, 0, v30
	v_cndmask_b32_e32 v14, v19, v20, vcc_lo
	v_cmp_eq_u16_e32 vcc_lo, 0, v31
	s_delay_alu instid0(VALU_DEP_4) | instskip(NEXT) | instid1(VALU_DEP_3)
	v_bfi_b32 v5, 0xffff, v13, v5
	v_bfi_b32 v6, 0xffff, v14, v6
	v_cndmask_b32_e32 v15, v22, v21, vcc_lo
	v_cmp_eq_u16_e32 vcc_lo, 0, v32
	v_cndmask_b32_e32 v16, v23, v24, vcc_lo
	s_delay_alu instid0(VALU_DEP_3) | instskip(NEXT) | instid1(VALU_DEP_2)
	v_bfi_b32 v7, 0xffff, v15, v7
	v_bfi_b32 v8, 0xffff, v16, v8
	s_clause 0x7
	global_store_b32 v0, v1, s[12:13] scale_offset
	global_store_b32 v0, v2, s[12:13] offset:1024 scale_offset
	global_store_b32 v0, v3, s[12:13] offset:2048 scale_offset
	;; [unrolled: 1-line block ×7, first 2 shown]
.LBB11_2:
	s_and_not1_b32 vcc_lo, exec_lo, s0
	s_cbranch_vccnz .LBB11_50
; %bb.3:
	v_cmp_gt_i32_e32 vcc_lo, s1, v0
	s_wait_xcnt 0x6
	v_dual_mov_b32 v1, 0 :: v_dual_bitop2_b32 v2, s2, v0 bitop3:0x54
	s_wait_xcnt 0x5
	v_or_b32_e32 v3, 0x100, v0
	s_wait_xcnt 0x2
	v_dual_mov_b32 v4, 0 :: v_dual_mov_b32 v6, v0
	s_wait_xcnt 0x0
	s_and_saveexec_b32 s3, vcc_lo
	s_cbranch_execz .LBB11_5
; %bb.4:
	s_clause 0x2
	global_load_u8 v4, v2, s[6:7]
	global_load_u16 v5, v2, s[8:9] scale_offset
	global_load_u16 v7, v2, s[10:11] scale_offset
	v_or_b32_e32 v6, 0x100, v0
	s_wait_loadcnt 0x2
	v_cmp_eq_u16_e64 s0, 0, v4
	s_wait_loadcnt 0x0
	s_delay_alu instid0(VALU_DEP_1)
	v_cndmask_b32_e64 v4, v5, v7, s0
.LBB11_5:
	s_wait_xcnt 0x0
	s_or_b32 exec_lo, exec_lo, s3
	s_delay_alu instid0(SALU_CYCLE_1)
	s_mov_b32 s3, exec_lo
	v_cmpx_gt_i32_e64 s1, v6
	s_cbranch_execz .LBB11_7
; %bb.6:
	v_add_nc_u32_e32 v1, s2, v6
	v_add_nc_u32_e32 v6, 0x100, v6
	s_clause 0x2
	global_load_u8 v5, v1, s[6:7]
	global_load_u16 v7, v1, s[8:9] scale_offset
	global_load_u16 v8, v1, s[10:11] scale_offset
	s_wait_loadcnt 0x2
	v_cmp_eq_u16_e64 s0, 0, v5
	s_wait_loadcnt 0x0
	s_delay_alu instid0(VALU_DEP_1)
	v_cndmask_b32_e64 v1, v7, v8, s0
.LBB11_7:
	s_or_b32 exec_lo, exec_lo, s3
	v_dual_mov_b32 v5, 0 :: v_dual_mov_b32 v7, 0
	s_mov_b32 s3, exec_lo
	v_cmpx_gt_i32_e64 s1, v6
	s_cbranch_execz .LBB11_9
; %bb.8:
	v_add_nc_u32_e32 v7, s2, v6
	v_add_nc_u32_e32 v6, 0x100, v6
	s_clause 0x2
	global_load_u8 v8, v7, s[6:7]
	global_load_u16 v9, v7, s[8:9] scale_offset
	global_load_u16 v10, v7, s[10:11] scale_offset
	s_wait_loadcnt 0x2
	v_cmp_eq_u16_e64 s0, 0, v8
	s_wait_loadcnt 0x0
	s_delay_alu instid0(VALU_DEP_1)
	v_cndmask_b32_e64 v7, v9, v10, s0
.LBB11_9:
	s_or_b32 exec_lo, exec_lo, s3
	s_delay_alu instid0(SALU_CYCLE_1)
	s_mov_b32 s3, exec_lo
	v_cmpx_gt_i32_e64 s1, v6
	s_cbranch_execz .LBB11_11
; %bb.10:
	v_add_nc_u32_e32 v5, s2, v6
	v_add_nc_u32_e32 v6, 0x100, v6
	s_clause 0x2
	global_load_u8 v8, v5, s[6:7]
	global_load_u16 v9, v5, s[8:9] scale_offset
	global_load_u16 v10, v5, s[10:11] scale_offset
	s_wait_loadcnt 0x2
	v_cmp_eq_u16_e64 s0, 0, v8
	s_wait_loadcnt 0x0
	s_delay_alu instid0(VALU_DEP_1)
	v_cndmask_b32_e64 v5, v9, v10, s0
.LBB11_11:
	s_or_b32 exec_lo, exec_lo, s3
	v_dual_mov_b32 v8, 0 :: v_dual_mov_b32 v9, 0
	s_mov_b32 s3, exec_lo
	v_cmpx_gt_i32_e64 s1, v6
	s_cbranch_execz .LBB11_13
; %bb.12:
	v_add_nc_u32_e32 v9, s2, v6
	v_add_nc_u32_e32 v6, 0x100, v6
	s_clause 0x2
	global_load_u8 v10, v9, s[6:7]
	global_load_u16 v11, v9, s[8:9] scale_offset
	global_load_u16 v12, v9, s[10:11] scale_offset
	s_wait_loadcnt 0x2
	v_cmp_eq_u16_e64 s0, 0, v10
	s_wait_loadcnt 0x0
	s_delay_alu instid0(VALU_DEP_1)
	v_cndmask_b32_e64 v9, v11, v12, s0
.LBB11_13:
	;; [unrolled: 36-line block ×6, first 2 shown]
	s_or_b32 exec_lo, exec_lo, s3
	s_delay_alu instid0(SALU_CYCLE_1)
	s_mov_b32 s3, exec_lo
	v_cmpx_gt_i32_e64 s1, v6
	s_cbranch_execz .LBB11_31
; %bb.30:
	v_add_nc_u32_e32 v16, s2, v6
	v_add_nc_u32_e32 v6, 0x100, v6
	s_clause 0x2
	global_load_u8 v18, v16, s[6:7]
	global_load_u16 v19, v16, s[8:9] scale_offset
	global_load_u16 v20, v16, s[10:11] scale_offset
	s_wait_loadcnt 0x2
	v_cmp_eq_u16_e64 s0, 0, v18
	s_wait_loadcnt 0x0
	s_delay_alu instid0(VALU_DEP_1)
	v_cndmask_b32_e64 v16, v19, v20, s0
.LBB11_31:
	s_or_b32 exec_lo, exec_lo, s3
	v_dual_mov_b32 v18, 0 :: v_dual_mov_b32 v19, 0
	s_mov_b32 s3, exec_lo
	v_cmpx_gt_i32_e64 s1, v6
	s_cbranch_execnz .LBB11_51
; %bb.32:
	s_or_b32 exec_lo, exec_lo, s3
	s_delay_alu instid0(SALU_CYCLE_1)
	s_mov_b32 s3, exec_lo
	v_cmpx_gt_i32_e64 s1, v6
	s_cbranch_execnz .LBB11_52
.LBB11_33:
	s_or_b32 exec_lo, exec_lo, s3
	s_and_saveexec_b32 s0, vcc_lo
	s_cbranch_execnz .LBB11_53
.LBB11_34:
	s_or_b32 exec_lo, exec_lo, s0
	s_delay_alu instid0(SALU_CYCLE_1)
	s_mov_b32 s0, exec_lo
	v_cmpx_gt_i32_e64 s1, v0
	s_cbranch_execnz .LBB11_54
.LBB11_35:
	s_or_b32 exec_lo, exec_lo, s0
	s_delay_alu instid0(SALU_CYCLE_1)
	s_mov_b32 s0, exec_lo
	v_cmpx_gt_i32_e64 s1, v0
	s_cbranch_execnz .LBB11_55
.LBB11_36:
	s_or_b32 exec_lo, exec_lo, s0
	s_delay_alu instid0(SALU_CYCLE_1)
	s_mov_b32 s0, exec_lo
	v_cmpx_gt_i32_e64 s1, v0
	s_cbranch_execnz .LBB11_56
.LBB11_37:
	s_or_b32 exec_lo, exec_lo, s0
	s_delay_alu instid0(SALU_CYCLE_1)
	s_mov_b32 s0, exec_lo
	v_cmpx_gt_i32_e64 s1, v0
	s_cbranch_execnz .LBB11_57
.LBB11_38:
	s_or_b32 exec_lo, exec_lo, s0
	s_delay_alu instid0(SALU_CYCLE_1)
	s_mov_b32 s0, exec_lo
	v_cmpx_gt_i32_e64 s1, v0
	s_cbranch_execnz .LBB11_58
.LBB11_39:
	s_or_b32 exec_lo, exec_lo, s0
	s_delay_alu instid0(SALU_CYCLE_1)
	s_mov_b32 s0, exec_lo
	v_cmpx_gt_i32_e64 s1, v0
	s_cbranch_execnz .LBB11_59
.LBB11_40:
	s_or_b32 exec_lo, exec_lo, s0
	s_delay_alu instid0(SALU_CYCLE_1)
	s_mov_b32 s0, exec_lo
	v_cmpx_gt_i32_e64 s1, v0
	s_cbranch_execnz .LBB11_60
.LBB11_41:
	s_or_b32 exec_lo, exec_lo, s0
	s_delay_alu instid0(SALU_CYCLE_1)
	s_mov_b32 s0, exec_lo
	v_cmpx_gt_i32_e64 s1, v0
	s_cbranch_execnz .LBB11_61
.LBB11_42:
	s_or_b32 exec_lo, exec_lo, s0
	s_delay_alu instid0(SALU_CYCLE_1)
	s_mov_b32 s0, exec_lo
	v_cmpx_gt_i32_e64 s1, v0
	s_cbranch_execnz .LBB11_62
.LBB11_43:
	s_or_b32 exec_lo, exec_lo, s0
	s_delay_alu instid0(SALU_CYCLE_1)
	s_mov_b32 s0, exec_lo
	v_cmpx_gt_i32_e64 s1, v0
	s_cbranch_execnz .LBB11_63
.LBB11_44:
	s_or_b32 exec_lo, exec_lo, s0
	s_delay_alu instid0(SALU_CYCLE_1)
	s_mov_b32 s0, exec_lo
	v_cmpx_gt_i32_e64 s1, v0
	s_cbranch_execnz .LBB11_64
.LBB11_45:
	s_or_b32 exec_lo, exec_lo, s0
	s_delay_alu instid0(SALU_CYCLE_1)
	s_mov_b32 s0, exec_lo
	v_cmpx_gt_i32_e64 s1, v0
	s_cbranch_execnz .LBB11_65
.LBB11_46:
	s_or_b32 exec_lo, exec_lo, s0
	s_delay_alu instid0(SALU_CYCLE_1)
	s_mov_b32 s0, exec_lo
	v_cmpx_gt_i32_e64 s1, v0
	s_cbranch_execnz .LBB11_66
.LBB11_47:
	s_or_b32 exec_lo, exec_lo, s0
	s_delay_alu instid0(SALU_CYCLE_1)
	s_mov_b32 s0, exec_lo
	v_cmpx_gt_i32_e64 s1, v0
	s_cbranch_execnz .LBB11_67
.LBB11_48:
	s_or_b32 exec_lo, exec_lo, s0
	s_delay_alu instid0(SALU_CYCLE_1)
	s_mov_b32 s0, exec_lo
	v_cmpx_gt_i32_e64 s1, v0
	s_cbranch_execz .LBB11_50
.LBB11_49:
	v_add_nc_u32_e32 v0, s2, v0
	global_store_b16 v0, v18, s[4:5] scale_offset
.LBB11_50:
	s_endpgm
.LBB11_51:
	v_add_nc_u32_e32 v19, s2, v6
	v_add_nc_u32_e32 v6, 0x100, v6
	s_clause 0x2
	global_load_u8 v20, v19, s[6:7]
	global_load_u16 v21, v19, s[8:9] scale_offset
	global_load_u16 v22, v19, s[10:11] scale_offset
	s_wait_loadcnt 0x2
	v_cmp_eq_u16_e64 s0, 0, v20
	s_wait_loadcnt 0x0
	s_delay_alu instid0(VALU_DEP_1) | instskip(SKIP_1) | instid1(SALU_CYCLE_1)
	v_cndmask_b32_e64 v19, v21, v22, s0
	s_or_b32 exec_lo, exec_lo, s3
	s_mov_b32 s3, exec_lo
	v_cmpx_gt_i32_e64 s1, v6
	s_cbranch_execz .LBB11_33
.LBB11_52:
	v_add_nc_u32_e32 v6, s2, v6
	s_clause 0x2
	global_load_u8 v18, v6, s[6:7]
	global_load_u16 v20, v6, s[8:9] scale_offset
	global_load_u16 v21, v6, s[10:11] scale_offset
	s_wait_loadcnt 0x2
	v_cmp_eq_u16_e64 s0, 0, v18
	s_wait_loadcnt 0x0
	s_delay_alu instid0(VALU_DEP_1)
	v_cndmask_b32_e64 v18, v20, v21, s0
	s_wait_xcnt 0x0
	s_or_b32 exec_lo, exec_lo, s3
	s_and_saveexec_b32 s0, vcc_lo
	s_cbranch_execz .LBB11_34
.LBB11_53:
	v_mov_b32_e32 v0, v3
	global_store_b16 v2, v4, s[4:5] scale_offset
	s_wait_xcnt 0x0
	s_or_b32 exec_lo, exec_lo, s0
	s_delay_alu instid0(SALU_CYCLE_1)
	s_mov_b32 s0, exec_lo
	v_cmpx_gt_i32_e64 s1, v0
	s_cbranch_execz .LBB11_35
.LBB11_54:
	v_add_nc_u32_e32 v2, s2, v0
	v_add_nc_u32_e32 v0, 0x100, v0
	global_store_b16 v2, v1, s[4:5] scale_offset
	s_wait_xcnt 0x0
	s_or_b32 exec_lo, exec_lo, s0
	s_delay_alu instid0(SALU_CYCLE_1)
	s_mov_b32 s0, exec_lo
	v_cmpx_gt_i32_e64 s1, v0
	s_cbranch_execz .LBB11_36
.LBB11_55:
	v_add_nc_u32_e32 v1, s2, v0
	v_add_nc_u32_e32 v0, 0x100, v0
	global_store_b16 v1, v7, s[4:5] scale_offset
	s_wait_xcnt 0x0
	s_or_b32 exec_lo, exec_lo, s0
	s_delay_alu instid0(SALU_CYCLE_1)
	s_mov_b32 s0, exec_lo
	v_cmpx_gt_i32_e64 s1, v0
	s_cbranch_execz .LBB11_37
.LBB11_56:
	v_add_nc_u32_e32 v1, s2, v0
	v_add_nc_u32_e32 v0, 0x100, v0
	global_store_b16 v1, v5, s[4:5] scale_offset
	s_wait_xcnt 0x0
	s_or_b32 exec_lo, exec_lo, s0
	s_delay_alu instid0(SALU_CYCLE_1)
	s_mov_b32 s0, exec_lo
	v_cmpx_gt_i32_e64 s1, v0
	s_cbranch_execz .LBB11_38
.LBB11_57:
	v_add_nc_u32_e32 v1, s2, v0
	v_add_nc_u32_e32 v0, 0x100, v0
	global_store_b16 v1, v9, s[4:5] scale_offset
	s_wait_xcnt 0x0
	s_or_b32 exec_lo, exec_lo, s0
	s_delay_alu instid0(SALU_CYCLE_1)
	s_mov_b32 s0, exec_lo
	v_cmpx_gt_i32_e64 s1, v0
	s_cbranch_execz .LBB11_39
.LBB11_58:
	v_add_nc_u32_e32 v1, s2, v0
	v_add_nc_u32_e32 v0, 0x100, v0
	global_store_b16 v1, v8, s[4:5] scale_offset
	s_wait_xcnt 0x0
	s_or_b32 exec_lo, exec_lo, s0
	s_delay_alu instid0(SALU_CYCLE_1)
	s_mov_b32 s0, exec_lo
	v_cmpx_gt_i32_e64 s1, v0
	s_cbranch_execz .LBB11_40
.LBB11_59:
	v_add_nc_u32_e32 v1, s2, v0
	v_add_nc_u32_e32 v0, 0x100, v0
	global_store_b16 v1, v11, s[4:5] scale_offset
	s_wait_xcnt 0x0
	s_or_b32 exec_lo, exec_lo, s0
	s_delay_alu instid0(SALU_CYCLE_1)
	s_mov_b32 s0, exec_lo
	v_cmpx_gt_i32_e64 s1, v0
	s_cbranch_execz .LBB11_41
.LBB11_60:
	v_add_nc_u32_e32 v1, s2, v0
	v_add_nc_u32_e32 v0, 0x100, v0
	global_store_b16 v1, v10, s[4:5] scale_offset
	s_wait_xcnt 0x0
	s_or_b32 exec_lo, exec_lo, s0
	s_delay_alu instid0(SALU_CYCLE_1)
	s_mov_b32 s0, exec_lo
	v_cmpx_gt_i32_e64 s1, v0
	s_cbranch_execz .LBB11_42
.LBB11_61:
	v_add_nc_u32_e32 v1, s2, v0
	v_add_nc_u32_e32 v0, 0x100, v0
	global_store_b16 v1, v13, s[4:5] scale_offset
	s_wait_xcnt 0x0
	s_or_b32 exec_lo, exec_lo, s0
	s_delay_alu instid0(SALU_CYCLE_1)
	s_mov_b32 s0, exec_lo
	v_cmpx_gt_i32_e64 s1, v0
	s_cbranch_execz .LBB11_43
.LBB11_62:
	v_add_nc_u32_e32 v1, s2, v0
	v_add_nc_u32_e32 v0, 0x100, v0
	global_store_b16 v1, v12, s[4:5] scale_offset
	s_wait_xcnt 0x0
	s_or_b32 exec_lo, exec_lo, s0
	s_delay_alu instid0(SALU_CYCLE_1)
	s_mov_b32 s0, exec_lo
	v_cmpx_gt_i32_e64 s1, v0
	s_cbranch_execz .LBB11_44
.LBB11_63:
	v_add_nc_u32_e32 v1, s2, v0
	v_add_nc_u32_e32 v0, 0x100, v0
	global_store_b16 v1, v15, s[4:5] scale_offset
	s_wait_xcnt 0x0
	s_or_b32 exec_lo, exec_lo, s0
	s_delay_alu instid0(SALU_CYCLE_1)
	s_mov_b32 s0, exec_lo
	v_cmpx_gt_i32_e64 s1, v0
	s_cbranch_execz .LBB11_45
.LBB11_64:
	v_add_nc_u32_e32 v1, s2, v0
	v_add_nc_u32_e32 v0, 0x100, v0
	global_store_b16 v1, v14, s[4:5] scale_offset
	s_wait_xcnt 0x0
	s_or_b32 exec_lo, exec_lo, s0
	s_delay_alu instid0(SALU_CYCLE_1)
	s_mov_b32 s0, exec_lo
	v_cmpx_gt_i32_e64 s1, v0
	s_cbranch_execz .LBB11_46
.LBB11_65:
	v_add_nc_u32_e32 v1, s2, v0
	v_add_nc_u32_e32 v0, 0x100, v0
	global_store_b16 v1, v17, s[4:5] scale_offset
	s_wait_xcnt 0x0
	s_or_b32 exec_lo, exec_lo, s0
	s_delay_alu instid0(SALU_CYCLE_1)
	s_mov_b32 s0, exec_lo
	v_cmpx_gt_i32_e64 s1, v0
	s_cbranch_execz .LBB11_47
.LBB11_66:
	v_add_nc_u32_e32 v1, s2, v0
	v_add_nc_u32_e32 v0, 0x100, v0
	global_store_b16 v1, v16, s[4:5] scale_offset
	s_wait_xcnt 0x0
	s_or_b32 exec_lo, exec_lo, s0
	s_delay_alu instid0(SALU_CYCLE_1)
	s_mov_b32 s0, exec_lo
	v_cmpx_gt_i32_e64 s1, v0
	s_cbranch_execz .LBB11_48
.LBB11_67:
	v_add_nc_u32_e32 v1, s2, v0
	v_add_nc_u32_e32 v0, 0x100, v0
	global_store_b16 v1, v19, s[4:5] scale_offset
	s_wait_xcnt 0x0
	s_or_b32 exec_lo, exec_lo, s0
	s_delay_alu instid0(SALU_CYCLE_1)
	s_mov_b32 s0, exec_lo
	v_cmpx_gt_i32_e64 s1, v0
	s_cbranch_execnz .LBB11_49
	s_branch .LBB11_50
	.section	.rodata,"a",@progbits
	.p2align	6, 0x0
	.amdhsa_kernel _ZN2at6native29vectorized_elementwise_kernelILi2EZZZNS0_12_GLOBAL__N_117where_kernel_implERNS_14TensorIteratorEENKUlvE_clEvENKUlvE0_clEvEUlbttE_St5arrayIPcLm4EEEEviT0_T1_
		.amdhsa_group_segment_fixed_size 0
		.amdhsa_private_segment_fixed_size 0
		.amdhsa_kernarg_size 40
		.amdhsa_user_sgpr_count 2
		.amdhsa_user_sgpr_dispatch_ptr 0
		.amdhsa_user_sgpr_queue_ptr 0
		.amdhsa_user_sgpr_kernarg_segment_ptr 1
		.amdhsa_user_sgpr_dispatch_id 0
		.amdhsa_user_sgpr_kernarg_preload_length 0
		.amdhsa_user_sgpr_kernarg_preload_offset 0
		.amdhsa_user_sgpr_private_segment_size 0
		.amdhsa_wavefront_size32 1
		.amdhsa_uses_dynamic_stack 0
		.amdhsa_enable_private_segment 0
		.amdhsa_system_sgpr_workgroup_id_x 1
		.amdhsa_system_sgpr_workgroup_id_y 0
		.amdhsa_system_sgpr_workgroup_id_z 0
		.amdhsa_system_sgpr_workgroup_info 0
		.amdhsa_system_vgpr_workitem_id 0
		.amdhsa_next_free_vgpr 33
		.amdhsa_next_free_sgpr 18
		.amdhsa_named_barrier_count 0
		.amdhsa_reserve_vcc 1
		.amdhsa_float_round_mode_32 0
		.amdhsa_float_round_mode_16_64 0
		.amdhsa_float_denorm_mode_32 3
		.amdhsa_float_denorm_mode_16_64 3
		.amdhsa_fp16_overflow 0
		.amdhsa_memory_ordered 1
		.amdhsa_forward_progress 1
		.amdhsa_inst_pref_size 31
		.amdhsa_round_robin_scheduling 0
		.amdhsa_exception_fp_ieee_invalid_op 0
		.amdhsa_exception_fp_denorm_src 0
		.amdhsa_exception_fp_ieee_div_zero 0
		.amdhsa_exception_fp_ieee_overflow 0
		.amdhsa_exception_fp_ieee_underflow 0
		.amdhsa_exception_fp_ieee_inexact 0
		.amdhsa_exception_int_div_zero 0
	.end_amdhsa_kernel
	.section	.text._ZN2at6native29vectorized_elementwise_kernelILi2EZZZNS0_12_GLOBAL__N_117where_kernel_implERNS_14TensorIteratorEENKUlvE_clEvENKUlvE0_clEvEUlbttE_St5arrayIPcLm4EEEEviT0_T1_,"axG",@progbits,_ZN2at6native29vectorized_elementwise_kernelILi2EZZZNS0_12_GLOBAL__N_117where_kernel_implERNS_14TensorIteratorEENKUlvE_clEvENKUlvE0_clEvEUlbttE_St5arrayIPcLm4EEEEviT0_T1_,comdat
.Lfunc_end11:
	.size	_ZN2at6native29vectorized_elementwise_kernelILi2EZZZNS0_12_GLOBAL__N_117where_kernel_implERNS_14TensorIteratorEENKUlvE_clEvENKUlvE0_clEvEUlbttE_St5arrayIPcLm4EEEEviT0_T1_, .Lfunc_end11-_ZN2at6native29vectorized_elementwise_kernelILi2EZZZNS0_12_GLOBAL__N_117where_kernel_implERNS_14TensorIteratorEENKUlvE_clEvENKUlvE0_clEvEUlbttE_St5arrayIPcLm4EEEEviT0_T1_
                                        ; -- End function
	.set _ZN2at6native29vectorized_elementwise_kernelILi2EZZZNS0_12_GLOBAL__N_117where_kernel_implERNS_14TensorIteratorEENKUlvE_clEvENKUlvE0_clEvEUlbttE_St5arrayIPcLm4EEEEviT0_T1_.num_vgpr, 33
	.set _ZN2at6native29vectorized_elementwise_kernelILi2EZZZNS0_12_GLOBAL__N_117where_kernel_implERNS_14TensorIteratorEENKUlvE_clEvENKUlvE0_clEvEUlbttE_St5arrayIPcLm4EEEEviT0_T1_.num_agpr, 0
	.set _ZN2at6native29vectorized_elementwise_kernelILi2EZZZNS0_12_GLOBAL__N_117where_kernel_implERNS_14TensorIteratorEENKUlvE_clEvENKUlvE0_clEvEUlbttE_St5arrayIPcLm4EEEEviT0_T1_.numbered_sgpr, 18
	.set _ZN2at6native29vectorized_elementwise_kernelILi2EZZZNS0_12_GLOBAL__N_117where_kernel_implERNS_14TensorIteratorEENKUlvE_clEvENKUlvE0_clEvEUlbttE_St5arrayIPcLm4EEEEviT0_T1_.num_named_barrier, 0
	.set _ZN2at6native29vectorized_elementwise_kernelILi2EZZZNS0_12_GLOBAL__N_117where_kernel_implERNS_14TensorIteratorEENKUlvE_clEvENKUlvE0_clEvEUlbttE_St5arrayIPcLm4EEEEviT0_T1_.private_seg_size, 0
	.set _ZN2at6native29vectorized_elementwise_kernelILi2EZZZNS0_12_GLOBAL__N_117where_kernel_implERNS_14TensorIteratorEENKUlvE_clEvENKUlvE0_clEvEUlbttE_St5arrayIPcLm4EEEEviT0_T1_.uses_vcc, 1
	.set _ZN2at6native29vectorized_elementwise_kernelILi2EZZZNS0_12_GLOBAL__N_117where_kernel_implERNS_14TensorIteratorEENKUlvE_clEvENKUlvE0_clEvEUlbttE_St5arrayIPcLm4EEEEviT0_T1_.uses_flat_scratch, 0
	.set _ZN2at6native29vectorized_elementwise_kernelILi2EZZZNS0_12_GLOBAL__N_117where_kernel_implERNS_14TensorIteratorEENKUlvE_clEvENKUlvE0_clEvEUlbttE_St5arrayIPcLm4EEEEviT0_T1_.has_dyn_sized_stack, 0
	.set _ZN2at6native29vectorized_elementwise_kernelILi2EZZZNS0_12_GLOBAL__N_117where_kernel_implERNS_14TensorIteratorEENKUlvE_clEvENKUlvE0_clEvEUlbttE_St5arrayIPcLm4EEEEviT0_T1_.has_recursion, 0
	.set _ZN2at6native29vectorized_elementwise_kernelILi2EZZZNS0_12_GLOBAL__N_117where_kernel_implERNS_14TensorIteratorEENKUlvE_clEvENKUlvE0_clEvEUlbttE_St5arrayIPcLm4EEEEviT0_T1_.has_indirect_call, 0
	.section	.AMDGPU.csdata,"",@progbits
; Kernel info:
; codeLenInByte = 3848
; TotalNumSgprs: 20
; NumVgprs: 33
; ScratchSize: 0
; MemoryBound: 0
; FloatMode: 240
; IeeeMode: 1
; LDSByteSize: 0 bytes/workgroup (compile time only)
; SGPRBlocks: 0
; VGPRBlocks: 2
; NumSGPRsForWavesPerEU: 20
; NumVGPRsForWavesPerEU: 33
; NamedBarCnt: 0
; Occupancy: 16
; WaveLimiterHint : 1
; COMPUTE_PGM_RSRC2:SCRATCH_EN: 0
; COMPUTE_PGM_RSRC2:USER_SGPR: 2
; COMPUTE_PGM_RSRC2:TRAP_HANDLER: 0
; COMPUTE_PGM_RSRC2:TGID_X_EN: 1
; COMPUTE_PGM_RSRC2:TGID_Y_EN: 0
; COMPUTE_PGM_RSRC2:TGID_Z_EN: 0
; COMPUTE_PGM_RSRC2:TIDIG_COMP_CNT: 0
	.section	.text._ZN2at6native27unrolled_elementwise_kernelIZZZNS0_12_GLOBAL__N_117where_kernel_implERNS_14TensorIteratorEENKUlvE_clEvENKUlvE0_clEvEUlbttE_St5arrayIPcLm4EELi4E23TrivialOffsetCalculatorILi3EjESB_ILi1EjENS0_6memory15LoadWithoutCastENSE_16StoreWithoutCastEEEviT_T0_T2_T3_T4_T5_,"axG",@progbits,_ZN2at6native27unrolled_elementwise_kernelIZZZNS0_12_GLOBAL__N_117where_kernel_implERNS_14TensorIteratorEENKUlvE_clEvENKUlvE0_clEvEUlbttE_St5arrayIPcLm4EELi4E23TrivialOffsetCalculatorILi3EjESB_ILi1EjENS0_6memory15LoadWithoutCastENSE_16StoreWithoutCastEEEviT_T0_T2_T3_T4_T5_,comdat
	.globl	_ZN2at6native27unrolled_elementwise_kernelIZZZNS0_12_GLOBAL__N_117where_kernel_implERNS_14TensorIteratorEENKUlvE_clEvENKUlvE0_clEvEUlbttE_St5arrayIPcLm4EELi4E23TrivialOffsetCalculatorILi3EjESB_ILi1EjENS0_6memory15LoadWithoutCastENSE_16StoreWithoutCastEEEviT_T0_T2_T3_T4_T5_ ; -- Begin function _ZN2at6native27unrolled_elementwise_kernelIZZZNS0_12_GLOBAL__N_117where_kernel_implERNS_14TensorIteratorEENKUlvE_clEvENKUlvE0_clEvEUlbttE_St5arrayIPcLm4EELi4E23TrivialOffsetCalculatorILi3EjESB_ILi1EjENS0_6memory15LoadWithoutCastENSE_16StoreWithoutCastEEEviT_T0_T2_T3_T4_T5_
	.p2align	8
	.type	_ZN2at6native27unrolled_elementwise_kernelIZZZNS0_12_GLOBAL__N_117where_kernel_implERNS_14TensorIteratorEENKUlvE_clEvENKUlvE0_clEvEUlbttE_St5arrayIPcLm4EELi4E23TrivialOffsetCalculatorILi3EjESB_ILi1EjENS0_6memory15LoadWithoutCastENSE_16StoreWithoutCastEEEviT_T0_T2_T3_T4_T5_,@function
_ZN2at6native27unrolled_elementwise_kernelIZZZNS0_12_GLOBAL__N_117where_kernel_implERNS_14TensorIteratorEENKUlvE_clEvENKUlvE0_clEvEUlbttE_St5arrayIPcLm4EELi4E23TrivialOffsetCalculatorILi3EjESB_ILi1EjENS0_6memory15LoadWithoutCastENSE_16StoreWithoutCastEEEviT_T0_T2_T3_T4_T5_: ; @_ZN2at6native27unrolled_elementwise_kernelIZZZNS0_12_GLOBAL__N_117where_kernel_implERNS_14TensorIteratorEENKUlvE_clEvENKUlvE0_clEvEUlbttE_St5arrayIPcLm4EELi4E23TrivialOffsetCalculatorILi3EjESB_ILi1EjENS0_6memory15LoadWithoutCastENSE_16StoreWithoutCastEEEviT_T0_T2_T3_T4_T5_
; %bb.0:
	s_load_b32 s2, s[0:1], 0x0
	s_bfe_u32 s3, ttmp6, 0x4000c
	s_load_b256 s[4:11], s[0:1], 0x8
	s_add_co_i32 s3, s3, 1
	s_wait_xcnt 0x0
	s_and_b32 s0, ttmp6, 15
	s_mul_i32 s1, ttmp9, s3
	s_getreg_b32 s3, hwreg(HW_REG_IB_STS2, 6, 4)
	s_add_co_i32 s0, s0, s1
	s_cmp_eq_u32 s3, 0
	v_dual_mov_b32 v1, 0 :: v_dual_mov_b32 v4, 0
	s_cselect_b32 s0, ttmp9, s0
	v_or_b32_e32 v2, 0x100, v0
	s_lshl_b32 s1, s0, 10
	s_delay_alu instid0(SALU_CYCLE_1) | instskip(SKIP_2) | instid1(SALU_CYCLE_1)
	v_dual_mov_b32 v7, v0 :: v_dual_bitop2_b32 v3, s1, v0 bitop3:0x54
	s_wait_kmcnt 0x0
	s_sub_co_i32 s2, s2, s1
	v_cmp_gt_i32_e32 vcc_lo, s2, v0
	s_and_saveexec_b32 s3, vcc_lo
	s_cbranch_execz .LBB12_2
; %bb.1:
	s_clause 0x2
	global_load_u8 v4, v3, s[6:7]
	global_load_u16 v5, v3, s[8:9] scale_offset
	global_load_u16 v6, v3, s[10:11] scale_offset
	v_or_b32_e32 v7, 0x100, v0
	s_wait_loadcnt 0x2
	v_cmp_eq_u16_e64 s0, 0, v4
	s_wait_loadcnt 0x0
	s_delay_alu instid0(VALU_DEP_1)
	v_cndmask_b32_e64 v4, v5, v6, s0
.LBB12_2:
	s_or_b32 exec_lo, exec_lo, s3
	s_delay_alu instid0(SALU_CYCLE_1)
	s_mov_b32 s3, exec_lo
	v_cmpx_gt_i32_e64 s2, v7
	s_cbranch_execz .LBB12_4
; %bb.3:
	v_add_nc_u32_e32 v1, s1, v7
	v_add_nc_u32_e32 v7, 0x100, v7
	s_clause 0x2
	global_load_u8 v5, v1, s[6:7]
	global_load_u16 v6, v1, s[8:9] scale_offset
	global_load_u16 v8, v1, s[10:11] scale_offset
	s_wait_loadcnt 0x2
	v_cmp_eq_u16_e64 s0, 0, v5
	s_wait_loadcnt 0x0
	s_delay_alu instid0(VALU_DEP_1)
	v_cndmask_b32_e64 v1, v6, v8, s0
.LBB12_4:
	s_or_b32 exec_lo, exec_lo, s3
	v_dual_mov_b32 v5, 0 :: v_dual_mov_b32 v6, 0
	s_mov_b32 s3, exec_lo
	v_cmpx_gt_i32_e64 s2, v7
	s_cbranch_execnz .LBB12_11
; %bb.5:
	s_or_b32 exec_lo, exec_lo, s3
	s_delay_alu instid0(SALU_CYCLE_1)
	s_mov_b32 s3, exec_lo
	v_cmpx_gt_i32_e64 s2, v7
	s_cbranch_execnz .LBB12_12
.LBB12_6:
	s_or_b32 exec_lo, exec_lo, s3
	s_and_saveexec_b32 s0, vcc_lo
	s_cbranch_execnz .LBB12_13
.LBB12_7:
	s_or_b32 exec_lo, exec_lo, s0
	s_delay_alu instid0(SALU_CYCLE_1)
	s_mov_b32 s0, exec_lo
	v_cmpx_gt_i32_e64 s2, v0
	s_cbranch_execnz .LBB12_14
.LBB12_8:
	s_or_b32 exec_lo, exec_lo, s0
	s_delay_alu instid0(SALU_CYCLE_1)
	s_mov_b32 s0, exec_lo
	v_cmpx_gt_i32_e64 s2, v0
	s_cbranch_execnz .LBB12_15
.LBB12_9:
	s_or_b32 exec_lo, exec_lo, s0
	s_delay_alu instid0(SALU_CYCLE_1)
	s_mov_b32 s0, exec_lo
	v_cmpx_gt_i32_e64 s2, v0
	s_cbranch_execnz .LBB12_16
.LBB12_10:
	s_endpgm
.LBB12_11:
	v_add_nc_u32_e32 v6, s1, v7
	v_add_nc_u32_e32 v7, 0x100, v7
	s_clause 0x2
	global_load_u8 v8, v6, s[6:7]
	global_load_u16 v9, v6, s[8:9] scale_offset
	global_load_u16 v10, v6, s[10:11] scale_offset
	s_wait_loadcnt 0x2
	v_cmp_eq_u16_e64 s0, 0, v8
	s_wait_loadcnt 0x0
	s_delay_alu instid0(VALU_DEP_1) | instskip(SKIP_1) | instid1(SALU_CYCLE_1)
	v_cndmask_b32_e64 v6, v9, v10, s0
	s_or_b32 exec_lo, exec_lo, s3
	s_mov_b32 s3, exec_lo
	v_cmpx_gt_i32_e64 s2, v7
	s_cbranch_execz .LBB12_6
.LBB12_12:
	v_add_nc_u32_e32 v5, s1, v7
	s_clause 0x2
	global_load_u8 v7, v5, s[6:7]
	global_load_u16 v8, v5, s[8:9] scale_offset
	global_load_u16 v9, v5, s[10:11] scale_offset
	s_wait_loadcnt 0x2
	v_cmp_eq_u16_e64 s0, 0, v7
	s_wait_loadcnt 0x0
	s_delay_alu instid0(VALU_DEP_1)
	v_cndmask_b32_e64 v5, v8, v9, s0
	s_or_b32 exec_lo, exec_lo, s3
	s_and_saveexec_b32 s0, vcc_lo
	s_cbranch_execz .LBB12_7
.LBB12_13:
	v_mov_b32_e32 v0, v2
	global_store_b16 v3, v4, s[4:5] scale_offset
	s_wait_xcnt 0x0
	s_or_b32 exec_lo, exec_lo, s0
	s_delay_alu instid0(SALU_CYCLE_1)
	s_mov_b32 s0, exec_lo
	v_cmpx_gt_i32_e64 s2, v0
	s_cbranch_execz .LBB12_8
.LBB12_14:
	v_add_nc_u32_e32 v2, 0x100, v0
	s_delay_alu instid0(VALU_DEP_1) | instskip(SKIP_3) | instid1(SALU_CYCLE_1)
	v_dual_mov_b32 v0, v2 :: v_dual_add_nc_u32 v3, s1, v0
	global_store_b16 v3, v1, s[4:5] scale_offset
	s_wait_xcnt 0x0
	s_or_b32 exec_lo, exec_lo, s0
	s_mov_b32 s0, exec_lo
	v_cmpx_gt_i32_e64 s2, v0
	s_cbranch_execz .LBB12_9
.LBB12_15:
	v_add_nc_u32_e32 v1, 0x100, v0
	s_delay_alu instid0(VALU_DEP_1) | instskip(SKIP_3) | instid1(SALU_CYCLE_1)
	v_dual_add_nc_u32 v2, s1, v0 :: v_dual_mov_b32 v0, v1
	global_store_b16 v2, v6, s[4:5] scale_offset
	s_wait_xcnt 0x0
	s_or_b32 exec_lo, exec_lo, s0
	s_mov_b32 s0, exec_lo
	v_cmpx_gt_i32_e64 s2, v0
	s_cbranch_execz .LBB12_10
.LBB12_16:
	v_add_nc_u32_e32 v0, s1, v0
	global_store_b16 v0, v5, s[4:5] scale_offset
	s_endpgm
	.section	.rodata,"a",@progbits
	.p2align	6, 0x0
	.amdhsa_kernel _ZN2at6native27unrolled_elementwise_kernelIZZZNS0_12_GLOBAL__N_117where_kernel_implERNS_14TensorIteratorEENKUlvE_clEvENKUlvE0_clEvEUlbttE_St5arrayIPcLm4EELi4E23TrivialOffsetCalculatorILi3EjESB_ILi1EjENS0_6memory15LoadWithoutCastENSE_16StoreWithoutCastEEEviT_T0_T2_T3_T4_T5_
		.amdhsa_group_segment_fixed_size 0
		.amdhsa_private_segment_fixed_size 0
		.amdhsa_kernarg_size 44
		.amdhsa_user_sgpr_count 2
		.amdhsa_user_sgpr_dispatch_ptr 0
		.amdhsa_user_sgpr_queue_ptr 0
		.amdhsa_user_sgpr_kernarg_segment_ptr 1
		.amdhsa_user_sgpr_dispatch_id 0
		.amdhsa_user_sgpr_kernarg_preload_length 0
		.amdhsa_user_sgpr_kernarg_preload_offset 0
		.amdhsa_user_sgpr_private_segment_size 0
		.amdhsa_wavefront_size32 1
		.amdhsa_uses_dynamic_stack 0
		.amdhsa_enable_private_segment 0
		.amdhsa_system_sgpr_workgroup_id_x 1
		.amdhsa_system_sgpr_workgroup_id_y 0
		.amdhsa_system_sgpr_workgroup_id_z 0
		.amdhsa_system_sgpr_workgroup_info 0
		.amdhsa_system_vgpr_workitem_id 0
		.amdhsa_next_free_vgpr 11
		.amdhsa_next_free_sgpr 12
		.amdhsa_named_barrier_count 0
		.amdhsa_reserve_vcc 1
		.amdhsa_float_round_mode_32 0
		.amdhsa_float_round_mode_16_64 0
		.amdhsa_float_denorm_mode_32 3
		.amdhsa_float_denorm_mode_16_64 3
		.amdhsa_fp16_overflow 0
		.amdhsa_memory_ordered 1
		.amdhsa_forward_progress 1
		.amdhsa_inst_pref_size 7
		.amdhsa_round_robin_scheduling 0
		.amdhsa_exception_fp_ieee_invalid_op 0
		.amdhsa_exception_fp_denorm_src 0
		.amdhsa_exception_fp_ieee_div_zero 0
		.amdhsa_exception_fp_ieee_overflow 0
		.amdhsa_exception_fp_ieee_underflow 0
		.amdhsa_exception_fp_ieee_inexact 0
		.amdhsa_exception_int_div_zero 0
	.end_amdhsa_kernel
	.section	.text._ZN2at6native27unrolled_elementwise_kernelIZZZNS0_12_GLOBAL__N_117where_kernel_implERNS_14TensorIteratorEENKUlvE_clEvENKUlvE0_clEvEUlbttE_St5arrayIPcLm4EELi4E23TrivialOffsetCalculatorILi3EjESB_ILi1EjENS0_6memory15LoadWithoutCastENSE_16StoreWithoutCastEEEviT_T0_T2_T3_T4_T5_,"axG",@progbits,_ZN2at6native27unrolled_elementwise_kernelIZZZNS0_12_GLOBAL__N_117where_kernel_implERNS_14TensorIteratorEENKUlvE_clEvENKUlvE0_clEvEUlbttE_St5arrayIPcLm4EELi4E23TrivialOffsetCalculatorILi3EjESB_ILi1EjENS0_6memory15LoadWithoutCastENSE_16StoreWithoutCastEEEviT_T0_T2_T3_T4_T5_,comdat
.Lfunc_end12:
	.size	_ZN2at6native27unrolled_elementwise_kernelIZZZNS0_12_GLOBAL__N_117where_kernel_implERNS_14TensorIteratorEENKUlvE_clEvENKUlvE0_clEvEUlbttE_St5arrayIPcLm4EELi4E23TrivialOffsetCalculatorILi3EjESB_ILi1EjENS0_6memory15LoadWithoutCastENSE_16StoreWithoutCastEEEviT_T0_T2_T3_T4_T5_, .Lfunc_end12-_ZN2at6native27unrolled_elementwise_kernelIZZZNS0_12_GLOBAL__N_117where_kernel_implERNS_14TensorIteratorEENKUlvE_clEvENKUlvE0_clEvEUlbttE_St5arrayIPcLm4EELi4E23TrivialOffsetCalculatorILi3EjESB_ILi1EjENS0_6memory15LoadWithoutCastENSE_16StoreWithoutCastEEEviT_T0_T2_T3_T4_T5_
                                        ; -- End function
	.set _ZN2at6native27unrolled_elementwise_kernelIZZZNS0_12_GLOBAL__N_117where_kernel_implERNS_14TensorIteratorEENKUlvE_clEvENKUlvE0_clEvEUlbttE_St5arrayIPcLm4EELi4E23TrivialOffsetCalculatorILi3EjESB_ILi1EjENS0_6memory15LoadWithoutCastENSE_16StoreWithoutCastEEEviT_T0_T2_T3_T4_T5_.num_vgpr, 11
	.set _ZN2at6native27unrolled_elementwise_kernelIZZZNS0_12_GLOBAL__N_117where_kernel_implERNS_14TensorIteratorEENKUlvE_clEvENKUlvE0_clEvEUlbttE_St5arrayIPcLm4EELi4E23TrivialOffsetCalculatorILi3EjESB_ILi1EjENS0_6memory15LoadWithoutCastENSE_16StoreWithoutCastEEEviT_T0_T2_T3_T4_T5_.num_agpr, 0
	.set _ZN2at6native27unrolled_elementwise_kernelIZZZNS0_12_GLOBAL__N_117where_kernel_implERNS_14TensorIteratorEENKUlvE_clEvENKUlvE0_clEvEUlbttE_St5arrayIPcLm4EELi4E23TrivialOffsetCalculatorILi3EjESB_ILi1EjENS0_6memory15LoadWithoutCastENSE_16StoreWithoutCastEEEviT_T0_T2_T3_T4_T5_.numbered_sgpr, 12
	.set _ZN2at6native27unrolled_elementwise_kernelIZZZNS0_12_GLOBAL__N_117where_kernel_implERNS_14TensorIteratorEENKUlvE_clEvENKUlvE0_clEvEUlbttE_St5arrayIPcLm4EELi4E23TrivialOffsetCalculatorILi3EjESB_ILi1EjENS0_6memory15LoadWithoutCastENSE_16StoreWithoutCastEEEviT_T0_T2_T3_T4_T5_.num_named_barrier, 0
	.set _ZN2at6native27unrolled_elementwise_kernelIZZZNS0_12_GLOBAL__N_117where_kernel_implERNS_14TensorIteratorEENKUlvE_clEvENKUlvE0_clEvEUlbttE_St5arrayIPcLm4EELi4E23TrivialOffsetCalculatorILi3EjESB_ILi1EjENS0_6memory15LoadWithoutCastENSE_16StoreWithoutCastEEEviT_T0_T2_T3_T4_T5_.private_seg_size, 0
	.set _ZN2at6native27unrolled_elementwise_kernelIZZZNS0_12_GLOBAL__N_117where_kernel_implERNS_14TensorIteratorEENKUlvE_clEvENKUlvE0_clEvEUlbttE_St5arrayIPcLm4EELi4E23TrivialOffsetCalculatorILi3EjESB_ILi1EjENS0_6memory15LoadWithoutCastENSE_16StoreWithoutCastEEEviT_T0_T2_T3_T4_T5_.uses_vcc, 1
	.set _ZN2at6native27unrolled_elementwise_kernelIZZZNS0_12_GLOBAL__N_117where_kernel_implERNS_14TensorIteratorEENKUlvE_clEvENKUlvE0_clEvEUlbttE_St5arrayIPcLm4EELi4E23TrivialOffsetCalculatorILi3EjESB_ILi1EjENS0_6memory15LoadWithoutCastENSE_16StoreWithoutCastEEEviT_T0_T2_T3_T4_T5_.uses_flat_scratch, 0
	.set _ZN2at6native27unrolled_elementwise_kernelIZZZNS0_12_GLOBAL__N_117where_kernel_implERNS_14TensorIteratorEENKUlvE_clEvENKUlvE0_clEvEUlbttE_St5arrayIPcLm4EELi4E23TrivialOffsetCalculatorILi3EjESB_ILi1EjENS0_6memory15LoadWithoutCastENSE_16StoreWithoutCastEEEviT_T0_T2_T3_T4_T5_.has_dyn_sized_stack, 0
	.set _ZN2at6native27unrolled_elementwise_kernelIZZZNS0_12_GLOBAL__N_117where_kernel_implERNS_14TensorIteratorEENKUlvE_clEvENKUlvE0_clEvEUlbttE_St5arrayIPcLm4EELi4E23TrivialOffsetCalculatorILi3EjESB_ILi1EjENS0_6memory15LoadWithoutCastENSE_16StoreWithoutCastEEEviT_T0_T2_T3_T4_T5_.has_recursion, 0
	.set _ZN2at6native27unrolled_elementwise_kernelIZZZNS0_12_GLOBAL__N_117where_kernel_implERNS_14TensorIteratorEENKUlvE_clEvENKUlvE0_clEvEUlbttE_St5arrayIPcLm4EELi4E23TrivialOffsetCalculatorILi3EjESB_ILi1EjENS0_6memory15LoadWithoutCastENSE_16StoreWithoutCastEEEviT_T0_T2_T3_T4_T5_.has_indirect_call, 0
	.section	.AMDGPU.csdata,"",@progbits
; Kernel info:
; codeLenInByte = 796
; TotalNumSgprs: 14
; NumVgprs: 11
; ScratchSize: 0
; MemoryBound: 0
; FloatMode: 240
; IeeeMode: 1
; LDSByteSize: 0 bytes/workgroup (compile time only)
; SGPRBlocks: 0
; VGPRBlocks: 0
; NumSGPRsForWavesPerEU: 14
; NumVGPRsForWavesPerEU: 11
; NamedBarCnt: 0
; Occupancy: 16
; WaveLimiterHint : 0
; COMPUTE_PGM_RSRC2:SCRATCH_EN: 0
; COMPUTE_PGM_RSRC2:USER_SGPR: 2
; COMPUTE_PGM_RSRC2:TRAP_HANDLER: 0
; COMPUTE_PGM_RSRC2:TGID_X_EN: 1
; COMPUTE_PGM_RSRC2:TGID_Y_EN: 0
; COMPUTE_PGM_RSRC2:TGID_Z_EN: 0
; COMPUTE_PGM_RSRC2:TIDIG_COMP_CNT: 0
	.section	.text._ZN2at6native32elementwise_kernel_manual_unrollILi128ELi8EZNS0_22gpu_kernel_impl_nocastIZZZNS0_12_GLOBAL__N_117where_kernel_implERNS_14TensorIteratorEENKUlvE_clEvENKUlvE0_clEvEUlbttE_EEvRNS_18TensorIteratorBaseERKT_EUlibE_EEviT1_,"axG",@progbits,_ZN2at6native32elementwise_kernel_manual_unrollILi128ELi8EZNS0_22gpu_kernel_impl_nocastIZZZNS0_12_GLOBAL__N_117where_kernel_implERNS_14TensorIteratorEENKUlvE_clEvENKUlvE0_clEvEUlbttE_EEvRNS_18TensorIteratorBaseERKT_EUlibE_EEviT1_,comdat
	.globl	_ZN2at6native32elementwise_kernel_manual_unrollILi128ELi8EZNS0_22gpu_kernel_impl_nocastIZZZNS0_12_GLOBAL__N_117where_kernel_implERNS_14TensorIteratorEENKUlvE_clEvENKUlvE0_clEvEUlbttE_EEvRNS_18TensorIteratorBaseERKT_EUlibE_EEviT1_ ; -- Begin function _ZN2at6native32elementwise_kernel_manual_unrollILi128ELi8EZNS0_22gpu_kernel_impl_nocastIZZZNS0_12_GLOBAL__N_117where_kernel_implERNS_14TensorIteratorEENKUlvE_clEvENKUlvE0_clEvEUlbttE_EEvRNS_18TensorIteratorBaseERKT_EUlibE_EEviT1_
	.p2align	8
	.type	_ZN2at6native32elementwise_kernel_manual_unrollILi128ELi8EZNS0_22gpu_kernel_impl_nocastIZZZNS0_12_GLOBAL__N_117where_kernel_implERNS_14TensorIteratorEENKUlvE_clEvENKUlvE0_clEvEUlbttE_EEvRNS_18TensorIteratorBaseERKT_EUlibE_EEviT1_,@function
_ZN2at6native32elementwise_kernel_manual_unrollILi128ELi8EZNS0_22gpu_kernel_impl_nocastIZZZNS0_12_GLOBAL__N_117where_kernel_implERNS_14TensorIteratorEENKUlvE_clEvENKUlvE0_clEvEUlbttE_EEvRNS_18TensorIteratorBaseERKT_EUlibE_EEviT1_: ; @_ZN2at6native32elementwise_kernel_manual_unrollILi128ELi8EZNS0_22gpu_kernel_impl_nocastIZZZNS0_12_GLOBAL__N_117where_kernel_implERNS_14TensorIteratorEENKUlvE_clEvENKUlvE0_clEvEUlbttE_EEvRNS_18TensorIteratorBaseERKT_EUlibE_EEviT1_
; %bb.0:
	s_clause 0x1
	s_load_b32 s33, s[0:1], 0x8
	s_load_b32 s39, s[0:1], 0x0
	s_bfe_u32 s2, ttmp6, 0x4000c
	s_and_b32 s3, ttmp6, 15
	s_add_co_i32 s2, s2, 1
	s_getreg_b32 s4, hwreg(HW_REG_IB_STS2, 6, 4)
	s_mul_i32 s2, ttmp9, s2
	s_add_nc_u64 s[20:21], s[0:1], 8
	s_add_co_i32 s3, s3, s2
	s_cmp_eq_u32 s4, 0
	s_mov_b32 s25, 0
	s_cselect_b32 s2, ttmp9, s3
	s_wait_xcnt 0x0
	s_mov_b32 s0, exec_lo
	v_lshl_or_b32 v0, s2, 10, v0
	s_delay_alu instid0(VALU_DEP_1) | instskip(SKIP_2) | instid1(SALU_CYCLE_1)
	v_or_b32_e32 v5, 0x380, v0
	s_wait_kmcnt 0x0
	s_add_co_i32 s34, s33, -1
	s_cmp_gt_u32 s34, 1
	s_cselect_b32 s35, -1, 0
	v_cmpx_le_i32_e64 s39, v5
	s_xor_b32 s36, exec_lo, s0
	s_cbranch_execz .LBB13_106
; %bb.1:
	s_clause 0x3
	s_load_b128 s[16:19], s[20:21], 0x4
	s_load_b64 s[22:23], s[20:21], 0x14
	s_load_b256 s[8:15], s[20:21], 0xc4
	s_load_b256 s[0:7], s[20:21], 0x1c8
	s_cmp_lg_u32 s33, 0
	s_mov_b32 s27, s25
	s_cselect_b32 s40, -1, 0
	s_min_u32 s38, s34, 15
	s_cmp_gt_u32 s33, 1
	s_cselect_b32 s37, -1, 0
	s_wait_kmcnt 0x0
	s_mov_b32 s24, s17
	s_mov_b32 s26, s22
	s_mov_b32 s17, exec_lo
	v_cmpx_gt_i32_e64 s39, v0
	s_cbranch_execnz .LBB13_9
; %bb.2:
	s_or_b32 exec_lo, exec_lo, s17
	s_delay_alu instid0(SALU_CYCLE_1)
	s_mov_b32 s17, exec_lo
	v_cmpx_gt_i32_e64 s39, v0
	s_cbranch_execnz .LBB13_21
.LBB13_3:
	s_or_b32 exec_lo, exec_lo, s17
	s_delay_alu instid0(SALU_CYCLE_1)
	s_mov_b32 s17, exec_lo
	v_cmpx_gt_i32_e64 s39, v0
	s_cbranch_execnz .LBB13_33
.LBB13_4:
	s_or_b32 exec_lo, exec_lo, s17
	s_delay_alu instid0(SALU_CYCLE_1)
	s_mov_b32 s17, exec_lo
	v_cmpx_gt_i32_e64 s39, v0
	s_cbranch_execnz .LBB13_45
.LBB13_5:
	s_or_b32 exec_lo, exec_lo, s17
	s_delay_alu instid0(SALU_CYCLE_1)
	s_mov_b32 s17, exec_lo
	v_cmpx_gt_i32_e64 s39, v0
	s_cbranch_execnz .LBB13_57
.LBB13_6:
	s_or_b32 exec_lo, exec_lo, s17
	s_delay_alu instid0(SALU_CYCLE_1)
	s_mov_b32 s17, exec_lo
	v_cmpx_gt_i32_e64 s39, v0
	s_cbranch_execnz .LBB13_69
.LBB13_7:
	s_or_b32 exec_lo, exec_lo, s17
	s_delay_alu instid0(SALU_CYCLE_1)
	s_mov_b32 s17, exec_lo
	v_cmpx_gt_i32_e64 s39, v0
	s_cbranch_execnz .LBB13_81
.LBB13_8:
	s_or_b32 exec_lo, exec_lo, s17
	s_delay_alu instid0(SALU_CYCLE_1)
	s_mov_b32 s17, exec_lo
	v_cmpx_gt_i32_e64 s39, v0
	s_cbranch_execnz .LBB13_93
	s_branch .LBB13_105
.LBB13_9:
	s_and_not1_b32 vcc_lo, exec_lo, s35
	s_cbranch_vccnz .LBB13_15
; %bb.10:
	s_and_not1_b32 vcc_lo, exec_lo, s40
	s_cbranch_vccnz .LBB13_16
; %bb.11:
	v_dual_mov_b32 v5, 0 :: v_dual_mov_b32 v1, v0
	v_dual_mov_b32 v7, 0 :: v_dual_mov_b32 v4, 0
	v_mov_b32_e32 v6, 0
	s_add_co_i32 s22, s38, 1
	s_mov_b64 s[28:29], 0xffffffffffffffe0
	s_and_b32 s22, s22, 30
	s_add_nc_u64 s[28:29], s[20:21], s[28:29]
	s_mov_b64 s[30:31], s[20:21]
.LBB13_12:                              ; =>This Inner Loop Header: Depth=1
	s_clause 0x1
	s_load_b128 s[52:55], s[30:31], 0x4
	s_load_b64 s[42:43], s[30:31], 0x14
	s_load_b256 s[44:51], s[28:29], 0xe4
	s_add_co_i32 s22, s22, -2
	s_wait_xcnt 0x0
	s_add_nc_u64 s[30:31], s[30:31], 24
	s_cmp_lg_u32 s22, 0
	s_add_nc_u64 s[28:29], s[28:29], 32
	s_wait_kmcnt 0x0
	v_mul_hi_u32 v2, s53, v1
	s_delay_alu instid0(VALU_DEP_1) | instskip(NEXT) | instid1(VALU_DEP_1)
	v_add_nc_u32_e32 v2, v1, v2
	v_lshrrev_b32_e32 v2, s54, v2
	s_delay_alu instid0(VALU_DEP_1) | instskip(SKIP_1) | instid1(VALU_DEP_1)
	v_mul_hi_u32 v3, s42, v2
	v_mul_lo_u32 v8, v2, s52
	v_dual_add_nc_u32 v3, v2, v3 :: v_dual_sub_nc_u32 v8, v1, v8
	s_delay_alu instid0(VALU_DEP_1) | instskip(NEXT) | instid1(VALU_DEP_2)
	v_lshrrev_b32_e32 v1, s43, v3
	v_mad_u32 v6, v8, s45, v6
	v_mad_u32 v4, v8, s44, v4
	v_mad_u32 v7, v8, s47, v7
	v_mad_u32 v5, v8, s46, v5
	v_mul_lo_u32 v3, v1, s55
	s_delay_alu instid0(VALU_DEP_1) | instskip(NEXT) | instid1(VALU_DEP_1)
	v_sub_nc_u32_e32 v2, v2, v3
	v_mad_u32 v6, v2, s49, v6
	v_mad_u32 v4, v2, s48, v4
	;; [unrolled: 1-line block ×4, first 2 shown]
	s_cbranch_scc1 .LBB13_12
; %bb.13:
	s_bitcmp1_b32 s38, 0
	s_cselect_b32 s22, -1, 0
	s_delay_alu instid0(SALU_CYCLE_1)
	s_and_b32 vcc_lo, exec_lo, s22
	s_cbranch_vccnz .LBB13_17
; %bb.14:
	s_load_b96 s[48:50], s[30:31], 0x4
	s_load_b128 s[44:47], s[28:29], 0xe4
	s_wait_kmcnt 0x0
	v_mul_hi_u32 v2, s49, v1
	s_delay_alu instid0(VALU_DEP_1) | instskip(NEXT) | instid1(VALU_DEP_1)
	v_add_nc_u32_e32 v2, v1, v2
	v_lshrrev_b32_e32 v2, s50, v2
	s_delay_alu instid0(VALU_DEP_1) | instskip(NEXT) | instid1(VALU_DEP_1)
	v_mul_lo_u32 v2, v2, s48
	v_sub_nc_u32_e32 v1, v1, v2
	s_delay_alu instid0(VALU_DEP_1)
	v_mad_u32 v4, v1, s44, v4
	v_mad_u32 v6, v1, s45, v6
	;; [unrolled: 1-line block ×4, first 2 shown]
	s_cbranch_execz .LBB13_18
	s_branch .LBB13_20
.LBB13_15:
                                        ; implicit-def: $vgpr6
                                        ; implicit-def: $vgpr4
                                        ; implicit-def: $vgpr7
                                        ; implicit-def: $vgpr5
	s_branch .LBB13_18
.LBB13_16:
	v_dual_mov_b32 v6, 0 :: v_dual_mov_b32 v4, 0
	v_dual_mov_b32 v7, 0 :: v_dual_mov_b32 v5, 0
.LBB13_17:
	s_cbranch_execnz .LBB13_20
.LBB13_18:
	v_mov_b32_e32 v1, 0
	s_and_not1_b32 vcc_lo, exec_lo, s37
	s_delay_alu instid0(VALU_DEP_1) | instskip(NEXT) | instid1(VALU_DEP_1)
	v_mul_u64_e32 v[2:3], s[24:25], v[0:1]
	v_add_nc_u32_e32 v2, v0, v3
	s_delay_alu instid0(VALU_DEP_1) | instskip(NEXT) | instid1(VALU_DEP_1)
	v_lshrrev_b32_e32 v2, s18, v2
	v_mul_lo_u32 v3, v2, s16
	s_delay_alu instid0(VALU_DEP_1) | instskip(NEXT) | instid1(VALU_DEP_1)
	v_sub_nc_u32_e32 v3, v0, v3
	v_mul_lo_u32 v6, v3, s9
	v_mul_lo_u32 v4, v3, s8
	;; [unrolled: 1-line block ×4, first 2 shown]
	s_cbranch_vccnz .LBB13_20
; %bb.19:
	v_mov_b32_e32 v3, v1
	s_delay_alu instid0(VALU_DEP_1) | instskip(NEXT) | instid1(VALU_DEP_1)
	v_mul_u64_e32 v[8:9], s[26:27], v[2:3]
	v_add_nc_u32_e32 v1, v2, v9
	s_delay_alu instid0(VALU_DEP_1) | instskip(NEXT) | instid1(VALU_DEP_1)
	v_lshrrev_b32_e32 v1, s23, v1
	v_mul_lo_u32 v1, v1, s19
	s_delay_alu instid0(VALU_DEP_1) | instskip(NEXT) | instid1(VALU_DEP_1)
	v_sub_nc_u32_e32 v1, v2, v1
	v_mad_u32 v4, v1, s12, v4
	v_mad_u32 v6, v1, s13, v6
	v_mad_u32 v5, v1, s14, v5
	v_mad_u32 v7, v1, s15, v7
.LBB13_20:
	global_load_u8 v1, v6, s[2:3]
	global_load_u16 v2, v5, s[4:5]
	global_load_u16 v3, v7, s[6:7]
	v_add_nc_u32_e32 v0, 0x80, v0
	s_wait_loadcnt 0x2
	v_cmp_eq_u16_e32 vcc_lo, 0, v1
	s_wait_loadcnt 0x0
	v_cndmask_b32_e32 v1, v2, v3, vcc_lo
	global_store_b16 v4, v1, s[0:1]
	s_wait_xcnt 0x0
	s_or_b32 exec_lo, exec_lo, s17
	s_delay_alu instid0(SALU_CYCLE_1)
	s_mov_b32 s17, exec_lo
	v_cmpx_gt_i32_e64 s39, v0
	s_cbranch_execz .LBB13_3
.LBB13_21:
	s_and_not1_b32 vcc_lo, exec_lo, s35
	s_cbranch_vccnz .LBB13_27
; %bb.22:
	s_and_not1_b32 vcc_lo, exec_lo, s40
	s_cbranch_vccnz .LBB13_28
; %bb.23:
	v_dual_mov_b32 v6, 0 :: v_dual_mov_b32 v1, v0
	v_dual_mov_b32 v7, 0 :: v_dual_mov_b32 v4, 0
	v_mov_b32_e32 v5, 0
	s_add_co_i32 s22, s38, 1
	s_mov_b64 s[28:29], 0xffffffffffffffe0
	s_and_b32 s22, s22, 30
	s_add_nc_u64 s[28:29], s[20:21], s[28:29]
	s_mov_b64 s[30:31], s[20:21]
.LBB13_24:                              ; =>This Inner Loop Header: Depth=1
	s_clause 0x1
	s_load_b128 s[52:55], s[30:31], 0x4
	s_load_b64 s[42:43], s[30:31], 0x14
	s_load_b256 s[44:51], s[28:29], 0xe4
	s_add_co_i32 s22, s22, -2
	s_wait_xcnt 0x0
	s_add_nc_u64 s[30:31], s[30:31], 24
	s_cmp_eq_u32 s22, 0
	s_add_nc_u64 s[28:29], s[28:29], 32
	s_wait_kmcnt 0x0
	v_mul_hi_u32 v2, s53, v1
	s_delay_alu instid0(VALU_DEP_1) | instskip(NEXT) | instid1(VALU_DEP_1)
	v_add_nc_u32_e32 v2, v1, v2
	v_lshrrev_b32_e32 v2, s54, v2
	s_delay_alu instid0(VALU_DEP_1) | instskip(SKIP_1) | instid1(VALU_DEP_1)
	v_mul_hi_u32 v3, s42, v2
	v_mul_lo_u32 v8, v2, s52
	v_dual_add_nc_u32 v3, v2, v3 :: v_dual_sub_nc_u32 v8, v1, v8
	s_delay_alu instid0(VALU_DEP_1) | instskip(NEXT) | instid1(VALU_DEP_2)
	v_lshrrev_b32_e32 v1, s43, v3
	v_mad_u32 v5, v8, s45, v5
	v_mad_u32 v4, v8, s44, v4
	;; [unrolled: 1-line block ×4, first 2 shown]
	v_mul_lo_u32 v3, v1, s55
	s_delay_alu instid0(VALU_DEP_1) | instskip(NEXT) | instid1(VALU_DEP_1)
	v_sub_nc_u32_e32 v2, v2, v3
	v_mad_u32 v5, v2, s49, v5
	v_mad_u32 v4, v2, s48, v4
	;; [unrolled: 1-line block ×4, first 2 shown]
	s_cbranch_scc0 .LBB13_24
; %bb.25:
	s_bitcmp1_b32 s38, 0
	s_cselect_b32 s22, -1, 0
	s_delay_alu instid0(SALU_CYCLE_1)
	s_and_b32 vcc_lo, exec_lo, s22
	s_cbranch_vccnz .LBB13_29
; %bb.26:
	s_load_b96 s[48:50], s[30:31], 0x4
	s_load_b128 s[44:47], s[28:29], 0xe4
	s_wait_kmcnt 0x0
	v_mul_hi_u32 v2, s49, v1
	s_delay_alu instid0(VALU_DEP_1) | instskip(NEXT) | instid1(VALU_DEP_1)
	v_add_nc_u32_e32 v2, v1, v2
	v_lshrrev_b32_e32 v2, s50, v2
	s_delay_alu instid0(VALU_DEP_1) | instskip(NEXT) | instid1(VALU_DEP_1)
	v_mul_lo_u32 v2, v2, s48
	v_sub_nc_u32_e32 v1, v1, v2
	s_delay_alu instid0(VALU_DEP_1)
	v_mad_u32 v4, v1, s44, v4
	v_mad_u32 v5, v1, s45, v5
	;; [unrolled: 1-line block ×4, first 2 shown]
	s_branch .LBB13_29
.LBB13_27:
                                        ; implicit-def: $vgpr5
                                        ; implicit-def: $vgpr4
                                        ; implicit-def: $vgpr7
                                        ; implicit-def: $vgpr6
	s_branch .LBB13_30
.LBB13_28:
	v_dual_mov_b32 v5, 0 :: v_dual_mov_b32 v4, 0
	v_dual_mov_b32 v7, 0 :: v_dual_mov_b32 v6, 0
.LBB13_29:
	s_cbranch_execnz .LBB13_32
.LBB13_30:
	v_mov_b32_e32 v1, 0
	s_and_not1_b32 vcc_lo, exec_lo, s37
	s_delay_alu instid0(VALU_DEP_1) | instskip(NEXT) | instid1(VALU_DEP_1)
	v_mul_u64_e32 v[2:3], s[24:25], v[0:1]
	v_add_nc_u32_e32 v2, v0, v3
	s_delay_alu instid0(VALU_DEP_1) | instskip(NEXT) | instid1(VALU_DEP_1)
	v_lshrrev_b32_e32 v2, s18, v2
	v_mul_lo_u32 v3, v2, s16
	s_delay_alu instid0(VALU_DEP_1) | instskip(NEXT) | instid1(VALU_DEP_1)
	v_sub_nc_u32_e32 v3, v0, v3
	v_mul_lo_u32 v5, v3, s9
	v_mul_lo_u32 v4, v3, s8
	v_mul_lo_u32 v7, v3, s11
	v_mul_lo_u32 v6, v3, s10
	s_cbranch_vccnz .LBB13_32
; %bb.31:
	v_mov_b32_e32 v3, v1
	s_delay_alu instid0(VALU_DEP_1) | instskip(NEXT) | instid1(VALU_DEP_1)
	v_mul_u64_e32 v[8:9], s[26:27], v[2:3]
	v_add_nc_u32_e32 v1, v2, v9
	s_delay_alu instid0(VALU_DEP_1) | instskip(NEXT) | instid1(VALU_DEP_1)
	v_lshrrev_b32_e32 v1, s23, v1
	v_mul_lo_u32 v1, v1, s19
	s_delay_alu instid0(VALU_DEP_1) | instskip(NEXT) | instid1(VALU_DEP_1)
	v_sub_nc_u32_e32 v1, v2, v1
	v_mad_u32 v4, v1, s12, v4
	v_mad_u32 v5, v1, s13, v5
	;; [unrolled: 1-line block ×4, first 2 shown]
.LBB13_32:
	global_load_u8 v1, v5, s[2:3]
	global_load_u16 v2, v6, s[4:5]
	global_load_u16 v3, v7, s[6:7]
	v_add_nc_u32_e32 v0, 0x80, v0
	s_wait_loadcnt 0x2
	v_cmp_eq_u16_e32 vcc_lo, 0, v1
	s_wait_loadcnt 0x0
	v_cndmask_b32_e32 v1, v2, v3, vcc_lo
	global_store_b16 v4, v1, s[0:1]
	s_wait_xcnt 0x0
	s_or_b32 exec_lo, exec_lo, s17
	s_delay_alu instid0(SALU_CYCLE_1)
	s_mov_b32 s17, exec_lo
	v_cmpx_gt_i32_e64 s39, v0
	s_cbranch_execz .LBB13_4
.LBB13_33:
	s_and_not1_b32 vcc_lo, exec_lo, s35
	s_cbranch_vccnz .LBB13_39
; %bb.34:
	s_and_not1_b32 vcc_lo, exec_lo, s40
	s_cbranch_vccnz .LBB13_40
; %bb.35:
	v_dual_mov_b32 v5, 0 :: v_dual_mov_b32 v1, v0
	v_dual_mov_b32 v7, 0 :: v_dual_mov_b32 v4, 0
	v_mov_b32_e32 v6, 0
	s_add_co_i32 s22, s38, 1
	s_mov_b64 s[28:29], 0xffffffffffffffe0
	s_and_b32 s22, s22, 30
	s_add_nc_u64 s[28:29], s[20:21], s[28:29]
	s_mov_b64 s[30:31], s[20:21]
.LBB13_36:                              ; =>This Inner Loop Header: Depth=1
	s_clause 0x1
	s_load_b128 s[52:55], s[30:31], 0x4
	s_load_b64 s[42:43], s[30:31], 0x14
	s_load_b256 s[44:51], s[28:29], 0xe4
	s_add_co_i32 s22, s22, -2
	s_wait_xcnt 0x0
	s_add_nc_u64 s[30:31], s[30:31], 24
	s_cmp_eq_u32 s22, 0
	s_add_nc_u64 s[28:29], s[28:29], 32
	s_wait_kmcnt 0x0
	v_mul_hi_u32 v2, s53, v1
	s_delay_alu instid0(VALU_DEP_1) | instskip(NEXT) | instid1(VALU_DEP_1)
	v_add_nc_u32_e32 v2, v1, v2
	v_lshrrev_b32_e32 v2, s54, v2
	s_delay_alu instid0(VALU_DEP_1) | instskip(SKIP_1) | instid1(VALU_DEP_1)
	v_mul_hi_u32 v3, s42, v2
	v_mul_lo_u32 v8, v2, s52
	v_dual_add_nc_u32 v3, v2, v3 :: v_dual_sub_nc_u32 v8, v1, v8
	s_delay_alu instid0(VALU_DEP_1) | instskip(NEXT) | instid1(VALU_DEP_2)
	v_lshrrev_b32_e32 v1, s43, v3
	v_mad_u32 v6, v8, s45, v6
	v_mad_u32 v4, v8, s44, v4
	;; [unrolled: 1-line block ×4, first 2 shown]
	v_mul_lo_u32 v3, v1, s55
	s_delay_alu instid0(VALU_DEP_1) | instskip(NEXT) | instid1(VALU_DEP_1)
	v_sub_nc_u32_e32 v2, v2, v3
	v_mad_u32 v6, v2, s49, v6
	v_mad_u32 v4, v2, s48, v4
	;; [unrolled: 1-line block ×4, first 2 shown]
	s_cbranch_scc0 .LBB13_36
; %bb.37:
	s_bitcmp1_b32 s38, 0
	s_cselect_b32 s22, -1, 0
	s_delay_alu instid0(SALU_CYCLE_1)
	s_and_b32 vcc_lo, exec_lo, s22
	s_cbranch_vccnz .LBB13_41
; %bb.38:
	s_load_b96 s[48:50], s[30:31], 0x4
	s_load_b128 s[44:47], s[28:29], 0xe4
	s_wait_kmcnt 0x0
	v_mul_hi_u32 v2, s49, v1
	s_delay_alu instid0(VALU_DEP_1) | instskip(NEXT) | instid1(VALU_DEP_1)
	v_add_nc_u32_e32 v2, v1, v2
	v_lshrrev_b32_e32 v2, s50, v2
	s_delay_alu instid0(VALU_DEP_1) | instskip(NEXT) | instid1(VALU_DEP_1)
	v_mul_lo_u32 v2, v2, s48
	v_sub_nc_u32_e32 v1, v1, v2
	s_delay_alu instid0(VALU_DEP_1)
	v_mad_u32 v4, v1, s44, v4
	v_mad_u32 v6, v1, s45, v6
	;; [unrolled: 1-line block ×4, first 2 shown]
	s_branch .LBB13_41
.LBB13_39:
                                        ; implicit-def: $vgpr6
                                        ; implicit-def: $vgpr4
                                        ; implicit-def: $vgpr7
                                        ; implicit-def: $vgpr5
	s_branch .LBB13_42
.LBB13_40:
	v_dual_mov_b32 v6, 0 :: v_dual_mov_b32 v4, 0
	v_dual_mov_b32 v7, 0 :: v_dual_mov_b32 v5, 0
.LBB13_41:
	s_cbranch_execnz .LBB13_44
.LBB13_42:
	v_mov_b32_e32 v1, 0
	s_and_not1_b32 vcc_lo, exec_lo, s37
	s_delay_alu instid0(VALU_DEP_1) | instskip(NEXT) | instid1(VALU_DEP_1)
	v_mul_u64_e32 v[2:3], s[24:25], v[0:1]
	v_add_nc_u32_e32 v2, v0, v3
	s_delay_alu instid0(VALU_DEP_1) | instskip(NEXT) | instid1(VALU_DEP_1)
	v_lshrrev_b32_e32 v2, s18, v2
	v_mul_lo_u32 v3, v2, s16
	s_delay_alu instid0(VALU_DEP_1) | instskip(NEXT) | instid1(VALU_DEP_1)
	v_sub_nc_u32_e32 v3, v0, v3
	v_mul_lo_u32 v6, v3, s9
	v_mul_lo_u32 v4, v3, s8
	;; [unrolled: 1-line block ×4, first 2 shown]
	s_cbranch_vccnz .LBB13_44
; %bb.43:
	v_mov_b32_e32 v3, v1
	s_delay_alu instid0(VALU_DEP_1) | instskip(NEXT) | instid1(VALU_DEP_1)
	v_mul_u64_e32 v[8:9], s[26:27], v[2:3]
	v_add_nc_u32_e32 v1, v2, v9
	s_delay_alu instid0(VALU_DEP_1) | instskip(NEXT) | instid1(VALU_DEP_1)
	v_lshrrev_b32_e32 v1, s23, v1
	v_mul_lo_u32 v1, v1, s19
	s_delay_alu instid0(VALU_DEP_1) | instskip(NEXT) | instid1(VALU_DEP_1)
	v_sub_nc_u32_e32 v1, v2, v1
	v_mad_u32 v4, v1, s12, v4
	v_mad_u32 v6, v1, s13, v6
	v_mad_u32 v5, v1, s14, v5
	v_mad_u32 v7, v1, s15, v7
.LBB13_44:
	global_load_u8 v1, v6, s[2:3]
	global_load_u16 v2, v5, s[4:5]
	global_load_u16 v3, v7, s[6:7]
	v_add_nc_u32_e32 v0, 0x80, v0
	s_wait_loadcnt 0x2
	v_cmp_eq_u16_e32 vcc_lo, 0, v1
	s_wait_loadcnt 0x0
	v_cndmask_b32_e32 v1, v2, v3, vcc_lo
	global_store_b16 v4, v1, s[0:1]
	s_wait_xcnt 0x0
	s_or_b32 exec_lo, exec_lo, s17
	s_delay_alu instid0(SALU_CYCLE_1)
	s_mov_b32 s17, exec_lo
	v_cmpx_gt_i32_e64 s39, v0
	s_cbranch_execz .LBB13_5
.LBB13_45:
	s_and_not1_b32 vcc_lo, exec_lo, s35
	s_cbranch_vccnz .LBB13_51
; %bb.46:
	s_and_not1_b32 vcc_lo, exec_lo, s40
	s_cbranch_vccnz .LBB13_52
; %bb.47:
	v_dual_mov_b32 v6, 0 :: v_dual_mov_b32 v1, v0
	v_dual_mov_b32 v7, 0 :: v_dual_mov_b32 v4, 0
	v_mov_b32_e32 v5, 0
	s_add_co_i32 s22, s38, 1
	s_mov_b64 s[28:29], 0xffffffffffffffe0
	s_and_b32 s22, s22, 30
	s_add_nc_u64 s[28:29], s[20:21], s[28:29]
	s_mov_b64 s[30:31], s[20:21]
.LBB13_48:                              ; =>This Inner Loop Header: Depth=1
	s_clause 0x1
	s_load_b128 s[52:55], s[30:31], 0x4
	s_load_b64 s[42:43], s[30:31], 0x14
	s_load_b256 s[44:51], s[28:29], 0xe4
	s_add_co_i32 s22, s22, -2
	s_wait_xcnt 0x0
	s_add_nc_u64 s[30:31], s[30:31], 24
	s_cmp_eq_u32 s22, 0
	s_add_nc_u64 s[28:29], s[28:29], 32
	s_wait_kmcnt 0x0
	v_mul_hi_u32 v2, s53, v1
	s_delay_alu instid0(VALU_DEP_1) | instskip(NEXT) | instid1(VALU_DEP_1)
	v_add_nc_u32_e32 v2, v1, v2
	v_lshrrev_b32_e32 v2, s54, v2
	s_delay_alu instid0(VALU_DEP_1) | instskip(SKIP_1) | instid1(VALU_DEP_1)
	v_mul_hi_u32 v3, s42, v2
	v_mul_lo_u32 v8, v2, s52
	v_dual_add_nc_u32 v3, v2, v3 :: v_dual_sub_nc_u32 v8, v1, v8
	s_delay_alu instid0(VALU_DEP_1) | instskip(NEXT) | instid1(VALU_DEP_2)
	v_lshrrev_b32_e32 v1, s43, v3
	v_mad_u32 v5, v8, s45, v5
	v_mad_u32 v4, v8, s44, v4
	;; [unrolled: 1-line block ×4, first 2 shown]
	v_mul_lo_u32 v3, v1, s55
	s_delay_alu instid0(VALU_DEP_1) | instskip(NEXT) | instid1(VALU_DEP_1)
	v_sub_nc_u32_e32 v2, v2, v3
	v_mad_u32 v5, v2, s49, v5
	v_mad_u32 v4, v2, s48, v4
	v_mad_u32 v7, v2, s51, v7
	v_mad_u32 v6, v2, s50, v6
	s_cbranch_scc0 .LBB13_48
; %bb.49:
	s_bitcmp1_b32 s38, 0
	s_cselect_b32 s22, -1, 0
	s_delay_alu instid0(SALU_CYCLE_1)
	s_and_b32 vcc_lo, exec_lo, s22
	s_cbranch_vccnz .LBB13_53
; %bb.50:
	s_load_b96 s[48:50], s[30:31], 0x4
	s_load_b128 s[44:47], s[28:29], 0xe4
	s_wait_kmcnt 0x0
	v_mul_hi_u32 v2, s49, v1
	s_delay_alu instid0(VALU_DEP_1) | instskip(NEXT) | instid1(VALU_DEP_1)
	v_add_nc_u32_e32 v2, v1, v2
	v_lshrrev_b32_e32 v2, s50, v2
	s_delay_alu instid0(VALU_DEP_1) | instskip(NEXT) | instid1(VALU_DEP_1)
	v_mul_lo_u32 v2, v2, s48
	v_sub_nc_u32_e32 v1, v1, v2
	s_delay_alu instid0(VALU_DEP_1)
	v_mad_u32 v4, v1, s44, v4
	v_mad_u32 v5, v1, s45, v5
	;; [unrolled: 1-line block ×4, first 2 shown]
	s_branch .LBB13_53
.LBB13_51:
                                        ; implicit-def: $vgpr5
                                        ; implicit-def: $vgpr4
                                        ; implicit-def: $vgpr7
                                        ; implicit-def: $vgpr6
	s_branch .LBB13_54
.LBB13_52:
	v_dual_mov_b32 v5, 0 :: v_dual_mov_b32 v4, 0
	v_dual_mov_b32 v7, 0 :: v_dual_mov_b32 v6, 0
.LBB13_53:
	s_cbranch_execnz .LBB13_56
.LBB13_54:
	v_mov_b32_e32 v1, 0
	s_and_not1_b32 vcc_lo, exec_lo, s37
	s_delay_alu instid0(VALU_DEP_1) | instskip(NEXT) | instid1(VALU_DEP_1)
	v_mul_u64_e32 v[2:3], s[24:25], v[0:1]
	v_add_nc_u32_e32 v2, v0, v3
	s_delay_alu instid0(VALU_DEP_1) | instskip(NEXT) | instid1(VALU_DEP_1)
	v_lshrrev_b32_e32 v2, s18, v2
	v_mul_lo_u32 v3, v2, s16
	s_delay_alu instid0(VALU_DEP_1) | instskip(NEXT) | instid1(VALU_DEP_1)
	v_sub_nc_u32_e32 v3, v0, v3
	v_mul_lo_u32 v5, v3, s9
	v_mul_lo_u32 v4, v3, s8
	;; [unrolled: 1-line block ×4, first 2 shown]
	s_cbranch_vccnz .LBB13_56
; %bb.55:
	v_mov_b32_e32 v3, v1
	s_delay_alu instid0(VALU_DEP_1) | instskip(NEXT) | instid1(VALU_DEP_1)
	v_mul_u64_e32 v[8:9], s[26:27], v[2:3]
	v_add_nc_u32_e32 v1, v2, v9
	s_delay_alu instid0(VALU_DEP_1) | instskip(NEXT) | instid1(VALU_DEP_1)
	v_lshrrev_b32_e32 v1, s23, v1
	v_mul_lo_u32 v1, v1, s19
	s_delay_alu instid0(VALU_DEP_1) | instskip(NEXT) | instid1(VALU_DEP_1)
	v_sub_nc_u32_e32 v1, v2, v1
	v_mad_u32 v4, v1, s12, v4
	v_mad_u32 v5, v1, s13, v5
	;; [unrolled: 1-line block ×4, first 2 shown]
.LBB13_56:
	global_load_u8 v1, v5, s[2:3]
	global_load_u16 v2, v6, s[4:5]
	global_load_u16 v3, v7, s[6:7]
	v_add_nc_u32_e32 v0, 0x80, v0
	s_wait_loadcnt 0x2
	v_cmp_eq_u16_e32 vcc_lo, 0, v1
	s_wait_loadcnt 0x0
	v_cndmask_b32_e32 v1, v2, v3, vcc_lo
	global_store_b16 v4, v1, s[0:1]
	s_wait_xcnt 0x0
	s_or_b32 exec_lo, exec_lo, s17
	s_delay_alu instid0(SALU_CYCLE_1)
	s_mov_b32 s17, exec_lo
	v_cmpx_gt_i32_e64 s39, v0
	s_cbranch_execz .LBB13_6
.LBB13_57:
	s_and_not1_b32 vcc_lo, exec_lo, s35
	s_cbranch_vccnz .LBB13_63
; %bb.58:
	s_and_not1_b32 vcc_lo, exec_lo, s40
	s_cbranch_vccnz .LBB13_64
; %bb.59:
	v_dual_mov_b32 v6, 0 :: v_dual_mov_b32 v1, v0
	v_dual_mov_b32 v7, 0 :: v_dual_mov_b32 v4, 0
	v_mov_b32_e32 v5, 0
	s_add_co_i32 s22, s38, 1
	s_mov_b64 s[28:29], 0xffffffffffffffe0
	s_and_b32 s22, s22, 30
	s_add_nc_u64 s[28:29], s[20:21], s[28:29]
	s_mov_b64 s[30:31], s[20:21]
.LBB13_60:                              ; =>This Inner Loop Header: Depth=1
	s_clause 0x1
	s_load_b128 s[52:55], s[30:31], 0x4
	s_load_b64 s[42:43], s[30:31], 0x14
	s_load_b256 s[44:51], s[28:29], 0xe4
	s_add_co_i32 s22, s22, -2
	s_wait_xcnt 0x0
	s_add_nc_u64 s[30:31], s[30:31], 24
	s_cmp_eq_u32 s22, 0
	s_add_nc_u64 s[28:29], s[28:29], 32
	s_wait_kmcnt 0x0
	v_mul_hi_u32 v2, s53, v1
	s_delay_alu instid0(VALU_DEP_1) | instskip(NEXT) | instid1(VALU_DEP_1)
	v_add_nc_u32_e32 v2, v1, v2
	v_lshrrev_b32_e32 v2, s54, v2
	s_delay_alu instid0(VALU_DEP_1) | instskip(SKIP_1) | instid1(VALU_DEP_1)
	v_mul_hi_u32 v3, s42, v2
	v_mul_lo_u32 v8, v2, s52
	v_dual_add_nc_u32 v3, v2, v3 :: v_dual_sub_nc_u32 v8, v1, v8
	s_delay_alu instid0(VALU_DEP_1) | instskip(NEXT) | instid1(VALU_DEP_2)
	v_lshrrev_b32_e32 v1, s43, v3
	v_mad_u32 v5, v8, s45, v5
	v_mad_u32 v4, v8, s44, v4
	;; [unrolled: 1-line block ×4, first 2 shown]
	v_mul_lo_u32 v3, v1, s55
	s_delay_alu instid0(VALU_DEP_1) | instskip(NEXT) | instid1(VALU_DEP_1)
	v_sub_nc_u32_e32 v2, v2, v3
	v_mad_u32 v5, v2, s49, v5
	v_mad_u32 v4, v2, s48, v4
	v_mad_u32 v7, v2, s51, v7
	v_mad_u32 v6, v2, s50, v6
	s_cbranch_scc0 .LBB13_60
; %bb.61:
	s_bitcmp1_b32 s38, 0
	s_cselect_b32 s22, -1, 0
	s_delay_alu instid0(SALU_CYCLE_1)
	s_and_b32 vcc_lo, exec_lo, s22
	s_cbranch_vccnz .LBB13_65
; %bb.62:
	s_load_b96 s[48:50], s[30:31], 0x4
	s_load_b128 s[44:47], s[28:29], 0xe4
	s_wait_kmcnt 0x0
	v_mul_hi_u32 v2, s49, v1
	s_delay_alu instid0(VALU_DEP_1) | instskip(NEXT) | instid1(VALU_DEP_1)
	v_add_nc_u32_e32 v2, v1, v2
	v_lshrrev_b32_e32 v2, s50, v2
	s_delay_alu instid0(VALU_DEP_1) | instskip(NEXT) | instid1(VALU_DEP_1)
	v_mul_lo_u32 v2, v2, s48
	v_sub_nc_u32_e32 v1, v1, v2
	s_delay_alu instid0(VALU_DEP_1)
	v_mad_u32 v4, v1, s44, v4
	v_mad_u32 v5, v1, s45, v5
	;; [unrolled: 1-line block ×4, first 2 shown]
	s_branch .LBB13_65
.LBB13_63:
                                        ; implicit-def: $vgpr5
                                        ; implicit-def: $vgpr4
                                        ; implicit-def: $vgpr7
                                        ; implicit-def: $vgpr6
	s_branch .LBB13_66
.LBB13_64:
	v_dual_mov_b32 v5, 0 :: v_dual_mov_b32 v4, 0
	v_dual_mov_b32 v7, 0 :: v_dual_mov_b32 v6, 0
.LBB13_65:
	s_cbranch_execnz .LBB13_68
.LBB13_66:
	v_mov_b32_e32 v1, 0
	s_and_not1_b32 vcc_lo, exec_lo, s37
	s_delay_alu instid0(VALU_DEP_1) | instskip(NEXT) | instid1(VALU_DEP_1)
	v_mul_u64_e32 v[2:3], s[24:25], v[0:1]
	v_add_nc_u32_e32 v2, v0, v3
	s_delay_alu instid0(VALU_DEP_1) | instskip(NEXT) | instid1(VALU_DEP_1)
	v_lshrrev_b32_e32 v2, s18, v2
	v_mul_lo_u32 v3, v2, s16
	s_delay_alu instid0(VALU_DEP_1) | instskip(NEXT) | instid1(VALU_DEP_1)
	v_sub_nc_u32_e32 v3, v0, v3
	v_mul_lo_u32 v5, v3, s9
	v_mul_lo_u32 v4, v3, s8
	;; [unrolled: 1-line block ×4, first 2 shown]
	s_cbranch_vccnz .LBB13_68
; %bb.67:
	v_mov_b32_e32 v3, v1
	s_delay_alu instid0(VALU_DEP_1) | instskip(NEXT) | instid1(VALU_DEP_1)
	v_mul_u64_e32 v[8:9], s[26:27], v[2:3]
	v_add_nc_u32_e32 v1, v2, v9
	s_delay_alu instid0(VALU_DEP_1) | instskip(NEXT) | instid1(VALU_DEP_1)
	v_lshrrev_b32_e32 v1, s23, v1
	v_mul_lo_u32 v1, v1, s19
	s_delay_alu instid0(VALU_DEP_1) | instskip(NEXT) | instid1(VALU_DEP_1)
	v_sub_nc_u32_e32 v1, v2, v1
	v_mad_u32 v4, v1, s12, v4
	v_mad_u32 v5, v1, s13, v5
	;; [unrolled: 1-line block ×4, first 2 shown]
.LBB13_68:
	global_load_u8 v1, v5, s[2:3]
	global_load_u16 v2, v6, s[4:5]
	global_load_u16 v3, v7, s[6:7]
	v_add_nc_u32_e32 v0, 0x80, v0
	s_wait_loadcnt 0x2
	v_cmp_eq_u16_e32 vcc_lo, 0, v1
	s_wait_loadcnt 0x0
	v_cndmask_b32_e32 v1, v2, v3, vcc_lo
	global_store_b16 v4, v1, s[0:1]
	s_wait_xcnt 0x0
	s_or_b32 exec_lo, exec_lo, s17
	s_delay_alu instid0(SALU_CYCLE_1)
	s_mov_b32 s17, exec_lo
	v_cmpx_gt_i32_e64 s39, v0
	s_cbranch_execz .LBB13_7
.LBB13_69:
	s_and_not1_b32 vcc_lo, exec_lo, s35
	s_cbranch_vccnz .LBB13_75
; %bb.70:
	s_and_not1_b32 vcc_lo, exec_lo, s40
	s_cbranch_vccnz .LBB13_76
; %bb.71:
	v_dual_mov_b32 v5, 0 :: v_dual_mov_b32 v1, v0
	v_dual_mov_b32 v7, 0 :: v_dual_mov_b32 v4, 0
	v_mov_b32_e32 v6, 0
	s_add_co_i32 s22, s38, 1
	s_mov_b64 s[28:29], 0xffffffffffffffe0
	s_and_b32 s22, s22, 30
	s_add_nc_u64 s[28:29], s[20:21], s[28:29]
	s_mov_b64 s[30:31], s[20:21]
.LBB13_72:                              ; =>This Inner Loop Header: Depth=1
	s_clause 0x1
	s_load_b128 s[52:55], s[30:31], 0x4
	s_load_b64 s[42:43], s[30:31], 0x14
	s_load_b256 s[44:51], s[28:29], 0xe4
	s_add_co_i32 s22, s22, -2
	s_wait_xcnt 0x0
	s_add_nc_u64 s[30:31], s[30:31], 24
	s_cmp_eq_u32 s22, 0
	s_add_nc_u64 s[28:29], s[28:29], 32
	s_wait_kmcnt 0x0
	v_mul_hi_u32 v2, s53, v1
	s_delay_alu instid0(VALU_DEP_1) | instskip(NEXT) | instid1(VALU_DEP_1)
	v_add_nc_u32_e32 v2, v1, v2
	v_lshrrev_b32_e32 v2, s54, v2
	s_delay_alu instid0(VALU_DEP_1) | instskip(SKIP_1) | instid1(VALU_DEP_1)
	v_mul_hi_u32 v3, s42, v2
	v_mul_lo_u32 v8, v2, s52
	v_dual_add_nc_u32 v3, v2, v3 :: v_dual_sub_nc_u32 v8, v1, v8
	s_delay_alu instid0(VALU_DEP_1) | instskip(NEXT) | instid1(VALU_DEP_2)
	v_lshrrev_b32_e32 v1, s43, v3
	v_mad_u32 v6, v8, s45, v6
	v_mad_u32 v4, v8, s44, v4
	;; [unrolled: 1-line block ×4, first 2 shown]
	v_mul_lo_u32 v3, v1, s55
	s_delay_alu instid0(VALU_DEP_1) | instskip(NEXT) | instid1(VALU_DEP_1)
	v_sub_nc_u32_e32 v2, v2, v3
	v_mad_u32 v6, v2, s49, v6
	v_mad_u32 v4, v2, s48, v4
	;; [unrolled: 1-line block ×4, first 2 shown]
	s_cbranch_scc0 .LBB13_72
; %bb.73:
	s_bitcmp1_b32 s38, 0
	s_cselect_b32 s22, -1, 0
	s_delay_alu instid0(SALU_CYCLE_1)
	s_and_b32 vcc_lo, exec_lo, s22
	s_cbranch_vccnz .LBB13_77
; %bb.74:
	s_load_b96 s[48:50], s[30:31], 0x4
	s_load_b128 s[44:47], s[28:29], 0xe4
	s_wait_kmcnt 0x0
	v_mul_hi_u32 v2, s49, v1
	s_delay_alu instid0(VALU_DEP_1) | instskip(NEXT) | instid1(VALU_DEP_1)
	v_add_nc_u32_e32 v2, v1, v2
	v_lshrrev_b32_e32 v2, s50, v2
	s_delay_alu instid0(VALU_DEP_1) | instskip(NEXT) | instid1(VALU_DEP_1)
	v_mul_lo_u32 v2, v2, s48
	v_sub_nc_u32_e32 v1, v1, v2
	s_delay_alu instid0(VALU_DEP_1)
	v_mad_u32 v4, v1, s44, v4
	v_mad_u32 v6, v1, s45, v6
	;; [unrolled: 1-line block ×4, first 2 shown]
	s_branch .LBB13_77
.LBB13_75:
                                        ; implicit-def: $vgpr6
                                        ; implicit-def: $vgpr4
                                        ; implicit-def: $vgpr7
                                        ; implicit-def: $vgpr5
	s_branch .LBB13_78
.LBB13_76:
	v_dual_mov_b32 v6, 0 :: v_dual_mov_b32 v4, 0
	v_dual_mov_b32 v7, 0 :: v_dual_mov_b32 v5, 0
.LBB13_77:
	s_cbranch_execnz .LBB13_80
.LBB13_78:
	v_mov_b32_e32 v1, 0
	s_and_not1_b32 vcc_lo, exec_lo, s37
	s_delay_alu instid0(VALU_DEP_1) | instskip(NEXT) | instid1(VALU_DEP_1)
	v_mul_u64_e32 v[2:3], s[24:25], v[0:1]
	v_add_nc_u32_e32 v2, v0, v3
	s_delay_alu instid0(VALU_DEP_1) | instskip(NEXT) | instid1(VALU_DEP_1)
	v_lshrrev_b32_e32 v2, s18, v2
	v_mul_lo_u32 v3, v2, s16
	s_delay_alu instid0(VALU_DEP_1) | instskip(NEXT) | instid1(VALU_DEP_1)
	v_sub_nc_u32_e32 v3, v0, v3
	v_mul_lo_u32 v6, v3, s9
	v_mul_lo_u32 v4, v3, s8
	;; [unrolled: 1-line block ×4, first 2 shown]
	s_cbranch_vccnz .LBB13_80
; %bb.79:
	v_mov_b32_e32 v3, v1
	s_delay_alu instid0(VALU_DEP_1) | instskip(NEXT) | instid1(VALU_DEP_1)
	v_mul_u64_e32 v[8:9], s[26:27], v[2:3]
	v_add_nc_u32_e32 v1, v2, v9
	s_delay_alu instid0(VALU_DEP_1) | instskip(NEXT) | instid1(VALU_DEP_1)
	v_lshrrev_b32_e32 v1, s23, v1
	v_mul_lo_u32 v1, v1, s19
	s_delay_alu instid0(VALU_DEP_1) | instskip(NEXT) | instid1(VALU_DEP_1)
	v_sub_nc_u32_e32 v1, v2, v1
	v_mad_u32 v4, v1, s12, v4
	v_mad_u32 v6, v1, s13, v6
	;; [unrolled: 1-line block ×4, first 2 shown]
.LBB13_80:
	global_load_u8 v1, v6, s[2:3]
	global_load_u16 v2, v5, s[4:5]
	global_load_u16 v3, v7, s[6:7]
	v_add_nc_u32_e32 v0, 0x80, v0
	s_wait_loadcnt 0x2
	v_cmp_eq_u16_e32 vcc_lo, 0, v1
	s_wait_loadcnt 0x0
	v_cndmask_b32_e32 v1, v2, v3, vcc_lo
	global_store_b16 v4, v1, s[0:1]
	s_wait_xcnt 0x0
	s_or_b32 exec_lo, exec_lo, s17
	s_delay_alu instid0(SALU_CYCLE_1)
	s_mov_b32 s17, exec_lo
	v_cmpx_gt_i32_e64 s39, v0
	s_cbranch_execz .LBB13_8
.LBB13_81:
	s_and_not1_b32 vcc_lo, exec_lo, s35
	s_cbranch_vccnz .LBB13_87
; %bb.82:
	s_and_not1_b32 vcc_lo, exec_lo, s40
	s_cbranch_vccnz .LBB13_88
; %bb.83:
	v_dual_mov_b32 v6, 0 :: v_dual_mov_b32 v1, v0
	v_dual_mov_b32 v7, 0 :: v_dual_mov_b32 v4, 0
	v_mov_b32_e32 v5, 0
	s_add_co_i32 s22, s38, 1
	s_mov_b64 s[28:29], 0xffffffffffffffe0
	s_and_b32 s22, s22, 30
	s_add_nc_u64 s[28:29], s[20:21], s[28:29]
	s_mov_b64 s[30:31], s[20:21]
.LBB13_84:                              ; =>This Inner Loop Header: Depth=1
	s_clause 0x1
	s_load_b128 s[52:55], s[30:31], 0x4
	s_load_b64 s[42:43], s[30:31], 0x14
	s_load_b256 s[44:51], s[28:29], 0xe4
	s_add_co_i32 s22, s22, -2
	s_wait_xcnt 0x0
	s_add_nc_u64 s[30:31], s[30:31], 24
	s_cmp_eq_u32 s22, 0
	s_add_nc_u64 s[28:29], s[28:29], 32
	s_wait_kmcnt 0x0
	v_mul_hi_u32 v2, s53, v1
	s_delay_alu instid0(VALU_DEP_1) | instskip(NEXT) | instid1(VALU_DEP_1)
	v_add_nc_u32_e32 v2, v1, v2
	v_lshrrev_b32_e32 v2, s54, v2
	s_delay_alu instid0(VALU_DEP_1) | instskip(SKIP_1) | instid1(VALU_DEP_1)
	v_mul_hi_u32 v3, s42, v2
	v_mul_lo_u32 v8, v2, s52
	v_dual_add_nc_u32 v3, v2, v3 :: v_dual_sub_nc_u32 v8, v1, v8
	s_delay_alu instid0(VALU_DEP_1) | instskip(NEXT) | instid1(VALU_DEP_2)
	v_lshrrev_b32_e32 v1, s43, v3
	v_mad_u32 v5, v8, s45, v5
	v_mad_u32 v4, v8, s44, v4
	;; [unrolled: 1-line block ×4, first 2 shown]
	v_mul_lo_u32 v3, v1, s55
	s_delay_alu instid0(VALU_DEP_1) | instskip(NEXT) | instid1(VALU_DEP_1)
	v_sub_nc_u32_e32 v2, v2, v3
	v_mad_u32 v5, v2, s49, v5
	v_mad_u32 v4, v2, s48, v4
	;; [unrolled: 1-line block ×4, first 2 shown]
	s_cbranch_scc0 .LBB13_84
; %bb.85:
	s_bitcmp1_b32 s38, 0
	s_cselect_b32 s22, -1, 0
	s_delay_alu instid0(SALU_CYCLE_1)
	s_and_b32 vcc_lo, exec_lo, s22
	s_cbranch_vccnz .LBB13_89
; %bb.86:
	s_load_b96 s[48:50], s[30:31], 0x4
	s_load_b128 s[44:47], s[28:29], 0xe4
	s_wait_kmcnt 0x0
	v_mul_hi_u32 v2, s49, v1
	s_delay_alu instid0(VALU_DEP_1) | instskip(NEXT) | instid1(VALU_DEP_1)
	v_add_nc_u32_e32 v2, v1, v2
	v_lshrrev_b32_e32 v2, s50, v2
	s_delay_alu instid0(VALU_DEP_1) | instskip(NEXT) | instid1(VALU_DEP_1)
	v_mul_lo_u32 v2, v2, s48
	v_sub_nc_u32_e32 v1, v1, v2
	s_delay_alu instid0(VALU_DEP_1)
	v_mad_u32 v4, v1, s44, v4
	v_mad_u32 v5, v1, s45, v5
	;; [unrolled: 1-line block ×4, first 2 shown]
	s_branch .LBB13_89
.LBB13_87:
                                        ; implicit-def: $vgpr5
                                        ; implicit-def: $vgpr4
                                        ; implicit-def: $vgpr7
                                        ; implicit-def: $vgpr6
	s_branch .LBB13_90
.LBB13_88:
	v_dual_mov_b32 v5, 0 :: v_dual_mov_b32 v4, 0
	v_dual_mov_b32 v7, 0 :: v_dual_mov_b32 v6, 0
.LBB13_89:
	s_cbranch_execnz .LBB13_92
.LBB13_90:
	v_mov_b32_e32 v1, 0
	s_and_not1_b32 vcc_lo, exec_lo, s37
	s_delay_alu instid0(VALU_DEP_1) | instskip(NEXT) | instid1(VALU_DEP_1)
	v_mul_u64_e32 v[2:3], s[24:25], v[0:1]
	v_add_nc_u32_e32 v2, v0, v3
	s_delay_alu instid0(VALU_DEP_1) | instskip(NEXT) | instid1(VALU_DEP_1)
	v_lshrrev_b32_e32 v2, s18, v2
	v_mul_lo_u32 v3, v2, s16
	s_delay_alu instid0(VALU_DEP_1) | instskip(NEXT) | instid1(VALU_DEP_1)
	v_sub_nc_u32_e32 v3, v0, v3
	v_mul_lo_u32 v5, v3, s9
	v_mul_lo_u32 v4, v3, s8
	;; [unrolled: 1-line block ×4, first 2 shown]
	s_cbranch_vccnz .LBB13_92
; %bb.91:
	v_mov_b32_e32 v3, v1
	s_delay_alu instid0(VALU_DEP_1) | instskip(NEXT) | instid1(VALU_DEP_1)
	v_mul_u64_e32 v[8:9], s[26:27], v[2:3]
	v_add_nc_u32_e32 v1, v2, v9
	s_delay_alu instid0(VALU_DEP_1) | instskip(NEXT) | instid1(VALU_DEP_1)
	v_lshrrev_b32_e32 v1, s23, v1
	v_mul_lo_u32 v1, v1, s19
	s_delay_alu instid0(VALU_DEP_1) | instskip(NEXT) | instid1(VALU_DEP_1)
	v_sub_nc_u32_e32 v1, v2, v1
	v_mad_u32 v4, v1, s12, v4
	v_mad_u32 v5, v1, s13, v5
	;; [unrolled: 1-line block ×4, first 2 shown]
.LBB13_92:
	global_load_u8 v1, v5, s[2:3]
	global_load_u16 v2, v6, s[4:5]
	global_load_u16 v3, v7, s[6:7]
	v_add_nc_u32_e32 v0, 0x80, v0
	s_wait_loadcnt 0x2
	v_cmp_eq_u16_e32 vcc_lo, 0, v1
	s_wait_loadcnt 0x0
	v_cndmask_b32_e32 v1, v2, v3, vcc_lo
	global_store_b16 v4, v1, s[0:1]
	s_wait_xcnt 0x0
	s_or_b32 exec_lo, exec_lo, s17
	s_delay_alu instid0(SALU_CYCLE_1)
	s_mov_b32 s17, exec_lo
	v_cmpx_gt_i32_e64 s39, v0
	s_cbranch_execz .LBB13_105
.LBB13_93:
	s_and_not1_b32 vcc_lo, exec_lo, s35
	s_cbranch_vccnz .LBB13_99
; %bb.94:
	s_and_not1_b32 vcc_lo, exec_lo, s40
	s_cbranch_vccnz .LBB13_100
; %bb.95:
	v_dual_mov_b32 v5, 0 :: v_dual_mov_b32 v1, v0
	v_dual_mov_b32 v7, 0 :: v_dual_mov_b32 v4, 0
	v_mov_b32_e32 v6, 0
	s_add_co_i32 s22, s38, 1
	s_mov_b64 s[28:29], 0xffffffffffffffe0
	s_and_b32 s22, s22, 30
	s_add_nc_u64 s[28:29], s[20:21], s[28:29]
	s_mov_b64 s[30:31], s[20:21]
.LBB13_96:                              ; =>This Inner Loop Header: Depth=1
	s_clause 0x1
	s_load_b128 s[48:51], s[30:31], 0x4
	s_load_b64 s[52:53], s[30:31], 0x14
	s_load_b256 s[40:47], s[28:29], 0xe4
	s_add_co_i32 s22, s22, -2
	s_wait_xcnt 0x0
	s_add_nc_u64 s[30:31], s[30:31], 24
	s_cmp_eq_u32 s22, 0
	s_add_nc_u64 s[28:29], s[28:29], 32
	s_wait_kmcnt 0x0
	v_mul_hi_u32 v2, s49, v1
	s_delay_alu instid0(VALU_DEP_1) | instskip(NEXT) | instid1(VALU_DEP_1)
	v_add_nc_u32_e32 v2, v1, v2
	v_lshrrev_b32_e32 v2, s50, v2
	s_delay_alu instid0(VALU_DEP_1) | instskip(SKIP_1) | instid1(VALU_DEP_1)
	v_mul_hi_u32 v3, s52, v2
	v_mul_lo_u32 v8, v2, s48
	v_dual_add_nc_u32 v3, v2, v3 :: v_dual_sub_nc_u32 v8, v1, v8
	s_delay_alu instid0(VALU_DEP_1) | instskip(NEXT) | instid1(VALU_DEP_2)
	v_lshrrev_b32_e32 v1, s53, v3
	v_mad_u32 v6, v8, s41, v6
	v_mad_u32 v4, v8, s40, v4
	;; [unrolled: 1-line block ×4, first 2 shown]
	v_mul_lo_u32 v3, v1, s51
	s_delay_alu instid0(VALU_DEP_1) | instskip(NEXT) | instid1(VALU_DEP_1)
	v_sub_nc_u32_e32 v2, v2, v3
	v_mad_u32 v6, v2, s45, v6
	v_mad_u32 v4, v2, s44, v4
	;; [unrolled: 1-line block ×4, first 2 shown]
	s_cbranch_scc0 .LBB13_96
; %bb.97:
	s_bitcmp1_b32 s38, 0
	s_cselect_b32 s22, -1, 0
	s_delay_alu instid0(SALU_CYCLE_1)
	s_and_b32 vcc_lo, exec_lo, s22
	s_cbranch_vccnz .LBB13_101
; %bb.98:
	s_load_b96 s[44:46], s[30:31], 0x4
	s_load_b128 s[40:43], s[28:29], 0xe4
	s_wait_kmcnt 0x0
	v_mul_hi_u32 v2, s45, v1
	s_delay_alu instid0(VALU_DEP_1) | instskip(NEXT) | instid1(VALU_DEP_1)
	v_add_nc_u32_e32 v2, v1, v2
	v_lshrrev_b32_e32 v2, s46, v2
	s_delay_alu instid0(VALU_DEP_1) | instskip(NEXT) | instid1(VALU_DEP_1)
	v_mul_lo_u32 v2, v2, s44
	v_sub_nc_u32_e32 v1, v1, v2
	s_delay_alu instid0(VALU_DEP_1)
	v_mad_u32 v4, v1, s40, v4
	v_mad_u32 v6, v1, s41, v6
	;; [unrolled: 1-line block ×4, first 2 shown]
	s_branch .LBB13_101
.LBB13_99:
                                        ; implicit-def: $vgpr6
                                        ; implicit-def: $vgpr4
                                        ; implicit-def: $vgpr7
                                        ; implicit-def: $vgpr5
	s_branch .LBB13_102
.LBB13_100:
	v_dual_mov_b32 v6, 0 :: v_dual_mov_b32 v4, 0
	v_dual_mov_b32 v7, 0 :: v_dual_mov_b32 v5, 0
.LBB13_101:
	s_cbranch_execnz .LBB13_104
.LBB13_102:
	v_mov_b32_e32 v1, 0
	s_and_not1_b32 vcc_lo, exec_lo, s37
	s_delay_alu instid0(VALU_DEP_1) | instskip(NEXT) | instid1(VALU_DEP_1)
	v_mul_u64_e32 v[2:3], s[24:25], v[0:1]
	v_add_nc_u32_e32 v2, v0, v3
	s_delay_alu instid0(VALU_DEP_1) | instskip(NEXT) | instid1(VALU_DEP_1)
	v_lshrrev_b32_e32 v2, s18, v2
	v_mul_lo_u32 v3, v2, s16
	s_delay_alu instid0(VALU_DEP_1) | instskip(NEXT) | instid1(VALU_DEP_1)
	v_sub_nc_u32_e32 v0, v0, v3
	v_mul_lo_u32 v6, v0, s9
	v_mul_lo_u32 v4, v0, s8
	;; [unrolled: 1-line block ×4, first 2 shown]
	s_cbranch_vccnz .LBB13_104
; %bb.103:
	v_mov_b32_e32 v3, v1
	s_delay_alu instid0(VALU_DEP_1) | instskip(NEXT) | instid1(VALU_DEP_1)
	v_mul_u64_e32 v[0:1], s[26:27], v[2:3]
	v_add_nc_u32_e32 v0, v2, v1
	s_delay_alu instid0(VALU_DEP_1) | instskip(NEXT) | instid1(VALU_DEP_1)
	v_lshrrev_b32_e32 v0, s23, v0
	v_mul_lo_u32 v0, v0, s19
	s_delay_alu instid0(VALU_DEP_1) | instskip(NEXT) | instid1(VALU_DEP_1)
	v_sub_nc_u32_e32 v0, v2, v0
	v_mad_u32 v4, v0, s12, v4
	v_mad_u32 v6, v0, s13, v6
	;; [unrolled: 1-line block ×4, first 2 shown]
.LBB13_104:
	global_load_u8 v0, v6, s[2:3]
	global_load_u16 v1, v5, s[4:5]
	global_load_u16 v2, v7, s[6:7]
	s_wait_loadcnt 0x2
	v_cmp_eq_u16_e32 vcc_lo, 0, v0
	s_wait_loadcnt 0x0
	v_cndmask_b32_e32 v0, v1, v2, vcc_lo
	global_store_b16 v4, v0, s[0:1]
.LBB13_105:
	s_wait_xcnt 0x0
	s_or_b32 exec_lo, exec_lo, s17
                                        ; implicit-def: $vgpr5
                                        ; implicit-def: $vgpr0
.LBB13_106:
	s_and_not1_saveexec_b32 s0, s36
	s_cbranch_execz .LBB13_113
; %bb.107:
	v_cndmask_b32_e64 v7, 0, 1, s35
	s_and_not1_b32 vcc_lo, exec_lo, s35
	s_cbranch_vccnz .LBB13_114
; %bb.108:
	s_cmp_lg_u32 s33, 0
	s_mov_b32 s4, 0
	s_cbranch_scc0 .LBB13_118
; %bb.109:
	s_min_u32 s5, s34, 15
	v_dual_mov_b32 v4, 0 :: v_dual_mov_b32 v6, v0
	v_dual_mov_b32 v3, 0 :: v_dual_mov_b32 v1, 0
	v_mov_b32_e32 v2, 0
	s_add_co_i32 s2, s5, 1
	s_mov_b64 s[0:1], 0xffffffffffffffe0
	s_and_b32 s6, s2, 30
	s_add_nc_u64 s[0:1], s[20:21], s[0:1]
	s_mov_b64 s[2:3], s[20:21]
.LBB13_110:                             ; =>This Inner Loop Header: Depth=1
	s_clause 0x1
	s_load_b128 s[16:19], s[2:3], 0x4
	s_load_b64 s[22:23], s[2:3], 0x14
	s_load_b256 s[8:15], s[0:1], 0xe4
	s_add_co_i32 s6, s6, -2
	s_wait_xcnt 0x0
	s_add_nc_u64 s[2:3], s[2:3], 24
	s_cmp_lg_u32 s6, 0
	s_add_nc_u64 s[0:1], s[0:1], 32
	s_wait_kmcnt 0x0
	v_mul_hi_u32 v8, s17, v6
	s_delay_alu instid0(VALU_DEP_1) | instskip(NEXT) | instid1(VALU_DEP_1)
	v_add_nc_u32_e32 v8, v6, v8
	v_lshrrev_b32_e32 v8, s18, v8
	s_delay_alu instid0(VALU_DEP_1) | instskip(SKIP_1) | instid1(VALU_DEP_1)
	v_mul_hi_u32 v9, s22, v8
	v_mul_lo_u32 v10, v8, s16
	v_dual_add_nc_u32 v9, v8, v9 :: v_dual_sub_nc_u32 v10, v6, v10
	s_delay_alu instid0(VALU_DEP_1) | instskip(NEXT) | instid1(VALU_DEP_2)
	v_lshrrev_b32_e32 v6, s23, v9
	v_mad_u32 v2, v10, s9, v2
	v_mad_u32 v1, v10, s8, v1
	;; [unrolled: 1-line block ×4, first 2 shown]
	v_mul_lo_u32 v9, v6, s19
	s_delay_alu instid0(VALU_DEP_1) | instskip(NEXT) | instid1(VALU_DEP_1)
	v_sub_nc_u32_e32 v8, v8, v9
	v_mad_u32 v2, v8, s13, v2
	v_mad_u32 v1, v8, s12, v1
	;; [unrolled: 1-line block ×4, first 2 shown]
	s_cbranch_scc1 .LBB13_110
; %bb.111:
	s_bitcmp1_b32 s5, 0
	s_cselect_b32 s5, -1, 0
	s_delay_alu instid0(SALU_CYCLE_1)
	s_and_b32 vcc_lo, exec_lo, s5
	s_cbranch_vccnz .LBB13_115
; %bb.112:
	s_load_b96 s[12:14], s[2:3], 0x4
	s_load_b128 s[8:11], s[0:1], 0xe4
	s_wait_kmcnt 0x0
	v_mul_hi_u32 v8, s13, v6
	s_delay_alu instid0(VALU_DEP_1) | instskip(NEXT) | instid1(VALU_DEP_1)
	v_add_nc_u32_e32 v8, v6, v8
	v_lshrrev_b32_e32 v8, s14, v8
	s_delay_alu instid0(VALU_DEP_1) | instskip(NEXT) | instid1(VALU_DEP_1)
	v_mul_lo_u32 v8, v8, s12
	v_sub_nc_u32_e32 v6, v6, v8
	s_delay_alu instid0(VALU_DEP_1)
	v_mad_u32 v1, v6, s8, v1
	v_mad_u32 v2, v6, s9, v2
	;; [unrolled: 1-line block ×4, first 2 shown]
	s_and_not1_b32 vcc_lo, exec_lo, s4
	s_cbranch_vccz .LBB13_116
	s_branch .LBB13_119
.LBB13_113:
	s_endpgm
.LBB13_114:
	s_mov_b32 s4, -1
                                        ; implicit-def: $vgpr2
                                        ; implicit-def: $vgpr1
                                        ; implicit-def: $vgpr3
                                        ; implicit-def: $vgpr4
.LBB13_115:
	s_delay_alu instid0(SALU_CYCLE_1)
	s_and_not1_b32 vcc_lo, exec_lo, s4
	s_cbranch_vccnz .LBB13_119
.LBB13_116:
	s_clause 0x1
	s_load_b96 s[4:6], s[20:21], 0x4
	s_load_b128 s[0:3], s[20:21], 0xc4
	s_cmp_lt_u32 s33, 2
	s_wait_kmcnt 0x0
	v_mul_hi_u32 v1, s5, v0
	s_delay_alu instid0(VALU_DEP_1) | instskip(NEXT) | instid1(VALU_DEP_1)
	v_add_nc_u32_e32 v1, v0, v1
	v_lshrrev_b32_e32 v6, s6, v1
	s_delay_alu instid0(VALU_DEP_1) | instskip(NEXT) | instid1(VALU_DEP_1)
	v_mul_lo_u32 v1, v6, s4
	v_sub_nc_u32_e32 v4, v0, v1
	s_delay_alu instid0(VALU_DEP_1)
	v_mul_lo_u32 v2, v4, s1
	v_mul_lo_u32 v1, v4, s0
	;; [unrolled: 1-line block ×4, first 2 shown]
	s_cbranch_scc1 .LBB13_119
; %bb.117:
	s_clause 0x1
	s_load_b96 s[4:6], s[20:21], 0x10
	s_load_b128 s[0:3], s[20:21], 0xd4
	s_wait_kmcnt 0x0
	v_mul_hi_u32 v8, s5, v6
	s_delay_alu instid0(VALU_DEP_1) | instskip(NEXT) | instid1(VALU_DEP_1)
	v_add_nc_u32_e32 v8, v6, v8
	v_lshrrev_b32_e32 v8, s6, v8
	s_delay_alu instid0(VALU_DEP_1) | instskip(NEXT) | instid1(VALU_DEP_1)
	v_mul_lo_u32 v8, v8, s4
	v_sub_nc_u32_e32 v6, v6, v8
	s_delay_alu instid0(VALU_DEP_1)
	v_mad_u32 v1, v6, s0, v1
	v_mad_u32 v2, v6, s1, v2
	;; [unrolled: 1-line block ×4, first 2 shown]
	s_branch .LBB13_119
.LBB13_118:
	v_dual_mov_b32 v2, 0 :: v_dual_mov_b32 v1, 0
	v_dual_mov_b32 v3, 0 :: v_dual_mov_b32 v4, 0
	s_and_not1_b32 vcc_lo, exec_lo, s4
	s_cbranch_vccz .LBB13_116
.LBB13_119:
	v_cmp_ne_u32_e32 vcc_lo, 1, v7
	v_add_nc_u32_e32 v11, 0x80, v0
	s_cbranch_vccnz .LBB13_125
; %bb.120:
	s_cmp_lg_u32 s33, 0
	s_mov_b32 s4, 0
	s_cbranch_scc0 .LBB13_129
; %bb.121:
	s_min_u32 s5, s34, 15
	v_dual_mov_b32 v9, 0 :: v_dual_mov_b32 v12, v11
	v_dual_mov_b32 v10, 0 :: v_dual_mov_b32 v6, 0
	v_mov_b32_e32 v8, 0
	s_add_co_i32 s2, s5, 1
	s_mov_b64 s[0:1], 0xffffffffffffffe0
	s_and_b32 s6, s2, 30
	s_add_nc_u64 s[0:1], s[20:21], s[0:1]
	s_mov_b64 s[2:3], s[20:21]
.LBB13_122:                             ; =>This Inner Loop Header: Depth=1
	s_clause 0x1
	s_load_b128 s[16:19], s[2:3], 0x4
	s_load_b64 s[22:23], s[2:3], 0x14
	s_load_b256 s[8:15], s[0:1], 0xe4
	s_add_co_i32 s6, s6, -2
	s_wait_xcnt 0x0
	s_add_nc_u64 s[2:3], s[2:3], 24
	s_cmp_lg_u32 s6, 0
	s_add_nc_u64 s[0:1], s[0:1], 32
	s_wait_kmcnt 0x0
	v_mul_hi_u32 v13, s17, v12
	s_delay_alu instid0(VALU_DEP_1) | instskip(NEXT) | instid1(VALU_DEP_1)
	v_add_nc_u32_e32 v13, v12, v13
	v_lshrrev_b32_e32 v13, s18, v13
	s_delay_alu instid0(VALU_DEP_1) | instskip(SKIP_1) | instid1(VALU_DEP_1)
	v_mul_hi_u32 v14, s22, v13
	v_mul_lo_u32 v15, v13, s16
	v_dual_add_nc_u32 v14, v13, v14 :: v_dual_sub_nc_u32 v15, v12, v15
	s_delay_alu instid0(VALU_DEP_1) | instskip(NEXT) | instid1(VALU_DEP_2)
	v_lshrrev_b32_e32 v12, s23, v14
	v_mad_u32 v8, v15, s9, v8
	v_mad_u32 v6, v15, s8, v6
	;; [unrolled: 1-line block ×4, first 2 shown]
	v_mul_lo_u32 v14, v12, s19
	s_delay_alu instid0(VALU_DEP_1) | instskip(NEXT) | instid1(VALU_DEP_1)
	v_sub_nc_u32_e32 v13, v13, v14
	v_mad_u32 v8, v13, s13, v8
	v_mad_u32 v6, v13, s12, v6
	;; [unrolled: 1-line block ×4, first 2 shown]
	s_cbranch_scc1 .LBB13_122
; %bb.123:
	s_bitcmp1_b32 s5, 0
	s_cselect_b32 s5, -1, 0
	s_delay_alu instid0(SALU_CYCLE_1)
	s_and_b32 vcc_lo, exec_lo, s5
	s_cbranch_vccnz .LBB13_126
; %bb.124:
	s_load_b96 s[12:14], s[2:3], 0x4
	s_load_b128 s[8:11], s[0:1], 0xe4
	s_wait_kmcnt 0x0
	v_mul_hi_u32 v13, s13, v12
	s_delay_alu instid0(VALU_DEP_1) | instskip(NEXT) | instid1(VALU_DEP_1)
	v_add_nc_u32_e32 v13, v12, v13
	v_lshrrev_b32_e32 v13, s14, v13
	s_delay_alu instid0(VALU_DEP_1) | instskip(NEXT) | instid1(VALU_DEP_1)
	v_mul_lo_u32 v13, v13, s12
	v_sub_nc_u32_e32 v12, v12, v13
	s_delay_alu instid0(VALU_DEP_1)
	v_mad_u32 v6, v12, s8, v6
	v_mad_u32 v8, v12, s9, v8
	;; [unrolled: 1-line block ×4, first 2 shown]
	s_and_not1_b32 vcc_lo, exec_lo, s4
	s_cbranch_vccz .LBB13_127
	s_branch .LBB13_130
.LBB13_125:
	s_mov_b32 s4, -1
                                        ; implicit-def: $vgpr8
                                        ; implicit-def: $vgpr6
                                        ; implicit-def: $vgpr10
                                        ; implicit-def: $vgpr9
.LBB13_126:
	s_delay_alu instid0(SALU_CYCLE_1)
	s_and_not1_b32 vcc_lo, exec_lo, s4
	s_cbranch_vccnz .LBB13_130
.LBB13_127:
	s_clause 0x1
	s_load_b96 s[4:6], s[20:21], 0x4
	s_load_b128 s[0:3], s[20:21], 0xc4
	s_cmp_lt_u32 s33, 2
	s_wait_kmcnt 0x0
	v_mul_hi_u32 v6, s5, v11
	s_delay_alu instid0(VALU_DEP_1) | instskip(NEXT) | instid1(VALU_DEP_1)
	v_add_nc_u32_e32 v6, v11, v6
	v_lshrrev_b32_e32 v12, s6, v6
	s_delay_alu instid0(VALU_DEP_1) | instskip(NEXT) | instid1(VALU_DEP_1)
	v_mul_lo_u32 v6, v12, s4
	v_sub_nc_u32_e32 v9, v11, v6
	s_delay_alu instid0(VALU_DEP_1)
	v_mul_lo_u32 v8, v9, s1
	v_mul_lo_u32 v6, v9, s0
	;; [unrolled: 1-line block ×4, first 2 shown]
	s_cbranch_scc1 .LBB13_130
; %bb.128:
	s_clause 0x1
	s_load_b96 s[4:6], s[20:21], 0x10
	s_load_b128 s[0:3], s[20:21], 0xd4
	s_wait_kmcnt 0x0
	v_mul_hi_u32 v11, s5, v12
	s_delay_alu instid0(VALU_DEP_1) | instskip(NEXT) | instid1(VALU_DEP_1)
	v_add_nc_u32_e32 v11, v12, v11
	v_lshrrev_b32_e32 v11, s6, v11
	s_delay_alu instid0(VALU_DEP_1) | instskip(NEXT) | instid1(VALU_DEP_1)
	v_mul_lo_u32 v11, v11, s4
	v_sub_nc_u32_e32 v11, v12, v11
	s_delay_alu instid0(VALU_DEP_1)
	v_mad_u32 v6, v11, s0, v6
	v_mad_u32 v8, v11, s1, v8
	v_mad_u32 v9, v11, s2, v9
	v_mad_u32 v10, v11, s3, v10
	s_branch .LBB13_130
.LBB13_129:
	v_dual_mov_b32 v8, 0 :: v_dual_mov_b32 v6, 0
	v_dual_mov_b32 v10, 0 :: v_dual_mov_b32 v9, 0
	s_and_not1_b32 vcc_lo, exec_lo, s4
	s_cbranch_vccz .LBB13_127
.LBB13_130:
	v_cmp_ne_u32_e32 vcc_lo, 1, v7
	v_add_nc_u32_e32 v15, 0x100, v0
	s_cbranch_vccnz .LBB13_136
; %bb.131:
	s_cmp_lg_u32 s33, 0
	s_mov_b32 s4, 0
	s_cbranch_scc0 .LBB13_140
; %bb.132:
	s_min_u32 s5, s34, 15
	v_dual_mov_b32 v12, 0 :: v_dual_mov_b32 v16, v15
	v_dual_mov_b32 v14, 0 :: v_dual_mov_b32 v11, 0
	v_mov_b32_e32 v13, 0
	s_add_co_i32 s2, s5, 1
	s_mov_b64 s[0:1], 0xffffffffffffffe0
	s_and_b32 s6, s2, 30
	s_add_nc_u64 s[0:1], s[20:21], s[0:1]
	s_mov_b64 s[2:3], s[20:21]
.LBB13_133:                             ; =>This Inner Loop Header: Depth=1
	s_clause 0x1
	s_load_b128 s[16:19], s[2:3], 0x4
	s_load_b64 s[22:23], s[2:3], 0x14
	s_load_b256 s[8:15], s[0:1], 0xe4
	s_add_co_i32 s6, s6, -2
	s_wait_xcnt 0x0
	s_add_nc_u64 s[2:3], s[2:3], 24
	s_cmp_lg_u32 s6, 0
	s_add_nc_u64 s[0:1], s[0:1], 32
	s_wait_kmcnt 0x0
	v_mul_hi_u32 v17, s17, v16
	s_delay_alu instid0(VALU_DEP_1) | instskip(NEXT) | instid1(VALU_DEP_1)
	v_add_nc_u32_e32 v17, v16, v17
	v_lshrrev_b32_e32 v17, s18, v17
	s_delay_alu instid0(VALU_DEP_1) | instskip(SKIP_1) | instid1(VALU_DEP_1)
	v_mul_hi_u32 v18, s22, v17
	v_mul_lo_u32 v19, v17, s16
	v_dual_add_nc_u32 v18, v17, v18 :: v_dual_sub_nc_u32 v19, v16, v19
	s_delay_alu instid0(VALU_DEP_1) | instskip(NEXT) | instid1(VALU_DEP_2)
	v_lshrrev_b32_e32 v16, s23, v18
	v_mad_u32 v13, v19, s9, v13
	v_mad_u32 v11, v19, s8, v11
	;; [unrolled: 1-line block ×4, first 2 shown]
	v_mul_lo_u32 v18, v16, s19
	s_delay_alu instid0(VALU_DEP_1) | instskip(NEXT) | instid1(VALU_DEP_1)
	v_sub_nc_u32_e32 v17, v17, v18
	v_mad_u32 v13, v17, s13, v13
	v_mad_u32 v11, v17, s12, v11
	;; [unrolled: 1-line block ×4, first 2 shown]
	s_cbranch_scc1 .LBB13_133
; %bb.134:
	s_bitcmp1_b32 s5, 0
	s_cselect_b32 s5, -1, 0
	s_delay_alu instid0(SALU_CYCLE_1)
	s_and_b32 vcc_lo, exec_lo, s5
	s_cbranch_vccnz .LBB13_137
; %bb.135:
	s_load_b96 s[12:14], s[2:3], 0x4
	s_load_b128 s[8:11], s[0:1], 0xe4
	s_wait_kmcnt 0x0
	v_mul_hi_u32 v17, s13, v16
	s_delay_alu instid0(VALU_DEP_1) | instskip(NEXT) | instid1(VALU_DEP_1)
	v_add_nc_u32_e32 v17, v16, v17
	v_lshrrev_b32_e32 v17, s14, v17
	s_delay_alu instid0(VALU_DEP_1) | instskip(NEXT) | instid1(VALU_DEP_1)
	v_mul_lo_u32 v17, v17, s12
	v_sub_nc_u32_e32 v16, v16, v17
	s_delay_alu instid0(VALU_DEP_1)
	v_mad_u32 v11, v16, s8, v11
	v_mad_u32 v13, v16, s9, v13
	;; [unrolled: 1-line block ×4, first 2 shown]
	s_and_not1_b32 vcc_lo, exec_lo, s4
	s_cbranch_vccz .LBB13_138
	s_branch .LBB13_141
.LBB13_136:
	s_mov_b32 s4, -1
                                        ; implicit-def: $vgpr13
                                        ; implicit-def: $vgpr11
                                        ; implicit-def: $vgpr14
                                        ; implicit-def: $vgpr12
.LBB13_137:
	s_delay_alu instid0(SALU_CYCLE_1)
	s_and_not1_b32 vcc_lo, exec_lo, s4
	s_cbranch_vccnz .LBB13_141
.LBB13_138:
	s_clause 0x1
	s_load_b96 s[4:6], s[20:21], 0x4
	s_load_b128 s[0:3], s[20:21], 0xc4
	s_cmp_lt_u32 s33, 2
	s_wait_kmcnt 0x0
	v_mul_hi_u32 v11, s5, v15
	s_delay_alu instid0(VALU_DEP_1) | instskip(NEXT) | instid1(VALU_DEP_1)
	v_add_nc_u32_e32 v11, v15, v11
	v_lshrrev_b32_e32 v16, s6, v11
	s_delay_alu instid0(VALU_DEP_1) | instskip(NEXT) | instid1(VALU_DEP_1)
	v_mul_lo_u32 v11, v16, s4
	v_sub_nc_u32_e32 v12, v15, v11
	s_delay_alu instid0(VALU_DEP_1)
	v_mul_lo_u32 v13, v12, s1
	v_mul_lo_u32 v11, v12, s0
	;; [unrolled: 1-line block ×4, first 2 shown]
	s_cbranch_scc1 .LBB13_141
; %bb.139:
	s_clause 0x1
	s_load_b96 s[4:6], s[20:21], 0x10
	s_load_b128 s[0:3], s[20:21], 0xd4
	s_wait_kmcnt 0x0
	v_mul_hi_u32 v15, s5, v16
	s_delay_alu instid0(VALU_DEP_1) | instskip(NEXT) | instid1(VALU_DEP_1)
	v_add_nc_u32_e32 v15, v16, v15
	v_lshrrev_b32_e32 v15, s6, v15
	s_delay_alu instid0(VALU_DEP_1) | instskip(NEXT) | instid1(VALU_DEP_1)
	v_mul_lo_u32 v15, v15, s4
	v_sub_nc_u32_e32 v15, v16, v15
	s_delay_alu instid0(VALU_DEP_1)
	v_mad_u32 v11, v15, s0, v11
	v_mad_u32 v13, v15, s1, v13
	;; [unrolled: 1-line block ×4, first 2 shown]
	s_branch .LBB13_141
.LBB13_140:
	v_dual_mov_b32 v13, 0 :: v_dual_mov_b32 v11, 0
	v_dual_mov_b32 v14, 0 :: v_dual_mov_b32 v12, 0
	s_and_not1_b32 vcc_lo, exec_lo, s4
	s_cbranch_vccz .LBB13_138
.LBB13_141:
	v_cmp_ne_u32_e32 vcc_lo, 1, v7
	v_add_nc_u32_e32 v19, 0x180, v0
	s_cbranch_vccnz .LBB13_147
; %bb.142:
	s_cmp_lg_u32 s33, 0
	s_mov_b32 s4, 0
	s_cbranch_scc0 .LBB13_151
; %bb.143:
	s_min_u32 s5, s34, 15
	v_dual_mov_b32 v18, 0 :: v_dual_mov_b32 v20, v19
	v_dual_mov_b32 v17, 0 :: v_dual_mov_b32 v15, 0
	v_mov_b32_e32 v16, 0
	s_add_co_i32 s2, s5, 1
	s_mov_b64 s[0:1], 0xffffffffffffffe0
	s_and_b32 s6, s2, 30
	s_add_nc_u64 s[0:1], s[20:21], s[0:1]
	s_mov_b64 s[2:3], s[20:21]
.LBB13_144:                             ; =>This Inner Loop Header: Depth=1
	s_clause 0x1
	s_load_b128 s[16:19], s[2:3], 0x4
	s_load_b64 s[22:23], s[2:3], 0x14
	s_load_b256 s[8:15], s[0:1], 0xe4
	s_add_co_i32 s6, s6, -2
	s_wait_xcnt 0x0
	s_add_nc_u64 s[2:3], s[2:3], 24
	s_cmp_lg_u32 s6, 0
	s_add_nc_u64 s[0:1], s[0:1], 32
	s_wait_kmcnt 0x0
	v_mul_hi_u32 v21, s17, v20
	s_delay_alu instid0(VALU_DEP_1) | instskip(NEXT) | instid1(VALU_DEP_1)
	v_add_nc_u32_e32 v21, v20, v21
	v_lshrrev_b32_e32 v21, s18, v21
	s_delay_alu instid0(VALU_DEP_1) | instskip(SKIP_1) | instid1(VALU_DEP_1)
	v_mul_hi_u32 v22, s22, v21
	v_mul_lo_u32 v23, v21, s16
	v_dual_add_nc_u32 v22, v21, v22 :: v_dual_sub_nc_u32 v23, v20, v23
	s_delay_alu instid0(VALU_DEP_1) | instskip(NEXT) | instid1(VALU_DEP_2)
	v_lshrrev_b32_e32 v20, s23, v22
	v_mad_u32 v16, v23, s9, v16
	v_mad_u32 v15, v23, s8, v15
	;; [unrolled: 1-line block ×4, first 2 shown]
	v_mul_lo_u32 v22, v20, s19
	s_delay_alu instid0(VALU_DEP_1) | instskip(NEXT) | instid1(VALU_DEP_1)
	v_sub_nc_u32_e32 v21, v21, v22
	v_mad_u32 v16, v21, s13, v16
	v_mad_u32 v15, v21, s12, v15
	;; [unrolled: 1-line block ×4, first 2 shown]
	s_cbranch_scc1 .LBB13_144
; %bb.145:
	s_bitcmp1_b32 s5, 0
	s_cselect_b32 s5, -1, 0
	s_delay_alu instid0(SALU_CYCLE_1)
	s_and_b32 vcc_lo, exec_lo, s5
	s_cbranch_vccnz .LBB13_148
; %bb.146:
	s_load_b96 s[12:14], s[2:3], 0x4
	s_load_b128 s[8:11], s[0:1], 0xe4
	s_wait_kmcnt 0x0
	v_mul_hi_u32 v21, s13, v20
	s_delay_alu instid0(VALU_DEP_1) | instskip(NEXT) | instid1(VALU_DEP_1)
	v_add_nc_u32_e32 v21, v20, v21
	v_lshrrev_b32_e32 v21, s14, v21
	s_delay_alu instid0(VALU_DEP_1) | instskip(NEXT) | instid1(VALU_DEP_1)
	v_mul_lo_u32 v21, v21, s12
	v_sub_nc_u32_e32 v20, v20, v21
	s_delay_alu instid0(VALU_DEP_1)
	v_mad_u32 v15, v20, s8, v15
	v_mad_u32 v16, v20, s9, v16
	;; [unrolled: 1-line block ×4, first 2 shown]
	s_and_not1_b32 vcc_lo, exec_lo, s4
	s_cbranch_vccz .LBB13_149
	s_branch .LBB13_152
.LBB13_147:
	s_mov_b32 s4, -1
                                        ; implicit-def: $vgpr16
                                        ; implicit-def: $vgpr15
                                        ; implicit-def: $vgpr17
                                        ; implicit-def: $vgpr18
.LBB13_148:
	s_delay_alu instid0(SALU_CYCLE_1)
	s_and_not1_b32 vcc_lo, exec_lo, s4
	s_cbranch_vccnz .LBB13_152
.LBB13_149:
	s_clause 0x1
	s_load_b96 s[4:6], s[20:21], 0x4
	s_load_b128 s[0:3], s[20:21], 0xc4
	s_cmp_lt_u32 s33, 2
	s_wait_kmcnt 0x0
	v_mul_hi_u32 v15, s5, v19
	s_delay_alu instid0(VALU_DEP_1) | instskip(NEXT) | instid1(VALU_DEP_1)
	v_add_nc_u32_e32 v15, v19, v15
	v_lshrrev_b32_e32 v20, s6, v15
	s_delay_alu instid0(VALU_DEP_1) | instskip(NEXT) | instid1(VALU_DEP_1)
	v_mul_lo_u32 v15, v20, s4
	v_sub_nc_u32_e32 v18, v19, v15
	s_delay_alu instid0(VALU_DEP_1)
	v_mul_lo_u32 v16, v18, s1
	v_mul_lo_u32 v15, v18, s0
	;; [unrolled: 1-line block ×4, first 2 shown]
	s_cbranch_scc1 .LBB13_152
; %bb.150:
	s_clause 0x1
	s_load_b96 s[4:6], s[20:21], 0x10
	s_load_b128 s[0:3], s[20:21], 0xd4
	s_wait_kmcnt 0x0
	v_mul_hi_u32 v19, s5, v20
	s_delay_alu instid0(VALU_DEP_1) | instskip(NEXT) | instid1(VALU_DEP_1)
	v_add_nc_u32_e32 v19, v20, v19
	v_lshrrev_b32_e32 v19, s6, v19
	s_delay_alu instid0(VALU_DEP_1) | instskip(NEXT) | instid1(VALU_DEP_1)
	v_mul_lo_u32 v19, v19, s4
	v_sub_nc_u32_e32 v19, v20, v19
	s_delay_alu instid0(VALU_DEP_1)
	v_mad_u32 v15, v19, s0, v15
	v_mad_u32 v16, v19, s1, v16
	;; [unrolled: 1-line block ×4, first 2 shown]
	s_branch .LBB13_152
.LBB13_151:
	v_dual_mov_b32 v16, 0 :: v_dual_mov_b32 v15, 0
	v_dual_mov_b32 v17, 0 :: v_dual_mov_b32 v18, 0
	s_and_not1_b32 vcc_lo, exec_lo, s4
	s_cbranch_vccz .LBB13_149
.LBB13_152:
	v_cmp_ne_u32_e32 vcc_lo, 1, v7
	v_add_nc_u32_e32 v23, 0x200, v0
	s_cbranch_vccnz .LBB13_158
; %bb.153:
	s_cmp_lg_u32 s33, 0
	s_mov_b32 s4, 0
	s_cbranch_scc0 .LBB13_162
; %bb.154:
	s_min_u32 s5, s34, 15
	v_dual_mov_b32 v22, 0 :: v_dual_mov_b32 v24, v23
	v_dual_mov_b32 v21, 0 :: v_dual_mov_b32 v19, 0
	v_mov_b32_e32 v20, 0
	s_add_co_i32 s2, s5, 1
	s_mov_b64 s[0:1], 0xffffffffffffffe0
	s_and_b32 s6, s2, 30
	s_add_nc_u64 s[0:1], s[20:21], s[0:1]
	s_mov_b64 s[2:3], s[20:21]
.LBB13_155:                             ; =>This Inner Loop Header: Depth=1
	s_clause 0x1
	s_load_b128 s[16:19], s[2:3], 0x4
	s_load_b64 s[22:23], s[2:3], 0x14
	s_load_b256 s[8:15], s[0:1], 0xe4
	s_add_co_i32 s6, s6, -2
	s_wait_xcnt 0x0
	s_add_nc_u64 s[2:3], s[2:3], 24
	s_cmp_lg_u32 s6, 0
	s_add_nc_u64 s[0:1], s[0:1], 32
	s_wait_kmcnt 0x0
	v_mul_hi_u32 v25, s17, v24
	s_delay_alu instid0(VALU_DEP_1) | instskip(NEXT) | instid1(VALU_DEP_1)
	v_add_nc_u32_e32 v25, v24, v25
	v_lshrrev_b32_e32 v25, s18, v25
	s_delay_alu instid0(VALU_DEP_1) | instskip(SKIP_1) | instid1(VALU_DEP_1)
	v_mul_hi_u32 v26, s22, v25
	v_mul_lo_u32 v27, v25, s16
	v_dual_add_nc_u32 v26, v25, v26 :: v_dual_sub_nc_u32 v27, v24, v27
	s_delay_alu instid0(VALU_DEP_1) | instskip(NEXT) | instid1(VALU_DEP_2)
	v_lshrrev_b32_e32 v24, s23, v26
	v_mad_u32 v20, v27, s9, v20
	v_mad_u32 v19, v27, s8, v19
	;; [unrolled: 1-line block ×4, first 2 shown]
	v_mul_lo_u32 v26, v24, s19
	s_delay_alu instid0(VALU_DEP_1) | instskip(NEXT) | instid1(VALU_DEP_1)
	v_sub_nc_u32_e32 v25, v25, v26
	v_mad_u32 v20, v25, s13, v20
	v_mad_u32 v19, v25, s12, v19
	;; [unrolled: 1-line block ×4, first 2 shown]
	s_cbranch_scc1 .LBB13_155
; %bb.156:
	s_bitcmp1_b32 s5, 0
	s_cselect_b32 s5, -1, 0
	s_delay_alu instid0(SALU_CYCLE_1)
	s_and_b32 vcc_lo, exec_lo, s5
	s_cbranch_vccnz .LBB13_159
; %bb.157:
	s_load_b96 s[12:14], s[2:3], 0x4
	s_load_b128 s[8:11], s[0:1], 0xe4
	s_wait_kmcnt 0x0
	v_mul_hi_u32 v25, s13, v24
	s_delay_alu instid0(VALU_DEP_1) | instskip(NEXT) | instid1(VALU_DEP_1)
	v_add_nc_u32_e32 v25, v24, v25
	v_lshrrev_b32_e32 v25, s14, v25
	s_delay_alu instid0(VALU_DEP_1) | instskip(NEXT) | instid1(VALU_DEP_1)
	v_mul_lo_u32 v25, v25, s12
	v_sub_nc_u32_e32 v24, v24, v25
	s_delay_alu instid0(VALU_DEP_1)
	v_mad_u32 v19, v24, s8, v19
	v_mad_u32 v20, v24, s9, v20
	;; [unrolled: 1-line block ×4, first 2 shown]
	s_and_not1_b32 vcc_lo, exec_lo, s4
	s_cbranch_vccz .LBB13_160
	s_branch .LBB13_163
.LBB13_158:
	s_mov_b32 s4, -1
                                        ; implicit-def: $vgpr20
                                        ; implicit-def: $vgpr19
                                        ; implicit-def: $vgpr21
                                        ; implicit-def: $vgpr22
.LBB13_159:
	s_delay_alu instid0(SALU_CYCLE_1)
	s_and_not1_b32 vcc_lo, exec_lo, s4
	s_cbranch_vccnz .LBB13_163
.LBB13_160:
	s_clause 0x1
	s_load_b96 s[4:6], s[20:21], 0x4
	s_load_b128 s[0:3], s[20:21], 0xc4
	s_cmp_lt_u32 s33, 2
	s_wait_kmcnt 0x0
	v_mul_hi_u32 v19, s5, v23
	s_delay_alu instid0(VALU_DEP_1) | instskip(NEXT) | instid1(VALU_DEP_1)
	v_add_nc_u32_e32 v19, v23, v19
	v_lshrrev_b32_e32 v24, s6, v19
	s_delay_alu instid0(VALU_DEP_1) | instskip(NEXT) | instid1(VALU_DEP_1)
	v_mul_lo_u32 v19, v24, s4
	v_sub_nc_u32_e32 v22, v23, v19
	s_delay_alu instid0(VALU_DEP_1)
	v_mul_lo_u32 v20, v22, s1
	v_mul_lo_u32 v19, v22, s0
	;; [unrolled: 1-line block ×4, first 2 shown]
	s_cbranch_scc1 .LBB13_163
; %bb.161:
	s_clause 0x1
	s_load_b96 s[4:6], s[20:21], 0x10
	s_load_b128 s[0:3], s[20:21], 0xd4
	s_wait_kmcnt 0x0
	v_mul_hi_u32 v23, s5, v24
	s_delay_alu instid0(VALU_DEP_1) | instskip(NEXT) | instid1(VALU_DEP_1)
	v_add_nc_u32_e32 v23, v24, v23
	v_lshrrev_b32_e32 v23, s6, v23
	s_delay_alu instid0(VALU_DEP_1) | instskip(NEXT) | instid1(VALU_DEP_1)
	v_mul_lo_u32 v23, v23, s4
	v_sub_nc_u32_e32 v23, v24, v23
	s_delay_alu instid0(VALU_DEP_1)
	v_mad_u32 v19, v23, s0, v19
	v_mad_u32 v20, v23, s1, v20
	;; [unrolled: 1-line block ×4, first 2 shown]
	s_branch .LBB13_163
.LBB13_162:
	v_dual_mov_b32 v20, 0 :: v_dual_mov_b32 v19, 0
	v_dual_mov_b32 v21, 0 :: v_dual_mov_b32 v22, 0
	s_and_not1_b32 vcc_lo, exec_lo, s4
	s_cbranch_vccz .LBB13_160
.LBB13_163:
	v_cmp_ne_u32_e32 vcc_lo, 1, v7
	v_add_nc_u32_e32 v27, 0x280, v0
	s_cbranch_vccnz .LBB13_169
; %bb.164:
	s_cmp_lg_u32 s33, 0
	s_mov_b32 s4, 0
	s_cbranch_scc0 .LBB13_173
; %bb.165:
	s_min_u32 s5, s34, 15
	v_dual_mov_b32 v25, 0 :: v_dual_mov_b32 v28, v27
	v_dual_mov_b32 v26, 0 :: v_dual_mov_b32 v23, 0
	v_mov_b32_e32 v24, 0
	s_add_co_i32 s2, s5, 1
	s_mov_b64 s[0:1], 0xffffffffffffffe0
	s_and_b32 s6, s2, 30
	s_add_nc_u64 s[0:1], s[20:21], s[0:1]
	s_mov_b64 s[2:3], s[20:21]
.LBB13_166:                             ; =>This Inner Loop Header: Depth=1
	s_clause 0x1
	s_load_b128 s[16:19], s[2:3], 0x4
	s_load_b64 s[22:23], s[2:3], 0x14
	s_load_b256 s[8:15], s[0:1], 0xe4
	s_add_co_i32 s6, s6, -2
	s_wait_xcnt 0x0
	s_add_nc_u64 s[2:3], s[2:3], 24
	s_cmp_lg_u32 s6, 0
	s_add_nc_u64 s[0:1], s[0:1], 32
	s_wait_kmcnt 0x0
	v_mul_hi_u32 v29, s17, v28
	s_delay_alu instid0(VALU_DEP_1) | instskip(NEXT) | instid1(VALU_DEP_1)
	v_add_nc_u32_e32 v29, v28, v29
	v_lshrrev_b32_e32 v29, s18, v29
	s_delay_alu instid0(VALU_DEP_1) | instskip(SKIP_1) | instid1(VALU_DEP_1)
	v_mul_hi_u32 v30, s22, v29
	v_mul_lo_u32 v31, v29, s16
	v_dual_add_nc_u32 v30, v29, v30 :: v_dual_sub_nc_u32 v31, v28, v31
	s_delay_alu instid0(VALU_DEP_1) | instskip(NEXT) | instid1(VALU_DEP_2)
	v_lshrrev_b32_e32 v28, s23, v30
	v_mad_u32 v24, v31, s9, v24
	v_mad_u32 v23, v31, s8, v23
	;; [unrolled: 1-line block ×4, first 2 shown]
	v_mul_lo_u32 v30, v28, s19
	s_delay_alu instid0(VALU_DEP_1) | instskip(NEXT) | instid1(VALU_DEP_1)
	v_sub_nc_u32_e32 v29, v29, v30
	v_mad_u32 v24, v29, s13, v24
	v_mad_u32 v23, v29, s12, v23
	;; [unrolled: 1-line block ×4, first 2 shown]
	s_cbranch_scc1 .LBB13_166
; %bb.167:
	s_bitcmp1_b32 s5, 0
	s_cselect_b32 s5, -1, 0
	s_delay_alu instid0(SALU_CYCLE_1)
	s_and_b32 vcc_lo, exec_lo, s5
	s_cbranch_vccnz .LBB13_170
; %bb.168:
	s_load_b96 s[12:14], s[2:3], 0x4
	s_load_b128 s[8:11], s[0:1], 0xe4
	s_wait_kmcnt 0x0
	v_mul_hi_u32 v29, s13, v28
	s_delay_alu instid0(VALU_DEP_1) | instskip(NEXT) | instid1(VALU_DEP_1)
	v_add_nc_u32_e32 v29, v28, v29
	v_lshrrev_b32_e32 v29, s14, v29
	s_delay_alu instid0(VALU_DEP_1) | instskip(NEXT) | instid1(VALU_DEP_1)
	v_mul_lo_u32 v29, v29, s12
	v_sub_nc_u32_e32 v28, v28, v29
	s_delay_alu instid0(VALU_DEP_1)
	v_mad_u32 v23, v28, s8, v23
	v_mad_u32 v24, v28, s9, v24
	;; [unrolled: 1-line block ×4, first 2 shown]
	s_and_not1_b32 vcc_lo, exec_lo, s4
	s_cbranch_vccz .LBB13_171
	s_branch .LBB13_174
.LBB13_169:
	s_mov_b32 s4, -1
                                        ; implicit-def: $vgpr24
                                        ; implicit-def: $vgpr23
                                        ; implicit-def: $vgpr26
                                        ; implicit-def: $vgpr25
.LBB13_170:
	s_delay_alu instid0(SALU_CYCLE_1)
	s_and_not1_b32 vcc_lo, exec_lo, s4
	s_cbranch_vccnz .LBB13_174
.LBB13_171:
	s_clause 0x1
	s_load_b96 s[4:6], s[20:21], 0x4
	s_load_b128 s[0:3], s[20:21], 0xc4
	s_cmp_lt_u32 s33, 2
	s_wait_kmcnt 0x0
	v_mul_hi_u32 v23, s5, v27
	s_delay_alu instid0(VALU_DEP_1) | instskip(NEXT) | instid1(VALU_DEP_1)
	v_add_nc_u32_e32 v23, v27, v23
	v_lshrrev_b32_e32 v28, s6, v23
	s_delay_alu instid0(VALU_DEP_1) | instskip(NEXT) | instid1(VALU_DEP_1)
	v_mul_lo_u32 v23, v28, s4
	v_sub_nc_u32_e32 v25, v27, v23
	s_delay_alu instid0(VALU_DEP_1)
	v_mul_lo_u32 v24, v25, s1
	v_mul_lo_u32 v23, v25, s0
	;; [unrolled: 1-line block ×4, first 2 shown]
	s_cbranch_scc1 .LBB13_174
; %bb.172:
	s_clause 0x1
	s_load_b96 s[4:6], s[20:21], 0x10
	s_load_b128 s[0:3], s[20:21], 0xd4
	s_wait_kmcnt 0x0
	v_mul_hi_u32 v27, s5, v28
	s_delay_alu instid0(VALU_DEP_1) | instskip(NEXT) | instid1(VALU_DEP_1)
	v_add_nc_u32_e32 v27, v28, v27
	v_lshrrev_b32_e32 v27, s6, v27
	s_delay_alu instid0(VALU_DEP_1) | instskip(NEXT) | instid1(VALU_DEP_1)
	v_mul_lo_u32 v27, v27, s4
	v_sub_nc_u32_e32 v27, v28, v27
	s_delay_alu instid0(VALU_DEP_1)
	v_mad_u32 v23, v27, s0, v23
	v_mad_u32 v24, v27, s1, v24
	v_mad_u32 v25, v27, s2, v25
	v_mad_u32 v26, v27, s3, v26
	s_branch .LBB13_174
.LBB13_173:
	v_dual_mov_b32 v24, 0 :: v_dual_mov_b32 v23, 0
	v_dual_mov_b32 v26, 0 :: v_dual_mov_b32 v25, 0
	s_and_not1_b32 vcc_lo, exec_lo, s4
	s_cbranch_vccz .LBB13_171
.LBB13_174:
	v_cmp_ne_u32_e32 vcc_lo, 1, v7
	v_add_nc_u32_e32 v30, 0x300, v0
	s_cbranch_vccnz .LBB13_180
; %bb.175:
	s_cmp_lg_u32 s33, 0
	s_mov_b32 s4, 0
	s_cbranch_scc0 .LBB13_184
; %bb.176:
	s_min_u32 s5, s34, 15
	v_dual_mov_b32 v27, 0 :: v_dual_mov_b32 v31, v30
	v_dual_mov_b32 v29, 0 :: v_dual_mov_b32 v0, 0
	v_mov_b32_e32 v28, 0
	s_add_co_i32 s2, s5, 1
	s_mov_b64 s[0:1], 0xffffffffffffffe0
	s_and_b32 s6, s2, 30
	s_add_nc_u64 s[0:1], s[20:21], s[0:1]
	s_mov_b64 s[2:3], s[20:21]
.LBB13_177:                             ; =>This Inner Loop Header: Depth=1
	s_clause 0x1
	s_load_b128 s[16:19], s[2:3], 0x4
	s_load_b64 s[22:23], s[2:3], 0x14
	s_load_b256 s[8:15], s[0:1], 0xe4
	s_add_co_i32 s6, s6, -2
	s_wait_xcnt 0x0
	s_add_nc_u64 s[2:3], s[2:3], 24
	s_cmp_lg_u32 s6, 0
	s_add_nc_u64 s[0:1], s[0:1], 32
	s_wait_kmcnt 0x0
	v_mul_hi_u32 v32, s17, v31
	s_delay_alu instid0(VALU_DEP_1) | instskip(NEXT) | instid1(VALU_DEP_1)
	v_add_nc_u32_e32 v32, v31, v32
	v_lshrrev_b32_e32 v32, s18, v32
	s_delay_alu instid0(VALU_DEP_1) | instskip(SKIP_1) | instid1(VALU_DEP_1)
	v_mul_hi_u32 v33, s22, v32
	v_mul_lo_u32 v34, v32, s16
	v_dual_add_nc_u32 v33, v32, v33 :: v_dual_sub_nc_u32 v34, v31, v34
	s_delay_alu instid0(VALU_DEP_1) | instskip(NEXT) | instid1(VALU_DEP_2)
	v_lshrrev_b32_e32 v31, s23, v33
	v_mad_u32 v28, v34, s9, v28
	v_mad_u32 v0, v34, s8, v0
	v_mad_u32 v29, v34, s11, v29
	v_mad_u32 v27, v34, s10, v27
	v_mul_lo_u32 v33, v31, s19
	s_delay_alu instid0(VALU_DEP_1) | instskip(NEXT) | instid1(VALU_DEP_1)
	v_sub_nc_u32_e32 v32, v32, v33
	v_mad_u32 v28, v32, s13, v28
	v_mad_u32 v0, v32, s12, v0
	;; [unrolled: 1-line block ×4, first 2 shown]
	s_cbranch_scc1 .LBB13_177
; %bb.178:
	s_bitcmp1_b32 s5, 0
	s_cselect_b32 s5, -1, 0
	s_delay_alu instid0(SALU_CYCLE_1)
	s_and_b32 vcc_lo, exec_lo, s5
	s_cbranch_vccnz .LBB13_181
; %bb.179:
	s_load_b96 s[12:14], s[2:3], 0x4
	s_load_b128 s[8:11], s[0:1], 0xe4
	s_wait_kmcnt 0x0
	v_mul_hi_u32 v32, s13, v31
	s_delay_alu instid0(VALU_DEP_1) | instskip(NEXT) | instid1(VALU_DEP_1)
	v_add_nc_u32_e32 v32, v31, v32
	v_lshrrev_b32_e32 v32, s14, v32
	s_delay_alu instid0(VALU_DEP_1) | instskip(NEXT) | instid1(VALU_DEP_1)
	v_mul_lo_u32 v32, v32, s12
	v_sub_nc_u32_e32 v31, v31, v32
	s_delay_alu instid0(VALU_DEP_1)
	v_mad_u32 v0, v31, s8, v0
	v_mad_u32 v28, v31, s9, v28
	;; [unrolled: 1-line block ×4, first 2 shown]
	s_and_not1_b32 vcc_lo, exec_lo, s4
	s_cbranch_vccz .LBB13_182
	s_branch .LBB13_185
.LBB13_180:
	s_mov_b32 s4, -1
                                        ; implicit-def: $vgpr28
                                        ; implicit-def: $vgpr0
                                        ; implicit-def: $vgpr29
                                        ; implicit-def: $vgpr27
.LBB13_181:
	s_delay_alu instid0(SALU_CYCLE_1)
	s_and_not1_b32 vcc_lo, exec_lo, s4
	s_cbranch_vccnz .LBB13_185
.LBB13_182:
	s_clause 0x1
	s_load_b96 s[4:6], s[20:21], 0x4
	s_load_b128 s[0:3], s[20:21], 0xc4
	s_cmp_lt_u32 s33, 2
	s_wait_kmcnt 0x0
	v_mul_hi_u32 v0, s5, v30
	s_delay_alu instid0(VALU_DEP_1) | instskip(NEXT) | instid1(VALU_DEP_1)
	v_add_nc_u32_e32 v0, v30, v0
	v_lshrrev_b32_e32 v31, s6, v0
	s_delay_alu instid0(VALU_DEP_1) | instskip(NEXT) | instid1(VALU_DEP_1)
	v_mul_lo_u32 v0, v31, s4
	v_sub_nc_u32_e32 v27, v30, v0
	s_delay_alu instid0(VALU_DEP_1)
	v_mul_lo_u32 v28, v27, s1
	v_mul_lo_u32 v0, v27, s0
	;; [unrolled: 1-line block ×4, first 2 shown]
	s_cbranch_scc1 .LBB13_185
; %bb.183:
	s_clause 0x1
	s_load_b96 s[4:6], s[20:21], 0x10
	s_load_b128 s[0:3], s[20:21], 0xd4
	s_wait_kmcnt 0x0
	v_mul_hi_u32 v30, s5, v31
	s_delay_alu instid0(VALU_DEP_1) | instskip(NEXT) | instid1(VALU_DEP_1)
	v_add_nc_u32_e32 v30, v31, v30
	v_lshrrev_b32_e32 v30, s6, v30
	s_delay_alu instid0(VALU_DEP_1) | instskip(NEXT) | instid1(VALU_DEP_1)
	v_mul_lo_u32 v30, v30, s4
	v_sub_nc_u32_e32 v30, v31, v30
	s_delay_alu instid0(VALU_DEP_1)
	v_mad_u32 v0, v30, s0, v0
	v_mad_u32 v28, v30, s1, v28
	;; [unrolled: 1-line block ×4, first 2 shown]
	s_branch .LBB13_185
.LBB13_184:
	v_dual_mov_b32 v28, 0 :: v_dual_mov_b32 v0, 0
	v_dual_mov_b32 v29, 0 :: v_dual_mov_b32 v27, 0
	s_and_not1_b32 vcc_lo, exec_lo, s4
	s_cbranch_vccz .LBB13_182
.LBB13_185:
	v_cmp_ne_u32_e32 vcc_lo, 1, v7
	s_cbranch_vccnz .LBB13_191
; %bb.186:
	s_cmp_lg_u32 s33, 0
	s_mov_b32 s4, 0
	s_cbranch_scc0 .LBB13_195
; %bb.187:
	s_min_u32 s5, s34, 15
	v_dual_mov_b32 v32, 0 :: v_dual_mov_b32 v33, v5
	v_dual_mov_b32 v31, 0 :: v_dual_mov_b32 v7, 0
	v_mov_b32_e32 v30, 0
	s_add_co_i32 s2, s5, 1
	s_mov_b64 s[0:1], 0xffffffffffffffe0
	s_and_b32 s6, s2, 30
	s_add_nc_u64 s[0:1], s[20:21], s[0:1]
	s_mov_b64 s[2:3], s[20:21]
.LBB13_188:                             ; =>This Inner Loop Header: Depth=1
	s_clause 0x1
	s_load_b128 s[16:19], s[2:3], 0x4
	s_load_b64 s[22:23], s[2:3], 0x14
	s_load_b256 s[8:15], s[0:1], 0xe4
	s_add_co_i32 s6, s6, -2
	s_wait_xcnt 0x0
	s_add_nc_u64 s[2:3], s[2:3], 24
	s_cmp_lg_u32 s6, 0
	s_add_nc_u64 s[0:1], s[0:1], 32
	s_wait_kmcnt 0x0
	v_mul_hi_u32 v34, s17, v33
	s_delay_alu instid0(VALU_DEP_1) | instskip(NEXT) | instid1(VALU_DEP_1)
	v_add_nc_u32_e32 v34, v33, v34
	v_lshrrev_b32_e32 v34, s18, v34
	s_delay_alu instid0(VALU_DEP_1) | instskip(SKIP_1) | instid1(VALU_DEP_1)
	v_mul_hi_u32 v35, s22, v34
	v_mul_lo_u32 v36, v34, s16
	v_dual_add_nc_u32 v35, v34, v35 :: v_dual_sub_nc_u32 v36, v33, v36
	s_delay_alu instid0(VALU_DEP_1) | instskip(NEXT) | instid1(VALU_DEP_2)
	v_lshrrev_b32_e32 v33, s23, v35
	v_mad_u32 v30, v36, s9, v30
	v_mad_u32 v7, v36, s8, v7
	;; [unrolled: 1-line block ×4, first 2 shown]
	v_mul_lo_u32 v35, v33, s19
	s_delay_alu instid0(VALU_DEP_1) | instskip(NEXT) | instid1(VALU_DEP_1)
	v_sub_nc_u32_e32 v34, v34, v35
	v_mad_u32 v30, v34, s13, v30
	v_mad_u32 v7, v34, s12, v7
	;; [unrolled: 1-line block ×4, first 2 shown]
	s_cbranch_scc1 .LBB13_188
; %bb.189:
	s_bitcmp1_b32 s5, 0
	s_cselect_b32 s5, -1, 0
	s_delay_alu instid0(SALU_CYCLE_1)
	s_and_b32 vcc_lo, exec_lo, s5
	s_cbranch_vccnz .LBB13_192
; %bb.190:
	s_load_b96 s[12:14], s[2:3], 0x4
	s_load_b128 s[8:11], s[0:1], 0xe4
	s_wait_kmcnt 0x0
	v_mul_hi_u32 v34, s13, v33
	s_delay_alu instid0(VALU_DEP_1) | instskip(NEXT) | instid1(VALU_DEP_1)
	v_add_nc_u32_e32 v34, v33, v34
	v_lshrrev_b32_e32 v34, s14, v34
	s_delay_alu instid0(VALU_DEP_1) | instskip(NEXT) | instid1(VALU_DEP_1)
	v_mul_lo_u32 v34, v34, s12
	v_sub_nc_u32_e32 v33, v33, v34
	s_delay_alu instid0(VALU_DEP_1)
	v_mad_u32 v7, v33, s8, v7
	v_mad_u32 v30, v33, s9, v30
	;; [unrolled: 1-line block ×4, first 2 shown]
	s_and_not1_b32 vcc_lo, exec_lo, s4
	s_cbranch_vccz .LBB13_193
	s_branch .LBB13_196
.LBB13_191:
	s_mov_b32 s4, -1
                                        ; implicit-def: $vgpr30
                                        ; implicit-def: $vgpr7
                                        ; implicit-def: $vgpr31
                                        ; implicit-def: $vgpr32
.LBB13_192:
	s_delay_alu instid0(SALU_CYCLE_1)
	s_and_not1_b32 vcc_lo, exec_lo, s4
	s_cbranch_vccnz .LBB13_196
.LBB13_193:
	s_clause 0x1
	s_load_b96 s[4:6], s[20:21], 0x4
	s_load_b128 s[0:3], s[20:21], 0xc4
	s_cmp_lt_u32 s33, 2
	s_wait_kmcnt 0x0
	v_mul_hi_u32 v7, s5, v5
	s_delay_alu instid0(VALU_DEP_1) | instskip(NEXT) | instid1(VALU_DEP_1)
	v_add_nc_u32_e32 v7, v5, v7
	v_lshrrev_b32_e32 v33, s6, v7
	s_delay_alu instid0(VALU_DEP_1) | instskip(NEXT) | instid1(VALU_DEP_1)
	v_mul_lo_u32 v7, v33, s4
	v_sub_nc_u32_e32 v5, v5, v7
	s_delay_alu instid0(VALU_DEP_1)
	v_mul_lo_u32 v30, v5, s1
	v_mul_lo_u32 v7, v5, s0
	;; [unrolled: 1-line block ×4, first 2 shown]
	s_cbranch_scc1 .LBB13_196
; %bb.194:
	s_clause 0x1
	s_load_b96 s[4:6], s[20:21], 0x10
	s_load_b128 s[0:3], s[20:21], 0xd4
	s_wait_kmcnt 0x0
	v_mul_hi_u32 v5, s5, v33
	s_delay_alu instid0(VALU_DEP_1) | instskip(NEXT) | instid1(VALU_DEP_1)
	v_add_nc_u32_e32 v5, v33, v5
	v_lshrrev_b32_e32 v5, s6, v5
	s_delay_alu instid0(VALU_DEP_1) | instskip(NEXT) | instid1(VALU_DEP_1)
	v_mul_lo_u32 v5, v5, s4
	v_sub_nc_u32_e32 v5, v33, v5
	s_delay_alu instid0(VALU_DEP_1)
	v_mad_u32 v7, v5, s0, v7
	v_mad_u32 v30, v5, s1, v30
	;; [unrolled: 1-line block ×4, first 2 shown]
	s_branch .LBB13_196
.LBB13_195:
	v_dual_mov_b32 v30, 0 :: v_dual_mov_b32 v7, 0
	v_dual_mov_b32 v31, 0 :: v_dual_mov_b32 v32, 0
	s_and_not1_b32 vcc_lo, exec_lo, s4
	s_cbranch_vccz .LBB13_193
.LBB13_196:
	s_load_b256 s[0:7], s[20:21], 0x1c8
	s_wait_kmcnt 0x0
	global_load_u8 v5, v2, s[2:3]
	global_load_u16 v33, v4, s[4:5]
	global_load_u16 v34, v3, s[6:7]
	global_load_u8 v35, v8, s[2:3]
	global_load_u16 v36, v9, s[4:5]
	global_load_u16 v37, v10, s[6:7]
	;; [unrolled: 3-line block ×5, first 2 shown]
                                        ; kill: killed $vgpr10
                                        ; kill: killed $vgpr18
                                        ; kill: killed $vgpr13
                                        ; kill: killed $vgpr14
                                        ; kill: killed $vgpr22
                                        ; kill: killed $vgpr16
                                        ; kill: killed $vgpr4
                                        ; kill: killed $vgpr17
                                        ; kill: killed $vgpr20
                                        ; kill: killed $vgpr9
                                        ; kill: killed $vgpr2
                                        ; kill: killed $vgpr21
                                        ; kill: killed $vgpr3
                                        ; kill: killed $vgpr12
                                        ; kill: killed $vgpr8
	global_load_u8 v2, v24, s[2:3]
	global_load_u16 v3, v25, s[4:5]
	global_load_u16 v4, v26, s[6:7]
	global_load_u8 v8, v28, s[2:3]
	global_load_u16 v9, v27, s[4:5]
	global_load_u16 v10, v29, s[6:7]
	;; [unrolled: 3-line block ×3, first 2 shown]
	s_wait_loadcnt 0x17
	v_cmp_eq_u16_e32 vcc_lo, 0, v5
	s_wait_loadcnt 0x15
	v_cndmask_b32_e32 v5, v33, v34, vcc_lo
	s_wait_loadcnt 0x14
	v_cmp_eq_u16_e32 vcc_lo, 0, v35
	s_wait_loadcnt 0x12
	s_wait_xcnt 0xe
	v_cndmask_b32_e32 v16, v36, v37, vcc_lo
	s_wait_loadcnt 0x11
	v_cmp_eq_u16_e32 vcc_lo, 0, v38
	s_wait_loadcnt 0xf
	s_wait_xcnt 0xc
	v_cndmask_b32_e32 v17, v39, v40, vcc_lo
	s_wait_loadcnt 0xe
	v_cmp_eq_u16_e32 vcc_lo, 0, v41
	s_wait_loadcnt 0xc
	v_cndmask_b32_e32 v18, v42, v43, vcc_lo
	s_wait_loadcnt 0xb
	v_cmp_eq_u16_e32 vcc_lo, 0, v44
	s_wait_loadcnt 0x9
	s_wait_xcnt 0xb
	v_cndmask_b32_e32 v20, v45, v46, vcc_lo
	s_wait_loadcnt 0x8
	v_cmp_eq_u16_e32 vcc_lo, 0, v2
	s_wait_loadcnt 0x6
	v_cndmask_b32_e32 v2, v3, v4, vcc_lo
	s_wait_loadcnt 0x5
	v_cmp_eq_u16_e32 vcc_lo, 0, v8
	s_wait_loadcnt 0x3
	;; [unrolled: 4-line block ×3, first 2 shown]
	v_cndmask_b32_e32 v4, v13, v14, vcc_lo
	s_clause 0x7
	global_store_b16 v1, v5, s[0:1]
	global_store_b16 v6, v16, s[0:1]
	;; [unrolled: 1-line block ×8, first 2 shown]
	s_endpgm
	.section	.rodata,"a",@progbits
	.p2align	6, 0x0
	.amdhsa_kernel _ZN2at6native32elementwise_kernel_manual_unrollILi128ELi8EZNS0_22gpu_kernel_impl_nocastIZZZNS0_12_GLOBAL__N_117where_kernel_implERNS_14TensorIteratorEENKUlvE_clEvENKUlvE0_clEvEUlbttE_EEvRNS_18TensorIteratorBaseERKT_EUlibE_EEviT1_
		.amdhsa_group_segment_fixed_size 0
		.amdhsa_private_segment_fixed_size 0
		.amdhsa_kernarg_size 504
		.amdhsa_user_sgpr_count 2
		.amdhsa_user_sgpr_dispatch_ptr 0
		.amdhsa_user_sgpr_queue_ptr 0
		.amdhsa_user_sgpr_kernarg_segment_ptr 1
		.amdhsa_user_sgpr_dispatch_id 0
		.amdhsa_user_sgpr_kernarg_preload_length 0
		.amdhsa_user_sgpr_kernarg_preload_offset 0
		.amdhsa_user_sgpr_private_segment_size 0
		.amdhsa_wavefront_size32 1
		.amdhsa_uses_dynamic_stack 0
		.amdhsa_enable_private_segment 0
		.amdhsa_system_sgpr_workgroup_id_x 1
		.amdhsa_system_sgpr_workgroup_id_y 0
		.amdhsa_system_sgpr_workgroup_id_z 0
		.amdhsa_system_sgpr_workgroup_info 0
		.amdhsa_system_vgpr_workitem_id 0
		.amdhsa_next_free_vgpr 47
		.amdhsa_next_free_sgpr 56
		.amdhsa_named_barrier_count 0
		.amdhsa_reserve_vcc 1
		.amdhsa_float_round_mode_32 0
		.amdhsa_float_round_mode_16_64 0
		.amdhsa_float_denorm_mode_32 3
		.amdhsa_float_denorm_mode_16_64 3
		.amdhsa_fp16_overflow 0
		.amdhsa_memory_ordered 1
		.amdhsa_forward_progress 1
		.amdhsa_inst_pref_size 89
		.amdhsa_round_robin_scheduling 0
		.amdhsa_exception_fp_ieee_invalid_op 0
		.amdhsa_exception_fp_denorm_src 0
		.amdhsa_exception_fp_ieee_div_zero 0
		.amdhsa_exception_fp_ieee_overflow 0
		.amdhsa_exception_fp_ieee_underflow 0
		.amdhsa_exception_fp_ieee_inexact 0
		.amdhsa_exception_int_div_zero 0
	.end_amdhsa_kernel
	.section	.text._ZN2at6native32elementwise_kernel_manual_unrollILi128ELi8EZNS0_22gpu_kernel_impl_nocastIZZZNS0_12_GLOBAL__N_117where_kernel_implERNS_14TensorIteratorEENKUlvE_clEvENKUlvE0_clEvEUlbttE_EEvRNS_18TensorIteratorBaseERKT_EUlibE_EEviT1_,"axG",@progbits,_ZN2at6native32elementwise_kernel_manual_unrollILi128ELi8EZNS0_22gpu_kernel_impl_nocastIZZZNS0_12_GLOBAL__N_117where_kernel_implERNS_14TensorIteratorEENKUlvE_clEvENKUlvE0_clEvEUlbttE_EEvRNS_18TensorIteratorBaseERKT_EUlibE_EEviT1_,comdat
.Lfunc_end13:
	.size	_ZN2at6native32elementwise_kernel_manual_unrollILi128ELi8EZNS0_22gpu_kernel_impl_nocastIZZZNS0_12_GLOBAL__N_117where_kernel_implERNS_14TensorIteratorEENKUlvE_clEvENKUlvE0_clEvEUlbttE_EEvRNS_18TensorIteratorBaseERKT_EUlibE_EEviT1_, .Lfunc_end13-_ZN2at6native32elementwise_kernel_manual_unrollILi128ELi8EZNS0_22gpu_kernel_impl_nocastIZZZNS0_12_GLOBAL__N_117where_kernel_implERNS_14TensorIteratorEENKUlvE_clEvENKUlvE0_clEvEUlbttE_EEvRNS_18TensorIteratorBaseERKT_EUlibE_EEviT1_
                                        ; -- End function
	.set _ZN2at6native32elementwise_kernel_manual_unrollILi128ELi8EZNS0_22gpu_kernel_impl_nocastIZZZNS0_12_GLOBAL__N_117where_kernel_implERNS_14TensorIteratorEENKUlvE_clEvENKUlvE0_clEvEUlbttE_EEvRNS_18TensorIteratorBaseERKT_EUlibE_EEviT1_.num_vgpr, 47
	.set _ZN2at6native32elementwise_kernel_manual_unrollILi128ELi8EZNS0_22gpu_kernel_impl_nocastIZZZNS0_12_GLOBAL__N_117where_kernel_implERNS_14TensorIteratorEENKUlvE_clEvENKUlvE0_clEvEUlbttE_EEvRNS_18TensorIteratorBaseERKT_EUlibE_EEviT1_.num_agpr, 0
	.set _ZN2at6native32elementwise_kernel_manual_unrollILi128ELi8EZNS0_22gpu_kernel_impl_nocastIZZZNS0_12_GLOBAL__N_117where_kernel_implERNS_14TensorIteratorEENKUlvE_clEvENKUlvE0_clEvEUlbttE_EEvRNS_18TensorIteratorBaseERKT_EUlibE_EEviT1_.numbered_sgpr, 56
	.set _ZN2at6native32elementwise_kernel_manual_unrollILi128ELi8EZNS0_22gpu_kernel_impl_nocastIZZZNS0_12_GLOBAL__N_117where_kernel_implERNS_14TensorIteratorEENKUlvE_clEvENKUlvE0_clEvEUlbttE_EEvRNS_18TensorIteratorBaseERKT_EUlibE_EEviT1_.num_named_barrier, 0
	.set _ZN2at6native32elementwise_kernel_manual_unrollILi128ELi8EZNS0_22gpu_kernel_impl_nocastIZZZNS0_12_GLOBAL__N_117where_kernel_implERNS_14TensorIteratorEENKUlvE_clEvENKUlvE0_clEvEUlbttE_EEvRNS_18TensorIteratorBaseERKT_EUlibE_EEviT1_.private_seg_size, 0
	.set _ZN2at6native32elementwise_kernel_manual_unrollILi128ELi8EZNS0_22gpu_kernel_impl_nocastIZZZNS0_12_GLOBAL__N_117where_kernel_implERNS_14TensorIteratorEENKUlvE_clEvENKUlvE0_clEvEUlbttE_EEvRNS_18TensorIteratorBaseERKT_EUlibE_EEviT1_.uses_vcc, 1
	.set _ZN2at6native32elementwise_kernel_manual_unrollILi128ELi8EZNS0_22gpu_kernel_impl_nocastIZZZNS0_12_GLOBAL__N_117where_kernel_implERNS_14TensorIteratorEENKUlvE_clEvENKUlvE0_clEvEUlbttE_EEvRNS_18TensorIteratorBaseERKT_EUlibE_EEviT1_.uses_flat_scratch, 0
	.set _ZN2at6native32elementwise_kernel_manual_unrollILi128ELi8EZNS0_22gpu_kernel_impl_nocastIZZZNS0_12_GLOBAL__N_117where_kernel_implERNS_14TensorIteratorEENKUlvE_clEvENKUlvE0_clEvEUlbttE_EEvRNS_18TensorIteratorBaseERKT_EUlibE_EEviT1_.has_dyn_sized_stack, 0
	.set _ZN2at6native32elementwise_kernel_manual_unrollILi128ELi8EZNS0_22gpu_kernel_impl_nocastIZZZNS0_12_GLOBAL__N_117where_kernel_implERNS_14TensorIteratorEENKUlvE_clEvENKUlvE0_clEvEUlbttE_EEvRNS_18TensorIteratorBaseERKT_EUlibE_EEviT1_.has_recursion, 0
	.set _ZN2at6native32elementwise_kernel_manual_unrollILi128ELi8EZNS0_22gpu_kernel_impl_nocastIZZZNS0_12_GLOBAL__N_117where_kernel_implERNS_14TensorIteratorEENKUlvE_clEvENKUlvE0_clEvEUlbttE_EEvRNS_18TensorIteratorBaseERKT_EUlibE_EEviT1_.has_indirect_call, 0
	.section	.AMDGPU.csdata,"",@progbits
; Kernel info:
; codeLenInByte = 11320
; TotalNumSgprs: 58
; NumVgprs: 47
; ScratchSize: 0
; MemoryBound: 0
; FloatMode: 240
; IeeeMode: 1
; LDSByteSize: 0 bytes/workgroup (compile time only)
; SGPRBlocks: 0
; VGPRBlocks: 2
; NumSGPRsForWavesPerEU: 58
; NumVGPRsForWavesPerEU: 47
; NamedBarCnt: 0
; Occupancy: 16
; WaveLimiterHint : 1
; COMPUTE_PGM_RSRC2:SCRATCH_EN: 0
; COMPUTE_PGM_RSRC2:USER_SGPR: 2
; COMPUTE_PGM_RSRC2:TRAP_HANDLER: 0
; COMPUTE_PGM_RSRC2:TGID_X_EN: 1
; COMPUTE_PGM_RSRC2:TGID_Y_EN: 0
; COMPUTE_PGM_RSRC2:TGID_Z_EN: 0
; COMPUTE_PGM_RSRC2:TIDIG_COMP_CNT: 0
	.section	.text._ZN2at6native29vectorized_elementwise_kernelILi16EZZZNS0_12_GLOBAL__N_117where_kernel_implERNS_14TensorIteratorEENKUlvE_clEvENKUlvE1_clEvEUlbjjE_St5arrayIPcLm4EEEEviT0_T1_,"axG",@progbits,_ZN2at6native29vectorized_elementwise_kernelILi16EZZZNS0_12_GLOBAL__N_117where_kernel_implERNS_14TensorIteratorEENKUlvE_clEvENKUlvE1_clEvEUlbjjE_St5arrayIPcLm4EEEEviT0_T1_,comdat
	.globl	_ZN2at6native29vectorized_elementwise_kernelILi16EZZZNS0_12_GLOBAL__N_117where_kernel_implERNS_14TensorIteratorEENKUlvE_clEvENKUlvE1_clEvEUlbjjE_St5arrayIPcLm4EEEEviT0_T1_ ; -- Begin function _ZN2at6native29vectorized_elementwise_kernelILi16EZZZNS0_12_GLOBAL__N_117where_kernel_implERNS_14TensorIteratorEENKUlvE_clEvENKUlvE1_clEvEUlbjjE_St5arrayIPcLm4EEEEviT0_T1_
	.p2align	8
	.type	_ZN2at6native29vectorized_elementwise_kernelILi16EZZZNS0_12_GLOBAL__N_117where_kernel_implERNS_14TensorIteratorEENKUlvE_clEvENKUlvE1_clEvEUlbjjE_St5arrayIPcLm4EEEEviT0_T1_,@function
_ZN2at6native29vectorized_elementwise_kernelILi16EZZZNS0_12_GLOBAL__N_117where_kernel_implERNS_14TensorIteratorEENKUlvE_clEvENKUlvE1_clEvEUlbjjE_St5arrayIPcLm4EEEEviT0_T1_: ; @_ZN2at6native29vectorized_elementwise_kernelILi16EZZZNS0_12_GLOBAL__N_117where_kernel_implERNS_14TensorIteratorEENKUlvE_clEvENKUlvE1_clEvEUlbjjE_St5arrayIPcLm4EEEEviT0_T1_
; %bb.0:
	s_clause 0x1
	s_load_b32 s2, s[0:1], 0x0
	s_load_b256 s[16:23], s[0:1], 0x8
	s_wait_xcnt 0x0
	s_bfe_u32 s0, ttmp6, 0x4000c
	s_and_b32 s1, ttmp6, 15
	s_add_co_i32 s0, s0, 1
	s_getreg_b32 s3, hwreg(HW_REG_IB_STS2, 6, 4)
	s_mul_i32 s0, ttmp9, s0
	s_delay_alu instid0(SALU_CYCLE_1) | instskip(SKIP_2) | instid1(SALU_CYCLE_1)
	s_add_co_i32 s1, s1, s0
	s_cmp_eq_u32 s3, 0
	s_cselect_b32 s0, ttmp9, s1
	s_lshl_b32 s24, s0, 12
	s_mov_b32 s0, -1
	s_wait_kmcnt 0x0
	s_sub_co_i32 s26, s2, s24
	s_delay_alu instid0(SALU_CYCLE_1)
	s_cmp_gt_i32 s26, 0xfff
	s_cbranch_scc0 .LBB14_2
; %bb.1:
	s_ashr_i32 s25, s24, 31
	s_delay_alu instid0(SALU_CYCLE_1) | instskip(SKIP_4) | instid1(SALU_CYCLE_1)
	s_add_nc_u64 s[0:1], s[18:19], s[24:25]
	global_load_b128 v[2:5], v0, s[0:1] scale_offset
	v_lshlrev_b32_e32 v1, 6, v0
	s_wait_xcnt 0x0
	s_lshl_b64 s[0:1], s[24:25], 2
	s_add_nc_u64 s[2:3], s[22:23], s[0:1]
	s_add_nc_u64 s[4:5], s[20:21], s[0:1]
	s_wait_loadcnt 0x0
	v_lshrrev_b32_e32 v39, 8, v2
	s_clause 0x7
	global_load_b128 v[6:9], v1, s[2:3]
	global_load_b128 v[10:13], v1, s[4:5]
	global_load_b128 v[14:17], v1, s[4:5] offset:16
	global_load_b128 v[18:21], v1, s[2:3] offset:16
	;; [unrolled: 1-line block ×6, first 2 shown]
	v_and_b32_e32 v38, 0xff, v2
	v_dual_lshrrev_b32 v40, 24, v2 :: v_dual_lshrrev_b32 v2, 16, v2
	v_and_b32_e32 v41, 0xff, v3
	v_and_b32_e32 v47, 0xff, v5
	s_delay_alu instid0(VALU_DEP_4)
	v_cmp_eq_u16_e32 vcc_lo, 0, v38
	v_dual_lshrrev_b32 v48, 8, v5 :: v_dual_lshrrev_b32 v49, 24, v5
	v_lshrrev_b32_e32 v5, 16, v5
	v_and_b32_e32 v50, 0xff, v2
	v_dual_lshrrev_b32 v42, 8, v3 :: v_dual_lshrrev_b32 v43, 24, v3
	v_and_b32_e32 v44, 0xff, v4
	v_dual_lshrrev_b32 v46, 24, v4 :: v_dual_lshrrev_b32 v3, 16, v3
	v_dual_lshrrev_b32 v45, 8, v4 :: v_dual_lshrrev_b32 v4, 16, v4
	v_and_b32_e32 v39, 0xff, v39
	v_and_b32_e32 v42, 0xff, v42
	s_delay_alu instid0(VALU_DEP_4) | instskip(NEXT) | instid1(VALU_DEP_4)
	v_and_b32_e32 v51, 0xff, v3
	v_and_b32_e32 v45, 0xff, v45
	v_and_b32_e32 v52, 0xff, v4
	v_and_b32_e32 v48, 0xff, v48
	s_wait_xcnt 0x0
	s_add_nc_u64 s[2:3], s[16:17], s[0:1]
	s_mov_b32 s0, 0
	s_wait_loadcnt 0x6
	v_cndmask_b32_e32 v2, v10, v6, vcc_lo
	v_cmp_eq_u16_e32 vcc_lo, 0, v40
	v_and_b32_e32 v53, 0xff, v5
	v_cndmask_b32_e32 v5, v13, v9, vcc_lo
	v_cmp_eq_u16_e32 vcc_lo, 0, v41
	s_wait_loadcnt 0x4
	v_cndmask_b32_e32 v6, v14, v18, vcc_lo
	v_cmp_eq_u16_e32 vcc_lo, 0, v43
	v_cndmask_b32_e32 v9, v17, v21, vcc_lo
	v_cmp_eq_u16_e32 vcc_lo, 0, v44
	s_wait_loadcnt 0x2
	v_cndmask_b32_e32 v10, v26, v22, vcc_lo
	v_cmp_eq_u16_e32 vcc_lo, 0, v46
	;; [unrolled: 5-line block ×3, first 2 shown]
	v_cndmask_b32_e32 v17, v33, v37, vcc_lo
	v_cmp_eq_u16_e32 vcc_lo, 0, v39
	v_cndmask_b32_e32 v3, v11, v7, vcc_lo
	v_cmp_eq_u16_e32 vcc_lo, 0, v50
	;; [unrolled: 2-line block ×8, first 2 shown]
	v_cndmask_b32_e32 v16, v32, v36, vcc_lo
	s_clause 0x3
	global_store_b128 v1, v[2:5], s[2:3]
	global_store_b128 v1, v[6:9], s[2:3] offset:16
	global_store_b128 v1, v[10:13], s[2:3] offset:32
	;; [unrolled: 1-line block ×3, first 2 shown]
.LBB14_2:
	s_and_not1_b32 vcc_lo, exec_lo, s0
	s_cbranch_vccnz .LBB14_23
; %bb.3:
	v_cmp_le_i32_e64 s0, s26, v0
	s_wait_xcnt 0x0
	v_or_b32_e32 v1, 0x100, v0
	v_cmp_gt_i32_e32 vcc_lo, s26, v0
	s_and_saveexec_b32 s1, s0
	s_delay_alu instid0(SALU_CYCLE_1)
	s_xor_b32 s0, exec_lo, s1
; %bb.4:
	v_or_b32_e32 v1, 0x100, v0
; %bb.5:
	s_or_saveexec_b32 s25, s0
	v_dual_mov_b32 v39, 0 :: v_dual_bitop2_b32 v10, s24, v0 bitop3:0x54
	v_dual_mov_b32 v38, 0 :: v_dual_mov_b32 v37, 0
	v_dual_mov_b32 v36, 0 :: v_dual_mov_b32 v35, 0
	v_dual_mov_b32 v34, 0 :: v_dual_mov_b32 v33, 0
	v_dual_mov_b32 v32, 0 :: v_dual_mov_b32 v31, 0
	v_dual_mov_b32 v30, 0 :: v_dual_mov_b32 v29, 0
	v_dual_mov_b32 v28, 0 :: v_dual_mov_b32 v27, 0
	v_dual_mov_b32 v26, 0 :: v_dual_mov_b32 v25, 0
	v_dual_mov_b32 v24, 0 :: v_dual_mov_b32 v22, 0
	v_dual_mov_b32 v23, 0 :: v_dual_mov_b32 v20, 0
	v_dual_mov_b32 v21, 0 :: v_dual_mov_b32 v18, 0
	v_dual_mov_b32 v19, 0 :: v_dual_mov_b32 v16, 0
	v_dual_mov_b32 v17, 0 :: v_dual_mov_b32 v4, 0
	v_dual_mov_b32 v15, 0 :: v_dual_mov_b32 v3, 0
	v_dual_mov_b32 v14, 0 :: v_dual_mov_b32 v11, 0
	v_dual_mov_b32 v12, 0 :: v_dual_mov_b32 v13, 0
	s_mov_b32 s0, 0
	s_mov_b32 s14, 0
	;; [unrolled: 1-line block ×15, first 2 shown]
	s_xor_b32 exec_lo, exec_lo, s25
	s_cbranch_execnz .LBB14_24
; %bb.6:
	s_or_b32 exec_lo, exec_lo, s25
	s_and_saveexec_b32 s15, vcc_lo
	s_cbranch_execnz .LBB14_55
.LBB14_7:
	s_or_b32 exec_lo, exec_lo, s15
	s_delay_alu instid0(SALU_CYCLE_1)
	s_mov_b32 s0, exec_lo
	v_cmpx_gt_i32_e64 s26, v0
	s_cbranch_execnz .LBB14_56
.LBB14_8:
	s_or_b32 exec_lo, exec_lo, s0
	s_delay_alu instid0(SALU_CYCLE_1)
	s_mov_b32 s0, exec_lo
	v_cmpx_gt_i32_e64 s26, v0
	s_cbranch_execnz .LBB14_57
.LBB14_9:
	s_or_b32 exec_lo, exec_lo, s0
	s_delay_alu instid0(SALU_CYCLE_1)
	s_mov_b32 s0, exec_lo
	v_cmpx_gt_i32_e64 s26, v0
	s_cbranch_execnz .LBB14_58
.LBB14_10:
	s_or_b32 exec_lo, exec_lo, s0
	s_delay_alu instid0(SALU_CYCLE_1)
	s_mov_b32 s0, exec_lo
	v_cmpx_gt_i32_e64 s26, v0
	s_cbranch_execnz .LBB14_59
.LBB14_11:
	s_or_b32 exec_lo, exec_lo, s0
	s_delay_alu instid0(SALU_CYCLE_1)
	s_mov_b32 s0, exec_lo
	v_cmpx_gt_i32_e64 s26, v0
	s_cbranch_execnz .LBB14_60
.LBB14_12:
	s_or_b32 exec_lo, exec_lo, s0
	s_delay_alu instid0(SALU_CYCLE_1)
	s_mov_b32 s0, exec_lo
	v_cmpx_gt_i32_e64 s26, v0
	s_cbranch_execnz .LBB14_61
.LBB14_13:
	s_or_b32 exec_lo, exec_lo, s0
	s_delay_alu instid0(SALU_CYCLE_1)
	s_mov_b32 s0, exec_lo
	v_cmpx_gt_i32_e64 s26, v0
	s_cbranch_execnz .LBB14_62
.LBB14_14:
	s_or_b32 exec_lo, exec_lo, s0
	s_delay_alu instid0(SALU_CYCLE_1)
	s_mov_b32 s0, exec_lo
	v_cmpx_gt_i32_e64 s26, v0
	s_cbranch_execnz .LBB14_63
.LBB14_15:
	s_or_b32 exec_lo, exec_lo, s0
	s_delay_alu instid0(SALU_CYCLE_1)
	s_mov_b32 s0, exec_lo
	v_cmpx_gt_i32_e64 s26, v0
	s_cbranch_execnz .LBB14_64
.LBB14_16:
	s_or_b32 exec_lo, exec_lo, s0
	s_delay_alu instid0(SALU_CYCLE_1)
	s_mov_b32 s0, exec_lo
	v_cmpx_gt_i32_e64 s26, v0
	s_cbranch_execnz .LBB14_65
.LBB14_17:
	s_or_b32 exec_lo, exec_lo, s0
	s_delay_alu instid0(SALU_CYCLE_1)
	s_mov_b32 s0, exec_lo
	v_cmpx_gt_i32_e64 s26, v0
	s_cbranch_execnz .LBB14_66
.LBB14_18:
	s_or_b32 exec_lo, exec_lo, s0
	s_delay_alu instid0(SALU_CYCLE_1)
	s_mov_b32 s0, exec_lo
	v_cmpx_gt_i32_e64 s26, v0
	s_cbranch_execnz .LBB14_67
.LBB14_19:
	s_or_b32 exec_lo, exec_lo, s0
	s_delay_alu instid0(SALU_CYCLE_1)
	s_mov_b32 s0, exec_lo
	v_cmpx_gt_i32_e64 s26, v0
	s_cbranch_execnz .LBB14_68
.LBB14_20:
	s_or_b32 exec_lo, exec_lo, s0
	s_delay_alu instid0(SALU_CYCLE_1)
	s_mov_b32 s0, exec_lo
	v_cmpx_gt_i32_e64 s26, v0
	s_cbranch_execnz .LBB14_69
.LBB14_21:
	s_or_b32 exec_lo, exec_lo, s0
	s_delay_alu instid0(SALU_CYCLE_1)
	s_mov_b32 s0, exec_lo
	v_cmpx_gt_i32_e64 s26, v0
	s_cbranch_execz .LBB14_23
.LBB14_22:
	v_add_nc_u32_e32 v0, s24, v0
	global_store_b32 v0, v39, s[16:17] scale_offset
.LBB14_23:
	s_endpgm
.LBB14_24:
	s_clause 0x2
	global_load_u8 v2, v10, s[18:19]
	global_load_b32 v12, v10, s[20:21] scale_offset
	global_load_b32 v13, v10, s[22:23] scale_offset
	v_cmp_gt_u32_e64 s1, s26, v1
	v_dual_mov_b32 v11, 0 :: v_dual_mov_b32 v14, 0
	v_dual_mov_b32 v3, 0 :: v_dual_mov_b32 v15, 0
	;; [unrolled: 1-line block ×14, first 2 shown]
	v_mov_b32_e32 v39, 0
	s_mov_b32 s28, 0
	s_mov_b32 s15, 0
	s_wait_loadcnt 0x2
	v_cmp_ne_u16_e64 s0, 0, v2
	s_wait_xcnt 0x0
	s_and_saveexec_b32 s27, s1
	s_cbranch_execz .LBB14_54
; %bb.25:
	v_dual_mov_b32 v3, 0 :: v_dual_add_nc_u32 v2, s24, v0
	v_or_b32_e32 v6, 0x200, v0
	v_dual_mov_b32 v15, 0 :: v_dual_mov_b32 v4, 0
	s_clause 0x2
	global_load_u8 v5, v2, s[18:19] offset:256
	global_load_b32 v14, v2, s[20:21] offset:1024 scale_offset
	global_load_b32 v11, v2, s[22:23] offset:1024 scale_offset
	v_dual_mov_b32 v17, 0 :: v_dual_mov_b32 v16, 0
	v_dual_mov_b32 v19, 0 :: v_dual_mov_b32 v18, 0
	;; [unrolled: 1-line block ×12, first 2 shown]
	s_mov_b32 s29, 0
	s_mov_b32 s30, 0
	;; [unrolled: 1-line block ×4, first 2 shown]
	s_mov_b32 s28, exec_lo
	s_wait_loadcnt 0x2
	v_cmp_ne_u16_e64 s1, 0, v5
	s_wait_xcnt 0x0
	v_cmpx_gt_u32_e64 s26, v6
	s_cbranch_execz .LBB14_53
; %bb.26:
	v_lshlrev_b64_e32 v[8:9], 2, v[2:3]
	v_add_nc_u64_e32 v[4:5], s[18:19], v[2:3]
	v_or_b32_e32 v38, 0x300, v0
	v_dual_mov_b32 v17, 0 :: v_dual_mov_b32 v16, 0
	v_dual_mov_b32 v19, 0 :: v_dual_mov_b32 v18, 0
	v_add_nc_u64_e32 v[6:7], s[20:21], v[8:9]
	v_add_nc_u64_e32 v[8:9], s[22:23], v[8:9]
	global_load_u8 v37, v[4:5], off offset:512
	v_dual_mov_b32 v21, 0 :: v_dual_mov_b32 v20, 0
	v_dual_mov_b32 v23, 0 :: v_dual_mov_b32 v22, 0
	global_load_b32 v15, v[6:7], off offset:2048
	global_load_b32 v2, v[8:9], off offset:2048
	v_dual_mov_b32 v24, 0 :: v_dual_mov_b32 v25, 0
	v_dual_mov_b32 v26, 0 :: v_dual_mov_b32 v27, 0
	;; [unrolled: 1-line block ×6, first 2 shown]
	v_mov_b32_e32 v36, 0
	v_cmp_gt_u32_e64 s3, s26, v38
	v_dual_mov_b32 v38, 0 :: v_dual_mov_b32 v39, 0
	s_mov_b32 s19, 0
	s_mov_b32 s20, 0
	;; [unrolled: 1-line block ×3, first 2 shown]
	s_wait_loadcnt 0x2
	v_cmp_ne_u16_e64 s2, 0, v37
	v_mov_b32_e32 v37, 0
	s_wait_xcnt 0x0
	s_and_saveexec_b32 s18, s3
	s_cbranch_execz .LBB14_52
; %bb.27:
	global_load_u8 v39, v[4:5], off offset:768
	global_load_b32 v17, v[6:7], off offset:3072
	global_load_b32 v3, v[8:9], off offset:3072
	v_or_b32_e32 v40, 0x400, v0
	v_dual_mov_b32 v16, 0 :: v_dual_mov_b32 v19, 0
	v_dual_mov_b32 v18, 0 :: v_dual_mov_b32 v21, 0
	v_dual_mov_b32 v20, 0 :: v_dual_mov_b32 v23, 0
	v_dual_mov_b32 v22, 0 :: v_dual_mov_b32 v24, 0
	v_dual_mov_b32 v25, 0 :: v_dual_mov_b32 v26, 0
	v_dual_mov_b32 v27, 0 :: v_dual_mov_b32 v28, 0
	v_dual_mov_b32 v29, 0 :: v_dual_mov_b32 v30, 0
	v_dual_mov_b32 v31, 0 :: v_dual_mov_b32 v32, 0
	v_dual_mov_b32 v33, 0 :: v_dual_mov_b32 v34, 0
	v_dual_mov_b32 v35, 0 :: v_dual_mov_b32 v36, 0
	v_dual_mov_b32 v37, 0 :: v_dual_mov_b32 v38, 0
	s_mov_b32 s19, exec_lo
	s_wait_loadcnt 0x2
	v_cmp_ne_u16_e64 s3, 0, v39
	v_mov_b32_e32 v39, 0
	s_wait_xcnt 0x0
	v_cmpx_gt_u32_e64 s26, v40
	s_cbranch_execz .LBB14_51
; %bb.28:
	global_load_u8 v39, v[4:5], off offset:1024
	global_load_b32 v19, v[6:7], off offset:4096
	global_load_b32 v16, v[8:9], off offset:4096
	v_or_b32_e32 v40, 0x500, v0
	v_dual_mov_b32 v18, 0 :: v_dual_mov_b32 v21, 0
	v_dual_mov_b32 v20, 0 :: v_dual_mov_b32 v23, 0
	v_dual_mov_b32 v22, 0 :: v_dual_mov_b32 v24, 0
	v_dual_mov_b32 v25, 0 :: v_dual_mov_b32 v26, 0
	v_dual_mov_b32 v27, 0 :: v_dual_mov_b32 v28, 0
	v_dual_mov_b32 v29, 0 :: v_dual_mov_b32 v30, 0
	v_dual_mov_b32 v31, 0 :: v_dual_mov_b32 v32, 0
	v_dual_mov_b32 v33, 0 :: v_dual_mov_b32 v34, 0
	v_dual_mov_b32 v35, 0 :: v_dual_mov_b32 v36, 0
	v_dual_mov_b32 v37, 0 :: v_dual_mov_b32 v38, 0
	s_mov_b32 s20, exec_lo
	s_wait_loadcnt 0x2
	v_cmp_ne_u16_e64 s4, 0, v39
	v_mov_b32_e32 v39, 0
	s_wait_xcnt 0x0
	v_cmpx_gt_u32_e64 s26, v40
	s_cbranch_execz .LBB14_50
; %bb.29:
	global_load_u8 v39, v[4:5], off offset:1280
	global_load_b32 v21, v[6:7], off offset:5120
	global_load_b32 v18, v[8:9], off offset:5120
	v_or_b32_e32 v40, 0x600, v0
	v_dual_mov_b32 v20, 0 :: v_dual_mov_b32 v23, 0
	v_dual_mov_b32 v22, 0 :: v_dual_mov_b32 v24, 0
	;; [unrolled: 1-line block ×9, first 2 shown]
	s_mov_b32 s22, 0
	s_mov_b32 s21, exec_lo
	s_wait_loadcnt 0x2
	v_cmp_ne_u16_e64 s5, 0, v39
	v_mov_b32_e32 v39, 0
	s_wait_xcnt 0x0
	v_cmpx_gt_u32_e64 s26, v40
	s_cbranch_execz .LBB14_49
; %bb.30:
	global_load_u8 v39, v[4:5], off offset:1536
	global_load_b32 v23, v[6:7], off offset:6144
	global_load_b32 v20, v[8:9], off offset:6144
	v_or_b32_e32 v40, 0x700, v0
	v_dual_mov_b32 v22, 0 :: v_dual_mov_b32 v24, 0
	v_dual_mov_b32 v25, 0 :: v_dual_mov_b32 v26, 0
	v_dual_mov_b32 v27, 0 :: v_dual_mov_b32 v28, 0
	v_dual_mov_b32 v29, 0 :: v_dual_mov_b32 v30, 0
	v_dual_mov_b32 v31, 0 :: v_dual_mov_b32 v32, 0
	v_dual_mov_b32 v33, 0 :: v_dual_mov_b32 v34, 0
	v_dual_mov_b32 v35, 0 :: v_dual_mov_b32 v36, 0
	v_dual_mov_b32 v37, 0 :: v_dual_mov_b32 v38, 0
	s_mov_b32 s23, 0
	s_mov_b32 s22, exec_lo
	s_wait_loadcnt 0x2
	v_cmp_ne_u16_e64 s6, 0, v39
	v_mov_b32_e32 v39, 0
	s_wait_xcnt 0x0
	v_cmpx_gt_u32_e64 s26, v40
	s_cbranch_execz .LBB14_48
; %bb.31:
	global_load_u8 v39, v[4:5], off offset:1792
	global_load_b32 v24, v[6:7], off offset:7168
	global_load_b32 v22, v[8:9], off offset:7168
	v_or_b32_e32 v40, 0x800, v0
	v_dual_mov_b32 v25, 0 :: v_dual_mov_b32 v26, 0
	v_dual_mov_b32 v27, 0 :: v_dual_mov_b32 v28, 0
	;; [unrolled: 1-line block ×7, first 2 shown]
	s_mov_b32 s23, exec_lo
	s_wait_loadcnt 0x2
	v_cmp_ne_u16_e64 s7, 0, v39
	v_mov_b32_e32 v39, 0
	s_wait_xcnt 0x0
	v_cmpx_gt_u32_e64 s26, v40
	s_cbranch_execz .LBB14_47
; %bb.32:
	global_load_u8 v39, v[4:5], off offset:2048
	global_load_b32 v26, v[6:7], off offset:8192
	global_load_b32 v25, v[8:9], off offset:8192
	v_or_b32_e32 v40, 0x900, v0
	v_dual_mov_b32 v27, 0 :: v_dual_mov_b32 v28, 0
	v_dual_mov_b32 v29, 0 :: v_dual_mov_b32 v30, 0
	;; [unrolled: 1-line block ×6, first 2 shown]
	s_mov_b32 s29, exec_lo
	s_wait_loadcnt 0x2
	v_cmp_ne_u16_e64 s8, 0, v39
	v_mov_b32_e32 v39, 0
	s_wait_xcnt 0x0
	v_cmpx_gt_u32_e64 s26, v40
	s_cbranch_execz .LBB14_46
; %bb.33:
	global_load_u8 v39, v[4:5], off offset:2304
	global_load_b32 v28, v[6:7], off offset:9216
	global_load_b32 v27, v[8:9], off offset:9216
	v_or_b32_e32 v40, 0xa00, v0
	v_dual_mov_b32 v29, 0 :: v_dual_mov_b32 v30, 0
	v_dual_mov_b32 v31, 0 :: v_dual_mov_b32 v32, 0
	;; [unrolled: 1-line block ×5, first 2 shown]
	s_mov_b32 s30, exec_lo
	s_wait_loadcnt 0x2
	v_cmp_ne_u16_e64 s9, 0, v39
	v_mov_b32_e32 v39, 0
	s_wait_xcnt 0x0
	v_cmpx_gt_u32_e64 s26, v40
	s_cbranch_execz .LBB14_45
; %bb.34:
	global_load_u8 v39, v[4:5], off offset:2560
	global_load_b32 v30, v[6:7], off offset:10240
	global_load_b32 v29, v[8:9], off offset:10240
	v_or_b32_e32 v40, 0xb00, v0
	v_dual_mov_b32 v31, 0 :: v_dual_mov_b32 v32, 0
	v_dual_mov_b32 v33, 0 :: v_dual_mov_b32 v34, 0
	;; [unrolled: 1-line block ×4, first 2 shown]
	s_mov_b32 s31, exec_lo
	s_wait_loadcnt 0x2
	v_cmp_ne_u16_e64 s10, 0, v39
	v_mov_b32_e32 v39, 0
	s_wait_xcnt 0x0
	v_cmpx_gt_u32_e64 s26, v40
	s_cbranch_execz .LBB14_44
; %bb.35:
	global_load_u8 v39, v[4:5], off offset:2816
	global_load_b32 v32, v[6:7], off offset:11264
	global_load_b32 v31, v[8:9], off offset:11264
	v_or_b32_e32 v40, 0xc00, v0
	v_dual_mov_b32 v33, 0 :: v_dual_mov_b32 v34, 0
	v_dual_mov_b32 v35, 0 :: v_dual_mov_b32 v36, 0
	;; [unrolled: 1-line block ×3, first 2 shown]
	s_mov_b32 s33, exec_lo
	s_wait_loadcnt 0x2
	v_cmp_ne_u16_e64 s11, 0, v39
	v_mov_b32_e32 v39, 0
	s_wait_xcnt 0x0
	v_cmpx_gt_u32_e64 s26, v40
	s_cbranch_execz .LBB14_43
; %bb.36:
	global_load_u8 v39, v[4:5], off offset:3072
	global_load_b32 v34, v[6:7], off offset:12288
	global_load_b32 v33, v[8:9], off offset:12288
	v_or_b32_e32 v40, 0xd00, v0
	v_dual_mov_b32 v35, 0 :: v_dual_mov_b32 v36, 0
	v_dual_mov_b32 v37, 0 :: v_dual_mov_b32 v38, 0
	s_mov_b32 s35, 0
	s_mov_b32 s34, exec_lo
	s_wait_loadcnt 0x2
	v_cmp_ne_u16_e64 s12, 0, v39
	v_mov_b32_e32 v39, 0
	s_wait_xcnt 0x0
	v_cmpx_gt_u32_e64 s26, v40
	s_cbranch_execz .LBB14_42
; %bb.37:
	global_load_u8 v39, v[4:5], off offset:3328
	global_load_b32 v36, v[6:7], off offset:13312
	global_load_b32 v35, v[8:9], off offset:13312
	v_or_b32_e32 v40, 0xe00, v0
	v_dual_mov_b32 v37, 0 :: v_dual_mov_b32 v38, 0
	s_mov_b32 s35, exec_lo
	s_wait_loadcnt 0x2
	v_cmp_ne_u16_e64 s13, 0, v39
	v_mov_b32_e32 v39, 0
	s_wait_xcnt 0x0
	v_cmpx_gt_u32_e64 s26, v40
	s_cbranch_execz .LBB14_41
; %bb.38:
	global_load_u8 v39, v[4:5], off offset:3584
	global_load_b32 v38, v[6:7], off offset:14336
	global_load_b32 v37, v[8:9], off offset:14336
	v_or_b32_e32 v40, 0xf00, v0
	s_mov_b32 s36, exec_lo
	s_wait_loadcnt 0x2
	v_cmp_ne_u16_e64 s14, 0, v39
	v_mov_b32_e32 v39, 0
	s_wait_xcnt 0x0
	v_cmpx_gt_u32_e64 s26, v40
	s_cbranch_execz .LBB14_40
; %bb.39:
	global_load_u8 v39, v[4:5], off offset:3840
	global_load_b32 v40, v[6:7], off offset:15360
	global_load_b32 v41, v[8:9], off offset:15360
	s_wait_loadcnt 0x2
	v_cmp_eq_u16_e64 s15, 0, v39
	s_wait_loadcnt 0x0
	s_delay_alu instid0(VALU_DEP_1)
	v_cndmask_b32_e64 v39, v40, v41, s15
.LBB14_40:
	s_wait_xcnt 0x0
	s_or_b32 exec_lo, exec_lo, s36
	s_delay_alu instid0(SALU_CYCLE_1)
	s_and_b32 s15, s14, exec_lo
.LBB14_41:
	s_or_b32 exec_lo, exec_lo, s35
	s_delay_alu instid0(SALU_CYCLE_1)
	s_and_b32 s14, s13, exec_lo
	s_and_b32 s35, s15, exec_lo
.LBB14_42:
	s_or_b32 exec_lo, exec_lo, s34
	s_delay_alu instid0(SALU_CYCLE_1)
	s_and_b32 s15, s12, exec_lo
	s_and_b32 s14, s14, exec_lo
	;; [unrolled: 1-line block ×3, first 2 shown]
.LBB14_43:
	s_or_b32 exec_lo, exec_lo, s33
	s_delay_alu instid0(SALU_CYCLE_1)
	s_and_b32 s33, s11, exec_lo
	s_and_b32 s15, s15, exec_lo
	;; [unrolled: 1-line block ×4, first 2 shown]
.LBB14_44:
	s_or_b32 exec_lo, exec_lo, s31
	s_delay_alu instid0(SALU_CYCLE_1)
	s_and_b32 s14, s10, exec_lo
	s_and_b32 s33, s33, exec_lo
	;; [unrolled: 1-line block ×5, first 2 shown]
.LBB14_45:
	s_or_b32 exec_lo, exec_lo, s30
	s_delay_alu instid0(SALU_CYCLE_1)
	s_and_b32 s15, s9, exec_lo
	s_and_b32 s14, s14, exec_lo
	;; [unrolled: 1-line block ×6, first 2 shown]
.LBB14_46:
	s_or_b32 exec_lo, exec_lo, s29
	s_delay_alu instid0(SALU_CYCLE_1)
	s_and_b32 s30, s8, exec_lo
	s_and_b32 s15, s15, exec_lo
	;; [unrolled: 1-line block ×7, first 2 shown]
.LBB14_47:
	s_or_b32 exec_lo, exec_lo, s23
	s_delay_alu instid0(SALU_CYCLE_1)
	s_and_b32 s29, s7, exec_lo
	s_and_b32 s23, s30, exec_lo
	s_and_b32 s15, s15, exec_lo
	s_and_b32 s11, s14, exec_lo
	s_and_b32 s10, s10, exec_lo
	s_and_b32 s13, s13, exec_lo
	s_and_b32 s9, s9, exec_lo
	s_and_b32 s8, s12, exec_lo
.LBB14_48:
	s_or_b32 exec_lo, exec_lo, s22
	s_delay_alu instid0(SALU_CYCLE_1)
	s_and_b32 s14, s6, exec_lo
	s_and_b32 s22, s29, exec_lo
	;; [unrolled: 1-line block ×9, first 2 shown]
.LBB14_49:
	s_or_b32 exec_lo, exec_lo, s21
	s_delay_alu instid0(SALU_CYCLE_1)
	s_and_b32 s15, s5, exec_lo
	s_and_b32 s14, s14, exec_lo
	;; [unrolled: 1-line block ×10, first 2 shown]
.LBB14_50:
	s_or_b32 exec_lo, exec_lo, s20
	s_delay_alu instid0(SALU_CYCLE_1)
	s_and_b32 s20, s4, exec_lo
	s_and_b32 s15, s15, exec_lo
	;; [unrolled: 1-line block ×11, first 2 shown]
.LBB14_51:
	s_or_b32 exec_lo, exec_lo, s19
	s_delay_alu instid0(SALU_CYCLE_1)
	s_and_b32 s21, s3, exec_lo
	s_and_b32 s20, s20, exec_lo
	;; [unrolled: 1-line block ×12, first 2 shown]
.LBB14_52:
	s_or_b32 exec_lo, exec_lo, s18
	s_wait_loadcnt 0x0
	v_dual_mov_b32 v4, v3 :: v_dual_mov_b32 v3, v2
	s_and_b32 s15, s2, exec_lo
	s_and_b32 s33, s21, exec_lo
	;; [unrolled: 1-line block ×13, first 2 shown]
.LBB14_53:
	s_or_b32 exec_lo, exec_lo, s28
	s_delay_alu instid0(SALU_CYCLE_1)
	s_and_b32 s14, s1, exec_lo
	s_and_b32 s15, s15, exec_lo
	;; [unrolled: 1-line block ×14, first 2 shown]
.LBB14_54:
	s_or_b32 exec_lo, exec_lo, s27
	s_delay_alu instid0(SALU_CYCLE_1)
	s_and_b32 s2, s2, exec_lo
	s_and_b32 s4, s13, exec_lo
	s_and_b32 s1, s12, exec_lo
	s_and_b32 s3, s3, exec_lo
	s_and_b32 s5, s5, exec_lo
	s_and_b32 s6, s6, exec_lo
	s_and_b32 s7, s7, exec_lo
	s_and_b32 s8, s8, exec_lo
	s_and_b32 s9, s9, exec_lo
	s_and_b32 s10, s10, exec_lo
	s_and_b32 s11, s11, exec_lo
	s_and_b32 s12, s28, exec_lo
	s_and_b32 s13, s15, exec_lo
	s_and_b32 s14, s14, exec_lo
	s_and_b32 s0, s0, exec_lo
	s_or_b32 exec_lo, exec_lo, s25
	s_and_saveexec_b32 s15, vcc_lo
	s_cbranch_execz .LBB14_7
.LBB14_55:
	s_wait_loadcnt 0x0
	v_cndmask_b32_e64 v2, v13, v12, s0
	v_mov_b32_e32 v0, v1
	global_store_b32 v10, v2, s[16:17] scale_offset
	s_wait_xcnt 0x0
	s_or_b32 exec_lo, exec_lo, s15
	s_delay_alu instid0(SALU_CYCLE_1)
	s_mov_b32 s0, exec_lo
	v_cmpx_gt_i32_e64 s26, v0
	s_cbranch_execz .LBB14_8
.LBB14_56:
	s_wait_loadcnt 0x0
	v_dual_cndmask_b32 v1, v11, v14, s14 :: v_dual_add_nc_u32 v2, s24, v0
	v_add_nc_u32_e32 v0, 0x100, v0
	global_store_b32 v2, v1, s[16:17] scale_offset
	s_wait_xcnt 0x0
	s_or_b32 exec_lo, exec_lo, s0
	s_delay_alu instid0(SALU_CYCLE_1)
	s_mov_b32 s0, exec_lo
	v_cmpx_gt_i32_e64 s26, v0
	s_cbranch_execz .LBB14_9
.LBB14_57:
	v_dual_cndmask_b32 v1, v3, v15, s13 :: v_dual_add_nc_u32 v2, s24, v0
	v_add_nc_u32_e32 v0, 0x100, v0
	global_store_b32 v2, v1, s[16:17] scale_offset
	s_wait_xcnt 0x0
	s_or_b32 exec_lo, exec_lo, s0
	s_delay_alu instid0(SALU_CYCLE_1)
	s_mov_b32 s0, exec_lo
	v_cmpx_gt_i32_e64 s26, v0
	s_cbranch_execz .LBB14_10
.LBB14_58:
	v_dual_cndmask_b32 v1, v4, v17, s12 :: v_dual_add_nc_u32 v2, s24, v0
	v_add_nc_u32_e32 v0, 0x100, v0
	global_store_b32 v2, v1, s[16:17] scale_offset
	s_wait_xcnt 0x0
	s_or_b32 exec_lo, exec_lo, s0
	s_delay_alu instid0(SALU_CYCLE_1)
	s_mov_b32 s0, exec_lo
	v_cmpx_gt_i32_e64 s26, v0
	s_cbranch_execz .LBB14_11
.LBB14_59:
	v_dual_cndmask_b32 v1, v16, v19, s11 :: v_dual_add_nc_u32 v2, s24, v0
	v_add_nc_u32_e32 v0, 0x100, v0
	global_store_b32 v2, v1, s[16:17] scale_offset
	s_wait_xcnt 0x0
	s_or_b32 exec_lo, exec_lo, s0
	s_delay_alu instid0(SALU_CYCLE_1)
	s_mov_b32 s0, exec_lo
	v_cmpx_gt_i32_e64 s26, v0
	s_cbranch_execz .LBB14_12
.LBB14_60:
	v_dual_cndmask_b32 v1, v18, v21, s10 :: v_dual_add_nc_u32 v2, s24, v0
	v_add_nc_u32_e32 v0, 0x100, v0
	global_store_b32 v2, v1, s[16:17] scale_offset
	s_wait_xcnt 0x0
	s_or_b32 exec_lo, exec_lo, s0
	s_delay_alu instid0(SALU_CYCLE_1)
	s_mov_b32 s0, exec_lo
	v_cmpx_gt_i32_e64 s26, v0
	s_cbranch_execz .LBB14_13
.LBB14_61:
	v_dual_cndmask_b32 v1, v20, v23, s9 :: v_dual_add_nc_u32 v2, s24, v0
	v_add_nc_u32_e32 v0, 0x100, v0
	global_store_b32 v2, v1, s[16:17] scale_offset
	s_wait_xcnt 0x0
	s_or_b32 exec_lo, exec_lo, s0
	s_delay_alu instid0(SALU_CYCLE_1)
	s_mov_b32 s0, exec_lo
	v_cmpx_gt_i32_e64 s26, v0
	s_cbranch_execz .LBB14_14
.LBB14_62:
	v_cndmask_b32_e64 v1, v22, v24, s8
	v_add_nc_u32_e32 v2, s24, v0
	v_add_nc_u32_e32 v0, 0x100, v0
	global_store_b32 v2, v1, s[16:17] scale_offset
	s_wait_xcnt 0x0
	s_or_b32 exec_lo, exec_lo, s0
	s_delay_alu instid0(SALU_CYCLE_1)
	s_mov_b32 s0, exec_lo
	v_cmpx_gt_i32_e64 s26, v0
	s_cbranch_execz .LBB14_15
.LBB14_63:
	v_dual_cndmask_b32 v1, v25, v26, s7 :: v_dual_add_nc_u32 v2, s24, v0
	v_add_nc_u32_e32 v0, 0x100, v0
	global_store_b32 v2, v1, s[16:17] scale_offset
	s_wait_xcnt 0x0
	s_or_b32 exec_lo, exec_lo, s0
	s_delay_alu instid0(SALU_CYCLE_1)
	s_mov_b32 s0, exec_lo
	v_cmpx_gt_i32_e64 s26, v0
	s_cbranch_execz .LBB14_16
.LBB14_64:
	v_cndmask_b32_e64 v1, v27, v28, s6
	v_add_nc_u32_e32 v2, s24, v0
	v_add_nc_u32_e32 v0, 0x100, v0
	global_store_b32 v2, v1, s[16:17] scale_offset
	s_wait_xcnt 0x0
	s_or_b32 exec_lo, exec_lo, s0
	s_delay_alu instid0(SALU_CYCLE_1)
	s_mov_b32 s0, exec_lo
	v_cmpx_gt_i32_e64 s26, v0
	s_cbranch_execz .LBB14_17
.LBB14_65:
	v_dual_cndmask_b32 v1, v29, v30, s5 :: v_dual_add_nc_u32 v2, s24, v0
	v_add_nc_u32_e32 v0, 0x100, v0
	global_store_b32 v2, v1, s[16:17] scale_offset
	s_wait_xcnt 0x0
	s_or_b32 exec_lo, exec_lo, s0
	s_delay_alu instid0(SALU_CYCLE_1)
	s_mov_b32 s0, exec_lo
	v_cmpx_gt_i32_e64 s26, v0
	s_cbranch_execz .LBB14_18
.LBB14_66:
	v_cndmask_b32_e64 v1, v31, v32, s3
	v_add_nc_u32_e32 v2, s24, v0
	v_add_nc_u32_e32 v0, 0x100, v0
	global_store_b32 v2, v1, s[16:17] scale_offset
	s_wait_xcnt 0x0
	s_or_b32 exec_lo, exec_lo, s0
	s_delay_alu instid0(SALU_CYCLE_1)
	s_mov_b32 s0, exec_lo
	v_cmpx_gt_i32_e64 s26, v0
	s_cbranch_execz .LBB14_19
.LBB14_67:
	v_dual_cndmask_b32 v1, v33, v34, s1 :: v_dual_add_nc_u32 v2, s24, v0
	v_add_nc_u32_e32 v0, 0x100, v0
	global_store_b32 v2, v1, s[16:17] scale_offset
	s_wait_xcnt 0x0
	s_or_b32 exec_lo, exec_lo, s0
	s_delay_alu instid0(SALU_CYCLE_1)
	s_mov_b32 s0, exec_lo
	v_cmpx_gt_i32_e64 s26, v0
	s_cbranch_execz .LBB14_20
.LBB14_68:
	v_cndmask_b32_e64 v1, v35, v36, s4
	v_add_nc_u32_e32 v2, s24, v0
	v_add_nc_u32_e32 v0, 0x100, v0
	global_store_b32 v2, v1, s[16:17] scale_offset
	s_wait_xcnt 0x0
	s_or_b32 exec_lo, exec_lo, s0
	s_delay_alu instid0(SALU_CYCLE_1)
	s_mov_b32 s0, exec_lo
	v_cmpx_gt_i32_e64 s26, v0
	s_cbranch_execz .LBB14_21
.LBB14_69:
	v_dual_cndmask_b32 v1, v37, v38, s2 :: v_dual_add_nc_u32 v2, s24, v0
	v_add_nc_u32_e32 v0, 0x100, v0
	global_store_b32 v2, v1, s[16:17] scale_offset
	s_wait_xcnt 0x0
	s_or_b32 exec_lo, exec_lo, s0
	s_delay_alu instid0(SALU_CYCLE_1)
	s_mov_b32 s0, exec_lo
	v_cmpx_gt_i32_e64 s26, v0
	s_cbranch_execnz .LBB14_22
	s_branch .LBB14_23
	.section	.rodata,"a",@progbits
	.p2align	6, 0x0
	.amdhsa_kernel _ZN2at6native29vectorized_elementwise_kernelILi16EZZZNS0_12_GLOBAL__N_117where_kernel_implERNS_14TensorIteratorEENKUlvE_clEvENKUlvE1_clEvEUlbjjE_St5arrayIPcLm4EEEEviT0_T1_
		.amdhsa_group_segment_fixed_size 0
		.amdhsa_private_segment_fixed_size 0
		.amdhsa_kernarg_size 40
		.amdhsa_user_sgpr_count 2
		.amdhsa_user_sgpr_dispatch_ptr 0
		.amdhsa_user_sgpr_queue_ptr 0
		.amdhsa_user_sgpr_kernarg_segment_ptr 1
		.amdhsa_user_sgpr_dispatch_id 0
		.amdhsa_user_sgpr_kernarg_preload_length 0
		.amdhsa_user_sgpr_kernarg_preload_offset 0
		.amdhsa_user_sgpr_private_segment_size 0
		.amdhsa_wavefront_size32 1
		.amdhsa_uses_dynamic_stack 0
		.amdhsa_enable_private_segment 0
		.amdhsa_system_sgpr_workgroup_id_x 1
		.amdhsa_system_sgpr_workgroup_id_y 0
		.amdhsa_system_sgpr_workgroup_id_z 0
		.amdhsa_system_sgpr_workgroup_info 0
		.amdhsa_system_vgpr_workitem_id 0
		.amdhsa_next_free_vgpr 54
		.amdhsa_next_free_sgpr 37
		.amdhsa_named_barrier_count 0
		.amdhsa_reserve_vcc 1
		.amdhsa_float_round_mode_32 0
		.amdhsa_float_round_mode_16_64 0
		.amdhsa_float_denorm_mode_32 3
		.amdhsa_float_denorm_mode_16_64 3
		.amdhsa_fp16_overflow 0
		.amdhsa_memory_ordered 1
		.amdhsa_forward_progress 1
		.amdhsa_inst_pref_size 40
		.amdhsa_round_robin_scheduling 0
		.amdhsa_exception_fp_ieee_invalid_op 0
		.amdhsa_exception_fp_denorm_src 0
		.amdhsa_exception_fp_ieee_div_zero 0
		.amdhsa_exception_fp_ieee_overflow 0
		.amdhsa_exception_fp_ieee_underflow 0
		.amdhsa_exception_fp_ieee_inexact 0
		.amdhsa_exception_int_div_zero 0
	.end_amdhsa_kernel
	.section	.text._ZN2at6native29vectorized_elementwise_kernelILi16EZZZNS0_12_GLOBAL__N_117where_kernel_implERNS_14TensorIteratorEENKUlvE_clEvENKUlvE1_clEvEUlbjjE_St5arrayIPcLm4EEEEviT0_T1_,"axG",@progbits,_ZN2at6native29vectorized_elementwise_kernelILi16EZZZNS0_12_GLOBAL__N_117where_kernel_implERNS_14TensorIteratorEENKUlvE_clEvENKUlvE1_clEvEUlbjjE_St5arrayIPcLm4EEEEviT0_T1_,comdat
.Lfunc_end14:
	.size	_ZN2at6native29vectorized_elementwise_kernelILi16EZZZNS0_12_GLOBAL__N_117where_kernel_implERNS_14TensorIteratorEENKUlvE_clEvENKUlvE1_clEvEUlbjjE_St5arrayIPcLm4EEEEviT0_T1_, .Lfunc_end14-_ZN2at6native29vectorized_elementwise_kernelILi16EZZZNS0_12_GLOBAL__N_117where_kernel_implERNS_14TensorIteratorEENKUlvE_clEvENKUlvE1_clEvEUlbjjE_St5arrayIPcLm4EEEEviT0_T1_
                                        ; -- End function
	.set _ZN2at6native29vectorized_elementwise_kernelILi16EZZZNS0_12_GLOBAL__N_117where_kernel_implERNS_14TensorIteratorEENKUlvE_clEvENKUlvE1_clEvEUlbjjE_St5arrayIPcLm4EEEEviT0_T1_.num_vgpr, 54
	.set _ZN2at6native29vectorized_elementwise_kernelILi16EZZZNS0_12_GLOBAL__N_117where_kernel_implERNS_14TensorIteratorEENKUlvE_clEvENKUlvE1_clEvEUlbjjE_St5arrayIPcLm4EEEEviT0_T1_.num_agpr, 0
	.set _ZN2at6native29vectorized_elementwise_kernelILi16EZZZNS0_12_GLOBAL__N_117where_kernel_implERNS_14TensorIteratorEENKUlvE_clEvENKUlvE1_clEvEUlbjjE_St5arrayIPcLm4EEEEviT0_T1_.numbered_sgpr, 37
	.set _ZN2at6native29vectorized_elementwise_kernelILi16EZZZNS0_12_GLOBAL__N_117where_kernel_implERNS_14TensorIteratorEENKUlvE_clEvENKUlvE1_clEvEUlbjjE_St5arrayIPcLm4EEEEviT0_T1_.num_named_barrier, 0
	.set _ZN2at6native29vectorized_elementwise_kernelILi16EZZZNS0_12_GLOBAL__N_117where_kernel_implERNS_14TensorIteratorEENKUlvE_clEvENKUlvE1_clEvEUlbjjE_St5arrayIPcLm4EEEEviT0_T1_.private_seg_size, 0
	.set _ZN2at6native29vectorized_elementwise_kernelILi16EZZZNS0_12_GLOBAL__N_117where_kernel_implERNS_14TensorIteratorEENKUlvE_clEvENKUlvE1_clEvEUlbjjE_St5arrayIPcLm4EEEEviT0_T1_.uses_vcc, 1
	.set _ZN2at6native29vectorized_elementwise_kernelILi16EZZZNS0_12_GLOBAL__N_117where_kernel_implERNS_14TensorIteratorEENKUlvE_clEvENKUlvE1_clEvEUlbjjE_St5arrayIPcLm4EEEEviT0_T1_.uses_flat_scratch, 0
	.set _ZN2at6native29vectorized_elementwise_kernelILi16EZZZNS0_12_GLOBAL__N_117where_kernel_implERNS_14TensorIteratorEENKUlvE_clEvENKUlvE1_clEvEUlbjjE_St5arrayIPcLm4EEEEviT0_T1_.has_dyn_sized_stack, 0
	.set _ZN2at6native29vectorized_elementwise_kernelILi16EZZZNS0_12_GLOBAL__N_117where_kernel_implERNS_14TensorIteratorEENKUlvE_clEvENKUlvE1_clEvEUlbjjE_St5arrayIPcLm4EEEEviT0_T1_.has_recursion, 0
	.set _ZN2at6native29vectorized_elementwise_kernelILi16EZZZNS0_12_GLOBAL__N_117where_kernel_implERNS_14TensorIteratorEENKUlvE_clEvENKUlvE1_clEvEUlbjjE_St5arrayIPcLm4EEEEviT0_T1_.has_indirect_call, 0
	.section	.AMDGPU.csdata,"",@progbits
; Kernel info:
; codeLenInByte = 5000
; TotalNumSgprs: 39
; NumVgprs: 54
; ScratchSize: 0
; MemoryBound: 0
; FloatMode: 240
; IeeeMode: 1
; LDSByteSize: 0 bytes/workgroup (compile time only)
; SGPRBlocks: 0
; VGPRBlocks: 3
; NumSGPRsForWavesPerEU: 39
; NumVGPRsForWavesPerEU: 54
; NamedBarCnt: 0
; Occupancy: 16
; WaveLimiterHint : 0
; COMPUTE_PGM_RSRC2:SCRATCH_EN: 0
; COMPUTE_PGM_RSRC2:USER_SGPR: 2
; COMPUTE_PGM_RSRC2:TRAP_HANDLER: 0
; COMPUTE_PGM_RSRC2:TGID_X_EN: 1
; COMPUTE_PGM_RSRC2:TGID_Y_EN: 0
; COMPUTE_PGM_RSRC2:TGID_Z_EN: 0
; COMPUTE_PGM_RSRC2:TIDIG_COMP_CNT: 0
	.section	.text._ZN2at6native29vectorized_elementwise_kernelILi8EZZZNS0_12_GLOBAL__N_117where_kernel_implERNS_14TensorIteratorEENKUlvE_clEvENKUlvE1_clEvEUlbjjE_St5arrayIPcLm4EEEEviT0_T1_,"axG",@progbits,_ZN2at6native29vectorized_elementwise_kernelILi8EZZZNS0_12_GLOBAL__N_117where_kernel_implERNS_14TensorIteratorEENKUlvE_clEvENKUlvE1_clEvEUlbjjE_St5arrayIPcLm4EEEEviT0_T1_,comdat
	.globl	_ZN2at6native29vectorized_elementwise_kernelILi8EZZZNS0_12_GLOBAL__N_117where_kernel_implERNS_14TensorIteratorEENKUlvE_clEvENKUlvE1_clEvEUlbjjE_St5arrayIPcLm4EEEEviT0_T1_ ; -- Begin function _ZN2at6native29vectorized_elementwise_kernelILi8EZZZNS0_12_GLOBAL__N_117where_kernel_implERNS_14TensorIteratorEENKUlvE_clEvENKUlvE1_clEvEUlbjjE_St5arrayIPcLm4EEEEviT0_T1_
	.p2align	8
	.type	_ZN2at6native29vectorized_elementwise_kernelILi8EZZZNS0_12_GLOBAL__N_117where_kernel_implERNS_14TensorIteratorEENKUlvE_clEvENKUlvE1_clEvEUlbjjE_St5arrayIPcLm4EEEEviT0_T1_,@function
_ZN2at6native29vectorized_elementwise_kernelILi8EZZZNS0_12_GLOBAL__N_117where_kernel_implERNS_14TensorIteratorEENKUlvE_clEvENKUlvE1_clEvEUlbjjE_St5arrayIPcLm4EEEEviT0_T1_: ; @_ZN2at6native29vectorized_elementwise_kernelILi8EZZZNS0_12_GLOBAL__N_117where_kernel_implERNS_14TensorIteratorEENKUlvE_clEvENKUlvE1_clEvEUlbjjE_St5arrayIPcLm4EEEEviT0_T1_
; %bb.0:
	s_clause 0x1
	s_load_b32 s2, s[0:1], 0x0
	s_load_b256 s[16:23], s[0:1], 0x8
	s_wait_xcnt 0x0
	s_bfe_u32 s0, ttmp6, 0x4000c
	s_and_b32 s1, ttmp6, 15
	s_add_co_i32 s0, s0, 1
	s_getreg_b32 s3, hwreg(HW_REG_IB_STS2, 6, 4)
	s_mul_i32 s0, ttmp9, s0
	s_delay_alu instid0(SALU_CYCLE_1) | instskip(SKIP_2) | instid1(SALU_CYCLE_1)
	s_add_co_i32 s1, s1, s0
	s_cmp_eq_u32 s3, 0
	s_cselect_b32 s0, ttmp9, s1
	s_lshl_b32 s24, s0, 12
	s_mov_b32 s0, -1
	s_wait_kmcnt 0x0
	s_sub_co_i32 s26, s2, s24
	s_delay_alu instid0(SALU_CYCLE_1)
	s_cmp_gt_i32 s26, 0xfff
	s_cbranch_scc0 .LBB15_2
; %bb.1:
	s_ashr_i32 s25, s24, 31
	s_delay_alu instid0(SALU_CYCLE_1)
	s_add_nc_u64 s[0:1], s[18:19], s[24:25]
	s_clause 0x1
	global_load_b64 v[34:35], v0, s[0:1] scale_offset
	global_load_b64 v[36:37], v0, s[0:1] offset:2048 scale_offset
	s_wait_xcnt 0x0
	s_lshl_b64 s[0:1], s[24:25], 2
	s_delay_alu instid0(SALU_CYCLE_1)
	s_add_nc_u64 s[2:3], s[22:23], s[0:1]
	s_add_nc_u64 s[4:5], s[20:21], s[0:1]
	s_wait_loadcnt 0x1
	v_cmp_lt_u32_e32 vcc_lo, 0xffffff, v34
	v_lshlrev_b32_e32 v1, 5, v0
	v_and_b32_e32 v42, 0xff00, v34
	v_and_b32_e32 v43, 0xff, v34
	;; [unrolled: 1-line block ×3, first 2 shown]
	s_clause 0x7
	global_load_b128 v[2:5], v1, s[2:3]
	global_load_b128 v[6:9], v1, s[4:5]
	global_load_b128 v[10:13], v1, s[4:5] offset:16
	global_load_b128 v[14:17], v1, s[2:3] offset:16
	;; [unrolled: 1-line block ×6, first 2 shown]
	s_wait_xcnt 0x0
	s_add_nc_u64 s[2:3], s[16:17], s[0:1]
	v_cmp_eq_u32_e64 s0, 0, v42
	v_and_b32_e32 v44, 0xff00, v35
	s_wait_loadcnt 0x8
	v_cmp_lt_u32_e64 s1, 0xffffff, v37
	v_and_b32_e32 v45, 0xff, v35
	v_and_b32_e32 v39, 0xff0000, v35
	;; [unrolled: 1-line block ×8, first 2 shown]
	s_wait_loadcnt 0x6
	v_cndmask_b32_e32 v5, v5, v9, vcc_lo
	v_cmp_lt_u32_e32 vcc_lo, 0xffffff, v35
	v_cndmask_b32_e64 v3, v7, v3, s0
	s_mov_b32 s0, 0
	s_wait_loadcnt 0x4
	v_cndmask_b32_e32 v9, v17, v13, vcc_lo
	v_cmp_lt_u32_e32 vcc_lo, 0xffffff, v36
	s_wait_loadcnt 0x2
	v_cndmask_b32_e32 v13, v21, v25, vcc_lo
	v_cmp_eq_u32_e32 vcc_lo, 0, v43
	v_cndmask_b32_e32 v2, v6, v2, vcc_lo
	v_cmp_eq_u32_e32 vcc_lo, 0, v38
	s_wait_loadcnt 0x0
	v_dual_cndmask_b32 v17, v33, v29, s1 :: v_dual_cndmask_b32 v4, v8, v4, vcc_lo
	v_cmp_eq_u32_e32 vcc_lo, 0, v44
	v_cndmask_b32_e32 v7, v11, v15, vcc_lo
	v_cmp_eq_u32_e32 vcc_lo, 0, v45
	v_cndmask_b32_e32 v6, v10, v14, vcc_lo
	;; [unrolled: 2-line block ×9, first 2 shown]
	s_clause 0x3
	global_store_b128 v1, v[2:5], s[2:3]
	global_store_b128 v1, v[6:9], s[2:3] offset:16
	global_store_b128 v1, v[10:13], s[2:3] offset:8192
	global_store_b128 v1, v[14:17], s[2:3] offset:8208
.LBB15_2:
	s_and_not1_b32 vcc_lo, exec_lo, s0
	s_cbranch_vccnz .LBB15_23
; %bb.3:
	v_cmp_le_i32_e64 s0, s26, v0
	s_wait_xcnt 0x0
	v_or_b32_e32 v1, 0x100, v0
	v_cmp_gt_i32_e32 vcc_lo, s26, v0
	s_and_saveexec_b32 s1, s0
	s_delay_alu instid0(SALU_CYCLE_1)
	s_xor_b32 s0, exec_lo, s1
; %bb.4:
	v_or_b32_e32 v1, 0x100, v0
; %bb.5:
	s_or_saveexec_b32 s25, s0
	v_dual_mov_b32 v39, 0 :: v_dual_bitop2_b32 v10, s24, v0 bitop3:0x54
	v_dual_mov_b32 v38, 0 :: v_dual_mov_b32 v37, 0
	v_dual_mov_b32 v36, 0 :: v_dual_mov_b32 v35, 0
	;; [unrolled: 1-line block ×15, first 2 shown]
	s_mov_b32 s0, 0
	s_mov_b32 s14, 0
	;; [unrolled: 1-line block ×15, first 2 shown]
	s_xor_b32 exec_lo, exec_lo, s25
	s_cbranch_execnz .LBB15_24
; %bb.6:
	s_or_b32 exec_lo, exec_lo, s25
	s_and_saveexec_b32 s15, vcc_lo
	s_cbranch_execnz .LBB15_55
.LBB15_7:
	s_or_b32 exec_lo, exec_lo, s15
	s_delay_alu instid0(SALU_CYCLE_1)
	s_mov_b32 s0, exec_lo
	v_cmpx_gt_i32_e64 s26, v0
	s_cbranch_execnz .LBB15_56
.LBB15_8:
	s_or_b32 exec_lo, exec_lo, s0
	s_delay_alu instid0(SALU_CYCLE_1)
	s_mov_b32 s0, exec_lo
	v_cmpx_gt_i32_e64 s26, v0
	s_cbranch_execnz .LBB15_57
.LBB15_9:
	s_or_b32 exec_lo, exec_lo, s0
	s_delay_alu instid0(SALU_CYCLE_1)
	s_mov_b32 s0, exec_lo
	v_cmpx_gt_i32_e64 s26, v0
	s_cbranch_execnz .LBB15_58
.LBB15_10:
	s_or_b32 exec_lo, exec_lo, s0
	s_delay_alu instid0(SALU_CYCLE_1)
	s_mov_b32 s0, exec_lo
	v_cmpx_gt_i32_e64 s26, v0
	s_cbranch_execnz .LBB15_59
.LBB15_11:
	s_or_b32 exec_lo, exec_lo, s0
	s_delay_alu instid0(SALU_CYCLE_1)
	s_mov_b32 s0, exec_lo
	v_cmpx_gt_i32_e64 s26, v0
	s_cbranch_execnz .LBB15_60
.LBB15_12:
	s_or_b32 exec_lo, exec_lo, s0
	s_delay_alu instid0(SALU_CYCLE_1)
	s_mov_b32 s0, exec_lo
	v_cmpx_gt_i32_e64 s26, v0
	s_cbranch_execnz .LBB15_61
.LBB15_13:
	s_or_b32 exec_lo, exec_lo, s0
	s_delay_alu instid0(SALU_CYCLE_1)
	s_mov_b32 s0, exec_lo
	v_cmpx_gt_i32_e64 s26, v0
	s_cbranch_execnz .LBB15_62
.LBB15_14:
	s_or_b32 exec_lo, exec_lo, s0
	s_delay_alu instid0(SALU_CYCLE_1)
	s_mov_b32 s0, exec_lo
	v_cmpx_gt_i32_e64 s26, v0
	s_cbranch_execnz .LBB15_63
.LBB15_15:
	s_or_b32 exec_lo, exec_lo, s0
	s_delay_alu instid0(SALU_CYCLE_1)
	s_mov_b32 s0, exec_lo
	v_cmpx_gt_i32_e64 s26, v0
	s_cbranch_execnz .LBB15_64
.LBB15_16:
	s_or_b32 exec_lo, exec_lo, s0
	s_delay_alu instid0(SALU_CYCLE_1)
	s_mov_b32 s0, exec_lo
	v_cmpx_gt_i32_e64 s26, v0
	s_cbranch_execnz .LBB15_65
.LBB15_17:
	s_or_b32 exec_lo, exec_lo, s0
	s_delay_alu instid0(SALU_CYCLE_1)
	s_mov_b32 s0, exec_lo
	v_cmpx_gt_i32_e64 s26, v0
	s_cbranch_execnz .LBB15_66
.LBB15_18:
	s_or_b32 exec_lo, exec_lo, s0
	s_delay_alu instid0(SALU_CYCLE_1)
	s_mov_b32 s0, exec_lo
	v_cmpx_gt_i32_e64 s26, v0
	s_cbranch_execnz .LBB15_67
.LBB15_19:
	s_or_b32 exec_lo, exec_lo, s0
	s_delay_alu instid0(SALU_CYCLE_1)
	s_mov_b32 s0, exec_lo
	v_cmpx_gt_i32_e64 s26, v0
	s_cbranch_execnz .LBB15_68
.LBB15_20:
	s_or_b32 exec_lo, exec_lo, s0
	s_delay_alu instid0(SALU_CYCLE_1)
	s_mov_b32 s0, exec_lo
	v_cmpx_gt_i32_e64 s26, v0
	s_cbranch_execnz .LBB15_69
.LBB15_21:
	s_or_b32 exec_lo, exec_lo, s0
	s_delay_alu instid0(SALU_CYCLE_1)
	s_mov_b32 s0, exec_lo
	v_cmpx_gt_i32_e64 s26, v0
	s_cbranch_execz .LBB15_23
.LBB15_22:
	v_add_nc_u32_e32 v0, s24, v0
	global_store_b32 v0, v39, s[16:17] scale_offset
.LBB15_23:
	s_endpgm
.LBB15_24:
	s_clause 0x2
	global_load_u8 v2, v10, s[18:19]
	global_load_b32 v12, v10, s[20:21] scale_offset
	global_load_b32 v13, v10, s[22:23] scale_offset
	v_cmp_gt_u32_e64 s1, s26, v1
	v_dual_mov_b32 v11, 0 :: v_dual_mov_b32 v14, 0
	v_dual_mov_b32 v3, 0 :: v_dual_mov_b32 v15, 0
	;; [unrolled: 1-line block ×14, first 2 shown]
	v_mov_b32_e32 v39, 0
	s_mov_b32 s28, 0
	s_mov_b32 s15, 0
	s_wait_loadcnt 0x2
	v_cmp_ne_u16_e64 s0, 0, v2
	s_wait_xcnt 0x0
	s_and_saveexec_b32 s27, s1
	s_cbranch_execz .LBB15_54
; %bb.25:
	v_dual_mov_b32 v3, 0 :: v_dual_add_nc_u32 v2, s24, v0
	v_or_b32_e32 v6, 0x200, v0
	v_dual_mov_b32 v15, 0 :: v_dual_mov_b32 v4, 0
	s_clause 0x2
	global_load_u8 v5, v2, s[18:19] offset:256
	global_load_b32 v14, v2, s[20:21] offset:1024 scale_offset
	global_load_b32 v11, v2, s[22:23] offset:1024 scale_offset
	v_dual_mov_b32 v17, 0 :: v_dual_mov_b32 v16, 0
	v_dual_mov_b32 v19, 0 :: v_dual_mov_b32 v18, 0
	;; [unrolled: 1-line block ×12, first 2 shown]
	s_mov_b32 s29, 0
	s_mov_b32 s30, 0
	;; [unrolled: 1-line block ×4, first 2 shown]
	s_mov_b32 s28, exec_lo
	s_wait_loadcnt 0x2
	v_cmp_ne_u16_e64 s1, 0, v5
	s_wait_xcnt 0x0
	v_cmpx_gt_u32_e64 s26, v6
	s_cbranch_execz .LBB15_53
; %bb.26:
	v_lshlrev_b64_e32 v[8:9], 2, v[2:3]
	v_add_nc_u64_e32 v[4:5], s[18:19], v[2:3]
	v_or_b32_e32 v38, 0x300, v0
	v_dual_mov_b32 v17, 0 :: v_dual_mov_b32 v16, 0
	v_dual_mov_b32 v19, 0 :: v_dual_mov_b32 v18, 0
	v_add_nc_u64_e32 v[6:7], s[20:21], v[8:9]
	v_add_nc_u64_e32 v[8:9], s[22:23], v[8:9]
	global_load_u8 v37, v[4:5], off offset:512
	v_dual_mov_b32 v21, 0 :: v_dual_mov_b32 v20, 0
	v_dual_mov_b32 v23, 0 :: v_dual_mov_b32 v22, 0
	global_load_b32 v15, v[6:7], off offset:2048
	global_load_b32 v2, v[8:9], off offset:2048
	v_dual_mov_b32 v24, 0 :: v_dual_mov_b32 v25, 0
	v_dual_mov_b32 v26, 0 :: v_dual_mov_b32 v27, 0
	;; [unrolled: 1-line block ×6, first 2 shown]
	v_mov_b32_e32 v36, 0
	v_cmp_gt_u32_e64 s3, s26, v38
	v_dual_mov_b32 v38, 0 :: v_dual_mov_b32 v39, 0
	s_mov_b32 s19, 0
	s_mov_b32 s20, 0
	;; [unrolled: 1-line block ×3, first 2 shown]
	s_wait_loadcnt 0x2
	v_cmp_ne_u16_e64 s2, 0, v37
	v_mov_b32_e32 v37, 0
	s_wait_xcnt 0x0
	s_and_saveexec_b32 s18, s3
	s_cbranch_execz .LBB15_52
; %bb.27:
	global_load_u8 v39, v[4:5], off offset:768
	global_load_b32 v17, v[6:7], off offset:3072
	global_load_b32 v3, v[8:9], off offset:3072
	v_or_b32_e32 v40, 0x400, v0
	v_dual_mov_b32 v16, 0 :: v_dual_mov_b32 v19, 0
	v_dual_mov_b32 v18, 0 :: v_dual_mov_b32 v21, 0
	;; [unrolled: 1-line block ×11, first 2 shown]
	s_mov_b32 s19, exec_lo
	s_wait_loadcnt 0x2
	v_cmp_ne_u16_e64 s3, 0, v39
	v_mov_b32_e32 v39, 0
	s_wait_xcnt 0x0
	v_cmpx_gt_u32_e64 s26, v40
	s_cbranch_execz .LBB15_51
; %bb.28:
	global_load_u8 v39, v[4:5], off offset:1024
	global_load_b32 v19, v[6:7], off offset:4096
	global_load_b32 v16, v[8:9], off offset:4096
	v_or_b32_e32 v40, 0x500, v0
	v_dual_mov_b32 v18, 0 :: v_dual_mov_b32 v21, 0
	v_dual_mov_b32 v20, 0 :: v_dual_mov_b32 v23, 0
	;; [unrolled: 1-line block ×10, first 2 shown]
	s_mov_b32 s20, exec_lo
	s_wait_loadcnt 0x2
	v_cmp_ne_u16_e64 s4, 0, v39
	v_mov_b32_e32 v39, 0
	s_wait_xcnt 0x0
	v_cmpx_gt_u32_e64 s26, v40
	s_cbranch_execz .LBB15_50
; %bb.29:
	global_load_u8 v39, v[4:5], off offset:1280
	global_load_b32 v21, v[6:7], off offset:5120
	global_load_b32 v18, v[8:9], off offset:5120
	v_or_b32_e32 v40, 0x600, v0
	v_dual_mov_b32 v20, 0 :: v_dual_mov_b32 v23, 0
	v_dual_mov_b32 v22, 0 :: v_dual_mov_b32 v24, 0
	;; [unrolled: 1-line block ×9, first 2 shown]
	s_mov_b32 s22, 0
	s_mov_b32 s21, exec_lo
	s_wait_loadcnt 0x2
	v_cmp_ne_u16_e64 s5, 0, v39
	v_mov_b32_e32 v39, 0
	s_wait_xcnt 0x0
	v_cmpx_gt_u32_e64 s26, v40
	s_cbranch_execz .LBB15_49
; %bb.30:
	global_load_u8 v39, v[4:5], off offset:1536
	global_load_b32 v23, v[6:7], off offset:6144
	global_load_b32 v20, v[8:9], off offset:6144
	v_or_b32_e32 v40, 0x700, v0
	v_dual_mov_b32 v22, 0 :: v_dual_mov_b32 v24, 0
	v_dual_mov_b32 v25, 0 :: v_dual_mov_b32 v26, 0
	;; [unrolled: 1-line block ×8, first 2 shown]
	s_mov_b32 s23, 0
	s_mov_b32 s22, exec_lo
	s_wait_loadcnt 0x2
	v_cmp_ne_u16_e64 s6, 0, v39
	v_mov_b32_e32 v39, 0
	s_wait_xcnt 0x0
	v_cmpx_gt_u32_e64 s26, v40
	s_cbranch_execz .LBB15_48
; %bb.31:
	global_load_u8 v39, v[4:5], off offset:1792
	global_load_b32 v24, v[6:7], off offset:7168
	global_load_b32 v22, v[8:9], off offset:7168
	v_or_b32_e32 v40, 0x800, v0
	v_dual_mov_b32 v25, 0 :: v_dual_mov_b32 v26, 0
	v_dual_mov_b32 v27, 0 :: v_dual_mov_b32 v28, 0
	;; [unrolled: 1-line block ×7, first 2 shown]
	s_mov_b32 s23, exec_lo
	s_wait_loadcnt 0x2
	v_cmp_ne_u16_e64 s7, 0, v39
	v_mov_b32_e32 v39, 0
	s_wait_xcnt 0x0
	v_cmpx_gt_u32_e64 s26, v40
	s_cbranch_execz .LBB15_47
; %bb.32:
	global_load_u8 v39, v[4:5], off offset:2048
	global_load_b32 v26, v[6:7], off offset:8192
	global_load_b32 v25, v[8:9], off offset:8192
	v_or_b32_e32 v40, 0x900, v0
	v_dual_mov_b32 v27, 0 :: v_dual_mov_b32 v28, 0
	v_dual_mov_b32 v29, 0 :: v_dual_mov_b32 v30, 0
	;; [unrolled: 1-line block ×6, first 2 shown]
	s_mov_b32 s29, exec_lo
	s_wait_loadcnt 0x2
	v_cmp_ne_u16_e64 s8, 0, v39
	v_mov_b32_e32 v39, 0
	s_wait_xcnt 0x0
	v_cmpx_gt_u32_e64 s26, v40
	s_cbranch_execz .LBB15_46
; %bb.33:
	global_load_u8 v39, v[4:5], off offset:2304
	global_load_b32 v28, v[6:7], off offset:9216
	global_load_b32 v27, v[8:9], off offset:9216
	v_or_b32_e32 v40, 0xa00, v0
	v_dual_mov_b32 v29, 0 :: v_dual_mov_b32 v30, 0
	v_dual_mov_b32 v31, 0 :: v_dual_mov_b32 v32, 0
	;; [unrolled: 1-line block ×5, first 2 shown]
	s_mov_b32 s30, exec_lo
	s_wait_loadcnt 0x2
	v_cmp_ne_u16_e64 s9, 0, v39
	v_mov_b32_e32 v39, 0
	s_wait_xcnt 0x0
	v_cmpx_gt_u32_e64 s26, v40
	s_cbranch_execz .LBB15_45
; %bb.34:
	global_load_u8 v39, v[4:5], off offset:2560
	global_load_b32 v30, v[6:7], off offset:10240
	global_load_b32 v29, v[8:9], off offset:10240
	v_or_b32_e32 v40, 0xb00, v0
	v_dual_mov_b32 v31, 0 :: v_dual_mov_b32 v32, 0
	v_dual_mov_b32 v33, 0 :: v_dual_mov_b32 v34, 0
	v_dual_mov_b32 v35, 0 :: v_dual_mov_b32 v36, 0
	v_dual_mov_b32 v37, 0 :: v_dual_mov_b32 v38, 0
	s_mov_b32 s31, exec_lo
	s_wait_loadcnt 0x2
	v_cmp_ne_u16_e64 s10, 0, v39
	v_mov_b32_e32 v39, 0
	s_wait_xcnt 0x0
	v_cmpx_gt_u32_e64 s26, v40
	s_cbranch_execz .LBB15_44
; %bb.35:
	global_load_u8 v39, v[4:5], off offset:2816
	global_load_b32 v32, v[6:7], off offset:11264
	global_load_b32 v31, v[8:9], off offset:11264
	v_or_b32_e32 v40, 0xc00, v0
	v_dual_mov_b32 v33, 0 :: v_dual_mov_b32 v34, 0
	v_dual_mov_b32 v35, 0 :: v_dual_mov_b32 v36, 0
	;; [unrolled: 1-line block ×3, first 2 shown]
	s_mov_b32 s33, exec_lo
	s_wait_loadcnt 0x2
	v_cmp_ne_u16_e64 s11, 0, v39
	v_mov_b32_e32 v39, 0
	s_wait_xcnt 0x0
	v_cmpx_gt_u32_e64 s26, v40
	s_cbranch_execz .LBB15_43
; %bb.36:
	global_load_u8 v39, v[4:5], off offset:3072
	global_load_b32 v34, v[6:7], off offset:12288
	global_load_b32 v33, v[8:9], off offset:12288
	v_or_b32_e32 v40, 0xd00, v0
	v_dual_mov_b32 v35, 0 :: v_dual_mov_b32 v36, 0
	v_dual_mov_b32 v37, 0 :: v_dual_mov_b32 v38, 0
	s_mov_b32 s35, 0
	s_mov_b32 s34, exec_lo
	s_wait_loadcnt 0x2
	v_cmp_ne_u16_e64 s12, 0, v39
	v_mov_b32_e32 v39, 0
	s_wait_xcnt 0x0
	v_cmpx_gt_u32_e64 s26, v40
	s_cbranch_execz .LBB15_42
; %bb.37:
	global_load_u8 v39, v[4:5], off offset:3328
	global_load_b32 v36, v[6:7], off offset:13312
	global_load_b32 v35, v[8:9], off offset:13312
	v_or_b32_e32 v40, 0xe00, v0
	v_dual_mov_b32 v37, 0 :: v_dual_mov_b32 v38, 0
	s_mov_b32 s35, exec_lo
	s_wait_loadcnt 0x2
	v_cmp_ne_u16_e64 s13, 0, v39
	v_mov_b32_e32 v39, 0
	s_wait_xcnt 0x0
	v_cmpx_gt_u32_e64 s26, v40
	s_cbranch_execz .LBB15_41
; %bb.38:
	global_load_u8 v39, v[4:5], off offset:3584
	global_load_b32 v38, v[6:7], off offset:14336
	global_load_b32 v37, v[8:9], off offset:14336
	v_or_b32_e32 v40, 0xf00, v0
	s_mov_b32 s36, exec_lo
	s_wait_loadcnt 0x2
	v_cmp_ne_u16_e64 s14, 0, v39
	v_mov_b32_e32 v39, 0
	s_wait_xcnt 0x0
	v_cmpx_gt_u32_e64 s26, v40
	s_cbranch_execz .LBB15_40
; %bb.39:
	global_load_u8 v39, v[4:5], off offset:3840
	global_load_b32 v40, v[6:7], off offset:15360
	global_load_b32 v41, v[8:9], off offset:15360
	s_wait_loadcnt 0x2
	v_cmp_eq_u16_e64 s15, 0, v39
	s_wait_loadcnt 0x0
	s_delay_alu instid0(VALU_DEP_1)
	v_cndmask_b32_e64 v39, v40, v41, s15
.LBB15_40:
	s_wait_xcnt 0x0
	s_or_b32 exec_lo, exec_lo, s36
	s_delay_alu instid0(SALU_CYCLE_1)
	s_and_b32 s15, s14, exec_lo
.LBB15_41:
	s_or_b32 exec_lo, exec_lo, s35
	s_delay_alu instid0(SALU_CYCLE_1)
	s_and_b32 s14, s13, exec_lo
	s_and_b32 s35, s15, exec_lo
.LBB15_42:
	s_or_b32 exec_lo, exec_lo, s34
	s_delay_alu instid0(SALU_CYCLE_1)
	s_and_b32 s15, s12, exec_lo
	s_and_b32 s14, s14, exec_lo
	;; [unrolled: 1-line block ×3, first 2 shown]
.LBB15_43:
	s_or_b32 exec_lo, exec_lo, s33
	s_delay_alu instid0(SALU_CYCLE_1)
	s_and_b32 s33, s11, exec_lo
	s_and_b32 s15, s15, exec_lo
	;; [unrolled: 1-line block ×4, first 2 shown]
.LBB15_44:
	s_or_b32 exec_lo, exec_lo, s31
	s_delay_alu instid0(SALU_CYCLE_1)
	s_and_b32 s14, s10, exec_lo
	s_and_b32 s33, s33, exec_lo
	;; [unrolled: 1-line block ×5, first 2 shown]
.LBB15_45:
	s_or_b32 exec_lo, exec_lo, s30
	s_delay_alu instid0(SALU_CYCLE_1)
	s_and_b32 s15, s9, exec_lo
	s_and_b32 s14, s14, exec_lo
	;; [unrolled: 1-line block ×6, first 2 shown]
.LBB15_46:
	s_or_b32 exec_lo, exec_lo, s29
	s_delay_alu instid0(SALU_CYCLE_1)
	s_and_b32 s30, s8, exec_lo
	s_and_b32 s15, s15, exec_lo
	s_and_b32 s14, s14, exec_lo
	s_and_b32 s10, s10, exec_lo
	s_and_b32 s13, s13, exec_lo
	s_and_b32 s9, s12, exec_lo
	s_and_b32 s12, s11, exec_lo
.LBB15_47:
	s_or_b32 exec_lo, exec_lo, s23
	s_delay_alu instid0(SALU_CYCLE_1)
	s_and_b32 s29, s7, exec_lo
	s_and_b32 s23, s30, exec_lo
	;; [unrolled: 1-line block ×8, first 2 shown]
.LBB15_48:
	s_or_b32 exec_lo, exec_lo, s22
	s_delay_alu instid0(SALU_CYCLE_1)
	s_and_b32 s14, s6, exec_lo
	s_and_b32 s22, s29, exec_lo
	;; [unrolled: 1-line block ×9, first 2 shown]
.LBB15_49:
	s_or_b32 exec_lo, exec_lo, s21
	s_delay_alu instid0(SALU_CYCLE_1)
	s_and_b32 s15, s5, exec_lo
	s_and_b32 s14, s14, exec_lo
	;; [unrolled: 1-line block ×10, first 2 shown]
.LBB15_50:
	s_or_b32 exec_lo, exec_lo, s20
	s_delay_alu instid0(SALU_CYCLE_1)
	s_and_b32 s20, s4, exec_lo
	s_and_b32 s15, s15, exec_lo
	s_and_b32 s14, s14, exec_lo
	s_and_b32 s13, s21, exec_lo
	s_and_b32 s7, s7, exec_lo
	s_and_b32 s12, s12, exec_lo
	s_and_b32 s11, s11, exec_lo
	s_and_b32 s10, s10, exec_lo
	s_and_b32 s6, s6, exec_lo
	s_and_b32 s5, s9, exec_lo
	s_and_b32 s8, s8, exec_lo
.LBB15_51:
	s_or_b32 exec_lo, exec_lo, s19
	s_delay_alu instid0(SALU_CYCLE_1)
	s_and_b32 s21, s3, exec_lo
	s_and_b32 s20, s20, exec_lo
	;; [unrolled: 1-line block ×12, first 2 shown]
.LBB15_52:
	s_or_b32 exec_lo, exec_lo, s18
	s_wait_loadcnt 0x0
	v_dual_mov_b32 v4, v3 :: v_dual_mov_b32 v3, v2
	s_and_b32 s15, s2, exec_lo
	s_and_b32 s33, s21, exec_lo
	;; [unrolled: 1-line block ×13, first 2 shown]
.LBB15_53:
	s_or_b32 exec_lo, exec_lo, s28
	s_delay_alu instid0(SALU_CYCLE_1)
	s_and_b32 s14, s1, exec_lo
	s_and_b32 s15, s15, exec_lo
	;; [unrolled: 1-line block ×14, first 2 shown]
.LBB15_54:
	s_or_b32 exec_lo, exec_lo, s27
	s_delay_alu instid0(SALU_CYCLE_1)
	s_and_b32 s2, s2, exec_lo
	s_and_b32 s4, s13, exec_lo
	s_and_b32 s1, s12, exec_lo
	s_and_b32 s3, s3, exec_lo
	s_and_b32 s5, s5, exec_lo
	s_and_b32 s6, s6, exec_lo
	s_and_b32 s7, s7, exec_lo
	s_and_b32 s8, s8, exec_lo
	s_and_b32 s9, s9, exec_lo
	s_and_b32 s10, s10, exec_lo
	s_and_b32 s11, s11, exec_lo
	s_and_b32 s12, s28, exec_lo
	s_and_b32 s13, s15, exec_lo
	s_and_b32 s14, s14, exec_lo
	s_and_b32 s0, s0, exec_lo
	s_or_b32 exec_lo, exec_lo, s25
	s_and_saveexec_b32 s15, vcc_lo
	s_cbranch_execz .LBB15_7
.LBB15_55:
	s_wait_loadcnt 0x0
	v_cndmask_b32_e64 v2, v13, v12, s0
	v_mov_b32_e32 v0, v1
	global_store_b32 v10, v2, s[16:17] scale_offset
	s_wait_xcnt 0x0
	s_or_b32 exec_lo, exec_lo, s15
	s_delay_alu instid0(SALU_CYCLE_1)
	s_mov_b32 s0, exec_lo
	v_cmpx_gt_i32_e64 s26, v0
	s_cbranch_execz .LBB15_8
.LBB15_56:
	s_wait_loadcnt 0x0
	v_dual_cndmask_b32 v1, v11, v14, s14 :: v_dual_add_nc_u32 v2, s24, v0
	v_add_nc_u32_e32 v0, 0x100, v0
	global_store_b32 v2, v1, s[16:17] scale_offset
	s_wait_xcnt 0x0
	s_or_b32 exec_lo, exec_lo, s0
	s_delay_alu instid0(SALU_CYCLE_1)
	s_mov_b32 s0, exec_lo
	v_cmpx_gt_i32_e64 s26, v0
	s_cbranch_execz .LBB15_9
.LBB15_57:
	v_dual_cndmask_b32 v1, v3, v15, s13 :: v_dual_add_nc_u32 v2, s24, v0
	v_add_nc_u32_e32 v0, 0x100, v0
	global_store_b32 v2, v1, s[16:17] scale_offset
	s_wait_xcnt 0x0
	s_or_b32 exec_lo, exec_lo, s0
	s_delay_alu instid0(SALU_CYCLE_1)
	s_mov_b32 s0, exec_lo
	v_cmpx_gt_i32_e64 s26, v0
	s_cbranch_execz .LBB15_10
.LBB15_58:
	v_dual_cndmask_b32 v1, v4, v17, s12 :: v_dual_add_nc_u32 v2, s24, v0
	v_add_nc_u32_e32 v0, 0x100, v0
	global_store_b32 v2, v1, s[16:17] scale_offset
	s_wait_xcnt 0x0
	s_or_b32 exec_lo, exec_lo, s0
	s_delay_alu instid0(SALU_CYCLE_1)
	s_mov_b32 s0, exec_lo
	v_cmpx_gt_i32_e64 s26, v0
	s_cbranch_execz .LBB15_11
.LBB15_59:
	v_dual_cndmask_b32 v1, v16, v19, s11 :: v_dual_add_nc_u32 v2, s24, v0
	v_add_nc_u32_e32 v0, 0x100, v0
	global_store_b32 v2, v1, s[16:17] scale_offset
	s_wait_xcnt 0x0
	s_or_b32 exec_lo, exec_lo, s0
	s_delay_alu instid0(SALU_CYCLE_1)
	s_mov_b32 s0, exec_lo
	v_cmpx_gt_i32_e64 s26, v0
	s_cbranch_execz .LBB15_12
.LBB15_60:
	v_dual_cndmask_b32 v1, v18, v21, s10 :: v_dual_add_nc_u32 v2, s24, v0
	v_add_nc_u32_e32 v0, 0x100, v0
	global_store_b32 v2, v1, s[16:17] scale_offset
	s_wait_xcnt 0x0
	s_or_b32 exec_lo, exec_lo, s0
	s_delay_alu instid0(SALU_CYCLE_1)
	s_mov_b32 s0, exec_lo
	v_cmpx_gt_i32_e64 s26, v0
	s_cbranch_execz .LBB15_13
.LBB15_61:
	v_dual_cndmask_b32 v1, v20, v23, s9 :: v_dual_add_nc_u32 v2, s24, v0
	v_add_nc_u32_e32 v0, 0x100, v0
	global_store_b32 v2, v1, s[16:17] scale_offset
	s_wait_xcnt 0x0
	s_or_b32 exec_lo, exec_lo, s0
	s_delay_alu instid0(SALU_CYCLE_1)
	s_mov_b32 s0, exec_lo
	v_cmpx_gt_i32_e64 s26, v0
	s_cbranch_execz .LBB15_14
.LBB15_62:
	v_cndmask_b32_e64 v1, v22, v24, s8
	v_add_nc_u32_e32 v2, s24, v0
	v_add_nc_u32_e32 v0, 0x100, v0
	global_store_b32 v2, v1, s[16:17] scale_offset
	s_wait_xcnt 0x0
	s_or_b32 exec_lo, exec_lo, s0
	s_delay_alu instid0(SALU_CYCLE_1)
	s_mov_b32 s0, exec_lo
	v_cmpx_gt_i32_e64 s26, v0
	s_cbranch_execz .LBB15_15
.LBB15_63:
	v_dual_cndmask_b32 v1, v25, v26, s7 :: v_dual_add_nc_u32 v2, s24, v0
	v_add_nc_u32_e32 v0, 0x100, v0
	global_store_b32 v2, v1, s[16:17] scale_offset
	s_wait_xcnt 0x0
	s_or_b32 exec_lo, exec_lo, s0
	s_delay_alu instid0(SALU_CYCLE_1)
	s_mov_b32 s0, exec_lo
	v_cmpx_gt_i32_e64 s26, v0
	s_cbranch_execz .LBB15_16
.LBB15_64:
	v_cndmask_b32_e64 v1, v27, v28, s6
	v_add_nc_u32_e32 v2, s24, v0
	v_add_nc_u32_e32 v0, 0x100, v0
	global_store_b32 v2, v1, s[16:17] scale_offset
	s_wait_xcnt 0x0
	s_or_b32 exec_lo, exec_lo, s0
	s_delay_alu instid0(SALU_CYCLE_1)
	s_mov_b32 s0, exec_lo
	v_cmpx_gt_i32_e64 s26, v0
	s_cbranch_execz .LBB15_17
.LBB15_65:
	v_dual_cndmask_b32 v1, v29, v30, s5 :: v_dual_add_nc_u32 v2, s24, v0
	v_add_nc_u32_e32 v0, 0x100, v0
	global_store_b32 v2, v1, s[16:17] scale_offset
	s_wait_xcnt 0x0
	s_or_b32 exec_lo, exec_lo, s0
	s_delay_alu instid0(SALU_CYCLE_1)
	s_mov_b32 s0, exec_lo
	v_cmpx_gt_i32_e64 s26, v0
	s_cbranch_execz .LBB15_18
.LBB15_66:
	v_cndmask_b32_e64 v1, v31, v32, s3
	v_add_nc_u32_e32 v2, s24, v0
	v_add_nc_u32_e32 v0, 0x100, v0
	global_store_b32 v2, v1, s[16:17] scale_offset
	s_wait_xcnt 0x0
	s_or_b32 exec_lo, exec_lo, s0
	s_delay_alu instid0(SALU_CYCLE_1)
	s_mov_b32 s0, exec_lo
	v_cmpx_gt_i32_e64 s26, v0
	s_cbranch_execz .LBB15_19
.LBB15_67:
	v_dual_cndmask_b32 v1, v33, v34, s1 :: v_dual_add_nc_u32 v2, s24, v0
	v_add_nc_u32_e32 v0, 0x100, v0
	global_store_b32 v2, v1, s[16:17] scale_offset
	s_wait_xcnt 0x0
	s_or_b32 exec_lo, exec_lo, s0
	s_delay_alu instid0(SALU_CYCLE_1)
	s_mov_b32 s0, exec_lo
	v_cmpx_gt_i32_e64 s26, v0
	s_cbranch_execz .LBB15_20
.LBB15_68:
	v_cndmask_b32_e64 v1, v35, v36, s4
	v_add_nc_u32_e32 v2, s24, v0
	v_add_nc_u32_e32 v0, 0x100, v0
	global_store_b32 v2, v1, s[16:17] scale_offset
	s_wait_xcnt 0x0
	s_or_b32 exec_lo, exec_lo, s0
	s_delay_alu instid0(SALU_CYCLE_1)
	s_mov_b32 s0, exec_lo
	v_cmpx_gt_i32_e64 s26, v0
	s_cbranch_execz .LBB15_21
.LBB15_69:
	v_dual_cndmask_b32 v1, v37, v38, s2 :: v_dual_add_nc_u32 v2, s24, v0
	v_add_nc_u32_e32 v0, 0x100, v0
	global_store_b32 v2, v1, s[16:17] scale_offset
	s_wait_xcnt 0x0
	s_or_b32 exec_lo, exec_lo, s0
	s_delay_alu instid0(SALU_CYCLE_1)
	s_mov_b32 s0, exec_lo
	v_cmpx_gt_i32_e64 s26, v0
	s_cbranch_execnz .LBB15_22
	s_branch .LBB15_23
	.section	.rodata,"a",@progbits
	.p2align	6, 0x0
	.amdhsa_kernel _ZN2at6native29vectorized_elementwise_kernelILi8EZZZNS0_12_GLOBAL__N_117where_kernel_implERNS_14TensorIteratorEENKUlvE_clEvENKUlvE1_clEvEUlbjjE_St5arrayIPcLm4EEEEviT0_T1_
		.amdhsa_group_segment_fixed_size 0
		.amdhsa_private_segment_fixed_size 0
		.amdhsa_kernarg_size 40
		.amdhsa_user_sgpr_count 2
		.amdhsa_user_sgpr_dispatch_ptr 0
		.amdhsa_user_sgpr_queue_ptr 0
		.amdhsa_user_sgpr_kernarg_segment_ptr 1
		.amdhsa_user_sgpr_dispatch_id 0
		.amdhsa_user_sgpr_kernarg_preload_length 0
		.amdhsa_user_sgpr_kernarg_preload_offset 0
		.amdhsa_user_sgpr_private_segment_size 0
		.amdhsa_wavefront_size32 1
		.amdhsa_uses_dynamic_stack 0
		.amdhsa_enable_private_segment 0
		.amdhsa_system_sgpr_workgroup_id_x 1
		.amdhsa_system_sgpr_workgroup_id_y 0
		.amdhsa_system_sgpr_workgroup_id_z 0
		.amdhsa_system_sgpr_workgroup_info 0
		.amdhsa_system_vgpr_workitem_id 0
		.amdhsa_next_free_vgpr 50
		.amdhsa_next_free_sgpr 37
		.amdhsa_named_barrier_count 0
		.amdhsa_reserve_vcc 1
		.amdhsa_float_round_mode_32 0
		.amdhsa_float_round_mode_16_64 0
		.amdhsa_float_denorm_mode_32 3
		.amdhsa_float_denorm_mode_16_64 3
		.amdhsa_fp16_overflow 0
		.amdhsa_memory_ordered 1
		.amdhsa_forward_progress 1
		.amdhsa_inst_pref_size 39
		.amdhsa_round_robin_scheduling 0
		.amdhsa_exception_fp_ieee_invalid_op 0
		.amdhsa_exception_fp_denorm_src 0
		.amdhsa_exception_fp_ieee_div_zero 0
		.amdhsa_exception_fp_ieee_overflow 0
		.amdhsa_exception_fp_ieee_underflow 0
		.amdhsa_exception_fp_ieee_inexact 0
		.amdhsa_exception_int_div_zero 0
	.end_amdhsa_kernel
	.section	.text._ZN2at6native29vectorized_elementwise_kernelILi8EZZZNS0_12_GLOBAL__N_117where_kernel_implERNS_14TensorIteratorEENKUlvE_clEvENKUlvE1_clEvEUlbjjE_St5arrayIPcLm4EEEEviT0_T1_,"axG",@progbits,_ZN2at6native29vectorized_elementwise_kernelILi8EZZZNS0_12_GLOBAL__N_117where_kernel_implERNS_14TensorIteratorEENKUlvE_clEvENKUlvE1_clEvEUlbjjE_St5arrayIPcLm4EEEEviT0_T1_,comdat
.Lfunc_end15:
	.size	_ZN2at6native29vectorized_elementwise_kernelILi8EZZZNS0_12_GLOBAL__N_117where_kernel_implERNS_14TensorIteratorEENKUlvE_clEvENKUlvE1_clEvEUlbjjE_St5arrayIPcLm4EEEEviT0_T1_, .Lfunc_end15-_ZN2at6native29vectorized_elementwise_kernelILi8EZZZNS0_12_GLOBAL__N_117where_kernel_implERNS_14TensorIteratorEENKUlvE_clEvENKUlvE1_clEvEUlbjjE_St5arrayIPcLm4EEEEviT0_T1_
                                        ; -- End function
	.set _ZN2at6native29vectorized_elementwise_kernelILi8EZZZNS0_12_GLOBAL__N_117where_kernel_implERNS_14TensorIteratorEENKUlvE_clEvENKUlvE1_clEvEUlbjjE_St5arrayIPcLm4EEEEviT0_T1_.num_vgpr, 50
	.set _ZN2at6native29vectorized_elementwise_kernelILi8EZZZNS0_12_GLOBAL__N_117where_kernel_implERNS_14TensorIteratorEENKUlvE_clEvENKUlvE1_clEvEUlbjjE_St5arrayIPcLm4EEEEviT0_T1_.num_agpr, 0
	.set _ZN2at6native29vectorized_elementwise_kernelILi8EZZZNS0_12_GLOBAL__N_117where_kernel_implERNS_14TensorIteratorEENKUlvE_clEvENKUlvE1_clEvEUlbjjE_St5arrayIPcLm4EEEEviT0_T1_.numbered_sgpr, 37
	.set _ZN2at6native29vectorized_elementwise_kernelILi8EZZZNS0_12_GLOBAL__N_117where_kernel_implERNS_14TensorIteratorEENKUlvE_clEvENKUlvE1_clEvEUlbjjE_St5arrayIPcLm4EEEEviT0_T1_.num_named_barrier, 0
	.set _ZN2at6native29vectorized_elementwise_kernelILi8EZZZNS0_12_GLOBAL__N_117where_kernel_implERNS_14TensorIteratorEENKUlvE_clEvENKUlvE1_clEvEUlbjjE_St5arrayIPcLm4EEEEviT0_T1_.private_seg_size, 0
	.set _ZN2at6native29vectorized_elementwise_kernelILi8EZZZNS0_12_GLOBAL__N_117where_kernel_implERNS_14TensorIteratorEENKUlvE_clEvENKUlvE1_clEvEUlbjjE_St5arrayIPcLm4EEEEviT0_T1_.uses_vcc, 1
	.set _ZN2at6native29vectorized_elementwise_kernelILi8EZZZNS0_12_GLOBAL__N_117where_kernel_implERNS_14TensorIteratorEENKUlvE_clEvENKUlvE1_clEvEUlbjjE_St5arrayIPcLm4EEEEviT0_T1_.uses_flat_scratch, 0
	.set _ZN2at6native29vectorized_elementwise_kernelILi8EZZZNS0_12_GLOBAL__N_117where_kernel_implERNS_14TensorIteratorEENKUlvE_clEvENKUlvE1_clEvEUlbjjE_St5arrayIPcLm4EEEEviT0_T1_.has_dyn_sized_stack, 0
	.set _ZN2at6native29vectorized_elementwise_kernelILi8EZZZNS0_12_GLOBAL__N_117where_kernel_implERNS_14TensorIteratorEENKUlvE_clEvENKUlvE1_clEvEUlbjjE_St5arrayIPcLm4EEEEviT0_T1_.has_recursion, 0
	.set _ZN2at6native29vectorized_elementwise_kernelILi8EZZZNS0_12_GLOBAL__N_117where_kernel_implERNS_14TensorIteratorEENKUlvE_clEvENKUlvE1_clEvEUlbjjE_St5arrayIPcLm4EEEEviT0_T1_.has_indirect_call, 0
	.section	.AMDGPU.csdata,"",@progbits
; Kernel info:
; codeLenInByte = 4980
; TotalNumSgprs: 39
; NumVgprs: 50
; ScratchSize: 0
; MemoryBound: 0
; FloatMode: 240
; IeeeMode: 1
; LDSByteSize: 0 bytes/workgroup (compile time only)
; SGPRBlocks: 0
; VGPRBlocks: 3
; NumSGPRsForWavesPerEU: 39
; NumVGPRsForWavesPerEU: 50
; NamedBarCnt: 0
; Occupancy: 16
; WaveLimiterHint : 1
; COMPUTE_PGM_RSRC2:SCRATCH_EN: 0
; COMPUTE_PGM_RSRC2:USER_SGPR: 2
; COMPUTE_PGM_RSRC2:TRAP_HANDLER: 0
; COMPUTE_PGM_RSRC2:TGID_X_EN: 1
; COMPUTE_PGM_RSRC2:TGID_Y_EN: 0
; COMPUTE_PGM_RSRC2:TGID_Z_EN: 0
; COMPUTE_PGM_RSRC2:TIDIG_COMP_CNT: 0
	.section	.text._ZN2at6native29vectorized_elementwise_kernelILi4EZZZNS0_12_GLOBAL__N_117where_kernel_implERNS_14TensorIteratorEENKUlvE_clEvENKUlvE1_clEvEUlbjjE_St5arrayIPcLm4EEEEviT0_T1_,"axG",@progbits,_ZN2at6native29vectorized_elementwise_kernelILi4EZZZNS0_12_GLOBAL__N_117where_kernel_implERNS_14TensorIteratorEENKUlvE_clEvENKUlvE1_clEvEUlbjjE_St5arrayIPcLm4EEEEviT0_T1_,comdat
	.globl	_ZN2at6native29vectorized_elementwise_kernelILi4EZZZNS0_12_GLOBAL__N_117where_kernel_implERNS_14TensorIteratorEENKUlvE_clEvENKUlvE1_clEvEUlbjjE_St5arrayIPcLm4EEEEviT0_T1_ ; -- Begin function _ZN2at6native29vectorized_elementwise_kernelILi4EZZZNS0_12_GLOBAL__N_117where_kernel_implERNS_14TensorIteratorEENKUlvE_clEvENKUlvE1_clEvEUlbjjE_St5arrayIPcLm4EEEEviT0_T1_
	.p2align	8
	.type	_ZN2at6native29vectorized_elementwise_kernelILi4EZZZNS0_12_GLOBAL__N_117where_kernel_implERNS_14TensorIteratorEENKUlvE_clEvENKUlvE1_clEvEUlbjjE_St5arrayIPcLm4EEEEviT0_T1_,@function
_ZN2at6native29vectorized_elementwise_kernelILi4EZZZNS0_12_GLOBAL__N_117where_kernel_implERNS_14TensorIteratorEENKUlvE_clEvENKUlvE1_clEvEUlbjjE_St5arrayIPcLm4EEEEviT0_T1_: ; @_ZN2at6native29vectorized_elementwise_kernelILi4EZZZNS0_12_GLOBAL__N_117where_kernel_implERNS_14TensorIteratorEENKUlvE_clEvENKUlvE1_clEvEUlbjjE_St5arrayIPcLm4EEEEviT0_T1_
; %bb.0:
	s_clause 0x1
	s_load_b32 s2, s[0:1], 0x0
	s_load_b256 s[16:23], s[0:1], 0x8
	s_wait_xcnt 0x0
	s_bfe_u32 s0, ttmp6, 0x4000c
	s_and_b32 s1, ttmp6, 15
	s_add_co_i32 s0, s0, 1
	s_getreg_b32 s3, hwreg(HW_REG_IB_STS2, 6, 4)
	s_mul_i32 s0, ttmp9, s0
	s_delay_alu instid0(SALU_CYCLE_1) | instskip(SKIP_2) | instid1(SALU_CYCLE_1)
	s_add_co_i32 s1, s1, s0
	s_cmp_eq_u32 s3, 0
	s_cselect_b32 s0, ttmp9, s1
	s_lshl_b32 s24, s0, 12
	s_mov_b32 s0, -1
	s_wait_kmcnt 0x0
	s_sub_co_i32 s26, s2, s24
	s_delay_alu instid0(SALU_CYCLE_1)
	s_cmp_gt_i32 s26, 0xfff
	s_cbranch_scc0 .LBB16_2
; %bb.1:
	s_ashr_i32 s25, s24, 31
	s_delay_alu instid0(SALU_CYCLE_1)
	s_add_nc_u64 s[0:1], s[18:19], s[24:25]
	s_clause 0x3
	global_load_b32 v1, v0, s[0:1] scale_offset
	global_load_b32 v34, v0, s[0:1] offset:1024 scale_offset
	global_load_b32 v35, v0, s[0:1] offset:2048 scale_offset
	global_load_b32 v36, v0, s[0:1] offset:3072 scale_offset
	s_wait_xcnt 0x0
	s_lshl_b64 s[0:1], s[24:25], 2
	s_delay_alu instid0(SALU_CYCLE_1)
	s_add_nc_u64 s[2:3], s[22:23], s[0:1]
	s_add_nc_u64 s[4:5], s[20:21], s[0:1]
	s_clause 0x7
	global_load_b128 v[2:5], v0, s[2:3] scale_offset
	global_load_b128 v[6:9], v0, s[4:5] scale_offset
	global_load_b128 v[10:13], v0, s[4:5] offset:4096 scale_offset
	global_load_b128 v[14:17], v0, s[2:3] offset:4096 scale_offset
	;; [unrolled: 1-line block ×6, first 2 shown]
	s_wait_xcnt 0x0
	s_add_nc_u64 s[2:3], s[16:17], s[0:1]
	s_wait_loadcnt 0xb
	v_cmp_lt_u32_e32 vcc_lo, 0xffffff, v1
	v_and_b32_e32 v41, 0xff00, v1
	v_and_b32_e32 v42, 0xff, v1
	;; [unrolled: 1-line block ×3, first 2 shown]
	s_wait_loadcnt 0xa
	v_and_b32_e32 v43, 0xff00, v34
	s_wait_loadcnt 0x6
	v_cndmask_b32_e32 v5, v5, v9, vcc_lo
	v_cmp_lt_u32_e32 vcc_lo, 0xffffff, v34
	v_and_b32_e32 v44, 0xff, v34
	v_cmp_lt_u32_e64 s0, 0xffffff, v36
	v_and_b32_e32 v38, 0xff0000, v34
	v_and_b32_e32 v45, 0xff00, v35
	s_wait_loadcnt 0x4
	v_cndmask_b32_e32 v9, v17, v13, vcc_lo
	v_cmp_lt_u32_e32 vcc_lo, 0xffffff, v35
	v_and_b32_e32 v46, 0xff, v35
	v_and_b32_e32 v39, 0xff0000, v35
	v_and_b32_e32 v47, 0xff00, v36
	v_and_b32_e32 v48, 0xff, v36
	s_wait_loadcnt 0x2
	v_cndmask_b32_e32 v13, v21, v25, vcc_lo
	v_cmp_eq_u32_e32 vcc_lo, 0, v41
	v_and_b32_e32 v40, 0xff0000, v36
	v_cndmask_b32_e32 v3, v7, v3, vcc_lo
	v_cmp_eq_u32_e32 vcc_lo, 0, v42
	v_cndmask_b32_e32 v2, v6, v2, vcc_lo
	v_cmp_eq_u32_e32 vcc_lo, 0, v37
	;; [unrolled: 2-line block ×3, first 2 shown]
	s_wait_loadcnt 0x0
	v_cndmask_b32_e64 v17, v33, v29, s0
	s_mov_b32 s0, 0
	v_cndmask_b32_e32 v7, v11, v15, vcc_lo
	v_cmp_eq_u32_e32 vcc_lo, 0, v44
	v_cndmask_b32_e32 v6, v10, v14, vcc_lo
	v_cmp_eq_u32_e32 vcc_lo, 0, v38
	;; [unrolled: 2-line block ×8, first 2 shown]
	v_cndmask_b32_e32 v16, v28, v32, vcc_lo
	s_clause 0x3
	global_store_b128 v0, v[2:5], s[2:3] scale_offset
	global_store_b128 v0, v[6:9], s[2:3] offset:4096 scale_offset
	global_store_b128 v0, v[10:13], s[2:3] offset:8192 scale_offset
	;; [unrolled: 1-line block ×3, first 2 shown]
.LBB16_2:
	s_and_not1_b32 vcc_lo, exec_lo, s0
	s_cbranch_vccnz .LBB16_23
; %bb.3:
	v_cmp_le_i32_e64 s0, s26, v0
	v_or_b32_e32 v1, 0x100, v0
	v_cmp_gt_i32_e32 vcc_lo, s26, v0
	s_wait_xcnt 0x0
	s_and_saveexec_b32 s1, s0
	s_delay_alu instid0(SALU_CYCLE_1)
	s_xor_b32 s0, exec_lo, s1
; %bb.4:
	v_or_b32_e32 v1, 0x100, v0
; %bb.5:
	s_or_saveexec_b32 s25, s0
	v_dual_mov_b32 v39, 0 :: v_dual_bitop2_b32 v10, s24, v0 bitop3:0x54
	v_dual_mov_b32 v38, 0 :: v_dual_mov_b32 v37, 0
	v_dual_mov_b32 v36, 0 :: v_dual_mov_b32 v35, 0
	;; [unrolled: 1-line block ×15, first 2 shown]
	s_mov_b32 s0, 0
	s_mov_b32 s14, 0
	;; [unrolled: 1-line block ×15, first 2 shown]
	s_xor_b32 exec_lo, exec_lo, s25
	s_cbranch_execnz .LBB16_24
; %bb.6:
	s_or_b32 exec_lo, exec_lo, s25
	s_and_saveexec_b32 s15, vcc_lo
	s_cbranch_execnz .LBB16_55
.LBB16_7:
	s_or_b32 exec_lo, exec_lo, s15
	s_delay_alu instid0(SALU_CYCLE_1)
	s_mov_b32 s0, exec_lo
	v_cmpx_gt_i32_e64 s26, v0
	s_cbranch_execnz .LBB16_56
.LBB16_8:
	s_or_b32 exec_lo, exec_lo, s0
	s_delay_alu instid0(SALU_CYCLE_1)
	s_mov_b32 s0, exec_lo
	v_cmpx_gt_i32_e64 s26, v0
	s_cbranch_execnz .LBB16_57
.LBB16_9:
	s_or_b32 exec_lo, exec_lo, s0
	s_delay_alu instid0(SALU_CYCLE_1)
	s_mov_b32 s0, exec_lo
	v_cmpx_gt_i32_e64 s26, v0
	s_cbranch_execnz .LBB16_58
.LBB16_10:
	s_or_b32 exec_lo, exec_lo, s0
	s_delay_alu instid0(SALU_CYCLE_1)
	s_mov_b32 s0, exec_lo
	v_cmpx_gt_i32_e64 s26, v0
	s_cbranch_execnz .LBB16_59
.LBB16_11:
	s_or_b32 exec_lo, exec_lo, s0
	s_delay_alu instid0(SALU_CYCLE_1)
	s_mov_b32 s0, exec_lo
	v_cmpx_gt_i32_e64 s26, v0
	s_cbranch_execnz .LBB16_60
.LBB16_12:
	s_or_b32 exec_lo, exec_lo, s0
	s_delay_alu instid0(SALU_CYCLE_1)
	s_mov_b32 s0, exec_lo
	v_cmpx_gt_i32_e64 s26, v0
	s_cbranch_execnz .LBB16_61
.LBB16_13:
	s_or_b32 exec_lo, exec_lo, s0
	s_delay_alu instid0(SALU_CYCLE_1)
	s_mov_b32 s0, exec_lo
	v_cmpx_gt_i32_e64 s26, v0
	s_cbranch_execnz .LBB16_62
.LBB16_14:
	s_or_b32 exec_lo, exec_lo, s0
	s_delay_alu instid0(SALU_CYCLE_1)
	s_mov_b32 s0, exec_lo
	v_cmpx_gt_i32_e64 s26, v0
	s_cbranch_execnz .LBB16_63
.LBB16_15:
	s_or_b32 exec_lo, exec_lo, s0
	s_delay_alu instid0(SALU_CYCLE_1)
	s_mov_b32 s0, exec_lo
	v_cmpx_gt_i32_e64 s26, v0
	s_cbranch_execnz .LBB16_64
.LBB16_16:
	s_or_b32 exec_lo, exec_lo, s0
	s_delay_alu instid0(SALU_CYCLE_1)
	s_mov_b32 s0, exec_lo
	v_cmpx_gt_i32_e64 s26, v0
	s_cbranch_execnz .LBB16_65
.LBB16_17:
	s_or_b32 exec_lo, exec_lo, s0
	s_delay_alu instid0(SALU_CYCLE_1)
	s_mov_b32 s0, exec_lo
	v_cmpx_gt_i32_e64 s26, v0
	s_cbranch_execnz .LBB16_66
.LBB16_18:
	s_or_b32 exec_lo, exec_lo, s0
	s_delay_alu instid0(SALU_CYCLE_1)
	s_mov_b32 s0, exec_lo
	v_cmpx_gt_i32_e64 s26, v0
	s_cbranch_execnz .LBB16_67
.LBB16_19:
	s_or_b32 exec_lo, exec_lo, s0
	s_delay_alu instid0(SALU_CYCLE_1)
	s_mov_b32 s0, exec_lo
	v_cmpx_gt_i32_e64 s26, v0
	s_cbranch_execnz .LBB16_68
.LBB16_20:
	s_or_b32 exec_lo, exec_lo, s0
	s_delay_alu instid0(SALU_CYCLE_1)
	s_mov_b32 s0, exec_lo
	v_cmpx_gt_i32_e64 s26, v0
	s_cbranch_execnz .LBB16_69
.LBB16_21:
	s_or_b32 exec_lo, exec_lo, s0
	s_delay_alu instid0(SALU_CYCLE_1)
	s_mov_b32 s0, exec_lo
	v_cmpx_gt_i32_e64 s26, v0
	s_cbranch_execz .LBB16_23
.LBB16_22:
	v_add_nc_u32_e32 v0, s24, v0
	global_store_b32 v0, v39, s[16:17] scale_offset
.LBB16_23:
	s_endpgm
.LBB16_24:
	s_clause 0x2
	global_load_u8 v2, v10, s[18:19]
	global_load_b32 v12, v10, s[20:21] scale_offset
	global_load_b32 v13, v10, s[22:23] scale_offset
	v_cmp_gt_u32_e64 s1, s26, v1
	v_dual_mov_b32 v11, 0 :: v_dual_mov_b32 v14, 0
	v_dual_mov_b32 v3, 0 :: v_dual_mov_b32 v15, 0
	;; [unrolled: 1-line block ×14, first 2 shown]
	v_mov_b32_e32 v39, 0
	s_mov_b32 s28, 0
	s_mov_b32 s15, 0
	s_wait_loadcnt 0x2
	v_cmp_ne_u16_e64 s0, 0, v2
	s_wait_xcnt 0x0
	s_and_saveexec_b32 s27, s1
	s_cbranch_execz .LBB16_54
; %bb.25:
	v_dual_mov_b32 v3, 0 :: v_dual_add_nc_u32 v2, s24, v0
	v_or_b32_e32 v6, 0x200, v0
	v_dual_mov_b32 v15, 0 :: v_dual_mov_b32 v4, 0
	s_clause 0x2
	global_load_u8 v5, v2, s[18:19] offset:256
	global_load_b32 v14, v2, s[20:21] offset:1024 scale_offset
	global_load_b32 v11, v2, s[22:23] offset:1024 scale_offset
	v_dual_mov_b32 v17, 0 :: v_dual_mov_b32 v16, 0
	v_dual_mov_b32 v19, 0 :: v_dual_mov_b32 v18, 0
	;; [unrolled: 1-line block ×12, first 2 shown]
	s_mov_b32 s29, 0
	s_mov_b32 s30, 0
	s_mov_b32 s31, 0
	s_mov_b32 s33, 0
	s_mov_b32 s28, exec_lo
	s_wait_loadcnt 0x2
	v_cmp_ne_u16_e64 s1, 0, v5
	s_wait_xcnt 0x0
	v_cmpx_gt_u32_e64 s26, v6
	s_cbranch_execz .LBB16_53
; %bb.26:
	v_lshlrev_b64_e32 v[8:9], 2, v[2:3]
	v_add_nc_u64_e32 v[4:5], s[18:19], v[2:3]
	v_or_b32_e32 v38, 0x300, v0
	v_dual_mov_b32 v17, 0 :: v_dual_mov_b32 v16, 0
	v_dual_mov_b32 v19, 0 :: v_dual_mov_b32 v18, 0
	v_add_nc_u64_e32 v[6:7], s[20:21], v[8:9]
	v_add_nc_u64_e32 v[8:9], s[22:23], v[8:9]
	global_load_u8 v37, v[4:5], off offset:512
	v_dual_mov_b32 v21, 0 :: v_dual_mov_b32 v20, 0
	v_dual_mov_b32 v23, 0 :: v_dual_mov_b32 v22, 0
	global_load_b32 v15, v[6:7], off offset:2048
	global_load_b32 v2, v[8:9], off offset:2048
	v_dual_mov_b32 v24, 0 :: v_dual_mov_b32 v25, 0
	v_dual_mov_b32 v26, 0 :: v_dual_mov_b32 v27, 0
	;; [unrolled: 1-line block ×6, first 2 shown]
	v_mov_b32_e32 v36, 0
	v_cmp_gt_u32_e64 s3, s26, v38
	v_dual_mov_b32 v38, 0 :: v_dual_mov_b32 v39, 0
	s_mov_b32 s19, 0
	s_mov_b32 s20, 0
	;; [unrolled: 1-line block ×3, first 2 shown]
	s_wait_loadcnt 0x2
	v_cmp_ne_u16_e64 s2, 0, v37
	v_mov_b32_e32 v37, 0
	s_wait_xcnt 0x0
	s_and_saveexec_b32 s18, s3
	s_cbranch_execz .LBB16_52
; %bb.27:
	global_load_u8 v39, v[4:5], off offset:768
	global_load_b32 v17, v[6:7], off offset:3072
	global_load_b32 v3, v[8:9], off offset:3072
	v_or_b32_e32 v40, 0x400, v0
	v_dual_mov_b32 v16, 0 :: v_dual_mov_b32 v19, 0
	v_dual_mov_b32 v18, 0 :: v_dual_mov_b32 v21, 0
	;; [unrolled: 1-line block ×11, first 2 shown]
	s_mov_b32 s19, exec_lo
	s_wait_loadcnt 0x2
	v_cmp_ne_u16_e64 s3, 0, v39
	v_mov_b32_e32 v39, 0
	s_wait_xcnt 0x0
	v_cmpx_gt_u32_e64 s26, v40
	s_cbranch_execz .LBB16_51
; %bb.28:
	global_load_u8 v39, v[4:5], off offset:1024
	global_load_b32 v19, v[6:7], off offset:4096
	global_load_b32 v16, v[8:9], off offset:4096
	v_or_b32_e32 v40, 0x500, v0
	v_dual_mov_b32 v18, 0 :: v_dual_mov_b32 v21, 0
	v_dual_mov_b32 v20, 0 :: v_dual_mov_b32 v23, 0
	;; [unrolled: 1-line block ×10, first 2 shown]
	s_mov_b32 s20, exec_lo
	s_wait_loadcnt 0x2
	v_cmp_ne_u16_e64 s4, 0, v39
	v_mov_b32_e32 v39, 0
	s_wait_xcnt 0x0
	v_cmpx_gt_u32_e64 s26, v40
	s_cbranch_execz .LBB16_50
; %bb.29:
	global_load_u8 v39, v[4:5], off offset:1280
	global_load_b32 v21, v[6:7], off offset:5120
	global_load_b32 v18, v[8:9], off offset:5120
	v_or_b32_e32 v40, 0x600, v0
	v_dual_mov_b32 v20, 0 :: v_dual_mov_b32 v23, 0
	v_dual_mov_b32 v22, 0 :: v_dual_mov_b32 v24, 0
	;; [unrolled: 1-line block ×9, first 2 shown]
	s_mov_b32 s22, 0
	s_mov_b32 s21, exec_lo
	s_wait_loadcnt 0x2
	v_cmp_ne_u16_e64 s5, 0, v39
	v_mov_b32_e32 v39, 0
	s_wait_xcnt 0x0
	v_cmpx_gt_u32_e64 s26, v40
	s_cbranch_execz .LBB16_49
; %bb.30:
	global_load_u8 v39, v[4:5], off offset:1536
	global_load_b32 v23, v[6:7], off offset:6144
	global_load_b32 v20, v[8:9], off offset:6144
	v_or_b32_e32 v40, 0x700, v0
	v_dual_mov_b32 v22, 0 :: v_dual_mov_b32 v24, 0
	v_dual_mov_b32 v25, 0 :: v_dual_mov_b32 v26, 0
	;; [unrolled: 1-line block ×8, first 2 shown]
	s_mov_b32 s23, 0
	s_mov_b32 s22, exec_lo
	s_wait_loadcnt 0x2
	v_cmp_ne_u16_e64 s6, 0, v39
	v_mov_b32_e32 v39, 0
	s_wait_xcnt 0x0
	v_cmpx_gt_u32_e64 s26, v40
	s_cbranch_execz .LBB16_48
; %bb.31:
	global_load_u8 v39, v[4:5], off offset:1792
	global_load_b32 v24, v[6:7], off offset:7168
	global_load_b32 v22, v[8:9], off offset:7168
	v_or_b32_e32 v40, 0x800, v0
	v_dual_mov_b32 v25, 0 :: v_dual_mov_b32 v26, 0
	v_dual_mov_b32 v27, 0 :: v_dual_mov_b32 v28, 0
	;; [unrolled: 1-line block ×7, first 2 shown]
	s_mov_b32 s23, exec_lo
	s_wait_loadcnt 0x2
	v_cmp_ne_u16_e64 s7, 0, v39
	v_mov_b32_e32 v39, 0
	s_wait_xcnt 0x0
	v_cmpx_gt_u32_e64 s26, v40
	s_cbranch_execz .LBB16_47
; %bb.32:
	global_load_u8 v39, v[4:5], off offset:2048
	global_load_b32 v26, v[6:7], off offset:8192
	global_load_b32 v25, v[8:9], off offset:8192
	v_or_b32_e32 v40, 0x900, v0
	v_dual_mov_b32 v27, 0 :: v_dual_mov_b32 v28, 0
	v_dual_mov_b32 v29, 0 :: v_dual_mov_b32 v30, 0
	;; [unrolled: 1-line block ×6, first 2 shown]
	s_mov_b32 s29, exec_lo
	s_wait_loadcnt 0x2
	v_cmp_ne_u16_e64 s8, 0, v39
	v_mov_b32_e32 v39, 0
	s_wait_xcnt 0x0
	v_cmpx_gt_u32_e64 s26, v40
	s_cbranch_execz .LBB16_46
; %bb.33:
	global_load_u8 v39, v[4:5], off offset:2304
	global_load_b32 v28, v[6:7], off offset:9216
	global_load_b32 v27, v[8:9], off offset:9216
	v_or_b32_e32 v40, 0xa00, v0
	v_dual_mov_b32 v29, 0 :: v_dual_mov_b32 v30, 0
	v_dual_mov_b32 v31, 0 :: v_dual_mov_b32 v32, 0
	;; [unrolled: 1-line block ×5, first 2 shown]
	s_mov_b32 s30, exec_lo
	s_wait_loadcnt 0x2
	v_cmp_ne_u16_e64 s9, 0, v39
	v_mov_b32_e32 v39, 0
	s_wait_xcnt 0x0
	v_cmpx_gt_u32_e64 s26, v40
	s_cbranch_execz .LBB16_45
; %bb.34:
	global_load_u8 v39, v[4:5], off offset:2560
	global_load_b32 v30, v[6:7], off offset:10240
	global_load_b32 v29, v[8:9], off offset:10240
	v_or_b32_e32 v40, 0xb00, v0
	v_dual_mov_b32 v31, 0 :: v_dual_mov_b32 v32, 0
	v_dual_mov_b32 v33, 0 :: v_dual_mov_b32 v34, 0
	;; [unrolled: 1-line block ×4, first 2 shown]
	s_mov_b32 s31, exec_lo
	s_wait_loadcnt 0x2
	v_cmp_ne_u16_e64 s10, 0, v39
	v_mov_b32_e32 v39, 0
	s_wait_xcnt 0x0
	v_cmpx_gt_u32_e64 s26, v40
	s_cbranch_execz .LBB16_44
; %bb.35:
	global_load_u8 v39, v[4:5], off offset:2816
	global_load_b32 v32, v[6:7], off offset:11264
	global_load_b32 v31, v[8:9], off offset:11264
	v_or_b32_e32 v40, 0xc00, v0
	v_dual_mov_b32 v33, 0 :: v_dual_mov_b32 v34, 0
	v_dual_mov_b32 v35, 0 :: v_dual_mov_b32 v36, 0
	;; [unrolled: 1-line block ×3, first 2 shown]
	s_mov_b32 s33, exec_lo
	s_wait_loadcnt 0x2
	v_cmp_ne_u16_e64 s11, 0, v39
	v_mov_b32_e32 v39, 0
	s_wait_xcnt 0x0
	v_cmpx_gt_u32_e64 s26, v40
	s_cbranch_execz .LBB16_43
; %bb.36:
	global_load_u8 v39, v[4:5], off offset:3072
	global_load_b32 v34, v[6:7], off offset:12288
	global_load_b32 v33, v[8:9], off offset:12288
	v_or_b32_e32 v40, 0xd00, v0
	v_dual_mov_b32 v35, 0 :: v_dual_mov_b32 v36, 0
	v_dual_mov_b32 v37, 0 :: v_dual_mov_b32 v38, 0
	s_mov_b32 s35, 0
	s_mov_b32 s34, exec_lo
	s_wait_loadcnt 0x2
	v_cmp_ne_u16_e64 s12, 0, v39
	v_mov_b32_e32 v39, 0
	s_wait_xcnt 0x0
	v_cmpx_gt_u32_e64 s26, v40
	s_cbranch_execz .LBB16_42
; %bb.37:
	global_load_u8 v39, v[4:5], off offset:3328
	global_load_b32 v36, v[6:7], off offset:13312
	global_load_b32 v35, v[8:9], off offset:13312
	v_or_b32_e32 v40, 0xe00, v0
	v_dual_mov_b32 v37, 0 :: v_dual_mov_b32 v38, 0
	s_mov_b32 s35, exec_lo
	s_wait_loadcnt 0x2
	v_cmp_ne_u16_e64 s13, 0, v39
	v_mov_b32_e32 v39, 0
	s_wait_xcnt 0x0
	v_cmpx_gt_u32_e64 s26, v40
	s_cbranch_execz .LBB16_41
; %bb.38:
	global_load_u8 v39, v[4:5], off offset:3584
	global_load_b32 v38, v[6:7], off offset:14336
	global_load_b32 v37, v[8:9], off offset:14336
	v_or_b32_e32 v40, 0xf00, v0
	s_mov_b32 s36, exec_lo
	s_wait_loadcnt 0x2
	v_cmp_ne_u16_e64 s14, 0, v39
	v_mov_b32_e32 v39, 0
	s_wait_xcnt 0x0
	v_cmpx_gt_u32_e64 s26, v40
	s_cbranch_execz .LBB16_40
; %bb.39:
	global_load_u8 v39, v[4:5], off offset:3840
	global_load_b32 v40, v[6:7], off offset:15360
	global_load_b32 v41, v[8:9], off offset:15360
	s_wait_loadcnt 0x2
	v_cmp_eq_u16_e64 s15, 0, v39
	s_wait_loadcnt 0x0
	s_delay_alu instid0(VALU_DEP_1)
	v_cndmask_b32_e64 v39, v40, v41, s15
.LBB16_40:
	s_wait_xcnt 0x0
	s_or_b32 exec_lo, exec_lo, s36
	s_delay_alu instid0(SALU_CYCLE_1)
	s_and_b32 s15, s14, exec_lo
.LBB16_41:
	s_or_b32 exec_lo, exec_lo, s35
	s_delay_alu instid0(SALU_CYCLE_1)
	s_and_b32 s14, s13, exec_lo
	s_and_b32 s35, s15, exec_lo
.LBB16_42:
	s_or_b32 exec_lo, exec_lo, s34
	s_delay_alu instid0(SALU_CYCLE_1)
	s_and_b32 s15, s12, exec_lo
	s_and_b32 s14, s14, exec_lo
	;; [unrolled: 1-line block ×3, first 2 shown]
.LBB16_43:
	s_or_b32 exec_lo, exec_lo, s33
	s_delay_alu instid0(SALU_CYCLE_1)
	s_and_b32 s33, s11, exec_lo
	s_and_b32 s15, s15, exec_lo
	;; [unrolled: 1-line block ×4, first 2 shown]
.LBB16_44:
	s_or_b32 exec_lo, exec_lo, s31
	s_delay_alu instid0(SALU_CYCLE_1)
	s_and_b32 s14, s10, exec_lo
	s_and_b32 s33, s33, exec_lo
	;; [unrolled: 1-line block ×5, first 2 shown]
.LBB16_45:
	s_or_b32 exec_lo, exec_lo, s30
	s_delay_alu instid0(SALU_CYCLE_1)
	s_and_b32 s15, s9, exec_lo
	s_and_b32 s14, s14, exec_lo
	;; [unrolled: 1-line block ×6, first 2 shown]
.LBB16_46:
	s_or_b32 exec_lo, exec_lo, s29
	s_delay_alu instid0(SALU_CYCLE_1)
	s_and_b32 s30, s8, exec_lo
	s_and_b32 s15, s15, exec_lo
	;; [unrolled: 1-line block ×7, first 2 shown]
.LBB16_47:
	s_or_b32 exec_lo, exec_lo, s23
	s_delay_alu instid0(SALU_CYCLE_1)
	s_and_b32 s29, s7, exec_lo
	s_and_b32 s23, s30, exec_lo
	;; [unrolled: 1-line block ×8, first 2 shown]
.LBB16_48:
	s_or_b32 exec_lo, exec_lo, s22
	s_delay_alu instid0(SALU_CYCLE_1)
	s_and_b32 s14, s6, exec_lo
	s_and_b32 s22, s29, exec_lo
	s_and_b32 s7, s23, exec_lo
	s_and_b32 s12, s15, exec_lo
	s_and_b32 s11, s11, exec_lo
	s_and_b32 s10, s10, exec_lo
	s_and_b32 s13, s13, exec_lo
	s_and_b32 s9, s9, exec_lo
	s_and_b32 s8, s8, exec_lo
.LBB16_49:
	s_or_b32 exec_lo, exec_lo, s21
	s_delay_alu instid0(SALU_CYCLE_1)
	s_and_b32 s15, s5, exec_lo
	s_and_b32 s14, s14, exec_lo
	;; [unrolled: 1-line block ×10, first 2 shown]
.LBB16_50:
	s_or_b32 exec_lo, exec_lo, s20
	s_delay_alu instid0(SALU_CYCLE_1)
	s_and_b32 s20, s4, exec_lo
	s_and_b32 s15, s15, exec_lo
	;; [unrolled: 1-line block ×11, first 2 shown]
.LBB16_51:
	s_or_b32 exec_lo, exec_lo, s19
	s_delay_alu instid0(SALU_CYCLE_1)
	s_and_b32 s21, s3, exec_lo
	s_and_b32 s20, s20, exec_lo
	;; [unrolled: 1-line block ×12, first 2 shown]
.LBB16_52:
	s_or_b32 exec_lo, exec_lo, s18
	s_wait_loadcnt 0x0
	v_dual_mov_b32 v4, v3 :: v_dual_mov_b32 v3, v2
	s_and_b32 s15, s2, exec_lo
	s_and_b32 s33, s21, exec_lo
	;; [unrolled: 1-line block ×13, first 2 shown]
.LBB16_53:
	s_or_b32 exec_lo, exec_lo, s28
	s_delay_alu instid0(SALU_CYCLE_1)
	s_and_b32 s14, s1, exec_lo
	s_and_b32 s15, s15, exec_lo
	;; [unrolled: 1-line block ×14, first 2 shown]
.LBB16_54:
	s_or_b32 exec_lo, exec_lo, s27
	s_delay_alu instid0(SALU_CYCLE_1)
	s_and_b32 s2, s2, exec_lo
	s_and_b32 s4, s13, exec_lo
	;; [unrolled: 1-line block ×15, first 2 shown]
	s_or_b32 exec_lo, exec_lo, s25
	s_and_saveexec_b32 s15, vcc_lo
	s_cbranch_execz .LBB16_7
.LBB16_55:
	s_wait_loadcnt 0x0
	v_cndmask_b32_e64 v2, v13, v12, s0
	v_mov_b32_e32 v0, v1
	global_store_b32 v10, v2, s[16:17] scale_offset
	s_wait_xcnt 0x0
	s_or_b32 exec_lo, exec_lo, s15
	s_delay_alu instid0(SALU_CYCLE_1)
	s_mov_b32 s0, exec_lo
	v_cmpx_gt_i32_e64 s26, v0
	s_cbranch_execz .LBB16_8
.LBB16_56:
	s_wait_loadcnt 0x0
	v_dual_cndmask_b32 v1, v11, v14, s14 :: v_dual_add_nc_u32 v2, s24, v0
	v_add_nc_u32_e32 v0, 0x100, v0
	global_store_b32 v2, v1, s[16:17] scale_offset
	s_wait_xcnt 0x0
	s_or_b32 exec_lo, exec_lo, s0
	s_delay_alu instid0(SALU_CYCLE_1)
	s_mov_b32 s0, exec_lo
	v_cmpx_gt_i32_e64 s26, v0
	s_cbranch_execz .LBB16_9
.LBB16_57:
	v_dual_cndmask_b32 v1, v3, v15, s13 :: v_dual_add_nc_u32 v2, s24, v0
	v_add_nc_u32_e32 v0, 0x100, v0
	global_store_b32 v2, v1, s[16:17] scale_offset
	s_wait_xcnt 0x0
	s_or_b32 exec_lo, exec_lo, s0
	s_delay_alu instid0(SALU_CYCLE_1)
	s_mov_b32 s0, exec_lo
	v_cmpx_gt_i32_e64 s26, v0
	s_cbranch_execz .LBB16_10
.LBB16_58:
	v_dual_cndmask_b32 v1, v4, v17, s12 :: v_dual_add_nc_u32 v2, s24, v0
	v_add_nc_u32_e32 v0, 0x100, v0
	global_store_b32 v2, v1, s[16:17] scale_offset
	s_wait_xcnt 0x0
	s_or_b32 exec_lo, exec_lo, s0
	s_delay_alu instid0(SALU_CYCLE_1)
	s_mov_b32 s0, exec_lo
	v_cmpx_gt_i32_e64 s26, v0
	s_cbranch_execz .LBB16_11
.LBB16_59:
	v_dual_cndmask_b32 v1, v16, v19, s11 :: v_dual_add_nc_u32 v2, s24, v0
	v_add_nc_u32_e32 v0, 0x100, v0
	global_store_b32 v2, v1, s[16:17] scale_offset
	s_wait_xcnt 0x0
	s_or_b32 exec_lo, exec_lo, s0
	s_delay_alu instid0(SALU_CYCLE_1)
	s_mov_b32 s0, exec_lo
	v_cmpx_gt_i32_e64 s26, v0
	s_cbranch_execz .LBB16_12
.LBB16_60:
	v_dual_cndmask_b32 v1, v18, v21, s10 :: v_dual_add_nc_u32 v2, s24, v0
	v_add_nc_u32_e32 v0, 0x100, v0
	global_store_b32 v2, v1, s[16:17] scale_offset
	s_wait_xcnt 0x0
	s_or_b32 exec_lo, exec_lo, s0
	s_delay_alu instid0(SALU_CYCLE_1)
	s_mov_b32 s0, exec_lo
	v_cmpx_gt_i32_e64 s26, v0
	s_cbranch_execz .LBB16_13
.LBB16_61:
	v_dual_cndmask_b32 v1, v20, v23, s9 :: v_dual_add_nc_u32 v2, s24, v0
	v_add_nc_u32_e32 v0, 0x100, v0
	global_store_b32 v2, v1, s[16:17] scale_offset
	s_wait_xcnt 0x0
	s_or_b32 exec_lo, exec_lo, s0
	s_delay_alu instid0(SALU_CYCLE_1)
	s_mov_b32 s0, exec_lo
	v_cmpx_gt_i32_e64 s26, v0
	s_cbranch_execz .LBB16_14
.LBB16_62:
	v_cndmask_b32_e64 v1, v22, v24, s8
	v_add_nc_u32_e32 v2, s24, v0
	v_add_nc_u32_e32 v0, 0x100, v0
	global_store_b32 v2, v1, s[16:17] scale_offset
	s_wait_xcnt 0x0
	s_or_b32 exec_lo, exec_lo, s0
	s_delay_alu instid0(SALU_CYCLE_1)
	s_mov_b32 s0, exec_lo
	v_cmpx_gt_i32_e64 s26, v0
	s_cbranch_execz .LBB16_15
.LBB16_63:
	v_dual_cndmask_b32 v1, v25, v26, s7 :: v_dual_add_nc_u32 v2, s24, v0
	v_add_nc_u32_e32 v0, 0x100, v0
	global_store_b32 v2, v1, s[16:17] scale_offset
	s_wait_xcnt 0x0
	s_or_b32 exec_lo, exec_lo, s0
	s_delay_alu instid0(SALU_CYCLE_1)
	s_mov_b32 s0, exec_lo
	v_cmpx_gt_i32_e64 s26, v0
	s_cbranch_execz .LBB16_16
.LBB16_64:
	v_cndmask_b32_e64 v1, v27, v28, s6
	v_add_nc_u32_e32 v2, s24, v0
	v_add_nc_u32_e32 v0, 0x100, v0
	global_store_b32 v2, v1, s[16:17] scale_offset
	s_wait_xcnt 0x0
	s_or_b32 exec_lo, exec_lo, s0
	s_delay_alu instid0(SALU_CYCLE_1)
	s_mov_b32 s0, exec_lo
	v_cmpx_gt_i32_e64 s26, v0
	s_cbranch_execz .LBB16_17
.LBB16_65:
	v_dual_cndmask_b32 v1, v29, v30, s5 :: v_dual_add_nc_u32 v2, s24, v0
	v_add_nc_u32_e32 v0, 0x100, v0
	global_store_b32 v2, v1, s[16:17] scale_offset
	s_wait_xcnt 0x0
	s_or_b32 exec_lo, exec_lo, s0
	s_delay_alu instid0(SALU_CYCLE_1)
	s_mov_b32 s0, exec_lo
	v_cmpx_gt_i32_e64 s26, v0
	s_cbranch_execz .LBB16_18
.LBB16_66:
	v_cndmask_b32_e64 v1, v31, v32, s3
	v_add_nc_u32_e32 v2, s24, v0
	v_add_nc_u32_e32 v0, 0x100, v0
	global_store_b32 v2, v1, s[16:17] scale_offset
	s_wait_xcnt 0x0
	s_or_b32 exec_lo, exec_lo, s0
	s_delay_alu instid0(SALU_CYCLE_1)
	s_mov_b32 s0, exec_lo
	v_cmpx_gt_i32_e64 s26, v0
	s_cbranch_execz .LBB16_19
.LBB16_67:
	v_dual_cndmask_b32 v1, v33, v34, s1 :: v_dual_add_nc_u32 v2, s24, v0
	v_add_nc_u32_e32 v0, 0x100, v0
	global_store_b32 v2, v1, s[16:17] scale_offset
	s_wait_xcnt 0x0
	s_or_b32 exec_lo, exec_lo, s0
	s_delay_alu instid0(SALU_CYCLE_1)
	s_mov_b32 s0, exec_lo
	v_cmpx_gt_i32_e64 s26, v0
	s_cbranch_execz .LBB16_20
.LBB16_68:
	v_cndmask_b32_e64 v1, v35, v36, s4
	v_add_nc_u32_e32 v2, s24, v0
	v_add_nc_u32_e32 v0, 0x100, v0
	global_store_b32 v2, v1, s[16:17] scale_offset
	s_wait_xcnt 0x0
	s_or_b32 exec_lo, exec_lo, s0
	s_delay_alu instid0(SALU_CYCLE_1)
	s_mov_b32 s0, exec_lo
	v_cmpx_gt_i32_e64 s26, v0
	s_cbranch_execz .LBB16_21
.LBB16_69:
	v_dual_cndmask_b32 v1, v37, v38, s2 :: v_dual_add_nc_u32 v2, s24, v0
	v_add_nc_u32_e32 v0, 0x100, v0
	global_store_b32 v2, v1, s[16:17] scale_offset
	s_wait_xcnt 0x0
	s_or_b32 exec_lo, exec_lo, s0
	s_delay_alu instid0(SALU_CYCLE_1)
	s_mov_b32 s0, exec_lo
	v_cmpx_gt_i32_e64 s26, v0
	s_cbranch_execnz .LBB16_22
	s_branch .LBB16_23
	.section	.rodata,"a",@progbits
	.p2align	6, 0x0
	.amdhsa_kernel _ZN2at6native29vectorized_elementwise_kernelILi4EZZZNS0_12_GLOBAL__N_117where_kernel_implERNS_14TensorIteratorEENKUlvE_clEvENKUlvE1_clEvEUlbjjE_St5arrayIPcLm4EEEEviT0_T1_
		.amdhsa_group_segment_fixed_size 0
		.amdhsa_private_segment_fixed_size 0
		.amdhsa_kernarg_size 40
		.amdhsa_user_sgpr_count 2
		.amdhsa_user_sgpr_dispatch_ptr 0
		.amdhsa_user_sgpr_queue_ptr 0
		.amdhsa_user_sgpr_kernarg_segment_ptr 1
		.amdhsa_user_sgpr_dispatch_id 0
		.amdhsa_user_sgpr_kernarg_preload_length 0
		.amdhsa_user_sgpr_kernarg_preload_offset 0
		.amdhsa_user_sgpr_private_segment_size 0
		.amdhsa_wavefront_size32 1
		.amdhsa_uses_dynamic_stack 0
		.amdhsa_enable_private_segment 0
		.amdhsa_system_sgpr_workgroup_id_x 1
		.amdhsa_system_sgpr_workgroup_id_y 0
		.amdhsa_system_sgpr_workgroup_id_z 0
		.amdhsa_system_sgpr_workgroup_info 0
		.amdhsa_system_vgpr_workitem_id 0
		.amdhsa_next_free_vgpr 49
		.amdhsa_next_free_sgpr 37
		.amdhsa_named_barrier_count 0
		.amdhsa_reserve_vcc 1
		.amdhsa_float_round_mode_32 0
		.amdhsa_float_round_mode_16_64 0
		.amdhsa_float_denorm_mode_32 3
		.amdhsa_float_denorm_mode_16_64 3
		.amdhsa_fp16_overflow 0
		.amdhsa_memory_ordered 1
		.amdhsa_forward_progress 1
		.amdhsa_inst_pref_size 39
		.amdhsa_round_robin_scheduling 0
		.amdhsa_exception_fp_ieee_invalid_op 0
		.amdhsa_exception_fp_denorm_src 0
		.amdhsa_exception_fp_ieee_div_zero 0
		.amdhsa_exception_fp_ieee_overflow 0
		.amdhsa_exception_fp_ieee_underflow 0
		.amdhsa_exception_fp_ieee_inexact 0
		.amdhsa_exception_int_div_zero 0
	.end_amdhsa_kernel
	.section	.text._ZN2at6native29vectorized_elementwise_kernelILi4EZZZNS0_12_GLOBAL__N_117where_kernel_implERNS_14TensorIteratorEENKUlvE_clEvENKUlvE1_clEvEUlbjjE_St5arrayIPcLm4EEEEviT0_T1_,"axG",@progbits,_ZN2at6native29vectorized_elementwise_kernelILi4EZZZNS0_12_GLOBAL__N_117where_kernel_implERNS_14TensorIteratorEENKUlvE_clEvENKUlvE1_clEvEUlbjjE_St5arrayIPcLm4EEEEviT0_T1_,comdat
.Lfunc_end16:
	.size	_ZN2at6native29vectorized_elementwise_kernelILi4EZZZNS0_12_GLOBAL__N_117where_kernel_implERNS_14TensorIteratorEENKUlvE_clEvENKUlvE1_clEvEUlbjjE_St5arrayIPcLm4EEEEviT0_T1_, .Lfunc_end16-_ZN2at6native29vectorized_elementwise_kernelILi4EZZZNS0_12_GLOBAL__N_117where_kernel_implERNS_14TensorIteratorEENKUlvE_clEvENKUlvE1_clEvEUlbjjE_St5arrayIPcLm4EEEEviT0_T1_
                                        ; -- End function
	.set _ZN2at6native29vectorized_elementwise_kernelILi4EZZZNS0_12_GLOBAL__N_117where_kernel_implERNS_14TensorIteratorEENKUlvE_clEvENKUlvE1_clEvEUlbjjE_St5arrayIPcLm4EEEEviT0_T1_.num_vgpr, 49
	.set _ZN2at6native29vectorized_elementwise_kernelILi4EZZZNS0_12_GLOBAL__N_117where_kernel_implERNS_14TensorIteratorEENKUlvE_clEvENKUlvE1_clEvEUlbjjE_St5arrayIPcLm4EEEEviT0_T1_.num_agpr, 0
	.set _ZN2at6native29vectorized_elementwise_kernelILi4EZZZNS0_12_GLOBAL__N_117where_kernel_implERNS_14TensorIteratorEENKUlvE_clEvENKUlvE1_clEvEUlbjjE_St5arrayIPcLm4EEEEviT0_T1_.numbered_sgpr, 37
	.set _ZN2at6native29vectorized_elementwise_kernelILi4EZZZNS0_12_GLOBAL__N_117where_kernel_implERNS_14TensorIteratorEENKUlvE_clEvENKUlvE1_clEvEUlbjjE_St5arrayIPcLm4EEEEviT0_T1_.num_named_barrier, 0
	.set _ZN2at6native29vectorized_elementwise_kernelILi4EZZZNS0_12_GLOBAL__N_117where_kernel_implERNS_14TensorIteratorEENKUlvE_clEvENKUlvE1_clEvEUlbjjE_St5arrayIPcLm4EEEEviT0_T1_.private_seg_size, 0
	.set _ZN2at6native29vectorized_elementwise_kernelILi4EZZZNS0_12_GLOBAL__N_117where_kernel_implERNS_14TensorIteratorEENKUlvE_clEvENKUlvE1_clEvEUlbjjE_St5arrayIPcLm4EEEEviT0_T1_.uses_vcc, 1
	.set _ZN2at6native29vectorized_elementwise_kernelILi4EZZZNS0_12_GLOBAL__N_117where_kernel_implERNS_14TensorIteratorEENKUlvE_clEvENKUlvE1_clEvEUlbjjE_St5arrayIPcLm4EEEEviT0_T1_.uses_flat_scratch, 0
	.set _ZN2at6native29vectorized_elementwise_kernelILi4EZZZNS0_12_GLOBAL__N_117where_kernel_implERNS_14TensorIteratorEENKUlvE_clEvENKUlvE1_clEvEUlbjjE_St5arrayIPcLm4EEEEviT0_T1_.has_dyn_sized_stack, 0
	.set _ZN2at6native29vectorized_elementwise_kernelILi4EZZZNS0_12_GLOBAL__N_117where_kernel_implERNS_14TensorIteratorEENKUlvE_clEvENKUlvE1_clEvEUlbjjE_St5arrayIPcLm4EEEEviT0_T1_.has_recursion, 0
	.set _ZN2at6native29vectorized_elementwise_kernelILi4EZZZNS0_12_GLOBAL__N_117where_kernel_implERNS_14TensorIteratorEENKUlvE_clEvENKUlvE1_clEvEUlbjjE_St5arrayIPcLm4EEEEviT0_T1_.has_indirect_call, 0
	.section	.AMDGPU.csdata,"",@progbits
; Kernel info:
; codeLenInByte = 4992
; TotalNumSgprs: 39
; NumVgprs: 49
; ScratchSize: 0
; MemoryBound: 0
; FloatMode: 240
; IeeeMode: 1
; LDSByteSize: 0 bytes/workgroup (compile time only)
; SGPRBlocks: 0
; VGPRBlocks: 3
; NumSGPRsForWavesPerEU: 39
; NumVGPRsForWavesPerEU: 49
; NamedBarCnt: 0
; Occupancy: 16
; WaveLimiterHint : 1
; COMPUTE_PGM_RSRC2:SCRATCH_EN: 0
; COMPUTE_PGM_RSRC2:USER_SGPR: 2
; COMPUTE_PGM_RSRC2:TRAP_HANDLER: 0
; COMPUTE_PGM_RSRC2:TGID_X_EN: 1
; COMPUTE_PGM_RSRC2:TGID_Y_EN: 0
; COMPUTE_PGM_RSRC2:TGID_Z_EN: 0
; COMPUTE_PGM_RSRC2:TIDIG_COMP_CNT: 0
	.section	.text._ZN2at6native29vectorized_elementwise_kernelILi2EZZZNS0_12_GLOBAL__N_117where_kernel_implERNS_14TensorIteratorEENKUlvE_clEvENKUlvE1_clEvEUlbjjE_St5arrayIPcLm4EEEEviT0_T1_,"axG",@progbits,_ZN2at6native29vectorized_elementwise_kernelILi2EZZZNS0_12_GLOBAL__N_117where_kernel_implERNS_14TensorIteratorEENKUlvE_clEvENKUlvE1_clEvEUlbjjE_St5arrayIPcLm4EEEEviT0_T1_,comdat
	.globl	_ZN2at6native29vectorized_elementwise_kernelILi2EZZZNS0_12_GLOBAL__N_117where_kernel_implERNS_14TensorIteratorEENKUlvE_clEvENKUlvE1_clEvEUlbjjE_St5arrayIPcLm4EEEEviT0_T1_ ; -- Begin function _ZN2at6native29vectorized_elementwise_kernelILi2EZZZNS0_12_GLOBAL__N_117where_kernel_implERNS_14TensorIteratorEENKUlvE_clEvENKUlvE1_clEvEUlbjjE_St5arrayIPcLm4EEEEviT0_T1_
	.p2align	8
	.type	_ZN2at6native29vectorized_elementwise_kernelILi2EZZZNS0_12_GLOBAL__N_117where_kernel_implERNS_14TensorIteratorEENKUlvE_clEvENKUlvE1_clEvEUlbjjE_St5arrayIPcLm4EEEEviT0_T1_,@function
_ZN2at6native29vectorized_elementwise_kernelILi2EZZZNS0_12_GLOBAL__N_117where_kernel_implERNS_14TensorIteratorEENKUlvE_clEvENKUlvE1_clEvEUlbjjE_St5arrayIPcLm4EEEEviT0_T1_: ; @_ZN2at6native29vectorized_elementwise_kernelILi2EZZZNS0_12_GLOBAL__N_117where_kernel_implERNS_14TensorIteratorEENKUlvE_clEvENKUlvE1_clEvEUlbjjE_St5arrayIPcLm4EEEEviT0_T1_
; %bb.0:
	s_clause 0x1
	s_load_b32 s2, s[0:1], 0x0
	s_load_b256 s[16:23], s[0:1], 0x8
	s_wait_xcnt 0x0
	s_bfe_u32 s0, ttmp6, 0x4000c
	s_and_b32 s1, ttmp6, 15
	s_add_co_i32 s0, s0, 1
	s_getreg_b32 s3, hwreg(HW_REG_IB_STS2, 6, 4)
	s_mul_i32 s0, ttmp9, s0
	s_delay_alu instid0(SALU_CYCLE_1) | instskip(SKIP_2) | instid1(SALU_CYCLE_1)
	s_add_co_i32 s1, s1, s0
	s_cmp_eq_u32 s3, 0
	s_cselect_b32 s0, ttmp9, s1
	s_lshl_b32 s24, s0, 12
	s_mov_b32 s0, -1
	s_wait_kmcnt 0x0
	s_sub_co_i32 s26, s2, s24
	s_delay_alu instid0(SALU_CYCLE_1)
	s_cmp_gt_i32 s26, 0xfff
	s_cbranch_scc0 .LBB17_2
; %bb.1:
	s_ashr_i32 s25, s24, 31
	s_delay_alu instid0(SALU_CYCLE_1)
	s_add_nc_u64 s[0:1], s[18:19], s[24:25]
	s_lshl_b64 s[2:3], s[24:25], 2
	s_clause 0x7
	global_load_u16 v1, v0, s[0:1] scale_offset
	global_load_u16 v34, v0, s[0:1] offset:512 scale_offset
	global_load_u16 v35, v0, s[0:1] offset:1024 scale_offset
	global_load_u16 v36, v0, s[0:1] offset:1536 scale_offset
	global_load_u16 v37, v0, s[0:1] offset:2048 scale_offset
	global_load_u16 v38, v0, s[0:1] offset:2560 scale_offset
	global_load_u16 v39, v0, s[0:1] offset:3072 scale_offset
	global_load_u16 v40, v0, s[0:1] offset:3584 scale_offset
	s_wait_xcnt 0x0
	s_add_nc_u64 s[0:1], s[22:23], s[2:3]
	s_add_nc_u64 s[4:5], s[20:21], s[2:3]
	s_clause 0xf
	global_load_b64 v[2:3], v0, s[0:1] scale_offset
	global_load_b64 v[4:5], v0, s[4:5] scale_offset
	global_load_b64 v[6:7], v0, s[4:5] offset:2048 scale_offset
	global_load_b64 v[8:9], v0, s[0:1] offset:2048 scale_offset
	;; [unrolled: 1-line block ×13, first 2 shown]
	; meta instruction
	global_load_b64 v[32:33], v0, s[0:1] offset:14336 scale_offset
	s_add_nc_u64 s[2:3], s[16:17], s[2:3]
	s_wait_xcnt 0x0
	s_mov_b32 s0, 0
	s_wait_loadcnt 0x17
	v_cmp_lt_u16_e32 vcc_lo, 0xff, v1
	v_and_b32_e32 v41, 0xff, v1
	s_wait_loadcnt 0x16
	v_and_b32_e32 v42, 0xff, v34
	s_wait_loadcnt 0x15
	v_and_b32_e32 v43, 0xff, v35
	s_wait_loadcnt 0x14
	v_and_b32_e32 v44, 0xff, v36
	s_wait_loadcnt 0xe
	v_cndmask_b32_e32 v3, v3, v5, vcc_lo
	v_cmp_lt_u16_e32 vcc_lo, 0xff, v34
	v_and_b32_e32 v45, 0xff, v37
	v_and_b32_e32 v46, 0xff, v38
	;; [unrolled: 1-line block ×4, first 2 shown]
	s_wait_loadcnt 0xc
	v_cndmask_b32_e32 v5, v9, v7, vcc_lo
	v_cmp_lt_u16_e32 vcc_lo, 0xff, v35
	s_wait_loadcnt 0xa
	v_cndmask_b32_e32 v7, v11, v13, vcc_lo
	v_cmp_lt_u16_e32 vcc_lo, 0xff, v36
	;; [unrolled: 3-line block ×6, first 2 shown]
	s_wait_loadcnt 0x0
	v_cndmask_b32_e32 v17, v33, v31, vcc_lo
	v_cmp_eq_u16_e32 vcc_lo, 0, v41
	v_cndmask_b32_e32 v2, v4, v2, vcc_lo
	v_cmp_eq_u16_e32 vcc_lo, 0, v42
	;; [unrolled: 2-line block ×8, first 2 shown]
	v_cndmask_b32_e32 v16, v30, v32, vcc_lo
	s_clause 0x7
	global_store_b64 v0, v[2:3], s[2:3] scale_offset
	global_store_b64 v0, v[4:5], s[2:3] offset:2048 scale_offset
	global_store_b64 v0, v[6:7], s[2:3] offset:4096 scale_offset
	;; [unrolled: 1-line block ×7, first 2 shown]
.LBB17_2:
	s_and_not1_b32 vcc_lo, exec_lo, s0
	s_cbranch_vccnz .LBB17_23
; %bb.3:
	v_cmp_le_i32_e64 s0, s26, v0
	v_or_b32_e32 v1, 0x100, v0
	v_cmp_gt_i32_e32 vcc_lo, s26, v0
	s_wait_xcnt 0x0
	s_and_saveexec_b32 s1, s0
	s_delay_alu instid0(SALU_CYCLE_1)
	s_xor_b32 s0, exec_lo, s1
; %bb.4:
	v_or_b32_e32 v1, 0x100, v0
; %bb.5:
	s_or_saveexec_b32 s25, s0
	v_dual_mov_b32 v39, 0 :: v_dual_bitop2_b32 v10, s24, v0 bitop3:0x54
	v_dual_mov_b32 v38, 0 :: v_dual_mov_b32 v37, 0
	v_dual_mov_b32 v36, 0 :: v_dual_mov_b32 v35, 0
	;; [unrolled: 1-line block ×15, first 2 shown]
	s_mov_b32 s0, 0
	s_mov_b32 s14, 0
	;; [unrolled: 1-line block ×15, first 2 shown]
	s_xor_b32 exec_lo, exec_lo, s25
	s_cbranch_execnz .LBB17_24
; %bb.6:
	s_or_b32 exec_lo, exec_lo, s25
	s_and_saveexec_b32 s15, vcc_lo
	s_cbranch_execnz .LBB17_55
.LBB17_7:
	s_or_b32 exec_lo, exec_lo, s15
	s_delay_alu instid0(SALU_CYCLE_1)
	s_mov_b32 s0, exec_lo
	v_cmpx_gt_i32_e64 s26, v0
	s_cbranch_execnz .LBB17_56
.LBB17_8:
	s_or_b32 exec_lo, exec_lo, s0
	s_delay_alu instid0(SALU_CYCLE_1)
	s_mov_b32 s0, exec_lo
	v_cmpx_gt_i32_e64 s26, v0
	s_cbranch_execnz .LBB17_57
.LBB17_9:
	s_or_b32 exec_lo, exec_lo, s0
	s_delay_alu instid0(SALU_CYCLE_1)
	s_mov_b32 s0, exec_lo
	v_cmpx_gt_i32_e64 s26, v0
	s_cbranch_execnz .LBB17_58
.LBB17_10:
	s_or_b32 exec_lo, exec_lo, s0
	s_delay_alu instid0(SALU_CYCLE_1)
	s_mov_b32 s0, exec_lo
	v_cmpx_gt_i32_e64 s26, v0
	s_cbranch_execnz .LBB17_59
.LBB17_11:
	s_or_b32 exec_lo, exec_lo, s0
	s_delay_alu instid0(SALU_CYCLE_1)
	s_mov_b32 s0, exec_lo
	v_cmpx_gt_i32_e64 s26, v0
	s_cbranch_execnz .LBB17_60
.LBB17_12:
	s_or_b32 exec_lo, exec_lo, s0
	s_delay_alu instid0(SALU_CYCLE_1)
	s_mov_b32 s0, exec_lo
	v_cmpx_gt_i32_e64 s26, v0
	s_cbranch_execnz .LBB17_61
.LBB17_13:
	s_or_b32 exec_lo, exec_lo, s0
	s_delay_alu instid0(SALU_CYCLE_1)
	s_mov_b32 s0, exec_lo
	v_cmpx_gt_i32_e64 s26, v0
	s_cbranch_execnz .LBB17_62
.LBB17_14:
	s_or_b32 exec_lo, exec_lo, s0
	s_delay_alu instid0(SALU_CYCLE_1)
	s_mov_b32 s0, exec_lo
	v_cmpx_gt_i32_e64 s26, v0
	s_cbranch_execnz .LBB17_63
.LBB17_15:
	s_or_b32 exec_lo, exec_lo, s0
	s_delay_alu instid0(SALU_CYCLE_1)
	s_mov_b32 s0, exec_lo
	v_cmpx_gt_i32_e64 s26, v0
	s_cbranch_execnz .LBB17_64
.LBB17_16:
	s_or_b32 exec_lo, exec_lo, s0
	s_delay_alu instid0(SALU_CYCLE_1)
	s_mov_b32 s0, exec_lo
	v_cmpx_gt_i32_e64 s26, v0
	s_cbranch_execnz .LBB17_65
.LBB17_17:
	s_or_b32 exec_lo, exec_lo, s0
	s_delay_alu instid0(SALU_CYCLE_1)
	s_mov_b32 s0, exec_lo
	v_cmpx_gt_i32_e64 s26, v0
	s_cbranch_execnz .LBB17_66
.LBB17_18:
	s_or_b32 exec_lo, exec_lo, s0
	s_delay_alu instid0(SALU_CYCLE_1)
	s_mov_b32 s0, exec_lo
	v_cmpx_gt_i32_e64 s26, v0
	s_cbranch_execnz .LBB17_67
.LBB17_19:
	s_or_b32 exec_lo, exec_lo, s0
	s_delay_alu instid0(SALU_CYCLE_1)
	s_mov_b32 s0, exec_lo
	v_cmpx_gt_i32_e64 s26, v0
	s_cbranch_execnz .LBB17_68
.LBB17_20:
	s_or_b32 exec_lo, exec_lo, s0
	s_delay_alu instid0(SALU_CYCLE_1)
	s_mov_b32 s0, exec_lo
	v_cmpx_gt_i32_e64 s26, v0
	s_cbranch_execnz .LBB17_69
.LBB17_21:
	s_or_b32 exec_lo, exec_lo, s0
	s_delay_alu instid0(SALU_CYCLE_1)
	s_mov_b32 s0, exec_lo
	v_cmpx_gt_i32_e64 s26, v0
	s_cbranch_execz .LBB17_23
.LBB17_22:
	v_add_nc_u32_e32 v0, s24, v0
	global_store_b32 v0, v39, s[16:17] scale_offset
.LBB17_23:
	s_endpgm
.LBB17_24:
	s_clause 0x2
	global_load_u8 v2, v10, s[18:19]
	global_load_b32 v12, v10, s[20:21] scale_offset
	global_load_b32 v13, v10, s[22:23] scale_offset
	v_cmp_gt_u32_e64 s1, s26, v1
	v_dual_mov_b32 v11, 0 :: v_dual_mov_b32 v14, 0
	v_dual_mov_b32 v3, 0 :: v_dual_mov_b32 v15, 0
	;; [unrolled: 1-line block ×14, first 2 shown]
	v_mov_b32_e32 v39, 0
	s_mov_b32 s28, 0
	s_mov_b32 s15, 0
	s_wait_loadcnt 0x2
	v_cmp_ne_u16_e64 s0, 0, v2
	s_wait_xcnt 0x0
	s_and_saveexec_b32 s27, s1
	s_cbranch_execz .LBB17_54
; %bb.25:
	v_dual_mov_b32 v3, 0 :: v_dual_add_nc_u32 v2, s24, v0
	v_or_b32_e32 v6, 0x200, v0
	v_dual_mov_b32 v15, 0 :: v_dual_mov_b32 v4, 0
	s_clause 0x2
	global_load_u8 v5, v2, s[18:19] offset:256
	global_load_b32 v14, v2, s[20:21] offset:1024 scale_offset
	global_load_b32 v11, v2, s[22:23] offset:1024 scale_offset
	v_dual_mov_b32 v17, 0 :: v_dual_mov_b32 v16, 0
	v_dual_mov_b32 v19, 0 :: v_dual_mov_b32 v18, 0
	;; [unrolled: 1-line block ×12, first 2 shown]
	s_mov_b32 s29, 0
	s_mov_b32 s30, 0
	;; [unrolled: 1-line block ×4, first 2 shown]
	s_mov_b32 s28, exec_lo
	s_wait_loadcnt 0x2
	v_cmp_ne_u16_e64 s1, 0, v5
	s_wait_xcnt 0x0
	v_cmpx_gt_u32_e64 s26, v6
	s_cbranch_execz .LBB17_53
; %bb.26:
	v_lshlrev_b64_e32 v[8:9], 2, v[2:3]
	v_add_nc_u64_e32 v[4:5], s[18:19], v[2:3]
	v_or_b32_e32 v38, 0x300, v0
	v_dual_mov_b32 v17, 0 :: v_dual_mov_b32 v16, 0
	v_dual_mov_b32 v19, 0 :: v_dual_mov_b32 v18, 0
	v_add_nc_u64_e32 v[6:7], s[20:21], v[8:9]
	v_add_nc_u64_e32 v[8:9], s[22:23], v[8:9]
	global_load_u8 v37, v[4:5], off offset:512
	v_dual_mov_b32 v21, 0 :: v_dual_mov_b32 v20, 0
	v_dual_mov_b32 v23, 0 :: v_dual_mov_b32 v22, 0
	global_load_b32 v15, v[6:7], off offset:2048
	global_load_b32 v2, v[8:9], off offset:2048
	v_dual_mov_b32 v24, 0 :: v_dual_mov_b32 v25, 0
	v_dual_mov_b32 v26, 0 :: v_dual_mov_b32 v27, 0
	v_dual_mov_b32 v28, 0 :: v_dual_mov_b32 v29, 0
	v_dual_mov_b32 v30, 0 :: v_dual_mov_b32 v31, 0
	v_dual_mov_b32 v32, 0 :: v_dual_mov_b32 v33, 0
	v_dual_mov_b32 v34, 0 :: v_dual_mov_b32 v35, 0
	v_mov_b32_e32 v36, 0
	v_cmp_gt_u32_e64 s3, s26, v38
	v_dual_mov_b32 v38, 0 :: v_dual_mov_b32 v39, 0
	s_mov_b32 s19, 0
	s_mov_b32 s20, 0
	;; [unrolled: 1-line block ×3, first 2 shown]
	s_wait_loadcnt 0x2
	v_cmp_ne_u16_e64 s2, 0, v37
	v_mov_b32_e32 v37, 0
	s_wait_xcnt 0x0
	s_and_saveexec_b32 s18, s3
	s_cbranch_execz .LBB17_52
; %bb.27:
	global_load_u8 v39, v[4:5], off offset:768
	global_load_b32 v17, v[6:7], off offset:3072
	global_load_b32 v3, v[8:9], off offset:3072
	v_or_b32_e32 v40, 0x400, v0
	v_dual_mov_b32 v16, 0 :: v_dual_mov_b32 v19, 0
	v_dual_mov_b32 v18, 0 :: v_dual_mov_b32 v21, 0
	;; [unrolled: 1-line block ×11, first 2 shown]
	s_mov_b32 s19, exec_lo
	s_wait_loadcnt 0x2
	v_cmp_ne_u16_e64 s3, 0, v39
	v_mov_b32_e32 v39, 0
	s_wait_xcnt 0x0
	v_cmpx_gt_u32_e64 s26, v40
	s_cbranch_execz .LBB17_51
; %bb.28:
	global_load_u8 v39, v[4:5], off offset:1024
	global_load_b32 v19, v[6:7], off offset:4096
	global_load_b32 v16, v[8:9], off offset:4096
	v_or_b32_e32 v40, 0x500, v0
	v_dual_mov_b32 v18, 0 :: v_dual_mov_b32 v21, 0
	v_dual_mov_b32 v20, 0 :: v_dual_mov_b32 v23, 0
	;; [unrolled: 1-line block ×10, first 2 shown]
	s_mov_b32 s20, exec_lo
	s_wait_loadcnt 0x2
	v_cmp_ne_u16_e64 s4, 0, v39
	v_mov_b32_e32 v39, 0
	s_wait_xcnt 0x0
	v_cmpx_gt_u32_e64 s26, v40
	s_cbranch_execz .LBB17_50
; %bb.29:
	global_load_u8 v39, v[4:5], off offset:1280
	global_load_b32 v21, v[6:7], off offset:5120
	global_load_b32 v18, v[8:9], off offset:5120
	v_or_b32_e32 v40, 0x600, v0
	v_dual_mov_b32 v20, 0 :: v_dual_mov_b32 v23, 0
	v_dual_mov_b32 v22, 0 :: v_dual_mov_b32 v24, 0
	;; [unrolled: 1-line block ×9, first 2 shown]
	s_mov_b32 s22, 0
	s_mov_b32 s21, exec_lo
	s_wait_loadcnt 0x2
	v_cmp_ne_u16_e64 s5, 0, v39
	v_mov_b32_e32 v39, 0
	s_wait_xcnt 0x0
	v_cmpx_gt_u32_e64 s26, v40
	s_cbranch_execz .LBB17_49
; %bb.30:
	global_load_u8 v39, v[4:5], off offset:1536
	global_load_b32 v23, v[6:7], off offset:6144
	global_load_b32 v20, v[8:9], off offset:6144
	v_or_b32_e32 v40, 0x700, v0
	v_dual_mov_b32 v22, 0 :: v_dual_mov_b32 v24, 0
	v_dual_mov_b32 v25, 0 :: v_dual_mov_b32 v26, 0
	;; [unrolled: 1-line block ×8, first 2 shown]
	s_mov_b32 s23, 0
	s_mov_b32 s22, exec_lo
	s_wait_loadcnt 0x2
	v_cmp_ne_u16_e64 s6, 0, v39
	v_mov_b32_e32 v39, 0
	s_wait_xcnt 0x0
	v_cmpx_gt_u32_e64 s26, v40
	s_cbranch_execz .LBB17_48
; %bb.31:
	global_load_u8 v39, v[4:5], off offset:1792
	global_load_b32 v24, v[6:7], off offset:7168
	global_load_b32 v22, v[8:9], off offset:7168
	v_or_b32_e32 v40, 0x800, v0
	v_dual_mov_b32 v25, 0 :: v_dual_mov_b32 v26, 0
	v_dual_mov_b32 v27, 0 :: v_dual_mov_b32 v28, 0
	;; [unrolled: 1-line block ×7, first 2 shown]
	s_mov_b32 s23, exec_lo
	s_wait_loadcnt 0x2
	v_cmp_ne_u16_e64 s7, 0, v39
	v_mov_b32_e32 v39, 0
	s_wait_xcnt 0x0
	v_cmpx_gt_u32_e64 s26, v40
	s_cbranch_execz .LBB17_47
; %bb.32:
	global_load_u8 v39, v[4:5], off offset:2048
	global_load_b32 v26, v[6:7], off offset:8192
	global_load_b32 v25, v[8:9], off offset:8192
	v_or_b32_e32 v40, 0x900, v0
	v_dual_mov_b32 v27, 0 :: v_dual_mov_b32 v28, 0
	v_dual_mov_b32 v29, 0 :: v_dual_mov_b32 v30, 0
	;; [unrolled: 1-line block ×6, first 2 shown]
	s_mov_b32 s29, exec_lo
	s_wait_loadcnt 0x2
	v_cmp_ne_u16_e64 s8, 0, v39
	v_mov_b32_e32 v39, 0
	s_wait_xcnt 0x0
	v_cmpx_gt_u32_e64 s26, v40
	s_cbranch_execz .LBB17_46
; %bb.33:
	global_load_u8 v39, v[4:5], off offset:2304
	global_load_b32 v28, v[6:7], off offset:9216
	global_load_b32 v27, v[8:9], off offset:9216
	v_or_b32_e32 v40, 0xa00, v0
	v_dual_mov_b32 v29, 0 :: v_dual_mov_b32 v30, 0
	v_dual_mov_b32 v31, 0 :: v_dual_mov_b32 v32, 0
	;; [unrolled: 1-line block ×5, first 2 shown]
	s_mov_b32 s30, exec_lo
	s_wait_loadcnt 0x2
	v_cmp_ne_u16_e64 s9, 0, v39
	v_mov_b32_e32 v39, 0
	s_wait_xcnt 0x0
	v_cmpx_gt_u32_e64 s26, v40
	s_cbranch_execz .LBB17_45
; %bb.34:
	global_load_u8 v39, v[4:5], off offset:2560
	global_load_b32 v30, v[6:7], off offset:10240
	global_load_b32 v29, v[8:9], off offset:10240
	v_or_b32_e32 v40, 0xb00, v0
	v_dual_mov_b32 v31, 0 :: v_dual_mov_b32 v32, 0
	v_dual_mov_b32 v33, 0 :: v_dual_mov_b32 v34, 0
	;; [unrolled: 1-line block ×4, first 2 shown]
	s_mov_b32 s31, exec_lo
	s_wait_loadcnt 0x2
	v_cmp_ne_u16_e64 s10, 0, v39
	v_mov_b32_e32 v39, 0
	s_wait_xcnt 0x0
	v_cmpx_gt_u32_e64 s26, v40
	s_cbranch_execz .LBB17_44
; %bb.35:
	global_load_u8 v39, v[4:5], off offset:2816
	global_load_b32 v32, v[6:7], off offset:11264
	global_load_b32 v31, v[8:9], off offset:11264
	v_or_b32_e32 v40, 0xc00, v0
	v_dual_mov_b32 v33, 0 :: v_dual_mov_b32 v34, 0
	v_dual_mov_b32 v35, 0 :: v_dual_mov_b32 v36, 0
	;; [unrolled: 1-line block ×3, first 2 shown]
	s_mov_b32 s33, exec_lo
	s_wait_loadcnt 0x2
	v_cmp_ne_u16_e64 s11, 0, v39
	v_mov_b32_e32 v39, 0
	s_wait_xcnt 0x0
	v_cmpx_gt_u32_e64 s26, v40
	s_cbranch_execz .LBB17_43
; %bb.36:
	global_load_u8 v39, v[4:5], off offset:3072
	global_load_b32 v34, v[6:7], off offset:12288
	global_load_b32 v33, v[8:9], off offset:12288
	v_or_b32_e32 v40, 0xd00, v0
	v_dual_mov_b32 v35, 0 :: v_dual_mov_b32 v36, 0
	v_dual_mov_b32 v37, 0 :: v_dual_mov_b32 v38, 0
	s_mov_b32 s35, 0
	s_mov_b32 s34, exec_lo
	s_wait_loadcnt 0x2
	v_cmp_ne_u16_e64 s12, 0, v39
	v_mov_b32_e32 v39, 0
	s_wait_xcnt 0x0
	v_cmpx_gt_u32_e64 s26, v40
	s_cbranch_execz .LBB17_42
; %bb.37:
	global_load_u8 v39, v[4:5], off offset:3328
	global_load_b32 v36, v[6:7], off offset:13312
	global_load_b32 v35, v[8:9], off offset:13312
	v_or_b32_e32 v40, 0xe00, v0
	v_dual_mov_b32 v37, 0 :: v_dual_mov_b32 v38, 0
	s_mov_b32 s35, exec_lo
	s_wait_loadcnt 0x2
	v_cmp_ne_u16_e64 s13, 0, v39
	v_mov_b32_e32 v39, 0
	s_wait_xcnt 0x0
	v_cmpx_gt_u32_e64 s26, v40
	s_cbranch_execz .LBB17_41
; %bb.38:
	global_load_u8 v39, v[4:5], off offset:3584
	global_load_b32 v38, v[6:7], off offset:14336
	global_load_b32 v37, v[8:9], off offset:14336
	v_or_b32_e32 v40, 0xf00, v0
	s_mov_b32 s36, exec_lo
	s_wait_loadcnt 0x2
	v_cmp_ne_u16_e64 s14, 0, v39
	v_mov_b32_e32 v39, 0
	s_wait_xcnt 0x0
	v_cmpx_gt_u32_e64 s26, v40
	s_cbranch_execz .LBB17_40
; %bb.39:
	global_load_u8 v39, v[4:5], off offset:3840
	global_load_b32 v40, v[6:7], off offset:15360
	global_load_b32 v41, v[8:9], off offset:15360
	s_wait_loadcnt 0x2
	v_cmp_eq_u16_e64 s15, 0, v39
	s_wait_loadcnt 0x0
	s_delay_alu instid0(VALU_DEP_1)
	v_cndmask_b32_e64 v39, v40, v41, s15
.LBB17_40:
	s_wait_xcnt 0x0
	s_or_b32 exec_lo, exec_lo, s36
	s_delay_alu instid0(SALU_CYCLE_1)
	s_and_b32 s15, s14, exec_lo
.LBB17_41:
	s_or_b32 exec_lo, exec_lo, s35
	s_delay_alu instid0(SALU_CYCLE_1)
	s_and_b32 s14, s13, exec_lo
	s_and_b32 s35, s15, exec_lo
.LBB17_42:
	s_or_b32 exec_lo, exec_lo, s34
	s_delay_alu instid0(SALU_CYCLE_1)
	s_and_b32 s15, s12, exec_lo
	s_and_b32 s14, s14, exec_lo
	;; [unrolled: 1-line block ×3, first 2 shown]
.LBB17_43:
	s_or_b32 exec_lo, exec_lo, s33
	s_delay_alu instid0(SALU_CYCLE_1)
	s_and_b32 s33, s11, exec_lo
	s_and_b32 s15, s15, exec_lo
	;; [unrolled: 1-line block ×4, first 2 shown]
.LBB17_44:
	s_or_b32 exec_lo, exec_lo, s31
	s_delay_alu instid0(SALU_CYCLE_1)
	s_and_b32 s14, s10, exec_lo
	s_and_b32 s33, s33, exec_lo
	;; [unrolled: 1-line block ×5, first 2 shown]
.LBB17_45:
	s_or_b32 exec_lo, exec_lo, s30
	s_delay_alu instid0(SALU_CYCLE_1)
	s_and_b32 s15, s9, exec_lo
	s_and_b32 s14, s14, exec_lo
	;; [unrolled: 1-line block ×6, first 2 shown]
.LBB17_46:
	s_or_b32 exec_lo, exec_lo, s29
	s_delay_alu instid0(SALU_CYCLE_1)
	s_and_b32 s30, s8, exec_lo
	s_and_b32 s15, s15, exec_lo
	;; [unrolled: 1-line block ×7, first 2 shown]
.LBB17_47:
	s_or_b32 exec_lo, exec_lo, s23
	s_delay_alu instid0(SALU_CYCLE_1)
	s_and_b32 s29, s7, exec_lo
	s_and_b32 s23, s30, exec_lo
	;; [unrolled: 1-line block ×8, first 2 shown]
.LBB17_48:
	s_or_b32 exec_lo, exec_lo, s22
	s_delay_alu instid0(SALU_CYCLE_1)
	s_and_b32 s14, s6, exec_lo
	s_and_b32 s22, s29, exec_lo
	;; [unrolled: 1-line block ×9, first 2 shown]
.LBB17_49:
	s_or_b32 exec_lo, exec_lo, s21
	s_delay_alu instid0(SALU_CYCLE_1)
	s_and_b32 s15, s5, exec_lo
	s_and_b32 s14, s14, exec_lo
	;; [unrolled: 1-line block ×10, first 2 shown]
.LBB17_50:
	s_or_b32 exec_lo, exec_lo, s20
	s_delay_alu instid0(SALU_CYCLE_1)
	s_and_b32 s20, s4, exec_lo
	s_and_b32 s15, s15, exec_lo
	;; [unrolled: 1-line block ×11, first 2 shown]
.LBB17_51:
	s_or_b32 exec_lo, exec_lo, s19
	s_delay_alu instid0(SALU_CYCLE_1)
	s_and_b32 s21, s3, exec_lo
	s_and_b32 s20, s20, exec_lo
	s_and_b32 s19, s15, exec_lo
	s_and_b32 s9, s14, exec_lo
	s_and_b32 s14, s13, exec_lo
	s_and_b32 s7, s7, exec_lo
	s_and_b32 s13, s12, exec_lo
	s_and_b32 s12, s11, exec_lo
	s_and_b32 s11, s10, exec_lo
	s_and_b32 s6, s6, exec_lo
	s_and_b32 s5, s5, exec_lo
	s_and_b32 s4, s8, exec_lo
.LBB17_52:
	s_or_b32 exec_lo, exec_lo, s18
	s_wait_loadcnt 0x0
	v_dual_mov_b32 v4, v3 :: v_dual_mov_b32 v3, v2
	s_and_b32 s15, s2, exec_lo
	s_and_b32 s33, s21, exec_lo
	;; [unrolled: 1-line block ×13, first 2 shown]
.LBB17_53:
	s_or_b32 exec_lo, exec_lo, s28
	s_delay_alu instid0(SALU_CYCLE_1)
	s_and_b32 s14, s1, exec_lo
	s_and_b32 s15, s15, exec_lo
	s_and_b32 s28, s33, exec_lo
	s_and_b32 s11, s31, exec_lo
	s_and_b32 s10, s10, exec_lo
	s_and_b32 s9, s9, exec_lo
	s_and_b32 s8, s8, exec_lo
	s_and_b32 s7, s7, exec_lo
	s_and_b32 s6, s13, exec_lo
	s_and_b32 s5, s12, exec_lo
	s_and_b32 s3, s3, exec_lo
	s_and_b32 s12, s30, exec_lo
	s_and_b32 s13, s29, exec_lo
	s_and_b32 s2, s4, exec_lo
.LBB17_54:
	s_or_b32 exec_lo, exec_lo, s27
	s_delay_alu instid0(SALU_CYCLE_1)
	s_and_b32 s2, s2, exec_lo
	s_and_b32 s4, s13, exec_lo
	;; [unrolled: 1-line block ×15, first 2 shown]
	s_or_b32 exec_lo, exec_lo, s25
	s_and_saveexec_b32 s15, vcc_lo
	s_cbranch_execz .LBB17_7
.LBB17_55:
	s_wait_loadcnt 0x0
	v_cndmask_b32_e64 v2, v13, v12, s0
	v_mov_b32_e32 v0, v1
	global_store_b32 v10, v2, s[16:17] scale_offset
	s_wait_xcnt 0x0
	s_or_b32 exec_lo, exec_lo, s15
	s_delay_alu instid0(SALU_CYCLE_1)
	s_mov_b32 s0, exec_lo
	v_cmpx_gt_i32_e64 s26, v0
	s_cbranch_execz .LBB17_8
.LBB17_56:
	s_wait_loadcnt 0x0
	v_dual_cndmask_b32 v1, v11, v14, s14 :: v_dual_add_nc_u32 v2, s24, v0
	v_add_nc_u32_e32 v0, 0x100, v0
	global_store_b32 v2, v1, s[16:17] scale_offset
	s_wait_xcnt 0x0
	s_or_b32 exec_lo, exec_lo, s0
	s_delay_alu instid0(SALU_CYCLE_1)
	s_mov_b32 s0, exec_lo
	v_cmpx_gt_i32_e64 s26, v0
	s_cbranch_execz .LBB17_9
.LBB17_57:
	v_dual_cndmask_b32 v1, v3, v15, s13 :: v_dual_add_nc_u32 v2, s24, v0
	v_add_nc_u32_e32 v0, 0x100, v0
	global_store_b32 v2, v1, s[16:17] scale_offset
	s_wait_xcnt 0x0
	s_or_b32 exec_lo, exec_lo, s0
	s_delay_alu instid0(SALU_CYCLE_1)
	s_mov_b32 s0, exec_lo
	v_cmpx_gt_i32_e64 s26, v0
	s_cbranch_execz .LBB17_10
.LBB17_58:
	v_dual_cndmask_b32 v1, v4, v17, s12 :: v_dual_add_nc_u32 v2, s24, v0
	v_add_nc_u32_e32 v0, 0x100, v0
	global_store_b32 v2, v1, s[16:17] scale_offset
	s_wait_xcnt 0x0
	s_or_b32 exec_lo, exec_lo, s0
	s_delay_alu instid0(SALU_CYCLE_1)
	s_mov_b32 s0, exec_lo
	v_cmpx_gt_i32_e64 s26, v0
	s_cbranch_execz .LBB17_11
.LBB17_59:
	v_dual_cndmask_b32 v1, v16, v19, s11 :: v_dual_add_nc_u32 v2, s24, v0
	v_add_nc_u32_e32 v0, 0x100, v0
	global_store_b32 v2, v1, s[16:17] scale_offset
	s_wait_xcnt 0x0
	s_or_b32 exec_lo, exec_lo, s0
	s_delay_alu instid0(SALU_CYCLE_1)
	s_mov_b32 s0, exec_lo
	v_cmpx_gt_i32_e64 s26, v0
	s_cbranch_execz .LBB17_12
.LBB17_60:
	v_dual_cndmask_b32 v1, v18, v21, s10 :: v_dual_add_nc_u32 v2, s24, v0
	v_add_nc_u32_e32 v0, 0x100, v0
	global_store_b32 v2, v1, s[16:17] scale_offset
	s_wait_xcnt 0x0
	s_or_b32 exec_lo, exec_lo, s0
	s_delay_alu instid0(SALU_CYCLE_1)
	s_mov_b32 s0, exec_lo
	v_cmpx_gt_i32_e64 s26, v0
	s_cbranch_execz .LBB17_13
.LBB17_61:
	v_dual_cndmask_b32 v1, v20, v23, s9 :: v_dual_add_nc_u32 v2, s24, v0
	v_add_nc_u32_e32 v0, 0x100, v0
	global_store_b32 v2, v1, s[16:17] scale_offset
	s_wait_xcnt 0x0
	s_or_b32 exec_lo, exec_lo, s0
	s_delay_alu instid0(SALU_CYCLE_1)
	s_mov_b32 s0, exec_lo
	v_cmpx_gt_i32_e64 s26, v0
	s_cbranch_execz .LBB17_14
.LBB17_62:
	v_cndmask_b32_e64 v1, v22, v24, s8
	v_add_nc_u32_e32 v2, s24, v0
	v_add_nc_u32_e32 v0, 0x100, v0
	global_store_b32 v2, v1, s[16:17] scale_offset
	s_wait_xcnt 0x0
	s_or_b32 exec_lo, exec_lo, s0
	s_delay_alu instid0(SALU_CYCLE_1)
	s_mov_b32 s0, exec_lo
	v_cmpx_gt_i32_e64 s26, v0
	s_cbranch_execz .LBB17_15
.LBB17_63:
	v_dual_cndmask_b32 v1, v25, v26, s7 :: v_dual_add_nc_u32 v2, s24, v0
	v_add_nc_u32_e32 v0, 0x100, v0
	global_store_b32 v2, v1, s[16:17] scale_offset
	s_wait_xcnt 0x0
	s_or_b32 exec_lo, exec_lo, s0
	s_delay_alu instid0(SALU_CYCLE_1)
	s_mov_b32 s0, exec_lo
	v_cmpx_gt_i32_e64 s26, v0
	s_cbranch_execz .LBB17_16
.LBB17_64:
	v_cndmask_b32_e64 v1, v27, v28, s6
	v_add_nc_u32_e32 v2, s24, v0
	v_add_nc_u32_e32 v0, 0x100, v0
	global_store_b32 v2, v1, s[16:17] scale_offset
	s_wait_xcnt 0x0
	s_or_b32 exec_lo, exec_lo, s0
	s_delay_alu instid0(SALU_CYCLE_1)
	s_mov_b32 s0, exec_lo
	v_cmpx_gt_i32_e64 s26, v0
	s_cbranch_execz .LBB17_17
.LBB17_65:
	v_dual_cndmask_b32 v1, v29, v30, s5 :: v_dual_add_nc_u32 v2, s24, v0
	v_add_nc_u32_e32 v0, 0x100, v0
	global_store_b32 v2, v1, s[16:17] scale_offset
	s_wait_xcnt 0x0
	s_or_b32 exec_lo, exec_lo, s0
	s_delay_alu instid0(SALU_CYCLE_1)
	s_mov_b32 s0, exec_lo
	v_cmpx_gt_i32_e64 s26, v0
	s_cbranch_execz .LBB17_18
.LBB17_66:
	v_cndmask_b32_e64 v1, v31, v32, s3
	v_add_nc_u32_e32 v2, s24, v0
	v_add_nc_u32_e32 v0, 0x100, v0
	global_store_b32 v2, v1, s[16:17] scale_offset
	s_wait_xcnt 0x0
	s_or_b32 exec_lo, exec_lo, s0
	s_delay_alu instid0(SALU_CYCLE_1)
	s_mov_b32 s0, exec_lo
	v_cmpx_gt_i32_e64 s26, v0
	s_cbranch_execz .LBB17_19
.LBB17_67:
	v_dual_cndmask_b32 v1, v33, v34, s1 :: v_dual_add_nc_u32 v2, s24, v0
	v_add_nc_u32_e32 v0, 0x100, v0
	global_store_b32 v2, v1, s[16:17] scale_offset
	s_wait_xcnt 0x0
	s_or_b32 exec_lo, exec_lo, s0
	s_delay_alu instid0(SALU_CYCLE_1)
	s_mov_b32 s0, exec_lo
	v_cmpx_gt_i32_e64 s26, v0
	s_cbranch_execz .LBB17_20
.LBB17_68:
	v_cndmask_b32_e64 v1, v35, v36, s4
	v_add_nc_u32_e32 v2, s24, v0
	v_add_nc_u32_e32 v0, 0x100, v0
	global_store_b32 v2, v1, s[16:17] scale_offset
	s_wait_xcnt 0x0
	s_or_b32 exec_lo, exec_lo, s0
	s_delay_alu instid0(SALU_CYCLE_1)
	s_mov_b32 s0, exec_lo
	v_cmpx_gt_i32_e64 s26, v0
	s_cbranch_execz .LBB17_21
.LBB17_69:
	v_dual_cndmask_b32 v1, v37, v38, s2 :: v_dual_add_nc_u32 v2, s24, v0
	v_add_nc_u32_e32 v0, 0x100, v0
	global_store_b32 v2, v1, s[16:17] scale_offset
	s_wait_xcnt 0x0
	s_or_b32 exec_lo, exec_lo, s0
	s_delay_alu instid0(SALU_CYCLE_1)
	s_mov_b32 s0, exec_lo
	v_cmpx_gt_i32_e64 s26, v0
	s_cbranch_execnz .LBB17_22
	s_branch .LBB17_23
	.section	.rodata,"a",@progbits
	.p2align	6, 0x0
	.amdhsa_kernel _ZN2at6native29vectorized_elementwise_kernelILi2EZZZNS0_12_GLOBAL__N_117where_kernel_implERNS_14TensorIteratorEENKUlvE_clEvENKUlvE1_clEvEUlbjjE_St5arrayIPcLm4EEEEviT0_T1_
		.amdhsa_group_segment_fixed_size 0
		.amdhsa_private_segment_fixed_size 0
		.amdhsa_kernarg_size 40
		.amdhsa_user_sgpr_count 2
		.amdhsa_user_sgpr_dispatch_ptr 0
		.amdhsa_user_sgpr_queue_ptr 0
		.amdhsa_user_sgpr_kernarg_segment_ptr 1
		.amdhsa_user_sgpr_dispatch_id 0
		.amdhsa_user_sgpr_kernarg_preload_length 0
		.amdhsa_user_sgpr_kernarg_preload_offset 0
		.amdhsa_user_sgpr_private_segment_size 0
		.amdhsa_wavefront_size32 1
		.amdhsa_uses_dynamic_stack 0
		.amdhsa_enable_private_segment 0
		.amdhsa_system_sgpr_workgroup_id_x 1
		.amdhsa_system_sgpr_workgroup_id_y 0
		.amdhsa_system_sgpr_workgroup_id_z 0
		.amdhsa_system_sgpr_workgroup_info 0
		.amdhsa_system_vgpr_workitem_id 0
		.amdhsa_next_free_vgpr 49
		.amdhsa_next_free_sgpr 37
		.amdhsa_named_barrier_count 0
		.amdhsa_reserve_vcc 1
		.amdhsa_float_round_mode_32 0
		.amdhsa_float_round_mode_16_64 0
		.amdhsa_float_denorm_mode_32 3
		.amdhsa_float_denorm_mode_16_64 3
		.amdhsa_fp16_overflow 0
		.amdhsa_memory_ordered 1
		.amdhsa_forward_progress 1
		.amdhsa_inst_pref_size 41
		.amdhsa_round_robin_scheduling 0
		.amdhsa_exception_fp_ieee_invalid_op 0
		.amdhsa_exception_fp_denorm_src 0
		.amdhsa_exception_fp_ieee_div_zero 0
		.amdhsa_exception_fp_ieee_overflow 0
		.amdhsa_exception_fp_ieee_underflow 0
		.amdhsa_exception_fp_ieee_inexact 0
		.amdhsa_exception_int_div_zero 0
	.end_amdhsa_kernel
	.section	.text._ZN2at6native29vectorized_elementwise_kernelILi2EZZZNS0_12_GLOBAL__N_117where_kernel_implERNS_14TensorIteratorEENKUlvE_clEvENKUlvE1_clEvEUlbjjE_St5arrayIPcLm4EEEEviT0_T1_,"axG",@progbits,_ZN2at6native29vectorized_elementwise_kernelILi2EZZZNS0_12_GLOBAL__N_117where_kernel_implERNS_14TensorIteratorEENKUlvE_clEvENKUlvE1_clEvEUlbjjE_St5arrayIPcLm4EEEEviT0_T1_,comdat
.Lfunc_end17:
	.size	_ZN2at6native29vectorized_elementwise_kernelILi2EZZZNS0_12_GLOBAL__N_117where_kernel_implERNS_14TensorIteratorEENKUlvE_clEvENKUlvE1_clEvEUlbjjE_St5arrayIPcLm4EEEEviT0_T1_, .Lfunc_end17-_ZN2at6native29vectorized_elementwise_kernelILi2EZZZNS0_12_GLOBAL__N_117where_kernel_implERNS_14TensorIteratorEENKUlvE_clEvENKUlvE1_clEvEUlbjjE_St5arrayIPcLm4EEEEviT0_T1_
                                        ; -- End function
	.set _ZN2at6native29vectorized_elementwise_kernelILi2EZZZNS0_12_GLOBAL__N_117where_kernel_implERNS_14TensorIteratorEENKUlvE_clEvENKUlvE1_clEvEUlbjjE_St5arrayIPcLm4EEEEviT0_T1_.num_vgpr, 49
	.set _ZN2at6native29vectorized_elementwise_kernelILi2EZZZNS0_12_GLOBAL__N_117where_kernel_implERNS_14TensorIteratorEENKUlvE_clEvENKUlvE1_clEvEUlbjjE_St5arrayIPcLm4EEEEviT0_T1_.num_agpr, 0
	.set _ZN2at6native29vectorized_elementwise_kernelILi2EZZZNS0_12_GLOBAL__N_117where_kernel_implERNS_14TensorIteratorEENKUlvE_clEvENKUlvE1_clEvEUlbjjE_St5arrayIPcLm4EEEEviT0_T1_.numbered_sgpr, 37
	.set _ZN2at6native29vectorized_elementwise_kernelILi2EZZZNS0_12_GLOBAL__N_117where_kernel_implERNS_14TensorIteratorEENKUlvE_clEvENKUlvE1_clEvEUlbjjE_St5arrayIPcLm4EEEEviT0_T1_.num_named_barrier, 0
	.set _ZN2at6native29vectorized_elementwise_kernelILi2EZZZNS0_12_GLOBAL__N_117where_kernel_implERNS_14TensorIteratorEENKUlvE_clEvENKUlvE1_clEvEUlbjjE_St5arrayIPcLm4EEEEviT0_T1_.private_seg_size, 0
	.set _ZN2at6native29vectorized_elementwise_kernelILi2EZZZNS0_12_GLOBAL__N_117where_kernel_implERNS_14TensorIteratorEENKUlvE_clEvENKUlvE1_clEvEUlbjjE_St5arrayIPcLm4EEEEviT0_T1_.uses_vcc, 1
	.set _ZN2at6native29vectorized_elementwise_kernelILi2EZZZNS0_12_GLOBAL__N_117where_kernel_implERNS_14TensorIteratorEENKUlvE_clEvENKUlvE1_clEvEUlbjjE_St5arrayIPcLm4EEEEviT0_T1_.uses_flat_scratch, 0
	.set _ZN2at6native29vectorized_elementwise_kernelILi2EZZZNS0_12_GLOBAL__N_117where_kernel_implERNS_14TensorIteratorEENKUlvE_clEvENKUlvE1_clEvEUlbjjE_St5arrayIPcLm4EEEEviT0_T1_.has_dyn_sized_stack, 0
	.set _ZN2at6native29vectorized_elementwise_kernelILi2EZZZNS0_12_GLOBAL__N_117where_kernel_implERNS_14TensorIteratorEENKUlvE_clEvENKUlvE1_clEvEUlbjjE_St5arrayIPcLm4EEEEviT0_T1_.has_recursion, 0
	.set _ZN2at6native29vectorized_elementwise_kernelILi2EZZZNS0_12_GLOBAL__N_117where_kernel_implERNS_14TensorIteratorEENKUlvE_clEvENKUlvE1_clEvEUlbjjE_St5arrayIPcLm4EEEEviT0_T1_.has_indirect_call, 0
	.section	.AMDGPU.csdata,"",@progbits
; Kernel info:
; codeLenInByte = 5180
; TotalNumSgprs: 39
; NumVgprs: 49
; ScratchSize: 0
; MemoryBound: 0
; FloatMode: 240
; IeeeMode: 1
; LDSByteSize: 0 bytes/workgroup (compile time only)
; SGPRBlocks: 0
; VGPRBlocks: 3
; NumSGPRsForWavesPerEU: 39
; NumVGPRsForWavesPerEU: 49
; NamedBarCnt: 0
; Occupancy: 16
; WaveLimiterHint : 1
; COMPUTE_PGM_RSRC2:SCRATCH_EN: 0
; COMPUTE_PGM_RSRC2:USER_SGPR: 2
; COMPUTE_PGM_RSRC2:TRAP_HANDLER: 0
; COMPUTE_PGM_RSRC2:TGID_X_EN: 1
; COMPUTE_PGM_RSRC2:TGID_Y_EN: 0
; COMPUTE_PGM_RSRC2:TGID_Z_EN: 0
; COMPUTE_PGM_RSRC2:TIDIG_COMP_CNT: 0
	.section	.text._ZN2at6native27unrolled_elementwise_kernelIZZZNS0_12_GLOBAL__N_117where_kernel_implERNS_14TensorIteratorEENKUlvE_clEvENKUlvE1_clEvEUlbjjE_St5arrayIPcLm4EELi4E23TrivialOffsetCalculatorILi3EjESB_ILi1EjENS0_6memory15LoadWithoutCastENSE_16StoreWithoutCastEEEviT_T0_T2_T3_T4_T5_,"axG",@progbits,_ZN2at6native27unrolled_elementwise_kernelIZZZNS0_12_GLOBAL__N_117where_kernel_implERNS_14TensorIteratorEENKUlvE_clEvENKUlvE1_clEvEUlbjjE_St5arrayIPcLm4EELi4E23TrivialOffsetCalculatorILi3EjESB_ILi1EjENS0_6memory15LoadWithoutCastENSE_16StoreWithoutCastEEEviT_T0_T2_T3_T4_T5_,comdat
	.globl	_ZN2at6native27unrolled_elementwise_kernelIZZZNS0_12_GLOBAL__N_117where_kernel_implERNS_14TensorIteratorEENKUlvE_clEvENKUlvE1_clEvEUlbjjE_St5arrayIPcLm4EELi4E23TrivialOffsetCalculatorILi3EjESB_ILi1EjENS0_6memory15LoadWithoutCastENSE_16StoreWithoutCastEEEviT_T0_T2_T3_T4_T5_ ; -- Begin function _ZN2at6native27unrolled_elementwise_kernelIZZZNS0_12_GLOBAL__N_117where_kernel_implERNS_14TensorIteratorEENKUlvE_clEvENKUlvE1_clEvEUlbjjE_St5arrayIPcLm4EELi4E23TrivialOffsetCalculatorILi3EjESB_ILi1EjENS0_6memory15LoadWithoutCastENSE_16StoreWithoutCastEEEviT_T0_T2_T3_T4_T5_
	.p2align	8
	.type	_ZN2at6native27unrolled_elementwise_kernelIZZZNS0_12_GLOBAL__N_117where_kernel_implERNS_14TensorIteratorEENKUlvE_clEvENKUlvE1_clEvEUlbjjE_St5arrayIPcLm4EELi4E23TrivialOffsetCalculatorILi3EjESB_ILi1EjENS0_6memory15LoadWithoutCastENSE_16StoreWithoutCastEEEviT_T0_T2_T3_T4_T5_,@function
_ZN2at6native27unrolled_elementwise_kernelIZZZNS0_12_GLOBAL__N_117where_kernel_implERNS_14TensorIteratorEENKUlvE_clEvENKUlvE1_clEvEUlbjjE_St5arrayIPcLm4EELi4E23TrivialOffsetCalculatorILi3EjESB_ILi1EjENS0_6memory15LoadWithoutCastENSE_16StoreWithoutCastEEEviT_T0_T2_T3_T4_T5_: ; @_ZN2at6native27unrolled_elementwise_kernelIZZZNS0_12_GLOBAL__N_117where_kernel_implERNS_14TensorIteratorEENKUlvE_clEvENKUlvE1_clEvEUlbjjE_St5arrayIPcLm4EELi4E23TrivialOffsetCalculatorILi3EjESB_ILi1EjENS0_6memory15LoadWithoutCastENSE_16StoreWithoutCastEEEviT_T0_T2_T3_T4_T5_
; %bb.0:
	s_load_b32 s2, s[0:1], 0x0
	s_bfe_u32 s3, ttmp6, 0x4000c
	s_and_b32 s4, ttmp6, 15
	s_add_co_i32 s3, s3, 1
	s_getreg_b32 s5, hwreg(HW_REG_IB_STS2, 6, 4)
	s_mul_i32 s3, ttmp9, s3
	v_or_b32_e32 v1, 0x100, v0
	s_add_co_i32 s4, s4, s3
	s_cmp_eq_u32 s5, 0
	s_cselect_b32 s3, ttmp9, s4
	s_delay_alu instid0(SALU_CYCLE_1) | instskip(SKIP_3) | instid1(SALU_CYCLE_1)
	s_lshl_b32 s12, s3, 10
	s_mov_b32 s3, 0
	s_wait_kmcnt 0x0
	s_sub_co_i32 s13, s2, s12
	v_cmp_le_i32_e64 s2, s13, v0
	v_cmp_gt_i32_e32 vcc_lo, s13, v0
	s_and_saveexec_b32 s4, s2
	s_delay_alu instid0(SALU_CYCLE_1)
	s_xor_b32 s2, exec_lo, s4
; %bb.1:
	v_or_b32_e32 v1, 0x100, v0
; %bb.2:
	s_or_saveexec_b32 s14, s2
	s_load_b256 s[4:11], s[0:1], 0x8
	v_dual_mov_b32 v3, 0 :: v_dual_bitop2_b32 v2, s12, v0 bitop3:0x54
	v_dual_mov_b32 v5, 0 :: v_dual_mov_b32 v4, 0
	v_dual_mov_b32 v7, 0 :: v_dual_mov_b32 v6, 0
	;; [unrolled: 1-line block ×3, first 2 shown]
	s_mov_b32 s2, 0
	s_wait_xcnt 0x0
	s_mov_b32 s1, 0
	s_xor_b32 exec_lo, exec_lo, s14
	s_cbranch_execnz .LBB18_8
; %bb.3:
	s_or_b32 exec_lo, exec_lo, s14
	s_and_saveexec_b32 s0, vcc_lo
	s_cbranch_execnz .LBB18_15
.LBB18_4:
	s_or_b32 exec_lo, exec_lo, s0
	s_delay_alu instid0(SALU_CYCLE_1)
	s_mov_b32 s0, exec_lo
	v_cmpx_gt_i32_e64 s13, v0
	s_cbranch_execnz .LBB18_16
.LBB18_5:
	s_or_b32 exec_lo, exec_lo, s0
	s_delay_alu instid0(SALU_CYCLE_1)
	s_mov_b32 s0, exec_lo
	v_cmpx_gt_i32_e64 s13, v0
	s_cbranch_execnz .LBB18_17
.LBB18_6:
	s_or_b32 exec_lo, exec_lo, s0
	s_delay_alu instid0(SALU_CYCLE_1)
	s_mov_b32 s0, exec_lo
	v_cmpx_gt_i32_e64 s13, v0
	s_cbranch_execnz .LBB18_18
.LBB18_7:
	s_endpgm
.LBB18_8:
	s_wait_kmcnt 0x0
	s_clause 0x2
	global_load_u8 v3, v2, s[6:7]
	global_load_b32 v8, v2, s[8:9] scale_offset
	global_load_b32 v9, v2, s[10:11] scale_offset
	v_dual_mov_b32 v6, 0 :: v_dual_mov_b32 v7, 0
	v_dual_mov_b32 v4, 0 :: v_dual_mov_b32 v5, 0
	s_mov_b32 s15, exec_lo
	s_wait_loadcnt 0x2
	v_cmp_ne_u16_e64 s0, 0, v3
	v_mov_b32_e32 v3, 0
	s_wait_xcnt 0x0
	v_cmpx_gt_u32_e64 s13, v1
	s_cbranch_execz .LBB18_14
; %bb.9:
	v_dual_mov_b32 v4, 0 :: v_dual_add_nc_u32 v3, s12, v1
	v_or_b32_e32 v10, 0x200, v0
	v_mov_b32_e32 v5, 0
	s_mov_b32 s16, exec_lo
	s_clause 0x2
	global_load_u8 v11, v3, s[6:7]
	global_load_b32 v7, v3, s[8:9] scale_offset
	global_load_b32 v6, v3, s[10:11] scale_offset
	s_wait_xcnt 0x0
	v_mov_b32_e32 v3, 0
	s_wait_loadcnt 0x2
	v_cmp_ne_u16_e64 s1, 0, v11
	v_cmpx_gt_u32_e64 s13, v10
	s_cbranch_execz .LBB18_13
; %bb.10:
	v_add_nc_u32_e32 v3, s12, v10
	v_or_b32_e32 v10, 0x300, v0
	s_mov_b32 s17, exec_lo
	s_clause 0x2
	global_load_u8 v11, v3, s[6:7]
	global_load_b32 v5, v3, s[8:9] scale_offset
	global_load_b32 v4, v3, s[10:11] scale_offset
	s_wait_xcnt 0x0
	v_mov_b32_e32 v3, 0
	s_wait_loadcnt 0x2
	v_cmp_ne_u16_e64 s2, 0, v11
	v_cmpx_gt_u32_e64 s13, v10
	s_cbranch_execz .LBB18_12
; %bb.11:
	v_add_nc_u32_e32 v3, s12, v10
	s_clause 0x2
	global_load_u8 v10, v3, s[6:7]
	global_load_b32 v11, v3, s[8:9] scale_offset
	global_load_b32 v12, v3, s[10:11] scale_offset
	s_wait_loadcnt 0x2
	v_cmp_eq_u16_e64 s3, 0, v10
	s_wait_loadcnt 0x0
	s_delay_alu instid0(VALU_DEP_1)
	v_cndmask_b32_e64 v3, v11, v12, s3
.LBB18_12:
	s_or_b32 exec_lo, exec_lo, s17
	s_delay_alu instid0(SALU_CYCLE_1)
	s_and_b32 s3, s2, exec_lo
.LBB18_13:
	s_or_b32 exec_lo, exec_lo, s16
	s_delay_alu instid0(SALU_CYCLE_1)
	s_and_b32 s2, s1, exec_lo
	s_and_b32 s3, s3, exec_lo
.LBB18_14:
	s_or_b32 exec_lo, exec_lo, s15
	s_delay_alu instid0(SALU_CYCLE_1)
	s_and_b32 s1, s3, exec_lo
	s_and_b32 s2, s2, exec_lo
	;; [unrolled: 1-line block ×3, first 2 shown]
	s_or_b32 exec_lo, exec_lo, s14
	s_and_saveexec_b32 s0, vcc_lo
	s_cbranch_execz .LBB18_4
.LBB18_15:
	s_wait_loadcnt 0x0
	v_cndmask_b32_e64 v8, v9, v8, s3
	v_mov_b32_e32 v0, v1
	s_wait_kmcnt 0x0
	global_store_b32 v2, v8, s[4:5] scale_offset
	s_wait_xcnt 0x0
	s_or_b32 exec_lo, exec_lo, s0
	s_delay_alu instid0(SALU_CYCLE_1)
	s_mov_b32 s0, exec_lo
	v_cmpx_gt_i32_e64 s13, v0
	s_cbranch_execz .LBB18_5
.LBB18_16:
	v_add_nc_u32_e32 v1, 0x100, v0
	s_wait_loadcnt 0x0
	v_dual_cndmask_b32 v2, v6, v7, s2 :: v_dual_add_nc_u32 v6, s12, v0
	s_delay_alu instid0(VALU_DEP_2) | instskip(SKIP_4) | instid1(SALU_CYCLE_1)
	v_mov_b32_e32 v0, v1
	s_wait_kmcnt 0x0
	global_store_b32 v6, v2, s[4:5] scale_offset
	s_wait_xcnt 0x0
	s_or_b32 exec_lo, exec_lo, s0
	s_mov_b32 s0, exec_lo
	v_cmpx_gt_i32_e64 s13, v0
	s_cbranch_execz .LBB18_6
.LBB18_17:
	v_add_nc_u32_e32 v1, 0x100, v0
	s_wait_loadcnt 0x0
	v_dual_cndmask_b32 v2, v4, v5, s1 :: v_dual_add_nc_u32 v4, s12, v0
	s_delay_alu instid0(VALU_DEP_2) | instskip(SKIP_4) | instid1(SALU_CYCLE_1)
	v_mov_b32_e32 v0, v1
	s_wait_kmcnt 0x0
	global_store_b32 v4, v2, s[4:5] scale_offset
	s_wait_xcnt 0x0
	s_or_b32 exec_lo, exec_lo, s0
	s_mov_b32 s0, exec_lo
	v_cmpx_gt_i32_e64 s13, v0
	s_cbranch_execz .LBB18_7
.LBB18_18:
	v_add_nc_u32_e32 v0, s12, v0
	s_wait_kmcnt 0x0
	global_store_b32 v0, v3, s[4:5] scale_offset
	s_endpgm
	.section	.rodata,"a",@progbits
	.p2align	6, 0x0
	.amdhsa_kernel _ZN2at6native27unrolled_elementwise_kernelIZZZNS0_12_GLOBAL__N_117where_kernel_implERNS_14TensorIteratorEENKUlvE_clEvENKUlvE1_clEvEUlbjjE_St5arrayIPcLm4EELi4E23TrivialOffsetCalculatorILi3EjESB_ILi1EjENS0_6memory15LoadWithoutCastENSE_16StoreWithoutCastEEEviT_T0_T2_T3_T4_T5_
		.amdhsa_group_segment_fixed_size 0
		.amdhsa_private_segment_fixed_size 0
		.amdhsa_kernarg_size 44
		.amdhsa_user_sgpr_count 2
		.amdhsa_user_sgpr_dispatch_ptr 0
		.amdhsa_user_sgpr_queue_ptr 0
		.amdhsa_user_sgpr_kernarg_segment_ptr 1
		.amdhsa_user_sgpr_dispatch_id 0
		.amdhsa_user_sgpr_kernarg_preload_length 0
		.amdhsa_user_sgpr_kernarg_preload_offset 0
		.amdhsa_user_sgpr_private_segment_size 0
		.amdhsa_wavefront_size32 1
		.amdhsa_uses_dynamic_stack 0
		.amdhsa_enable_private_segment 0
		.amdhsa_system_sgpr_workgroup_id_x 1
		.amdhsa_system_sgpr_workgroup_id_y 0
		.amdhsa_system_sgpr_workgroup_id_z 0
		.amdhsa_system_sgpr_workgroup_info 0
		.amdhsa_system_vgpr_workitem_id 0
		.amdhsa_next_free_vgpr 13
		.amdhsa_next_free_sgpr 18
		.amdhsa_named_barrier_count 0
		.amdhsa_reserve_vcc 1
		.amdhsa_float_round_mode_32 0
		.amdhsa_float_round_mode_16_64 0
		.amdhsa_float_denorm_mode_32 3
		.amdhsa_float_denorm_mode_16_64 3
		.amdhsa_fp16_overflow 0
		.amdhsa_memory_ordered 1
		.amdhsa_forward_progress 1
		.amdhsa_inst_pref_size 8
		.amdhsa_round_robin_scheduling 0
		.amdhsa_exception_fp_ieee_invalid_op 0
		.amdhsa_exception_fp_denorm_src 0
		.amdhsa_exception_fp_ieee_div_zero 0
		.amdhsa_exception_fp_ieee_overflow 0
		.amdhsa_exception_fp_ieee_underflow 0
		.amdhsa_exception_fp_ieee_inexact 0
		.amdhsa_exception_int_div_zero 0
	.end_amdhsa_kernel
	.section	.text._ZN2at6native27unrolled_elementwise_kernelIZZZNS0_12_GLOBAL__N_117where_kernel_implERNS_14TensorIteratorEENKUlvE_clEvENKUlvE1_clEvEUlbjjE_St5arrayIPcLm4EELi4E23TrivialOffsetCalculatorILi3EjESB_ILi1EjENS0_6memory15LoadWithoutCastENSE_16StoreWithoutCastEEEviT_T0_T2_T3_T4_T5_,"axG",@progbits,_ZN2at6native27unrolled_elementwise_kernelIZZZNS0_12_GLOBAL__N_117where_kernel_implERNS_14TensorIteratorEENKUlvE_clEvENKUlvE1_clEvEUlbjjE_St5arrayIPcLm4EELi4E23TrivialOffsetCalculatorILi3EjESB_ILi1EjENS0_6memory15LoadWithoutCastENSE_16StoreWithoutCastEEEviT_T0_T2_T3_T4_T5_,comdat
.Lfunc_end18:
	.size	_ZN2at6native27unrolled_elementwise_kernelIZZZNS0_12_GLOBAL__N_117where_kernel_implERNS_14TensorIteratorEENKUlvE_clEvENKUlvE1_clEvEUlbjjE_St5arrayIPcLm4EELi4E23TrivialOffsetCalculatorILi3EjESB_ILi1EjENS0_6memory15LoadWithoutCastENSE_16StoreWithoutCastEEEviT_T0_T2_T3_T4_T5_, .Lfunc_end18-_ZN2at6native27unrolled_elementwise_kernelIZZZNS0_12_GLOBAL__N_117where_kernel_implERNS_14TensorIteratorEENKUlvE_clEvENKUlvE1_clEvEUlbjjE_St5arrayIPcLm4EELi4E23TrivialOffsetCalculatorILi3EjESB_ILi1EjENS0_6memory15LoadWithoutCastENSE_16StoreWithoutCastEEEviT_T0_T2_T3_T4_T5_
                                        ; -- End function
	.set _ZN2at6native27unrolled_elementwise_kernelIZZZNS0_12_GLOBAL__N_117where_kernel_implERNS_14TensorIteratorEENKUlvE_clEvENKUlvE1_clEvEUlbjjE_St5arrayIPcLm4EELi4E23TrivialOffsetCalculatorILi3EjESB_ILi1EjENS0_6memory15LoadWithoutCastENSE_16StoreWithoutCastEEEviT_T0_T2_T3_T4_T5_.num_vgpr, 13
	.set _ZN2at6native27unrolled_elementwise_kernelIZZZNS0_12_GLOBAL__N_117where_kernel_implERNS_14TensorIteratorEENKUlvE_clEvENKUlvE1_clEvEUlbjjE_St5arrayIPcLm4EELi4E23TrivialOffsetCalculatorILi3EjESB_ILi1EjENS0_6memory15LoadWithoutCastENSE_16StoreWithoutCastEEEviT_T0_T2_T3_T4_T5_.num_agpr, 0
	.set _ZN2at6native27unrolled_elementwise_kernelIZZZNS0_12_GLOBAL__N_117where_kernel_implERNS_14TensorIteratorEENKUlvE_clEvENKUlvE1_clEvEUlbjjE_St5arrayIPcLm4EELi4E23TrivialOffsetCalculatorILi3EjESB_ILi1EjENS0_6memory15LoadWithoutCastENSE_16StoreWithoutCastEEEviT_T0_T2_T3_T4_T5_.numbered_sgpr, 18
	.set _ZN2at6native27unrolled_elementwise_kernelIZZZNS0_12_GLOBAL__N_117where_kernel_implERNS_14TensorIteratorEENKUlvE_clEvENKUlvE1_clEvEUlbjjE_St5arrayIPcLm4EELi4E23TrivialOffsetCalculatorILi3EjESB_ILi1EjENS0_6memory15LoadWithoutCastENSE_16StoreWithoutCastEEEviT_T0_T2_T3_T4_T5_.num_named_barrier, 0
	.set _ZN2at6native27unrolled_elementwise_kernelIZZZNS0_12_GLOBAL__N_117where_kernel_implERNS_14TensorIteratorEENKUlvE_clEvENKUlvE1_clEvEUlbjjE_St5arrayIPcLm4EELi4E23TrivialOffsetCalculatorILi3EjESB_ILi1EjENS0_6memory15LoadWithoutCastENSE_16StoreWithoutCastEEEviT_T0_T2_T3_T4_T5_.private_seg_size, 0
	.set _ZN2at6native27unrolled_elementwise_kernelIZZZNS0_12_GLOBAL__N_117where_kernel_implERNS_14TensorIteratorEENKUlvE_clEvENKUlvE1_clEvEUlbjjE_St5arrayIPcLm4EELi4E23TrivialOffsetCalculatorILi3EjESB_ILi1EjENS0_6memory15LoadWithoutCastENSE_16StoreWithoutCastEEEviT_T0_T2_T3_T4_T5_.uses_vcc, 1
	.set _ZN2at6native27unrolled_elementwise_kernelIZZZNS0_12_GLOBAL__N_117where_kernel_implERNS_14TensorIteratorEENKUlvE_clEvENKUlvE1_clEvEUlbjjE_St5arrayIPcLm4EELi4E23TrivialOffsetCalculatorILi3EjESB_ILi1EjENS0_6memory15LoadWithoutCastENSE_16StoreWithoutCastEEEviT_T0_T2_T3_T4_T5_.uses_flat_scratch, 0
	.set _ZN2at6native27unrolled_elementwise_kernelIZZZNS0_12_GLOBAL__N_117where_kernel_implERNS_14TensorIteratorEENKUlvE_clEvENKUlvE1_clEvEUlbjjE_St5arrayIPcLm4EELi4E23TrivialOffsetCalculatorILi3EjESB_ILi1EjENS0_6memory15LoadWithoutCastENSE_16StoreWithoutCastEEEviT_T0_T2_T3_T4_T5_.has_dyn_sized_stack, 0
	.set _ZN2at6native27unrolled_elementwise_kernelIZZZNS0_12_GLOBAL__N_117where_kernel_implERNS_14TensorIteratorEENKUlvE_clEvENKUlvE1_clEvEUlbjjE_St5arrayIPcLm4EELi4E23TrivialOffsetCalculatorILi3EjESB_ILi1EjENS0_6memory15LoadWithoutCastENSE_16StoreWithoutCastEEEviT_T0_T2_T3_T4_T5_.has_recursion, 0
	.set _ZN2at6native27unrolled_elementwise_kernelIZZZNS0_12_GLOBAL__N_117where_kernel_implERNS_14TensorIteratorEENKUlvE_clEvENKUlvE1_clEvEUlbjjE_St5arrayIPcLm4EELi4E23TrivialOffsetCalculatorILi3EjESB_ILi1EjENS0_6memory15LoadWithoutCastENSE_16StoreWithoutCastEEEviT_T0_T2_T3_T4_T5_.has_indirect_call, 0
	.section	.AMDGPU.csdata,"",@progbits
; Kernel info:
; codeLenInByte = 900
; TotalNumSgprs: 20
; NumVgprs: 13
; ScratchSize: 0
; MemoryBound: 0
; FloatMode: 240
; IeeeMode: 1
; LDSByteSize: 0 bytes/workgroup (compile time only)
; SGPRBlocks: 0
; VGPRBlocks: 0
; NumSGPRsForWavesPerEU: 20
; NumVGPRsForWavesPerEU: 13
; NamedBarCnt: 0
; Occupancy: 16
; WaveLimiterHint : 0
; COMPUTE_PGM_RSRC2:SCRATCH_EN: 0
; COMPUTE_PGM_RSRC2:USER_SGPR: 2
; COMPUTE_PGM_RSRC2:TRAP_HANDLER: 0
; COMPUTE_PGM_RSRC2:TGID_X_EN: 1
; COMPUTE_PGM_RSRC2:TGID_Y_EN: 0
; COMPUTE_PGM_RSRC2:TGID_Z_EN: 0
; COMPUTE_PGM_RSRC2:TIDIG_COMP_CNT: 0
	.section	.text._ZN2at6native32elementwise_kernel_manual_unrollILi128ELi4EZNS0_22gpu_kernel_impl_nocastIZZZNS0_12_GLOBAL__N_117where_kernel_implERNS_14TensorIteratorEENKUlvE_clEvENKUlvE1_clEvEUlbjjE_EEvRNS_18TensorIteratorBaseERKT_EUlibE_EEviT1_,"axG",@progbits,_ZN2at6native32elementwise_kernel_manual_unrollILi128ELi4EZNS0_22gpu_kernel_impl_nocastIZZZNS0_12_GLOBAL__N_117where_kernel_implERNS_14TensorIteratorEENKUlvE_clEvENKUlvE1_clEvEUlbjjE_EEvRNS_18TensorIteratorBaseERKT_EUlibE_EEviT1_,comdat
	.globl	_ZN2at6native32elementwise_kernel_manual_unrollILi128ELi4EZNS0_22gpu_kernel_impl_nocastIZZZNS0_12_GLOBAL__N_117where_kernel_implERNS_14TensorIteratorEENKUlvE_clEvENKUlvE1_clEvEUlbjjE_EEvRNS_18TensorIteratorBaseERKT_EUlibE_EEviT1_ ; -- Begin function _ZN2at6native32elementwise_kernel_manual_unrollILi128ELi4EZNS0_22gpu_kernel_impl_nocastIZZZNS0_12_GLOBAL__N_117where_kernel_implERNS_14TensorIteratorEENKUlvE_clEvENKUlvE1_clEvEUlbjjE_EEvRNS_18TensorIteratorBaseERKT_EUlibE_EEviT1_
	.p2align	8
	.type	_ZN2at6native32elementwise_kernel_manual_unrollILi128ELi4EZNS0_22gpu_kernel_impl_nocastIZZZNS0_12_GLOBAL__N_117where_kernel_implERNS_14TensorIteratorEENKUlvE_clEvENKUlvE1_clEvEUlbjjE_EEvRNS_18TensorIteratorBaseERKT_EUlibE_EEviT1_,@function
_ZN2at6native32elementwise_kernel_manual_unrollILi128ELi4EZNS0_22gpu_kernel_impl_nocastIZZZNS0_12_GLOBAL__N_117where_kernel_implERNS_14TensorIteratorEENKUlvE_clEvENKUlvE1_clEvEUlbjjE_EEvRNS_18TensorIteratorBaseERKT_EUlibE_EEviT1_: ; @_ZN2at6native32elementwise_kernel_manual_unrollILi128ELi4EZNS0_22gpu_kernel_impl_nocastIZZZNS0_12_GLOBAL__N_117where_kernel_implERNS_14TensorIteratorEENKUlvE_clEvENKUlvE1_clEvEUlbjjE_EEvRNS_18TensorIteratorBaseERKT_EUlibE_EEviT1_
; %bb.0:
	s_clause 0x1
	s_load_b32 s33, s[0:1], 0x8
	s_load_b32 s39, s[0:1], 0x0
	s_bfe_u32 s2, ttmp6, 0x4000c
	s_and_b32 s3, ttmp6, 15
	s_add_co_i32 s2, s2, 1
	s_getreg_b32 s4, hwreg(HW_REG_IB_STS2, 6, 4)
	s_mul_i32 s2, ttmp9, s2
	s_add_nc_u64 s[20:21], s[0:1], 8
	s_add_co_i32 s3, s3, s2
	s_cmp_eq_u32 s4, 0
	s_mov_b32 s25, 0
	s_cselect_b32 s2, ttmp9, s3
	s_wait_xcnt 0x0
	s_mov_b32 s0, exec_lo
	v_lshl_or_b32 v0, s2, 9, v0
	s_delay_alu instid0(VALU_DEP_1) | instskip(SKIP_2) | instid1(SALU_CYCLE_1)
	v_or_b32_e32 v5, 0x180, v0
	s_wait_kmcnt 0x0
	s_add_co_i32 s34, s33, -1
	s_cmp_gt_u32 s34, 1
	s_cselect_b32 s35, -1, 0
	v_cmpx_le_i32_e64 s39, v5
	s_xor_b32 s36, exec_lo, s0
	s_cbranch_execz .LBB19_54
; %bb.1:
	s_clause 0x3
	s_load_b128 s[16:19], s[20:21], 0x4
	s_load_b64 s[22:23], s[20:21], 0x14
	s_load_b256 s[8:15], s[20:21], 0xc4
	s_load_b256 s[0:7], s[20:21], 0x1c8
	s_cmp_lg_u32 s33, 0
	s_mov_b32 s27, s25
	s_cselect_b32 s40, -1, 0
	s_min_u32 s38, s34, 15
	s_cmp_gt_u32 s33, 1
	s_cselect_b32 s37, -1, 0
	s_wait_kmcnt 0x0
	s_mov_b32 s24, s17
	s_mov_b32 s26, s22
	s_mov_b32 s17, exec_lo
	v_cmpx_gt_i32_e64 s39, v0
	s_cbranch_execnz .LBB19_5
; %bb.2:
	s_or_b32 exec_lo, exec_lo, s17
	s_delay_alu instid0(SALU_CYCLE_1)
	s_mov_b32 s17, exec_lo
	v_cmpx_gt_i32_e64 s39, v0
	s_cbranch_execnz .LBB19_17
.LBB19_3:
	s_or_b32 exec_lo, exec_lo, s17
	s_delay_alu instid0(SALU_CYCLE_1)
	s_mov_b32 s17, exec_lo
	v_cmpx_gt_i32_e64 s39, v0
	s_cbranch_execnz .LBB19_29
.LBB19_4:
	s_or_b32 exec_lo, exec_lo, s17
	s_delay_alu instid0(SALU_CYCLE_1)
	s_mov_b32 s17, exec_lo
	v_cmpx_gt_i32_e64 s39, v0
	s_cbranch_execnz .LBB19_41
	s_branch .LBB19_53
.LBB19_5:
	s_and_not1_b32 vcc_lo, exec_lo, s35
	s_cbranch_vccnz .LBB19_11
; %bb.6:
	s_and_not1_b32 vcc_lo, exec_lo, s40
	s_cbranch_vccnz .LBB19_12
; %bb.7:
	v_dual_mov_b32 v6, 0 :: v_dual_mov_b32 v1, v0
	v_dual_mov_b32 v7, 0 :: v_dual_mov_b32 v4, 0
	v_mov_b32_e32 v5, 0
	s_add_co_i32 s22, s38, 1
	s_mov_b64 s[28:29], 0xffffffffffffffe0
	s_and_b32 s22, s22, 30
	s_add_nc_u64 s[28:29], s[20:21], s[28:29]
	s_mov_b64 s[30:31], s[20:21]
.LBB19_8:                               ; =>This Inner Loop Header: Depth=1
	s_clause 0x1
	s_load_b128 s[52:55], s[30:31], 0x4
	s_load_b64 s[42:43], s[30:31], 0x14
	s_load_b256 s[44:51], s[28:29], 0xe4
	s_add_co_i32 s22, s22, -2
	s_wait_xcnt 0x0
	s_add_nc_u64 s[30:31], s[30:31], 24
	s_cmp_lg_u32 s22, 0
	s_add_nc_u64 s[28:29], s[28:29], 32
	s_wait_kmcnt 0x0
	v_mul_hi_u32 v2, s53, v1
	s_delay_alu instid0(VALU_DEP_1) | instskip(NEXT) | instid1(VALU_DEP_1)
	v_add_nc_u32_e32 v2, v1, v2
	v_lshrrev_b32_e32 v2, s54, v2
	s_delay_alu instid0(VALU_DEP_1) | instskip(SKIP_1) | instid1(VALU_DEP_1)
	v_mul_hi_u32 v3, s42, v2
	v_mul_lo_u32 v8, v2, s52
	v_dual_add_nc_u32 v3, v2, v3 :: v_dual_sub_nc_u32 v8, v1, v8
	s_delay_alu instid0(VALU_DEP_1) | instskip(NEXT) | instid1(VALU_DEP_2)
	v_lshrrev_b32_e32 v1, s43, v3
	v_mad_u32 v5, v8, s45, v5
	v_mad_u32 v4, v8, s44, v4
	;; [unrolled: 1-line block ×4, first 2 shown]
	v_mul_lo_u32 v3, v1, s55
	s_delay_alu instid0(VALU_DEP_1) | instskip(NEXT) | instid1(VALU_DEP_1)
	v_sub_nc_u32_e32 v2, v2, v3
	v_mad_u32 v5, v2, s49, v5
	v_mad_u32 v4, v2, s48, v4
	;; [unrolled: 1-line block ×4, first 2 shown]
	s_cbranch_scc1 .LBB19_8
; %bb.9:
	s_bitcmp1_b32 s38, 0
	s_cselect_b32 s22, -1, 0
	s_delay_alu instid0(SALU_CYCLE_1)
	s_and_b32 vcc_lo, exec_lo, s22
	s_cbranch_vccnz .LBB19_13
; %bb.10:
	s_load_b96 s[48:50], s[30:31], 0x4
	s_load_b128 s[44:47], s[28:29], 0xe4
	s_wait_kmcnt 0x0
	v_mul_hi_u32 v2, s49, v1
	s_delay_alu instid0(VALU_DEP_1) | instskip(NEXT) | instid1(VALU_DEP_1)
	v_add_nc_u32_e32 v2, v1, v2
	v_lshrrev_b32_e32 v2, s50, v2
	s_delay_alu instid0(VALU_DEP_1) | instskip(NEXT) | instid1(VALU_DEP_1)
	v_mul_lo_u32 v2, v2, s48
	v_sub_nc_u32_e32 v1, v1, v2
	s_delay_alu instid0(VALU_DEP_1)
	v_mad_u32 v4, v1, s44, v4
	v_mad_u32 v5, v1, s45, v5
	;; [unrolled: 1-line block ×4, first 2 shown]
	s_cbranch_execz .LBB19_14
	s_branch .LBB19_16
.LBB19_11:
                                        ; implicit-def: $vgpr5
                                        ; implicit-def: $vgpr4
                                        ; implicit-def: $vgpr7
                                        ; implicit-def: $vgpr6
	s_branch .LBB19_14
.LBB19_12:
	v_dual_mov_b32 v5, 0 :: v_dual_mov_b32 v4, 0
	v_dual_mov_b32 v7, 0 :: v_dual_mov_b32 v6, 0
.LBB19_13:
	s_cbranch_execnz .LBB19_16
.LBB19_14:
	v_mov_b32_e32 v1, 0
	s_and_not1_b32 vcc_lo, exec_lo, s37
	s_delay_alu instid0(VALU_DEP_1) | instskip(NEXT) | instid1(VALU_DEP_1)
	v_mul_u64_e32 v[2:3], s[24:25], v[0:1]
	v_add_nc_u32_e32 v2, v0, v3
	s_delay_alu instid0(VALU_DEP_1) | instskip(NEXT) | instid1(VALU_DEP_1)
	v_lshrrev_b32_e32 v2, s18, v2
	v_mul_lo_u32 v3, v2, s16
	s_delay_alu instid0(VALU_DEP_1) | instskip(NEXT) | instid1(VALU_DEP_1)
	v_sub_nc_u32_e32 v3, v0, v3
	v_mul_lo_u32 v5, v3, s9
	v_mul_lo_u32 v4, v3, s8
	;; [unrolled: 1-line block ×4, first 2 shown]
	s_cbranch_vccnz .LBB19_16
; %bb.15:
	v_mov_b32_e32 v3, v1
	s_delay_alu instid0(VALU_DEP_1) | instskip(NEXT) | instid1(VALU_DEP_1)
	v_mul_u64_e32 v[8:9], s[26:27], v[2:3]
	v_add_nc_u32_e32 v1, v2, v9
	s_delay_alu instid0(VALU_DEP_1) | instskip(NEXT) | instid1(VALU_DEP_1)
	v_lshrrev_b32_e32 v1, s23, v1
	v_mul_lo_u32 v1, v1, s19
	s_delay_alu instid0(VALU_DEP_1) | instskip(NEXT) | instid1(VALU_DEP_1)
	v_sub_nc_u32_e32 v1, v2, v1
	v_mad_u32 v4, v1, s12, v4
	v_mad_u32 v5, v1, s13, v5
	v_mad_u32 v6, v1, s14, v6
	v_mad_u32 v7, v1, s15, v7
.LBB19_16:
	global_load_u8 v1, v5, s[2:3]
	global_load_b32 v2, v6, s[4:5]
	global_load_b32 v3, v7, s[6:7]
	v_add_nc_u32_e32 v0, 0x80, v0
	s_wait_loadcnt 0x2
	v_cmp_eq_u16_e32 vcc_lo, 0, v1
	s_wait_loadcnt 0x0
	v_cndmask_b32_e32 v1, v2, v3, vcc_lo
	global_store_b32 v4, v1, s[0:1]
	s_wait_xcnt 0x0
	s_or_b32 exec_lo, exec_lo, s17
	s_delay_alu instid0(SALU_CYCLE_1)
	s_mov_b32 s17, exec_lo
	v_cmpx_gt_i32_e64 s39, v0
	s_cbranch_execz .LBB19_3
.LBB19_17:
	s_and_not1_b32 vcc_lo, exec_lo, s35
	s_cbranch_vccnz .LBB19_23
; %bb.18:
	s_and_not1_b32 vcc_lo, exec_lo, s40
	s_cbranch_vccnz .LBB19_24
; %bb.19:
	v_dual_mov_b32 v5, 0 :: v_dual_mov_b32 v1, v0
	v_dual_mov_b32 v7, 0 :: v_dual_mov_b32 v4, 0
	v_mov_b32_e32 v6, 0
	s_add_co_i32 s22, s38, 1
	s_mov_b64 s[28:29], 0xffffffffffffffe0
	s_and_b32 s22, s22, 30
	s_add_nc_u64 s[28:29], s[20:21], s[28:29]
	s_mov_b64 s[30:31], s[20:21]
.LBB19_20:                              ; =>This Inner Loop Header: Depth=1
	s_clause 0x1
	s_load_b128 s[52:55], s[30:31], 0x4
	s_load_b64 s[42:43], s[30:31], 0x14
	s_load_b256 s[44:51], s[28:29], 0xe4
	s_add_co_i32 s22, s22, -2
	s_wait_xcnt 0x0
	s_add_nc_u64 s[30:31], s[30:31], 24
	s_cmp_eq_u32 s22, 0
	s_add_nc_u64 s[28:29], s[28:29], 32
	s_wait_kmcnt 0x0
	v_mul_hi_u32 v2, s53, v1
	s_delay_alu instid0(VALU_DEP_1) | instskip(NEXT) | instid1(VALU_DEP_1)
	v_add_nc_u32_e32 v2, v1, v2
	v_lshrrev_b32_e32 v2, s54, v2
	s_delay_alu instid0(VALU_DEP_1) | instskip(SKIP_1) | instid1(VALU_DEP_1)
	v_mul_hi_u32 v3, s42, v2
	v_mul_lo_u32 v8, v2, s52
	v_dual_add_nc_u32 v3, v2, v3 :: v_dual_sub_nc_u32 v8, v1, v8
	s_delay_alu instid0(VALU_DEP_1) | instskip(NEXT) | instid1(VALU_DEP_2)
	v_lshrrev_b32_e32 v1, s43, v3
	v_mad_u32 v6, v8, s45, v6
	v_mad_u32 v4, v8, s44, v4
	;; [unrolled: 1-line block ×4, first 2 shown]
	v_mul_lo_u32 v3, v1, s55
	s_delay_alu instid0(VALU_DEP_1) | instskip(NEXT) | instid1(VALU_DEP_1)
	v_sub_nc_u32_e32 v2, v2, v3
	v_mad_u32 v6, v2, s49, v6
	v_mad_u32 v4, v2, s48, v4
	;; [unrolled: 1-line block ×4, first 2 shown]
	s_cbranch_scc0 .LBB19_20
; %bb.21:
	s_bitcmp1_b32 s38, 0
	s_cselect_b32 s22, -1, 0
	s_delay_alu instid0(SALU_CYCLE_1)
	s_and_b32 vcc_lo, exec_lo, s22
	s_cbranch_vccnz .LBB19_25
; %bb.22:
	s_load_b96 s[48:50], s[30:31], 0x4
	s_load_b128 s[44:47], s[28:29], 0xe4
	s_wait_kmcnt 0x0
	v_mul_hi_u32 v2, s49, v1
	s_delay_alu instid0(VALU_DEP_1) | instskip(NEXT) | instid1(VALU_DEP_1)
	v_add_nc_u32_e32 v2, v1, v2
	v_lshrrev_b32_e32 v2, s50, v2
	s_delay_alu instid0(VALU_DEP_1) | instskip(NEXT) | instid1(VALU_DEP_1)
	v_mul_lo_u32 v2, v2, s48
	v_sub_nc_u32_e32 v1, v1, v2
	s_delay_alu instid0(VALU_DEP_1)
	v_mad_u32 v4, v1, s44, v4
	v_mad_u32 v6, v1, s45, v6
	;; [unrolled: 1-line block ×4, first 2 shown]
	s_branch .LBB19_25
.LBB19_23:
                                        ; implicit-def: $vgpr6
                                        ; implicit-def: $vgpr4
                                        ; implicit-def: $vgpr7
                                        ; implicit-def: $vgpr5
	s_branch .LBB19_26
.LBB19_24:
	v_dual_mov_b32 v6, 0 :: v_dual_mov_b32 v4, 0
	v_dual_mov_b32 v7, 0 :: v_dual_mov_b32 v5, 0
.LBB19_25:
	s_cbranch_execnz .LBB19_28
.LBB19_26:
	v_mov_b32_e32 v1, 0
	s_and_not1_b32 vcc_lo, exec_lo, s37
	s_delay_alu instid0(VALU_DEP_1) | instskip(NEXT) | instid1(VALU_DEP_1)
	v_mul_u64_e32 v[2:3], s[24:25], v[0:1]
	v_add_nc_u32_e32 v2, v0, v3
	s_delay_alu instid0(VALU_DEP_1) | instskip(NEXT) | instid1(VALU_DEP_1)
	v_lshrrev_b32_e32 v2, s18, v2
	v_mul_lo_u32 v3, v2, s16
	s_delay_alu instid0(VALU_DEP_1) | instskip(NEXT) | instid1(VALU_DEP_1)
	v_sub_nc_u32_e32 v3, v0, v3
	v_mul_lo_u32 v6, v3, s9
	v_mul_lo_u32 v4, v3, s8
	;; [unrolled: 1-line block ×4, first 2 shown]
	s_cbranch_vccnz .LBB19_28
; %bb.27:
	v_mov_b32_e32 v3, v1
	s_delay_alu instid0(VALU_DEP_1) | instskip(NEXT) | instid1(VALU_DEP_1)
	v_mul_u64_e32 v[8:9], s[26:27], v[2:3]
	v_add_nc_u32_e32 v1, v2, v9
	s_delay_alu instid0(VALU_DEP_1) | instskip(NEXT) | instid1(VALU_DEP_1)
	v_lshrrev_b32_e32 v1, s23, v1
	v_mul_lo_u32 v1, v1, s19
	s_delay_alu instid0(VALU_DEP_1) | instskip(NEXT) | instid1(VALU_DEP_1)
	v_sub_nc_u32_e32 v1, v2, v1
	v_mad_u32 v4, v1, s12, v4
	v_mad_u32 v6, v1, s13, v6
	;; [unrolled: 1-line block ×4, first 2 shown]
.LBB19_28:
	global_load_u8 v1, v6, s[2:3]
	global_load_b32 v2, v5, s[4:5]
	global_load_b32 v3, v7, s[6:7]
	v_add_nc_u32_e32 v0, 0x80, v0
	s_wait_loadcnt 0x2
	v_cmp_eq_u16_e32 vcc_lo, 0, v1
	s_wait_loadcnt 0x0
	v_cndmask_b32_e32 v1, v2, v3, vcc_lo
	global_store_b32 v4, v1, s[0:1]
	s_wait_xcnt 0x0
	s_or_b32 exec_lo, exec_lo, s17
	s_delay_alu instid0(SALU_CYCLE_1)
	s_mov_b32 s17, exec_lo
	v_cmpx_gt_i32_e64 s39, v0
	s_cbranch_execz .LBB19_4
.LBB19_29:
	s_and_not1_b32 vcc_lo, exec_lo, s35
	s_cbranch_vccnz .LBB19_35
; %bb.30:
	s_and_not1_b32 vcc_lo, exec_lo, s40
	s_cbranch_vccnz .LBB19_36
; %bb.31:
	v_dual_mov_b32 v6, 0 :: v_dual_mov_b32 v1, v0
	v_dual_mov_b32 v7, 0 :: v_dual_mov_b32 v4, 0
	v_mov_b32_e32 v5, 0
	s_add_co_i32 s22, s38, 1
	s_mov_b64 s[28:29], 0xffffffffffffffe0
	s_and_b32 s22, s22, 30
	s_add_nc_u64 s[28:29], s[20:21], s[28:29]
	s_mov_b64 s[30:31], s[20:21]
.LBB19_32:                              ; =>This Inner Loop Header: Depth=1
	s_clause 0x1
	s_load_b128 s[52:55], s[30:31], 0x4
	s_load_b64 s[42:43], s[30:31], 0x14
	s_load_b256 s[44:51], s[28:29], 0xe4
	s_add_co_i32 s22, s22, -2
	s_wait_xcnt 0x0
	s_add_nc_u64 s[30:31], s[30:31], 24
	s_cmp_eq_u32 s22, 0
	s_add_nc_u64 s[28:29], s[28:29], 32
	s_wait_kmcnt 0x0
	v_mul_hi_u32 v2, s53, v1
	s_delay_alu instid0(VALU_DEP_1) | instskip(NEXT) | instid1(VALU_DEP_1)
	v_add_nc_u32_e32 v2, v1, v2
	v_lshrrev_b32_e32 v2, s54, v2
	s_delay_alu instid0(VALU_DEP_1) | instskip(SKIP_1) | instid1(VALU_DEP_1)
	v_mul_hi_u32 v3, s42, v2
	v_mul_lo_u32 v8, v2, s52
	v_dual_add_nc_u32 v3, v2, v3 :: v_dual_sub_nc_u32 v8, v1, v8
	s_delay_alu instid0(VALU_DEP_1) | instskip(NEXT) | instid1(VALU_DEP_2)
	v_lshrrev_b32_e32 v1, s43, v3
	v_mad_u32 v5, v8, s45, v5
	v_mad_u32 v4, v8, s44, v4
	;; [unrolled: 1-line block ×4, first 2 shown]
	v_mul_lo_u32 v3, v1, s55
	s_delay_alu instid0(VALU_DEP_1) | instskip(NEXT) | instid1(VALU_DEP_1)
	v_sub_nc_u32_e32 v2, v2, v3
	v_mad_u32 v5, v2, s49, v5
	v_mad_u32 v4, v2, s48, v4
	;; [unrolled: 1-line block ×4, first 2 shown]
	s_cbranch_scc0 .LBB19_32
; %bb.33:
	s_bitcmp1_b32 s38, 0
	s_cselect_b32 s22, -1, 0
	s_delay_alu instid0(SALU_CYCLE_1)
	s_and_b32 vcc_lo, exec_lo, s22
	s_cbranch_vccnz .LBB19_37
; %bb.34:
	s_load_b96 s[48:50], s[30:31], 0x4
	s_load_b128 s[44:47], s[28:29], 0xe4
	s_wait_kmcnt 0x0
	v_mul_hi_u32 v2, s49, v1
	s_delay_alu instid0(VALU_DEP_1) | instskip(NEXT) | instid1(VALU_DEP_1)
	v_add_nc_u32_e32 v2, v1, v2
	v_lshrrev_b32_e32 v2, s50, v2
	s_delay_alu instid0(VALU_DEP_1) | instskip(NEXT) | instid1(VALU_DEP_1)
	v_mul_lo_u32 v2, v2, s48
	v_sub_nc_u32_e32 v1, v1, v2
	s_delay_alu instid0(VALU_DEP_1)
	v_mad_u32 v4, v1, s44, v4
	v_mad_u32 v5, v1, s45, v5
	;; [unrolled: 1-line block ×4, first 2 shown]
	s_branch .LBB19_37
.LBB19_35:
                                        ; implicit-def: $vgpr5
                                        ; implicit-def: $vgpr4
                                        ; implicit-def: $vgpr7
                                        ; implicit-def: $vgpr6
	s_branch .LBB19_38
.LBB19_36:
	v_dual_mov_b32 v5, 0 :: v_dual_mov_b32 v4, 0
	v_dual_mov_b32 v7, 0 :: v_dual_mov_b32 v6, 0
.LBB19_37:
	s_cbranch_execnz .LBB19_40
.LBB19_38:
	v_mov_b32_e32 v1, 0
	s_and_not1_b32 vcc_lo, exec_lo, s37
	s_delay_alu instid0(VALU_DEP_1) | instskip(NEXT) | instid1(VALU_DEP_1)
	v_mul_u64_e32 v[2:3], s[24:25], v[0:1]
	v_add_nc_u32_e32 v2, v0, v3
	s_delay_alu instid0(VALU_DEP_1) | instskip(NEXT) | instid1(VALU_DEP_1)
	v_lshrrev_b32_e32 v2, s18, v2
	v_mul_lo_u32 v3, v2, s16
	s_delay_alu instid0(VALU_DEP_1) | instskip(NEXT) | instid1(VALU_DEP_1)
	v_sub_nc_u32_e32 v3, v0, v3
	v_mul_lo_u32 v5, v3, s9
	v_mul_lo_u32 v4, v3, s8
	;; [unrolled: 1-line block ×4, first 2 shown]
	s_cbranch_vccnz .LBB19_40
; %bb.39:
	v_mov_b32_e32 v3, v1
	s_delay_alu instid0(VALU_DEP_1) | instskip(NEXT) | instid1(VALU_DEP_1)
	v_mul_u64_e32 v[8:9], s[26:27], v[2:3]
	v_add_nc_u32_e32 v1, v2, v9
	s_delay_alu instid0(VALU_DEP_1) | instskip(NEXT) | instid1(VALU_DEP_1)
	v_lshrrev_b32_e32 v1, s23, v1
	v_mul_lo_u32 v1, v1, s19
	s_delay_alu instid0(VALU_DEP_1) | instskip(NEXT) | instid1(VALU_DEP_1)
	v_sub_nc_u32_e32 v1, v2, v1
	v_mad_u32 v4, v1, s12, v4
	v_mad_u32 v5, v1, s13, v5
	v_mad_u32 v6, v1, s14, v6
	v_mad_u32 v7, v1, s15, v7
.LBB19_40:
	global_load_u8 v1, v5, s[2:3]
	global_load_b32 v2, v6, s[4:5]
	global_load_b32 v3, v7, s[6:7]
	v_add_nc_u32_e32 v0, 0x80, v0
	s_wait_loadcnt 0x2
	v_cmp_eq_u16_e32 vcc_lo, 0, v1
	s_wait_loadcnt 0x0
	v_cndmask_b32_e32 v1, v2, v3, vcc_lo
	global_store_b32 v4, v1, s[0:1]
	s_wait_xcnt 0x0
	s_or_b32 exec_lo, exec_lo, s17
	s_delay_alu instid0(SALU_CYCLE_1)
	s_mov_b32 s17, exec_lo
	v_cmpx_gt_i32_e64 s39, v0
	s_cbranch_execz .LBB19_53
.LBB19_41:
	s_and_not1_b32 vcc_lo, exec_lo, s35
	s_cbranch_vccnz .LBB19_47
; %bb.42:
	s_and_not1_b32 vcc_lo, exec_lo, s40
	s_cbranch_vccnz .LBB19_48
; %bb.43:
	v_dual_mov_b32 v5, 0 :: v_dual_mov_b32 v1, v0
	v_dual_mov_b32 v7, 0 :: v_dual_mov_b32 v4, 0
	v_mov_b32_e32 v6, 0
	s_add_co_i32 s22, s38, 1
	s_mov_b64 s[28:29], 0xffffffffffffffe0
	s_and_b32 s22, s22, 30
	s_add_nc_u64 s[28:29], s[20:21], s[28:29]
	s_mov_b64 s[30:31], s[20:21]
.LBB19_44:                              ; =>This Inner Loop Header: Depth=1
	s_clause 0x1
	s_load_b128 s[48:51], s[30:31], 0x4
	s_load_b64 s[52:53], s[30:31], 0x14
	s_load_b256 s[40:47], s[28:29], 0xe4
	s_add_co_i32 s22, s22, -2
	s_wait_xcnt 0x0
	s_add_nc_u64 s[30:31], s[30:31], 24
	s_cmp_eq_u32 s22, 0
	s_add_nc_u64 s[28:29], s[28:29], 32
	s_wait_kmcnt 0x0
	v_mul_hi_u32 v2, s49, v1
	s_delay_alu instid0(VALU_DEP_1) | instskip(NEXT) | instid1(VALU_DEP_1)
	v_add_nc_u32_e32 v2, v1, v2
	v_lshrrev_b32_e32 v2, s50, v2
	s_delay_alu instid0(VALU_DEP_1) | instskip(SKIP_1) | instid1(VALU_DEP_1)
	v_mul_hi_u32 v3, s52, v2
	v_mul_lo_u32 v8, v2, s48
	v_dual_add_nc_u32 v3, v2, v3 :: v_dual_sub_nc_u32 v8, v1, v8
	s_delay_alu instid0(VALU_DEP_1) | instskip(NEXT) | instid1(VALU_DEP_2)
	v_lshrrev_b32_e32 v1, s53, v3
	v_mad_u32 v6, v8, s41, v6
	v_mad_u32 v4, v8, s40, v4
	v_mad_u32 v7, v8, s43, v7
	v_mad_u32 v5, v8, s42, v5
	v_mul_lo_u32 v3, v1, s51
	s_delay_alu instid0(VALU_DEP_1) | instskip(NEXT) | instid1(VALU_DEP_1)
	v_sub_nc_u32_e32 v2, v2, v3
	v_mad_u32 v6, v2, s45, v6
	v_mad_u32 v4, v2, s44, v4
	v_mad_u32 v7, v2, s47, v7
	v_mad_u32 v5, v2, s46, v5
	s_cbranch_scc0 .LBB19_44
; %bb.45:
	s_bitcmp1_b32 s38, 0
	s_cselect_b32 s22, -1, 0
	s_delay_alu instid0(SALU_CYCLE_1)
	s_and_b32 vcc_lo, exec_lo, s22
	s_cbranch_vccnz .LBB19_49
; %bb.46:
	s_load_b96 s[44:46], s[30:31], 0x4
	s_load_b128 s[40:43], s[28:29], 0xe4
	s_wait_kmcnt 0x0
	v_mul_hi_u32 v2, s45, v1
	s_delay_alu instid0(VALU_DEP_1) | instskip(NEXT) | instid1(VALU_DEP_1)
	v_add_nc_u32_e32 v2, v1, v2
	v_lshrrev_b32_e32 v2, s46, v2
	s_delay_alu instid0(VALU_DEP_1) | instskip(NEXT) | instid1(VALU_DEP_1)
	v_mul_lo_u32 v2, v2, s44
	v_sub_nc_u32_e32 v1, v1, v2
	s_delay_alu instid0(VALU_DEP_1)
	v_mad_u32 v4, v1, s40, v4
	v_mad_u32 v6, v1, s41, v6
	;; [unrolled: 1-line block ×4, first 2 shown]
	s_branch .LBB19_49
.LBB19_47:
                                        ; implicit-def: $vgpr6
                                        ; implicit-def: $vgpr4
                                        ; implicit-def: $vgpr7
                                        ; implicit-def: $vgpr5
	s_branch .LBB19_50
.LBB19_48:
	v_dual_mov_b32 v6, 0 :: v_dual_mov_b32 v4, 0
	v_dual_mov_b32 v7, 0 :: v_dual_mov_b32 v5, 0
.LBB19_49:
	s_cbranch_execnz .LBB19_52
.LBB19_50:
	v_mov_b32_e32 v1, 0
	s_and_not1_b32 vcc_lo, exec_lo, s37
	s_delay_alu instid0(VALU_DEP_1) | instskip(NEXT) | instid1(VALU_DEP_1)
	v_mul_u64_e32 v[2:3], s[24:25], v[0:1]
	v_add_nc_u32_e32 v2, v0, v3
	s_delay_alu instid0(VALU_DEP_1) | instskip(NEXT) | instid1(VALU_DEP_1)
	v_lshrrev_b32_e32 v2, s18, v2
	v_mul_lo_u32 v3, v2, s16
	s_delay_alu instid0(VALU_DEP_1) | instskip(NEXT) | instid1(VALU_DEP_1)
	v_sub_nc_u32_e32 v0, v0, v3
	v_mul_lo_u32 v6, v0, s9
	v_mul_lo_u32 v4, v0, s8
	;; [unrolled: 1-line block ×4, first 2 shown]
	s_cbranch_vccnz .LBB19_52
; %bb.51:
	v_mov_b32_e32 v3, v1
	s_delay_alu instid0(VALU_DEP_1) | instskip(NEXT) | instid1(VALU_DEP_1)
	v_mul_u64_e32 v[0:1], s[26:27], v[2:3]
	v_add_nc_u32_e32 v0, v2, v1
	s_delay_alu instid0(VALU_DEP_1) | instskip(NEXT) | instid1(VALU_DEP_1)
	v_lshrrev_b32_e32 v0, s23, v0
	v_mul_lo_u32 v0, v0, s19
	s_delay_alu instid0(VALU_DEP_1) | instskip(NEXT) | instid1(VALU_DEP_1)
	v_sub_nc_u32_e32 v0, v2, v0
	v_mad_u32 v4, v0, s12, v4
	v_mad_u32 v6, v0, s13, v6
	;; [unrolled: 1-line block ×4, first 2 shown]
.LBB19_52:
	global_load_u8 v0, v6, s[2:3]
	global_load_b32 v1, v5, s[4:5]
	global_load_b32 v2, v7, s[6:7]
	s_wait_loadcnt 0x2
	v_cmp_eq_u16_e32 vcc_lo, 0, v0
	s_wait_loadcnt 0x0
	v_cndmask_b32_e32 v0, v1, v2, vcc_lo
	global_store_b32 v4, v0, s[0:1]
.LBB19_53:
	s_wait_xcnt 0x0
	s_or_b32 exec_lo, exec_lo, s17
                                        ; implicit-def: $vgpr5
                                        ; implicit-def: $vgpr0
.LBB19_54:
	s_and_not1_saveexec_b32 s0, s36
	s_cbranch_execz .LBB19_61
; %bb.55:
	v_cndmask_b32_e64 v6, 0, 1, s35
	s_and_not1_b32 vcc_lo, exec_lo, s35
	s_cbranch_vccnz .LBB19_62
; %bb.56:
	s_cmp_lg_u32 s33, 0
	s_mov_b32 s4, 0
	s_cbranch_scc0 .LBB19_66
; %bb.57:
	s_min_u32 s5, s34, 15
	v_dual_mov_b32 v4, 0 :: v_dual_mov_b32 v7, v0
	v_dual_mov_b32 v3, 0 :: v_dual_mov_b32 v1, 0
	v_mov_b32_e32 v2, 0
	s_add_co_i32 s2, s5, 1
	s_mov_b64 s[0:1], 0xffffffffffffffe0
	s_and_b32 s6, s2, 30
	s_add_nc_u64 s[0:1], s[20:21], s[0:1]
	s_mov_b64 s[2:3], s[20:21]
.LBB19_58:                              ; =>This Inner Loop Header: Depth=1
	s_clause 0x1
	s_load_b128 s[16:19], s[2:3], 0x4
	s_load_b64 s[22:23], s[2:3], 0x14
	s_load_b256 s[8:15], s[0:1], 0xe4
	s_add_co_i32 s6, s6, -2
	s_wait_xcnt 0x0
	s_add_nc_u64 s[2:3], s[2:3], 24
	s_cmp_lg_u32 s6, 0
	s_add_nc_u64 s[0:1], s[0:1], 32
	s_wait_kmcnt 0x0
	v_mul_hi_u32 v8, s17, v7
	s_delay_alu instid0(VALU_DEP_1) | instskip(NEXT) | instid1(VALU_DEP_1)
	v_add_nc_u32_e32 v8, v7, v8
	v_lshrrev_b32_e32 v8, s18, v8
	s_delay_alu instid0(VALU_DEP_1) | instskip(SKIP_1) | instid1(VALU_DEP_1)
	v_mul_hi_u32 v9, s22, v8
	v_mul_lo_u32 v10, v8, s16
	v_dual_add_nc_u32 v9, v8, v9 :: v_dual_sub_nc_u32 v10, v7, v10
	s_delay_alu instid0(VALU_DEP_1) | instskip(NEXT) | instid1(VALU_DEP_2)
	v_lshrrev_b32_e32 v7, s23, v9
	v_mad_u32 v2, v10, s9, v2
	v_mad_u32 v1, v10, s8, v1
	;; [unrolled: 1-line block ×4, first 2 shown]
	v_mul_lo_u32 v9, v7, s19
	s_delay_alu instid0(VALU_DEP_1) | instskip(NEXT) | instid1(VALU_DEP_1)
	v_sub_nc_u32_e32 v8, v8, v9
	v_mad_u32 v2, v8, s13, v2
	v_mad_u32 v1, v8, s12, v1
	;; [unrolled: 1-line block ×4, first 2 shown]
	s_cbranch_scc1 .LBB19_58
; %bb.59:
	s_bitcmp1_b32 s5, 0
	s_cselect_b32 s5, -1, 0
	s_delay_alu instid0(SALU_CYCLE_1)
	s_and_b32 vcc_lo, exec_lo, s5
	s_cbranch_vccnz .LBB19_63
; %bb.60:
	s_load_b96 s[12:14], s[2:3], 0x4
	s_load_b128 s[8:11], s[0:1], 0xe4
	s_wait_kmcnt 0x0
	v_mul_hi_u32 v8, s13, v7
	s_delay_alu instid0(VALU_DEP_1) | instskip(NEXT) | instid1(VALU_DEP_1)
	v_add_nc_u32_e32 v8, v7, v8
	v_lshrrev_b32_e32 v8, s14, v8
	s_delay_alu instid0(VALU_DEP_1) | instskip(NEXT) | instid1(VALU_DEP_1)
	v_mul_lo_u32 v8, v8, s12
	v_sub_nc_u32_e32 v7, v7, v8
	s_delay_alu instid0(VALU_DEP_1)
	v_mad_u32 v1, v7, s8, v1
	v_mad_u32 v2, v7, s9, v2
	v_mad_u32 v4, v7, s10, v4
	v_mad_u32 v3, v7, s11, v3
	s_and_not1_b32 vcc_lo, exec_lo, s4
	s_cbranch_vccz .LBB19_64
	s_branch .LBB19_67
.LBB19_61:
	s_endpgm
.LBB19_62:
	s_mov_b32 s4, -1
                                        ; implicit-def: $vgpr2
                                        ; implicit-def: $vgpr1
                                        ; implicit-def: $vgpr3
                                        ; implicit-def: $vgpr4
.LBB19_63:
	s_delay_alu instid0(SALU_CYCLE_1)
	s_and_not1_b32 vcc_lo, exec_lo, s4
	s_cbranch_vccnz .LBB19_67
.LBB19_64:
	s_clause 0x1
	s_load_b96 s[4:6], s[20:21], 0x4
	s_load_b128 s[0:3], s[20:21], 0xc4
	s_cmp_lt_u32 s33, 2
	s_wait_kmcnt 0x0
	v_mul_hi_u32 v1, s5, v0
	s_delay_alu instid0(VALU_DEP_1) | instskip(NEXT) | instid1(VALU_DEP_1)
	v_add_nc_u32_e32 v1, v0, v1
	v_lshrrev_b32_e32 v7, s6, v1
	s_delay_alu instid0(VALU_DEP_1) | instskip(NEXT) | instid1(VALU_DEP_1)
	v_mul_lo_u32 v1, v7, s4
	v_sub_nc_u32_e32 v4, v0, v1
	s_delay_alu instid0(VALU_DEP_1)
	v_mul_lo_u32 v2, v4, s1
	v_mul_lo_u32 v1, v4, s0
	;; [unrolled: 1-line block ×4, first 2 shown]
	s_cbranch_scc1 .LBB19_67
; %bb.65:
	s_clause 0x1
	s_load_b96 s[4:6], s[20:21], 0x10
	s_load_b128 s[0:3], s[20:21], 0xd4
	s_wait_kmcnt 0x0
	v_mul_hi_u32 v8, s5, v7
	s_delay_alu instid0(VALU_DEP_1) | instskip(NEXT) | instid1(VALU_DEP_1)
	v_add_nc_u32_e32 v8, v7, v8
	v_lshrrev_b32_e32 v8, s6, v8
	s_delay_alu instid0(VALU_DEP_1) | instskip(NEXT) | instid1(VALU_DEP_1)
	v_mul_lo_u32 v8, v8, s4
	v_sub_nc_u32_e32 v7, v7, v8
	s_delay_alu instid0(VALU_DEP_1)
	v_mad_u32 v1, v7, s0, v1
	v_mad_u32 v2, v7, s1, v2
	;; [unrolled: 1-line block ×4, first 2 shown]
	s_branch .LBB19_67
.LBB19_66:
	v_dual_mov_b32 v2, 0 :: v_dual_mov_b32 v1, 0
	v_dual_mov_b32 v3, 0 :: v_dual_mov_b32 v4, 0
	s_and_not1_b32 vcc_lo, exec_lo, s4
	s_cbranch_vccz .LBB19_64
.LBB19_67:
	v_cmp_ne_u32_e32 vcc_lo, 1, v6
	v_add_nc_u32_e32 v11, 0x80, v0
	s_cbranch_vccnz .LBB19_73
; %bb.68:
	s_cmp_lg_u32 s33, 0
	s_mov_b32 s4, 0
	s_cbranch_scc0 .LBB19_77
; %bb.69:
	s_min_u32 s5, s34, 15
	v_dual_mov_b32 v10, 0 :: v_dual_mov_b32 v12, v11
	v_dual_mov_b32 v9, 0 :: v_dual_mov_b32 v7, 0
	v_mov_b32_e32 v8, 0
	s_add_co_i32 s2, s5, 1
	s_mov_b64 s[0:1], 0xffffffffffffffe0
	s_and_b32 s6, s2, 30
	s_add_nc_u64 s[0:1], s[20:21], s[0:1]
	s_mov_b64 s[2:3], s[20:21]
.LBB19_70:                              ; =>This Inner Loop Header: Depth=1
	s_clause 0x1
	s_load_b128 s[16:19], s[2:3], 0x4
	s_load_b64 s[22:23], s[2:3], 0x14
	s_load_b256 s[8:15], s[0:1], 0xe4
	s_add_co_i32 s6, s6, -2
	s_wait_xcnt 0x0
	s_add_nc_u64 s[2:3], s[2:3], 24
	s_cmp_lg_u32 s6, 0
	s_add_nc_u64 s[0:1], s[0:1], 32
	s_wait_kmcnt 0x0
	v_mul_hi_u32 v13, s17, v12
	s_delay_alu instid0(VALU_DEP_1) | instskip(NEXT) | instid1(VALU_DEP_1)
	v_add_nc_u32_e32 v13, v12, v13
	v_lshrrev_b32_e32 v13, s18, v13
	s_delay_alu instid0(VALU_DEP_1) | instskip(SKIP_1) | instid1(VALU_DEP_1)
	v_mul_hi_u32 v14, s22, v13
	v_mul_lo_u32 v15, v13, s16
	v_dual_add_nc_u32 v14, v13, v14 :: v_dual_sub_nc_u32 v15, v12, v15
	s_delay_alu instid0(VALU_DEP_1) | instskip(NEXT) | instid1(VALU_DEP_2)
	v_lshrrev_b32_e32 v12, s23, v14
	v_mad_u32 v8, v15, s9, v8
	v_mad_u32 v7, v15, s8, v7
	;; [unrolled: 1-line block ×4, first 2 shown]
	v_mul_lo_u32 v14, v12, s19
	s_delay_alu instid0(VALU_DEP_1) | instskip(NEXT) | instid1(VALU_DEP_1)
	v_sub_nc_u32_e32 v13, v13, v14
	v_mad_u32 v8, v13, s13, v8
	v_mad_u32 v7, v13, s12, v7
	;; [unrolled: 1-line block ×4, first 2 shown]
	s_cbranch_scc1 .LBB19_70
; %bb.71:
	s_bitcmp1_b32 s5, 0
	s_cselect_b32 s5, -1, 0
	s_delay_alu instid0(SALU_CYCLE_1)
	s_and_b32 vcc_lo, exec_lo, s5
	s_cbranch_vccnz .LBB19_74
; %bb.72:
	s_load_b96 s[12:14], s[2:3], 0x4
	s_load_b128 s[8:11], s[0:1], 0xe4
	s_wait_kmcnt 0x0
	v_mul_hi_u32 v13, s13, v12
	s_delay_alu instid0(VALU_DEP_1) | instskip(NEXT) | instid1(VALU_DEP_1)
	v_add_nc_u32_e32 v13, v12, v13
	v_lshrrev_b32_e32 v13, s14, v13
	s_delay_alu instid0(VALU_DEP_1) | instskip(NEXT) | instid1(VALU_DEP_1)
	v_mul_lo_u32 v13, v13, s12
	v_sub_nc_u32_e32 v12, v12, v13
	s_delay_alu instid0(VALU_DEP_1)
	v_mad_u32 v7, v12, s8, v7
	v_mad_u32 v8, v12, s9, v8
	;; [unrolled: 1-line block ×4, first 2 shown]
	s_and_not1_b32 vcc_lo, exec_lo, s4
	s_cbranch_vccz .LBB19_75
	s_branch .LBB19_78
.LBB19_73:
	s_mov_b32 s4, -1
                                        ; implicit-def: $vgpr8
                                        ; implicit-def: $vgpr7
                                        ; implicit-def: $vgpr9
                                        ; implicit-def: $vgpr10
.LBB19_74:
	s_delay_alu instid0(SALU_CYCLE_1)
	s_and_not1_b32 vcc_lo, exec_lo, s4
	s_cbranch_vccnz .LBB19_78
.LBB19_75:
	s_clause 0x1
	s_load_b96 s[4:6], s[20:21], 0x4
	s_load_b128 s[0:3], s[20:21], 0xc4
	s_cmp_lt_u32 s33, 2
	s_wait_kmcnt 0x0
	v_mul_hi_u32 v7, s5, v11
	s_delay_alu instid0(VALU_DEP_1) | instskip(NEXT) | instid1(VALU_DEP_1)
	v_add_nc_u32_e32 v7, v11, v7
	v_lshrrev_b32_e32 v12, s6, v7
	s_delay_alu instid0(VALU_DEP_1) | instskip(NEXT) | instid1(VALU_DEP_1)
	v_mul_lo_u32 v7, v12, s4
	v_sub_nc_u32_e32 v10, v11, v7
	s_delay_alu instid0(VALU_DEP_1)
	v_mul_lo_u32 v8, v10, s1
	v_mul_lo_u32 v7, v10, s0
	;; [unrolled: 1-line block ×4, first 2 shown]
	s_cbranch_scc1 .LBB19_78
; %bb.76:
	s_clause 0x1
	s_load_b96 s[4:6], s[20:21], 0x10
	s_load_b128 s[0:3], s[20:21], 0xd4
	s_wait_kmcnt 0x0
	v_mul_hi_u32 v11, s5, v12
	s_delay_alu instid0(VALU_DEP_1) | instskip(NEXT) | instid1(VALU_DEP_1)
	v_add_nc_u32_e32 v11, v12, v11
	v_lshrrev_b32_e32 v11, s6, v11
	s_delay_alu instid0(VALU_DEP_1) | instskip(NEXT) | instid1(VALU_DEP_1)
	v_mul_lo_u32 v11, v11, s4
	v_sub_nc_u32_e32 v11, v12, v11
	s_delay_alu instid0(VALU_DEP_1)
	v_mad_u32 v7, v11, s0, v7
	v_mad_u32 v8, v11, s1, v8
	;; [unrolled: 1-line block ×4, first 2 shown]
	s_branch .LBB19_78
.LBB19_77:
	v_dual_mov_b32 v8, 0 :: v_dual_mov_b32 v7, 0
	v_dual_mov_b32 v9, 0 :: v_dual_mov_b32 v10, 0
	s_and_not1_b32 vcc_lo, exec_lo, s4
	s_cbranch_vccz .LBB19_75
.LBB19_78:
	v_cmp_ne_u32_e32 vcc_lo, 1, v6
	v_add_nc_u32_e32 v14, 0x100, v0
	s_cbranch_vccnz .LBB19_84
; %bb.79:
	s_cmp_lg_u32 s33, 0
	s_mov_b32 s4, 0
	s_cbranch_scc0 .LBB19_88
; %bb.80:
	s_min_u32 s5, s34, 15
	v_dual_mov_b32 v13, 0 :: v_dual_mov_b32 v15, v14
	v_dual_mov_b32 v12, 0 :: v_dual_mov_b32 v0, 0
	v_mov_b32_e32 v11, 0
	s_add_co_i32 s2, s5, 1
	s_mov_b64 s[0:1], 0xffffffffffffffe0
	s_and_b32 s6, s2, 30
	s_add_nc_u64 s[0:1], s[20:21], s[0:1]
	s_mov_b64 s[2:3], s[20:21]
.LBB19_81:                              ; =>This Inner Loop Header: Depth=1
	s_clause 0x1
	s_load_b128 s[16:19], s[2:3], 0x4
	s_load_b64 s[22:23], s[2:3], 0x14
	s_load_b256 s[8:15], s[0:1], 0xe4
	s_add_co_i32 s6, s6, -2
	s_wait_xcnt 0x0
	s_add_nc_u64 s[2:3], s[2:3], 24
	s_cmp_lg_u32 s6, 0
	s_add_nc_u64 s[0:1], s[0:1], 32
	s_wait_kmcnt 0x0
	v_mul_hi_u32 v16, s17, v15
	s_delay_alu instid0(VALU_DEP_1) | instskip(NEXT) | instid1(VALU_DEP_1)
	v_add_nc_u32_e32 v16, v15, v16
	v_lshrrev_b32_e32 v16, s18, v16
	s_delay_alu instid0(VALU_DEP_1) | instskip(SKIP_1) | instid1(VALU_DEP_1)
	v_mul_hi_u32 v17, s22, v16
	v_mul_lo_u32 v18, v16, s16
	v_dual_add_nc_u32 v17, v16, v17 :: v_dual_sub_nc_u32 v18, v15, v18
	s_delay_alu instid0(VALU_DEP_1) | instskip(NEXT) | instid1(VALU_DEP_2)
	v_lshrrev_b32_e32 v15, s23, v17
	v_mad_u32 v11, v18, s9, v11
	v_mad_u32 v0, v18, s8, v0
	;; [unrolled: 1-line block ×4, first 2 shown]
	v_mul_lo_u32 v17, v15, s19
	s_delay_alu instid0(VALU_DEP_1) | instskip(NEXT) | instid1(VALU_DEP_1)
	v_sub_nc_u32_e32 v16, v16, v17
	v_mad_u32 v11, v16, s13, v11
	v_mad_u32 v0, v16, s12, v0
	;; [unrolled: 1-line block ×4, first 2 shown]
	s_cbranch_scc1 .LBB19_81
; %bb.82:
	s_bitcmp1_b32 s5, 0
	s_cselect_b32 s5, -1, 0
	s_delay_alu instid0(SALU_CYCLE_1)
	s_and_b32 vcc_lo, exec_lo, s5
	s_cbranch_vccnz .LBB19_85
; %bb.83:
	s_load_b96 s[12:14], s[2:3], 0x4
	s_load_b128 s[8:11], s[0:1], 0xe4
	s_wait_kmcnt 0x0
	v_mul_hi_u32 v16, s13, v15
	s_delay_alu instid0(VALU_DEP_1) | instskip(NEXT) | instid1(VALU_DEP_1)
	v_add_nc_u32_e32 v16, v15, v16
	v_lshrrev_b32_e32 v16, s14, v16
	s_delay_alu instid0(VALU_DEP_1) | instskip(NEXT) | instid1(VALU_DEP_1)
	v_mul_lo_u32 v16, v16, s12
	v_sub_nc_u32_e32 v15, v15, v16
	s_delay_alu instid0(VALU_DEP_1)
	v_mad_u32 v0, v15, s8, v0
	v_mad_u32 v11, v15, s9, v11
	;; [unrolled: 1-line block ×4, first 2 shown]
	s_and_not1_b32 vcc_lo, exec_lo, s4
	s_cbranch_vccz .LBB19_86
	s_branch .LBB19_89
.LBB19_84:
	s_mov_b32 s4, -1
                                        ; implicit-def: $vgpr11
                                        ; implicit-def: $vgpr0
                                        ; implicit-def: $vgpr12
                                        ; implicit-def: $vgpr13
.LBB19_85:
	s_delay_alu instid0(SALU_CYCLE_1)
	s_and_not1_b32 vcc_lo, exec_lo, s4
	s_cbranch_vccnz .LBB19_89
.LBB19_86:
	s_clause 0x1
	s_load_b96 s[4:6], s[20:21], 0x4
	s_load_b128 s[0:3], s[20:21], 0xc4
	s_cmp_lt_u32 s33, 2
	s_wait_kmcnt 0x0
	v_mul_hi_u32 v0, s5, v14
	s_delay_alu instid0(VALU_DEP_1) | instskip(NEXT) | instid1(VALU_DEP_1)
	v_add_nc_u32_e32 v0, v14, v0
	v_lshrrev_b32_e32 v15, s6, v0
	s_delay_alu instid0(VALU_DEP_1) | instskip(NEXT) | instid1(VALU_DEP_1)
	v_mul_lo_u32 v0, v15, s4
	v_sub_nc_u32_e32 v13, v14, v0
	s_delay_alu instid0(VALU_DEP_1)
	v_mul_lo_u32 v11, v13, s1
	v_mul_lo_u32 v0, v13, s0
	;; [unrolled: 1-line block ×4, first 2 shown]
	s_cbranch_scc1 .LBB19_89
; %bb.87:
	s_clause 0x1
	s_load_b96 s[4:6], s[20:21], 0x10
	s_load_b128 s[0:3], s[20:21], 0xd4
	s_wait_kmcnt 0x0
	v_mul_hi_u32 v14, s5, v15
	s_delay_alu instid0(VALU_DEP_1) | instskip(NEXT) | instid1(VALU_DEP_1)
	v_add_nc_u32_e32 v14, v15, v14
	v_lshrrev_b32_e32 v14, s6, v14
	s_delay_alu instid0(VALU_DEP_1) | instskip(NEXT) | instid1(VALU_DEP_1)
	v_mul_lo_u32 v14, v14, s4
	v_sub_nc_u32_e32 v14, v15, v14
	s_delay_alu instid0(VALU_DEP_1)
	v_mad_u32 v0, v14, s0, v0
	v_mad_u32 v11, v14, s1, v11
	;; [unrolled: 1-line block ×4, first 2 shown]
	s_branch .LBB19_89
.LBB19_88:
	v_dual_mov_b32 v11, 0 :: v_dual_mov_b32 v0, 0
	v_dual_mov_b32 v12, 0 :: v_dual_mov_b32 v13, 0
	s_and_not1_b32 vcc_lo, exec_lo, s4
	s_cbranch_vccz .LBB19_86
.LBB19_89:
	v_cmp_ne_u32_e32 vcc_lo, 1, v6
	s_cbranch_vccnz .LBB19_95
; %bb.90:
	s_cmp_lg_u32 s33, 0
	s_mov_b32 s4, 0
	s_cbranch_scc0 .LBB19_99
; %bb.91:
	s_min_u32 s5, s34, 15
	v_dual_mov_b32 v14, 0 :: v_dual_mov_b32 v17, v5
	v_dual_mov_b32 v16, 0 :: v_dual_mov_b32 v6, 0
	v_mov_b32_e32 v15, 0
	s_add_co_i32 s2, s5, 1
	s_mov_b64 s[0:1], 0xffffffffffffffe0
	s_and_b32 s6, s2, 30
	s_add_nc_u64 s[0:1], s[20:21], s[0:1]
	s_mov_b64 s[2:3], s[20:21]
.LBB19_92:                              ; =>This Inner Loop Header: Depth=1
	s_clause 0x1
	s_load_b128 s[16:19], s[2:3], 0x4
	s_load_b64 s[22:23], s[2:3], 0x14
	s_load_b256 s[8:15], s[0:1], 0xe4
	s_add_co_i32 s6, s6, -2
	s_wait_xcnt 0x0
	s_add_nc_u64 s[2:3], s[2:3], 24
	s_cmp_lg_u32 s6, 0
	s_add_nc_u64 s[0:1], s[0:1], 32
	s_wait_kmcnt 0x0
	v_mul_hi_u32 v18, s17, v17
	s_delay_alu instid0(VALU_DEP_1) | instskip(NEXT) | instid1(VALU_DEP_1)
	v_add_nc_u32_e32 v18, v17, v18
	v_lshrrev_b32_e32 v18, s18, v18
	s_delay_alu instid0(VALU_DEP_1) | instskip(SKIP_1) | instid1(VALU_DEP_1)
	v_mul_hi_u32 v19, s22, v18
	v_mul_lo_u32 v20, v18, s16
	v_dual_add_nc_u32 v19, v18, v19 :: v_dual_sub_nc_u32 v20, v17, v20
	s_delay_alu instid0(VALU_DEP_1) | instskip(NEXT) | instid1(VALU_DEP_2)
	v_lshrrev_b32_e32 v17, s23, v19
	v_mad_u32 v15, v20, s9, v15
	v_mad_u32 v6, v20, s8, v6
	;; [unrolled: 1-line block ×4, first 2 shown]
	v_mul_lo_u32 v19, v17, s19
	s_delay_alu instid0(VALU_DEP_1) | instskip(NEXT) | instid1(VALU_DEP_1)
	v_sub_nc_u32_e32 v18, v18, v19
	v_mad_u32 v15, v18, s13, v15
	v_mad_u32 v6, v18, s12, v6
	;; [unrolled: 1-line block ×4, first 2 shown]
	s_cbranch_scc1 .LBB19_92
; %bb.93:
	s_bitcmp1_b32 s5, 0
	s_cselect_b32 s5, -1, 0
	s_delay_alu instid0(SALU_CYCLE_1)
	s_and_b32 vcc_lo, exec_lo, s5
	s_cbranch_vccnz .LBB19_96
; %bb.94:
	s_load_b96 s[12:14], s[2:3], 0x4
	s_load_b128 s[8:11], s[0:1], 0xe4
	s_wait_kmcnt 0x0
	v_mul_hi_u32 v18, s13, v17
	s_delay_alu instid0(VALU_DEP_1) | instskip(NEXT) | instid1(VALU_DEP_1)
	v_add_nc_u32_e32 v18, v17, v18
	v_lshrrev_b32_e32 v18, s14, v18
	s_delay_alu instid0(VALU_DEP_1) | instskip(NEXT) | instid1(VALU_DEP_1)
	v_mul_lo_u32 v18, v18, s12
	v_sub_nc_u32_e32 v17, v17, v18
	s_delay_alu instid0(VALU_DEP_1)
	v_mad_u32 v6, v17, s8, v6
	v_mad_u32 v15, v17, s9, v15
	;; [unrolled: 1-line block ×4, first 2 shown]
	s_and_not1_b32 vcc_lo, exec_lo, s4
	s_cbranch_vccz .LBB19_97
	s_branch .LBB19_100
.LBB19_95:
	s_mov_b32 s4, -1
                                        ; implicit-def: $vgpr15
                                        ; implicit-def: $vgpr6
                                        ; implicit-def: $vgpr16
                                        ; implicit-def: $vgpr14
.LBB19_96:
	s_delay_alu instid0(SALU_CYCLE_1)
	s_and_not1_b32 vcc_lo, exec_lo, s4
	s_cbranch_vccnz .LBB19_100
.LBB19_97:
	s_clause 0x1
	s_load_b96 s[4:6], s[20:21], 0x4
	s_load_b128 s[0:3], s[20:21], 0xc4
	s_cmp_lt_u32 s33, 2
	s_wait_kmcnt 0x0
	v_mul_hi_u32 v6, s5, v5
	s_delay_alu instid0(VALU_DEP_1) | instskip(NEXT) | instid1(VALU_DEP_1)
	v_add_nc_u32_e32 v6, v5, v6
	v_lshrrev_b32_e32 v17, s6, v6
	s_delay_alu instid0(VALU_DEP_1) | instskip(NEXT) | instid1(VALU_DEP_1)
	v_mul_lo_u32 v6, v17, s4
	v_sub_nc_u32_e32 v5, v5, v6
	s_delay_alu instid0(VALU_DEP_1)
	v_mul_lo_u32 v15, v5, s1
	v_mul_lo_u32 v6, v5, s0
	;; [unrolled: 1-line block ×4, first 2 shown]
	s_cbranch_scc1 .LBB19_100
; %bb.98:
	s_clause 0x1
	s_load_b96 s[4:6], s[20:21], 0x10
	s_load_b128 s[0:3], s[20:21], 0xd4
	s_wait_kmcnt 0x0
	v_mul_hi_u32 v5, s5, v17
	s_delay_alu instid0(VALU_DEP_1) | instskip(NEXT) | instid1(VALU_DEP_1)
	v_add_nc_u32_e32 v5, v17, v5
	v_lshrrev_b32_e32 v5, s6, v5
	s_delay_alu instid0(VALU_DEP_1) | instskip(NEXT) | instid1(VALU_DEP_1)
	v_mul_lo_u32 v5, v5, s4
	v_sub_nc_u32_e32 v5, v17, v5
	s_delay_alu instid0(VALU_DEP_1)
	v_mad_u32 v6, v5, s0, v6
	v_mad_u32 v15, v5, s1, v15
	;; [unrolled: 1-line block ×4, first 2 shown]
	s_branch .LBB19_100
.LBB19_99:
	v_dual_mov_b32 v15, 0 :: v_dual_mov_b32 v6, 0
	v_dual_mov_b32 v16, 0 :: v_dual_mov_b32 v14, 0
	s_and_not1_b32 vcc_lo, exec_lo, s4
	s_cbranch_vccz .LBB19_97
.LBB19_100:
	s_load_b256 s[0:7], s[20:21], 0x1c8
	s_wait_kmcnt 0x0
	global_load_u8 v5, v2, s[2:3]
	global_load_b32 v17, v4, s[4:5]
	global_load_b32 v18, v3, s[6:7]
	global_load_u8 v19, v8, s[2:3]
	global_load_b32 v20, v10, s[4:5]
	global_load_b32 v21, v9, s[6:7]
	;; [unrolled: 3-line block ×4, first 2 shown]
	s_wait_loadcnt 0xb
	v_cmp_eq_u16_e32 vcc_lo, 0, v5
	s_wait_loadcnt 0x9
	s_wait_xcnt 0xb
	v_cndmask_b32_e32 v2, v17, v18, vcc_lo
	s_wait_loadcnt 0x8
	v_cmp_eq_u16_e32 vcc_lo, 0, v19
	s_wait_loadcnt 0x6
	s_wait_xcnt 0x9
	v_cndmask_b32_e32 v3, v20, v21, vcc_lo
	s_wait_loadcnt 0x5
	v_cmp_eq_u16_e32 vcc_lo, 0, v22
	s_wait_loadcnt 0x3
	v_cndmask_b32_e32 v4, v23, v24, vcc_lo
	s_wait_loadcnt 0x2
	v_cmp_eq_u16_e32 vcc_lo, 0, v25
	s_wait_loadcnt 0x0
	v_cndmask_b32_e32 v5, v26, v27, vcc_lo
	s_clause 0x3
	global_store_b32 v1, v2, s[0:1]
	global_store_b32 v7, v3, s[0:1]
	;; [unrolled: 1-line block ×4, first 2 shown]
	s_endpgm
	.section	.rodata,"a",@progbits
	.p2align	6, 0x0
	.amdhsa_kernel _ZN2at6native32elementwise_kernel_manual_unrollILi128ELi4EZNS0_22gpu_kernel_impl_nocastIZZZNS0_12_GLOBAL__N_117where_kernel_implERNS_14TensorIteratorEENKUlvE_clEvENKUlvE1_clEvEUlbjjE_EEvRNS_18TensorIteratorBaseERKT_EUlibE_EEviT1_
		.amdhsa_group_segment_fixed_size 0
		.amdhsa_private_segment_fixed_size 0
		.amdhsa_kernarg_size 504
		.amdhsa_user_sgpr_count 2
		.amdhsa_user_sgpr_dispatch_ptr 0
		.amdhsa_user_sgpr_queue_ptr 0
		.amdhsa_user_sgpr_kernarg_segment_ptr 1
		.amdhsa_user_sgpr_dispatch_id 0
		.amdhsa_user_sgpr_kernarg_preload_length 0
		.amdhsa_user_sgpr_kernarg_preload_offset 0
		.amdhsa_user_sgpr_private_segment_size 0
		.amdhsa_wavefront_size32 1
		.amdhsa_uses_dynamic_stack 0
		.amdhsa_enable_private_segment 0
		.amdhsa_system_sgpr_workgroup_id_x 1
		.amdhsa_system_sgpr_workgroup_id_y 0
		.amdhsa_system_sgpr_workgroup_id_z 0
		.amdhsa_system_sgpr_workgroup_info 0
		.amdhsa_system_vgpr_workitem_id 0
		.amdhsa_next_free_vgpr 28
		.amdhsa_next_free_sgpr 56
		.amdhsa_named_barrier_count 0
		.amdhsa_reserve_vcc 1
		.amdhsa_float_round_mode_32 0
		.amdhsa_float_round_mode_16_64 0
		.amdhsa_float_denorm_mode_32 3
		.amdhsa_float_denorm_mode_16_64 3
		.amdhsa_fp16_overflow 0
		.amdhsa_memory_ordered 1
		.amdhsa_forward_progress 1
		.amdhsa_inst_pref_size 45
		.amdhsa_round_robin_scheduling 0
		.amdhsa_exception_fp_ieee_invalid_op 0
		.amdhsa_exception_fp_denorm_src 0
		.amdhsa_exception_fp_ieee_div_zero 0
		.amdhsa_exception_fp_ieee_overflow 0
		.amdhsa_exception_fp_ieee_underflow 0
		.amdhsa_exception_fp_ieee_inexact 0
		.amdhsa_exception_int_div_zero 0
	.end_amdhsa_kernel
	.section	.text._ZN2at6native32elementwise_kernel_manual_unrollILi128ELi4EZNS0_22gpu_kernel_impl_nocastIZZZNS0_12_GLOBAL__N_117where_kernel_implERNS_14TensorIteratorEENKUlvE_clEvENKUlvE1_clEvEUlbjjE_EEvRNS_18TensorIteratorBaseERKT_EUlibE_EEviT1_,"axG",@progbits,_ZN2at6native32elementwise_kernel_manual_unrollILi128ELi4EZNS0_22gpu_kernel_impl_nocastIZZZNS0_12_GLOBAL__N_117where_kernel_implERNS_14TensorIteratorEENKUlvE_clEvENKUlvE1_clEvEUlbjjE_EEvRNS_18TensorIteratorBaseERKT_EUlibE_EEviT1_,comdat
.Lfunc_end19:
	.size	_ZN2at6native32elementwise_kernel_manual_unrollILi128ELi4EZNS0_22gpu_kernel_impl_nocastIZZZNS0_12_GLOBAL__N_117where_kernel_implERNS_14TensorIteratorEENKUlvE_clEvENKUlvE1_clEvEUlbjjE_EEvRNS_18TensorIteratorBaseERKT_EUlibE_EEviT1_, .Lfunc_end19-_ZN2at6native32elementwise_kernel_manual_unrollILi128ELi4EZNS0_22gpu_kernel_impl_nocastIZZZNS0_12_GLOBAL__N_117where_kernel_implERNS_14TensorIteratorEENKUlvE_clEvENKUlvE1_clEvEUlbjjE_EEvRNS_18TensorIteratorBaseERKT_EUlibE_EEviT1_
                                        ; -- End function
	.set _ZN2at6native32elementwise_kernel_manual_unrollILi128ELi4EZNS0_22gpu_kernel_impl_nocastIZZZNS0_12_GLOBAL__N_117where_kernel_implERNS_14TensorIteratorEENKUlvE_clEvENKUlvE1_clEvEUlbjjE_EEvRNS_18TensorIteratorBaseERKT_EUlibE_EEviT1_.num_vgpr, 28
	.set _ZN2at6native32elementwise_kernel_manual_unrollILi128ELi4EZNS0_22gpu_kernel_impl_nocastIZZZNS0_12_GLOBAL__N_117where_kernel_implERNS_14TensorIteratorEENKUlvE_clEvENKUlvE1_clEvEUlbjjE_EEvRNS_18TensorIteratorBaseERKT_EUlibE_EEviT1_.num_agpr, 0
	.set _ZN2at6native32elementwise_kernel_manual_unrollILi128ELi4EZNS0_22gpu_kernel_impl_nocastIZZZNS0_12_GLOBAL__N_117where_kernel_implERNS_14TensorIteratorEENKUlvE_clEvENKUlvE1_clEvEUlbjjE_EEvRNS_18TensorIteratorBaseERKT_EUlibE_EEviT1_.numbered_sgpr, 56
	.set _ZN2at6native32elementwise_kernel_manual_unrollILi128ELi4EZNS0_22gpu_kernel_impl_nocastIZZZNS0_12_GLOBAL__N_117where_kernel_implERNS_14TensorIteratorEENKUlvE_clEvENKUlvE1_clEvEUlbjjE_EEvRNS_18TensorIteratorBaseERKT_EUlibE_EEviT1_.num_named_barrier, 0
	.set _ZN2at6native32elementwise_kernel_manual_unrollILi128ELi4EZNS0_22gpu_kernel_impl_nocastIZZZNS0_12_GLOBAL__N_117where_kernel_implERNS_14TensorIteratorEENKUlvE_clEvENKUlvE1_clEvEUlbjjE_EEvRNS_18TensorIteratorBaseERKT_EUlibE_EEviT1_.private_seg_size, 0
	.set _ZN2at6native32elementwise_kernel_manual_unrollILi128ELi4EZNS0_22gpu_kernel_impl_nocastIZZZNS0_12_GLOBAL__N_117where_kernel_implERNS_14TensorIteratorEENKUlvE_clEvENKUlvE1_clEvEUlbjjE_EEvRNS_18TensorIteratorBaseERKT_EUlibE_EEviT1_.uses_vcc, 1
	.set _ZN2at6native32elementwise_kernel_manual_unrollILi128ELi4EZNS0_22gpu_kernel_impl_nocastIZZZNS0_12_GLOBAL__N_117where_kernel_implERNS_14TensorIteratorEENKUlvE_clEvENKUlvE1_clEvEUlbjjE_EEvRNS_18TensorIteratorBaseERKT_EUlibE_EEviT1_.uses_flat_scratch, 0
	.set _ZN2at6native32elementwise_kernel_manual_unrollILi128ELi4EZNS0_22gpu_kernel_impl_nocastIZZZNS0_12_GLOBAL__N_117where_kernel_implERNS_14TensorIteratorEENKUlvE_clEvENKUlvE1_clEvEUlbjjE_EEvRNS_18TensorIteratorBaseERKT_EUlibE_EEviT1_.has_dyn_sized_stack, 0
	.set _ZN2at6native32elementwise_kernel_manual_unrollILi128ELi4EZNS0_22gpu_kernel_impl_nocastIZZZNS0_12_GLOBAL__N_117where_kernel_implERNS_14TensorIteratorEENKUlvE_clEvENKUlvE1_clEvEUlbjjE_EEvRNS_18TensorIteratorBaseERKT_EUlibE_EEviT1_.has_recursion, 0
	.set _ZN2at6native32elementwise_kernel_manual_unrollILi128ELi4EZNS0_22gpu_kernel_impl_nocastIZZZNS0_12_GLOBAL__N_117where_kernel_implERNS_14TensorIteratorEENKUlvE_clEvENKUlvE1_clEvEUlbjjE_EEvRNS_18TensorIteratorBaseERKT_EUlibE_EEviT1_.has_indirect_call, 0
	.section	.AMDGPU.csdata,"",@progbits
; Kernel info:
; codeLenInByte = 5756
; TotalNumSgprs: 58
; NumVgprs: 28
; ScratchSize: 0
; MemoryBound: 0
; FloatMode: 240
; IeeeMode: 1
; LDSByteSize: 0 bytes/workgroup (compile time only)
; SGPRBlocks: 0
; VGPRBlocks: 1
; NumSGPRsForWavesPerEU: 58
; NumVGPRsForWavesPerEU: 28
; NamedBarCnt: 0
; Occupancy: 16
; WaveLimiterHint : 1
; COMPUTE_PGM_RSRC2:SCRATCH_EN: 0
; COMPUTE_PGM_RSRC2:USER_SGPR: 2
; COMPUTE_PGM_RSRC2:TRAP_HANDLER: 0
; COMPUTE_PGM_RSRC2:TGID_X_EN: 1
; COMPUTE_PGM_RSRC2:TGID_Y_EN: 0
; COMPUTE_PGM_RSRC2:TGID_Z_EN: 0
; COMPUTE_PGM_RSRC2:TIDIG_COMP_CNT: 0
	.section	.text._ZN2at6native29vectorized_elementwise_kernelILi16EZZZNS0_12_GLOBAL__N_117where_kernel_implERNS_14TensorIteratorEENKUlvE_clEvENKUlvE2_clEvEUlbmmE_St5arrayIPcLm4EEEEviT0_T1_,"axG",@progbits,_ZN2at6native29vectorized_elementwise_kernelILi16EZZZNS0_12_GLOBAL__N_117where_kernel_implERNS_14TensorIteratorEENKUlvE_clEvENKUlvE2_clEvEUlbmmE_St5arrayIPcLm4EEEEviT0_T1_,comdat
	.globl	_ZN2at6native29vectorized_elementwise_kernelILi16EZZZNS0_12_GLOBAL__N_117where_kernel_implERNS_14TensorIteratorEENKUlvE_clEvENKUlvE2_clEvEUlbmmE_St5arrayIPcLm4EEEEviT0_T1_ ; -- Begin function _ZN2at6native29vectorized_elementwise_kernelILi16EZZZNS0_12_GLOBAL__N_117where_kernel_implERNS_14TensorIteratorEENKUlvE_clEvENKUlvE2_clEvEUlbmmE_St5arrayIPcLm4EEEEviT0_T1_
	.p2align	8
	.type	_ZN2at6native29vectorized_elementwise_kernelILi16EZZZNS0_12_GLOBAL__N_117where_kernel_implERNS_14TensorIteratorEENKUlvE_clEvENKUlvE2_clEvEUlbmmE_St5arrayIPcLm4EEEEviT0_T1_,@function
_ZN2at6native29vectorized_elementwise_kernelILi16EZZZNS0_12_GLOBAL__N_117where_kernel_implERNS_14TensorIteratorEENKUlvE_clEvENKUlvE2_clEvEUlbmmE_St5arrayIPcLm4EEEEviT0_T1_: ; @_ZN2at6native29vectorized_elementwise_kernelILi16EZZZNS0_12_GLOBAL__N_117where_kernel_implERNS_14TensorIteratorEENKUlvE_clEvENKUlvE2_clEvEUlbmmE_St5arrayIPcLm4EEEEviT0_T1_
; %bb.0:
	s_clause 0x1
	s_load_b32 s2, s[0:1], 0x0
	s_load_b256 s[4:11], s[0:1], 0x8
	s_wait_xcnt 0x0
	s_bfe_u32 s0, ttmp6, 0x4000c
	s_and_b32 s1, ttmp6, 15
	s_add_co_i32 s0, s0, 1
	s_getreg_b32 s3, hwreg(HW_REG_IB_STS2, 6, 4)
	s_mul_i32 s0, ttmp9, s0
	s_mov_b32 s13, -1
	s_add_co_i32 s1, s1, s0
	s_cmp_eq_u32 s3, 0
	s_cselect_b32 s0, ttmp9, s1
	s_delay_alu instid0(SALU_CYCLE_1) | instskip(SKIP_2) | instid1(SALU_CYCLE_1)
	s_lshl_b32 s12, s0, 12
	s_wait_kmcnt 0x0
	s_sub_co_i32 s3, s2, s12
	s_cmp_gt_i32 s3, 0xfff
	s_cbranch_scc0 .LBB20_2
; %bb.1:
	s_ashr_i32 s13, s12, 31
	s_delay_alu instid0(SALU_CYCLE_1)
	s_add_nc_u64 s[0:1], s[6:7], s[12:13]
	s_lshl_b64 s[14:15], s[12:13], 3
	global_load_b128 v[2:5], v0, s[0:1] scale_offset
	v_lshlrev_b32_e32 v1, 7, v0
	s_add_nc_u64 s[16:17], s[10:11], s[14:15]
	s_add_nc_u64 s[18:19], s[8:9], s[14:15]
	;; [unrolled: 1-line block ×3, first 2 shown]
	s_mov_b32 s13, 0
	s_wait_loadcnt 0x0
	v_lshrrev_b32_e32 v38, 8, v2
	s_clause 0x7
	global_load_b128 v[6:9], v1, s[16:17]
	global_load_b128 v[10:13], v1, s[18:19]
	global_load_b128 v[14:17], v1, s[18:19] offset:16
	global_load_b128 v[18:21], v1, s[16:17] offset:16
	;; [unrolled: 1-line block ×6, first 2 shown]
	v_and_b32_e32 v46, 0xff, v2
	v_dual_lshrrev_b32 v54, 16, v2 :: v_dual_lshrrev_b32 v2, 24, v2
	v_and_b32_e32 v47, 0xff, v38
	v_dual_lshrrev_b32 v55, 8, v3 :: v_dual_lshrrev_b32 v56, 16, v3
	s_delay_alu instid0(VALU_DEP_4) | instskip(SKIP_1) | instid1(VALU_DEP_4)
	v_cmp_eq_u16_e32 vcc_lo, 0, v46
	v_and_b32_e32 v57, 0xff, v3
	v_cmp_eq_u16_e64 s0, 0, v47
	v_and_b32_e32 v54, 0xff, v54
	v_and_b32_e32 v55, 0xff, v55
	s_clause 0x3
	global_load_b128 v[38:41], v1, s[18:19] offset:112
	global_load_b128 v[42:45], v1, s[18:19] offset:96
	;; [unrolled: 1-line block ×4, first 2 shown]
	v_and_b32_e32 v56, 0xff, v56
	v_cmp_eq_u16_e64 s1, 0, v54
	v_cmp_eq_u16_e64 s2, 0, v55
	v_and_b32_e32 v54, 0xff, v4
	s_wait_loadcnt 0xa
	v_dual_cndmask_b32 v7, v11, v7 :: v_dual_cndmask_b32 v6, v10, v6
	v_dual_cndmask_b32 v9, v13, v9, s0 :: v_dual_cndmask_b32 v8, v12, v8, s0
	v_cmp_eq_u16_e32 vcc_lo, 0, v2
	v_lshrrev_b32_e32 v3, 24, v3
	v_cmp_eq_u16_e64 s0, 0, v57
	global_load_b128 v[10:13], v1, s[16:17] offset:96
	s_wait_loadcnt 0x9
	v_dual_cndmask_b32 v15, v15, v19, s1 :: v_dual_cndmask_b32 v16, v16, v20, vcc_lo
	v_dual_cndmask_b32 v17, v17, v21, vcc_lo :: v_dual_cndmask_b32 v14, v14, v18, s1
	s_wait_loadcnt 0x7
	v_dual_cndmask_b32 v19, v27, v23, s0 :: v_dual_cndmask_b32 v18, v26, v22, s0
	v_cndmask_b32_e64 v21, v29, v25, s2
	v_cmp_eq_u16_e32 vcc_lo, 0, v3
	v_cndmask_b32_e64 v20, v28, v24, s2
	s_clause 0x1
	global_load_b128 v[22:25], v1, s[16:17] offset:80
	global_load_b128 v[26:29], v1, s[16:17] offset:64
	v_cmp_eq_u16_e64 s0, 0, v56
	s_wait_loadcnt 0x7
	v_dual_lshrrev_b32 v55, 8, v4 :: v_dual_cndmask_b32 v33, v33, v37, vcc_lo
	v_cndmask_b32_e32 v32, v32, v36, vcc_lo
	v_and_b32_e32 v36, 0xff, v5
	v_dual_cndmask_b32 v31, v31, v35, s0 :: v_dual_cndmask_b32 v30, v30, v34, s0
	v_dual_lshrrev_b32 v34, 16, v4 :: v_dual_lshrrev_b32 v35, 24, v4
	v_dual_lshrrev_b32 v37, 8, v5 :: v_dual_lshrrev_b32 v56, 16, v5
	v_cmp_eq_u16_e32 vcc_lo, 0, v54
	v_lshrrev_b32_e32 v57, 24, v5
	global_load_b128 v[2:5], v1, s[16:17] offset:112
	v_and_b32_e32 v55, 0xff, v55
	v_and_b32_e32 v34, 0xff, v34
	;; [unrolled: 1-line block ×4, first 2 shown]
	s_delay_alu instid0(VALU_DEP_4) | instskip(NEXT) | instid1(VALU_DEP_4)
	v_cmp_eq_u16_e64 s0, 0, v55
	v_cmp_eq_u16_e64 s1, 0, v34
	s_wait_loadcnt 0x1
	v_dual_cndmask_b32 v27, v51, v27 :: v_dual_cndmask_b32 v26, v50, v26
	s_delay_alu instid0(VALU_DEP_3)
	v_cndmask_b32_e64 v29, v53, v29, s0
	v_cmp_eq_u16_e32 vcc_lo, 0, v35
	v_cndmask_b32_e64 v28, v52, v28, s0
	v_cmp_eq_u16_e64 s0, 0, v36
	v_cmp_eq_u16_e64 s2, 0, v57
	v_dual_cndmask_b32 v23, v47, v23, s1 :: v_dual_cndmask_b32 v24, v48, v24, vcc_lo
	s_delay_alu instid0(VALU_DEP_3)
	v_dual_cndmask_b32 v25, v49, v25, vcc_lo :: v_dual_cndmask_b32 v11, v43, v11, s0
	v_cmp_eq_u16_e32 vcc_lo, 0, v37
	v_cndmask_b32_e64 v10, v42, v10, s0
	v_cmp_eq_u16_e64 s0, 0, v54
	s_wait_loadcnt 0x0
	v_dual_cndmask_b32 v5, v41, v5, s2 :: v_dual_cndmask_b32 v4, v40, v4, s2
	v_dual_cndmask_b32 v13, v45, v13, vcc_lo :: v_dual_cndmask_b32 v22, v46, v22, s1
	s_delay_alu instid0(VALU_DEP_3)
	v_dual_cndmask_b32 v12, v44, v12, vcc_lo :: v_dual_cndmask_b32 v3, v39, v3, s0
	v_cndmask_b32_e64 v2, v38, v2, s0
	s_clause 0x7
	global_store_b128 v1, v[6:9], s[14:15]
	global_store_b128 v1, v[14:17], s[14:15] offset:16
	global_store_b128 v1, v[18:21], s[14:15] offset:32
	;; [unrolled: 1-line block ×7, first 2 shown]
.LBB20_2:
	s_and_not1_b32 vcc_lo, exec_lo, s13
	s_cbranch_vccnz .LBB20_50
; %bb.3:
	s_wait_xcnt 0x0
	v_mov_b64_e32 v[2:3], 0
	v_mov_b64_e32 v[4:5], 0
	v_cmp_gt_i32_e32 vcc_lo, s3, v0
	v_dual_mov_b32 v35, v0 :: v_dual_bitop2_b32 v1, s12, v0 bitop3:0x54
	v_or_b32_e32 v34, 0x100, v0
	s_and_saveexec_b32 s1, vcc_lo
	s_cbranch_execz .LBB20_5
; %bb.4:
	s_clause 0x2
	global_load_u8 v8, v1, s[6:7]
	global_load_b64 v[4:5], v1, s[8:9] scale_offset
	global_load_b64 v[6:7], v1, s[10:11] scale_offset
	v_or_b32_e32 v35, 0x100, v0
	s_wait_loadcnt 0x2
	v_cmp_eq_u16_e64 s0, 0, v8
	s_wait_loadcnt 0x0
	s_delay_alu instid0(VALU_DEP_1)
	v_dual_cndmask_b32 v5, v5, v7, s0 :: v_dual_cndmask_b32 v4, v4, v6, s0
.LBB20_5:
	s_wait_xcnt 0x0
	s_or_b32 exec_lo, exec_lo, s1
	s_delay_alu instid0(SALU_CYCLE_1)
	s_mov_b32 s1, exec_lo
	v_cmpx_gt_i32_e64 s3, v35
	s_cbranch_execz .LBB20_7
; %bb.6:
	v_add_nc_u32_e32 v8, s12, v35
	v_add_nc_u32_e32 v35, 0x100, v35
	s_clause 0x2
	global_load_u8 v9, v8, s[6:7]
	global_load_b64 v[2:3], v8, s[8:9] scale_offset
	global_load_b64 v[6:7], v8, s[10:11] scale_offset
	s_wait_loadcnt 0x2
	v_cmp_eq_u16_e64 s0, 0, v9
	s_wait_loadcnt 0x0
	s_delay_alu instid0(VALU_DEP_1)
	v_dual_cndmask_b32 v3, v3, v7, s0 :: v_dual_cndmask_b32 v2, v2, v6, s0
.LBB20_7:
	s_wait_xcnt 0x0
	s_or_b32 exec_lo, exec_lo, s1
	v_mov_b64_e32 v[6:7], 0
	v_mov_b64_e32 v[8:9], 0
	s_mov_b32 s1, exec_lo
	v_cmpx_gt_i32_e64 s3, v35
	s_cbranch_execz .LBB20_9
; %bb.8:
	v_add_nc_u32_e32 v12, s12, v35
	v_add_nc_u32_e32 v35, 0x100, v35
	s_clause 0x2
	global_load_u8 v13, v12, s[6:7]
	global_load_b64 v[8:9], v12, s[8:9] scale_offset
	global_load_b64 v[10:11], v12, s[10:11] scale_offset
	s_wait_loadcnt 0x2
	v_cmp_eq_u16_e64 s0, 0, v13
	s_wait_loadcnt 0x0
	s_delay_alu instid0(VALU_DEP_1)
	v_dual_cndmask_b32 v9, v9, v11, s0 :: v_dual_cndmask_b32 v8, v8, v10, s0
.LBB20_9:
	s_wait_xcnt 0x0
	s_or_b32 exec_lo, exec_lo, s1
	s_delay_alu instid0(SALU_CYCLE_1)
	s_mov_b32 s1, exec_lo
	v_cmpx_gt_i32_e64 s3, v35
	s_cbranch_execz .LBB20_11
; %bb.10:
	v_add_nc_u32_e32 v12, s12, v35
	v_add_nc_u32_e32 v35, 0x100, v35
	s_clause 0x2
	global_load_u8 v13, v12, s[6:7]
	global_load_b64 v[6:7], v12, s[8:9] scale_offset
	global_load_b64 v[10:11], v12, s[10:11] scale_offset
	s_wait_loadcnt 0x2
	v_cmp_eq_u16_e64 s0, 0, v13
	s_wait_loadcnt 0x0
	s_delay_alu instid0(VALU_DEP_1)
	v_dual_cndmask_b32 v7, v7, v11, s0 :: v_dual_cndmask_b32 v6, v6, v10, s0
.LBB20_11:
	s_wait_xcnt 0x0
	s_or_b32 exec_lo, exec_lo, s1
	v_mov_b64_e32 v[10:11], 0
	v_mov_b64_e32 v[12:13], 0
	s_mov_b32 s1, exec_lo
	v_cmpx_gt_i32_e64 s3, v35
	s_cbranch_execz .LBB20_13
; %bb.12:
	v_add_nc_u32_e32 v16, s12, v35
	v_add_nc_u32_e32 v35, 0x100, v35
	s_clause 0x2
	global_load_u8 v17, v16, s[6:7]
	global_load_b64 v[12:13], v16, s[8:9] scale_offset
	global_load_b64 v[14:15], v16, s[10:11] scale_offset
	s_wait_loadcnt 0x2
	v_cmp_eq_u16_e64 s0, 0, v17
	s_wait_loadcnt 0x0
	s_delay_alu instid0(VALU_DEP_1)
	v_dual_cndmask_b32 v13, v13, v15, s0 :: v_dual_cndmask_b32 v12, v12, v14, s0
.LBB20_13:
	;; [unrolled: 39-line block ×6, first 2 shown]
	s_wait_xcnt 0x0
	s_or_b32 exec_lo, exec_lo, s1
	s_delay_alu instid0(SALU_CYCLE_1)
	s_mov_b32 s1, exec_lo
	v_cmpx_gt_i32_e64 s3, v35
	s_cbranch_execz .LBB20_31
; %bb.30:
	v_add_nc_u32_e32 v32, s12, v35
	v_add_nc_u32_e32 v35, 0x100, v35
	s_clause 0x2
	global_load_u8 v33, v32, s[6:7]
	global_load_b64 v[26:27], v32, s[8:9] scale_offset
	global_load_b64 v[30:31], v32, s[10:11] scale_offset
	s_wait_loadcnt 0x2
	v_cmp_eq_u16_e64 s0, 0, v33
	s_wait_loadcnt 0x0
	s_delay_alu instid0(VALU_DEP_1)
	v_dual_cndmask_b32 v27, v27, v31, s0 :: v_dual_cndmask_b32 v26, v26, v30, s0
.LBB20_31:
	s_wait_xcnt 0x0
	s_or_b32 exec_lo, exec_lo, s1
	v_mov_b64_e32 v[30:31], 0
	v_mov_b64_e32 v[32:33], 0
	s_mov_b32 s1, exec_lo
	v_cmpx_gt_i32_e64 s3, v35
	s_cbranch_execnz .LBB20_51
; %bb.32:
	s_or_b32 exec_lo, exec_lo, s1
	s_delay_alu instid0(SALU_CYCLE_1)
	s_mov_b32 s1, exec_lo
	v_cmpx_gt_i32_e64 s3, v35
	s_cbranch_execnz .LBB20_52
.LBB20_33:
	s_or_b32 exec_lo, exec_lo, s1
	s_and_saveexec_b32 s0, vcc_lo
	s_cbranch_execnz .LBB20_53
.LBB20_34:
	s_or_b32 exec_lo, exec_lo, s0
	s_delay_alu instid0(SALU_CYCLE_1)
	s_mov_b32 s0, exec_lo
	v_cmpx_gt_i32_e64 s3, v0
	s_cbranch_execnz .LBB20_54
.LBB20_35:
	s_or_b32 exec_lo, exec_lo, s0
	s_delay_alu instid0(SALU_CYCLE_1)
	s_mov_b32 s0, exec_lo
	v_cmpx_gt_i32_e64 s3, v0
	s_cbranch_execnz .LBB20_55
.LBB20_36:
	s_or_b32 exec_lo, exec_lo, s0
	s_delay_alu instid0(SALU_CYCLE_1)
	s_mov_b32 s0, exec_lo
	v_cmpx_gt_i32_e64 s3, v0
	s_cbranch_execnz .LBB20_56
.LBB20_37:
	s_or_b32 exec_lo, exec_lo, s0
	s_delay_alu instid0(SALU_CYCLE_1)
	s_mov_b32 s0, exec_lo
	v_cmpx_gt_i32_e64 s3, v0
	s_cbranch_execnz .LBB20_57
.LBB20_38:
	s_or_b32 exec_lo, exec_lo, s0
	s_delay_alu instid0(SALU_CYCLE_1)
	s_mov_b32 s0, exec_lo
	v_cmpx_gt_i32_e64 s3, v0
	s_cbranch_execnz .LBB20_58
.LBB20_39:
	s_or_b32 exec_lo, exec_lo, s0
	s_delay_alu instid0(SALU_CYCLE_1)
	s_mov_b32 s0, exec_lo
	v_cmpx_gt_i32_e64 s3, v0
	s_cbranch_execnz .LBB20_59
.LBB20_40:
	s_or_b32 exec_lo, exec_lo, s0
	s_delay_alu instid0(SALU_CYCLE_1)
	s_mov_b32 s0, exec_lo
	v_cmpx_gt_i32_e64 s3, v0
	s_cbranch_execnz .LBB20_60
.LBB20_41:
	s_or_b32 exec_lo, exec_lo, s0
	s_delay_alu instid0(SALU_CYCLE_1)
	s_mov_b32 s0, exec_lo
	v_cmpx_gt_i32_e64 s3, v0
	s_cbranch_execnz .LBB20_61
.LBB20_42:
	s_or_b32 exec_lo, exec_lo, s0
	s_delay_alu instid0(SALU_CYCLE_1)
	s_mov_b32 s0, exec_lo
	v_cmpx_gt_i32_e64 s3, v0
	s_cbranch_execnz .LBB20_62
.LBB20_43:
	s_or_b32 exec_lo, exec_lo, s0
	s_delay_alu instid0(SALU_CYCLE_1)
	s_mov_b32 s0, exec_lo
	v_cmpx_gt_i32_e64 s3, v0
	s_cbranch_execnz .LBB20_63
.LBB20_44:
	s_or_b32 exec_lo, exec_lo, s0
	s_delay_alu instid0(SALU_CYCLE_1)
	s_mov_b32 s0, exec_lo
	v_cmpx_gt_i32_e64 s3, v0
	s_cbranch_execnz .LBB20_64
.LBB20_45:
	s_or_b32 exec_lo, exec_lo, s0
	s_delay_alu instid0(SALU_CYCLE_1)
	s_mov_b32 s0, exec_lo
	v_cmpx_gt_i32_e64 s3, v0
	s_cbranch_execnz .LBB20_65
.LBB20_46:
	s_or_b32 exec_lo, exec_lo, s0
	s_delay_alu instid0(SALU_CYCLE_1)
	s_mov_b32 s0, exec_lo
	v_cmpx_gt_i32_e64 s3, v0
	s_cbranch_execnz .LBB20_66
.LBB20_47:
	s_or_b32 exec_lo, exec_lo, s0
	s_delay_alu instid0(SALU_CYCLE_1)
	s_mov_b32 s0, exec_lo
	v_cmpx_gt_i32_e64 s3, v0
	s_cbranch_execnz .LBB20_67
.LBB20_48:
	s_or_b32 exec_lo, exec_lo, s0
	s_delay_alu instid0(SALU_CYCLE_1)
	s_mov_b32 s0, exec_lo
	v_cmpx_gt_i32_e64 s3, v0
	s_cbranch_execz .LBB20_50
.LBB20_49:
	v_add_nc_u32_e32 v0, s12, v0
	global_store_b64 v0, v[30:31], s[4:5] scale_offset
.LBB20_50:
	s_endpgm
.LBB20_51:
	v_add_nc_u32_e32 v38, s12, v35
	v_add_nc_u32_e32 v35, 0x100, v35
	s_clause 0x2
	global_load_u8 v39, v38, s[6:7]
	global_load_b64 v[32:33], v38, s[8:9] scale_offset
	global_load_b64 v[36:37], v38, s[10:11] scale_offset
	s_wait_loadcnt 0x2
	v_cmp_eq_u16_e64 s0, 0, v39
	s_wait_loadcnt 0x0
	s_delay_alu instid0(VALU_DEP_1) | instskip(SKIP_2) | instid1(SALU_CYCLE_1)
	v_dual_cndmask_b32 v33, v33, v37, s0 :: v_dual_cndmask_b32 v32, v32, v36, s0
	s_wait_xcnt 0x0
	s_or_b32 exec_lo, exec_lo, s1
	s_mov_b32 s1, exec_lo
	v_cmpx_gt_i32_e64 s3, v35
	s_cbranch_execz .LBB20_33
.LBB20_52:
	v_add_nc_u32_e32 v35, s12, v35
	s_clause 0x2
	global_load_u8 v38, v35, s[6:7]
	global_load_b64 v[30:31], v35, s[8:9] scale_offset
	global_load_b64 v[36:37], v35, s[10:11] scale_offset
	s_wait_loadcnt 0x2
	v_cmp_eq_u16_e64 s0, 0, v38
	s_wait_loadcnt 0x0
	s_delay_alu instid0(VALU_DEP_1)
	v_dual_cndmask_b32 v31, v31, v37, s0 :: v_dual_cndmask_b32 v30, v30, v36, s0
	s_wait_xcnt 0x0
	s_or_b32 exec_lo, exec_lo, s1
	s_and_saveexec_b32 s0, vcc_lo
	s_cbranch_execz .LBB20_34
.LBB20_53:
	v_mov_b32_e32 v0, v34
	global_store_b64 v1, v[4:5], s[4:5] scale_offset
	s_wait_xcnt 0x0
	s_or_b32 exec_lo, exec_lo, s0
	s_delay_alu instid0(SALU_CYCLE_1)
	s_mov_b32 s0, exec_lo
	v_cmpx_gt_i32_e64 s3, v0
	s_cbranch_execz .LBB20_35
.LBB20_54:
	v_add_nc_u32_e32 v1, s12, v0
	v_add_nc_u32_e32 v0, 0x100, v0
	global_store_b64 v1, v[2:3], s[4:5] scale_offset
	s_wait_xcnt 0x0
	s_or_b32 exec_lo, exec_lo, s0
	s_delay_alu instid0(SALU_CYCLE_1)
	s_mov_b32 s0, exec_lo
	v_cmpx_gt_i32_e64 s3, v0
	s_cbranch_execz .LBB20_36
.LBB20_55:
	v_add_nc_u32_e32 v1, s12, v0
	v_add_nc_u32_e32 v0, 0x100, v0
	global_store_b64 v1, v[8:9], s[4:5] scale_offset
	s_wait_xcnt 0x0
	s_or_b32 exec_lo, exec_lo, s0
	s_delay_alu instid0(SALU_CYCLE_1)
	s_mov_b32 s0, exec_lo
	v_cmpx_gt_i32_e64 s3, v0
	s_cbranch_execz .LBB20_37
.LBB20_56:
	v_add_nc_u32_e32 v1, s12, v0
	v_add_nc_u32_e32 v0, 0x100, v0
	global_store_b64 v1, v[6:7], s[4:5] scale_offset
	s_wait_xcnt 0x0
	s_or_b32 exec_lo, exec_lo, s0
	s_delay_alu instid0(SALU_CYCLE_1)
	s_mov_b32 s0, exec_lo
	v_cmpx_gt_i32_e64 s3, v0
	s_cbranch_execz .LBB20_38
.LBB20_57:
	v_add_nc_u32_e32 v1, s12, v0
	v_add_nc_u32_e32 v0, 0x100, v0
	global_store_b64 v1, v[12:13], s[4:5] scale_offset
	s_wait_xcnt 0x0
	s_or_b32 exec_lo, exec_lo, s0
	s_delay_alu instid0(SALU_CYCLE_1)
	s_mov_b32 s0, exec_lo
	v_cmpx_gt_i32_e64 s3, v0
	s_cbranch_execz .LBB20_39
.LBB20_58:
	v_add_nc_u32_e32 v1, s12, v0
	v_add_nc_u32_e32 v0, 0x100, v0
	global_store_b64 v1, v[10:11], s[4:5] scale_offset
	s_wait_xcnt 0x0
	s_or_b32 exec_lo, exec_lo, s0
	s_delay_alu instid0(SALU_CYCLE_1)
	s_mov_b32 s0, exec_lo
	v_cmpx_gt_i32_e64 s3, v0
	s_cbranch_execz .LBB20_40
.LBB20_59:
	v_add_nc_u32_e32 v1, s12, v0
	v_add_nc_u32_e32 v0, 0x100, v0
	global_store_b64 v1, v[16:17], s[4:5] scale_offset
	s_wait_xcnt 0x0
	s_or_b32 exec_lo, exec_lo, s0
	s_delay_alu instid0(SALU_CYCLE_1)
	s_mov_b32 s0, exec_lo
	v_cmpx_gt_i32_e64 s3, v0
	s_cbranch_execz .LBB20_41
.LBB20_60:
	v_add_nc_u32_e32 v1, s12, v0
	v_add_nc_u32_e32 v0, 0x100, v0
	global_store_b64 v1, v[14:15], s[4:5] scale_offset
	s_wait_xcnt 0x0
	s_or_b32 exec_lo, exec_lo, s0
	s_delay_alu instid0(SALU_CYCLE_1)
	s_mov_b32 s0, exec_lo
	v_cmpx_gt_i32_e64 s3, v0
	s_cbranch_execz .LBB20_42
.LBB20_61:
	v_add_nc_u32_e32 v1, s12, v0
	v_add_nc_u32_e32 v0, 0x100, v0
	global_store_b64 v1, v[20:21], s[4:5] scale_offset
	s_wait_xcnt 0x0
	s_or_b32 exec_lo, exec_lo, s0
	s_delay_alu instid0(SALU_CYCLE_1)
	s_mov_b32 s0, exec_lo
	v_cmpx_gt_i32_e64 s3, v0
	s_cbranch_execz .LBB20_43
.LBB20_62:
	v_add_nc_u32_e32 v1, s12, v0
	v_add_nc_u32_e32 v0, 0x100, v0
	global_store_b64 v1, v[18:19], s[4:5] scale_offset
	s_wait_xcnt 0x0
	s_or_b32 exec_lo, exec_lo, s0
	s_delay_alu instid0(SALU_CYCLE_1)
	s_mov_b32 s0, exec_lo
	v_cmpx_gt_i32_e64 s3, v0
	s_cbranch_execz .LBB20_44
.LBB20_63:
	v_add_nc_u32_e32 v1, s12, v0
	v_add_nc_u32_e32 v0, 0x100, v0
	global_store_b64 v1, v[24:25], s[4:5] scale_offset
	s_wait_xcnt 0x0
	s_or_b32 exec_lo, exec_lo, s0
	s_delay_alu instid0(SALU_CYCLE_1)
	s_mov_b32 s0, exec_lo
	v_cmpx_gt_i32_e64 s3, v0
	s_cbranch_execz .LBB20_45
.LBB20_64:
	v_add_nc_u32_e32 v1, s12, v0
	v_add_nc_u32_e32 v0, 0x100, v0
	global_store_b64 v1, v[22:23], s[4:5] scale_offset
	s_wait_xcnt 0x0
	s_or_b32 exec_lo, exec_lo, s0
	s_delay_alu instid0(SALU_CYCLE_1)
	s_mov_b32 s0, exec_lo
	v_cmpx_gt_i32_e64 s3, v0
	s_cbranch_execz .LBB20_46
.LBB20_65:
	v_add_nc_u32_e32 v1, s12, v0
	v_add_nc_u32_e32 v0, 0x100, v0
	global_store_b64 v1, v[28:29], s[4:5] scale_offset
	s_wait_xcnt 0x0
	s_or_b32 exec_lo, exec_lo, s0
	s_delay_alu instid0(SALU_CYCLE_1)
	s_mov_b32 s0, exec_lo
	v_cmpx_gt_i32_e64 s3, v0
	s_cbranch_execz .LBB20_47
.LBB20_66:
	v_add_nc_u32_e32 v1, s12, v0
	v_add_nc_u32_e32 v0, 0x100, v0
	global_store_b64 v1, v[26:27], s[4:5] scale_offset
	s_wait_xcnt 0x0
	s_or_b32 exec_lo, exec_lo, s0
	s_delay_alu instid0(SALU_CYCLE_1)
	s_mov_b32 s0, exec_lo
	v_cmpx_gt_i32_e64 s3, v0
	s_cbranch_execz .LBB20_48
.LBB20_67:
	v_add_nc_u32_e32 v1, s12, v0
	v_add_nc_u32_e32 v0, 0x100, v0
	global_store_b64 v1, v[32:33], s[4:5] scale_offset
	s_wait_xcnt 0x0
	s_or_b32 exec_lo, exec_lo, s0
	s_delay_alu instid0(SALU_CYCLE_1)
	s_mov_b32 s0, exec_lo
	v_cmpx_gt_i32_e64 s3, v0
	s_cbranch_execnz .LBB20_49
	s_branch .LBB20_50
	.section	.rodata,"a",@progbits
	.p2align	6, 0x0
	.amdhsa_kernel _ZN2at6native29vectorized_elementwise_kernelILi16EZZZNS0_12_GLOBAL__N_117where_kernel_implERNS_14TensorIteratorEENKUlvE_clEvENKUlvE2_clEvEUlbmmE_St5arrayIPcLm4EEEEviT0_T1_
		.amdhsa_group_segment_fixed_size 0
		.amdhsa_private_segment_fixed_size 0
		.amdhsa_kernarg_size 40
		.amdhsa_user_sgpr_count 2
		.amdhsa_user_sgpr_dispatch_ptr 0
		.amdhsa_user_sgpr_queue_ptr 0
		.amdhsa_user_sgpr_kernarg_segment_ptr 1
		.amdhsa_user_sgpr_dispatch_id 0
		.amdhsa_user_sgpr_kernarg_preload_length 0
		.amdhsa_user_sgpr_kernarg_preload_offset 0
		.amdhsa_user_sgpr_private_segment_size 0
		.amdhsa_wavefront_size32 1
		.amdhsa_uses_dynamic_stack 0
		.amdhsa_enable_private_segment 0
		.amdhsa_system_sgpr_workgroup_id_x 1
		.amdhsa_system_sgpr_workgroup_id_y 0
		.amdhsa_system_sgpr_workgroup_id_z 0
		.amdhsa_system_sgpr_workgroup_info 0
		.amdhsa_system_vgpr_workitem_id 0
		.amdhsa_next_free_vgpr 58
		.amdhsa_next_free_sgpr 20
		.amdhsa_named_barrier_count 0
		.amdhsa_reserve_vcc 1
		.amdhsa_float_round_mode_32 0
		.amdhsa_float_round_mode_16_64 0
		.amdhsa_float_denorm_mode_32 3
		.amdhsa_float_denorm_mode_16_64 3
		.amdhsa_fp16_overflow 0
		.amdhsa_memory_ordered 1
		.amdhsa_forward_progress 1
		.amdhsa_inst_pref_size 32
		.amdhsa_round_robin_scheduling 0
		.amdhsa_exception_fp_ieee_invalid_op 0
		.amdhsa_exception_fp_denorm_src 0
		.amdhsa_exception_fp_ieee_div_zero 0
		.amdhsa_exception_fp_ieee_overflow 0
		.amdhsa_exception_fp_ieee_underflow 0
		.amdhsa_exception_fp_ieee_inexact 0
		.amdhsa_exception_int_div_zero 0
	.end_amdhsa_kernel
	.section	.text._ZN2at6native29vectorized_elementwise_kernelILi16EZZZNS0_12_GLOBAL__N_117where_kernel_implERNS_14TensorIteratorEENKUlvE_clEvENKUlvE2_clEvEUlbmmE_St5arrayIPcLm4EEEEviT0_T1_,"axG",@progbits,_ZN2at6native29vectorized_elementwise_kernelILi16EZZZNS0_12_GLOBAL__N_117where_kernel_implERNS_14TensorIteratorEENKUlvE_clEvENKUlvE2_clEvEUlbmmE_St5arrayIPcLm4EEEEviT0_T1_,comdat
.Lfunc_end20:
	.size	_ZN2at6native29vectorized_elementwise_kernelILi16EZZZNS0_12_GLOBAL__N_117where_kernel_implERNS_14TensorIteratorEENKUlvE_clEvENKUlvE2_clEvEUlbmmE_St5arrayIPcLm4EEEEviT0_T1_, .Lfunc_end20-_ZN2at6native29vectorized_elementwise_kernelILi16EZZZNS0_12_GLOBAL__N_117where_kernel_implERNS_14TensorIteratorEENKUlvE_clEvENKUlvE2_clEvEUlbmmE_St5arrayIPcLm4EEEEviT0_T1_
                                        ; -- End function
	.set _ZN2at6native29vectorized_elementwise_kernelILi16EZZZNS0_12_GLOBAL__N_117where_kernel_implERNS_14TensorIteratorEENKUlvE_clEvENKUlvE2_clEvEUlbmmE_St5arrayIPcLm4EEEEviT0_T1_.num_vgpr, 58
	.set _ZN2at6native29vectorized_elementwise_kernelILi16EZZZNS0_12_GLOBAL__N_117where_kernel_implERNS_14TensorIteratorEENKUlvE_clEvENKUlvE2_clEvEUlbmmE_St5arrayIPcLm4EEEEviT0_T1_.num_agpr, 0
	.set _ZN2at6native29vectorized_elementwise_kernelILi16EZZZNS0_12_GLOBAL__N_117where_kernel_implERNS_14TensorIteratorEENKUlvE_clEvENKUlvE2_clEvEUlbmmE_St5arrayIPcLm4EEEEviT0_T1_.numbered_sgpr, 20
	.set _ZN2at6native29vectorized_elementwise_kernelILi16EZZZNS0_12_GLOBAL__N_117where_kernel_implERNS_14TensorIteratorEENKUlvE_clEvENKUlvE2_clEvEUlbmmE_St5arrayIPcLm4EEEEviT0_T1_.num_named_barrier, 0
	.set _ZN2at6native29vectorized_elementwise_kernelILi16EZZZNS0_12_GLOBAL__N_117where_kernel_implERNS_14TensorIteratorEENKUlvE_clEvENKUlvE2_clEvEUlbmmE_St5arrayIPcLm4EEEEviT0_T1_.private_seg_size, 0
	.set _ZN2at6native29vectorized_elementwise_kernelILi16EZZZNS0_12_GLOBAL__N_117where_kernel_implERNS_14TensorIteratorEENKUlvE_clEvENKUlvE2_clEvEUlbmmE_St5arrayIPcLm4EEEEviT0_T1_.uses_vcc, 1
	.set _ZN2at6native29vectorized_elementwise_kernelILi16EZZZNS0_12_GLOBAL__N_117where_kernel_implERNS_14TensorIteratorEENKUlvE_clEvENKUlvE2_clEvEUlbmmE_St5arrayIPcLm4EEEEviT0_T1_.uses_flat_scratch, 0
	.set _ZN2at6native29vectorized_elementwise_kernelILi16EZZZNS0_12_GLOBAL__N_117where_kernel_implERNS_14TensorIteratorEENKUlvE_clEvENKUlvE2_clEvEUlbmmE_St5arrayIPcLm4EEEEviT0_T1_.has_dyn_sized_stack, 0
	.set _ZN2at6native29vectorized_elementwise_kernelILi16EZZZNS0_12_GLOBAL__N_117where_kernel_implERNS_14TensorIteratorEENKUlvE_clEvENKUlvE2_clEvEUlbmmE_St5arrayIPcLm4EEEEviT0_T1_.has_recursion, 0
	.set _ZN2at6native29vectorized_elementwise_kernelILi16EZZZNS0_12_GLOBAL__N_117where_kernel_implERNS_14TensorIteratorEENKUlvE_clEvENKUlvE2_clEvEUlbmmE_St5arrayIPcLm4EEEEviT0_T1_.has_indirect_call, 0
	.section	.AMDGPU.csdata,"",@progbits
; Kernel info:
; codeLenInByte = 3988
; TotalNumSgprs: 22
; NumVgprs: 58
; ScratchSize: 0
; MemoryBound: 0
; FloatMode: 240
; IeeeMode: 1
; LDSByteSize: 0 bytes/workgroup (compile time only)
; SGPRBlocks: 0
; VGPRBlocks: 3
; NumSGPRsForWavesPerEU: 22
; NumVGPRsForWavesPerEU: 58
; NamedBarCnt: 0
; Occupancy: 16
; WaveLimiterHint : 0
; COMPUTE_PGM_RSRC2:SCRATCH_EN: 0
; COMPUTE_PGM_RSRC2:USER_SGPR: 2
; COMPUTE_PGM_RSRC2:TRAP_HANDLER: 0
; COMPUTE_PGM_RSRC2:TGID_X_EN: 1
; COMPUTE_PGM_RSRC2:TGID_Y_EN: 0
; COMPUTE_PGM_RSRC2:TGID_Z_EN: 0
; COMPUTE_PGM_RSRC2:TIDIG_COMP_CNT: 0
	.section	.text._ZN2at6native29vectorized_elementwise_kernelILi8EZZZNS0_12_GLOBAL__N_117where_kernel_implERNS_14TensorIteratorEENKUlvE_clEvENKUlvE2_clEvEUlbmmE_St5arrayIPcLm4EEEEviT0_T1_,"axG",@progbits,_ZN2at6native29vectorized_elementwise_kernelILi8EZZZNS0_12_GLOBAL__N_117where_kernel_implERNS_14TensorIteratorEENKUlvE_clEvENKUlvE2_clEvEUlbmmE_St5arrayIPcLm4EEEEviT0_T1_,comdat
	.globl	_ZN2at6native29vectorized_elementwise_kernelILi8EZZZNS0_12_GLOBAL__N_117where_kernel_implERNS_14TensorIteratorEENKUlvE_clEvENKUlvE2_clEvEUlbmmE_St5arrayIPcLm4EEEEviT0_T1_ ; -- Begin function _ZN2at6native29vectorized_elementwise_kernelILi8EZZZNS0_12_GLOBAL__N_117where_kernel_implERNS_14TensorIteratorEENKUlvE_clEvENKUlvE2_clEvEUlbmmE_St5arrayIPcLm4EEEEviT0_T1_
	.p2align	8
	.type	_ZN2at6native29vectorized_elementwise_kernelILi8EZZZNS0_12_GLOBAL__N_117where_kernel_implERNS_14TensorIteratorEENKUlvE_clEvENKUlvE2_clEvEUlbmmE_St5arrayIPcLm4EEEEviT0_T1_,@function
_ZN2at6native29vectorized_elementwise_kernelILi8EZZZNS0_12_GLOBAL__N_117where_kernel_implERNS_14TensorIteratorEENKUlvE_clEvENKUlvE2_clEvEUlbmmE_St5arrayIPcLm4EEEEviT0_T1_: ; @_ZN2at6native29vectorized_elementwise_kernelILi8EZZZNS0_12_GLOBAL__N_117where_kernel_implERNS_14TensorIteratorEENKUlvE_clEvENKUlvE2_clEvEUlbmmE_St5arrayIPcLm4EEEEviT0_T1_
; %bb.0:
	s_clause 0x1
	s_load_b32 s2, s[0:1], 0x0
	s_load_b256 s[4:11], s[0:1], 0x8
	s_wait_xcnt 0x0
	s_bfe_u32 s0, ttmp6, 0x4000c
	s_and_b32 s1, ttmp6, 15
	s_add_co_i32 s0, s0, 1
	s_getreg_b32 s3, hwreg(HW_REG_IB_STS2, 6, 4)
	s_mul_i32 s0, ttmp9, s0
	s_mov_b32 s13, -1
	s_add_co_i32 s1, s1, s0
	s_cmp_eq_u32 s3, 0
	s_cselect_b32 s0, ttmp9, s1
	s_delay_alu instid0(SALU_CYCLE_1) | instskip(SKIP_2) | instid1(SALU_CYCLE_1)
	s_lshl_b32 s12, s0, 12
	s_wait_kmcnt 0x0
	s_sub_co_i32 s16, s2, s12
	s_cmp_gt_i32 s16, 0xfff
	s_cbranch_scc0 .LBB21_2
; %bb.1:
	s_ashr_i32 s13, s12, 31
	s_delay_alu instid0(SALU_CYCLE_1)
	s_add_nc_u64 s[0:1], s[6:7], s[12:13]
	s_lshl_b64 s[14:15], s[12:13], 3
	global_load_b64 v[54:55], v0, s[0:1] scale_offset
	s_add_nc_u64 s[18:19], s[10:11], s[14:15]
	s_add_nc_u64 s[20:21], s[8:9], s[14:15]
	;; [unrolled: 1-line block ×3, first 2 shown]
	s_mov_b32 s13, 0
	s_wait_loadcnt 0x0
	v_and_b32_e32 v46, 0xff, v54
	v_and_b32_e32 v47, 0xff00, v54
	;; [unrolled: 1-line block ×5, first 2 shown]
	v_cmp_eq_u32_e32 vcc_lo, 0, v46
	v_lshlrev_b32_e32 v1, 6, v0
	s_clause 0x7
	global_load_b128 v[2:5], v1, s[18:19]
	global_load_b128 v[6:9], v1, s[20:21]
	global_load_b128 v[10:13], v1, s[20:21] offset:16
	global_load_b128 v[14:17], v1, s[18:19] offset:16
	;; [unrolled: 1-line block ×6, first 2 shown]
	global_load_b64 v[56:57], v0, s[0:1] offset:2048 scale_offset
	s_wait_xcnt 0x0
	v_cmp_eq_u32_e64 s0, 0, v47
	v_cmp_eq_u32_e64 s1, 0, v51
	;; [unrolled: 1-line block ×3, first 2 shown]
	s_wait_loadcnt 0x7
	v_cndmask_b32_e32 v3, v7, v3, vcc_lo
	s_clause 0x2
	global_load_b128 v[34:37], v1, s[20:21] offset:16432
	global_load_b128 v[38:41], v1, s[20:21] offset:16400
	;; [unrolled: 1-line block ×3, first 2 shown]
	v_dual_cndmask_b32 v5, v9, v5, s0 :: v_dual_cndmask_b32 v2, v6, v2, vcc_lo
	v_cndmask_b32_e64 v4, v8, v4, s0
	s_clause 0x1
	global_load_b128 v[6:9], v1, s[18:19] offset:16400
	global_load_b128 v[46:49], v1, s[18:19] offset:16384
	v_cmp_eq_u32_e32 vcc_lo, 0, v50
	v_cmp_lt_u32_e64 s0, 0xffffff, v54
	s_wait_loadcnt 0x8
	v_dual_cndmask_b32 v19, v23, v19, s1 :: v_dual_cndmask_b32 v21, v25, v21, s2
	v_dual_cndmask_b32 v18, v22, v18, s1 :: v_dual_cndmask_b32 v11, v11, v15, vcc_lo
	s_delay_alu instid0(VALU_DEP_3)
	v_dual_cndmask_b32 v12, v16, v12, s0 :: v_dual_cndmask_b32 v13, v17, v13, s0
	v_cndmask_b32_e32 v10, v10, v14, vcc_lo
	global_load_b128 v[14:17], v1, s[18:19] offset:16432
	v_cmp_lt_u32_e32 vcc_lo, 0xffffff, v55
	v_cndmask_b32_e64 v20, v24, v20, s2
	s_clause 0x1
	global_load_b128 v[22:25], v1, s[20:21] offset:16416
	global_load_b128 v[50:53], v1, s[18:19] offset:16416
	v_and_b32_e32 v54, 0xff0000, v55
	s_wait_loadcnt 0x8
	v_and_b32_e32 v55, 0xff, v57
	v_dual_cndmask_b32 v29, v33, v29 :: v_dual_cndmask_b32 v28, v32, v28
	v_and_b32_e32 v58, 0xff00, v57
	v_cmp_eq_u32_e64 s0, 0, v54
	v_and_b32_e32 v54, 0xff0000, v56
	v_and_b32_e32 v59, 0xff0000, v57
	s_delay_alu instid0(VALU_DEP_4) | instskip(NEXT) | instid1(VALU_DEP_4)
	v_cmp_eq_u32_e64 s2, 0, v58
	v_dual_cndmask_b32 v27, v27, v31, s0 :: v_dual_cndmask_b32 v26, v26, v30, s0
	v_and_b32_e32 v30, 0xff, v56
	v_and_b32_e32 v31, 0xff00, v56
	v_cmp_eq_u32_e64 s1, 0, v54
	v_cmp_eq_u32_e64 s3, 0, v59
	s_delay_alu instid0(VALU_DEP_4) | instskip(NEXT) | instid1(VALU_DEP_4)
	v_cmp_eq_u32_e32 vcc_lo, 0, v30
	v_cmp_eq_u32_e64 s0, 0, v31
	s_wait_loadcnt 0x4
	v_cndmask_b32_e64 v7, v39, v7, s1
	s_wait_loadcnt 0x3
	s_delay_alu instid0(VALU_DEP_2)
	v_dual_cndmask_b32 v31, v43, v47, vcc_lo :: v_dual_cndmask_b32 v33, v45, v49, s0
	v_cndmask_b32_e32 v30, v42, v46, vcc_lo
	v_cmp_lt_u32_e32 vcc_lo, 0xffffff, v56
	v_cndmask_b32_e64 v32, v44, v48, s0
	v_cmp_lt_u32_e64 s0, 0xffffff, v57
	v_dual_cndmask_b32 v6, v38, v6, s1 :: v_dual_cndmask_b32 v9, v9, v41, vcc_lo
	v_cndmask_b32_e32 v8, v8, v40, vcc_lo
	v_cmp_eq_u32_e32 vcc_lo, 0, v55
	s_wait_loadcnt 0x2
	v_dual_cndmask_b32 v17, v17, v37, s0 :: v_dual_cndmask_b32 v15, v35, v15, s3
	s_wait_loadcnt 0x0
	v_dual_cndmask_b32 v25, v25, v53, s2 :: v_dual_cndmask_b32 v16, v16, v36, s0
	v_dual_cndmask_b32 v23, v23, v51 :: v_dual_cndmask_b32 v22, v22, v50
	v_dual_cndmask_b32 v24, v24, v52, s2 :: v_dual_cndmask_b32 v14, v34, v14, s3
	s_clause 0x7
	global_store_b128 v1, v[2:5], s[14:15]
	global_store_b128 v1, v[10:13], s[14:15] offset:16
	global_store_b128 v1, v[18:21], s[14:15] offset:32
	;; [unrolled: 1-line block ×7, first 2 shown]
.LBB21_2:
	s_and_not1_b32 vcc_lo, exec_lo, s13
	s_cbranch_vccnz .LBB21_50
; %bb.3:
	s_wait_xcnt 0x7
	v_mov_b64_e32 v[2:3], 0
	v_mov_b64_e32 v[4:5], 0
	v_cmp_gt_i32_e32 vcc_lo, s16, v0
	s_wait_xcnt 0x0
	v_dual_mov_b32 v35, v0 :: v_dual_bitop2_b32 v1, s12, v0 bitop3:0x54
	v_or_b32_e32 v34, 0x100, v0
	s_and_saveexec_b32 s1, vcc_lo
	s_cbranch_execz .LBB21_5
; %bb.4:
	s_clause 0x2
	global_load_u8 v8, v1, s[6:7]
	global_load_b64 v[4:5], v1, s[8:9] scale_offset
	global_load_b64 v[6:7], v1, s[10:11] scale_offset
	v_or_b32_e32 v35, 0x100, v0
	s_wait_loadcnt 0x2
	v_cmp_eq_u16_e64 s0, 0, v8
	s_wait_loadcnt 0x0
	s_delay_alu instid0(VALU_DEP_1)
	v_dual_cndmask_b32 v5, v5, v7, s0 :: v_dual_cndmask_b32 v4, v4, v6, s0
.LBB21_5:
	s_wait_xcnt 0x0
	s_or_b32 exec_lo, exec_lo, s1
	s_delay_alu instid0(SALU_CYCLE_1)
	s_mov_b32 s1, exec_lo
	v_cmpx_gt_i32_e64 s16, v35
	s_cbranch_execz .LBB21_7
; %bb.6:
	v_add_nc_u32_e32 v8, s12, v35
	v_add_nc_u32_e32 v35, 0x100, v35
	s_clause 0x2
	global_load_u8 v9, v8, s[6:7]
	global_load_b64 v[2:3], v8, s[8:9] scale_offset
	global_load_b64 v[6:7], v8, s[10:11] scale_offset
	s_wait_loadcnt 0x2
	v_cmp_eq_u16_e64 s0, 0, v9
	s_wait_loadcnt 0x0
	s_delay_alu instid0(VALU_DEP_1)
	v_dual_cndmask_b32 v3, v3, v7, s0 :: v_dual_cndmask_b32 v2, v2, v6, s0
.LBB21_7:
	s_wait_xcnt 0x0
	s_or_b32 exec_lo, exec_lo, s1
	v_mov_b64_e32 v[6:7], 0
	v_mov_b64_e32 v[8:9], 0
	s_mov_b32 s1, exec_lo
	v_cmpx_gt_i32_e64 s16, v35
	s_cbranch_execz .LBB21_9
; %bb.8:
	v_add_nc_u32_e32 v12, s12, v35
	v_add_nc_u32_e32 v35, 0x100, v35
	s_clause 0x2
	global_load_u8 v13, v12, s[6:7]
	global_load_b64 v[8:9], v12, s[8:9] scale_offset
	global_load_b64 v[10:11], v12, s[10:11] scale_offset
	s_wait_loadcnt 0x2
	v_cmp_eq_u16_e64 s0, 0, v13
	s_wait_loadcnt 0x0
	s_delay_alu instid0(VALU_DEP_1)
	v_dual_cndmask_b32 v9, v9, v11, s0 :: v_dual_cndmask_b32 v8, v8, v10, s0
.LBB21_9:
	s_wait_xcnt 0x0
	s_or_b32 exec_lo, exec_lo, s1
	s_delay_alu instid0(SALU_CYCLE_1)
	s_mov_b32 s1, exec_lo
	v_cmpx_gt_i32_e64 s16, v35
	s_cbranch_execz .LBB21_11
; %bb.10:
	v_add_nc_u32_e32 v12, s12, v35
	v_add_nc_u32_e32 v35, 0x100, v35
	s_clause 0x2
	global_load_u8 v13, v12, s[6:7]
	global_load_b64 v[6:7], v12, s[8:9] scale_offset
	global_load_b64 v[10:11], v12, s[10:11] scale_offset
	s_wait_loadcnt 0x2
	v_cmp_eq_u16_e64 s0, 0, v13
	s_wait_loadcnt 0x0
	s_delay_alu instid0(VALU_DEP_1)
	v_dual_cndmask_b32 v7, v7, v11, s0 :: v_dual_cndmask_b32 v6, v6, v10, s0
.LBB21_11:
	s_wait_xcnt 0x0
	s_or_b32 exec_lo, exec_lo, s1
	v_mov_b64_e32 v[10:11], 0
	v_mov_b64_e32 v[12:13], 0
	s_mov_b32 s1, exec_lo
	v_cmpx_gt_i32_e64 s16, v35
	s_cbranch_execz .LBB21_13
; %bb.12:
	v_add_nc_u32_e32 v16, s12, v35
	v_add_nc_u32_e32 v35, 0x100, v35
	s_clause 0x2
	global_load_u8 v17, v16, s[6:7]
	global_load_b64 v[12:13], v16, s[8:9] scale_offset
	global_load_b64 v[14:15], v16, s[10:11] scale_offset
	s_wait_loadcnt 0x2
	v_cmp_eq_u16_e64 s0, 0, v17
	s_wait_loadcnt 0x0
	s_delay_alu instid0(VALU_DEP_1)
	v_dual_cndmask_b32 v13, v13, v15, s0 :: v_dual_cndmask_b32 v12, v12, v14, s0
.LBB21_13:
	s_wait_xcnt 0x0
	s_or_b32 exec_lo, exec_lo, s1
	s_delay_alu instid0(SALU_CYCLE_1)
	s_mov_b32 s1, exec_lo
	v_cmpx_gt_i32_e64 s16, v35
	s_cbranch_execz .LBB21_15
; %bb.14:
	v_add_nc_u32_e32 v16, s12, v35
	v_add_nc_u32_e32 v35, 0x100, v35
	s_clause 0x2
	global_load_u8 v17, v16, s[6:7]
	global_load_b64 v[10:11], v16, s[8:9] scale_offset
	global_load_b64 v[14:15], v16, s[10:11] scale_offset
	s_wait_loadcnt 0x2
	v_cmp_eq_u16_e64 s0, 0, v17
	s_wait_loadcnt 0x0
	s_delay_alu instid0(VALU_DEP_1)
	v_dual_cndmask_b32 v11, v11, v15, s0 :: v_dual_cndmask_b32 v10, v10, v14, s0
.LBB21_15:
	s_wait_xcnt 0x0
	s_or_b32 exec_lo, exec_lo, s1
	v_mov_b64_e32 v[14:15], 0
	v_mov_b64_e32 v[16:17], 0
	s_mov_b32 s1, exec_lo
	v_cmpx_gt_i32_e64 s16, v35
	s_cbranch_execz .LBB21_17
; %bb.16:
	v_add_nc_u32_e32 v20, s12, v35
	v_add_nc_u32_e32 v35, 0x100, v35
	s_clause 0x2
	global_load_u8 v21, v20, s[6:7]
	global_load_b64 v[16:17], v20, s[8:9] scale_offset
	global_load_b64 v[18:19], v20, s[10:11] scale_offset
	s_wait_loadcnt 0x2
	v_cmp_eq_u16_e64 s0, 0, v21
	s_wait_loadcnt 0x0
	s_delay_alu instid0(VALU_DEP_1)
	v_dual_cndmask_b32 v17, v17, v19, s0 :: v_dual_cndmask_b32 v16, v16, v18, s0
.LBB21_17:
	s_wait_xcnt 0x0
	s_or_b32 exec_lo, exec_lo, s1
	s_delay_alu instid0(SALU_CYCLE_1)
	s_mov_b32 s1, exec_lo
	v_cmpx_gt_i32_e64 s16, v35
	s_cbranch_execz .LBB21_19
; %bb.18:
	v_add_nc_u32_e32 v20, s12, v35
	v_add_nc_u32_e32 v35, 0x100, v35
	s_clause 0x2
	global_load_u8 v21, v20, s[6:7]
	global_load_b64 v[14:15], v20, s[8:9] scale_offset
	global_load_b64 v[18:19], v20, s[10:11] scale_offset
	s_wait_loadcnt 0x2
	v_cmp_eq_u16_e64 s0, 0, v21
	s_wait_loadcnt 0x0
	s_delay_alu instid0(VALU_DEP_1)
	v_dual_cndmask_b32 v15, v15, v19, s0 :: v_dual_cndmask_b32 v14, v14, v18, s0
.LBB21_19:
	s_wait_xcnt 0x0
	s_or_b32 exec_lo, exec_lo, s1
	v_mov_b64_e32 v[18:19], 0
	v_mov_b64_e32 v[20:21], 0
	s_mov_b32 s1, exec_lo
	v_cmpx_gt_i32_e64 s16, v35
	s_cbranch_execz .LBB21_21
; %bb.20:
	v_add_nc_u32_e32 v24, s12, v35
	v_add_nc_u32_e32 v35, 0x100, v35
	s_clause 0x2
	global_load_u8 v25, v24, s[6:7]
	global_load_b64 v[20:21], v24, s[8:9] scale_offset
	global_load_b64 v[22:23], v24, s[10:11] scale_offset
	s_wait_loadcnt 0x2
	v_cmp_eq_u16_e64 s0, 0, v25
	s_wait_loadcnt 0x0
	s_delay_alu instid0(VALU_DEP_1)
	v_dual_cndmask_b32 v21, v21, v23, s0 :: v_dual_cndmask_b32 v20, v20, v22, s0
.LBB21_21:
	s_wait_xcnt 0x0
	s_or_b32 exec_lo, exec_lo, s1
	s_delay_alu instid0(SALU_CYCLE_1)
	s_mov_b32 s1, exec_lo
	v_cmpx_gt_i32_e64 s16, v35
	s_cbranch_execz .LBB21_23
; %bb.22:
	v_add_nc_u32_e32 v24, s12, v35
	v_add_nc_u32_e32 v35, 0x100, v35
	s_clause 0x2
	global_load_u8 v25, v24, s[6:7]
	global_load_b64 v[18:19], v24, s[8:9] scale_offset
	global_load_b64 v[22:23], v24, s[10:11] scale_offset
	s_wait_loadcnt 0x2
	v_cmp_eq_u16_e64 s0, 0, v25
	s_wait_loadcnt 0x0
	s_delay_alu instid0(VALU_DEP_1)
	v_dual_cndmask_b32 v19, v19, v23, s0 :: v_dual_cndmask_b32 v18, v18, v22, s0
.LBB21_23:
	s_wait_xcnt 0x0
	s_or_b32 exec_lo, exec_lo, s1
	v_mov_b64_e32 v[22:23], 0
	v_mov_b64_e32 v[24:25], 0
	s_mov_b32 s1, exec_lo
	v_cmpx_gt_i32_e64 s16, v35
	s_cbranch_execz .LBB21_25
; %bb.24:
	v_add_nc_u32_e32 v28, s12, v35
	v_add_nc_u32_e32 v35, 0x100, v35
	s_clause 0x2
	global_load_u8 v29, v28, s[6:7]
	global_load_b64 v[24:25], v28, s[8:9] scale_offset
	global_load_b64 v[26:27], v28, s[10:11] scale_offset
	s_wait_loadcnt 0x2
	v_cmp_eq_u16_e64 s0, 0, v29
	s_wait_loadcnt 0x0
	s_delay_alu instid0(VALU_DEP_1)
	v_dual_cndmask_b32 v25, v25, v27, s0 :: v_dual_cndmask_b32 v24, v24, v26, s0
.LBB21_25:
	s_wait_xcnt 0x0
	s_or_b32 exec_lo, exec_lo, s1
	s_delay_alu instid0(SALU_CYCLE_1)
	s_mov_b32 s1, exec_lo
	v_cmpx_gt_i32_e64 s16, v35
	s_cbranch_execz .LBB21_27
; %bb.26:
	v_add_nc_u32_e32 v28, s12, v35
	v_add_nc_u32_e32 v35, 0x100, v35
	s_clause 0x2
	global_load_u8 v29, v28, s[6:7]
	global_load_b64 v[22:23], v28, s[8:9] scale_offset
	global_load_b64 v[26:27], v28, s[10:11] scale_offset
	s_wait_loadcnt 0x2
	v_cmp_eq_u16_e64 s0, 0, v29
	s_wait_loadcnt 0x0
	s_delay_alu instid0(VALU_DEP_1)
	v_dual_cndmask_b32 v23, v23, v27, s0 :: v_dual_cndmask_b32 v22, v22, v26, s0
.LBB21_27:
	s_wait_xcnt 0x0
	s_or_b32 exec_lo, exec_lo, s1
	v_mov_b64_e32 v[26:27], 0
	v_mov_b64_e32 v[28:29], 0
	s_mov_b32 s1, exec_lo
	v_cmpx_gt_i32_e64 s16, v35
	s_cbranch_execz .LBB21_29
; %bb.28:
	v_add_nc_u32_e32 v32, s12, v35
	v_add_nc_u32_e32 v35, 0x100, v35
	s_clause 0x2
	global_load_u8 v33, v32, s[6:7]
	global_load_b64 v[28:29], v32, s[8:9] scale_offset
	global_load_b64 v[30:31], v32, s[10:11] scale_offset
	s_wait_loadcnt 0x2
	v_cmp_eq_u16_e64 s0, 0, v33
	s_wait_loadcnt 0x0
	s_delay_alu instid0(VALU_DEP_1)
	v_dual_cndmask_b32 v29, v29, v31, s0 :: v_dual_cndmask_b32 v28, v28, v30, s0
.LBB21_29:
	s_wait_xcnt 0x0
	s_or_b32 exec_lo, exec_lo, s1
	s_delay_alu instid0(SALU_CYCLE_1)
	s_mov_b32 s1, exec_lo
	v_cmpx_gt_i32_e64 s16, v35
	s_cbranch_execz .LBB21_31
; %bb.30:
	v_add_nc_u32_e32 v32, s12, v35
	v_add_nc_u32_e32 v35, 0x100, v35
	s_clause 0x2
	global_load_u8 v33, v32, s[6:7]
	global_load_b64 v[26:27], v32, s[8:9] scale_offset
	global_load_b64 v[30:31], v32, s[10:11] scale_offset
	s_wait_loadcnt 0x2
	v_cmp_eq_u16_e64 s0, 0, v33
	s_wait_loadcnt 0x0
	s_delay_alu instid0(VALU_DEP_1)
	v_dual_cndmask_b32 v27, v27, v31, s0 :: v_dual_cndmask_b32 v26, v26, v30, s0
.LBB21_31:
	s_wait_xcnt 0x0
	s_or_b32 exec_lo, exec_lo, s1
	v_mov_b64_e32 v[30:31], 0
	v_mov_b64_e32 v[32:33], 0
	s_mov_b32 s1, exec_lo
	v_cmpx_gt_i32_e64 s16, v35
	s_cbranch_execnz .LBB21_51
; %bb.32:
	s_or_b32 exec_lo, exec_lo, s1
	s_delay_alu instid0(SALU_CYCLE_1)
	s_mov_b32 s1, exec_lo
	v_cmpx_gt_i32_e64 s16, v35
	s_cbranch_execnz .LBB21_52
.LBB21_33:
	s_or_b32 exec_lo, exec_lo, s1
	s_and_saveexec_b32 s0, vcc_lo
	s_cbranch_execnz .LBB21_53
.LBB21_34:
	s_or_b32 exec_lo, exec_lo, s0
	s_delay_alu instid0(SALU_CYCLE_1)
	s_mov_b32 s0, exec_lo
	v_cmpx_gt_i32_e64 s16, v0
	s_cbranch_execnz .LBB21_54
.LBB21_35:
	s_or_b32 exec_lo, exec_lo, s0
	s_delay_alu instid0(SALU_CYCLE_1)
	s_mov_b32 s0, exec_lo
	v_cmpx_gt_i32_e64 s16, v0
	s_cbranch_execnz .LBB21_55
.LBB21_36:
	s_or_b32 exec_lo, exec_lo, s0
	s_delay_alu instid0(SALU_CYCLE_1)
	s_mov_b32 s0, exec_lo
	v_cmpx_gt_i32_e64 s16, v0
	s_cbranch_execnz .LBB21_56
.LBB21_37:
	s_or_b32 exec_lo, exec_lo, s0
	s_delay_alu instid0(SALU_CYCLE_1)
	s_mov_b32 s0, exec_lo
	v_cmpx_gt_i32_e64 s16, v0
	s_cbranch_execnz .LBB21_57
.LBB21_38:
	s_or_b32 exec_lo, exec_lo, s0
	s_delay_alu instid0(SALU_CYCLE_1)
	s_mov_b32 s0, exec_lo
	v_cmpx_gt_i32_e64 s16, v0
	s_cbranch_execnz .LBB21_58
.LBB21_39:
	s_or_b32 exec_lo, exec_lo, s0
	s_delay_alu instid0(SALU_CYCLE_1)
	s_mov_b32 s0, exec_lo
	v_cmpx_gt_i32_e64 s16, v0
	s_cbranch_execnz .LBB21_59
.LBB21_40:
	s_or_b32 exec_lo, exec_lo, s0
	s_delay_alu instid0(SALU_CYCLE_1)
	s_mov_b32 s0, exec_lo
	v_cmpx_gt_i32_e64 s16, v0
	s_cbranch_execnz .LBB21_60
.LBB21_41:
	s_or_b32 exec_lo, exec_lo, s0
	s_delay_alu instid0(SALU_CYCLE_1)
	s_mov_b32 s0, exec_lo
	v_cmpx_gt_i32_e64 s16, v0
	s_cbranch_execnz .LBB21_61
.LBB21_42:
	s_or_b32 exec_lo, exec_lo, s0
	s_delay_alu instid0(SALU_CYCLE_1)
	s_mov_b32 s0, exec_lo
	v_cmpx_gt_i32_e64 s16, v0
	s_cbranch_execnz .LBB21_62
.LBB21_43:
	s_or_b32 exec_lo, exec_lo, s0
	s_delay_alu instid0(SALU_CYCLE_1)
	s_mov_b32 s0, exec_lo
	v_cmpx_gt_i32_e64 s16, v0
	s_cbranch_execnz .LBB21_63
.LBB21_44:
	s_or_b32 exec_lo, exec_lo, s0
	s_delay_alu instid0(SALU_CYCLE_1)
	s_mov_b32 s0, exec_lo
	v_cmpx_gt_i32_e64 s16, v0
	s_cbranch_execnz .LBB21_64
.LBB21_45:
	s_or_b32 exec_lo, exec_lo, s0
	s_delay_alu instid0(SALU_CYCLE_1)
	s_mov_b32 s0, exec_lo
	v_cmpx_gt_i32_e64 s16, v0
	s_cbranch_execnz .LBB21_65
.LBB21_46:
	s_or_b32 exec_lo, exec_lo, s0
	s_delay_alu instid0(SALU_CYCLE_1)
	s_mov_b32 s0, exec_lo
	v_cmpx_gt_i32_e64 s16, v0
	s_cbranch_execnz .LBB21_66
.LBB21_47:
	s_or_b32 exec_lo, exec_lo, s0
	s_delay_alu instid0(SALU_CYCLE_1)
	s_mov_b32 s0, exec_lo
	v_cmpx_gt_i32_e64 s16, v0
	s_cbranch_execnz .LBB21_67
.LBB21_48:
	s_or_b32 exec_lo, exec_lo, s0
	s_delay_alu instid0(SALU_CYCLE_1)
	s_mov_b32 s0, exec_lo
	v_cmpx_gt_i32_e64 s16, v0
	s_cbranch_execz .LBB21_50
.LBB21_49:
	v_add_nc_u32_e32 v0, s12, v0
	global_store_b64 v0, v[30:31], s[4:5] scale_offset
.LBB21_50:
	s_endpgm
.LBB21_51:
	v_add_nc_u32_e32 v38, s12, v35
	v_add_nc_u32_e32 v35, 0x100, v35
	s_clause 0x2
	global_load_u8 v39, v38, s[6:7]
	global_load_b64 v[32:33], v38, s[8:9] scale_offset
	global_load_b64 v[36:37], v38, s[10:11] scale_offset
	s_wait_loadcnt 0x2
	v_cmp_eq_u16_e64 s0, 0, v39
	s_wait_loadcnt 0x0
	s_delay_alu instid0(VALU_DEP_1) | instskip(SKIP_2) | instid1(SALU_CYCLE_1)
	v_dual_cndmask_b32 v33, v33, v37, s0 :: v_dual_cndmask_b32 v32, v32, v36, s0
	s_wait_xcnt 0x0
	s_or_b32 exec_lo, exec_lo, s1
	s_mov_b32 s1, exec_lo
	v_cmpx_gt_i32_e64 s16, v35
	s_cbranch_execz .LBB21_33
.LBB21_52:
	v_add_nc_u32_e32 v35, s12, v35
	s_clause 0x2
	global_load_u8 v38, v35, s[6:7]
	global_load_b64 v[30:31], v35, s[8:9] scale_offset
	global_load_b64 v[36:37], v35, s[10:11] scale_offset
	s_wait_loadcnt 0x2
	v_cmp_eq_u16_e64 s0, 0, v38
	s_wait_loadcnt 0x0
	s_delay_alu instid0(VALU_DEP_1)
	v_dual_cndmask_b32 v31, v31, v37, s0 :: v_dual_cndmask_b32 v30, v30, v36, s0
	s_wait_xcnt 0x0
	s_or_b32 exec_lo, exec_lo, s1
	s_and_saveexec_b32 s0, vcc_lo
	s_cbranch_execz .LBB21_34
.LBB21_53:
	v_mov_b32_e32 v0, v34
	global_store_b64 v1, v[4:5], s[4:5] scale_offset
	s_wait_xcnt 0x0
	s_or_b32 exec_lo, exec_lo, s0
	s_delay_alu instid0(SALU_CYCLE_1)
	s_mov_b32 s0, exec_lo
	v_cmpx_gt_i32_e64 s16, v0
	s_cbranch_execz .LBB21_35
.LBB21_54:
	v_add_nc_u32_e32 v1, s12, v0
	v_add_nc_u32_e32 v0, 0x100, v0
	global_store_b64 v1, v[2:3], s[4:5] scale_offset
	s_wait_xcnt 0x0
	s_or_b32 exec_lo, exec_lo, s0
	s_delay_alu instid0(SALU_CYCLE_1)
	s_mov_b32 s0, exec_lo
	v_cmpx_gt_i32_e64 s16, v0
	s_cbranch_execz .LBB21_36
.LBB21_55:
	v_add_nc_u32_e32 v1, s12, v0
	v_add_nc_u32_e32 v0, 0x100, v0
	global_store_b64 v1, v[8:9], s[4:5] scale_offset
	s_wait_xcnt 0x0
	s_or_b32 exec_lo, exec_lo, s0
	s_delay_alu instid0(SALU_CYCLE_1)
	s_mov_b32 s0, exec_lo
	v_cmpx_gt_i32_e64 s16, v0
	s_cbranch_execz .LBB21_37
.LBB21_56:
	v_add_nc_u32_e32 v1, s12, v0
	v_add_nc_u32_e32 v0, 0x100, v0
	global_store_b64 v1, v[6:7], s[4:5] scale_offset
	s_wait_xcnt 0x0
	s_or_b32 exec_lo, exec_lo, s0
	s_delay_alu instid0(SALU_CYCLE_1)
	s_mov_b32 s0, exec_lo
	v_cmpx_gt_i32_e64 s16, v0
	s_cbranch_execz .LBB21_38
.LBB21_57:
	v_add_nc_u32_e32 v1, s12, v0
	v_add_nc_u32_e32 v0, 0x100, v0
	global_store_b64 v1, v[12:13], s[4:5] scale_offset
	s_wait_xcnt 0x0
	s_or_b32 exec_lo, exec_lo, s0
	s_delay_alu instid0(SALU_CYCLE_1)
	s_mov_b32 s0, exec_lo
	v_cmpx_gt_i32_e64 s16, v0
	s_cbranch_execz .LBB21_39
.LBB21_58:
	v_add_nc_u32_e32 v1, s12, v0
	v_add_nc_u32_e32 v0, 0x100, v0
	global_store_b64 v1, v[10:11], s[4:5] scale_offset
	s_wait_xcnt 0x0
	s_or_b32 exec_lo, exec_lo, s0
	s_delay_alu instid0(SALU_CYCLE_1)
	s_mov_b32 s0, exec_lo
	v_cmpx_gt_i32_e64 s16, v0
	s_cbranch_execz .LBB21_40
.LBB21_59:
	v_add_nc_u32_e32 v1, s12, v0
	v_add_nc_u32_e32 v0, 0x100, v0
	global_store_b64 v1, v[16:17], s[4:5] scale_offset
	s_wait_xcnt 0x0
	s_or_b32 exec_lo, exec_lo, s0
	s_delay_alu instid0(SALU_CYCLE_1)
	s_mov_b32 s0, exec_lo
	v_cmpx_gt_i32_e64 s16, v0
	s_cbranch_execz .LBB21_41
.LBB21_60:
	v_add_nc_u32_e32 v1, s12, v0
	v_add_nc_u32_e32 v0, 0x100, v0
	global_store_b64 v1, v[14:15], s[4:5] scale_offset
	s_wait_xcnt 0x0
	s_or_b32 exec_lo, exec_lo, s0
	s_delay_alu instid0(SALU_CYCLE_1)
	s_mov_b32 s0, exec_lo
	v_cmpx_gt_i32_e64 s16, v0
	s_cbranch_execz .LBB21_42
.LBB21_61:
	v_add_nc_u32_e32 v1, s12, v0
	v_add_nc_u32_e32 v0, 0x100, v0
	global_store_b64 v1, v[20:21], s[4:5] scale_offset
	s_wait_xcnt 0x0
	s_or_b32 exec_lo, exec_lo, s0
	s_delay_alu instid0(SALU_CYCLE_1)
	s_mov_b32 s0, exec_lo
	v_cmpx_gt_i32_e64 s16, v0
	s_cbranch_execz .LBB21_43
.LBB21_62:
	v_add_nc_u32_e32 v1, s12, v0
	v_add_nc_u32_e32 v0, 0x100, v0
	global_store_b64 v1, v[18:19], s[4:5] scale_offset
	s_wait_xcnt 0x0
	s_or_b32 exec_lo, exec_lo, s0
	s_delay_alu instid0(SALU_CYCLE_1)
	s_mov_b32 s0, exec_lo
	v_cmpx_gt_i32_e64 s16, v0
	s_cbranch_execz .LBB21_44
.LBB21_63:
	v_add_nc_u32_e32 v1, s12, v0
	v_add_nc_u32_e32 v0, 0x100, v0
	global_store_b64 v1, v[24:25], s[4:5] scale_offset
	s_wait_xcnt 0x0
	s_or_b32 exec_lo, exec_lo, s0
	s_delay_alu instid0(SALU_CYCLE_1)
	s_mov_b32 s0, exec_lo
	v_cmpx_gt_i32_e64 s16, v0
	s_cbranch_execz .LBB21_45
.LBB21_64:
	v_add_nc_u32_e32 v1, s12, v0
	v_add_nc_u32_e32 v0, 0x100, v0
	global_store_b64 v1, v[22:23], s[4:5] scale_offset
	s_wait_xcnt 0x0
	s_or_b32 exec_lo, exec_lo, s0
	s_delay_alu instid0(SALU_CYCLE_1)
	s_mov_b32 s0, exec_lo
	v_cmpx_gt_i32_e64 s16, v0
	s_cbranch_execz .LBB21_46
.LBB21_65:
	v_add_nc_u32_e32 v1, s12, v0
	v_add_nc_u32_e32 v0, 0x100, v0
	global_store_b64 v1, v[28:29], s[4:5] scale_offset
	s_wait_xcnt 0x0
	s_or_b32 exec_lo, exec_lo, s0
	s_delay_alu instid0(SALU_CYCLE_1)
	s_mov_b32 s0, exec_lo
	v_cmpx_gt_i32_e64 s16, v0
	s_cbranch_execz .LBB21_47
.LBB21_66:
	v_add_nc_u32_e32 v1, s12, v0
	v_add_nc_u32_e32 v0, 0x100, v0
	global_store_b64 v1, v[26:27], s[4:5] scale_offset
	s_wait_xcnt 0x0
	s_or_b32 exec_lo, exec_lo, s0
	s_delay_alu instid0(SALU_CYCLE_1)
	s_mov_b32 s0, exec_lo
	v_cmpx_gt_i32_e64 s16, v0
	s_cbranch_execz .LBB21_48
.LBB21_67:
	v_add_nc_u32_e32 v1, s12, v0
	v_add_nc_u32_e32 v0, 0x100, v0
	global_store_b64 v1, v[32:33], s[4:5] scale_offset
	s_wait_xcnt 0x0
	s_or_b32 exec_lo, exec_lo, s0
	s_delay_alu instid0(SALU_CYCLE_1)
	s_mov_b32 s0, exec_lo
	v_cmpx_gt_i32_e64 s16, v0
	s_cbranch_execnz .LBB21_49
	s_branch .LBB21_50
	.section	.rodata,"a",@progbits
	.p2align	6, 0x0
	.amdhsa_kernel _ZN2at6native29vectorized_elementwise_kernelILi8EZZZNS0_12_GLOBAL__N_117where_kernel_implERNS_14TensorIteratorEENKUlvE_clEvENKUlvE2_clEvEUlbmmE_St5arrayIPcLm4EEEEviT0_T1_
		.amdhsa_group_segment_fixed_size 0
		.amdhsa_private_segment_fixed_size 0
		.amdhsa_kernarg_size 40
		.amdhsa_user_sgpr_count 2
		.amdhsa_user_sgpr_dispatch_ptr 0
		.amdhsa_user_sgpr_queue_ptr 0
		.amdhsa_user_sgpr_kernarg_segment_ptr 1
		.amdhsa_user_sgpr_dispatch_id 0
		.amdhsa_user_sgpr_kernarg_preload_length 0
		.amdhsa_user_sgpr_kernarg_preload_offset 0
		.amdhsa_user_sgpr_private_segment_size 0
		.amdhsa_wavefront_size32 1
		.amdhsa_uses_dynamic_stack 0
		.amdhsa_enable_private_segment 0
		.amdhsa_system_sgpr_workgroup_id_x 1
		.amdhsa_system_sgpr_workgroup_id_y 0
		.amdhsa_system_sgpr_workgroup_id_z 0
		.amdhsa_system_sgpr_workgroup_info 0
		.amdhsa_system_vgpr_workitem_id 0
		.amdhsa_next_free_vgpr 60
		.amdhsa_next_free_sgpr 22
		.amdhsa_named_barrier_count 0
		.amdhsa_reserve_vcc 1
		.amdhsa_float_round_mode_32 0
		.amdhsa_float_round_mode_16_64 0
		.amdhsa_float_denorm_mode_32 3
		.amdhsa_float_denorm_mode_16_64 3
		.amdhsa_fp16_overflow 0
		.amdhsa_memory_ordered 1
		.amdhsa_forward_progress 1
		.amdhsa_inst_pref_size 31
		.amdhsa_round_robin_scheduling 0
		.amdhsa_exception_fp_ieee_invalid_op 0
		.amdhsa_exception_fp_denorm_src 0
		.amdhsa_exception_fp_ieee_div_zero 0
		.amdhsa_exception_fp_ieee_overflow 0
		.amdhsa_exception_fp_ieee_underflow 0
		.amdhsa_exception_fp_ieee_inexact 0
		.amdhsa_exception_int_div_zero 0
	.end_amdhsa_kernel
	.section	.text._ZN2at6native29vectorized_elementwise_kernelILi8EZZZNS0_12_GLOBAL__N_117where_kernel_implERNS_14TensorIteratorEENKUlvE_clEvENKUlvE2_clEvEUlbmmE_St5arrayIPcLm4EEEEviT0_T1_,"axG",@progbits,_ZN2at6native29vectorized_elementwise_kernelILi8EZZZNS0_12_GLOBAL__N_117where_kernel_implERNS_14TensorIteratorEENKUlvE_clEvENKUlvE2_clEvEUlbmmE_St5arrayIPcLm4EEEEviT0_T1_,comdat
.Lfunc_end21:
	.size	_ZN2at6native29vectorized_elementwise_kernelILi8EZZZNS0_12_GLOBAL__N_117where_kernel_implERNS_14TensorIteratorEENKUlvE_clEvENKUlvE2_clEvEUlbmmE_St5arrayIPcLm4EEEEviT0_T1_, .Lfunc_end21-_ZN2at6native29vectorized_elementwise_kernelILi8EZZZNS0_12_GLOBAL__N_117where_kernel_implERNS_14TensorIteratorEENKUlvE_clEvENKUlvE2_clEvEUlbmmE_St5arrayIPcLm4EEEEviT0_T1_
                                        ; -- End function
	.set _ZN2at6native29vectorized_elementwise_kernelILi8EZZZNS0_12_GLOBAL__N_117where_kernel_implERNS_14TensorIteratorEENKUlvE_clEvENKUlvE2_clEvEUlbmmE_St5arrayIPcLm4EEEEviT0_T1_.num_vgpr, 60
	.set _ZN2at6native29vectorized_elementwise_kernelILi8EZZZNS0_12_GLOBAL__N_117where_kernel_implERNS_14TensorIteratorEENKUlvE_clEvENKUlvE2_clEvEUlbmmE_St5arrayIPcLm4EEEEviT0_T1_.num_agpr, 0
	.set _ZN2at6native29vectorized_elementwise_kernelILi8EZZZNS0_12_GLOBAL__N_117where_kernel_implERNS_14TensorIteratorEENKUlvE_clEvENKUlvE2_clEvEUlbmmE_St5arrayIPcLm4EEEEviT0_T1_.numbered_sgpr, 22
	.set _ZN2at6native29vectorized_elementwise_kernelILi8EZZZNS0_12_GLOBAL__N_117where_kernel_implERNS_14TensorIteratorEENKUlvE_clEvENKUlvE2_clEvEUlbmmE_St5arrayIPcLm4EEEEviT0_T1_.num_named_barrier, 0
	.set _ZN2at6native29vectorized_elementwise_kernelILi8EZZZNS0_12_GLOBAL__N_117where_kernel_implERNS_14TensorIteratorEENKUlvE_clEvENKUlvE2_clEvEUlbmmE_St5arrayIPcLm4EEEEviT0_T1_.private_seg_size, 0
	.set _ZN2at6native29vectorized_elementwise_kernelILi8EZZZNS0_12_GLOBAL__N_117where_kernel_implERNS_14TensorIteratorEENKUlvE_clEvENKUlvE2_clEvEUlbmmE_St5arrayIPcLm4EEEEviT0_T1_.uses_vcc, 1
	.set _ZN2at6native29vectorized_elementwise_kernelILi8EZZZNS0_12_GLOBAL__N_117where_kernel_implERNS_14TensorIteratorEENKUlvE_clEvENKUlvE2_clEvEUlbmmE_St5arrayIPcLm4EEEEviT0_T1_.uses_flat_scratch, 0
	.set _ZN2at6native29vectorized_elementwise_kernelILi8EZZZNS0_12_GLOBAL__N_117where_kernel_implERNS_14TensorIteratorEENKUlvE_clEvENKUlvE2_clEvEUlbmmE_St5arrayIPcLm4EEEEviT0_T1_.has_dyn_sized_stack, 0
	.set _ZN2at6native29vectorized_elementwise_kernelILi8EZZZNS0_12_GLOBAL__N_117where_kernel_implERNS_14TensorIteratorEENKUlvE_clEvENKUlvE2_clEvEUlbmmE_St5arrayIPcLm4EEEEviT0_T1_.has_recursion, 0
	.set _ZN2at6native29vectorized_elementwise_kernelILi8EZZZNS0_12_GLOBAL__N_117where_kernel_implERNS_14TensorIteratorEENKUlvE_clEvENKUlvE2_clEvEUlbmmE_St5arrayIPcLm4EEEEviT0_T1_.has_indirect_call, 0
	.section	.AMDGPU.csdata,"",@progbits
; Kernel info:
; codeLenInByte = 3952
; TotalNumSgprs: 24
; NumVgprs: 60
; ScratchSize: 0
; MemoryBound: 0
; FloatMode: 240
; IeeeMode: 1
; LDSByteSize: 0 bytes/workgroup (compile time only)
; SGPRBlocks: 0
; VGPRBlocks: 3
; NumSGPRsForWavesPerEU: 24
; NumVGPRsForWavesPerEU: 60
; NamedBarCnt: 0
; Occupancy: 16
; WaveLimiterHint : 1
; COMPUTE_PGM_RSRC2:SCRATCH_EN: 0
; COMPUTE_PGM_RSRC2:USER_SGPR: 2
; COMPUTE_PGM_RSRC2:TRAP_HANDLER: 0
; COMPUTE_PGM_RSRC2:TGID_X_EN: 1
; COMPUTE_PGM_RSRC2:TGID_Y_EN: 0
; COMPUTE_PGM_RSRC2:TGID_Z_EN: 0
; COMPUTE_PGM_RSRC2:TIDIG_COMP_CNT: 0
	.section	.text._ZN2at6native29vectorized_elementwise_kernelILi4EZZZNS0_12_GLOBAL__N_117where_kernel_implERNS_14TensorIteratorEENKUlvE_clEvENKUlvE2_clEvEUlbmmE_St5arrayIPcLm4EEEEviT0_T1_,"axG",@progbits,_ZN2at6native29vectorized_elementwise_kernelILi4EZZZNS0_12_GLOBAL__N_117where_kernel_implERNS_14TensorIteratorEENKUlvE_clEvENKUlvE2_clEvEUlbmmE_St5arrayIPcLm4EEEEviT0_T1_,comdat
	.globl	_ZN2at6native29vectorized_elementwise_kernelILi4EZZZNS0_12_GLOBAL__N_117where_kernel_implERNS_14TensorIteratorEENKUlvE_clEvENKUlvE2_clEvEUlbmmE_St5arrayIPcLm4EEEEviT0_T1_ ; -- Begin function _ZN2at6native29vectorized_elementwise_kernelILi4EZZZNS0_12_GLOBAL__N_117where_kernel_implERNS_14TensorIteratorEENKUlvE_clEvENKUlvE2_clEvEUlbmmE_St5arrayIPcLm4EEEEviT0_T1_
	.p2align	8
	.type	_ZN2at6native29vectorized_elementwise_kernelILi4EZZZNS0_12_GLOBAL__N_117where_kernel_implERNS_14TensorIteratorEENKUlvE_clEvENKUlvE2_clEvEUlbmmE_St5arrayIPcLm4EEEEviT0_T1_,@function
_ZN2at6native29vectorized_elementwise_kernelILi4EZZZNS0_12_GLOBAL__N_117where_kernel_implERNS_14TensorIteratorEENKUlvE_clEvENKUlvE2_clEvEUlbmmE_St5arrayIPcLm4EEEEviT0_T1_: ; @_ZN2at6native29vectorized_elementwise_kernelILi4EZZZNS0_12_GLOBAL__N_117where_kernel_implERNS_14TensorIteratorEENKUlvE_clEvENKUlvE2_clEvEUlbmmE_St5arrayIPcLm4EEEEviT0_T1_
; %bb.0:
	s_clause 0x1
	s_load_b32 s2, s[0:1], 0x0
	s_load_b256 s[4:11], s[0:1], 0x8
	s_wait_xcnt 0x0
	s_bfe_u32 s0, ttmp6, 0x4000c
	s_and_b32 s1, ttmp6, 15
	s_add_co_i32 s0, s0, 1
	s_getreg_b32 s3, hwreg(HW_REG_IB_STS2, 6, 4)
	s_mul_i32 s0, ttmp9, s0
	s_mov_b32 s13, -1
	s_add_co_i32 s1, s1, s0
	s_cmp_eq_u32 s3, 0
	s_cselect_b32 s0, ttmp9, s1
	s_delay_alu instid0(SALU_CYCLE_1) | instskip(SKIP_2) | instid1(SALU_CYCLE_1)
	s_lshl_b32 s12, s0, 12
	s_wait_kmcnt 0x0
	s_sub_co_i32 s16, s2, s12
	s_cmp_gt_i32 s16, 0xfff
	s_cbranch_scc0 .LBB22_2
; %bb.1:
	s_ashr_i32 s13, s12, 31
	s_delay_alu instid0(SALU_CYCLE_1)
	s_add_nc_u64 s[0:1], s[6:7], s[12:13]
	s_lshl_b64 s[14:15], s[12:13], 3
	global_load_b32 v1, v0, s[0:1] scale_offset
	s_add_nc_u64 s[18:19], s[8:9], s[14:15]
	s_add_nc_u64 s[20:21], s[10:11], s[14:15]
	;; [unrolled: 1-line block ×3, first 2 shown]
	s_mov_b32 s13, 0
	s_wait_loadcnt 0x0
	v_and_b32_e32 v42, 0xff, v1
	v_and_b32_e32 v43, 0xff00, v1
	;; [unrolled: 1-line block ×3, first 2 shown]
	s_delay_alu instid0(VALU_DEP_3)
	v_cmp_eq_u32_e32 vcc_lo, 0, v42
	v_lshlrev_b32_e32 v54, 5, v0
	s_clause 0x1
	global_load_b128 v[2:5], v54, s[18:19]
	global_load_b128 v[6:9], v54, s[20:21]
	global_load_b32 v55, v0, s[0:1] offset:1024 scale_offset
	s_clause 0x4
	global_load_b128 v[10:13], v54, s[18:19] offset:16
	global_load_b128 v[14:17], v54, s[20:21] offset:16
	;; [unrolled: 1-line block ×5, first 2 shown]
	s_clause 0x1
	global_load_b32 v56, v0, s[0:1] offset:2048 scale_offset
	global_load_b32 v57, v0, s[0:1] offset:3072 scale_offset
	s_wait_xcnt 0x0
	v_cmp_eq_u32_e64 s0, 0, v43
	s_wait_loadcnt 0x8
	v_cndmask_b32_e32 v3, v3, v7, vcc_lo
	s_clause 0x3
	global_load_b128 v[30:33], v54, s[20:21] offset:8208
	global_load_b128 v[34:37], v54, s[18:19] offset:16400
	;; [unrolled: 1-line block ×4, first 2 shown]
	v_dual_cndmask_b32 v5, v5, v9, s0 :: v_dual_cndmask_b32 v2, v2, v6, vcc_lo
	s_wait_loadcnt 0xb
	v_and_b32_e32 v51, 0xff, v55
	v_and_b32_e32 v52, 0xff00, v55
	v_cmp_lt_u32_e32 vcc_lo, 0xffffff, v1
	v_cndmask_b32_e64 v4, v4, v8, s0
	s_clause 0x1
	global_load_b128 v[6:9], v54, s[20:21] offset:16400
	global_load_b128 v[46:49], v54, s[20:21] offset:16384
	v_cmp_eq_u32_e64 s0, 0, v50
	v_cmp_eq_u32_e64 s1, 0, v51
	;; [unrolled: 1-line block ×3, first 2 shown]
	s_wait_loadcnt 0xb
	v_dual_cndmask_b32 v13, v17, v13 :: v_dual_cndmask_b32 v12, v16, v12
	v_dual_cndmask_b32 v11, v11, v15, s0 :: v_dual_cndmask_b32 v10, v10, v14, s0
	s_wait_loadcnt 0x9
	v_cndmask_b32_e64 v19, v23, v19, s1
	global_load_b128 v[14:17], v54, s[20:21] offset:24592
	v_dual_cndmask_b32 v21, v25, v21, s2 :: v_dual_cndmask_b32 v18, v22, v18, s1
	v_cmp_lt_u32_e32 vcc_lo, 0xffffff, v55
	v_cndmask_b32_e64 v20, v24, v20, s2
	s_clause 0x1
	global_load_b128 v[22:25], v54, s[18:19] offset:24576
	global_load_b128 v[50:53], v54, s[20:21] offset:24576
	v_and_b32_e32 v1, 0xff0000, v55
	s_wait_loadcnt 0xa
	v_and_b32_e32 v55, 0xff0000, v56
	s_wait_loadcnt 0x9
	v_and_b32_e32 v58, 0xff, v57
	v_and_b32_e32 v59, 0xff00, v57
	v_cmp_eq_u32_e64 s0, 0, v1
	v_and_b32_e32 v1, 0xff, v56
	v_cmp_eq_u32_e64 s1, 0, v55
	s_delay_alu instid0(VALU_DEP_4)
	v_cmp_eq_u32_e64 s2, 0, v59
	s_wait_loadcnt 0x8
	v_dual_cndmask_b32 v29, v33, v29, vcc_lo :: v_dual_cndmask_b32 v27, v27, v31, s0
	v_cndmask_b32_e32 v28, v32, v28, vcc_lo
	v_cmp_eq_u32_e32 vcc_lo, 0, v1
	v_cndmask_b32_e64 v26, v26, v30, s0
	v_and_b32_e32 v30, 0xff00, v56
	v_and_b32_e32 v1, 0xff0000, v57
	s_wait_loadcnt 0x4
	v_cndmask_b32_e64 v7, v35, v7, s1
	s_delay_alu instid0(VALU_DEP_3)
	v_cmp_eq_u32_e64 s0, 0, v30
	s_wait_loadcnt 0x3
	v_dual_cndmask_b32 v31, v39, v47 :: v_dual_cndmask_b32 v30, v38, v46
	v_cmp_lt_u32_e32 vcc_lo, 0xffffff, v56
	v_cmp_eq_u32_e64 s3, 0, v1
	v_dual_cndmask_b32 v33, v41, v49, s0 :: v_dual_cndmask_b32 v32, v40, v48, s0
	v_cmp_lt_u32_e64 s0, 0xffffff, v57
	v_dual_cndmask_b32 v9, v9, v37 :: v_dual_cndmask_b32 v8, v8, v36
	v_cmp_eq_u32_e32 vcc_lo, 0, v58
	s_wait_loadcnt 0x2
	s_delay_alu instid0(VALU_DEP_3)
	v_dual_cndmask_b32 v15, v43, v15, s3 :: v_dual_cndmask_b32 v17, v17, v45, s0
	v_dual_cndmask_b32 v16, v16, v44, s0 :: v_dual_cndmask_b32 v6, v34, v6, s1
	s_wait_loadcnt 0x0
	v_dual_cndmask_b32 v23, v23, v51, vcc_lo :: v_dual_cndmask_b32 v25, v25, v53, s2
	v_dual_cndmask_b32 v22, v22, v50, vcc_lo :: v_dual_cndmask_b32 v24, v24, v52, s2
	v_cndmask_b32_e64 v14, v42, v14, s3
	s_clause 0x7
	global_store_b128 v54, v[2:5], s[14:15]
	global_store_b128 v54, v[10:13], s[14:15] offset:16
	global_store_b128 v54, v[18:21], s[14:15] offset:8192
	;; [unrolled: 1-line block ×7, first 2 shown]
.LBB22_2:
	s_and_not1_b32 vcc_lo, exec_lo, s13
	s_cbranch_vccnz .LBB22_50
; %bb.3:
	s_wait_xcnt 0x7
	v_mov_b64_e32 v[2:3], 0
	v_mov_b64_e32 v[4:5], 0
	v_cmp_gt_i32_e32 vcc_lo, s16, v0
	v_dual_mov_b32 v35, v0 :: v_dual_bitop2_b32 v1, s12, v0 bitop3:0x54
	v_or_b32_e32 v34, 0x100, v0
	s_wait_xcnt 0x0
	s_and_saveexec_b32 s1, vcc_lo
	s_cbranch_execz .LBB22_5
; %bb.4:
	s_clause 0x2
	global_load_u8 v8, v1, s[6:7]
	global_load_b64 v[4:5], v1, s[8:9] scale_offset
	global_load_b64 v[6:7], v1, s[10:11] scale_offset
	v_or_b32_e32 v35, 0x100, v0
	s_wait_loadcnt 0x2
	v_cmp_eq_u16_e64 s0, 0, v8
	s_wait_loadcnt 0x0
	s_delay_alu instid0(VALU_DEP_1)
	v_dual_cndmask_b32 v5, v5, v7, s0 :: v_dual_cndmask_b32 v4, v4, v6, s0
.LBB22_5:
	s_wait_xcnt 0x0
	s_or_b32 exec_lo, exec_lo, s1
	s_delay_alu instid0(SALU_CYCLE_1)
	s_mov_b32 s1, exec_lo
	v_cmpx_gt_i32_e64 s16, v35
	s_cbranch_execz .LBB22_7
; %bb.6:
	v_add_nc_u32_e32 v8, s12, v35
	v_add_nc_u32_e32 v35, 0x100, v35
	s_clause 0x2
	global_load_u8 v9, v8, s[6:7]
	global_load_b64 v[2:3], v8, s[8:9] scale_offset
	global_load_b64 v[6:7], v8, s[10:11] scale_offset
	s_wait_loadcnt 0x2
	v_cmp_eq_u16_e64 s0, 0, v9
	s_wait_loadcnt 0x0
	s_delay_alu instid0(VALU_DEP_1)
	v_dual_cndmask_b32 v3, v3, v7, s0 :: v_dual_cndmask_b32 v2, v2, v6, s0
.LBB22_7:
	s_wait_xcnt 0x0
	s_or_b32 exec_lo, exec_lo, s1
	v_mov_b64_e32 v[6:7], 0
	v_mov_b64_e32 v[8:9], 0
	s_mov_b32 s1, exec_lo
	v_cmpx_gt_i32_e64 s16, v35
	s_cbranch_execz .LBB22_9
; %bb.8:
	v_add_nc_u32_e32 v12, s12, v35
	v_add_nc_u32_e32 v35, 0x100, v35
	s_clause 0x2
	global_load_u8 v13, v12, s[6:7]
	global_load_b64 v[8:9], v12, s[8:9] scale_offset
	global_load_b64 v[10:11], v12, s[10:11] scale_offset
	s_wait_loadcnt 0x2
	v_cmp_eq_u16_e64 s0, 0, v13
	s_wait_loadcnt 0x0
	s_delay_alu instid0(VALU_DEP_1)
	v_dual_cndmask_b32 v9, v9, v11, s0 :: v_dual_cndmask_b32 v8, v8, v10, s0
.LBB22_9:
	s_wait_xcnt 0x0
	s_or_b32 exec_lo, exec_lo, s1
	s_delay_alu instid0(SALU_CYCLE_1)
	s_mov_b32 s1, exec_lo
	v_cmpx_gt_i32_e64 s16, v35
	s_cbranch_execz .LBB22_11
; %bb.10:
	v_add_nc_u32_e32 v12, s12, v35
	v_add_nc_u32_e32 v35, 0x100, v35
	s_clause 0x2
	global_load_u8 v13, v12, s[6:7]
	global_load_b64 v[6:7], v12, s[8:9] scale_offset
	global_load_b64 v[10:11], v12, s[10:11] scale_offset
	s_wait_loadcnt 0x2
	v_cmp_eq_u16_e64 s0, 0, v13
	s_wait_loadcnt 0x0
	s_delay_alu instid0(VALU_DEP_1)
	v_dual_cndmask_b32 v7, v7, v11, s0 :: v_dual_cndmask_b32 v6, v6, v10, s0
.LBB22_11:
	s_wait_xcnt 0x0
	s_or_b32 exec_lo, exec_lo, s1
	v_mov_b64_e32 v[10:11], 0
	v_mov_b64_e32 v[12:13], 0
	s_mov_b32 s1, exec_lo
	v_cmpx_gt_i32_e64 s16, v35
	s_cbranch_execz .LBB22_13
; %bb.12:
	v_add_nc_u32_e32 v16, s12, v35
	v_add_nc_u32_e32 v35, 0x100, v35
	s_clause 0x2
	global_load_u8 v17, v16, s[6:7]
	global_load_b64 v[12:13], v16, s[8:9] scale_offset
	global_load_b64 v[14:15], v16, s[10:11] scale_offset
	s_wait_loadcnt 0x2
	v_cmp_eq_u16_e64 s0, 0, v17
	s_wait_loadcnt 0x0
	s_delay_alu instid0(VALU_DEP_1)
	v_dual_cndmask_b32 v13, v13, v15, s0 :: v_dual_cndmask_b32 v12, v12, v14, s0
.LBB22_13:
	;; [unrolled: 39-line block ×6, first 2 shown]
	s_wait_xcnt 0x0
	s_or_b32 exec_lo, exec_lo, s1
	s_delay_alu instid0(SALU_CYCLE_1)
	s_mov_b32 s1, exec_lo
	v_cmpx_gt_i32_e64 s16, v35
	s_cbranch_execz .LBB22_31
; %bb.30:
	v_add_nc_u32_e32 v32, s12, v35
	v_add_nc_u32_e32 v35, 0x100, v35
	s_clause 0x2
	global_load_u8 v33, v32, s[6:7]
	global_load_b64 v[26:27], v32, s[8:9] scale_offset
	global_load_b64 v[30:31], v32, s[10:11] scale_offset
	s_wait_loadcnt 0x2
	v_cmp_eq_u16_e64 s0, 0, v33
	s_wait_loadcnt 0x0
	s_delay_alu instid0(VALU_DEP_1)
	v_dual_cndmask_b32 v27, v27, v31, s0 :: v_dual_cndmask_b32 v26, v26, v30, s0
.LBB22_31:
	s_wait_xcnt 0x0
	s_or_b32 exec_lo, exec_lo, s1
	v_mov_b64_e32 v[30:31], 0
	v_mov_b64_e32 v[32:33], 0
	s_mov_b32 s1, exec_lo
	v_cmpx_gt_i32_e64 s16, v35
	s_cbranch_execnz .LBB22_51
; %bb.32:
	s_or_b32 exec_lo, exec_lo, s1
	s_delay_alu instid0(SALU_CYCLE_1)
	s_mov_b32 s1, exec_lo
	v_cmpx_gt_i32_e64 s16, v35
	s_cbranch_execnz .LBB22_52
.LBB22_33:
	s_or_b32 exec_lo, exec_lo, s1
	s_and_saveexec_b32 s0, vcc_lo
	s_cbranch_execnz .LBB22_53
.LBB22_34:
	s_or_b32 exec_lo, exec_lo, s0
	s_delay_alu instid0(SALU_CYCLE_1)
	s_mov_b32 s0, exec_lo
	v_cmpx_gt_i32_e64 s16, v0
	s_cbranch_execnz .LBB22_54
.LBB22_35:
	s_or_b32 exec_lo, exec_lo, s0
	s_delay_alu instid0(SALU_CYCLE_1)
	s_mov_b32 s0, exec_lo
	v_cmpx_gt_i32_e64 s16, v0
	s_cbranch_execnz .LBB22_55
.LBB22_36:
	s_or_b32 exec_lo, exec_lo, s0
	s_delay_alu instid0(SALU_CYCLE_1)
	s_mov_b32 s0, exec_lo
	v_cmpx_gt_i32_e64 s16, v0
	s_cbranch_execnz .LBB22_56
.LBB22_37:
	s_or_b32 exec_lo, exec_lo, s0
	s_delay_alu instid0(SALU_CYCLE_1)
	s_mov_b32 s0, exec_lo
	v_cmpx_gt_i32_e64 s16, v0
	s_cbranch_execnz .LBB22_57
.LBB22_38:
	s_or_b32 exec_lo, exec_lo, s0
	s_delay_alu instid0(SALU_CYCLE_1)
	s_mov_b32 s0, exec_lo
	v_cmpx_gt_i32_e64 s16, v0
	s_cbranch_execnz .LBB22_58
.LBB22_39:
	s_or_b32 exec_lo, exec_lo, s0
	s_delay_alu instid0(SALU_CYCLE_1)
	s_mov_b32 s0, exec_lo
	v_cmpx_gt_i32_e64 s16, v0
	s_cbranch_execnz .LBB22_59
.LBB22_40:
	s_or_b32 exec_lo, exec_lo, s0
	s_delay_alu instid0(SALU_CYCLE_1)
	s_mov_b32 s0, exec_lo
	v_cmpx_gt_i32_e64 s16, v0
	s_cbranch_execnz .LBB22_60
.LBB22_41:
	s_or_b32 exec_lo, exec_lo, s0
	s_delay_alu instid0(SALU_CYCLE_1)
	s_mov_b32 s0, exec_lo
	v_cmpx_gt_i32_e64 s16, v0
	s_cbranch_execnz .LBB22_61
.LBB22_42:
	s_or_b32 exec_lo, exec_lo, s0
	s_delay_alu instid0(SALU_CYCLE_1)
	s_mov_b32 s0, exec_lo
	v_cmpx_gt_i32_e64 s16, v0
	s_cbranch_execnz .LBB22_62
.LBB22_43:
	s_or_b32 exec_lo, exec_lo, s0
	s_delay_alu instid0(SALU_CYCLE_1)
	s_mov_b32 s0, exec_lo
	v_cmpx_gt_i32_e64 s16, v0
	s_cbranch_execnz .LBB22_63
.LBB22_44:
	s_or_b32 exec_lo, exec_lo, s0
	s_delay_alu instid0(SALU_CYCLE_1)
	s_mov_b32 s0, exec_lo
	v_cmpx_gt_i32_e64 s16, v0
	s_cbranch_execnz .LBB22_64
.LBB22_45:
	s_or_b32 exec_lo, exec_lo, s0
	s_delay_alu instid0(SALU_CYCLE_1)
	s_mov_b32 s0, exec_lo
	v_cmpx_gt_i32_e64 s16, v0
	s_cbranch_execnz .LBB22_65
.LBB22_46:
	s_or_b32 exec_lo, exec_lo, s0
	s_delay_alu instid0(SALU_CYCLE_1)
	s_mov_b32 s0, exec_lo
	v_cmpx_gt_i32_e64 s16, v0
	s_cbranch_execnz .LBB22_66
.LBB22_47:
	s_or_b32 exec_lo, exec_lo, s0
	s_delay_alu instid0(SALU_CYCLE_1)
	s_mov_b32 s0, exec_lo
	v_cmpx_gt_i32_e64 s16, v0
	s_cbranch_execnz .LBB22_67
.LBB22_48:
	s_or_b32 exec_lo, exec_lo, s0
	s_delay_alu instid0(SALU_CYCLE_1)
	s_mov_b32 s0, exec_lo
	v_cmpx_gt_i32_e64 s16, v0
	s_cbranch_execz .LBB22_50
.LBB22_49:
	v_add_nc_u32_e32 v0, s12, v0
	global_store_b64 v0, v[30:31], s[4:5] scale_offset
.LBB22_50:
	s_endpgm
.LBB22_51:
	v_add_nc_u32_e32 v38, s12, v35
	v_add_nc_u32_e32 v35, 0x100, v35
	s_clause 0x2
	global_load_u8 v39, v38, s[6:7]
	global_load_b64 v[32:33], v38, s[8:9] scale_offset
	global_load_b64 v[36:37], v38, s[10:11] scale_offset
	s_wait_loadcnt 0x2
	v_cmp_eq_u16_e64 s0, 0, v39
	s_wait_loadcnt 0x0
	s_delay_alu instid0(VALU_DEP_1) | instskip(SKIP_2) | instid1(SALU_CYCLE_1)
	v_dual_cndmask_b32 v33, v33, v37, s0 :: v_dual_cndmask_b32 v32, v32, v36, s0
	s_wait_xcnt 0x0
	s_or_b32 exec_lo, exec_lo, s1
	s_mov_b32 s1, exec_lo
	v_cmpx_gt_i32_e64 s16, v35
	s_cbranch_execz .LBB22_33
.LBB22_52:
	v_add_nc_u32_e32 v35, s12, v35
	s_clause 0x2
	global_load_u8 v38, v35, s[6:7]
	global_load_b64 v[30:31], v35, s[8:9] scale_offset
	global_load_b64 v[36:37], v35, s[10:11] scale_offset
	s_wait_loadcnt 0x2
	v_cmp_eq_u16_e64 s0, 0, v38
	s_wait_loadcnt 0x0
	s_delay_alu instid0(VALU_DEP_1)
	v_dual_cndmask_b32 v31, v31, v37, s0 :: v_dual_cndmask_b32 v30, v30, v36, s0
	s_wait_xcnt 0x0
	s_or_b32 exec_lo, exec_lo, s1
	s_and_saveexec_b32 s0, vcc_lo
	s_cbranch_execz .LBB22_34
.LBB22_53:
	v_mov_b32_e32 v0, v34
	global_store_b64 v1, v[4:5], s[4:5] scale_offset
	s_wait_xcnt 0x0
	s_or_b32 exec_lo, exec_lo, s0
	s_delay_alu instid0(SALU_CYCLE_1)
	s_mov_b32 s0, exec_lo
	v_cmpx_gt_i32_e64 s16, v0
	s_cbranch_execz .LBB22_35
.LBB22_54:
	v_add_nc_u32_e32 v1, s12, v0
	v_add_nc_u32_e32 v0, 0x100, v0
	global_store_b64 v1, v[2:3], s[4:5] scale_offset
	s_wait_xcnt 0x0
	s_or_b32 exec_lo, exec_lo, s0
	s_delay_alu instid0(SALU_CYCLE_1)
	s_mov_b32 s0, exec_lo
	v_cmpx_gt_i32_e64 s16, v0
	s_cbranch_execz .LBB22_36
.LBB22_55:
	v_add_nc_u32_e32 v1, s12, v0
	v_add_nc_u32_e32 v0, 0x100, v0
	global_store_b64 v1, v[8:9], s[4:5] scale_offset
	s_wait_xcnt 0x0
	s_or_b32 exec_lo, exec_lo, s0
	s_delay_alu instid0(SALU_CYCLE_1)
	s_mov_b32 s0, exec_lo
	v_cmpx_gt_i32_e64 s16, v0
	s_cbranch_execz .LBB22_37
.LBB22_56:
	v_add_nc_u32_e32 v1, s12, v0
	v_add_nc_u32_e32 v0, 0x100, v0
	global_store_b64 v1, v[6:7], s[4:5] scale_offset
	s_wait_xcnt 0x0
	s_or_b32 exec_lo, exec_lo, s0
	s_delay_alu instid0(SALU_CYCLE_1)
	s_mov_b32 s0, exec_lo
	v_cmpx_gt_i32_e64 s16, v0
	s_cbranch_execz .LBB22_38
.LBB22_57:
	v_add_nc_u32_e32 v1, s12, v0
	v_add_nc_u32_e32 v0, 0x100, v0
	global_store_b64 v1, v[12:13], s[4:5] scale_offset
	s_wait_xcnt 0x0
	s_or_b32 exec_lo, exec_lo, s0
	s_delay_alu instid0(SALU_CYCLE_1)
	s_mov_b32 s0, exec_lo
	v_cmpx_gt_i32_e64 s16, v0
	s_cbranch_execz .LBB22_39
.LBB22_58:
	v_add_nc_u32_e32 v1, s12, v0
	v_add_nc_u32_e32 v0, 0x100, v0
	global_store_b64 v1, v[10:11], s[4:5] scale_offset
	s_wait_xcnt 0x0
	s_or_b32 exec_lo, exec_lo, s0
	s_delay_alu instid0(SALU_CYCLE_1)
	s_mov_b32 s0, exec_lo
	v_cmpx_gt_i32_e64 s16, v0
	s_cbranch_execz .LBB22_40
.LBB22_59:
	v_add_nc_u32_e32 v1, s12, v0
	v_add_nc_u32_e32 v0, 0x100, v0
	global_store_b64 v1, v[16:17], s[4:5] scale_offset
	s_wait_xcnt 0x0
	s_or_b32 exec_lo, exec_lo, s0
	s_delay_alu instid0(SALU_CYCLE_1)
	s_mov_b32 s0, exec_lo
	v_cmpx_gt_i32_e64 s16, v0
	s_cbranch_execz .LBB22_41
.LBB22_60:
	v_add_nc_u32_e32 v1, s12, v0
	v_add_nc_u32_e32 v0, 0x100, v0
	global_store_b64 v1, v[14:15], s[4:5] scale_offset
	s_wait_xcnt 0x0
	s_or_b32 exec_lo, exec_lo, s0
	s_delay_alu instid0(SALU_CYCLE_1)
	s_mov_b32 s0, exec_lo
	v_cmpx_gt_i32_e64 s16, v0
	s_cbranch_execz .LBB22_42
.LBB22_61:
	v_add_nc_u32_e32 v1, s12, v0
	v_add_nc_u32_e32 v0, 0x100, v0
	global_store_b64 v1, v[20:21], s[4:5] scale_offset
	s_wait_xcnt 0x0
	s_or_b32 exec_lo, exec_lo, s0
	s_delay_alu instid0(SALU_CYCLE_1)
	s_mov_b32 s0, exec_lo
	v_cmpx_gt_i32_e64 s16, v0
	s_cbranch_execz .LBB22_43
.LBB22_62:
	v_add_nc_u32_e32 v1, s12, v0
	v_add_nc_u32_e32 v0, 0x100, v0
	global_store_b64 v1, v[18:19], s[4:5] scale_offset
	s_wait_xcnt 0x0
	s_or_b32 exec_lo, exec_lo, s0
	s_delay_alu instid0(SALU_CYCLE_1)
	s_mov_b32 s0, exec_lo
	v_cmpx_gt_i32_e64 s16, v0
	s_cbranch_execz .LBB22_44
.LBB22_63:
	v_add_nc_u32_e32 v1, s12, v0
	v_add_nc_u32_e32 v0, 0x100, v0
	global_store_b64 v1, v[24:25], s[4:5] scale_offset
	s_wait_xcnt 0x0
	s_or_b32 exec_lo, exec_lo, s0
	s_delay_alu instid0(SALU_CYCLE_1)
	s_mov_b32 s0, exec_lo
	v_cmpx_gt_i32_e64 s16, v0
	s_cbranch_execz .LBB22_45
.LBB22_64:
	v_add_nc_u32_e32 v1, s12, v0
	v_add_nc_u32_e32 v0, 0x100, v0
	global_store_b64 v1, v[22:23], s[4:5] scale_offset
	s_wait_xcnt 0x0
	s_or_b32 exec_lo, exec_lo, s0
	s_delay_alu instid0(SALU_CYCLE_1)
	s_mov_b32 s0, exec_lo
	v_cmpx_gt_i32_e64 s16, v0
	s_cbranch_execz .LBB22_46
.LBB22_65:
	v_add_nc_u32_e32 v1, s12, v0
	v_add_nc_u32_e32 v0, 0x100, v0
	global_store_b64 v1, v[28:29], s[4:5] scale_offset
	s_wait_xcnt 0x0
	s_or_b32 exec_lo, exec_lo, s0
	s_delay_alu instid0(SALU_CYCLE_1)
	s_mov_b32 s0, exec_lo
	v_cmpx_gt_i32_e64 s16, v0
	s_cbranch_execz .LBB22_47
.LBB22_66:
	v_add_nc_u32_e32 v1, s12, v0
	v_add_nc_u32_e32 v0, 0x100, v0
	global_store_b64 v1, v[26:27], s[4:5] scale_offset
	s_wait_xcnt 0x0
	s_or_b32 exec_lo, exec_lo, s0
	s_delay_alu instid0(SALU_CYCLE_1)
	s_mov_b32 s0, exec_lo
	v_cmpx_gt_i32_e64 s16, v0
	s_cbranch_execz .LBB22_48
.LBB22_67:
	v_add_nc_u32_e32 v1, s12, v0
	v_add_nc_u32_e32 v0, 0x100, v0
	global_store_b64 v1, v[32:33], s[4:5] scale_offset
	s_wait_xcnt 0x0
	s_or_b32 exec_lo, exec_lo, s0
	s_delay_alu instid0(SALU_CYCLE_1)
	s_mov_b32 s0, exec_lo
	v_cmpx_gt_i32_e64 s16, v0
	s_cbranch_execnz .LBB22_49
	s_branch .LBB22_50
	.section	.rodata,"a",@progbits
	.p2align	6, 0x0
	.amdhsa_kernel _ZN2at6native29vectorized_elementwise_kernelILi4EZZZNS0_12_GLOBAL__N_117where_kernel_implERNS_14TensorIteratorEENKUlvE_clEvENKUlvE2_clEvEUlbmmE_St5arrayIPcLm4EEEEviT0_T1_
		.amdhsa_group_segment_fixed_size 0
		.amdhsa_private_segment_fixed_size 0
		.amdhsa_kernarg_size 40
		.amdhsa_user_sgpr_count 2
		.amdhsa_user_sgpr_dispatch_ptr 0
		.amdhsa_user_sgpr_queue_ptr 0
		.amdhsa_user_sgpr_kernarg_segment_ptr 1
		.amdhsa_user_sgpr_dispatch_id 0
		.amdhsa_user_sgpr_kernarg_preload_length 0
		.amdhsa_user_sgpr_kernarg_preload_offset 0
		.amdhsa_user_sgpr_private_segment_size 0
		.amdhsa_wavefront_size32 1
		.amdhsa_uses_dynamic_stack 0
		.amdhsa_enable_private_segment 0
		.amdhsa_system_sgpr_workgroup_id_x 1
		.amdhsa_system_sgpr_workgroup_id_y 0
		.amdhsa_system_sgpr_workgroup_id_z 0
		.amdhsa_system_sgpr_workgroup_info 0
		.amdhsa_system_vgpr_workitem_id 0
		.amdhsa_next_free_vgpr 60
		.amdhsa_next_free_sgpr 22
		.amdhsa_named_barrier_count 0
		.amdhsa_reserve_vcc 1
		.amdhsa_float_round_mode_32 0
		.amdhsa_float_round_mode_16_64 0
		.amdhsa_float_denorm_mode_32 3
		.amdhsa_float_denorm_mode_16_64 3
		.amdhsa_fp16_overflow 0
		.amdhsa_memory_ordered 1
		.amdhsa_forward_progress 1
		.amdhsa_inst_pref_size 32
		.amdhsa_round_robin_scheduling 0
		.amdhsa_exception_fp_ieee_invalid_op 0
		.amdhsa_exception_fp_denorm_src 0
		.amdhsa_exception_fp_ieee_div_zero 0
		.amdhsa_exception_fp_ieee_overflow 0
		.amdhsa_exception_fp_ieee_underflow 0
		.amdhsa_exception_fp_ieee_inexact 0
		.amdhsa_exception_int_div_zero 0
	.end_amdhsa_kernel
	.section	.text._ZN2at6native29vectorized_elementwise_kernelILi4EZZZNS0_12_GLOBAL__N_117where_kernel_implERNS_14TensorIteratorEENKUlvE_clEvENKUlvE2_clEvEUlbmmE_St5arrayIPcLm4EEEEviT0_T1_,"axG",@progbits,_ZN2at6native29vectorized_elementwise_kernelILi4EZZZNS0_12_GLOBAL__N_117where_kernel_implERNS_14TensorIteratorEENKUlvE_clEvENKUlvE2_clEvEUlbmmE_St5arrayIPcLm4EEEEviT0_T1_,comdat
.Lfunc_end22:
	.size	_ZN2at6native29vectorized_elementwise_kernelILi4EZZZNS0_12_GLOBAL__N_117where_kernel_implERNS_14TensorIteratorEENKUlvE_clEvENKUlvE2_clEvEUlbmmE_St5arrayIPcLm4EEEEviT0_T1_, .Lfunc_end22-_ZN2at6native29vectorized_elementwise_kernelILi4EZZZNS0_12_GLOBAL__N_117where_kernel_implERNS_14TensorIteratorEENKUlvE_clEvENKUlvE2_clEvEUlbmmE_St5arrayIPcLm4EEEEviT0_T1_
                                        ; -- End function
	.set _ZN2at6native29vectorized_elementwise_kernelILi4EZZZNS0_12_GLOBAL__N_117where_kernel_implERNS_14TensorIteratorEENKUlvE_clEvENKUlvE2_clEvEUlbmmE_St5arrayIPcLm4EEEEviT0_T1_.num_vgpr, 60
	.set _ZN2at6native29vectorized_elementwise_kernelILi4EZZZNS0_12_GLOBAL__N_117where_kernel_implERNS_14TensorIteratorEENKUlvE_clEvENKUlvE2_clEvEUlbmmE_St5arrayIPcLm4EEEEviT0_T1_.num_agpr, 0
	.set _ZN2at6native29vectorized_elementwise_kernelILi4EZZZNS0_12_GLOBAL__N_117where_kernel_implERNS_14TensorIteratorEENKUlvE_clEvENKUlvE2_clEvEUlbmmE_St5arrayIPcLm4EEEEviT0_T1_.numbered_sgpr, 22
	.set _ZN2at6native29vectorized_elementwise_kernelILi4EZZZNS0_12_GLOBAL__N_117where_kernel_implERNS_14TensorIteratorEENKUlvE_clEvENKUlvE2_clEvEUlbmmE_St5arrayIPcLm4EEEEviT0_T1_.num_named_barrier, 0
	.set _ZN2at6native29vectorized_elementwise_kernelILi4EZZZNS0_12_GLOBAL__N_117where_kernel_implERNS_14TensorIteratorEENKUlvE_clEvENKUlvE2_clEvEUlbmmE_St5arrayIPcLm4EEEEviT0_T1_.private_seg_size, 0
	.set _ZN2at6native29vectorized_elementwise_kernelILi4EZZZNS0_12_GLOBAL__N_117where_kernel_implERNS_14TensorIteratorEENKUlvE_clEvENKUlvE2_clEvEUlbmmE_St5arrayIPcLm4EEEEviT0_T1_.uses_vcc, 1
	.set _ZN2at6native29vectorized_elementwise_kernelILi4EZZZNS0_12_GLOBAL__N_117where_kernel_implERNS_14TensorIteratorEENKUlvE_clEvENKUlvE2_clEvEUlbmmE_St5arrayIPcLm4EEEEviT0_T1_.uses_flat_scratch, 0
	.set _ZN2at6native29vectorized_elementwise_kernelILi4EZZZNS0_12_GLOBAL__N_117where_kernel_implERNS_14TensorIteratorEENKUlvE_clEvENKUlvE2_clEvEUlbmmE_St5arrayIPcLm4EEEEviT0_T1_.has_dyn_sized_stack, 0
	.set _ZN2at6native29vectorized_elementwise_kernelILi4EZZZNS0_12_GLOBAL__N_117where_kernel_implERNS_14TensorIteratorEENKUlvE_clEvENKUlvE2_clEvEUlbmmE_St5arrayIPcLm4EEEEviT0_T1_.has_recursion, 0
	.set _ZN2at6native29vectorized_elementwise_kernelILi4EZZZNS0_12_GLOBAL__N_117where_kernel_implERNS_14TensorIteratorEENKUlvE_clEvENKUlvE2_clEvEUlbmmE_St5arrayIPcLm4EEEEviT0_T1_.has_indirect_call, 0
	.section	.AMDGPU.csdata,"",@progbits
; Kernel info:
; codeLenInByte = 4004
; TotalNumSgprs: 24
; NumVgprs: 60
; ScratchSize: 0
; MemoryBound: 0
; FloatMode: 240
; IeeeMode: 1
; LDSByteSize: 0 bytes/workgroup (compile time only)
; SGPRBlocks: 0
; VGPRBlocks: 3
; NumSGPRsForWavesPerEU: 24
; NumVGPRsForWavesPerEU: 60
; NamedBarCnt: 0
; Occupancy: 16
; WaveLimiterHint : 1
; COMPUTE_PGM_RSRC2:SCRATCH_EN: 0
; COMPUTE_PGM_RSRC2:USER_SGPR: 2
; COMPUTE_PGM_RSRC2:TRAP_HANDLER: 0
; COMPUTE_PGM_RSRC2:TGID_X_EN: 1
; COMPUTE_PGM_RSRC2:TGID_Y_EN: 0
; COMPUTE_PGM_RSRC2:TGID_Z_EN: 0
; COMPUTE_PGM_RSRC2:TIDIG_COMP_CNT: 0
	.section	.text._ZN2at6native29vectorized_elementwise_kernelILi2EZZZNS0_12_GLOBAL__N_117where_kernel_implERNS_14TensorIteratorEENKUlvE_clEvENKUlvE2_clEvEUlbmmE_St5arrayIPcLm4EEEEviT0_T1_,"axG",@progbits,_ZN2at6native29vectorized_elementwise_kernelILi2EZZZNS0_12_GLOBAL__N_117where_kernel_implERNS_14TensorIteratorEENKUlvE_clEvENKUlvE2_clEvEUlbmmE_St5arrayIPcLm4EEEEviT0_T1_,comdat
	.globl	_ZN2at6native29vectorized_elementwise_kernelILi2EZZZNS0_12_GLOBAL__N_117where_kernel_implERNS_14TensorIteratorEENKUlvE_clEvENKUlvE2_clEvEUlbmmE_St5arrayIPcLm4EEEEviT0_T1_ ; -- Begin function _ZN2at6native29vectorized_elementwise_kernelILi2EZZZNS0_12_GLOBAL__N_117where_kernel_implERNS_14TensorIteratorEENKUlvE_clEvENKUlvE2_clEvEUlbmmE_St5arrayIPcLm4EEEEviT0_T1_
	.p2align	8
	.type	_ZN2at6native29vectorized_elementwise_kernelILi2EZZZNS0_12_GLOBAL__N_117where_kernel_implERNS_14TensorIteratorEENKUlvE_clEvENKUlvE2_clEvEUlbmmE_St5arrayIPcLm4EEEEviT0_T1_,@function
_ZN2at6native29vectorized_elementwise_kernelILi2EZZZNS0_12_GLOBAL__N_117where_kernel_implERNS_14TensorIteratorEENKUlvE_clEvENKUlvE2_clEvEUlbmmE_St5arrayIPcLm4EEEEviT0_T1_: ; @_ZN2at6native29vectorized_elementwise_kernelILi2EZZZNS0_12_GLOBAL__N_117where_kernel_implERNS_14TensorIteratorEENKUlvE_clEvENKUlvE2_clEvEUlbmmE_St5arrayIPcLm4EEEEviT0_T1_
; %bb.0:
	s_clause 0x1
	s_load_b32 s2, s[0:1], 0x0
	s_load_b256 s[4:11], s[0:1], 0x8
	s_wait_xcnt 0x0
	s_bfe_u32 s0, ttmp6, 0x4000c
	s_and_b32 s1, ttmp6, 15
	s_add_co_i32 s0, s0, 1
	s_getreg_b32 s3, hwreg(HW_REG_IB_STS2, 6, 4)
	s_mul_i32 s0, ttmp9, s0
	s_mov_b32 s13, -1
	s_add_co_i32 s1, s1, s0
	s_cmp_eq_u32 s3, 0
	s_cselect_b32 s0, ttmp9, s1
	s_delay_alu instid0(SALU_CYCLE_1) | instskip(SKIP_2) | instid1(SALU_CYCLE_1)
	s_lshl_b32 s12, s0, 12
	s_wait_kmcnt 0x0
	s_sub_co_i32 s3, s2, s12
	s_cmp_gt_i32 s3, 0xfff
	s_cbranch_scc0 .LBB23_2
; %bb.1:
	s_ashr_i32 s13, s12, 31
	s_delay_alu instid0(SALU_CYCLE_1)
	s_add_nc_u64 s[0:1], s[6:7], s[12:13]
	s_lshl_b64 s[14:15], s[12:13], 3
	s_clause 0x2
	global_load_u16 v1, v0, s[0:1] scale_offset
	global_load_u16 v50, v0, s[0:1] offset:512 scale_offset
	global_load_u16 v51, v0, s[0:1] offset:1024 scale_offset
	s_add_nc_u64 s[16:17], s[10:11], s[14:15]
	s_add_nc_u64 s[18:19], s[8:9], s[14:15]
	s_clause 0x10
	global_load_b128 v[2:5], v0, s[16:17] scale_offset
	global_load_b128 v[6:9], v0, s[18:19] scale_offset
	global_load_b128 v[10:13], v0, s[18:19] offset:4096 scale_offset
	global_load_b128 v[14:17], v0, s[16:17] offset:4096 scale_offset
	global_load_u16 v52, v0, s[0:1] offset:1536 scale_offset
	global_load_b128 v[18:21], v0, s[16:17] offset:8192 scale_offset
	global_load_b128 v[22:25], v0, s[18:19] offset:8192 scale_offset
	;; [unrolled: 1-line block ×4, first 2 shown]
	global_load_u16 v53, v0, s[0:1] offset:2048 scale_offset
	global_load_u16 v54, v0, s[0:1] offset:2560 scale_offset
	;; [unrolled: 1-line block ×4, first 2 shown]
	global_load_b128 v[34:37], v0, s[18:19] offset:16384 scale_offset
	global_load_b128 v[38:41], v0, s[18:19] offset:20480 scale_offset
	; meta instruction
	global_load_b128 v[42:45], v0, s[18:19] offset:24576 scale_offset
	global_load_b128 v[46:49], v0, s[18:19] offset:28672 scale_offset
	s_add_nc_u64 s[14:15], s[4:5], s[14:15]
	s_mov_b32 s13, 0
	s_wait_loadcnt 0x13
	v_and_b32_e32 v57, 0xff, v1
	s_wait_loadcnt 0x12
	v_and_b32_e32 v58, 0xff, v50
	v_cmp_lt_u16_e32 vcc_lo, 0xff, v1
	s_wait_loadcnt 0x11
	v_and_b32_e32 v1, 0xff, v51
	s_wait_xcnt 0x4
	v_cmp_lt_u16_e64 s0, 0xff, v50
	v_cmp_eq_u16_e64 s1, 0, v57
	v_cmp_eq_u16_e64 s2, 0, v58
	s_wait_loadcnt 0xf
	v_dual_cndmask_b32 v5, v5, v9 :: v_dual_cndmask_b32 v4, v4, v8
	s_wait_loadcnt 0xc
	v_and_b32_e32 v50, 0xff, v52
	v_dual_cndmask_b32 v3, v7, v3, s1 :: v_dual_cndmask_b32 v2, v6, v2, s1
	v_cmp_lt_u16_e32 vcc_lo, 0xff, v51
	v_cmp_eq_u16_e64 s1, 0, v1
	v_dual_cndmask_b32 v9, v17, v13, s0 :: v_dual_cndmask_b32 v7, v11, v15, s2
	v_dual_cndmask_b32 v8, v16, v12, s0 :: v_dual_cndmask_b32 v6, v10, v14, s2
	s_clause 0x1
	global_load_b128 v[10:13], v0, s[16:17] offset:16384 scale_offset
	global_load_b128 v[14:17], v0, s[16:17] offset:20480 scale_offset
	v_cmp_lt_u16_e64 s0, 0xff, v52
	s_wait_loadcnt 0xc
	v_dual_cndmask_b32 v21, v21, v25, vcc_lo :: v_dual_cndmask_b32 v19, v23, v19, s1
	v_cmp_eq_u16_e64 s2, 0, v50
	v_dual_cndmask_b32 v20, v20, v24, vcc_lo :: v_dual_cndmask_b32 v18, v22, v18, s1
	global_load_b128 v[22:25], v0, s[16:17] offset:24576 scale_offset
	s_wait_loadcnt 0xb
	v_dual_cndmask_b32 v29, v33, v29, s0 :: v_dual_cndmask_b32 v27, v27, v31, s2
	v_dual_cndmask_b32 v28, v32, v28, s0 :: v_dual_cndmask_b32 v26, v26, v30, s2
	global_load_b128 v[30:33], v0, s[16:17] offset:28672 scale_offset
	s_wait_loadcnt 0xb
	v_and_b32_e32 v1, 0xff, v53
	v_cmp_lt_u16_e32 vcc_lo, 0xff, v53
	s_wait_loadcnt 0xa
	v_and_b32_e32 v50, 0xff, v54
	s_wait_loadcnt 0x9
	v_and_b32_e32 v51, 0xff, v55
	s_wait_loadcnt 0x8
	v_cmp_lt_u16_e64 s1, 0xff, v56
	v_cmp_eq_u16_e64 s0, 0, v1
	v_and_b32_e32 v1, 0xff, v56
	v_cmp_eq_u16_e64 s2, 0, v50
	s_wait_loadcnt 0x3
	s_delay_alu instid0(VALU_DEP_3)
	v_dual_cndmask_b32 v13, v13, v37, vcc_lo :: v_dual_cndmask_b32 v11, v35, v11, s0
	v_dual_cndmask_b32 v12, v12, v36, vcc_lo :: v_dual_cndmask_b32 v10, v34, v10, s0
	v_cmp_lt_u16_e32 vcc_lo, 0xff, v54
	v_cmp_lt_u16_e64 s0, 0xff, v55
	s_wait_loadcnt 0x2
	v_dual_cndmask_b32 v15, v39, v15, s2 :: v_dual_cndmask_b32 v14, v38, v14, s2
	v_cndmask_b32_e32 v17, v17, v41, vcc_lo
	s_wait_loadcnt 0x1
	v_dual_cndmask_b32 v25, v25, v45, s0 :: v_dual_cndmask_b32 v16, v16, v40, vcc_lo
	v_cmp_eq_u16_e32 vcc_lo, 0, v51
	v_cndmask_b32_e64 v24, v24, v44, s0
	v_cmp_eq_u16_e64 s0, 0, v1
	s_wait_loadcnt 0x0
	v_dual_cndmask_b32 v33, v33, v49, s1 :: v_dual_cndmask_b32 v32, v32, v48, s1
	v_dual_cndmask_b32 v23, v43, v23 :: v_dual_cndmask_b32 v22, v42, v22
	s_delay_alu instid0(VALU_DEP_3)
	v_dual_cndmask_b32 v31, v47, v31, s0 :: v_dual_cndmask_b32 v30, v46, v30, s0
	s_clause 0x7
	global_store_b128 v0, v[2:5], s[14:15] scale_offset
	global_store_b128 v0, v[6:9], s[14:15] offset:4096 scale_offset
	global_store_b128 v0, v[18:21], s[14:15] offset:8192 scale_offset
	;; [unrolled: 1-line block ×7, first 2 shown]
.LBB23_2:
	s_and_not1_b32 vcc_lo, exec_lo, s13
	s_cbranch_vccnz .LBB23_50
; %bb.3:
	s_wait_xcnt 0x7
	v_mov_b64_e32 v[2:3], 0
	v_mov_b64_e32 v[4:5], 0
	v_cmp_gt_i32_e32 vcc_lo, s3, v0
	v_dual_mov_b32 v35, v0 :: v_dual_bitop2_b32 v1, s12, v0 bitop3:0x54
	v_or_b32_e32 v34, 0x100, v0
	s_wait_xcnt 0x0
	s_and_saveexec_b32 s1, vcc_lo
	s_cbranch_execz .LBB23_5
; %bb.4:
	s_clause 0x2
	global_load_u8 v8, v1, s[6:7]
	global_load_b64 v[4:5], v1, s[8:9] scale_offset
	global_load_b64 v[6:7], v1, s[10:11] scale_offset
	v_or_b32_e32 v35, 0x100, v0
	s_wait_loadcnt 0x2
	v_cmp_eq_u16_e64 s0, 0, v8
	s_wait_loadcnt 0x0
	s_delay_alu instid0(VALU_DEP_1)
	v_dual_cndmask_b32 v5, v5, v7, s0 :: v_dual_cndmask_b32 v4, v4, v6, s0
.LBB23_5:
	s_wait_xcnt 0x0
	s_or_b32 exec_lo, exec_lo, s1
	s_delay_alu instid0(SALU_CYCLE_1)
	s_mov_b32 s1, exec_lo
	v_cmpx_gt_i32_e64 s3, v35
	s_cbranch_execz .LBB23_7
; %bb.6:
	v_add_nc_u32_e32 v8, s12, v35
	v_add_nc_u32_e32 v35, 0x100, v35
	s_clause 0x2
	global_load_u8 v9, v8, s[6:7]
	global_load_b64 v[2:3], v8, s[8:9] scale_offset
	global_load_b64 v[6:7], v8, s[10:11] scale_offset
	s_wait_loadcnt 0x2
	v_cmp_eq_u16_e64 s0, 0, v9
	s_wait_loadcnt 0x0
	s_delay_alu instid0(VALU_DEP_1)
	v_dual_cndmask_b32 v3, v3, v7, s0 :: v_dual_cndmask_b32 v2, v2, v6, s0
.LBB23_7:
	s_wait_xcnt 0x0
	s_or_b32 exec_lo, exec_lo, s1
	v_mov_b64_e32 v[6:7], 0
	v_mov_b64_e32 v[8:9], 0
	s_mov_b32 s1, exec_lo
	v_cmpx_gt_i32_e64 s3, v35
	s_cbranch_execz .LBB23_9
; %bb.8:
	v_add_nc_u32_e32 v12, s12, v35
	v_add_nc_u32_e32 v35, 0x100, v35
	s_clause 0x2
	global_load_u8 v13, v12, s[6:7]
	global_load_b64 v[8:9], v12, s[8:9] scale_offset
	global_load_b64 v[10:11], v12, s[10:11] scale_offset
	s_wait_loadcnt 0x2
	v_cmp_eq_u16_e64 s0, 0, v13
	s_wait_loadcnt 0x0
	s_delay_alu instid0(VALU_DEP_1)
	v_dual_cndmask_b32 v9, v9, v11, s0 :: v_dual_cndmask_b32 v8, v8, v10, s0
.LBB23_9:
	s_wait_xcnt 0x0
	s_or_b32 exec_lo, exec_lo, s1
	s_delay_alu instid0(SALU_CYCLE_1)
	s_mov_b32 s1, exec_lo
	v_cmpx_gt_i32_e64 s3, v35
	s_cbranch_execz .LBB23_11
; %bb.10:
	v_add_nc_u32_e32 v12, s12, v35
	v_add_nc_u32_e32 v35, 0x100, v35
	s_clause 0x2
	global_load_u8 v13, v12, s[6:7]
	global_load_b64 v[6:7], v12, s[8:9] scale_offset
	global_load_b64 v[10:11], v12, s[10:11] scale_offset
	s_wait_loadcnt 0x2
	v_cmp_eq_u16_e64 s0, 0, v13
	s_wait_loadcnt 0x0
	s_delay_alu instid0(VALU_DEP_1)
	v_dual_cndmask_b32 v7, v7, v11, s0 :: v_dual_cndmask_b32 v6, v6, v10, s0
.LBB23_11:
	s_wait_xcnt 0x0
	s_or_b32 exec_lo, exec_lo, s1
	v_mov_b64_e32 v[10:11], 0
	v_mov_b64_e32 v[12:13], 0
	s_mov_b32 s1, exec_lo
	v_cmpx_gt_i32_e64 s3, v35
	s_cbranch_execz .LBB23_13
; %bb.12:
	v_add_nc_u32_e32 v16, s12, v35
	v_add_nc_u32_e32 v35, 0x100, v35
	s_clause 0x2
	global_load_u8 v17, v16, s[6:7]
	global_load_b64 v[12:13], v16, s[8:9] scale_offset
	global_load_b64 v[14:15], v16, s[10:11] scale_offset
	s_wait_loadcnt 0x2
	v_cmp_eq_u16_e64 s0, 0, v17
	s_wait_loadcnt 0x0
	s_delay_alu instid0(VALU_DEP_1)
	v_dual_cndmask_b32 v13, v13, v15, s0 :: v_dual_cndmask_b32 v12, v12, v14, s0
.LBB23_13:
	;; [unrolled: 39-line block ×6, first 2 shown]
	s_wait_xcnt 0x0
	s_or_b32 exec_lo, exec_lo, s1
	s_delay_alu instid0(SALU_CYCLE_1)
	s_mov_b32 s1, exec_lo
	v_cmpx_gt_i32_e64 s3, v35
	s_cbranch_execz .LBB23_31
; %bb.30:
	v_add_nc_u32_e32 v32, s12, v35
	v_add_nc_u32_e32 v35, 0x100, v35
	s_clause 0x2
	global_load_u8 v33, v32, s[6:7]
	global_load_b64 v[26:27], v32, s[8:9] scale_offset
	global_load_b64 v[30:31], v32, s[10:11] scale_offset
	s_wait_loadcnt 0x2
	v_cmp_eq_u16_e64 s0, 0, v33
	s_wait_loadcnt 0x0
	s_delay_alu instid0(VALU_DEP_1)
	v_dual_cndmask_b32 v27, v27, v31, s0 :: v_dual_cndmask_b32 v26, v26, v30, s0
.LBB23_31:
	s_wait_xcnt 0x0
	s_or_b32 exec_lo, exec_lo, s1
	v_mov_b64_e32 v[30:31], 0
	v_mov_b64_e32 v[32:33], 0
	s_mov_b32 s1, exec_lo
	v_cmpx_gt_i32_e64 s3, v35
	s_cbranch_execnz .LBB23_51
; %bb.32:
	s_or_b32 exec_lo, exec_lo, s1
	s_delay_alu instid0(SALU_CYCLE_1)
	s_mov_b32 s1, exec_lo
	v_cmpx_gt_i32_e64 s3, v35
	s_cbranch_execnz .LBB23_52
.LBB23_33:
	s_or_b32 exec_lo, exec_lo, s1
	s_and_saveexec_b32 s0, vcc_lo
	s_cbranch_execnz .LBB23_53
.LBB23_34:
	s_or_b32 exec_lo, exec_lo, s0
	s_delay_alu instid0(SALU_CYCLE_1)
	s_mov_b32 s0, exec_lo
	v_cmpx_gt_i32_e64 s3, v0
	s_cbranch_execnz .LBB23_54
.LBB23_35:
	s_or_b32 exec_lo, exec_lo, s0
	s_delay_alu instid0(SALU_CYCLE_1)
	s_mov_b32 s0, exec_lo
	v_cmpx_gt_i32_e64 s3, v0
	s_cbranch_execnz .LBB23_55
.LBB23_36:
	s_or_b32 exec_lo, exec_lo, s0
	s_delay_alu instid0(SALU_CYCLE_1)
	s_mov_b32 s0, exec_lo
	v_cmpx_gt_i32_e64 s3, v0
	s_cbranch_execnz .LBB23_56
.LBB23_37:
	s_or_b32 exec_lo, exec_lo, s0
	s_delay_alu instid0(SALU_CYCLE_1)
	s_mov_b32 s0, exec_lo
	v_cmpx_gt_i32_e64 s3, v0
	s_cbranch_execnz .LBB23_57
.LBB23_38:
	s_or_b32 exec_lo, exec_lo, s0
	s_delay_alu instid0(SALU_CYCLE_1)
	s_mov_b32 s0, exec_lo
	v_cmpx_gt_i32_e64 s3, v0
	s_cbranch_execnz .LBB23_58
.LBB23_39:
	s_or_b32 exec_lo, exec_lo, s0
	s_delay_alu instid0(SALU_CYCLE_1)
	s_mov_b32 s0, exec_lo
	v_cmpx_gt_i32_e64 s3, v0
	s_cbranch_execnz .LBB23_59
.LBB23_40:
	s_or_b32 exec_lo, exec_lo, s0
	s_delay_alu instid0(SALU_CYCLE_1)
	s_mov_b32 s0, exec_lo
	v_cmpx_gt_i32_e64 s3, v0
	s_cbranch_execnz .LBB23_60
.LBB23_41:
	s_or_b32 exec_lo, exec_lo, s0
	s_delay_alu instid0(SALU_CYCLE_1)
	s_mov_b32 s0, exec_lo
	v_cmpx_gt_i32_e64 s3, v0
	s_cbranch_execnz .LBB23_61
.LBB23_42:
	s_or_b32 exec_lo, exec_lo, s0
	s_delay_alu instid0(SALU_CYCLE_1)
	s_mov_b32 s0, exec_lo
	v_cmpx_gt_i32_e64 s3, v0
	s_cbranch_execnz .LBB23_62
.LBB23_43:
	s_or_b32 exec_lo, exec_lo, s0
	s_delay_alu instid0(SALU_CYCLE_1)
	s_mov_b32 s0, exec_lo
	v_cmpx_gt_i32_e64 s3, v0
	s_cbranch_execnz .LBB23_63
.LBB23_44:
	s_or_b32 exec_lo, exec_lo, s0
	s_delay_alu instid0(SALU_CYCLE_1)
	s_mov_b32 s0, exec_lo
	v_cmpx_gt_i32_e64 s3, v0
	s_cbranch_execnz .LBB23_64
.LBB23_45:
	s_or_b32 exec_lo, exec_lo, s0
	s_delay_alu instid0(SALU_CYCLE_1)
	s_mov_b32 s0, exec_lo
	v_cmpx_gt_i32_e64 s3, v0
	s_cbranch_execnz .LBB23_65
.LBB23_46:
	s_or_b32 exec_lo, exec_lo, s0
	s_delay_alu instid0(SALU_CYCLE_1)
	s_mov_b32 s0, exec_lo
	v_cmpx_gt_i32_e64 s3, v0
	s_cbranch_execnz .LBB23_66
.LBB23_47:
	s_or_b32 exec_lo, exec_lo, s0
	s_delay_alu instid0(SALU_CYCLE_1)
	s_mov_b32 s0, exec_lo
	v_cmpx_gt_i32_e64 s3, v0
	s_cbranch_execnz .LBB23_67
.LBB23_48:
	s_or_b32 exec_lo, exec_lo, s0
	s_delay_alu instid0(SALU_CYCLE_1)
	s_mov_b32 s0, exec_lo
	v_cmpx_gt_i32_e64 s3, v0
	s_cbranch_execz .LBB23_50
.LBB23_49:
	v_add_nc_u32_e32 v0, s12, v0
	global_store_b64 v0, v[30:31], s[4:5] scale_offset
.LBB23_50:
	s_endpgm
.LBB23_51:
	v_add_nc_u32_e32 v38, s12, v35
	v_add_nc_u32_e32 v35, 0x100, v35
	s_clause 0x2
	global_load_u8 v39, v38, s[6:7]
	global_load_b64 v[32:33], v38, s[8:9] scale_offset
	global_load_b64 v[36:37], v38, s[10:11] scale_offset
	s_wait_loadcnt 0x2
	v_cmp_eq_u16_e64 s0, 0, v39
	s_wait_loadcnt 0x0
	s_delay_alu instid0(VALU_DEP_1) | instskip(SKIP_2) | instid1(SALU_CYCLE_1)
	v_dual_cndmask_b32 v33, v33, v37, s0 :: v_dual_cndmask_b32 v32, v32, v36, s0
	s_wait_xcnt 0x0
	s_or_b32 exec_lo, exec_lo, s1
	s_mov_b32 s1, exec_lo
	v_cmpx_gt_i32_e64 s3, v35
	s_cbranch_execz .LBB23_33
.LBB23_52:
	v_add_nc_u32_e32 v35, s12, v35
	s_clause 0x2
	global_load_u8 v38, v35, s[6:7]
	global_load_b64 v[30:31], v35, s[8:9] scale_offset
	global_load_b64 v[36:37], v35, s[10:11] scale_offset
	s_wait_loadcnt 0x2
	v_cmp_eq_u16_e64 s0, 0, v38
	s_wait_loadcnt 0x0
	s_delay_alu instid0(VALU_DEP_1)
	v_dual_cndmask_b32 v31, v31, v37, s0 :: v_dual_cndmask_b32 v30, v30, v36, s0
	s_wait_xcnt 0x0
	s_or_b32 exec_lo, exec_lo, s1
	s_and_saveexec_b32 s0, vcc_lo
	s_cbranch_execz .LBB23_34
.LBB23_53:
	v_mov_b32_e32 v0, v34
	global_store_b64 v1, v[4:5], s[4:5] scale_offset
	s_wait_xcnt 0x0
	s_or_b32 exec_lo, exec_lo, s0
	s_delay_alu instid0(SALU_CYCLE_1)
	s_mov_b32 s0, exec_lo
	v_cmpx_gt_i32_e64 s3, v0
	s_cbranch_execz .LBB23_35
.LBB23_54:
	v_add_nc_u32_e32 v1, s12, v0
	v_add_nc_u32_e32 v0, 0x100, v0
	global_store_b64 v1, v[2:3], s[4:5] scale_offset
	s_wait_xcnt 0x0
	s_or_b32 exec_lo, exec_lo, s0
	s_delay_alu instid0(SALU_CYCLE_1)
	s_mov_b32 s0, exec_lo
	v_cmpx_gt_i32_e64 s3, v0
	s_cbranch_execz .LBB23_36
.LBB23_55:
	v_add_nc_u32_e32 v1, s12, v0
	v_add_nc_u32_e32 v0, 0x100, v0
	global_store_b64 v1, v[8:9], s[4:5] scale_offset
	s_wait_xcnt 0x0
	s_or_b32 exec_lo, exec_lo, s0
	s_delay_alu instid0(SALU_CYCLE_1)
	s_mov_b32 s0, exec_lo
	v_cmpx_gt_i32_e64 s3, v0
	s_cbranch_execz .LBB23_37
.LBB23_56:
	v_add_nc_u32_e32 v1, s12, v0
	v_add_nc_u32_e32 v0, 0x100, v0
	global_store_b64 v1, v[6:7], s[4:5] scale_offset
	s_wait_xcnt 0x0
	s_or_b32 exec_lo, exec_lo, s0
	s_delay_alu instid0(SALU_CYCLE_1)
	s_mov_b32 s0, exec_lo
	v_cmpx_gt_i32_e64 s3, v0
	s_cbranch_execz .LBB23_38
.LBB23_57:
	v_add_nc_u32_e32 v1, s12, v0
	v_add_nc_u32_e32 v0, 0x100, v0
	global_store_b64 v1, v[12:13], s[4:5] scale_offset
	s_wait_xcnt 0x0
	s_or_b32 exec_lo, exec_lo, s0
	s_delay_alu instid0(SALU_CYCLE_1)
	s_mov_b32 s0, exec_lo
	v_cmpx_gt_i32_e64 s3, v0
	s_cbranch_execz .LBB23_39
.LBB23_58:
	v_add_nc_u32_e32 v1, s12, v0
	v_add_nc_u32_e32 v0, 0x100, v0
	global_store_b64 v1, v[10:11], s[4:5] scale_offset
	s_wait_xcnt 0x0
	s_or_b32 exec_lo, exec_lo, s0
	s_delay_alu instid0(SALU_CYCLE_1)
	s_mov_b32 s0, exec_lo
	v_cmpx_gt_i32_e64 s3, v0
	s_cbranch_execz .LBB23_40
.LBB23_59:
	v_add_nc_u32_e32 v1, s12, v0
	v_add_nc_u32_e32 v0, 0x100, v0
	global_store_b64 v1, v[16:17], s[4:5] scale_offset
	s_wait_xcnt 0x0
	s_or_b32 exec_lo, exec_lo, s0
	s_delay_alu instid0(SALU_CYCLE_1)
	s_mov_b32 s0, exec_lo
	v_cmpx_gt_i32_e64 s3, v0
	s_cbranch_execz .LBB23_41
.LBB23_60:
	v_add_nc_u32_e32 v1, s12, v0
	v_add_nc_u32_e32 v0, 0x100, v0
	global_store_b64 v1, v[14:15], s[4:5] scale_offset
	s_wait_xcnt 0x0
	s_or_b32 exec_lo, exec_lo, s0
	s_delay_alu instid0(SALU_CYCLE_1)
	s_mov_b32 s0, exec_lo
	v_cmpx_gt_i32_e64 s3, v0
	s_cbranch_execz .LBB23_42
.LBB23_61:
	v_add_nc_u32_e32 v1, s12, v0
	v_add_nc_u32_e32 v0, 0x100, v0
	global_store_b64 v1, v[20:21], s[4:5] scale_offset
	s_wait_xcnt 0x0
	s_or_b32 exec_lo, exec_lo, s0
	s_delay_alu instid0(SALU_CYCLE_1)
	s_mov_b32 s0, exec_lo
	v_cmpx_gt_i32_e64 s3, v0
	s_cbranch_execz .LBB23_43
.LBB23_62:
	v_add_nc_u32_e32 v1, s12, v0
	v_add_nc_u32_e32 v0, 0x100, v0
	global_store_b64 v1, v[18:19], s[4:5] scale_offset
	s_wait_xcnt 0x0
	s_or_b32 exec_lo, exec_lo, s0
	s_delay_alu instid0(SALU_CYCLE_1)
	s_mov_b32 s0, exec_lo
	v_cmpx_gt_i32_e64 s3, v0
	s_cbranch_execz .LBB23_44
.LBB23_63:
	v_add_nc_u32_e32 v1, s12, v0
	v_add_nc_u32_e32 v0, 0x100, v0
	global_store_b64 v1, v[24:25], s[4:5] scale_offset
	s_wait_xcnt 0x0
	s_or_b32 exec_lo, exec_lo, s0
	s_delay_alu instid0(SALU_CYCLE_1)
	s_mov_b32 s0, exec_lo
	v_cmpx_gt_i32_e64 s3, v0
	s_cbranch_execz .LBB23_45
.LBB23_64:
	v_add_nc_u32_e32 v1, s12, v0
	v_add_nc_u32_e32 v0, 0x100, v0
	global_store_b64 v1, v[22:23], s[4:5] scale_offset
	s_wait_xcnt 0x0
	s_or_b32 exec_lo, exec_lo, s0
	s_delay_alu instid0(SALU_CYCLE_1)
	s_mov_b32 s0, exec_lo
	v_cmpx_gt_i32_e64 s3, v0
	s_cbranch_execz .LBB23_46
.LBB23_65:
	v_add_nc_u32_e32 v1, s12, v0
	v_add_nc_u32_e32 v0, 0x100, v0
	global_store_b64 v1, v[28:29], s[4:5] scale_offset
	s_wait_xcnt 0x0
	s_or_b32 exec_lo, exec_lo, s0
	s_delay_alu instid0(SALU_CYCLE_1)
	s_mov_b32 s0, exec_lo
	v_cmpx_gt_i32_e64 s3, v0
	s_cbranch_execz .LBB23_47
.LBB23_66:
	v_add_nc_u32_e32 v1, s12, v0
	v_add_nc_u32_e32 v0, 0x100, v0
	global_store_b64 v1, v[26:27], s[4:5] scale_offset
	s_wait_xcnt 0x0
	s_or_b32 exec_lo, exec_lo, s0
	s_delay_alu instid0(SALU_CYCLE_1)
	s_mov_b32 s0, exec_lo
	v_cmpx_gt_i32_e64 s3, v0
	s_cbranch_execz .LBB23_48
.LBB23_67:
	v_add_nc_u32_e32 v1, s12, v0
	v_add_nc_u32_e32 v0, 0x100, v0
	global_store_b64 v1, v[32:33], s[4:5] scale_offset
	s_wait_xcnt 0x0
	s_or_b32 exec_lo, exec_lo, s0
	s_delay_alu instid0(SALU_CYCLE_1)
	s_mov_b32 s0, exec_lo
	v_cmpx_gt_i32_e64 s3, v0
	s_cbranch_execnz .LBB23_49
	s_branch .LBB23_50
	.section	.rodata,"a",@progbits
	.p2align	6, 0x0
	.amdhsa_kernel _ZN2at6native29vectorized_elementwise_kernelILi2EZZZNS0_12_GLOBAL__N_117where_kernel_implERNS_14TensorIteratorEENKUlvE_clEvENKUlvE2_clEvEUlbmmE_St5arrayIPcLm4EEEEviT0_T1_
		.amdhsa_group_segment_fixed_size 0
		.amdhsa_private_segment_fixed_size 0
		.amdhsa_kernarg_size 40
		.amdhsa_user_sgpr_count 2
		.amdhsa_user_sgpr_dispatch_ptr 0
		.amdhsa_user_sgpr_queue_ptr 0
		.amdhsa_user_sgpr_kernarg_segment_ptr 1
		.amdhsa_user_sgpr_dispatch_id 0
		.amdhsa_user_sgpr_kernarg_preload_length 0
		.amdhsa_user_sgpr_kernarg_preload_offset 0
		.amdhsa_user_sgpr_private_segment_size 0
		.amdhsa_wavefront_size32 1
		.amdhsa_uses_dynamic_stack 0
		.amdhsa_enable_private_segment 0
		.amdhsa_system_sgpr_workgroup_id_x 1
		.amdhsa_system_sgpr_workgroup_id_y 0
		.amdhsa_system_sgpr_workgroup_id_z 0
		.amdhsa_system_sgpr_workgroup_info 0
		.amdhsa_system_vgpr_workitem_id 0
		.amdhsa_next_free_vgpr 59
		.amdhsa_next_free_sgpr 20
		.amdhsa_named_barrier_count 0
		.amdhsa_reserve_vcc 1
		.amdhsa_float_round_mode_32 0
		.amdhsa_float_round_mode_16_64 0
		.amdhsa_float_denorm_mode_32 3
		.amdhsa_float_denorm_mode_16_64 3
		.amdhsa_fp16_overflow 0
		.amdhsa_memory_ordered 1
		.amdhsa_forward_progress 1
		.amdhsa_inst_pref_size 32
		.amdhsa_round_robin_scheduling 0
		.amdhsa_exception_fp_ieee_invalid_op 0
		.amdhsa_exception_fp_denorm_src 0
		.amdhsa_exception_fp_ieee_div_zero 0
		.amdhsa_exception_fp_ieee_overflow 0
		.amdhsa_exception_fp_ieee_underflow 0
		.amdhsa_exception_fp_ieee_inexact 0
		.amdhsa_exception_int_div_zero 0
	.end_amdhsa_kernel
	.section	.text._ZN2at6native29vectorized_elementwise_kernelILi2EZZZNS0_12_GLOBAL__N_117where_kernel_implERNS_14TensorIteratorEENKUlvE_clEvENKUlvE2_clEvEUlbmmE_St5arrayIPcLm4EEEEviT0_T1_,"axG",@progbits,_ZN2at6native29vectorized_elementwise_kernelILi2EZZZNS0_12_GLOBAL__N_117where_kernel_implERNS_14TensorIteratorEENKUlvE_clEvENKUlvE2_clEvEUlbmmE_St5arrayIPcLm4EEEEviT0_T1_,comdat
.Lfunc_end23:
	.size	_ZN2at6native29vectorized_elementwise_kernelILi2EZZZNS0_12_GLOBAL__N_117where_kernel_implERNS_14TensorIteratorEENKUlvE_clEvENKUlvE2_clEvEUlbmmE_St5arrayIPcLm4EEEEviT0_T1_, .Lfunc_end23-_ZN2at6native29vectorized_elementwise_kernelILi2EZZZNS0_12_GLOBAL__N_117where_kernel_implERNS_14TensorIteratorEENKUlvE_clEvENKUlvE2_clEvEUlbmmE_St5arrayIPcLm4EEEEviT0_T1_
                                        ; -- End function
	.set _ZN2at6native29vectorized_elementwise_kernelILi2EZZZNS0_12_GLOBAL__N_117where_kernel_implERNS_14TensorIteratorEENKUlvE_clEvENKUlvE2_clEvEUlbmmE_St5arrayIPcLm4EEEEviT0_T1_.num_vgpr, 59
	.set _ZN2at6native29vectorized_elementwise_kernelILi2EZZZNS0_12_GLOBAL__N_117where_kernel_implERNS_14TensorIteratorEENKUlvE_clEvENKUlvE2_clEvEUlbmmE_St5arrayIPcLm4EEEEviT0_T1_.num_agpr, 0
	.set _ZN2at6native29vectorized_elementwise_kernelILi2EZZZNS0_12_GLOBAL__N_117where_kernel_implERNS_14TensorIteratorEENKUlvE_clEvENKUlvE2_clEvEUlbmmE_St5arrayIPcLm4EEEEviT0_T1_.numbered_sgpr, 20
	.set _ZN2at6native29vectorized_elementwise_kernelILi2EZZZNS0_12_GLOBAL__N_117where_kernel_implERNS_14TensorIteratorEENKUlvE_clEvENKUlvE2_clEvEUlbmmE_St5arrayIPcLm4EEEEviT0_T1_.num_named_barrier, 0
	.set _ZN2at6native29vectorized_elementwise_kernelILi2EZZZNS0_12_GLOBAL__N_117where_kernel_implERNS_14TensorIteratorEENKUlvE_clEvENKUlvE2_clEvEUlbmmE_St5arrayIPcLm4EEEEviT0_T1_.private_seg_size, 0
	.set _ZN2at6native29vectorized_elementwise_kernelILi2EZZZNS0_12_GLOBAL__N_117where_kernel_implERNS_14TensorIteratorEENKUlvE_clEvENKUlvE2_clEvEUlbmmE_St5arrayIPcLm4EEEEviT0_T1_.uses_vcc, 1
	.set _ZN2at6native29vectorized_elementwise_kernelILi2EZZZNS0_12_GLOBAL__N_117where_kernel_implERNS_14TensorIteratorEENKUlvE_clEvENKUlvE2_clEvEUlbmmE_St5arrayIPcLm4EEEEviT0_T1_.uses_flat_scratch, 0
	.set _ZN2at6native29vectorized_elementwise_kernelILi2EZZZNS0_12_GLOBAL__N_117where_kernel_implERNS_14TensorIteratorEENKUlvE_clEvENKUlvE2_clEvEUlbmmE_St5arrayIPcLm4EEEEviT0_T1_.has_dyn_sized_stack, 0
	.set _ZN2at6native29vectorized_elementwise_kernelILi2EZZZNS0_12_GLOBAL__N_117where_kernel_implERNS_14TensorIteratorEENKUlvE_clEvENKUlvE2_clEvEUlbmmE_St5arrayIPcLm4EEEEviT0_T1_.has_recursion, 0
	.set _ZN2at6native29vectorized_elementwise_kernelILi2EZZZNS0_12_GLOBAL__N_117where_kernel_implERNS_14TensorIteratorEENKUlvE_clEvENKUlvE2_clEvEUlbmmE_St5arrayIPcLm4EEEEviT0_T1_.has_indirect_call, 0
	.section	.AMDGPU.csdata,"",@progbits
; Kernel info:
; codeLenInByte = 4024
; TotalNumSgprs: 22
; NumVgprs: 59
; ScratchSize: 0
; MemoryBound: 0
; FloatMode: 240
; IeeeMode: 1
; LDSByteSize: 0 bytes/workgroup (compile time only)
; SGPRBlocks: 0
; VGPRBlocks: 3
; NumSGPRsForWavesPerEU: 22
; NumVGPRsForWavesPerEU: 59
; NamedBarCnt: 0
; Occupancy: 16
; WaveLimiterHint : 1
; COMPUTE_PGM_RSRC2:SCRATCH_EN: 0
; COMPUTE_PGM_RSRC2:USER_SGPR: 2
; COMPUTE_PGM_RSRC2:TRAP_HANDLER: 0
; COMPUTE_PGM_RSRC2:TGID_X_EN: 1
; COMPUTE_PGM_RSRC2:TGID_Y_EN: 0
; COMPUTE_PGM_RSRC2:TGID_Z_EN: 0
; COMPUTE_PGM_RSRC2:TIDIG_COMP_CNT: 0
	.section	.text._ZN2at6native27unrolled_elementwise_kernelIZZZNS0_12_GLOBAL__N_117where_kernel_implERNS_14TensorIteratorEENKUlvE_clEvENKUlvE2_clEvEUlbmmE_St5arrayIPcLm4EELi4E23TrivialOffsetCalculatorILi3EjESB_ILi1EjENS0_6memory15LoadWithoutCastENSE_16StoreWithoutCastEEEviT_T0_T2_T3_T4_T5_,"axG",@progbits,_ZN2at6native27unrolled_elementwise_kernelIZZZNS0_12_GLOBAL__N_117where_kernel_implERNS_14TensorIteratorEENKUlvE_clEvENKUlvE2_clEvEUlbmmE_St5arrayIPcLm4EELi4E23TrivialOffsetCalculatorILi3EjESB_ILi1EjENS0_6memory15LoadWithoutCastENSE_16StoreWithoutCastEEEviT_T0_T2_T3_T4_T5_,comdat
	.globl	_ZN2at6native27unrolled_elementwise_kernelIZZZNS0_12_GLOBAL__N_117where_kernel_implERNS_14TensorIteratorEENKUlvE_clEvENKUlvE2_clEvEUlbmmE_St5arrayIPcLm4EELi4E23TrivialOffsetCalculatorILi3EjESB_ILi1EjENS0_6memory15LoadWithoutCastENSE_16StoreWithoutCastEEEviT_T0_T2_T3_T4_T5_ ; -- Begin function _ZN2at6native27unrolled_elementwise_kernelIZZZNS0_12_GLOBAL__N_117where_kernel_implERNS_14TensorIteratorEENKUlvE_clEvENKUlvE2_clEvEUlbmmE_St5arrayIPcLm4EELi4E23TrivialOffsetCalculatorILi3EjESB_ILi1EjENS0_6memory15LoadWithoutCastENSE_16StoreWithoutCastEEEviT_T0_T2_T3_T4_T5_
	.p2align	8
	.type	_ZN2at6native27unrolled_elementwise_kernelIZZZNS0_12_GLOBAL__N_117where_kernel_implERNS_14TensorIteratorEENKUlvE_clEvENKUlvE2_clEvEUlbmmE_St5arrayIPcLm4EELi4E23TrivialOffsetCalculatorILi3EjESB_ILi1EjENS0_6memory15LoadWithoutCastENSE_16StoreWithoutCastEEEviT_T0_T2_T3_T4_T5_,@function
_ZN2at6native27unrolled_elementwise_kernelIZZZNS0_12_GLOBAL__N_117where_kernel_implERNS_14TensorIteratorEENKUlvE_clEvENKUlvE2_clEvEUlbmmE_St5arrayIPcLm4EELi4E23TrivialOffsetCalculatorILi3EjESB_ILi1EjENS0_6memory15LoadWithoutCastENSE_16StoreWithoutCastEEEviT_T0_T2_T3_T4_T5_: ; @_ZN2at6native27unrolled_elementwise_kernelIZZZNS0_12_GLOBAL__N_117where_kernel_implERNS_14TensorIteratorEENKUlvE_clEvENKUlvE2_clEvEUlbmmE_St5arrayIPcLm4EELi4E23TrivialOffsetCalculatorILi3EjESB_ILi1EjENS0_6memory15LoadWithoutCastENSE_16StoreWithoutCastEEEviT_T0_T2_T3_T4_T5_
; %bb.0:
	s_load_b32 s2, s[0:1], 0x0
	s_bfe_u32 s3, ttmp6, 0x4000c
	s_load_b256 s[4:11], s[0:1], 0x8
	s_add_co_i32 s3, s3, 1
	s_wait_xcnt 0x0
	s_and_b32 s0, ttmp6, 15
	s_mul_i32 s1, ttmp9, s3
	s_getreg_b32 s3, hwreg(HW_REG_IB_STS2, 6, 4)
	s_add_co_i32 s0, s0, s1
	s_cmp_eq_u32 s3, 0
	v_mov_b64_e32 v[2:3], 0
	s_cselect_b32 s0, ttmp9, s0
	v_mov_b64_e32 v[4:5], 0
	s_lshl_b32 s1, s0, 10
	v_or_b32_e32 v1, 0x100, v0
	v_dual_mov_b32 v11, v0 :: v_dual_bitop2_b32 v10, s1, v0 bitop3:0x54
	s_wait_kmcnt 0x0
	s_sub_co_i32 s2, s2, s1
	s_delay_alu instid0(SALU_CYCLE_1)
	v_cmp_gt_i32_e32 vcc_lo, s2, v0
	s_and_saveexec_b32 s3, vcc_lo
	s_cbranch_execz .LBB24_2
; %bb.1:
	s_clause 0x2
	global_load_u8 v8, v10, s[6:7]
	global_load_b64 v[4:5], v10, s[8:9] scale_offset
	global_load_b64 v[6:7], v10, s[10:11] scale_offset
	v_or_b32_e32 v11, 0x100, v0
	s_wait_loadcnt 0x2
	v_cmp_eq_u16_e64 s0, 0, v8
	s_wait_loadcnt 0x0
	s_delay_alu instid0(VALU_DEP_1)
	v_dual_cndmask_b32 v5, v5, v7, s0 :: v_dual_cndmask_b32 v4, v4, v6, s0
.LBB24_2:
	s_or_b32 exec_lo, exec_lo, s3
	s_delay_alu instid0(SALU_CYCLE_1)
	s_mov_b32 s3, exec_lo
	v_cmpx_gt_i32_e64 s2, v11
	s_cbranch_execz .LBB24_4
; %bb.3:
	v_add_nc_u32_e32 v8, s1, v11
	v_add_nc_u32_e32 v11, 0x100, v11
	s_clause 0x2
	global_load_u8 v9, v8, s[6:7]
	global_load_b64 v[2:3], v8, s[8:9] scale_offset
	global_load_b64 v[6:7], v8, s[10:11] scale_offset
	s_wait_loadcnt 0x2
	v_cmp_eq_u16_e64 s0, 0, v9
	s_wait_loadcnt 0x0
	s_delay_alu instid0(VALU_DEP_1)
	v_dual_cndmask_b32 v3, v3, v7, s0 :: v_dual_cndmask_b32 v2, v2, v6, s0
.LBB24_4:
	s_or_b32 exec_lo, exec_lo, s3
	v_mov_b64_e32 v[6:7], 0
	v_mov_b64_e32 v[8:9], 0
	s_mov_b32 s3, exec_lo
	v_cmpx_gt_i32_e64 s2, v11
	s_cbranch_execnz .LBB24_11
; %bb.5:
	s_or_b32 exec_lo, exec_lo, s3
	s_delay_alu instid0(SALU_CYCLE_1)
	s_mov_b32 s3, exec_lo
	v_cmpx_gt_i32_e64 s2, v11
	s_cbranch_execnz .LBB24_12
.LBB24_6:
	s_or_b32 exec_lo, exec_lo, s3
	s_and_saveexec_b32 s0, vcc_lo
	s_cbranch_execnz .LBB24_13
.LBB24_7:
	s_or_b32 exec_lo, exec_lo, s0
	s_delay_alu instid0(SALU_CYCLE_1)
	s_mov_b32 s0, exec_lo
	v_cmpx_gt_i32_e64 s2, v0
	s_cbranch_execnz .LBB24_14
.LBB24_8:
	s_or_b32 exec_lo, exec_lo, s0
	s_delay_alu instid0(SALU_CYCLE_1)
	s_mov_b32 s0, exec_lo
	v_cmpx_gt_i32_e64 s2, v0
	s_cbranch_execnz .LBB24_15
.LBB24_9:
	s_or_b32 exec_lo, exec_lo, s0
	s_delay_alu instid0(SALU_CYCLE_1)
	s_mov_b32 s0, exec_lo
	v_cmpx_gt_i32_e64 s2, v0
	s_cbranch_execnz .LBB24_16
.LBB24_10:
	s_endpgm
.LBB24_11:
	v_add_nc_u32_e32 v14, s1, v11
	v_add_nc_u32_e32 v11, 0x100, v11
	s_clause 0x2
	global_load_u8 v15, v14, s[6:7]
	global_load_b64 v[8:9], v14, s[8:9] scale_offset
	global_load_b64 v[12:13], v14, s[10:11] scale_offset
	s_wait_loadcnt 0x2
	v_cmp_eq_u16_e64 s0, 0, v15
	s_wait_loadcnt 0x0
	s_delay_alu instid0(VALU_DEP_1) | instskip(SKIP_1) | instid1(SALU_CYCLE_1)
	v_dual_cndmask_b32 v9, v9, v13, s0 :: v_dual_cndmask_b32 v8, v8, v12, s0
	s_or_b32 exec_lo, exec_lo, s3
	s_mov_b32 s3, exec_lo
	v_cmpx_gt_i32_e64 s2, v11
	s_cbranch_execz .LBB24_6
.LBB24_12:
	v_add_nc_u32_e32 v11, s1, v11
	s_clause 0x2
	global_load_u8 v14, v11, s[6:7]
	global_load_b64 v[6:7], v11, s[8:9] scale_offset
	global_load_b64 v[12:13], v11, s[10:11] scale_offset
	s_wait_loadcnt 0x2
	v_cmp_eq_u16_e64 s0, 0, v14
	s_wait_loadcnt 0x0
	s_delay_alu instid0(VALU_DEP_1)
	v_dual_cndmask_b32 v7, v7, v13, s0 :: v_dual_cndmask_b32 v6, v6, v12, s0
	s_or_b32 exec_lo, exec_lo, s3
	s_and_saveexec_b32 s0, vcc_lo
	s_cbranch_execz .LBB24_7
.LBB24_13:
	v_mov_b32_e32 v0, v1
	global_store_b64 v10, v[4:5], s[4:5] scale_offset
	s_wait_xcnt 0x0
	s_or_b32 exec_lo, exec_lo, s0
	s_delay_alu instid0(SALU_CYCLE_1)
	s_mov_b32 s0, exec_lo
	v_cmpx_gt_i32_e64 s2, v0
	s_cbranch_execz .LBB24_8
.LBB24_14:
	v_add_nc_u32_e32 v1, 0x100, v0
	s_delay_alu instid0(VALU_DEP_1) | instskip(SKIP_3) | instid1(SALU_CYCLE_1)
	v_dual_add_nc_u32 v4, s1, v0 :: v_dual_mov_b32 v0, v1
	global_store_b64 v4, v[2:3], s[4:5] scale_offset
	s_wait_xcnt 0x0
	s_or_b32 exec_lo, exec_lo, s0
	s_mov_b32 s0, exec_lo
	v_cmpx_gt_i32_e64 s2, v0
	s_cbranch_execz .LBB24_9
.LBB24_15:
	v_add_nc_u32_e32 v1, 0x100, v0
	s_delay_alu instid0(VALU_DEP_1) | instskip(SKIP_3) | instid1(SALU_CYCLE_1)
	v_dual_add_nc_u32 v2, s1, v0 :: v_dual_mov_b32 v0, v1
	global_store_b64 v2, v[8:9], s[4:5] scale_offset
	s_wait_xcnt 0x0
	s_or_b32 exec_lo, exec_lo, s0
	s_mov_b32 s0, exec_lo
	v_cmpx_gt_i32_e64 s2, v0
	s_cbranch_execz .LBB24_10
.LBB24_16:
	v_add_nc_u32_e32 v0, s1, v0
	global_store_b64 v0, v[6:7], s[4:5] scale_offset
	s_endpgm
	.section	.rodata,"a",@progbits
	.p2align	6, 0x0
	.amdhsa_kernel _ZN2at6native27unrolled_elementwise_kernelIZZZNS0_12_GLOBAL__N_117where_kernel_implERNS_14TensorIteratorEENKUlvE_clEvENKUlvE2_clEvEUlbmmE_St5arrayIPcLm4EELi4E23TrivialOffsetCalculatorILi3EjESB_ILi1EjENS0_6memory15LoadWithoutCastENSE_16StoreWithoutCastEEEviT_T0_T2_T3_T4_T5_
		.amdhsa_group_segment_fixed_size 0
		.amdhsa_private_segment_fixed_size 0
		.amdhsa_kernarg_size 44
		.amdhsa_user_sgpr_count 2
		.amdhsa_user_sgpr_dispatch_ptr 0
		.amdhsa_user_sgpr_queue_ptr 0
		.amdhsa_user_sgpr_kernarg_segment_ptr 1
		.amdhsa_user_sgpr_dispatch_id 0
		.amdhsa_user_sgpr_kernarg_preload_length 0
		.amdhsa_user_sgpr_kernarg_preload_offset 0
		.amdhsa_user_sgpr_private_segment_size 0
		.amdhsa_wavefront_size32 1
		.amdhsa_uses_dynamic_stack 0
		.amdhsa_enable_private_segment 0
		.amdhsa_system_sgpr_workgroup_id_x 1
		.amdhsa_system_sgpr_workgroup_id_y 0
		.amdhsa_system_sgpr_workgroup_id_z 0
		.amdhsa_system_sgpr_workgroup_info 0
		.amdhsa_system_vgpr_workitem_id 0
		.amdhsa_next_free_vgpr 16
		.amdhsa_next_free_sgpr 12
		.amdhsa_named_barrier_count 0
		.amdhsa_reserve_vcc 1
		.amdhsa_float_round_mode_32 0
		.amdhsa_float_round_mode_16_64 0
		.amdhsa_float_denorm_mode_32 3
		.amdhsa_float_denorm_mode_16_64 3
		.amdhsa_fp16_overflow 0
		.amdhsa_memory_ordered 1
		.amdhsa_forward_progress 1
		.amdhsa_inst_pref_size 7
		.amdhsa_round_robin_scheduling 0
		.amdhsa_exception_fp_ieee_invalid_op 0
		.amdhsa_exception_fp_denorm_src 0
		.amdhsa_exception_fp_ieee_div_zero 0
		.amdhsa_exception_fp_ieee_overflow 0
		.amdhsa_exception_fp_ieee_underflow 0
		.amdhsa_exception_fp_ieee_inexact 0
		.amdhsa_exception_int_div_zero 0
	.end_amdhsa_kernel
	.section	.text._ZN2at6native27unrolled_elementwise_kernelIZZZNS0_12_GLOBAL__N_117where_kernel_implERNS_14TensorIteratorEENKUlvE_clEvENKUlvE2_clEvEUlbmmE_St5arrayIPcLm4EELi4E23TrivialOffsetCalculatorILi3EjESB_ILi1EjENS0_6memory15LoadWithoutCastENSE_16StoreWithoutCastEEEviT_T0_T2_T3_T4_T5_,"axG",@progbits,_ZN2at6native27unrolled_elementwise_kernelIZZZNS0_12_GLOBAL__N_117where_kernel_implERNS_14TensorIteratorEENKUlvE_clEvENKUlvE2_clEvEUlbmmE_St5arrayIPcLm4EELi4E23TrivialOffsetCalculatorILi3EjESB_ILi1EjENS0_6memory15LoadWithoutCastENSE_16StoreWithoutCastEEEviT_T0_T2_T3_T4_T5_,comdat
.Lfunc_end24:
	.size	_ZN2at6native27unrolled_elementwise_kernelIZZZNS0_12_GLOBAL__N_117where_kernel_implERNS_14TensorIteratorEENKUlvE_clEvENKUlvE2_clEvEUlbmmE_St5arrayIPcLm4EELi4E23TrivialOffsetCalculatorILi3EjESB_ILi1EjENS0_6memory15LoadWithoutCastENSE_16StoreWithoutCastEEEviT_T0_T2_T3_T4_T5_, .Lfunc_end24-_ZN2at6native27unrolled_elementwise_kernelIZZZNS0_12_GLOBAL__N_117where_kernel_implERNS_14TensorIteratorEENKUlvE_clEvENKUlvE2_clEvEUlbmmE_St5arrayIPcLm4EELi4E23TrivialOffsetCalculatorILi3EjESB_ILi1EjENS0_6memory15LoadWithoutCastENSE_16StoreWithoutCastEEEviT_T0_T2_T3_T4_T5_
                                        ; -- End function
	.set _ZN2at6native27unrolled_elementwise_kernelIZZZNS0_12_GLOBAL__N_117where_kernel_implERNS_14TensorIteratorEENKUlvE_clEvENKUlvE2_clEvEUlbmmE_St5arrayIPcLm4EELi4E23TrivialOffsetCalculatorILi3EjESB_ILi1EjENS0_6memory15LoadWithoutCastENSE_16StoreWithoutCastEEEviT_T0_T2_T3_T4_T5_.num_vgpr, 16
	.set _ZN2at6native27unrolled_elementwise_kernelIZZZNS0_12_GLOBAL__N_117where_kernel_implERNS_14TensorIteratorEENKUlvE_clEvENKUlvE2_clEvEUlbmmE_St5arrayIPcLm4EELi4E23TrivialOffsetCalculatorILi3EjESB_ILi1EjENS0_6memory15LoadWithoutCastENSE_16StoreWithoutCastEEEviT_T0_T2_T3_T4_T5_.num_agpr, 0
	.set _ZN2at6native27unrolled_elementwise_kernelIZZZNS0_12_GLOBAL__N_117where_kernel_implERNS_14TensorIteratorEENKUlvE_clEvENKUlvE2_clEvEUlbmmE_St5arrayIPcLm4EELi4E23TrivialOffsetCalculatorILi3EjESB_ILi1EjENS0_6memory15LoadWithoutCastENSE_16StoreWithoutCastEEEviT_T0_T2_T3_T4_T5_.numbered_sgpr, 12
	.set _ZN2at6native27unrolled_elementwise_kernelIZZZNS0_12_GLOBAL__N_117where_kernel_implERNS_14TensorIteratorEENKUlvE_clEvENKUlvE2_clEvEUlbmmE_St5arrayIPcLm4EELi4E23TrivialOffsetCalculatorILi3EjESB_ILi1EjENS0_6memory15LoadWithoutCastENSE_16StoreWithoutCastEEEviT_T0_T2_T3_T4_T5_.num_named_barrier, 0
	.set _ZN2at6native27unrolled_elementwise_kernelIZZZNS0_12_GLOBAL__N_117where_kernel_implERNS_14TensorIteratorEENKUlvE_clEvENKUlvE2_clEvEUlbmmE_St5arrayIPcLm4EELi4E23TrivialOffsetCalculatorILi3EjESB_ILi1EjENS0_6memory15LoadWithoutCastENSE_16StoreWithoutCastEEEviT_T0_T2_T3_T4_T5_.private_seg_size, 0
	.set _ZN2at6native27unrolled_elementwise_kernelIZZZNS0_12_GLOBAL__N_117where_kernel_implERNS_14TensorIteratorEENKUlvE_clEvENKUlvE2_clEvEUlbmmE_St5arrayIPcLm4EELi4E23TrivialOffsetCalculatorILi3EjESB_ILi1EjENS0_6memory15LoadWithoutCastENSE_16StoreWithoutCastEEEviT_T0_T2_T3_T4_T5_.uses_vcc, 1
	.set _ZN2at6native27unrolled_elementwise_kernelIZZZNS0_12_GLOBAL__N_117where_kernel_implERNS_14TensorIteratorEENKUlvE_clEvENKUlvE2_clEvEUlbmmE_St5arrayIPcLm4EELi4E23TrivialOffsetCalculatorILi3EjESB_ILi1EjENS0_6memory15LoadWithoutCastENSE_16StoreWithoutCastEEEviT_T0_T2_T3_T4_T5_.uses_flat_scratch, 0
	.set _ZN2at6native27unrolled_elementwise_kernelIZZZNS0_12_GLOBAL__N_117where_kernel_implERNS_14TensorIteratorEENKUlvE_clEvENKUlvE2_clEvEUlbmmE_St5arrayIPcLm4EELi4E23TrivialOffsetCalculatorILi3EjESB_ILi1EjENS0_6memory15LoadWithoutCastENSE_16StoreWithoutCastEEEviT_T0_T2_T3_T4_T5_.has_dyn_sized_stack, 0
	.set _ZN2at6native27unrolled_elementwise_kernelIZZZNS0_12_GLOBAL__N_117where_kernel_implERNS_14TensorIteratorEENKUlvE_clEvENKUlvE2_clEvEUlbmmE_St5arrayIPcLm4EELi4E23TrivialOffsetCalculatorILi3EjESB_ILi1EjENS0_6memory15LoadWithoutCastENSE_16StoreWithoutCastEEEviT_T0_T2_T3_T4_T5_.has_recursion, 0
	.set _ZN2at6native27unrolled_elementwise_kernelIZZZNS0_12_GLOBAL__N_117where_kernel_implERNS_14TensorIteratorEENKUlvE_clEvENKUlvE2_clEvEUlbmmE_St5arrayIPcLm4EELi4E23TrivialOffsetCalculatorILi3EjESB_ILi1EjENS0_6memory15LoadWithoutCastENSE_16StoreWithoutCastEEEviT_T0_T2_T3_T4_T5_.has_indirect_call, 0
	.section	.AMDGPU.csdata,"",@progbits
; Kernel info:
; codeLenInByte = 816
; TotalNumSgprs: 14
; NumVgprs: 16
; ScratchSize: 0
; MemoryBound: 0
; FloatMode: 240
; IeeeMode: 1
; LDSByteSize: 0 bytes/workgroup (compile time only)
; SGPRBlocks: 0
; VGPRBlocks: 0
; NumSGPRsForWavesPerEU: 14
; NumVGPRsForWavesPerEU: 16
; NamedBarCnt: 0
; Occupancy: 16
; WaveLimiterHint : 0
; COMPUTE_PGM_RSRC2:SCRATCH_EN: 0
; COMPUTE_PGM_RSRC2:USER_SGPR: 2
; COMPUTE_PGM_RSRC2:TRAP_HANDLER: 0
; COMPUTE_PGM_RSRC2:TGID_X_EN: 1
; COMPUTE_PGM_RSRC2:TGID_Y_EN: 0
; COMPUTE_PGM_RSRC2:TGID_Z_EN: 0
; COMPUTE_PGM_RSRC2:TIDIG_COMP_CNT: 0
	.section	.text._ZN2at6native32elementwise_kernel_manual_unrollILi128ELi4EZNS0_22gpu_kernel_impl_nocastIZZZNS0_12_GLOBAL__N_117where_kernel_implERNS_14TensorIteratorEENKUlvE_clEvENKUlvE2_clEvEUlbmmE_EEvRNS_18TensorIteratorBaseERKT_EUlibE_EEviT1_,"axG",@progbits,_ZN2at6native32elementwise_kernel_manual_unrollILi128ELi4EZNS0_22gpu_kernel_impl_nocastIZZZNS0_12_GLOBAL__N_117where_kernel_implERNS_14TensorIteratorEENKUlvE_clEvENKUlvE2_clEvEUlbmmE_EEvRNS_18TensorIteratorBaseERKT_EUlibE_EEviT1_,comdat
	.globl	_ZN2at6native32elementwise_kernel_manual_unrollILi128ELi4EZNS0_22gpu_kernel_impl_nocastIZZZNS0_12_GLOBAL__N_117where_kernel_implERNS_14TensorIteratorEENKUlvE_clEvENKUlvE2_clEvEUlbmmE_EEvRNS_18TensorIteratorBaseERKT_EUlibE_EEviT1_ ; -- Begin function _ZN2at6native32elementwise_kernel_manual_unrollILi128ELi4EZNS0_22gpu_kernel_impl_nocastIZZZNS0_12_GLOBAL__N_117where_kernel_implERNS_14TensorIteratorEENKUlvE_clEvENKUlvE2_clEvEUlbmmE_EEvRNS_18TensorIteratorBaseERKT_EUlibE_EEviT1_
	.p2align	8
	.type	_ZN2at6native32elementwise_kernel_manual_unrollILi128ELi4EZNS0_22gpu_kernel_impl_nocastIZZZNS0_12_GLOBAL__N_117where_kernel_implERNS_14TensorIteratorEENKUlvE_clEvENKUlvE2_clEvEUlbmmE_EEvRNS_18TensorIteratorBaseERKT_EUlibE_EEviT1_,@function
_ZN2at6native32elementwise_kernel_manual_unrollILi128ELi4EZNS0_22gpu_kernel_impl_nocastIZZZNS0_12_GLOBAL__N_117where_kernel_implERNS_14TensorIteratorEENKUlvE_clEvENKUlvE2_clEvEUlbmmE_EEvRNS_18TensorIteratorBaseERKT_EUlibE_EEviT1_: ; @_ZN2at6native32elementwise_kernel_manual_unrollILi128ELi4EZNS0_22gpu_kernel_impl_nocastIZZZNS0_12_GLOBAL__N_117where_kernel_implERNS_14TensorIteratorEENKUlvE_clEvENKUlvE2_clEvEUlbmmE_EEvRNS_18TensorIteratorBaseERKT_EUlibE_EEviT1_
; %bb.0:
	s_clause 0x1
	s_load_b32 s33, s[0:1], 0x8
	s_load_b32 s39, s[0:1], 0x0
	s_bfe_u32 s2, ttmp6, 0x4000c
	s_and_b32 s3, ttmp6, 15
	s_add_co_i32 s2, s2, 1
	s_getreg_b32 s4, hwreg(HW_REG_IB_STS2, 6, 4)
	s_mul_i32 s2, ttmp9, s2
	s_add_nc_u64 s[20:21], s[0:1], 8
	s_add_co_i32 s3, s3, s2
	s_cmp_eq_u32 s4, 0
	s_mov_b32 s25, 0
	s_cselect_b32 s2, ttmp9, s3
	s_wait_xcnt 0x0
	s_mov_b32 s0, exec_lo
	v_lshl_or_b32 v0, s2, 9, v0
	s_delay_alu instid0(VALU_DEP_1) | instskip(SKIP_2) | instid1(SALU_CYCLE_1)
	v_or_b32_e32 v5, 0x180, v0
	s_wait_kmcnt 0x0
	s_add_co_i32 s34, s33, -1
	s_cmp_gt_u32 s34, 1
	s_cselect_b32 s35, -1, 0
	v_cmpx_le_i32_e64 s39, v5
	s_xor_b32 s36, exec_lo, s0
	s_cbranch_execz .LBB25_54
; %bb.1:
	s_clause 0x3
	s_load_b128 s[16:19], s[20:21], 0x4
	s_load_b64 s[22:23], s[20:21], 0x14
	s_load_b256 s[8:15], s[20:21], 0xc4
	s_load_b256 s[0:7], s[20:21], 0x1c8
	s_cmp_lg_u32 s33, 0
	s_mov_b32 s27, s25
	s_cselect_b32 s40, -1, 0
	s_min_u32 s38, s34, 15
	s_cmp_gt_u32 s33, 1
	s_cselect_b32 s37, -1, 0
	s_wait_kmcnt 0x0
	s_mov_b32 s24, s17
	s_mov_b32 s26, s22
	s_mov_b32 s17, exec_lo
	v_cmpx_gt_i32_e64 s39, v0
	s_cbranch_execnz .LBB25_5
; %bb.2:
	s_or_b32 exec_lo, exec_lo, s17
	s_delay_alu instid0(SALU_CYCLE_1)
	s_mov_b32 s17, exec_lo
	v_cmpx_gt_i32_e64 s39, v0
	s_cbranch_execnz .LBB25_17
.LBB25_3:
	s_or_b32 exec_lo, exec_lo, s17
	s_delay_alu instid0(SALU_CYCLE_1)
	s_mov_b32 s17, exec_lo
	v_cmpx_gt_i32_e64 s39, v0
	s_cbranch_execnz .LBB25_29
.LBB25_4:
	s_or_b32 exec_lo, exec_lo, s17
	s_delay_alu instid0(SALU_CYCLE_1)
	s_mov_b32 s17, exec_lo
	v_cmpx_gt_i32_e64 s39, v0
	s_cbranch_execnz .LBB25_41
	s_branch .LBB25_53
.LBB25_5:
	s_and_not1_b32 vcc_lo, exec_lo, s35
	s_cbranch_vccnz .LBB25_11
; %bb.6:
	s_and_not1_b32 vcc_lo, exec_lo, s40
	s_cbranch_vccnz .LBB25_12
; %bb.7:
	v_dual_mov_b32 v6, 0 :: v_dual_mov_b32 v1, v0
	v_dual_mov_b32 v7, 0 :: v_dual_mov_b32 v4, 0
	v_mov_b32_e32 v5, 0
	s_add_co_i32 s22, s38, 1
	s_mov_b64 s[28:29], 0xffffffffffffffe0
	s_and_b32 s22, s22, 30
	s_add_nc_u64 s[28:29], s[20:21], s[28:29]
	s_mov_b64 s[30:31], s[20:21]
.LBB25_8:                               ; =>This Inner Loop Header: Depth=1
	s_clause 0x1
	s_load_b128 s[52:55], s[30:31], 0x4
	s_load_b64 s[42:43], s[30:31], 0x14
	s_load_b256 s[44:51], s[28:29], 0xe4
	s_add_co_i32 s22, s22, -2
	s_wait_xcnt 0x0
	s_add_nc_u64 s[30:31], s[30:31], 24
	s_cmp_lg_u32 s22, 0
	s_add_nc_u64 s[28:29], s[28:29], 32
	s_wait_kmcnt 0x0
	v_mul_hi_u32 v2, s53, v1
	s_delay_alu instid0(VALU_DEP_1) | instskip(NEXT) | instid1(VALU_DEP_1)
	v_add_nc_u32_e32 v2, v1, v2
	v_lshrrev_b32_e32 v2, s54, v2
	s_delay_alu instid0(VALU_DEP_1) | instskip(SKIP_1) | instid1(VALU_DEP_1)
	v_mul_hi_u32 v3, s42, v2
	v_mul_lo_u32 v8, v2, s52
	v_dual_add_nc_u32 v3, v2, v3 :: v_dual_sub_nc_u32 v8, v1, v8
	s_delay_alu instid0(VALU_DEP_1) | instskip(NEXT) | instid1(VALU_DEP_2)
	v_lshrrev_b32_e32 v1, s43, v3
	v_mad_u32 v5, v8, s45, v5
	v_mad_u32 v4, v8, s44, v4
	;; [unrolled: 1-line block ×4, first 2 shown]
	v_mul_lo_u32 v3, v1, s55
	s_delay_alu instid0(VALU_DEP_1) | instskip(NEXT) | instid1(VALU_DEP_1)
	v_sub_nc_u32_e32 v2, v2, v3
	v_mad_u32 v5, v2, s49, v5
	v_mad_u32 v4, v2, s48, v4
	;; [unrolled: 1-line block ×4, first 2 shown]
	s_cbranch_scc1 .LBB25_8
; %bb.9:
	s_bitcmp1_b32 s38, 0
	s_cselect_b32 s22, -1, 0
	s_delay_alu instid0(SALU_CYCLE_1)
	s_and_b32 vcc_lo, exec_lo, s22
	s_cbranch_vccnz .LBB25_13
; %bb.10:
	s_load_b96 s[48:50], s[30:31], 0x4
	s_load_b128 s[44:47], s[28:29], 0xe4
	s_wait_kmcnt 0x0
	v_mul_hi_u32 v2, s49, v1
	s_delay_alu instid0(VALU_DEP_1) | instskip(NEXT) | instid1(VALU_DEP_1)
	v_add_nc_u32_e32 v2, v1, v2
	v_lshrrev_b32_e32 v2, s50, v2
	s_delay_alu instid0(VALU_DEP_1) | instskip(NEXT) | instid1(VALU_DEP_1)
	v_mul_lo_u32 v2, v2, s48
	v_sub_nc_u32_e32 v1, v1, v2
	s_delay_alu instid0(VALU_DEP_1)
	v_mad_u32 v4, v1, s44, v4
	v_mad_u32 v5, v1, s45, v5
	;; [unrolled: 1-line block ×4, first 2 shown]
	s_cbranch_execz .LBB25_14
	s_branch .LBB25_16
.LBB25_11:
                                        ; implicit-def: $vgpr5
                                        ; implicit-def: $vgpr4
                                        ; implicit-def: $vgpr7
                                        ; implicit-def: $vgpr6
	s_branch .LBB25_14
.LBB25_12:
	v_dual_mov_b32 v5, 0 :: v_dual_mov_b32 v4, 0
	v_dual_mov_b32 v7, 0 :: v_dual_mov_b32 v6, 0
.LBB25_13:
	s_cbranch_execnz .LBB25_16
.LBB25_14:
	v_mov_b32_e32 v1, 0
	s_and_not1_b32 vcc_lo, exec_lo, s37
	s_delay_alu instid0(VALU_DEP_1) | instskip(NEXT) | instid1(VALU_DEP_1)
	v_mul_u64_e32 v[2:3], s[24:25], v[0:1]
	v_add_nc_u32_e32 v2, v0, v3
	s_delay_alu instid0(VALU_DEP_1) | instskip(NEXT) | instid1(VALU_DEP_1)
	v_lshrrev_b32_e32 v2, s18, v2
	v_mul_lo_u32 v3, v2, s16
	s_delay_alu instid0(VALU_DEP_1) | instskip(NEXT) | instid1(VALU_DEP_1)
	v_sub_nc_u32_e32 v3, v0, v3
	v_mul_lo_u32 v5, v3, s9
	v_mul_lo_u32 v4, v3, s8
	;; [unrolled: 1-line block ×4, first 2 shown]
	s_cbranch_vccnz .LBB25_16
; %bb.15:
	v_mov_b32_e32 v3, v1
	s_delay_alu instid0(VALU_DEP_1) | instskip(NEXT) | instid1(VALU_DEP_1)
	v_mul_u64_e32 v[8:9], s[26:27], v[2:3]
	v_add_nc_u32_e32 v1, v2, v9
	s_delay_alu instid0(VALU_DEP_1) | instskip(NEXT) | instid1(VALU_DEP_1)
	v_lshrrev_b32_e32 v1, s23, v1
	v_mul_lo_u32 v1, v1, s19
	s_delay_alu instid0(VALU_DEP_1) | instskip(NEXT) | instid1(VALU_DEP_1)
	v_sub_nc_u32_e32 v1, v2, v1
	v_mad_u32 v4, v1, s12, v4
	v_mad_u32 v5, v1, s13, v5
	;; [unrolled: 1-line block ×4, first 2 shown]
.LBB25_16:
	global_load_u8 v1, v5, s[2:3]
	global_load_b64 v[2:3], v6, s[4:5]
	global_load_b64 v[8:9], v7, s[6:7]
	v_add_nc_u32_e32 v0, 0x80, v0
	s_wait_loadcnt 0x2
	v_cmp_eq_u16_e32 vcc_lo, 0, v1
	s_wait_loadcnt 0x0
	v_dual_cndmask_b32 v3, v3, v9 :: v_dual_cndmask_b32 v2, v2, v8
	global_store_b64 v4, v[2:3], s[0:1]
	s_wait_xcnt 0x0
	s_or_b32 exec_lo, exec_lo, s17
	s_delay_alu instid0(SALU_CYCLE_1)
	s_mov_b32 s17, exec_lo
	v_cmpx_gt_i32_e64 s39, v0
	s_cbranch_execz .LBB25_3
.LBB25_17:
	s_and_not1_b32 vcc_lo, exec_lo, s35
	s_cbranch_vccnz .LBB25_23
; %bb.18:
	s_and_not1_b32 vcc_lo, exec_lo, s40
	s_cbranch_vccnz .LBB25_24
; %bb.19:
	v_dual_mov_b32 v6, 0 :: v_dual_mov_b32 v1, v0
	v_dual_mov_b32 v7, 0 :: v_dual_mov_b32 v4, 0
	v_mov_b32_e32 v5, 0
	s_add_co_i32 s22, s38, 1
	s_mov_b64 s[28:29], 0xffffffffffffffe0
	s_and_b32 s22, s22, 30
	s_add_nc_u64 s[28:29], s[20:21], s[28:29]
	s_mov_b64 s[30:31], s[20:21]
.LBB25_20:                              ; =>This Inner Loop Header: Depth=1
	s_clause 0x1
	s_load_b128 s[52:55], s[30:31], 0x4
	s_load_b64 s[42:43], s[30:31], 0x14
	s_load_b256 s[44:51], s[28:29], 0xe4
	s_add_co_i32 s22, s22, -2
	s_wait_xcnt 0x0
	s_add_nc_u64 s[30:31], s[30:31], 24
	s_cmp_eq_u32 s22, 0
	s_add_nc_u64 s[28:29], s[28:29], 32
	s_wait_kmcnt 0x0
	v_mul_hi_u32 v2, s53, v1
	s_delay_alu instid0(VALU_DEP_1) | instskip(NEXT) | instid1(VALU_DEP_1)
	v_add_nc_u32_e32 v2, v1, v2
	v_lshrrev_b32_e32 v2, s54, v2
	s_delay_alu instid0(VALU_DEP_1) | instskip(SKIP_1) | instid1(VALU_DEP_1)
	v_mul_hi_u32 v3, s42, v2
	v_mul_lo_u32 v8, v2, s52
	v_dual_add_nc_u32 v3, v2, v3 :: v_dual_sub_nc_u32 v8, v1, v8
	s_delay_alu instid0(VALU_DEP_1) | instskip(NEXT) | instid1(VALU_DEP_2)
	v_lshrrev_b32_e32 v1, s43, v3
	v_mad_u32 v5, v8, s45, v5
	v_mad_u32 v4, v8, s44, v4
	;; [unrolled: 1-line block ×4, first 2 shown]
	v_mul_lo_u32 v3, v1, s55
	s_delay_alu instid0(VALU_DEP_1) | instskip(NEXT) | instid1(VALU_DEP_1)
	v_sub_nc_u32_e32 v2, v2, v3
	v_mad_u32 v5, v2, s49, v5
	v_mad_u32 v4, v2, s48, v4
	;; [unrolled: 1-line block ×4, first 2 shown]
	s_cbranch_scc0 .LBB25_20
; %bb.21:
	s_bitcmp1_b32 s38, 0
	s_cselect_b32 s22, -1, 0
	s_delay_alu instid0(SALU_CYCLE_1)
	s_and_b32 vcc_lo, exec_lo, s22
	s_cbranch_vccnz .LBB25_25
; %bb.22:
	s_load_b96 s[48:50], s[30:31], 0x4
	s_load_b128 s[44:47], s[28:29], 0xe4
	s_wait_kmcnt 0x0
	v_mul_hi_u32 v2, s49, v1
	s_delay_alu instid0(VALU_DEP_1) | instskip(NEXT) | instid1(VALU_DEP_1)
	v_add_nc_u32_e32 v2, v1, v2
	v_lshrrev_b32_e32 v2, s50, v2
	s_delay_alu instid0(VALU_DEP_1) | instskip(NEXT) | instid1(VALU_DEP_1)
	v_mul_lo_u32 v2, v2, s48
	v_sub_nc_u32_e32 v1, v1, v2
	s_delay_alu instid0(VALU_DEP_1)
	v_mad_u32 v4, v1, s44, v4
	v_mad_u32 v5, v1, s45, v5
	;; [unrolled: 1-line block ×4, first 2 shown]
	s_branch .LBB25_25
.LBB25_23:
                                        ; implicit-def: $vgpr5
                                        ; implicit-def: $vgpr4
                                        ; implicit-def: $vgpr7
                                        ; implicit-def: $vgpr6
	s_branch .LBB25_26
.LBB25_24:
	v_dual_mov_b32 v5, 0 :: v_dual_mov_b32 v4, 0
	v_dual_mov_b32 v7, 0 :: v_dual_mov_b32 v6, 0
.LBB25_25:
	s_cbranch_execnz .LBB25_28
.LBB25_26:
	v_mov_b32_e32 v1, 0
	s_and_not1_b32 vcc_lo, exec_lo, s37
	s_delay_alu instid0(VALU_DEP_1) | instskip(NEXT) | instid1(VALU_DEP_1)
	v_mul_u64_e32 v[2:3], s[24:25], v[0:1]
	v_add_nc_u32_e32 v2, v0, v3
	s_delay_alu instid0(VALU_DEP_1) | instskip(NEXT) | instid1(VALU_DEP_1)
	v_lshrrev_b32_e32 v2, s18, v2
	v_mul_lo_u32 v3, v2, s16
	s_delay_alu instid0(VALU_DEP_1) | instskip(NEXT) | instid1(VALU_DEP_1)
	v_sub_nc_u32_e32 v3, v0, v3
	v_mul_lo_u32 v5, v3, s9
	v_mul_lo_u32 v4, v3, s8
	v_mul_lo_u32 v7, v3, s11
	v_mul_lo_u32 v6, v3, s10
	s_cbranch_vccnz .LBB25_28
; %bb.27:
	v_mov_b32_e32 v3, v1
	s_delay_alu instid0(VALU_DEP_1) | instskip(NEXT) | instid1(VALU_DEP_1)
	v_mul_u64_e32 v[8:9], s[26:27], v[2:3]
	v_add_nc_u32_e32 v1, v2, v9
	s_delay_alu instid0(VALU_DEP_1) | instskip(NEXT) | instid1(VALU_DEP_1)
	v_lshrrev_b32_e32 v1, s23, v1
	v_mul_lo_u32 v1, v1, s19
	s_delay_alu instid0(VALU_DEP_1) | instskip(NEXT) | instid1(VALU_DEP_1)
	v_sub_nc_u32_e32 v1, v2, v1
	v_mad_u32 v4, v1, s12, v4
	v_mad_u32 v5, v1, s13, v5
	;; [unrolled: 1-line block ×4, first 2 shown]
.LBB25_28:
	global_load_u8 v1, v5, s[2:3]
	global_load_b64 v[2:3], v6, s[4:5]
	global_load_b64 v[8:9], v7, s[6:7]
	v_add_nc_u32_e32 v0, 0x80, v0
	s_wait_loadcnt 0x2
	v_cmp_eq_u16_e32 vcc_lo, 0, v1
	s_wait_loadcnt 0x0
	v_dual_cndmask_b32 v3, v3, v9 :: v_dual_cndmask_b32 v2, v2, v8
	global_store_b64 v4, v[2:3], s[0:1]
	s_wait_xcnt 0x0
	s_or_b32 exec_lo, exec_lo, s17
	s_delay_alu instid0(SALU_CYCLE_1)
	s_mov_b32 s17, exec_lo
	v_cmpx_gt_i32_e64 s39, v0
	s_cbranch_execz .LBB25_4
.LBB25_29:
	s_and_not1_b32 vcc_lo, exec_lo, s35
	s_cbranch_vccnz .LBB25_35
; %bb.30:
	s_and_not1_b32 vcc_lo, exec_lo, s40
	s_cbranch_vccnz .LBB25_36
; %bb.31:
	v_dual_mov_b32 v5, 0 :: v_dual_mov_b32 v1, v0
	v_dual_mov_b32 v7, 0 :: v_dual_mov_b32 v4, 0
	v_mov_b32_e32 v6, 0
	s_add_co_i32 s22, s38, 1
	s_mov_b64 s[28:29], 0xffffffffffffffe0
	s_and_b32 s22, s22, 30
	s_add_nc_u64 s[28:29], s[20:21], s[28:29]
	s_mov_b64 s[30:31], s[20:21]
.LBB25_32:                              ; =>This Inner Loop Header: Depth=1
	s_clause 0x1
	s_load_b128 s[52:55], s[30:31], 0x4
	s_load_b64 s[42:43], s[30:31], 0x14
	s_load_b256 s[44:51], s[28:29], 0xe4
	s_add_co_i32 s22, s22, -2
	s_wait_xcnt 0x0
	s_add_nc_u64 s[30:31], s[30:31], 24
	s_cmp_eq_u32 s22, 0
	s_add_nc_u64 s[28:29], s[28:29], 32
	s_wait_kmcnt 0x0
	v_mul_hi_u32 v2, s53, v1
	s_delay_alu instid0(VALU_DEP_1) | instskip(NEXT) | instid1(VALU_DEP_1)
	v_add_nc_u32_e32 v2, v1, v2
	v_lshrrev_b32_e32 v2, s54, v2
	s_delay_alu instid0(VALU_DEP_1) | instskip(SKIP_1) | instid1(VALU_DEP_1)
	v_mul_hi_u32 v3, s42, v2
	v_mul_lo_u32 v8, v2, s52
	v_dual_add_nc_u32 v3, v2, v3 :: v_dual_sub_nc_u32 v8, v1, v8
	s_delay_alu instid0(VALU_DEP_1) | instskip(NEXT) | instid1(VALU_DEP_2)
	v_lshrrev_b32_e32 v1, s43, v3
	v_mad_u32 v6, v8, s45, v6
	v_mad_u32 v4, v8, s44, v4
	;; [unrolled: 1-line block ×4, first 2 shown]
	v_mul_lo_u32 v3, v1, s55
	s_delay_alu instid0(VALU_DEP_1) | instskip(NEXT) | instid1(VALU_DEP_1)
	v_sub_nc_u32_e32 v2, v2, v3
	v_mad_u32 v6, v2, s49, v6
	v_mad_u32 v4, v2, s48, v4
	;; [unrolled: 1-line block ×4, first 2 shown]
	s_cbranch_scc0 .LBB25_32
; %bb.33:
	s_bitcmp1_b32 s38, 0
	s_cselect_b32 s22, -1, 0
	s_delay_alu instid0(SALU_CYCLE_1)
	s_and_b32 vcc_lo, exec_lo, s22
	s_cbranch_vccnz .LBB25_37
; %bb.34:
	s_load_b96 s[48:50], s[30:31], 0x4
	s_load_b128 s[44:47], s[28:29], 0xe4
	s_wait_kmcnt 0x0
	v_mul_hi_u32 v2, s49, v1
	s_delay_alu instid0(VALU_DEP_1) | instskip(NEXT) | instid1(VALU_DEP_1)
	v_add_nc_u32_e32 v2, v1, v2
	v_lshrrev_b32_e32 v2, s50, v2
	s_delay_alu instid0(VALU_DEP_1) | instskip(NEXT) | instid1(VALU_DEP_1)
	v_mul_lo_u32 v2, v2, s48
	v_sub_nc_u32_e32 v1, v1, v2
	s_delay_alu instid0(VALU_DEP_1)
	v_mad_u32 v4, v1, s44, v4
	v_mad_u32 v6, v1, s45, v6
	;; [unrolled: 1-line block ×4, first 2 shown]
	s_branch .LBB25_37
.LBB25_35:
                                        ; implicit-def: $vgpr6
                                        ; implicit-def: $vgpr4
                                        ; implicit-def: $vgpr7
                                        ; implicit-def: $vgpr5
	s_branch .LBB25_38
.LBB25_36:
	v_dual_mov_b32 v6, 0 :: v_dual_mov_b32 v4, 0
	v_dual_mov_b32 v7, 0 :: v_dual_mov_b32 v5, 0
.LBB25_37:
	s_cbranch_execnz .LBB25_40
.LBB25_38:
	v_mov_b32_e32 v1, 0
	s_and_not1_b32 vcc_lo, exec_lo, s37
	s_delay_alu instid0(VALU_DEP_1) | instskip(NEXT) | instid1(VALU_DEP_1)
	v_mul_u64_e32 v[2:3], s[24:25], v[0:1]
	v_add_nc_u32_e32 v2, v0, v3
	s_delay_alu instid0(VALU_DEP_1) | instskip(NEXT) | instid1(VALU_DEP_1)
	v_lshrrev_b32_e32 v2, s18, v2
	v_mul_lo_u32 v3, v2, s16
	s_delay_alu instid0(VALU_DEP_1) | instskip(NEXT) | instid1(VALU_DEP_1)
	v_sub_nc_u32_e32 v3, v0, v3
	v_mul_lo_u32 v6, v3, s9
	v_mul_lo_u32 v4, v3, s8
	;; [unrolled: 1-line block ×4, first 2 shown]
	s_cbranch_vccnz .LBB25_40
; %bb.39:
	v_mov_b32_e32 v3, v1
	s_delay_alu instid0(VALU_DEP_1) | instskip(NEXT) | instid1(VALU_DEP_1)
	v_mul_u64_e32 v[8:9], s[26:27], v[2:3]
	v_add_nc_u32_e32 v1, v2, v9
	s_delay_alu instid0(VALU_DEP_1) | instskip(NEXT) | instid1(VALU_DEP_1)
	v_lshrrev_b32_e32 v1, s23, v1
	v_mul_lo_u32 v1, v1, s19
	s_delay_alu instid0(VALU_DEP_1) | instskip(NEXT) | instid1(VALU_DEP_1)
	v_sub_nc_u32_e32 v1, v2, v1
	v_mad_u32 v4, v1, s12, v4
	v_mad_u32 v6, v1, s13, v6
	;; [unrolled: 1-line block ×4, first 2 shown]
.LBB25_40:
	global_load_u8 v1, v6, s[2:3]
	global_load_b64 v[2:3], v5, s[4:5]
	global_load_b64 v[8:9], v7, s[6:7]
	v_add_nc_u32_e32 v0, 0x80, v0
	s_wait_loadcnt 0x2
	v_cmp_eq_u16_e32 vcc_lo, 0, v1
	s_wait_loadcnt 0x0
	v_dual_cndmask_b32 v3, v3, v9 :: v_dual_cndmask_b32 v2, v2, v8
	global_store_b64 v4, v[2:3], s[0:1]
	s_wait_xcnt 0x0
	s_or_b32 exec_lo, exec_lo, s17
	s_delay_alu instid0(SALU_CYCLE_1)
	s_mov_b32 s17, exec_lo
	v_cmpx_gt_i32_e64 s39, v0
	s_cbranch_execz .LBB25_53
.LBB25_41:
	s_and_not1_b32 vcc_lo, exec_lo, s35
	s_cbranch_vccnz .LBB25_47
; %bb.42:
	s_and_not1_b32 vcc_lo, exec_lo, s40
	s_cbranch_vccnz .LBB25_48
; %bb.43:
	v_dual_mov_b32 v5, 0 :: v_dual_mov_b32 v1, v0
	v_dual_mov_b32 v7, 0 :: v_dual_mov_b32 v4, 0
	v_mov_b32_e32 v6, 0
	s_add_co_i32 s22, s38, 1
	s_mov_b64 s[28:29], 0xffffffffffffffe0
	s_and_b32 s22, s22, 30
	s_add_nc_u64 s[28:29], s[20:21], s[28:29]
	s_mov_b64 s[30:31], s[20:21]
.LBB25_44:                              ; =>This Inner Loop Header: Depth=1
	s_clause 0x1
	s_load_b128 s[48:51], s[30:31], 0x4
	s_load_b64 s[52:53], s[30:31], 0x14
	s_load_b256 s[40:47], s[28:29], 0xe4
	s_add_co_i32 s22, s22, -2
	s_wait_xcnt 0x0
	s_add_nc_u64 s[30:31], s[30:31], 24
	s_cmp_eq_u32 s22, 0
	s_add_nc_u64 s[28:29], s[28:29], 32
	s_wait_kmcnt 0x0
	v_mul_hi_u32 v2, s49, v1
	s_delay_alu instid0(VALU_DEP_1) | instskip(NEXT) | instid1(VALU_DEP_1)
	v_add_nc_u32_e32 v2, v1, v2
	v_lshrrev_b32_e32 v2, s50, v2
	s_delay_alu instid0(VALU_DEP_1) | instskip(SKIP_1) | instid1(VALU_DEP_1)
	v_mul_hi_u32 v3, s52, v2
	v_mul_lo_u32 v8, v2, s48
	v_dual_add_nc_u32 v3, v2, v3 :: v_dual_sub_nc_u32 v8, v1, v8
	s_delay_alu instid0(VALU_DEP_1) | instskip(NEXT) | instid1(VALU_DEP_2)
	v_lshrrev_b32_e32 v1, s53, v3
	v_mad_u32 v6, v8, s41, v6
	v_mad_u32 v4, v8, s40, v4
	;; [unrolled: 1-line block ×4, first 2 shown]
	v_mul_lo_u32 v3, v1, s51
	s_delay_alu instid0(VALU_DEP_1) | instskip(NEXT) | instid1(VALU_DEP_1)
	v_sub_nc_u32_e32 v2, v2, v3
	v_mad_u32 v6, v2, s45, v6
	v_mad_u32 v4, v2, s44, v4
	;; [unrolled: 1-line block ×4, first 2 shown]
	s_cbranch_scc0 .LBB25_44
; %bb.45:
	s_bitcmp1_b32 s38, 0
	s_cselect_b32 s22, -1, 0
	s_delay_alu instid0(SALU_CYCLE_1)
	s_and_b32 vcc_lo, exec_lo, s22
	s_cbranch_vccnz .LBB25_49
; %bb.46:
	s_load_b96 s[44:46], s[30:31], 0x4
	s_load_b128 s[40:43], s[28:29], 0xe4
	s_wait_kmcnt 0x0
	v_mul_hi_u32 v2, s45, v1
	s_delay_alu instid0(VALU_DEP_1) | instskip(NEXT) | instid1(VALU_DEP_1)
	v_add_nc_u32_e32 v2, v1, v2
	v_lshrrev_b32_e32 v2, s46, v2
	s_delay_alu instid0(VALU_DEP_1) | instskip(NEXT) | instid1(VALU_DEP_1)
	v_mul_lo_u32 v2, v2, s44
	v_sub_nc_u32_e32 v1, v1, v2
	s_delay_alu instid0(VALU_DEP_1)
	v_mad_u32 v4, v1, s40, v4
	v_mad_u32 v6, v1, s41, v6
	;; [unrolled: 1-line block ×4, first 2 shown]
	s_branch .LBB25_49
.LBB25_47:
                                        ; implicit-def: $vgpr6
                                        ; implicit-def: $vgpr4
                                        ; implicit-def: $vgpr7
                                        ; implicit-def: $vgpr5
	s_branch .LBB25_50
.LBB25_48:
	v_dual_mov_b32 v6, 0 :: v_dual_mov_b32 v4, 0
	v_dual_mov_b32 v7, 0 :: v_dual_mov_b32 v5, 0
.LBB25_49:
	s_cbranch_execnz .LBB25_52
.LBB25_50:
	v_mov_b32_e32 v1, 0
	s_and_not1_b32 vcc_lo, exec_lo, s37
	s_delay_alu instid0(VALU_DEP_1) | instskip(NEXT) | instid1(VALU_DEP_1)
	v_mul_u64_e32 v[2:3], s[24:25], v[0:1]
	v_add_nc_u32_e32 v2, v0, v3
	s_delay_alu instid0(VALU_DEP_1) | instskip(NEXT) | instid1(VALU_DEP_1)
	v_lshrrev_b32_e32 v2, s18, v2
	v_mul_lo_u32 v3, v2, s16
	s_delay_alu instid0(VALU_DEP_1) | instskip(NEXT) | instid1(VALU_DEP_1)
	v_sub_nc_u32_e32 v0, v0, v3
	v_mul_lo_u32 v6, v0, s9
	v_mul_lo_u32 v4, v0, s8
	;; [unrolled: 1-line block ×4, first 2 shown]
	s_cbranch_vccnz .LBB25_52
; %bb.51:
	v_mov_b32_e32 v3, v1
	s_delay_alu instid0(VALU_DEP_1) | instskip(NEXT) | instid1(VALU_DEP_1)
	v_mul_u64_e32 v[0:1], s[26:27], v[2:3]
	v_add_nc_u32_e32 v0, v2, v1
	s_delay_alu instid0(VALU_DEP_1) | instskip(NEXT) | instid1(VALU_DEP_1)
	v_lshrrev_b32_e32 v0, s23, v0
	v_mul_lo_u32 v0, v0, s19
	s_delay_alu instid0(VALU_DEP_1) | instskip(NEXT) | instid1(VALU_DEP_1)
	v_sub_nc_u32_e32 v0, v2, v0
	v_mad_u32 v4, v0, s12, v4
	v_mad_u32 v6, v0, s13, v6
	;; [unrolled: 1-line block ×4, first 2 shown]
.LBB25_52:
	global_load_u8 v8, v6, s[2:3]
	global_load_b64 v[0:1], v5, s[4:5]
	global_load_b64 v[2:3], v7, s[6:7]
	s_wait_loadcnt 0x2
	v_cmp_eq_u16_e32 vcc_lo, 0, v8
	s_wait_loadcnt 0x0
	v_dual_cndmask_b32 v1, v1, v3 :: v_dual_cndmask_b32 v0, v0, v2
	global_store_b64 v4, v[0:1], s[0:1]
.LBB25_53:
	s_wait_xcnt 0x0
	s_or_b32 exec_lo, exec_lo, s17
                                        ; implicit-def: $vgpr5
                                        ; implicit-def: $vgpr0
.LBB25_54:
	s_and_not1_saveexec_b32 s0, s36
	s_cbranch_execz .LBB25_61
; %bb.55:
	v_cndmask_b32_e64 v7, 0, 1, s35
	s_and_not1_b32 vcc_lo, exec_lo, s35
	s_cbranch_vccnz .LBB25_62
; %bb.56:
	s_cmp_lg_u32 s33, 0
	s_mov_b32 s4, 0
	s_cbranch_scc0 .LBB25_66
; %bb.57:
	s_min_u32 s5, s34, 15
	v_dual_mov_b32 v4, 0 :: v_dual_mov_b32 v6, v0
	v_dual_mov_b32 v3, 0 :: v_dual_mov_b32 v1, 0
	v_mov_b32_e32 v2, 0
	s_add_co_i32 s2, s5, 1
	s_mov_b64 s[0:1], 0xffffffffffffffe0
	s_and_b32 s6, s2, 30
	s_add_nc_u64 s[0:1], s[20:21], s[0:1]
	s_mov_b64 s[2:3], s[20:21]
.LBB25_58:                              ; =>This Inner Loop Header: Depth=1
	s_clause 0x1
	s_load_b128 s[16:19], s[2:3], 0x4
	s_load_b64 s[22:23], s[2:3], 0x14
	s_load_b256 s[8:15], s[0:1], 0xe4
	s_add_co_i32 s6, s6, -2
	s_wait_xcnt 0x0
	s_add_nc_u64 s[2:3], s[2:3], 24
	s_cmp_lg_u32 s6, 0
	s_add_nc_u64 s[0:1], s[0:1], 32
	s_wait_kmcnt 0x0
	v_mul_hi_u32 v8, s17, v6
	s_delay_alu instid0(VALU_DEP_1) | instskip(NEXT) | instid1(VALU_DEP_1)
	v_add_nc_u32_e32 v8, v6, v8
	v_lshrrev_b32_e32 v8, s18, v8
	s_delay_alu instid0(VALU_DEP_1) | instskip(SKIP_1) | instid1(VALU_DEP_1)
	v_mul_hi_u32 v9, s22, v8
	v_mul_lo_u32 v10, v8, s16
	v_dual_add_nc_u32 v9, v8, v9 :: v_dual_sub_nc_u32 v10, v6, v10
	s_delay_alu instid0(VALU_DEP_1) | instskip(NEXT) | instid1(VALU_DEP_2)
	v_lshrrev_b32_e32 v6, s23, v9
	v_mad_u32 v2, v10, s9, v2
	v_mad_u32 v1, v10, s8, v1
	;; [unrolled: 1-line block ×4, first 2 shown]
	v_mul_lo_u32 v9, v6, s19
	s_delay_alu instid0(VALU_DEP_1) | instskip(NEXT) | instid1(VALU_DEP_1)
	v_sub_nc_u32_e32 v8, v8, v9
	v_mad_u32 v2, v8, s13, v2
	v_mad_u32 v1, v8, s12, v1
	;; [unrolled: 1-line block ×4, first 2 shown]
	s_cbranch_scc1 .LBB25_58
; %bb.59:
	s_bitcmp1_b32 s5, 0
	s_cselect_b32 s5, -1, 0
	s_delay_alu instid0(SALU_CYCLE_1)
	s_and_b32 vcc_lo, exec_lo, s5
	s_cbranch_vccnz .LBB25_63
; %bb.60:
	s_load_b96 s[12:14], s[2:3], 0x4
	s_load_b128 s[8:11], s[0:1], 0xe4
	s_wait_kmcnt 0x0
	v_mul_hi_u32 v8, s13, v6
	s_delay_alu instid0(VALU_DEP_1) | instskip(NEXT) | instid1(VALU_DEP_1)
	v_add_nc_u32_e32 v8, v6, v8
	v_lshrrev_b32_e32 v8, s14, v8
	s_delay_alu instid0(VALU_DEP_1) | instskip(NEXT) | instid1(VALU_DEP_1)
	v_mul_lo_u32 v8, v8, s12
	v_sub_nc_u32_e32 v6, v6, v8
	s_delay_alu instid0(VALU_DEP_1)
	v_mad_u32 v1, v6, s8, v1
	v_mad_u32 v2, v6, s9, v2
	;; [unrolled: 1-line block ×4, first 2 shown]
	s_and_not1_b32 vcc_lo, exec_lo, s4
	s_cbranch_vccz .LBB25_64
	s_branch .LBB25_67
.LBB25_61:
	s_endpgm
.LBB25_62:
	s_mov_b32 s4, -1
                                        ; implicit-def: $vgpr2
                                        ; implicit-def: $vgpr1
                                        ; implicit-def: $vgpr3
                                        ; implicit-def: $vgpr4
.LBB25_63:
	s_delay_alu instid0(SALU_CYCLE_1)
	s_and_not1_b32 vcc_lo, exec_lo, s4
	s_cbranch_vccnz .LBB25_67
.LBB25_64:
	s_clause 0x1
	s_load_b96 s[4:6], s[20:21], 0x4
	s_load_b128 s[0:3], s[20:21], 0xc4
	s_cmp_lt_u32 s33, 2
	s_wait_kmcnt 0x0
	v_mul_hi_u32 v1, s5, v0
	s_delay_alu instid0(VALU_DEP_1) | instskip(NEXT) | instid1(VALU_DEP_1)
	v_add_nc_u32_e32 v1, v0, v1
	v_lshrrev_b32_e32 v6, s6, v1
	s_delay_alu instid0(VALU_DEP_1) | instskip(NEXT) | instid1(VALU_DEP_1)
	v_mul_lo_u32 v1, v6, s4
	v_sub_nc_u32_e32 v4, v0, v1
	s_delay_alu instid0(VALU_DEP_1)
	v_mul_lo_u32 v2, v4, s1
	v_mul_lo_u32 v1, v4, s0
	v_mul_lo_u32 v3, v4, s3
	v_mul_lo_u32 v4, v4, s2
	s_cbranch_scc1 .LBB25_67
; %bb.65:
	s_clause 0x1
	s_load_b96 s[4:6], s[20:21], 0x10
	s_load_b128 s[0:3], s[20:21], 0xd4
	s_wait_kmcnt 0x0
	v_mul_hi_u32 v8, s5, v6
	s_delay_alu instid0(VALU_DEP_1) | instskip(NEXT) | instid1(VALU_DEP_1)
	v_add_nc_u32_e32 v8, v6, v8
	v_lshrrev_b32_e32 v8, s6, v8
	s_delay_alu instid0(VALU_DEP_1) | instskip(NEXT) | instid1(VALU_DEP_1)
	v_mul_lo_u32 v8, v8, s4
	v_sub_nc_u32_e32 v6, v6, v8
	s_delay_alu instid0(VALU_DEP_1)
	v_mad_u32 v1, v6, s0, v1
	v_mad_u32 v2, v6, s1, v2
	;; [unrolled: 1-line block ×4, first 2 shown]
	s_branch .LBB25_67
.LBB25_66:
	v_dual_mov_b32 v2, 0 :: v_dual_mov_b32 v1, 0
	v_dual_mov_b32 v3, 0 :: v_dual_mov_b32 v4, 0
	s_and_not1_b32 vcc_lo, exec_lo, s4
	s_cbranch_vccz .LBB25_64
.LBB25_67:
	v_cmp_ne_u32_e32 vcc_lo, 1, v7
	v_add_nc_u32_e32 v11, 0x80, v0
	s_cbranch_vccnz .LBB25_73
; %bb.68:
	s_cmp_lg_u32 s33, 0
	s_mov_b32 s4, 0
	s_cbranch_scc0 .LBB25_77
; %bb.69:
	s_min_u32 s5, s34, 15
	v_dual_mov_b32 v10, 0 :: v_dual_mov_b32 v12, v11
	v_dual_mov_b32 v9, 0 :: v_dual_mov_b32 v6, 0
	v_mov_b32_e32 v8, 0
	s_add_co_i32 s2, s5, 1
	s_mov_b64 s[0:1], 0xffffffffffffffe0
	s_and_b32 s6, s2, 30
	s_add_nc_u64 s[0:1], s[20:21], s[0:1]
	s_mov_b64 s[2:3], s[20:21]
.LBB25_70:                              ; =>This Inner Loop Header: Depth=1
	s_clause 0x1
	s_load_b128 s[16:19], s[2:3], 0x4
	s_load_b64 s[22:23], s[2:3], 0x14
	s_load_b256 s[8:15], s[0:1], 0xe4
	s_add_co_i32 s6, s6, -2
	s_wait_xcnt 0x0
	s_add_nc_u64 s[2:3], s[2:3], 24
	s_cmp_lg_u32 s6, 0
	s_add_nc_u64 s[0:1], s[0:1], 32
	s_wait_kmcnt 0x0
	v_mul_hi_u32 v13, s17, v12
	s_delay_alu instid0(VALU_DEP_1) | instskip(NEXT) | instid1(VALU_DEP_1)
	v_add_nc_u32_e32 v13, v12, v13
	v_lshrrev_b32_e32 v13, s18, v13
	s_delay_alu instid0(VALU_DEP_1) | instskip(SKIP_1) | instid1(VALU_DEP_1)
	v_mul_hi_u32 v14, s22, v13
	v_mul_lo_u32 v15, v13, s16
	v_dual_add_nc_u32 v14, v13, v14 :: v_dual_sub_nc_u32 v15, v12, v15
	s_delay_alu instid0(VALU_DEP_1) | instskip(NEXT) | instid1(VALU_DEP_2)
	v_lshrrev_b32_e32 v12, s23, v14
	v_mad_u32 v8, v15, s9, v8
	v_mad_u32 v6, v15, s8, v6
	;; [unrolled: 1-line block ×4, first 2 shown]
	v_mul_lo_u32 v14, v12, s19
	s_delay_alu instid0(VALU_DEP_1) | instskip(NEXT) | instid1(VALU_DEP_1)
	v_sub_nc_u32_e32 v13, v13, v14
	v_mad_u32 v8, v13, s13, v8
	v_mad_u32 v6, v13, s12, v6
	;; [unrolled: 1-line block ×4, first 2 shown]
	s_cbranch_scc1 .LBB25_70
; %bb.71:
	s_bitcmp1_b32 s5, 0
	s_cselect_b32 s5, -1, 0
	s_delay_alu instid0(SALU_CYCLE_1)
	s_and_b32 vcc_lo, exec_lo, s5
	s_cbranch_vccnz .LBB25_74
; %bb.72:
	s_load_b96 s[12:14], s[2:3], 0x4
	s_load_b128 s[8:11], s[0:1], 0xe4
	s_wait_kmcnt 0x0
	v_mul_hi_u32 v13, s13, v12
	s_delay_alu instid0(VALU_DEP_1) | instskip(NEXT) | instid1(VALU_DEP_1)
	v_add_nc_u32_e32 v13, v12, v13
	v_lshrrev_b32_e32 v13, s14, v13
	s_delay_alu instid0(VALU_DEP_1) | instskip(NEXT) | instid1(VALU_DEP_1)
	v_mul_lo_u32 v13, v13, s12
	v_sub_nc_u32_e32 v12, v12, v13
	s_delay_alu instid0(VALU_DEP_1)
	v_mad_u32 v6, v12, s8, v6
	v_mad_u32 v8, v12, s9, v8
	;; [unrolled: 1-line block ×4, first 2 shown]
	s_and_not1_b32 vcc_lo, exec_lo, s4
	s_cbranch_vccz .LBB25_75
	s_branch .LBB25_78
.LBB25_73:
	s_mov_b32 s4, -1
                                        ; implicit-def: $vgpr8
                                        ; implicit-def: $vgpr6
                                        ; implicit-def: $vgpr9
                                        ; implicit-def: $vgpr10
.LBB25_74:
	s_delay_alu instid0(SALU_CYCLE_1)
	s_and_not1_b32 vcc_lo, exec_lo, s4
	s_cbranch_vccnz .LBB25_78
.LBB25_75:
	s_clause 0x1
	s_load_b96 s[4:6], s[20:21], 0x4
	s_load_b128 s[0:3], s[20:21], 0xc4
	s_cmp_lt_u32 s33, 2
	s_wait_kmcnt 0x0
	v_mul_hi_u32 v6, s5, v11
	s_delay_alu instid0(VALU_DEP_1) | instskip(NEXT) | instid1(VALU_DEP_1)
	v_add_nc_u32_e32 v6, v11, v6
	v_lshrrev_b32_e32 v12, s6, v6
	s_delay_alu instid0(VALU_DEP_1) | instskip(NEXT) | instid1(VALU_DEP_1)
	v_mul_lo_u32 v6, v12, s4
	v_sub_nc_u32_e32 v10, v11, v6
	s_delay_alu instid0(VALU_DEP_1)
	v_mul_lo_u32 v8, v10, s1
	v_mul_lo_u32 v6, v10, s0
	;; [unrolled: 1-line block ×4, first 2 shown]
	s_cbranch_scc1 .LBB25_78
; %bb.76:
	s_clause 0x1
	s_load_b96 s[4:6], s[20:21], 0x10
	s_load_b128 s[0:3], s[20:21], 0xd4
	s_wait_kmcnt 0x0
	v_mul_hi_u32 v11, s5, v12
	s_delay_alu instid0(VALU_DEP_1) | instskip(NEXT) | instid1(VALU_DEP_1)
	v_add_nc_u32_e32 v11, v12, v11
	v_lshrrev_b32_e32 v11, s6, v11
	s_delay_alu instid0(VALU_DEP_1) | instskip(NEXT) | instid1(VALU_DEP_1)
	v_mul_lo_u32 v11, v11, s4
	v_sub_nc_u32_e32 v11, v12, v11
	s_delay_alu instid0(VALU_DEP_1)
	v_mad_u32 v6, v11, s0, v6
	v_mad_u32 v8, v11, s1, v8
	;; [unrolled: 1-line block ×4, first 2 shown]
	s_branch .LBB25_78
.LBB25_77:
	v_dual_mov_b32 v8, 0 :: v_dual_mov_b32 v6, 0
	v_dual_mov_b32 v9, 0 :: v_dual_mov_b32 v10, 0
	s_and_not1_b32 vcc_lo, exec_lo, s4
	s_cbranch_vccz .LBB25_75
.LBB25_78:
	v_cmp_ne_u32_e32 vcc_lo, 1, v7
	v_add_nc_u32_e32 v14, 0x100, v0
	s_cbranch_vccnz .LBB25_84
; %bb.79:
	s_cmp_lg_u32 s33, 0
	s_mov_b32 s4, 0
	s_cbranch_scc0 .LBB25_88
; %bb.80:
	s_min_u32 s5, s34, 15
	v_dual_mov_b32 v12, 0 :: v_dual_mov_b32 v15, v14
	v_dual_mov_b32 v13, 0 :: v_dual_mov_b32 v0, 0
	v_mov_b32_e32 v11, 0
	s_add_co_i32 s2, s5, 1
	s_mov_b64 s[0:1], 0xffffffffffffffe0
	s_and_b32 s6, s2, 30
	s_add_nc_u64 s[0:1], s[20:21], s[0:1]
	s_mov_b64 s[2:3], s[20:21]
.LBB25_81:                              ; =>This Inner Loop Header: Depth=1
	s_clause 0x1
	s_load_b128 s[16:19], s[2:3], 0x4
	s_load_b64 s[22:23], s[2:3], 0x14
	s_load_b256 s[8:15], s[0:1], 0xe4
	s_add_co_i32 s6, s6, -2
	s_wait_xcnt 0x0
	s_add_nc_u64 s[2:3], s[2:3], 24
	s_cmp_lg_u32 s6, 0
	s_add_nc_u64 s[0:1], s[0:1], 32
	s_wait_kmcnt 0x0
	v_mul_hi_u32 v16, s17, v15
	s_delay_alu instid0(VALU_DEP_1) | instskip(NEXT) | instid1(VALU_DEP_1)
	v_add_nc_u32_e32 v16, v15, v16
	v_lshrrev_b32_e32 v16, s18, v16
	s_delay_alu instid0(VALU_DEP_1) | instskip(SKIP_1) | instid1(VALU_DEP_1)
	v_mul_hi_u32 v17, s22, v16
	v_mul_lo_u32 v18, v16, s16
	v_dual_add_nc_u32 v17, v16, v17 :: v_dual_sub_nc_u32 v18, v15, v18
	s_delay_alu instid0(VALU_DEP_1) | instskip(NEXT) | instid1(VALU_DEP_2)
	v_lshrrev_b32_e32 v15, s23, v17
	v_mad_u32 v11, v18, s9, v11
	v_mad_u32 v0, v18, s8, v0
	;; [unrolled: 1-line block ×4, first 2 shown]
	v_mul_lo_u32 v17, v15, s19
	s_delay_alu instid0(VALU_DEP_1) | instskip(NEXT) | instid1(VALU_DEP_1)
	v_sub_nc_u32_e32 v16, v16, v17
	v_mad_u32 v11, v16, s13, v11
	v_mad_u32 v0, v16, s12, v0
	v_mad_u32 v13, v16, s15, v13
	v_mad_u32 v12, v16, s14, v12
	s_cbranch_scc1 .LBB25_81
; %bb.82:
	s_bitcmp1_b32 s5, 0
	s_cselect_b32 s5, -1, 0
	s_delay_alu instid0(SALU_CYCLE_1)
	s_and_b32 vcc_lo, exec_lo, s5
	s_cbranch_vccnz .LBB25_85
; %bb.83:
	s_load_b96 s[12:14], s[2:3], 0x4
	s_load_b128 s[8:11], s[0:1], 0xe4
	s_wait_kmcnt 0x0
	v_mul_hi_u32 v16, s13, v15
	s_delay_alu instid0(VALU_DEP_1) | instskip(NEXT) | instid1(VALU_DEP_1)
	v_add_nc_u32_e32 v16, v15, v16
	v_lshrrev_b32_e32 v16, s14, v16
	s_delay_alu instid0(VALU_DEP_1) | instskip(NEXT) | instid1(VALU_DEP_1)
	v_mul_lo_u32 v16, v16, s12
	v_sub_nc_u32_e32 v15, v15, v16
	s_delay_alu instid0(VALU_DEP_1)
	v_mad_u32 v0, v15, s8, v0
	v_mad_u32 v11, v15, s9, v11
	;; [unrolled: 1-line block ×4, first 2 shown]
	s_and_not1_b32 vcc_lo, exec_lo, s4
	s_cbranch_vccz .LBB25_86
	s_branch .LBB25_89
.LBB25_84:
	s_mov_b32 s4, -1
                                        ; implicit-def: $vgpr11
                                        ; implicit-def: $vgpr0
                                        ; implicit-def: $vgpr13
                                        ; implicit-def: $vgpr12
.LBB25_85:
	s_delay_alu instid0(SALU_CYCLE_1)
	s_and_not1_b32 vcc_lo, exec_lo, s4
	s_cbranch_vccnz .LBB25_89
.LBB25_86:
	s_clause 0x1
	s_load_b96 s[4:6], s[20:21], 0x4
	s_load_b128 s[0:3], s[20:21], 0xc4
	s_cmp_lt_u32 s33, 2
	s_wait_kmcnt 0x0
	v_mul_hi_u32 v0, s5, v14
	s_delay_alu instid0(VALU_DEP_1) | instskip(NEXT) | instid1(VALU_DEP_1)
	v_add_nc_u32_e32 v0, v14, v0
	v_lshrrev_b32_e32 v15, s6, v0
	s_delay_alu instid0(VALU_DEP_1) | instskip(NEXT) | instid1(VALU_DEP_1)
	v_mul_lo_u32 v0, v15, s4
	v_sub_nc_u32_e32 v12, v14, v0
	s_delay_alu instid0(VALU_DEP_1)
	v_mul_lo_u32 v11, v12, s1
	v_mul_lo_u32 v0, v12, s0
	;; [unrolled: 1-line block ×4, first 2 shown]
	s_cbranch_scc1 .LBB25_89
; %bb.87:
	s_clause 0x1
	s_load_b96 s[4:6], s[20:21], 0x10
	s_load_b128 s[0:3], s[20:21], 0xd4
	s_wait_kmcnt 0x0
	v_mul_hi_u32 v14, s5, v15
	s_delay_alu instid0(VALU_DEP_1) | instskip(NEXT) | instid1(VALU_DEP_1)
	v_add_nc_u32_e32 v14, v15, v14
	v_lshrrev_b32_e32 v14, s6, v14
	s_delay_alu instid0(VALU_DEP_1) | instskip(NEXT) | instid1(VALU_DEP_1)
	v_mul_lo_u32 v14, v14, s4
	v_sub_nc_u32_e32 v14, v15, v14
	s_delay_alu instid0(VALU_DEP_1)
	v_mad_u32 v0, v14, s0, v0
	v_mad_u32 v11, v14, s1, v11
	;; [unrolled: 1-line block ×4, first 2 shown]
	s_branch .LBB25_89
.LBB25_88:
	v_dual_mov_b32 v11, 0 :: v_dual_mov_b32 v0, 0
	v_dual_mov_b32 v13, 0 :: v_dual_mov_b32 v12, 0
	s_and_not1_b32 vcc_lo, exec_lo, s4
	s_cbranch_vccz .LBB25_86
.LBB25_89:
	v_cmp_ne_u32_e32 vcc_lo, 1, v7
	s_cbranch_vccnz .LBB25_95
; %bb.90:
	s_cmp_lg_u32 s33, 0
	s_mov_b32 s4, 0
	s_cbranch_scc0 .LBB25_99
; %bb.91:
	s_min_u32 s5, s34, 15
	v_dual_mov_b32 v14, 0 :: v_dual_mov_b32 v17, v5
	v_dual_mov_b32 v16, 0 :: v_dual_mov_b32 v7, 0
	v_mov_b32_e32 v15, 0
	s_add_co_i32 s2, s5, 1
	s_mov_b64 s[0:1], 0xffffffffffffffe0
	s_and_b32 s6, s2, 30
	s_add_nc_u64 s[0:1], s[20:21], s[0:1]
	s_mov_b64 s[2:3], s[20:21]
.LBB25_92:                              ; =>This Inner Loop Header: Depth=1
	s_clause 0x1
	s_load_b128 s[16:19], s[2:3], 0x4
	s_load_b64 s[22:23], s[2:3], 0x14
	s_load_b256 s[8:15], s[0:1], 0xe4
	s_add_co_i32 s6, s6, -2
	s_wait_xcnt 0x0
	s_add_nc_u64 s[2:3], s[2:3], 24
	s_cmp_lg_u32 s6, 0
	s_add_nc_u64 s[0:1], s[0:1], 32
	s_wait_kmcnt 0x0
	v_mul_hi_u32 v18, s17, v17
	s_delay_alu instid0(VALU_DEP_1) | instskip(NEXT) | instid1(VALU_DEP_1)
	v_add_nc_u32_e32 v18, v17, v18
	v_lshrrev_b32_e32 v18, s18, v18
	s_delay_alu instid0(VALU_DEP_1) | instskip(SKIP_1) | instid1(VALU_DEP_1)
	v_mul_hi_u32 v19, s22, v18
	v_mul_lo_u32 v20, v18, s16
	v_dual_add_nc_u32 v19, v18, v19 :: v_dual_sub_nc_u32 v20, v17, v20
	s_delay_alu instid0(VALU_DEP_1) | instskip(NEXT) | instid1(VALU_DEP_2)
	v_lshrrev_b32_e32 v17, s23, v19
	v_mad_u32 v15, v20, s9, v15
	v_mad_u32 v7, v20, s8, v7
	;; [unrolled: 1-line block ×4, first 2 shown]
	v_mul_lo_u32 v19, v17, s19
	s_delay_alu instid0(VALU_DEP_1) | instskip(NEXT) | instid1(VALU_DEP_1)
	v_sub_nc_u32_e32 v18, v18, v19
	v_mad_u32 v15, v18, s13, v15
	v_mad_u32 v7, v18, s12, v7
	;; [unrolled: 1-line block ×4, first 2 shown]
	s_cbranch_scc1 .LBB25_92
; %bb.93:
	s_bitcmp1_b32 s5, 0
	s_cselect_b32 s5, -1, 0
	s_delay_alu instid0(SALU_CYCLE_1)
	s_and_b32 vcc_lo, exec_lo, s5
	s_cbranch_vccnz .LBB25_96
; %bb.94:
	s_load_b96 s[12:14], s[2:3], 0x4
	s_load_b128 s[8:11], s[0:1], 0xe4
	s_wait_kmcnt 0x0
	v_mul_hi_u32 v18, s13, v17
	s_delay_alu instid0(VALU_DEP_1) | instskip(NEXT) | instid1(VALU_DEP_1)
	v_add_nc_u32_e32 v18, v17, v18
	v_lshrrev_b32_e32 v18, s14, v18
	s_delay_alu instid0(VALU_DEP_1) | instskip(NEXT) | instid1(VALU_DEP_1)
	v_mul_lo_u32 v18, v18, s12
	v_sub_nc_u32_e32 v17, v17, v18
	s_delay_alu instid0(VALU_DEP_1)
	v_mad_u32 v7, v17, s8, v7
	v_mad_u32 v15, v17, s9, v15
	;; [unrolled: 1-line block ×4, first 2 shown]
	s_and_not1_b32 vcc_lo, exec_lo, s4
	s_cbranch_vccz .LBB25_97
	s_branch .LBB25_100
.LBB25_95:
	s_mov_b32 s4, -1
                                        ; implicit-def: $vgpr15
                                        ; implicit-def: $vgpr7
                                        ; implicit-def: $vgpr16
                                        ; implicit-def: $vgpr14
.LBB25_96:
	s_delay_alu instid0(SALU_CYCLE_1)
	s_and_not1_b32 vcc_lo, exec_lo, s4
	s_cbranch_vccnz .LBB25_100
.LBB25_97:
	s_clause 0x1
	s_load_b96 s[4:6], s[20:21], 0x4
	s_load_b128 s[0:3], s[20:21], 0xc4
	s_cmp_lt_u32 s33, 2
	s_wait_kmcnt 0x0
	v_mul_hi_u32 v7, s5, v5
	s_delay_alu instid0(VALU_DEP_1) | instskip(NEXT) | instid1(VALU_DEP_1)
	v_add_nc_u32_e32 v7, v5, v7
	v_lshrrev_b32_e32 v17, s6, v7
	s_delay_alu instid0(VALU_DEP_1) | instskip(NEXT) | instid1(VALU_DEP_1)
	v_mul_lo_u32 v7, v17, s4
	v_sub_nc_u32_e32 v5, v5, v7
	s_delay_alu instid0(VALU_DEP_1)
	v_mul_lo_u32 v15, v5, s1
	v_mul_lo_u32 v7, v5, s0
	;; [unrolled: 1-line block ×4, first 2 shown]
	s_cbranch_scc1 .LBB25_100
; %bb.98:
	s_clause 0x1
	s_load_b96 s[4:6], s[20:21], 0x10
	s_load_b128 s[0:3], s[20:21], 0xd4
	s_wait_kmcnt 0x0
	v_mul_hi_u32 v5, s5, v17
	s_delay_alu instid0(VALU_DEP_1) | instskip(NEXT) | instid1(VALU_DEP_1)
	v_add_nc_u32_e32 v5, v17, v5
	v_lshrrev_b32_e32 v5, s6, v5
	s_delay_alu instid0(VALU_DEP_1) | instskip(NEXT) | instid1(VALU_DEP_1)
	v_mul_lo_u32 v5, v5, s4
	v_sub_nc_u32_e32 v5, v17, v5
	s_delay_alu instid0(VALU_DEP_1)
	v_mad_u32 v7, v5, s0, v7
	v_mad_u32 v15, v5, s1, v15
	;; [unrolled: 1-line block ×4, first 2 shown]
	s_branch .LBB25_100
.LBB25_99:
	v_dual_mov_b32 v15, 0 :: v_dual_mov_b32 v7, 0
	v_dual_mov_b32 v16, 0 :: v_dual_mov_b32 v14, 0
	s_and_not1_b32 vcc_lo, exec_lo, s4
	s_cbranch_vccz .LBB25_97
.LBB25_100:
	s_load_b256 s[4:11], s[20:21], 0x1c8
	s_wait_kmcnt 0x0
	global_load_u8 v5, v2, s[6:7]
	global_load_b64 v[18:19], v4, s[8:9]
	global_load_b64 v[20:21], v3, s[10:11]
	global_load_u8 v17, v8, s[6:7]
	global_load_b64 v[22:23], v10, s[8:9]
	global_load_b64 v[24:25], v9, s[10:11]
	;; [unrolled: 3-line block ×4, first 2 shown]
	s_wait_loadcnt 0xb
	v_cmp_eq_u16_e32 vcc_lo, 0, v5
	s_wait_loadcnt 0x8
	v_cmp_eq_u16_e64 s0, 0, v17
	s_wait_xcnt 0x9
	v_dual_cndmask_b32 v3, v19, v21 :: v_dual_cndmask_b32 v2, v18, v20
	s_wait_loadcnt 0x5
	v_cmp_eq_u16_e64 s1, 0, v34
	v_dual_cndmask_b32 v5, v23, v25, s0 :: v_dual_cndmask_b32 v4, v22, v24, s0
	s_wait_loadcnt 0x2
	v_cmp_eq_u16_e64 s2, 0, v35
	s_wait_xcnt 0x6
	v_dual_cndmask_b32 v9, v27, v29, s1 :: v_dual_cndmask_b32 v8, v26, v28, s1
	s_wait_loadcnt 0x0
	s_wait_xcnt 0x5
	v_dual_cndmask_b32 v11, v31, v33, s2 :: v_dual_cndmask_b32 v10, v30, v32, s2
	s_clause 0x3
	global_store_b64 v1, v[2:3], s[4:5]
	global_store_b64 v6, v[4:5], s[4:5]
	;; [unrolled: 1-line block ×4, first 2 shown]
	s_endpgm
	.section	.rodata,"a",@progbits
	.p2align	6, 0x0
	.amdhsa_kernel _ZN2at6native32elementwise_kernel_manual_unrollILi128ELi4EZNS0_22gpu_kernel_impl_nocastIZZZNS0_12_GLOBAL__N_117where_kernel_implERNS_14TensorIteratorEENKUlvE_clEvENKUlvE2_clEvEUlbmmE_EEvRNS_18TensorIteratorBaseERKT_EUlibE_EEviT1_
		.amdhsa_group_segment_fixed_size 0
		.amdhsa_private_segment_fixed_size 0
		.amdhsa_kernarg_size 504
		.amdhsa_user_sgpr_count 2
		.amdhsa_user_sgpr_dispatch_ptr 0
		.amdhsa_user_sgpr_queue_ptr 0
		.amdhsa_user_sgpr_kernarg_segment_ptr 1
		.amdhsa_user_sgpr_dispatch_id 0
		.amdhsa_user_sgpr_kernarg_preload_length 0
		.amdhsa_user_sgpr_kernarg_preload_offset 0
		.amdhsa_user_sgpr_private_segment_size 0
		.amdhsa_wavefront_size32 1
		.amdhsa_uses_dynamic_stack 0
		.amdhsa_enable_private_segment 0
		.amdhsa_system_sgpr_workgroup_id_x 1
		.amdhsa_system_sgpr_workgroup_id_y 0
		.amdhsa_system_sgpr_workgroup_id_z 0
		.amdhsa_system_sgpr_workgroup_info 0
		.amdhsa_system_vgpr_workitem_id 0
		.amdhsa_next_free_vgpr 36
		.amdhsa_next_free_sgpr 56
		.amdhsa_named_barrier_count 0
		.amdhsa_reserve_vcc 1
		.amdhsa_float_round_mode_32 0
		.amdhsa_float_round_mode_16_64 0
		.amdhsa_float_denorm_mode_32 3
		.amdhsa_float_denorm_mode_16_64 3
		.amdhsa_fp16_overflow 0
		.amdhsa_memory_ordered 1
		.amdhsa_forward_progress 1
		.amdhsa_inst_pref_size 46
		.amdhsa_round_robin_scheduling 0
		.amdhsa_exception_fp_ieee_invalid_op 0
		.amdhsa_exception_fp_denorm_src 0
		.amdhsa_exception_fp_ieee_div_zero 0
		.amdhsa_exception_fp_ieee_overflow 0
		.amdhsa_exception_fp_ieee_underflow 0
		.amdhsa_exception_fp_ieee_inexact 0
		.amdhsa_exception_int_div_zero 0
	.end_amdhsa_kernel
	.section	.text._ZN2at6native32elementwise_kernel_manual_unrollILi128ELi4EZNS0_22gpu_kernel_impl_nocastIZZZNS0_12_GLOBAL__N_117where_kernel_implERNS_14TensorIteratorEENKUlvE_clEvENKUlvE2_clEvEUlbmmE_EEvRNS_18TensorIteratorBaseERKT_EUlibE_EEviT1_,"axG",@progbits,_ZN2at6native32elementwise_kernel_manual_unrollILi128ELi4EZNS0_22gpu_kernel_impl_nocastIZZZNS0_12_GLOBAL__N_117where_kernel_implERNS_14TensorIteratorEENKUlvE_clEvENKUlvE2_clEvEUlbmmE_EEvRNS_18TensorIteratorBaseERKT_EUlibE_EEviT1_,comdat
.Lfunc_end25:
	.size	_ZN2at6native32elementwise_kernel_manual_unrollILi128ELi4EZNS0_22gpu_kernel_impl_nocastIZZZNS0_12_GLOBAL__N_117where_kernel_implERNS_14TensorIteratorEENKUlvE_clEvENKUlvE2_clEvEUlbmmE_EEvRNS_18TensorIteratorBaseERKT_EUlibE_EEviT1_, .Lfunc_end25-_ZN2at6native32elementwise_kernel_manual_unrollILi128ELi4EZNS0_22gpu_kernel_impl_nocastIZZZNS0_12_GLOBAL__N_117where_kernel_implERNS_14TensorIteratorEENKUlvE_clEvENKUlvE2_clEvEUlbmmE_EEvRNS_18TensorIteratorBaseERKT_EUlibE_EEviT1_
                                        ; -- End function
	.set _ZN2at6native32elementwise_kernel_manual_unrollILi128ELi4EZNS0_22gpu_kernel_impl_nocastIZZZNS0_12_GLOBAL__N_117where_kernel_implERNS_14TensorIteratorEENKUlvE_clEvENKUlvE2_clEvEUlbmmE_EEvRNS_18TensorIteratorBaseERKT_EUlibE_EEviT1_.num_vgpr, 36
	.set _ZN2at6native32elementwise_kernel_manual_unrollILi128ELi4EZNS0_22gpu_kernel_impl_nocastIZZZNS0_12_GLOBAL__N_117where_kernel_implERNS_14TensorIteratorEENKUlvE_clEvENKUlvE2_clEvEUlbmmE_EEvRNS_18TensorIteratorBaseERKT_EUlibE_EEviT1_.num_agpr, 0
	.set _ZN2at6native32elementwise_kernel_manual_unrollILi128ELi4EZNS0_22gpu_kernel_impl_nocastIZZZNS0_12_GLOBAL__N_117where_kernel_implERNS_14TensorIteratorEENKUlvE_clEvENKUlvE2_clEvEUlbmmE_EEvRNS_18TensorIteratorBaseERKT_EUlibE_EEviT1_.numbered_sgpr, 56
	.set _ZN2at6native32elementwise_kernel_manual_unrollILi128ELi4EZNS0_22gpu_kernel_impl_nocastIZZZNS0_12_GLOBAL__N_117where_kernel_implERNS_14TensorIteratorEENKUlvE_clEvENKUlvE2_clEvEUlbmmE_EEvRNS_18TensorIteratorBaseERKT_EUlibE_EEviT1_.num_named_barrier, 0
	.set _ZN2at6native32elementwise_kernel_manual_unrollILi128ELi4EZNS0_22gpu_kernel_impl_nocastIZZZNS0_12_GLOBAL__N_117where_kernel_implERNS_14TensorIteratorEENKUlvE_clEvENKUlvE2_clEvEUlbmmE_EEvRNS_18TensorIteratorBaseERKT_EUlibE_EEviT1_.private_seg_size, 0
	.set _ZN2at6native32elementwise_kernel_manual_unrollILi128ELi4EZNS0_22gpu_kernel_impl_nocastIZZZNS0_12_GLOBAL__N_117where_kernel_implERNS_14TensorIteratorEENKUlvE_clEvENKUlvE2_clEvEUlbmmE_EEvRNS_18TensorIteratorBaseERKT_EUlibE_EEviT1_.uses_vcc, 1
	.set _ZN2at6native32elementwise_kernel_manual_unrollILi128ELi4EZNS0_22gpu_kernel_impl_nocastIZZZNS0_12_GLOBAL__N_117where_kernel_implERNS_14TensorIteratorEENKUlvE_clEvENKUlvE2_clEvEUlbmmE_EEvRNS_18TensorIteratorBaseERKT_EUlibE_EEviT1_.uses_flat_scratch, 0
	.set _ZN2at6native32elementwise_kernel_manual_unrollILi128ELi4EZNS0_22gpu_kernel_impl_nocastIZZZNS0_12_GLOBAL__N_117where_kernel_implERNS_14TensorIteratorEENKUlvE_clEvENKUlvE2_clEvEUlbmmE_EEvRNS_18TensorIteratorBaseERKT_EUlibE_EEviT1_.has_dyn_sized_stack, 0
	.set _ZN2at6native32elementwise_kernel_manual_unrollILi128ELi4EZNS0_22gpu_kernel_impl_nocastIZZZNS0_12_GLOBAL__N_117where_kernel_implERNS_14TensorIteratorEENKUlvE_clEvENKUlvE2_clEvEUlbmmE_EEvRNS_18TensorIteratorBaseERKT_EUlibE_EEviT1_.has_recursion, 0
	.set _ZN2at6native32elementwise_kernel_manual_unrollILi128ELi4EZNS0_22gpu_kernel_impl_nocastIZZZNS0_12_GLOBAL__N_117where_kernel_implERNS_14TensorIteratorEENKUlvE_clEvENKUlvE2_clEvEUlbmmE_EEvRNS_18TensorIteratorBaseERKT_EUlibE_EEviT1_.has_indirect_call, 0
	.section	.AMDGPU.csdata,"",@progbits
; Kernel info:
; codeLenInByte = 5800
; TotalNumSgprs: 58
; NumVgprs: 36
; ScratchSize: 0
; MemoryBound: 0
; FloatMode: 240
; IeeeMode: 1
; LDSByteSize: 0 bytes/workgroup (compile time only)
; SGPRBlocks: 0
; VGPRBlocks: 2
; NumSGPRsForWavesPerEU: 58
; NumVGPRsForWavesPerEU: 36
; NamedBarCnt: 0
; Occupancy: 16
; WaveLimiterHint : 1
; COMPUTE_PGM_RSRC2:SCRATCH_EN: 0
; COMPUTE_PGM_RSRC2:USER_SGPR: 2
; COMPUTE_PGM_RSRC2:TRAP_HANDLER: 0
; COMPUTE_PGM_RSRC2:TGID_X_EN: 1
; COMPUTE_PGM_RSRC2:TGID_Y_EN: 0
; COMPUTE_PGM_RSRC2:TGID_Z_EN: 0
; COMPUTE_PGM_RSRC2:TIDIG_COMP_CNT: 0
	.section	.text._ZN2at6native29vectorized_elementwise_kernelILi16EZZZNS0_12_GLOBAL__N_117where_kernel_implERNS_14TensorIteratorEENKUlvE_clEvENKUlvE3_clEvEUlbN3c107complexIdEES9_E_St5arrayIPcLm4EEEEviT0_T1_,"axG",@progbits,_ZN2at6native29vectorized_elementwise_kernelILi16EZZZNS0_12_GLOBAL__N_117where_kernel_implERNS_14TensorIteratorEENKUlvE_clEvENKUlvE3_clEvEUlbN3c107complexIdEES9_E_St5arrayIPcLm4EEEEviT0_T1_,comdat
	.globl	_ZN2at6native29vectorized_elementwise_kernelILi16EZZZNS0_12_GLOBAL__N_117where_kernel_implERNS_14TensorIteratorEENKUlvE_clEvENKUlvE3_clEvEUlbN3c107complexIdEES9_E_St5arrayIPcLm4EEEEviT0_T1_ ; -- Begin function _ZN2at6native29vectorized_elementwise_kernelILi16EZZZNS0_12_GLOBAL__N_117where_kernel_implERNS_14TensorIteratorEENKUlvE_clEvENKUlvE3_clEvEUlbN3c107complexIdEES9_E_St5arrayIPcLm4EEEEviT0_T1_
	.p2align	8
	.type	_ZN2at6native29vectorized_elementwise_kernelILi16EZZZNS0_12_GLOBAL__N_117where_kernel_implERNS_14TensorIteratorEENKUlvE_clEvENKUlvE3_clEvEUlbN3c107complexIdEES9_E_St5arrayIPcLm4EEEEviT0_T1_,@function
_ZN2at6native29vectorized_elementwise_kernelILi16EZZZNS0_12_GLOBAL__N_117where_kernel_implERNS_14TensorIteratorEENKUlvE_clEvENKUlvE3_clEvEUlbN3c107complexIdEES9_E_St5arrayIPcLm4EEEEviT0_T1_: ; @_ZN2at6native29vectorized_elementwise_kernelILi16EZZZNS0_12_GLOBAL__N_117where_kernel_implERNS_14TensorIteratorEENKUlvE_clEvENKUlvE3_clEvEUlbN3c107complexIdEES9_E_St5arrayIPcLm4EEEEviT0_T1_
; %bb.0:
	s_clause 0x1
	s_load_b32 s2, s[0:1], 0x0
	s_load_b256 s[8:15], s[0:1], 0x8
	s_wait_xcnt 0x0
	s_bfe_u32 s0, ttmp6, 0x4000c
	s_and_b32 s1, ttmp6, 15
	s_add_co_i32 s0, s0, 1
	s_getreg_b32 s3, hwreg(HW_REG_IB_STS2, 6, 4)
	s_mul_i32 s0, ttmp9, s0
	s_mov_b32 s17, -1
	s_add_co_i32 s1, s1, s0
	s_cmp_eq_u32 s3, 0
	s_cselect_b32 s0, ttmp9, s1
	s_delay_alu instid0(SALU_CYCLE_1) | instskip(SKIP_2) | instid1(SALU_CYCLE_1)
	s_lshl_b32 s16, s0, 12
	s_wait_kmcnt 0x0
	s_sub_co_i32 s20, s2, s16
	s_cmp_gt_i32 s20, 0xfff
	s_cbranch_scc0 .LBB26_2
; %bb.1:
	s_ashr_i32 s17, s16, 31
	s_delay_alu instid0(SALU_CYCLE_1)
	s_add_nc_u64 s[0:1], s[10:11], s[16:17]
	global_load_b128 v[2:5], v0, s[0:1] scale_offset
	v_lshlrev_b32_e32 v1, 8, v0
	s_wait_xcnt 0x0
	s_lshl_b64 s[0:1], s[16:17], 4
	s_mov_b32 s17, 0
	s_add_nc_u64 s[2:3], s[12:13], s[0:1]
	s_add_nc_u64 s[4:5], s[14:15], s[0:1]
	;; [unrolled: 1-line block ×3, first 2 shown]
	s_wait_loadcnt 0x0
	v_and_b32_e32 v134, 0xff, v2
	v_and_b32_e32 v136, 0xff, v3
	v_lshrrev_b32_e32 v137, 16, v3
	s_delay_alu instid0(VALU_DEP_3)
	v_cmp_eq_u16_e64 vcc_lo, 0, v134
	v_lshrrev_b32_e32 v134, 8, v2
	s_clause 0x1f
	global_load_b128 v[6:9], v1, s[2:3]
	global_load_b128 v[10:13], v1, s[4:5]
	global_load_b128 v[14:17], v1, s[2:3] offset:48
	global_load_b128 v[18:21], v1, s[4:5] offset:48
	global_load_b128 v[22:25], v1, s[2:3] offset:64
	global_load_b128 v[26:29], v1, s[4:5] offset:64
	global_load_b128 v[30:33], v1, s[2:3] offset:112
	global_load_b128 v[34:37], v1, s[4:5] offset:112
	global_load_b128 v[38:41], v1, s[2:3] offset:128
	global_load_b128 v[42:45], v1, s[4:5] offset:128
	global_load_b128 v[46:49], v1, s[2:3] offset:176
	global_load_b128 v[50:53], v1, s[4:5] offset:176
	global_load_b128 v[54:57], v1, s[2:3] offset:192
	global_load_b128 v[58:61], v1, s[4:5] offset:192
	global_load_b128 v[62:65], v1, s[2:3] offset:240
	global_load_b128 v[66:69], v1, s[4:5] offset:240
	global_load_b128 v[70:73], v1, s[2:3] offset:16
	global_load_b128 v[74:77], v1, s[4:5] offset:16
	global_load_b128 v[78:81], v1, s[2:3] offset:32
	global_load_b128 v[82:85], v1, s[4:5] offset:32
	global_load_b128 v[86:89], v1, s[2:3] offset:80
	global_load_b128 v[90:93], v1, s[4:5] offset:80
	global_load_b128 v[94:97], v1, s[2:3] offset:96
	global_load_b128 v[98:101], v1, s[4:5] offset:96
	global_load_b128 v[102:105], v1, s[2:3] offset:144
	global_load_b128 v[106:109], v1, s[4:5] offset:144
	global_load_b128 v[110:113], v1, s[2:3] offset:160
	global_load_b128 v[114:117], v1, s[4:5] offset:160
	global_load_b128 v[118:121], v1, s[2:3] offset:208
	global_load_b128 v[122:125], v1, s[4:5] offset:208
	global_load_b128 v[126:129], v1, s[2:3] offset:224
	global_load_b128 v[130:133], v1, s[4:5] offset:224
	v_dual_lshrrev_b32 v135, 24, v2 :: v_dual_lshrrev_b32 v2, 16, v2
	v_and_b32_e32 v137, 0xff, v137
	v_and_b32_e32 v134, 0xff, v134
	s_delay_alu instid0(VALU_DEP_3) | instskip(SKIP_1) | instid1(VALU_DEP_1)
	v_and_b32_e32 v139, 0xff, v2
	s_wait_xcnt 0x1
	v_cmp_eq_u16_e64 s3, 0, v139
	s_wait_loadcnt 0x1e
	v_dual_cndmask_b32 v7, v7, v11 :: v_dual_cndmask_b32 v6, v6, v10
	v_dual_cndmask_b32 v9, v9, v13 :: v_dual_cndmask_b32 v8, v8, v12
	v_cmp_eq_u16_e64 vcc_lo, 0, v135
	v_dual_lshrrev_b32 v135, 8, v3 :: v_dual_lshrrev_b32 v138, 24, v3
	s_wait_loadcnt 0x1c
	s_delay_alu instid0(VALU_DEP_2)
	v_dual_lshrrev_b32 v3, 8, v4 :: v_dual_cndmask_b32 v11, v15, v19, vcc_lo
	v_dual_cndmask_b32 v13, v17, v21 :: v_dual_cndmask_b32 v10, v14, v18
	v_cndmask_b32_e32 v12, v16, v20, vcc_lo
	v_and_b32_e32 v14, 0xff, v4
	v_dual_lshrrev_b32 v15, 16, v4 :: v_dual_lshrrev_b32 v16, 24, v4
	v_dual_lshrrev_b32 v17, 16, v5 :: v_dual_lshrrev_b32 v4, 8, v5
	v_cmp_eq_u16_e64 vcc_lo, 0, v136
	v_lshrrev_b32_e32 v20, 24, v5
	v_and_b32_e32 v18, 0xff, v5
	v_and_b32_e32 v135, 0xff, v135
	;; [unrolled: 1-line block ×4, first 2 shown]
	s_wait_loadcnt 0x1a
	v_dual_cndmask_b32 v3, v23, v27 :: v_dual_cndmask_b32 v2, v22, v26
	v_dual_cndmask_b32 v5, v25, v29 :: v_dual_cndmask_b32 v4, v24, v28
	v_cmp_eq_u16_e64 vcc_lo, 0, v138
	v_cmp_eq_u16_e64 s0, 0, v14
	v_cmp_eq_u16_e64 s1, 0, v16
	v_cmp_eq_u16_e64 s2, 0, v20
	v_and_b32_e32 v136, 0xff, v15
	v_and_b32_e32 v142, 0xff, v17
	s_wait_loadcnt 0x18
	v_cndmask_b32_e32 v15, v31, v35, vcc_lo
	s_wait_loadcnt 0x16
	v_dual_cndmask_b32 v19, v39, v43, s0 :: v_dual_cndmask_b32 v14, v30, v34, vcc_lo
	s_wait_loadcnt 0x14
	v_dual_cndmask_b32 v23, v47, v51, s1 :: v_dual_cndmask_b32 v17, v33, v37, vcc_lo
	v_cndmask_b32_e32 v16, v32, v36, vcc_lo
	v_cmp_eq_u16_e32 vcc_lo, 0, v18
	s_wait_loadcnt 0x10
	v_dual_cndmask_b32 v31, v63, v67, s2 :: v_dual_cndmask_b32 v18, v38, v42, s0
	v_dual_cndmask_b32 v21, v41, v45, s0 :: v_dual_cndmask_b32 v20, v40, v44, s0
	v_cmp_eq_u16_e64 s0, 0, v134
	s_wait_xcnt 0x0
	v_cmp_eq_u16_e64 s4, 0, v135
	s_wait_loadcnt 0xc
	v_dual_cndmask_b32 v39, v79, v83, s3 :: v_dual_cndmask_b32 v25, v49, v53, s1
	v_dual_cndmask_b32 v22, v46, v50, s1 :: v_dual_cndmask_b32 v35, v71, v75, s0
	s_wait_loadcnt 0xa
	v_dual_cndmask_b32 v43, v87, v91, s4 :: v_dual_cndmask_b32 v24, v48, v52, s1
	v_cmp_eq_u16_e64 s1, 0, v137
	v_cmp_eq_u16_e64 s5, 0, v140
	;; [unrolled: 1-line block ×3, first 2 shown]
	v_dual_cndmask_b32 v27, v55, v59 :: v_dual_cndmask_b32 v26, v54, v58
	s_wait_loadcnt 0x8
	v_cndmask_b32_e64 v47, v95, v99, s1
	s_wait_loadcnt 0x6
	v_dual_cndmask_b32 v51, v103, v107, s5 :: v_dual_cndmask_b32 v29, v57, v61, vcc_lo
	s_wait_loadcnt 0x4
	v_dual_cndmask_b32 v55, v111, v115, s6 :: v_dual_cndmask_b32 v28, v56, v60, vcc_lo
	v_cmp_eq_u16_e64 vcc_lo, 0, v141
	v_cmp_eq_u16_e64 s7, 0, v142
	v_dual_cndmask_b32 v32, v64, v68, s2 :: v_dual_cndmask_b32 v34, v70, v74, s0
	v_dual_cndmask_b32 v37, v73, v77, s0 :: v_dual_cndmask_b32 v36, v72, v76, s0
	;; [unrolled: 1-line block ×4, first 2 shown]
	s_wait_loadcnt 0x2
	v_dual_cndmask_b32 v59, v119, v123, vcc_lo :: v_dual_cndmask_b32 v30, v62, v66, s2
	s_wait_loadcnt 0x0
	v_dual_cndmask_b32 v63, v127, v131, s7 :: v_dual_cndmask_b32 v33, v65, v69, s2
	v_dual_cndmask_b32 v45, v89, v93, s4 :: v_dual_cndmask_b32 v44, v88, v92, s4
	;; [unrolled: 1-line block ×6, first 2 shown]
	v_dual_cndmask_b32 v56, v112, v116, s6 :: v_dual_cndmask_b32 v58, v118, v122, vcc_lo
	v_dual_cndmask_b32 v61, v121, v125 :: v_dual_cndmask_b32 v60, v120, v124
	v_dual_cndmask_b32 v62, v126, v130, s7 :: v_dual_cndmask_b32 v65, v129, v133, s7
	v_cndmask_b32_e64 v64, v128, v132, s7
	s_clause 0xf
	global_store_b128 v1, v[6:9], s[18:19]
	global_store_b128 v1, v[34:37], s[18:19] offset:16
	global_store_b128 v1, v[38:41], s[18:19] offset:32
	;; [unrolled: 1-line block ×15, first 2 shown]
.LBB26_2:
	s_and_not1_b32 vcc_lo, exec_lo, s17
	s_cbranch_vccnz .LBB26_51
; %bb.3:
	s_wait_xcnt 0xb
	v_mov_b64_e32 v[2:3], 0
	v_mov_b64_e32 v[10:11], 0
	;; [unrolled: 1-line block ×5, first 2 shown]
	s_wait_xcnt 0x0
	v_dual_mov_b32 v1, v0 :: v_dual_bitop2_b32 v131, s16, v0 bitop3:0x54
	v_cmp_gt_i32_e32 vcc_lo, s20, v0
	v_or_b32_e32 v130, 0x100, v0
	v_mov_b32_e32 v132, v0
	s_mov_b32 s1, 0
	s_mov_b32 s2, 0
	s_and_saveexec_b32 s3, vcc_lo
	s_cbranch_execz .LBB26_5
; %bb.4:
	s_clause 0x2
	global_load_u8 v4, v131, s[10:11]
	global_load_b128 v[6:9], v131, s[12:13] scale_offset
	global_load_b128 v[10:13], v131, s[14:15] scale_offset
	v_or_b32_e32 v132, 0x100, v0
	s_wait_loadcnt 0x2
	v_cmp_ne_u16_e64 s0, 0, v4
	s_and_b32 s2, s0, exec_lo
.LBB26_5:
	s_wait_xcnt 0x0
	s_or_b32 exec_lo, exec_lo, s3
	v_mov_b64_e32 v[4:5], 0
	v_mov_b64_e32 v[18:19], 0
	v_mov_b64_e32 v[20:21], 0
	s_mov_b32 s3, exec_lo
	v_cmpx_gt_i32_e64 s20, v132
	s_cbranch_execz .LBB26_7
; %bb.6:
	v_add_nc_u32_e32 v14, s16, v132
	v_add_nc_u32_e32 v132, 0x100, v132
	s_clause 0x2
	global_load_u8 v15, v14, s[10:11]
	global_load_b128 v[18:21], v14, s[12:13] scale_offset
	global_load_b128 v[2:5], v14, s[14:15] scale_offset
	s_wait_loadcnt 0x2
	v_cmp_ne_u16_e64 s0, 0, v15
	s_and_b32 s1, s0, exec_lo
.LBB26_7:
	s_wait_xcnt 0x0
	s_or_b32 exec_lo, exec_lo, s3
	v_mov_b64_e32 v[14:15], 0
	v_mov_b64_e32 v[26:27], 0
	v_mov_b64_e32 v[28:29], 0
	v_mov_b64_e32 v[22:23], 0
	v_mov_b64_e32 v[24:25], 0
	s_mov_b32 s3, 0
	s_mov_b32 s4, 0
	s_mov_b32 s5, exec_lo
	v_cmpx_gt_i32_e64 s20, v132
	s_cbranch_execz .LBB26_9
; %bb.8:
	v_add_nc_u32_e32 v16, s16, v132
	v_add_nc_u32_e32 v132, 0x100, v132
	s_clause 0x2
	global_load_u8 v17, v16, s[10:11]
	global_load_b128 v[22:25], v16, s[12:13] scale_offset
	global_load_b128 v[26:29], v16, s[14:15] scale_offset
	s_wait_loadcnt 0x2
	v_cmp_ne_u16_e64 s0, 0, v17
	s_and_b32 s4, s0, exec_lo
.LBB26_9:
	s_wait_xcnt 0x0
	s_or_b32 exec_lo, exec_lo, s5
	v_mov_b64_e32 v[16:17], 0
	v_mov_b64_e32 v[34:35], 0
	v_mov_b64_e32 v[36:37], 0
	s_mov_b32 s5, exec_lo
	v_cmpx_gt_i32_e64 s20, v132
	s_cbranch_execz .LBB26_11
; %bb.10:
	v_add_nc_u32_e32 v30, s16, v132
	v_add_nc_u32_e32 v132, 0x100, v132
	s_clause 0x2
	global_load_u8 v31, v30, s[10:11]
	global_load_b128 v[34:37], v30, s[12:13] scale_offset
	global_load_b128 v[14:17], v30, s[14:15] scale_offset
	s_wait_loadcnt 0x2
	v_cmp_ne_u16_e64 s0, 0, v31
	s_and_b32 s3, s0, exec_lo
.LBB26_11:
	s_wait_xcnt 0x0
	s_or_b32 exec_lo, exec_lo, s5
	v_mov_b64_e32 v[30:31], 0
	v_mov_b64_e32 v[42:43], 0
	v_mov_b64_e32 v[44:45], 0
	v_mov_b64_e32 v[38:39], 0
	v_mov_b64_e32 v[40:41], 0
	s_mov_b32 s5, 0
	s_mov_b32 s6, 0
	s_mov_b32 s7, exec_lo
	v_cmpx_gt_i32_e64 s20, v132
	s_cbranch_execz .LBB26_13
; %bb.12:
	v_add_nc_u32_e32 v32, s16, v132
	v_add_nc_u32_e32 v132, 0x100, v132
	s_clause 0x2
	global_load_u8 v33, v32, s[10:11]
	global_load_b128 v[38:41], v32, s[12:13] scale_offset
	global_load_b128 v[42:45], v32, s[14:15] scale_offset
	s_wait_loadcnt 0x2
	v_cmp_ne_u16_e64 s0, 0, v33
	s_and_b32 s6, s0, exec_lo
.LBB26_13:
	s_wait_xcnt 0x0
	s_or_b32 exec_lo, exec_lo, s7
	v_mov_b64_e32 v[32:33], 0
	v_mov_b64_e32 v[50:51], 0
	v_mov_b64_e32 v[52:53], 0
	s_mov_b32 s7, exec_lo
	v_cmpx_gt_i32_e64 s20, v132
	s_cbranch_execz .LBB26_15
; %bb.14:
	v_add_nc_u32_e32 v46, s16, v132
	v_add_nc_u32_e32 v132, 0x100, v132
	s_clause 0x2
	global_load_u8 v47, v46, s[10:11]
	global_load_b128 v[50:53], v46, s[12:13] scale_offset
	global_load_b128 v[30:33], v46, s[14:15] scale_offset
	s_wait_loadcnt 0x2
	v_cmp_ne_u16_e64 s0, 0, v47
	s_and_b32 s5, s0, exec_lo
.LBB26_15:
	s_wait_xcnt 0x0
	s_or_b32 exec_lo, exec_lo, s7
	v_mov_b64_e32 v[46:47], 0
	v_mov_b64_e32 v[58:59], 0
	v_mov_b64_e32 v[60:61], 0
	v_mov_b64_e32 v[54:55], 0
	v_mov_b64_e32 v[56:57], 0
	s_mov_b32 s7, 0
	s_mov_b32 s17, 0
	s_mov_b32 s18, exec_lo
	v_cmpx_gt_i32_e64 s20, v132
	s_cbranch_execz .LBB26_17
; %bb.16:
	v_add_nc_u32_e32 v48, s16, v132
	v_add_nc_u32_e32 v132, 0x100, v132
	s_clause 0x2
	global_load_u8 v49, v48, s[10:11]
	global_load_b128 v[54:57], v48, s[12:13] scale_offset
	global_load_b128 v[58:61], v48, s[14:15] scale_offset
	s_wait_loadcnt 0x2
	v_cmp_ne_u16_e64 s0, 0, v49
	s_and_b32 s17, s0, exec_lo
.LBB26_17:
	s_wait_xcnt 0x0
	s_or_b32 exec_lo, exec_lo, s18
	v_mov_b64_e32 v[48:49], 0
	v_mov_b64_e32 v[66:67], 0
	v_mov_b64_e32 v[68:69], 0
	s_mov_b32 s18, exec_lo
	v_cmpx_gt_i32_e64 s20, v132
	s_cbranch_execz .LBB26_19
; %bb.18:
	v_add_nc_u32_e32 v62, s16, v132
	v_add_nc_u32_e32 v132, 0x100, v132
	s_clause 0x2
	global_load_u8 v63, v62, s[10:11]
	global_load_b128 v[66:69], v62, s[12:13] scale_offset
	global_load_b128 v[46:49], v62, s[14:15] scale_offset
	s_wait_loadcnt 0x2
	v_cmp_ne_u16_e64 s0, 0, v63
	s_and_b32 s7, s0, exec_lo
.LBB26_19:
	s_wait_xcnt 0x0
	s_or_b32 exec_lo, exec_lo, s18
	v_mov_b64_e32 v[62:63], 0
	v_mov_b64_e32 v[74:75], 0
	v_mov_b64_e32 v[76:77], 0
	v_mov_b64_e32 v[70:71], 0
	v_mov_b64_e32 v[72:73], 0
	s_mov_b32 s18, 0
	s_mov_b32 s19, 0
	s_mov_b32 s21, exec_lo
	v_cmpx_gt_i32_e64 s20, v132
	s_cbranch_execz .LBB26_21
; %bb.20:
	v_add_nc_u32_e32 v64, s16, v132
	v_add_nc_u32_e32 v132, 0x100, v132
	s_clause 0x2
	global_load_u8 v65, v64, s[10:11]
	global_load_b128 v[70:73], v64, s[12:13] scale_offset
	global_load_b128 v[74:77], v64, s[14:15] scale_offset
	s_wait_loadcnt 0x2
	v_cmp_ne_u16_e64 s0, 0, v65
	s_and_b32 s19, s0, exec_lo
.LBB26_21:
	s_wait_xcnt 0x0
	s_or_b32 exec_lo, exec_lo, s21
	v_mov_b64_e32 v[64:65], 0
	v_mov_b64_e32 v[82:83], 0
	v_mov_b64_e32 v[84:85], 0
	s_mov_b32 s21, exec_lo
	v_cmpx_gt_i32_e64 s20, v132
	s_cbranch_execz .LBB26_23
; %bb.22:
	v_add_nc_u32_e32 v78, s16, v132
	v_add_nc_u32_e32 v132, 0x100, v132
	s_clause 0x2
	global_load_u8 v79, v78, s[10:11]
	global_load_b128 v[82:85], v78, s[12:13] scale_offset
	global_load_b128 v[62:65], v78, s[14:15] scale_offset
	s_wait_loadcnt 0x2
	v_cmp_ne_u16_e64 s0, 0, v79
	s_and_b32 s18, s0, exec_lo
.LBB26_23:
	s_wait_xcnt 0x0
	s_or_b32 exec_lo, exec_lo, s21
	v_mov_b64_e32 v[78:79], 0
	v_mov_b64_e32 v[90:91], 0
	v_mov_b64_e32 v[92:93], 0
	v_mov_b64_e32 v[86:87], 0
	v_mov_b64_e32 v[88:89], 0
	s_mov_b32 s21, 0
	s_mov_b32 s22, 0
	s_mov_b32 s23, exec_lo
	v_cmpx_gt_i32_e64 s20, v132
	s_cbranch_execz .LBB26_25
; %bb.24:
	v_add_nc_u32_e32 v80, s16, v132
	v_add_nc_u32_e32 v132, 0x100, v132
	s_clause 0x2
	global_load_u8 v81, v80, s[10:11]
	global_load_b128 v[86:89], v80, s[12:13] scale_offset
	global_load_b128 v[90:93], v80, s[14:15] scale_offset
	s_wait_loadcnt 0x2
	v_cmp_ne_u16_e64 s0, 0, v81
	s_and_b32 s22, s0, exec_lo
.LBB26_25:
	s_wait_xcnt 0x0
	s_or_b32 exec_lo, exec_lo, s23
	v_mov_b64_e32 v[80:81], 0
	v_mov_b64_e32 v[98:99], 0
	v_mov_b64_e32 v[100:101], 0
	s_mov_b32 s23, exec_lo
	v_cmpx_gt_i32_e64 s20, v132
	s_cbranch_execz .LBB26_27
; %bb.26:
	v_add_nc_u32_e32 v94, s16, v132
	v_add_nc_u32_e32 v132, 0x100, v132
	s_clause 0x2
	global_load_u8 v95, v94, s[10:11]
	global_load_b128 v[98:101], v94, s[12:13] scale_offset
	global_load_b128 v[78:81], v94, s[14:15] scale_offset
	s_wait_loadcnt 0x2
	v_cmp_ne_u16_e64 s0, 0, v95
	s_and_b32 s21, s0, exec_lo
.LBB26_27:
	s_wait_xcnt 0x0
	s_or_b32 exec_lo, exec_lo, s23
	v_mov_b64_e32 v[94:95], 0
	v_mov_b64_e32 v[106:107], 0
	v_mov_b64_e32 v[108:109], 0
	v_mov_b64_e32 v[102:103], 0
	v_mov_b64_e32 v[104:105], 0
	s_mov_b32 s23, 0
	s_mov_b32 s24, 0
	s_mov_b32 s25, exec_lo
	v_cmpx_gt_i32_e64 s20, v132
	s_cbranch_execz .LBB26_29
; %bb.28:
	v_add_nc_u32_e32 v96, s16, v132
	v_add_nc_u32_e32 v132, 0x100, v132
	s_clause 0x2
	global_load_u8 v97, v96, s[10:11]
	global_load_b128 v[102:105], v96, s[12:13] scale_offset
	global_load_b128 v[106:109], v96, s[14:15] scale_offset
	s_wait_loadcnt 0x2
	v_cmp_ne_u16_e64 s0, 0, v97
	s_and_b32 s24, s0, exec_lo
.LBB26_29:
	s_wait_xcnt 0x0
	s_or_b32 exec_lo, exec_lo, s25
	v_mov_b64_e32 v[96:97], 0
	v_mov_b64_e32 v[114:115], 0
	v_mov_b64_e32 v[116:117], 0
	s_mov_b32 s25, exec_lo
	v_cmpx_gt_i32_e64 s20, v132
	s_cbranch_execz .LBB26_31
; %bb.30:
	v_add_nc_u32_e32 v110, s16, v132
	v_add_nc_u32_e32 v132, 0x100, v132
	s_clause 0x2
	global_load_u8 v111, v110, s[10:11]
	global_load_b128 v[114:117], v110, s[12:13] scale_offset
	global_load_b128 v[94:97], v110, s[14:15] scale_offset
	s_wait_loadcnt 0x2
	v_cmp_ne_u16_e64 s0, 0, v111
	s_and_b32 s23, s0, exec_lo
.LBB26_31:
	s_wait_xcnt 0x0
	s_or_b32 exec_lo, exec_lo, s25
	v_mov_b64_e32 v[110:111], 0
	v_mov_b64_e32 v[122:123], 0
	v_mov_b64_e32 v[124:125], 0
	v_mov_b64_e32 v[118:119], 0
	v_mov_b64_e32 v[120:121], 0
	s_mov_b32 s25, 0
	s_mov_b32 s26, 0
	s_mov_b32 s27, exec_lo
	v_cmpx_gt_i32_e64 s20, v132
	s_cbranch_execz .LBB26_33
; %bb.32:
	v_add_nc_u32_e32 v112, s16, v132
	v_add_nc_u32_e32 v132, 0x100, v132
	s_clause 0x2
	global_load_u8 v113, v112, s[10:11]
	global_load_b128 v[118:121], v112, s[12:13] scale_offset
	global_load_b128 v[122:125], v112, s[14:15] scale_offset
	s_wait_loadcnt 0x2
	v_cmp_ne_u16_e64 s0, 0, v113
	s_and_b32 s26, s0, exec_lo
.LBB26_33:
	s_wait_xcnt 0x0
	s_or_b32 exec_lo, exec_lo, s27
	v_mov_b64_e32 v[112:113], 0
	v_mov_b64_e32 v[126:127], 0
	;; [unrolled: 1-line block ×3, first 2 shown]
	s_mov_b32 s27, exec_lo
	v_cmpx_gt_i32_e64 s20, v132
	s_cbranch_execnz .LBB26_52
; %bb.34:
	s_or_b32 exec_lo, exec_lo, s27
	s_and_saveexec_b32 s0, vcc_lo
	s_cbranch_execnz .LBB26_53
.LBB26_35:
	s_or_b32 exec_lo, exec_lo, s0
	s_delay_alu instid0(SALU_CYCLE_1)
	s_mov_b32 s0, exec_lo
	v_cmpx_gt_i32_e64 s20, v1
	s_cbranch_execnz .LBB26_54
.LBB26_36:
	s_or_b32 exec_lo, exec_lo, s0
	s_delay_alu instid0(SALU_CYCLE_1)
	s_mov_b32 s0, exec_lo
	v_cmpx_gt_i32_e64 s20, v1
	s_cbranch_execnz .LBB26_55
.LBB26_37:
	s_or_b32 exec_lo, exec_lo, s0
	s_delay_alu instid0(SALU_CYCLE_1)
	s_mov_b32 s0, exec_lo
	v_cmpx_gt_i32_e64 s20, v1
	s_cbranch_execnz .LBB26_56
.LBB26_38:
	s_or_b32 exec_lo, exec_lo, s0
	s_delay_alu instid0(SALU_CYCLE_1)
	s_mov_b32 s0, exec_lo
	v_cmpx_gt_i32_e64 s20, v1
	s_cbranch_execnz .LBB26_57
.LBB26_39:
	s_or_b32 exec_lo, exec_lo, s0
	s_delay_alu instid0(SALU_CYCLE_1)
	s_mov_b32 s0, exec_lo
	v_cmpx_gt_i32_e64 s20, v1
	s_cbranch_execnz .LBB26_58
.LBB26_40:
	s_or_b32 exec_lo, exec_lo, s0
	s_delay_alu instid0(SALU_CYCLE_1)
	s_mov_b32 s0, exec_lo
	v_cmpx_gt_i32_e64 s20, v1
	s_cbranch_execnz .LBB26_59
.LBB26_41:
	s_or_b32 exec_lo, exec_lo, s0
	s_delay_alu instid0(SALU_CYCLE_1)
	s_mov_b32 s0, exec_lo
	v_cmpx_gt_i32_e64 s20, v1
	s_cbranch_execnz .LBB26_60
.LBB26_42:
	s_or_b32 exec_lo, exec_lo, s0
	s_delay_alu instid0(SALU_CYCLE_1)
	s_mov_b32 s0, exec_lo
	v_cmpx_gt_i32_e64 s20, v1
	s_cbranch_execnz .LBB26_61
.LBB26_43:
	s_or_b32 exec_lo, exec_lo, s0
	s_delay_alu instid0(SALU_CYCLE_1)
	s_mov_b32 s0, exec_lo
	v_cmpx_gt_i32_e64 s20, v1
	s_cbranch_execnz .LBB26_62
.LBB26_44:
	s_or_b32 exec_lo, exec_lo, s0
	s_delay_alu instid0(SALU_CYCLE_1)
	s_mov_b32 s0, exec_lo
	v_cmpx_gt_i32_e64 s20, v1
	s_cbranch_execnz .LBB26_63
.LBB26_45:
	s_or_b32 exec_lo, exec_lo, s0
	s_delay_alu instid0(SALU_CYCLE_1)
	s_mov_b32 s0, exec_lo
	v_cmpx_gt_i32_e64 s20, v1
	s_cbranch_execnz .LBB26_64
.LBB26_46:
	s_or_b32 exec_lo, exec_lo, s0
	s_delay_alu instid0(SALU_CYCLE_1)
	s_mov_b32 s0, exec_lo
	v_cmpx_gt_i32_e64 s20, v1
	s_cbranch_execnz .LBB26_65
.LBB26_47:
	s_or_b32 exec_lo, exec_lo, s0
	s_delay_alu instid0(SALU_CYCLE_1)
	s_mov_b32 s0, exec_lo
	v_cmpx_gt_i32_e64 s20, v1
	s_cbranch_execnz .LBB26_66
.LBB26_48:
	s_or_b32 exec_lo, exec_lo, s0
	s_delay_alu instid0(SALU_CYCLE_1)
	s_mov_b32 s0, exec_lo
	v_cmpx_gt_i32_e64 s20, v1
	s_cbranch_execnz .LBB26_67
.LBB26_49:
	s_or_b32 exec_lo, exec_lo, s0
	s_delay_alu instid0(SALU_CYCLE_1)
	s_mov_b32 s0, exec_lo
	v_cmpx_gt_i32_e64 s20, v1
	s_cbranch_execz .LBB26_51
.LBB26_50:
	v_or_b32_e32 v0, 0xf00, v0
	s_wait_loadcnt 0x0
	v_dual_cndmask_b32 v2, v110, v126, s25 :: v_dual_cndmask_b32 v3, v111, v127, s25
	v_cndmask_b32_e64 v4, v112, v128, s25
	s_delay_alu instid0(VALU_DEP_3) | instskip(NEXT) | instid1(VALU_DEP_3)
	v_cmp_gt_i32_e32 vcc_lo, s20, v0
	v_dual_cndmask_b32 v0, v113, v129, s25 :: v_dual_cndmask_b32 v3, 0, v3, vcc_lo
	s_delay_alu instid0(VALU_DEP_1) | instskip(NEXT) | instid1(VALU_DEP_4)
	v_dual_cndmask_b32 v2, 0, v2 :: v_dual_cndmask_b32 v5, 0, v0
	v_dual_add_nc_u32 v0, s16, v1 :: v_dual_cndmask_b32 v4, 0, v4, vcc_lo
	global_store_b128 v0, v[2:5], s[8:9] scale_offset
.LBB26_51:
	s_sendmsg sendmsg(MSG_DEALLOC_VGPRS)
	s_endpgm
.LBB26_52:
	v_add_nc_u32_e32 v132, s16, v132
	s_clause 0x2
	global_load_u8 v133, v132, s[10:11]
	global_load_b128 v[126:129], v132, s[12:13] scale_offset
	global_load_b128 v[110:113], v132, s[14:15] scale_offset
	s_wait_loadcnt 0x2
	v_cmp_ne_u16_e64 s0, 0, v133
	s_and_b32 s25, s0, exec_lo
	s_wait_xcnt 0x0
	s_or_b32 exec_lo, exec_lo, s27
	s_and_saveexec_b32 s0, vcc_lo
	s_cbranch_execz .LBB26_35
.LBB26_53:
	s_wait_loadcnt 0x0
	v_dual_cndmask_b32 v7, v11, v7, s2 :: v_dual_cndmask_b32 v6, v10, v6, s2
	v_dual_cndmask_b32 v9, v13, v9, s2 :: v_dual_cndmask_b32 v8, v12, v8, s2
	v_mov_b32_e32 v1, v130
	global_store_b128 v131, v[6:9], s[8:9] scale_offset
	s_wait_xcnt 0x0
	s_or_b32 exec_lo, exec_lo, s0
	s_delay_alu instid0(SALU_CYCLE_1)
	s_mov_b32 s0, exec_lo
	v_cmpx_gt_i32_e64 s20, v1
	s_cbranch_execz .LBB26_36
.LBB26_54:
	s_wait_loadcnt 0x0
	v_dual_cndmask_b32 v5, v5, v21, s1 :: v_dual_cndmask_b32 v4, v4, v20, s1
	v_cmp_gt_i32_e32 vcc_lo, s20, v130
	v_dual_cndmask_b32 v3, v3, v19, s1 :: v_dual_cndmask_b32 v2, v2, v18, s1
	v_add_nc_u32_e32 v6, s16, v1
	v_add_nc_u32_e32 v1, 0x100, v1
	v_dual_cndmask_b32 v5, 0, v5 :: v_dual_cndmask_b32 v4, 0, v4
	s_delay_alu instid0(VALU_DEP_4) | instskip(SKIP_3) | instid1(SALU_CYCLE_1)
	v_dual_cndmask_b32 v3, 0, v3 :: v_dual_cndmask_b32 v2, 0, v2
	global_store_b128 v6, v[2:5], s[8:9] scale_offset
	s_wait_xcnt 0x0
	s_or_b32 exec_lo, exec_lo, s0
	s_mov_b32 s0, exec_lo
	v_cmpx_gt_i32_e64 s20, v1
	s_cbranch_execz .LBB26_37
.LBB26_55:
	s_wait_loadcnt 0x0
	v_or_b32_e32 v2, 0x200, v0
	v_dual_cndmask_b32 v3, v28, v24, s4 :: v_dual_cndmask_b32 v4, v29, v25, s4
	v_cndmask_b32_e64 v6, v26, v22, s4
	s_delay_alu instid0(VALU_DEP_3) | instskip(NEXT) | instid1(VALU_DEP_3)
	v_cmp_gt_i32_e32 vcc_lo, s20, v2
	v_dual_cndmask_b32 v2, v27, v23, s4 :: v_dual_cndmask_b32 v5, 0, v4, vcc_lo
	s_delay_alu instid0(VALU_DEP_1) | instskip(NEXT) | instid1(VALU_DEP_4)
	v_dual_cndmask_b32 v4, 0, v3 :: v_dual_cndmask_b32 v3, 0, v2
	v_dual_cndmask_b32 v2, 0, v6, vcc_lo :: v_dual_add_nc_u32 v6, s16, v1
	v_add_nc_u32_e32 v1, 0x100, v1
	global_store_b128 v6, v[2:5], s[8:9] scale_offset
	s_wait_xcnt 0x0
	s_or_b32 exec_lo, exec_lo, s0
	s_delay_alu instid0(SALU_CYCLE_1)
	s_mov_b32 s0, exec_lo
	v_cmpx_gt_i32_e64 s20, v1
	s_cbranch_execz .LBB26_38
.LBB26_56:
	s_wait_loadcnt 0x0
	v_or_b32_e32 v2, 0x300, v0
	v_dual_cndmask_b32 v3, v16, v36, s3 :: v_dual_cndmask_b32 v4, v17, v37, s3
	v_cndmask_b32_e64 v6, v14, v34, s3
	s_delay_alu instid0(VALU_DEP_3) | instskip(NEXT) | instid1(VALU_DEP_3)
	v_cmp_gt_i32_e32 vcc_lo, s20, v2
	v_dual_cndmask_b32 v2, v15, v35, s3 :: v_dual_cndmask_b32 v5, 0, v4, vcc_lo
	s_delay_alu instid0(VALU_DEP_1) | instskip(NEXT) | instid1(VALU_DEP_4)
	v_dual_cndmask_b32 v4, 0, v3 :: v_dual_cndmask_b32 v3, 0, v2
	v_dual_cndmask_b32 v2, 0, v6, vcc_lo :: v_dual_add_nc_u32 v6, s16, v1
	v_add_nc_u32_e32 v1, 0x100, v1
	global_store_b128 v6, v[2:5], s[8:9] scale_offset
	s_wait_xcnt 0x0
	s_or_b32 exec_lo, exec_lo, s0
	s_delay_alu instid0(SALU_CYCLE_1)
	s_mov_b32 s0, exec_lo
	v_cmpx_gt_i32_e64 s20, v1
	s_cbranch_execz .LBB26_39
.LBB26_57:
	s_wait_loadcnt 0x0
	v_or_b32_e32 v2, 0x400, v0
	v_dual_cndmask_b32 v3, v44, v40, s6 :: v_dual_cndmask_b32 v4, v45, v41, s6
	v_cndmask_b32_e64 v6, v42, v38, s6
	s_delay_alu instid0(VALU_DEP_3) | instskip(NEXT) | instid1(VALU_DEP_3)
	v_cmp_gt_i32_e32 vcc_lo, s20, v2
	v_dual_cndmask_b32 v2, v43, v39, s6 :: v_dual_cndmask_b32 v5, 0, v4, vcc_lo
	s_delay_alu instid0(VALU_DEP_1) | instskip(NEXT) | instid1(VALU_DEP_4)
	v_dual_cndmask_b32 v4, 0, v3 :: v_dual_cndmask_b32 v3, 0, v2
	v_dual_cndmask_b32 v2, 0, v6, vcc_lo :: v_dual_add_nc_u32 v6, s16, v1
	v_add_nc_u32_e32 v1, 0x100, v1
	global_store_b128 v6, v[2:5], s[8:9] scale_offset
	s_wait_xcnt 0x0
	s_or_b32 exec_lo, exec_lo, s0
	s_delay_alu instid0(SALU_CYCLE_1)
	s_mov_b32 s0, exec_lo
	v_cmpx_gt_i32_e64 s20, v1
	s_cbranch_execz .LBB26_40
.LBB26_58:
	s_wait_loadcnt 0x0
	v_or_b32_e32 v2, 0x500, v0
	v_dual_cndmask_b32 v3, v32, v52, s5 :: v_dual_cndmask_b32 v4, v33, v53, s5
	v_cndmask_b32_e64 v6, v30, v50, s5
	s_delay_alu instid0(VALU_DEP_3) | instskip(NEXT) | instid1(VALU_DEP_3)
	v_cmp_gt_i32_e32 vcc_lo, s20, v2
	v_dual_cndmask_b32 v2, v31, v51, s5 :: v_dual_cndmask_b32 v5, 0, v4, vcc_lo
	s_delay_alu instid0(VALU_DEP_1) | instskip(NEXT) | instid1(VALU_DEP_4)
	v_dual_cndmask_b32 v4, 0, v3 :: v_dual_cndmask_b32 v3, 0, v2
	v_dual_cndmask_b32 v2, 0, v6, vcc_lo :: v_dual_add_nc_u32 v6, s16, v1
	v_add_nc_u32_e32 v1, 0x100, v1
	global_store_b128 v6, v[2:5], s[8:9] scale_offset
	s_wait_xcnt 0x0
	s_or_b32 exec_lo, exec_lo, s0
	s_delay_alu instid0(SALU_CYCLE_1)
	s_mov_b32 s0, exec_lo
	v_cmpx_gt_i32_e64 s20, v1
	s_cbranch_execz .LBB26_41
.LBB26_59:
	s_wait_loadcnt 0x0
	v_or_b32_e32 v2, 0x600, v0
	v_dual_cndmask_b32 v3, v60, v56, s17 :: v_dual_cndmask_b32 v4, v61, v57, s17
	v_cndmask_b32_e64 v6, v58, v54, s17
	s_delay_alu instid0(VALU_DEP_3) | instskip(NEXT) | instid1(VALU_DEP_3)
	v_cmp_gt_i32_e32 vcc_lo, s20, v2
	v_dual_cndmask_b32 v2, v59, v55, s17 :: v_dual_cndmask_b32 v5, 0, v4, vcc_lo
	s_delay_alu instid0(VALU_DEP_1) | instskip(NEXT) | instid1(VALU_DEP_4)
	v_dual_cndmask_b32 v4, 0, v3 :: v_dual_cndmask_b32 v3, 0, v2
	v_dual_cndmask_b32 v2, 0, v6, vcc_lo :: v_dual_add_nc_u32 v6, s16, v1
	v_add_nc_u32_e32 v1, 0x100, v1
	global_store_b128 v6, v[2:5], s[8:9] scale_offset
	s_wait_xcnt 0x0
	s_or_b32 exec_lo, exec_lo, s0
	s_delay_alu instid0(SALU_CYCLE_1)
	s_mov_b32 s0, exec_lo
	v_cmpx_gt_i32_e64 s20, v1
	s_cbranch_execz .LBB26_42
.LBB26_60:
	s_wait_loadcnt 0x0
	v_or_b32_e32 v2, 0x700, v0
	v_dual_cndmask_b32 v3, v48, v68, s7 :: v_dual_cndmask_b32 v4, v49, v69, s7
	v_cndmask_b32_e64 v6, v46, v66, s7
	s_delay_alu instid0(VALU_DEP_3) | instskip(NEXT) | instid1(VALU_DEP_3)
	v_cmp_gt_i32_e32 vcc_lo, s20, v2
	v_dual_cndmask_b32 v2, v47, v67, s7 :: v_dual_cndmask_b32 v5, 0, v4, vcc_lo
	s_delay_alu instid0(VALU_DEP_1) | instskip(NEXT) | instid1(VALU_DEP_4)
	v_dual_cndmask_b32 v4, 0, v3 :: v_dual_cndmask_b32 v3, 0, v2
	v_dual_cndmask_b32 v2, 0, v6, vcc_lo :: v_dual_add_nc_u32 v6, s16, v1
	v_add_nc_u32_e32 v1, 0x100, v1
	global_store_b128 v6, v[2:5], s[8:9] scale_offset
	s_wait_xcnt 0x0
	s_or_b32 exec_lo, exec_lo, s0
	s_delay_alu instid0(SALU_CYCLE_1)
	s_mov_b32 s0, exec_lo
	v_cmpx_gt_i32_e64 s20, v1
	s_cbranch_execz .LBB26_43
.LBB26_61:
	s_wait_loadcnt 0x0
	v_or_b32_e32 v2, 0x800, v0
	v_dual_cndmask_b32 v4, v74, v70, s19 :: v_dual_cndmask_b32 v3, v75, v71, s19
	v_dual_cndmask_b32 v5, v77, v73, s19 :: v_dual_cndmask_b32 v6, v76, v72, s19
	s_delay_alu instid0(VALU_DEP_3) | instskip(NEXT) | instid1(VALU_DEP_3)
	v_cmp_gt_i32_e32 vcc_lo, s20, v2
	v_dual_cndmask_b32 v3, 0, v3 :: v_dual_cndmask_b32 v2, 0, v4
	s_delay_alu instid0(VALU_DEP_3)
	v_dual_cndmask_b32 v5, 0, v5 :: v_dual_cndmask_b32 v4, 0, v6
	v_add_nc_u32_e32 v6, s16, v1
	v_add_nc_u32_e32 v1, 0x100, v1
	global_store_b128 v6, v[2:5], s[8:9] scale_offset
	s_wait_xcnt 0x0
	s_or_b32 exec_lo, exec_lo, s0
	s_delay_alu instid0(SALU_CYCLE_1)
	s_mov_b32 s0, exec_lo
	v_cmpx_gt_i32_e64 s20, v1
	s_cbranch_execz .LBB26_44
.LBB26_62:
	s_wait_loadcnt 0x0
	v_or_b32_e32 v2, 0x900, v0
	v_dual_cndmask_b32 v4, v62, v82, s18 :: v_dual_cndmask_b32 v3, v63, v83, s18
	v_dual_cndmask_b32 v5, v65, v85, s18 :: v_dual_cndmask_b32 v6, v64, v84, s18
	s_delay_alu instid0(VALU_DEP_3) | instskip(NEXT) | instid1(VALU_DEP_3)
	v_cmp_gt_i32_e32 vcc_lo, s20, v2
	v_dual_cndmask_b32 v3, 0, v3 :: v_dual_cndmask_b32 v2, 0, v4
	s_delay_alu instid0(VALU_DEP_3)
	v_dual_cndmask_b32 v5, 0, v5 :: v_dual_cndmask_b32 v4, 0, v6
	v_add_nc_u32_e32 v6, s16, v1
	v_add_nc_u32_e32 v1, 0x100, v1
	global_store_b128 v6, v[2:5], s[8:9] scale_offset
	s_wait_xcnt 0x0
	s_or_b32 exec_lo, exec_lo, s0
	s_delay_alu instid0(SALU_CYCLE_1)
	s_mov_b32 s0, exec_lo
	v_cmpx_gt_i32_e64 s20, v1
	s_cbranch_execz .LBB26_45
.LBB26_63:
	s_wait_loadcnt 0x0
	v_or_b32_e32 v2, 0xa00, v0
	v_dual_cndmask_b32 v4, v90, v86, s22 :: v_dual_cndmask_b32 v3, v91, v87, s22
	v_dual_cndmask_b32 v5, v93, v89, s22 :: v_dual_cndmask_b32 v6, v92, v88, s22
	s_delay_alu instid0(VALU_DEP_3) | instskip(NEXT) | instid1(VALU_DEP_3)
	v_cmp_gt_i32_e32 vcc_lo, s20, v2
	v_dual_cndmask_b32 v3, 0, v3 :: v_dual_cndmask_b32 v2, 0, v4
	s_delay_alu instid0(VALU_DEP_3)
	v_dual_cndmask_b32 v5, 0, v5 :: v_dual_cndmask_b32 v4, 0, v6
	v_add_nc_u32_e32 v6, s16, v1
	v_add_nc_u32_e32 v1, 0x100, v1
	global_store_b128 v6, v[2:5], s[8:9] scale_offset
	s_wait_xcnt 0x0
	s_or_b32 exec_lo, exec_lo, s0
	s_delay_alu instid0(SALU_CYCLE_1)
	s_mov_b32 s0, exec_lo
	v_cmpx_gt_i32_e64 s20, v1
	s_cbranch_execz .LBB26_46
.LBB26_64:
	s_wait_loadcnt 0x0
	v_or_b32_e32 v2, 0xb00, v0
	v_dual_cndmask_b32 v4, v78, v98, s21 :: v_dual_cndmask_b32 v3, v79, v99, s21
	v_dual_cndmask_b32 v5, v81, v101, s21 :: v_dual_cndmask_b32 v6, v80, v100, s21
	s_delay_alu instid0(VALU_DEP_3) | instskip(NEXT) | instid1(VALU_DEP_3)
	v_cmp_gt_i32_e32 vcc_lo, s20, v2
	v_dual_cndmask_b32 v3, 0, v3 :: v_dual_cndmask_b32 v2, 0, v4
	s_delay_alu instid0(VALU_DEP_3)
	v_dual_cndmask_b32 v5, 0, v5 :: v_dual_cndmask_b32 v4, 0, v6
	v_add_nc_u32_e32 v6, s16, v1
	v_add_nc_u32_e32 v1, 0x100, v1
	global_store_b128 v6, v[2:5], s[8:9] scale_offset
	s_wait_xcnt 0x0
	s_or_b32 exec_lo, exec_lo, s0
	s_delay_alu instid0(SALU_CYCLE_1)
	s_mov_b32 s0, exec_lo
	v_cmpx_gt_i32_e64 s20, v1
	s_cbranch_execz .LBB26_47
.LBB26_65:
	s_wait_loadcnt 0x0
	v_or_b32_e32 v2, 0xc00, v0
	v_dual_cndmask_b32 v4, v106, v102, s24 :: v_dual_cndmask_b32 v3, v107, v103, s24
	v_dual_cndmask_b32 v5, v109, v105, s24 :: v_dual_cndmask_b32 v6, v108, v104, s24
	s_delay_alu instid0(VALU_DEP_3) | instskip(NEXT) | instid1(VALU_DEP_3)
	v_cmp_gt_i32_e32 vcc_lo, s20, v2
	v_dual_cndmask_b32 v3, 0, v3 :: v_dual_cndmask_b32 v2, 0, v4
	s_delay_alu instid0(VALU_DEP_3)
	v_dual_cndmask_b32 v5, 0, v5 :: v_dual_cndmask_b32 v4, 0, v6
	v_add_nc_u32_e32 v6, s16, v1
	v_add_nc_u32_e32 v1, 0x100, v1
	global_store_b128 v6, v[2:5], s[8:9] scale_offset
	s_wait_xcnt 0x0
	s_or_b32 exec_lo, exec_lo, s0
	s_delay_alu instid0(SALU_CYCLE_1)
	s_mov_b32 s0, exec_lo
	v_cmpx_gt_i32_e64 s20, v1
	s_cbranch_execz .LBB26_48
.LBB26_66:
	s_wait_loadcnt 0x0
	v_or_b32_e32 v2, 0xd00, v0
	v_dual_cndmask_b32 v4, v94, v114, s23 :: v_dual_cndmask_b32 v3, v95, v115, s23
	v_dual_cndmask_b32 v5, v97, v117, s23 :: v_dual_cndmask_b32 v6, v96, v116, s23
	s_delay_alu instid0(VALU_DEP_3) | instskip(NEXT) | instid1(VALU_DEP_3)
	v_cmp_gt_i32_e32 vcc_lo, s20, v2
	v_dual_cndmask_b32 v3, 0, v3 :: v_dual_cndmask_b32 v2, 0, v4
	s_delay_alu instid0(VALU_DEP_3)
	v_dual_cndmask_b32 v5, 0, v5 :: v_dual_cndmask_b32 v4, 0, v6
	v_add_nc_u32_e32 v6, s16, v1
	v_add_nc_u32_e32 v1, 0x100, v1
	global_store_b128 v6, v[2:5], s[8:9] scale_offset
	s_wait_xcnt 0x0
	s_or_b32 exec_lo, exec_lo, s0
	s_delay_alu instid0(SALU_CYCLE_1)
	s_mov_b32 s0, exec_lo
	v_cmpx_gt_i32_e64 s20, v1
	s_cbranch_execz .LBB26_49
.LBB26_67:
	s_wait_loadcnt 0x0
	v_or_b32_e32 v2, 0xe00, v0
	v_dual_cndmask_b32 v4, v122, v118, s26 :: v_dual_cndmask_b32 v3, v123, v119, s26
	v_dual_cndmask_b32 v5, v125, v121, s26 :: v_dual_cndmask_b32 v6, v124, v120, s26
	s_delay_alu instid0(VALU_DEP_3) | instskip(NEXT) | instid1(VALU_DEP_3)
	v_cmp_gt_i32_e32 vcc_lo, s20, v2
	v_dual_cndmask_b32 v3, 0, v3 :: v_dual_cndmask_b32 v2, 0, v4
	s_delay_alu instid0(VALU_DEP_3)
	v_dual_cndmask_b32 v5, 0, v5 :: v_dual_cndmask_b32 v4, 0, v6
	v_add_nc_u32_e32 v6, s16, v1
	v_add_nc_u32_e32 v1, 0x100, v1
	global_store_b128 v6, v[2:5], s[8:9] scale_offset
	s_wait_xcnt 0x0
	s_or_b32 exec_lo, exec_lo, s0
	s_delay_alu instid0(SALU_CYCLE_1)
	s_mov_b32 s0, exec_lo
	v_cmpx_gt_i32_e64 s20, v1
	s_cbranch_execnz .LBB26_50
	s_branch .LBB26_51
	.section	.rodata,"a",@progbits
	.p2align	6, 0x0
	.amdhsa_kernel _ZN2at6native29vectorized_elementwise_kernelILi16EZZZNS0_12_GLOBAL__N_117where_kernel_implERNS_14TensorIteratorEENKUlvE_clEvENKUlvE3_clEvEUlbN3c107complexIdEES9_E_St5arrayIPcLm4EEEEviT0_T1_
		.amdhsa_group_segment_fixed_size 0
		.amdhsa_private_segment_fixed_size 0
		.amdhsa_kernarg_size 40
		.amdhsa_user_sgpr_count 2
		.amdhsa_user_sgpr_dispatch_ptr 0
		.amdhsa_user_sgpr_queue_ptr 0
		.amdhsa_user_sgpr_kernarg_segment_ptr 1
		.amdhsa_user_sgpr_dispatch_id 0
		.amdhsa_user_sgpr_kernarg_preload_length 0
		.amdhsa_user_sgpr_kernarg_preload_offset 0
		.amdhsa_user_sgpr_private_segment_size 0
		.amdhsa_wavefront_size32 1
		.amdhsa_uses_dynamic_stack 0
		.amdhsa_enable_private_segment 0
		.amdhsa_system_sgpr_workgroup_id_x 1
		.amdhsa_system_sgpr_workgroup_id_y 0
		.amdhsa_system_sgpr_workgroup_id_z 0
		.amdhsa_system_sgpr_workgroup_info 0
		.amdhsa_system_vgpr_workitem_id 0
		.amdhsa_next_free_vgpr 143
		.amdhsa_next_free_sgpr 28
		.amdhsa_named_barrier_count 0
		.amdhsa_reserve_vcc 1
		.amdhsa_float_round_mode_32 0
		.amdhsa_float_round_mode_16_64 0
		.amdhsa_float_denorm_mode_32 3
		.amdhsa_float_denorm_mode_16_64 3
		.amdhsa_fp16_overflow 0
		.amdhsa_memory_ordered 1
		.amdhsa_forward_progress 1
		.amdhsa_inst_pref_size 43
		.amdhsa_round_robin_scheduling 0
		.amdhsa_exception_fp_ieee_invalid_op 0
		.amdhsa_exception_fp_denorm_src 0
		.amdhsa_exception_fp_ieee_div_zero 0
		.amdhsa_exception_fp_ieee_overflow 0
		.amdhsa_exception_fp_ieee_underflow 0
		.amdhsa_exception_fp_ieee_inexact 0
		.amdhsa_exception_int_div_zero 0
	.end_amdhsa_kernel
	.section	.text._ZN2at6native29vectorized_elementwise_kernelILi16EZZZNS0_12_GLOBAL__N_117where_kernel_implERNS_14TensorIteratorEENKUlvE_clEvENKUlvE3_clEvEUlbN3c107complexIdEES9_E_St5arrayIPcLm4EEEEviT0_T1_,"axG",@progbits,_ZN2at6native29vectorized_elementwise_kernelILi16EZZZNS0_12_GLOBAL__N_117where_kernel_implERNS_14TensorIteratorEENKUlvE_clEvENKUlvE3_clEvEUlbN3c107complexIdEES9_E_St5arrayIPcLm4EEEEviT0_T1_,comdat
.Lfunc_end26:
	.size	_ZN2at6native29vectorized_elementwise_kernelILi16EZZZNS0_12_GLOBAL__N_117where_kernel_implERNS_14TensorIteratorEENKUlvE_clEvENKUlvE3_clEvEUlbN3c107complexIdEES9_E_St5arrayIPcLm4EEEEviT0_T1_, .Lfunc_end26-_ZN2at6native29vectorized_elementwise_kernelILi16EZZZNS0_12_GLOBAL__N_117where_kernel_implERNS_14TensorIteratorEENKUlvE_clEvENKUlvE3_clEvEUlbN3c107complexIdEES9_E_St5arrayIPcLm4EEEEviT0_T1_
                                        ; -- End function
	.set _ZN2at6native29vectorized_elementwise_kernelILi16EZZZNS0_12_GLOBAL__N_117where_kernel_implERNS_14TensorIteratorEENKUlvE_clEvENKUlvE3_clEvEUlbN3c107complexIdEES9_E_St5arrayIPcLm4EEEEviT0_T1_.num_vgpr, 143
	.set _ZN2at6native29vectorized_elementwise_kernelILi16EZZZNS0_12_GLOBAL__N_117where_kernel_implERNS_14TensorIteratorEENKUlvE_clEvENKUlvE3_clEvEUlbN3c107complexIdEES9_E_St5arrayIPcLm4EEEEviT0_T1_.num_agpr, 0
	.set _ZN2at6native29vectorized_elementwise_kernelILi16EZZZNS0_12_GLOBAL__N_117where_kernel_implERNS_14TensorIteratorEENKUlvE_clEvENKUlvE3_clEvEUlbN3c107complexIdEES9_E_St5arrayIPcLm4EEEEviT0_T1_.numbered_sgpr, 28
	.set _ZN2at6native29vectorized_elementwise_kernelILi16EZZZNS0_12_GLOBAL__N_117where_kernel_implERNS_14TensorIteratorEENKUlvE_clEvENKUlvE3_clEvEUlbN3c107complexIdEES9_E_St5arrayIPcLm4EEEEviT0_T1_.num_named_barrier, 0
	.set _ZN2at6native29vectorized_elementwise_kernelILi16EZZZNS0_12_GLOBAL__N_117where_kernel_implERNS_14TensorIteratorEENKUlvE_clEvENKUlvE3_clEvEUlbN3c107complexIdEES9_E_St5arrayIPcLm4EEEEviT0_T1_.private_seg_size, 0
	.set _ZN2at6native29vectorized_elementwise_kernelILi16EZZZNS0_12_GLOBAL__N_117where_kernel_implERNS_14TensorIteratorEENKUlvE_clEvENKUlvE3_clEvEUlbN3c107complexIdEES9_E_St5arrayIPcLm4EEEEviT0_T1_.uses_vcc, 1
	.set _ZN2at6native29vectorized_elementwise_kernelILi16EZZZNS0_12_GLOBAL__N_117where_kernel_implERNS_14TensorIteratorEENKUlvE_clEvENKUlvE3_clEvEUlbN3c107complexIdEES9_E_St5arrayIPcLm4EEEEviT0_T1_.uses_flat_scratch, 0
	.set _ZN2at6native29vectorized_elementwise_kernelILi16EZZZNS0_12_GLOBAL__N_117where_kernel_implERNS_14TensorIteratorEENKUlvE_clEvENKUlvE3_clEvEUlbN3c107complexIdEES9_E_St5arrayIPcLm4EEEEviT0_T1_.has_dyn_sized_stack, 0
	.set _ZN2at6native29vectorized_elementwise_kernelILi16EZZZNS0_12_GLOBAL__N_117where_kernel_implERNS_14TensorIteratorEENKUlvE_clEvENKUlvE3_clEvEUlbN3c107complexIdEES9_E_St5arrayIPcLm4EEEEviT0_T1_.has_recursion, 0
	.set _ZN2at6native29vectorized_elementwise_kernelILi16EZZZNS0_12_GLOBAL__N_117where_kernel_implERNS_14TensorIteratorEENKUlvE_clEvENKUlvE3_clEvEUlbN3c107complexIdEES9_E_St5arrayIPcLm4EEEEviT0_T1_.has_indirect_call, 0
	.section	.AMDGPU.csdata,"",@progbits
; Kernel info:
; codeLenInByte = 5472
; TotalNumSgprs: 30
; NumVgprs: 143
; ScratchSize: 0
; MemoryBound: 1
; FloatMode: 240
; IeeeMode: 1
; LDSByteSize: 0 bytes/workgroup (compile time only)
; SGPRBlocks: 0
; VGPRBlocks: 8
; NumSGPRsForWavesPerEU: 30
; NumVGPRsForWavesPerEU: 143
; NamedBarCnt: 0
; Occupancy: 7
; WaveLimiterHint : 0
; COMPUTE_PGM_RSRC2:SCRATCH_EN: 0
; COMPUTE_PGM_RSRC2:USER_SGPR: 2
; COMPUTE_PGM_RSRC2:TRAP_HANDLER: 0
; COMPUTE_PGM_RSRC2:TGID_X_EN: 1
; COMPUTE_PGM_RSRC2:TGID_Y_EN: 0
; COMPUTE_PGM_RSRC2:TGID_Z_EN: 0
; COMPUTE_PGM_RSRC2:TIDIG_COMP_CNT: 0
	.section	.text._ZN2at6native29vectorized_elementwise_kernelILi8EZZZNS0_12_GLOBAL__N_117where_kernel_implERNS_14TensorIteratorEENKUlvE_clEvENKUlvE3_clEvEUlbN3c107complexIdEES9_E_St5arrayIPcLm4EEEEviT0_T1_,"axG",@progbits,_ZN2at6native29vectorized_elementwise_kernelILi8EZZZNS0_12_GLOBAL__N_117where_kernel_implERNS_14TensorIteratorEENKUlvE_clEvENKUlvE3_clEvEUlbN3c107complexIdEES9_E_St5arrayIPcLm4EEEEviT0_T1_,comdat
	.globl	_ZN2at6native29vectorized_elementwise_kernelILi8EZZZNS0_12_GLOBAL__N_117where_kernel_implERNS_14TensorIteratorEENKUlvE_clEvENKUlvE3_clEvEUlbN3c107complexIdEES9_E_St5arrayIPcLm4EEEEviT0_T1_ ; -- Begin function _ZN2at6native29vectorized_elementwise_kernelILi8EZZZNS0_12_GLOBAL__N_117where_kernel_implERNS_14TensorIteratorEENKUlvE_clEvENKUlvE3_clEvEUlbN3c107complexIdEES9_E_St5arrayIPcLm4EEEEviT0_T1_
	.p2align	8
	.type	_ZN2at6native29vectorized_elementwise_kernelILi8EZZZNS0_12_GLOBAL__N_117where_kernel_implERNS_14TensorIteratorEENKUlvE_clEvENKUlvE3_clEvEUlbN3c107complexIdEES9_E_St5arrayIPcLm4EEEEviT0_T1_,@function
_ZN2at6native29vectorized_elementwise_kernelILi8EZZZNS0_12_GLOBAL__N_117where_kernel_implERNS_14TensorIteratorEENKUlvE_clEvENKUlvE3_clEvEUlbN3c107complexIdEES9_E_St5arrayIPcLm4EEEEviT0_T1_: ; @_ZN2at6native29vectorized_elementwise_kernelILi8EZZZNS0_12_GLOBAL__N_117where_kernel_implERNS_14TensorIteratorEENKUlvE_clEvENKUlvE3_clEvEUlbN3c107complexIdEES9_E_St5arrayIPcLm4EEEEviT0_T1_
; %bb.0:
	s_clause 0x1
	s_load_b32 s2, s[0:1], 0x0
	s_load_b256 s[8:15], s[0:1], 0x8
	s_wait_xcnt 0x0
	s_bfe_u32 s0, ttmp6, 0x4000c
	s_and_b32 s1, ttmp6, 15
	s_add_co_i32 s0, s0, 1
	s_getreg_b32 s3, hwreg(HW_REG_IB_STS2, 6, 4)
	s_mul_i32 s0, ttmp9, s0
	s_mov_b32 s17, -1
	s_add_co_i32 s1, s1, s0
	s_cmp_eq_u32 s3, 0
	s_cselect_b32 s0, ttmp9, s1
	s_delay_alu instid0(SALU_CYCLE_1) | instskip(SKIP_2) | instid1(SALU_CYCLE_1)
	s_lshl_b32 s16, s0, 12
	s_wait_kmcnt 0x0
	s_sub_co_i32 s20, s2, s16
	s_cmp_gt_i32 s20, 0xfff
	s_cbranch_scc0 .LBB27_2
; %bb.1:
	s_ashr_i32 s17, s16, 31
	s_delay_alu instid0(SALU_CYCLE_1)
	s_add_nc_u64 s[2:3], s[10:11], s[16:17]
	s_lshl_b64 s[0:1], s[16:17], 4
	global_load_b64 v[130:131], v0, s[2:3] scale_offset
	s_add_nc_u64 s[4:5], s[12:13], s[0:1]
	s_add_nc_u64 s[6:7], s[14:15], s[0:1]
	;; [unrolled: 1-line block ×3, first 2 shown]
	s_mov_b32 s17, 0
	s_wait_loadcnt 0x0
	v_cmp_lt_u32_e32 vcc_lo, 0xffffff, v130
	v_lshlrev_b32_e32 v1, 7, v0
	v_and_b32_e32 v134, 0xff, v130
	v_and_b32_e32 v136, 0xff, v131
	;; [unrolled: 1-line block ×3, first 2 shown]
	s_clause 0x1
	global_load_b128 v[2:5], v1, s[4:5] offset:48
	global_load_b128 v[6:9], v1, s[6:7] offset:48
	global_load_b64 v[132:133], v0, s[2:3] offset:2048 scale_offset
	s_clause 0x1d
	global_load_b128 v[10:13], v1, s[4:5] offset:112
	global_load_b128 v[14:17], v1, s[6:7] offset:112
	;; [unrolled: 1-line block ×6, first 2 shown]
	global_load_b128 v[34:37], v1, s[6:7]
	global_load_b128 v[38:41], v1, s[4:5]
	global_load_b128 v[42:45], v1, s[4:5] offset:16
	global_load_b128 v[46:49], v1, s[6:7] offset:16
	;; [unrolled: 1-line block ×4, first 2 shown]
	; meta instruction
	global_load_b128 v[58:61], v1, s[6:7] offset:64
	global_load_b128 v[62:65], v1, s[4:5] offset:64
	;; [unrolled: 1-line block ×18, first 2 shown]
	v_and_b32_e32 v137, 0xff00, v131
	v_cmp_eq_u32_e64 s0, 0, v134
	s_wait_xcnt 0x1e
	v_cmp_eq_u32_e64 s2, 0, v136
	v_and_b32_e32 v130, 0xff0000, v130
	v_cmp_eq_u32_e64 s1, 0, v135
	s_wait_loadcnt 0x1f
	v_dual_cndmask_b32 v3, v7, v3 :: v_dual_cndmask_b32 v2, v6, v2
	v_dual_cndmask_b32 v5, v9, v5 :: v_dual_cndmask_b32 v4, v8, v4
	v_cmp_lt_u32_e32 vcc_lo, 0xffffff, v131
	v_and_b32_e32 v131, 0xff0000, v131
	s_wait_loadcnt 0x1e
	v_and_b32_e32 v138, 0xff, v132
	v_and_b32_e32 v139, 0xff00, v132
	;; [unrolled: 1-line block ×3, first 2 shown]
	s_wait_loadcnt 0x1c
	v_dual_cndmask_b32 v7, v15, v11 :: v_dual_cndmask_b32 v6, v14, v10
	v_dual_cndmask_b32 v9, v17, v13 :: v_dual_cndmask_b32 v8, v16, v12
	v_cmp_lt_u32_e32 vcc_lo, 0xffffff, v132
	v_and_b32_e32 v132, 0xff, v133
	v_cmp_eq_u32_e64 s3, 0, v131
	s_wait_xcnt 0x1
	v_cmp_eq_u32_e64 s4, 0, v138
	v_and_b32_e32 v141, 0xff00, v133
	s_wait_loadcnt 0x1a
	v_dual_cndmask_b32 v11, v23, v19 :: v_dual_cndmask_b32 v10, v22, v18
	v_dual_cndmask_b32 v13, v25, v21 :: v_dual_cndmask_b32 v12, v24, v20
	v_cmp_lt_u32_e32 vcc_lo, 0xffffff, v133
	s_wait_loadcnt 0x16
	v_dual_cndmask_b32 v19, v39, v35, s0 :: v_dual_cndmask_b32 v18, v38, v34, s0
	v_dual_cndmask_b32 v21, v41, v37, s0 :: v_dual_cndmask_b32 v20, v40, v36, s0
	v_cndmask_b32_e32 v15, v31, v27, vcc_lo
	s_wait_loadcnt 0x10
	v_cndmask_b32_e64 v31, v63, v59, s2
	v_cmp_eq_u32_e64 s0, 0, v137
	v_and_b32_e32 v142, 0xff0000, v133
	v_dual_cndmask_b32 v23, v43, v47, s1 :: v_dual_cndmask_b32 v17, v33, v29, vcc_lo
	v_dual_cndmask_b32 v14, v30, v26, vcc_lo :: v_dual_cndmask_b32 v16, v32, v28, vcc_lo
	v_cmp_eq_u32_e32 vcc_lo, 0, v130
	s_wait_loadcnt 0xe
	v_dual_cndmask_b32 v35, v67, v71, s0 :: v_dual_cndmask_b32 v22, v42, v46, s1
	s_wait_loadcnt 0xc
	v_dual_cndmask_b32 v39, v75, v79, s3 :: v_dual_cndmask_b32 v25, v45, v49, s1
	;; [unrolled: 2-line block ×3, first 2 shown]
	v_cmp_eq_u32_e64 s1, 0, v139
	v_cmp_eq_u32_e64 s5, 0, v140
	s_wait_xcnt 0x0
	v_cmp_eq_u32_e64 s6, 0, v132
	v_dual_cndmask_b32 v27, v51, v55 :: v_dual_cndmask_b32 v26, v50, v54
	s_wait_loadcnt 0x8
	v_cndmask_b32_e64 v47, v91, v95, s1
	s_wait_loadcnt 0x6
	v_dual_cndmask_b32 v51, v99, v103, s5 :: v_dual_cndmask_b32 v29, v53, v57, vcc_lo
	s_wait_loadcnt 0x4
	v_dual_cndmask_b32 v55, v111, v107, s6 :: v_dual_cndmask_b32 v28, v52, v56, vcc_lo
	v_cmp_eq_u32_e32 vcc_lo, 0, v141
	v_cmp_eq_u32_e64 s7, 0, v142
	v_dual_cndmask_b32 v30, v62, v58, s2 :: v_dual_cndmask_b32 v33, v65, v61, s2
	v_dual_cndmask_b32 v32, v64, v60, s2 :: v_dual_cndmask_b32 v34, v66, v70, s0
	s_wait_loadcnt 0x2
	v_cndmask_b32_e32 v59, v115, v119, vcc_lo
	s_wait_loadcnt 0x0
	v_dual_cndmask_b32 v63, v123, v127, s7 :: v_dual_cndmask_b32 v37, v69, v73, s0
	v_dual_cndmask_b32 v36, v68, v72, s0 :: v_dual_cndmask_b32 v38, v74, v78, s3
	;; [unrolled: 1-line block ×9, first 2 shown]
	v_dual_cndmask_b32 v58, v114, v118 :: v_dual_cndmask_b32 v61, v117, v121
	v_dual_cndmask_b32 v60, v116, v120, vcc_lo :: v_dual_cndmask_b32 v62, v122, v126, s7
	v_dual_cndmask_b32 v65, v125, v129, s7 :: v_dual_cndmask_b32 v64, v124, v128, s7
	s_clause 0xf
	global_store_b128 v1, v[18:21], s[18:19]
	global_store_b128 v1, v[22:25], s[18:19] offset:16
	global_store_b128 v1, v[26:29], s[18:19] offset:32
	global_store_b128 v1, v[2:5], s[18:19] offset:48
	global_store_b128 v1, v[30:33], s[18:19] offset:64
	global_store_b128 v1, v[34:37], s[18:19] offset:80
	global_store_b128 v1, v[38:41], s[18:19] offset:96
	global_store_b128 v1, v[6:9], s[18:19] offset:112
	global_store_b128 v1, v[42:45], s[18:19] offset:32768
	global_store_b128 v1, v[46:49], s[18:19] offset:32784
	global_store_b128 v1, v[50:53], s[18:19] offset:32800
	global_store_b128 v1, v[10:13], s[18:19] offset:32816
	global_store_b128 v1, v[54:57], s[18:19] offset:32832
	global_store_b128 v1, v[58:61], s[18:19] offset:32848
	global_store_b128 v1, v[62:65], s[18:19] offset:32864
	global_store_b128 v1, v[14:17], s[18:19] offset:32880
.LBB27_2:
	s_and_not1_b32 vcc_lo, exec_lo, s17
	s_cbranch_vccnz .LBB27_51
; %bb.3:
	s_wait_xcnt 0xc
	v_mov_b64_e32 v[2:3], 0
	s_wait_xcnt 0x4
	v_mov_b64_e32 v[10:11], 0
	v_mov_b64_e32 v[12:13], 0
	;; [unrolled: 1-line block ×4, first 2 shown]
	s_wait_xcnt 0x0
	v_dual_mov_b32 v1, v0 :: v_dual_bitop2_b32 v131, s16, v0 bitop3:0x54
	v_cmp_gt_i32_e32 vcc_lo, s20, v0
	v_or_b32_e32 v130, 0x100, v0
	v_mov_b32_e32 v132, v0
	s_mov_b32 s1, 0
	s_mov_b32 s2, 0
	s_and_saveexec_b32 s3, vcc_lo
	s_cbranch_execz .LBB27_5
; %bb.4:
	s_clause 0x2
	global_load_u8 v4, v131, s[10:11]
	global_load_b128 v[6:9], v131, s[12:13] scale_offset
	global_load_b128 v[10:13], v131, s[14:15] scale_offset
	v_or_b32_e32 v132, 0x100, v0
	s_wait_loadcnt 0x2
	v_cmp_ne_u16_e64 s0, 0, v4
	s_and_b32 s2, s0, exec_lo
.LBB27_5:
	s_wait_xcnt 0x0
	s_or_b32 exec_lo, exec_lo, s3
	v_mov_b64_e32 v[4:5], 0
	v_mov_b64_e32 v[18:19], 0
	v_mov_b64_e32 v[20:21], 0
	s_mov_b32 s3, exec_lo
	v_cmpx_gt_i32_e64 s20, v132
	s_cbranch_execz .LBB27_7
; %bb.6:
	v_add_nc_u32_e32 v14, s16, v132
	v_add_nc_u32_e32 v132, 0x100, v132
	s_clause 0x2
	global_load_u8 v15, v14, s[10:11]
	global_load_b128 v[18:21], v14, s[12:13] scale_offset
	global_load_b128 v[2:5], v14, s[14:15] scale_offset
	s_wait_loadcnt 0x2
	v_cmp_ne_u16_e64 s0, 0, v15
	s_and_b32 s1, s0, exec_lo
.LBB27_7:
	s_wait_xcnt 0x0
	s_or_b32 exec_lo, exec_lo, s3
	v_mov_b64_e32 v[14:15], 0
	v_mov_b64_e32 v[26:27], 0
	v_mov_b64_e32 v[28:29], 0
	v_mov_b64_e32 v[22:23], 0
	v_mov_b64_e32 v[24:25], 0
	s_mov_b32 s3, 0
	s_mov_b32 s4, 0
	s_mov_b32 s5, exec_lo
	v_cmpx_gt_i32_e64 s20, v132
	s_cbranch_execz .LBB27_9
; %bb.8:
	v_add_nc_u32_e32 v16, s16, v132
	v_add_nc_u32_e32 v132, 0x100, v132
	s_clause 0x2
	global_load_u8 v17, v16, s[10:11]
	global_load_b128 v[22:25], v16, s[12:13] scale_offset
	global_load_b128 v[26:29], v16, s[14:15] scale_offset
	s_wait_loadcnt 0x2
	v_cmp_ne_u16_e64 s0, 0, v17
	s_and_b32 s4, s0, exec_lo
.LBB27_9:
	s_wait_xcnt 0x0
	s_or_b32 exec_lo, exec_lo, s5
	v_mov_b64_e32 v[16:17], 0
	v_mov_b64_e32 v[34:35], 0
	v_mov_b64_e32 v[36:37], 0
	s_mov_b32 s5, exec_lo
	v_cmpx_gt_i32_e64 s20, v132
	s_cbranch_execz .LBB27_11
; %bb.10:
	v_add_nc_u32_e32 v30, s16, v132
	v_add_nc_u32_e32 v132, 0x100, v132
	s_clause 0x2
	global_load_u8 v31, v30, s[10:11]
	global_load_b128 v[34:37], v30, s[12:13] scale_offset
	global_load_b128 v[14:17], v30, s[14:15] scale_offset
	s_wait_loadcnt 0x2
	v_cmp_ne_u16_e64 s0, 0, v31
	s_and_b32 s3, s0, exec_lo
.LBB27_11:
	s_wait_xcnt 0x0
	s_or_b32 exec_lo, exec_lo, s5
	v_mov_b64_e32 v[30:31], 0
	v_mov_b64_e32 v[42:43], 0
	v_mov_b64_e32 v[44:45], 0
	v_mov_b64_e32 v[38:39], 0
	v_mov_b64_e32 v[40:41], 0
	s_mov_b32 s5, 0
	s_mov_b32 s6, 0
	s_mov_b32 s7, exec_lo
	v_cmpx_gt_i32_e64 s20, v132
	s_cbranch_execz .LBB27_13
; %bb.12:
	v_add_nc_u32_e32 v32, s16, v132
	v_add_nc_u32_e32 v132, 0x100, v132
	s_clause 0x2
	global_load_u8 v33, v32, s[10:11]
	global_load_b128 v[38:41], v32, s[12:13] scale_offset
	global_load_b128 v[42:45], v32, s[14:15] scale_offset
	s_wait_loadcnt 0x2
	v_cmp_ne_u16_e64 s0, 0, v33
	s_and_b32 s6, s0, exec_lo
.LBB27_13:
	;; [unrolled: 42-line block ×7, first 2 shown]
	s_wait_xcnt 0x0
	s_or_b32 exec_lo, exec_lo, s27
	v_mov_b64_e32 v[112:113], 0
	v_mov_b64_e32 v[126:127], 0
	;; [unrolled: 1-line block ×3, first 2 shown]
	s_mov_b32 s27, exec_lo
	v_cmpx_gt_i32_e64 s20, v132
	s_cbranch_execnz .LBB27_52
; %bb.34:
	s_or_b32 exec_lo, exec_lo, s27
	s_and_saveexec_b32 s0, vcc_lo
	s_cbranch_execnz .LBB27_53
.LBB27_35:
	s_or_b32 exec_lo, exec_lo, s0
	s_delay_alu instid0(SALU_CYCLE_1)
	s_mov_b32 s0, exec_lo
	v_cmpx_gt_i32_e64 s20, v1
	s_cbranch_execnz .LBB27_54
.LBB27_36:
	s_or_b32 exec_lo, exec_lo, s0
	s_delay_alu instid0(SALU_CYCLE_1)
	s_mov_b32 s0, exec_lo
	v_cmpx_gt_i32_e64 s20, v1
	s_cbranch_execnz .LBB27_55
.LBB27_37:
	s_or_b32 exec_lo, exec_lo, s0
	s_delay_alu instid0(SALU_CYCLE_1)
	s_mov_b32 s0, exec_lo
	v_cmpx_gt_i32_e64 s20, v1
	s_cbranch_execnz .LBB27_56
.LBB27_38:
	s_or_b32 exec_lo, exec_lo, s0
	s_delay_alu instid0(SALU_CYCLE_1)
	s_mov_b32 s0, exec_lo
	v_cmpx_gt_i32_e64 s20, v1
	s_cbranch_execnz .LBB27_57
.LBB27_39:
	s_or_b32 exec_lo, exec_lo, s0
	s_delay_alu instid0(SALU_CYCLE_1)
	s_mov_b32 s0, exec_lo
	v_cmpx_gt_i32_e64 s20, v1
	s_cbranch_execnz .LBB27_58
.LBB27_40:
	s_or_b32 exec_lo, exec_lo, s0
	s_delay_alu instid0(SALU_CYCLE_1)
	s_mov_b32 s0, exec_lo
	v_cmpx_gt_i32_e64 s20, v1
	s_cbranch_execnz .LBB27_59
.LBB27_41:
	s_or_b32 exec_lo, exec_lo, s0
	s_delay_alu instid0(SALU_CYCLE_1)
	s_mov_b32 s0, exec_lo
	v_cmpx_gt_i32_e64 s20, v1
	s_cbranch_execnz .LBB27_60
.LBB27_42:
	s_or_b32 exec_lo, exec_lo, s0
	s_delay_alu instid0(SALU_CYCLE_1)
	s_mov_b32 s0, exec_lo
	v_cmpx_gt_i32_e64 s20, v1
	s_cbranch_execnz .LBB27_61
.LBB27_43:
	s_or_b32 exec_lo, exec_lo, s0
	s_delay_alu instid0(SALU_CYCLE_1)
	s_mov_b32 s0, exec_lo
	v_cmpx_gt_i32_e64 s20, v1
	s_cbranch_execnz .LBB27_62
.LBB27_44:
	s_or_b32 exec_lo, exec_lo, s0
	s_delay_alu instid0(SALU_CYCLE_1)
	s_mov_b32 s0, exec_lo
	v_cmpx_gt_i32_e64 s20, v1
	s_cbranch_execnz .LBB27_63
.LBB27_45:
	s_or_b32 exec_lo, exec_lo, s0
	s_delay_alu instid0(SALU_CYCLE_1)
	s_mov_b32 s0, exec_lo
	v_cmpx_gt_i32_e64 s20, v1
	s_cbranch_execnz .LBB27_64
.LBB27_46:
	s_or_b32 exec_lo, exec_lo, s0
	s_delay_alu instid0(SALU_CYCLE_1)
	s_mov_b32 s0, exec_lo
	v_cmpx_gt_i32_e64 s20, v1
	s_cbranch_execnz .LBB27_65
.LBB27_47:
	s_or_b32 exec_lo, exec_lo, s0
	s_delay_alu instid0(SALU_CYCLE_1)
	s_mov_b32 s0, exec_lo
	v_cmpx_gt_i32_e64 s20, v1
	s_cbranch_execnz .LBB27_66
.LBB27_48:
	s_or_b32 exec_lo, exec_lo, s0
	s_delay_alu instid0(SALU_CYCLE_1)
	s_mov_b32 s0, exec_lo
	v_cmpx_gt_i32_e64 s20, v1
	s_cbranch_execnz .LBB27_67
.LBB27_49:
	s_or_b32 exec_lo, exec_lo, s0
	s_delay_alu instid0(SALU_CYCLE_1)
	s_mov_b32 s0, exec_lo
	v_cmpx_gt_i32_e64 s20, v1
	s_cbranch_execz .LBB27_51
.LBB27_50:
	v_or_b32_e32 v0, 0xf00, v0
	s_wait_loadcnt 0x0
	v_dual_cndmask_b32 v2, v110, v126, s25 :: v_dual_cndmask_b32 v3, v111, v127, s25
	v_cndmask_b32_e64 v4, v112, v128, s25
	s_delay_alu instid0(VALU_DEP_3) | instskip(NEXT) | instid1(VALU_DEP_3)
	v_cmp_gt_i32_e32 vcc_lo, s20, v0
	v_dual_cndmask_b32 v0, v113, v129, s25 :: v_dual_cndmask_b32 v3, 0, v3, vcc_lo
	s_delay_alu instid0(VALU_DEP_1) | instskip(NEXT) | instid1(VALU_DEP_4)
	v_dual_cndmask_b32 v2, 0, v2 :: v_dual_cndmask_b32 v5, 0, v0
	v_dual_add_nc_u32 v0, s16, v1 :: v_dual_cndmask_b32 v4, 0, v4, vcc_lo
	global_store_b128 v0, v[2:5], s[8:9] scale_offset
.LBB27_51:
	s_sendmsg sendmsg(MSG_DEALLOC_VGPRS)
	s_endpgm
.LBB27_52:
	v_add_nc_u32_e32 v132, s16, v132
	s_clause 0x2
	global_load_u8 v133, v132, s[10:11]
	global_load_b128 v[126:129], v132, s[12:13] scale_offset
	global_load_b128 v[110:113], v132, s[14:15] scale_offset
	s_wait_loadcnt 0x2
	v_cmp_ne_u16_e64 s0, 0, v133
	s_and_b32 s25, s0, exec_lo
	s_wait_xcnt 0x0
	s_or_b32 exec_lo, exec_lo, s27
	s_and_saveexec_b32 s0, vcc_lo
	s_cbranch_execz .LBB27_35
.LBB27_53:
	s_wait_loadcnt 0x0
	v_dual_cndmask_b32 v7, v11, v7, s2 :: v_dual_cndmask_b32 v6, v10, v6, s2
	v_dual_cndmask_b32 v9, v13, v9, s2 :: v_dual_cndmask_b32 v8, v12, v8, s2
	v_mov_b32_e32 v1, v130
	global_store_b128 v131, v[6:9], s[8:9] scale_offset
	s_wait_xcnt 0x0
	s_or_b32 exec_lo, exec_lo, s0
	s_delay_alu instid0(SALU_CYCLE_1)
	s_mov_b32 s0, exec_lo
	v_cmpx_gt_i32_e64 s20, v1
	s_cbranch_execz .LBB27_36
.LBB27_54:
	s_wait_loadcnt 0x0
	v_dual_cndmask_b32 v5, v5, v21, s1 :: v_dual_cndmask_b32 v4, v4, v20, s1
	v_cmp_gt_i32_e32 vcc_lo, s20, v130
	v_dual_cndmask_b32 v3, v3, v19, s1 :: v_dual_cndmask_b32 v2, v2, v18, s1
	v_add_nc_u32_e32 v6, s16, v1
	v_add_nc_u32_e32 v1, 0x100, v1
	v_dual_cndmask_b32 v5, 0, v5 :: v_dual_cndmask_b32 v4, 0, v4
	s_delay_alu instid0(VALU_DEP_4) | instskip(SKIP_3) | instid1(SALU_CYCLE_1)
	v_dual_cndmask_b32 v3, 0, v3 :: v_dual_cndmask_b32 v2, 0, v2
	global_store_b128 v6, v[2:5], s[8:9] scale_offset
	s_wait_xcnt 0x0
	s_or_b32 exec_lo, exec_lo, s0
	s_mov_b32 s0, exec_lo
	v_cmpx_gt_i32_e64 s20, v1
	s_cbranch_execz .LBB27_37
.LBB27_55:
	s_wait_loadcnt 0x0
	v_or_b32_e32 v2, 0x200, v0
	v_dual_cndmask_b32 v3, v28, v24, s4 :: v_dual_cndmask_b32 v4, v29, v25, s4
	v_cndmask_b32_e64 v6, v26, v22, s4
	s_delay_alu instid0(VALU_DEP_3) | instskip(NEXT) | instid1(VALU_DEP_3)
	v_cmp_gt_i32_e32 vcc_lo, s20, v2
	v_dual_cndmask_b32 v2, v27, v23, s4 :: v_dual_cndmask_b32 v5, 0, v4, vcc_lo
	s_delay_alu instid0(VALU_DEP_1) | instskip(NEXT) | instid1(VALU_DEP_4)
	v_dual_cndmask_b32 v4, 0, v3 :: v_dual_cndmask_b32 v3, 0, v2
	v_dual_cndmask_b32 v2, 0, v6, vcc_lo :: v_dual_add_nc_u32 v6, s16, v1
	v_add_nc_u32_e32 v1, 0x100, v1
	global_store_b128 v6, v[2:5], s[8:9] scale_offset
	s_wait_xcnt 0x0
	s_or_b32 exec_lo, exec_lo, s0
	s_delay_alu instid0(SALU_CYCLE_1)
	s_mov_b32 s0, exec_lo
	v_cmpx_gt_i32_e64 s20, v1
	s_cbranch_execz .LBB27_38
.LBB27_56:
	s_wait_loadcnt 0x0
	v_or_b32_e32 v2, 0x300, v0
	v_dual_cndmask_b32 v3, v16, v36, s3 :: v_dual_cndmask_b32 v4, v17, v37, s3
	v_cndmask_b32_e64 v6, v14, v34, s3
	s_delay_alu instid0(VALU_DEP_3) | instskip(NEXT) | instid1(VALU_DEP_3)
	v_cmp_gt_i32_e32 vcc_lo, s20, v2
	v_dual_cndmask_b32 v2, v15, v35, s3 :: v_dual_cndmask_b32 v5, 0, v4, vcc_lo
	s_delay_alu instid0(VALU_DEP_1) | instskip(NEXT) | instid1(VALU_DEP_4)
	v_dual_cndmask_b32 v4, 0, v3 :: v_dual_cndmask_b32 v3, 0, v2
	v_dual_cndmask_b32 v2, 0, v6, vcc_lo :: v_dual_add_nc_u32 v6, s16, v1
	v_add_nc_u32_e32 v1, 0x100, v1
	global_store_b128 v6, v[2:5], s[8:9] scale_offset
	s_wait_xcnt 0x0
	s_or_b32 exec_lo, exec_lo, s0
	s_delay_alu instid0(SALU_CYCLE_1)
	s_mov_b32 s0, exec_lo
	v_cmpx_gt_i32_e64 s20, v1
	s_cbranch_execz .LBB27_39
.LBB27_57:
	s_wait_loadcnt 0x0
	v_or_b32_e32 v2, 0x400, v0
	v_dual_cndmask_b32 v3, v44, v40, s6 :: v_dual_cndmask_b32 v4, v45, v41, s6
	v_cndmask_b32_e64 v6, v42, v38, s6
	s_delay_alu instid0(VALU_DEP_3) | instskip(NEXT) | instid1(VALU_DEP_3)
	v_cmp_gt_i32_e32 vcc_lo, s20, v2
	v_dual_cndmask_b32 v2, v43, v39, s6 :: v_dual_cndmask_b32 v5, 0, v4, vcc_lo
	s_delay_alu instid0(VALU_DEP_1) | instskip(NEXT) | instid1(VALU_DEP_4)
	v_dual_cndmask_b32 v4, 0, v3 :: v_dual_cndmask_b32 v3, 0, v2
	v_dual_cndmask_b32 v2, 0, v6, vcc_lo :: v_dual_add_nc_u32 v6, s16, v1
	v_add_nc_u32_e32 v1, 0x100, v1
	global_store_b128 v6, v[2:5], s[8:9] scale_offset
	s_wait_xcnt 0x0
	s_or_b32 exec_lo, exec_lo, s0
	s_delay_alu instid0(SALU_CYCLE_1)
	s_mov_b32 s0, exec_lo
	v_cmpx_gt_i32_e64 s20, v1
	s_cbranch_execz .LBB27_40
.LBB27_58:
	s_wait_loadcnt 0x0
	v_or_b32_e32 v2, 0x500, v0
	v_dual_cndmask_b32 v3, v32, v52, s5 :: v_dual_cndmask_b32 v4, v33, v53, s5
	v_cndmask_b32_e64 v6, v30, v50, s5
	s_delay_alu instid0(VALU_DEP_3) | instskip(NEXT) | instid1(VALU_DEP_3)
	v_cmp_gt_i32_e32 vcc_lo, s20, v2
	v_dual_cndmask_b32 v2, v31, v51, s5 :: v_dual_cndmask_b32 v5, 0, v4, vcc_lo
	s_delay_alu instid0(VALU_DEP_1) | instskip(NEXT) | instid1(VALU_DEP_4)
	v_dual_cndmask_b32 v4, 0, v3 :: v_dual_cndmask_b32 v3, 0, v2
	v_dual_cndmask_b32 v2, 0, v6, vcc_lo :: v_dual_add_nc_u32 v6, s16, v1
	v_add_nc_u32_e32 v1, 0x100, v1
	global_store_b128 v6, v[2:5], s[8:9] scale_offset
	s_wait_xcnt 0x0
	s_or_b32 exec_lo, exec_lo, s0
	s_delay_alu instid0(SALU_CYCLE_1)
	s_mov_b32 s0, exec_lo
	v_cmpx_gt_i32_e64 s20, v1
	s_cbranch_execz .LBB27_41
.LBB27_59:
	s_wait_loadcnt 0x0
	v_or_b32_e32 v2, 0x600, v0
	v_dual_cndmask_b32 v3, v60, v56, s17 :: v_dual_cndmask_b32 v4, v61, v57, s17
	v_cndmask_b32_e64 v6, v58, v54, s17
	s_delay_alu instid0(VALU_DEP_3) | instskip(NEXT) | instid1(VALU_DEP_3)
	v_cmp_gt_i32_e32 vcc_lo, s20, v2
	v_dual_cndmask_b32 v2, v59, v55, s17 :: v_dual_cndmask_b32 v5, 0, v4, vcc_lo
	s_delay_alu instid0(VALU_DEP_1) | instskip(NEXT) | instid1(VALU_DEP_4)
	v_dual_cndmask_b32 v4, 0, v3 :: v_dual_cndmask_b32 v3, 0, v2
	v_dual_cndmask_b32 v2, 0, v6, vcc_lo :: v_dual_add_nc_u32 v6, s16, v1
	v_add_nc_u32_e32 v1, 0x100, v1
	global_store_b128 v6, v[2:5], s[8:9] scale_offset
	s_wait_xcnt 0x0
	s_or_b32 exec_lo, exec_lo, s0
	s_delay_alu instid0(SALU_CYCLE_1)
	s_mov_b32 s0, exec_lo
	v_cmpx_gt_i32_e64 s20, v1
	s_cbranch_execz .LBB27_42
.LBB27_60:
	s_wait_loadcnt 0x0
	v_or_b32_e32 v2, 0x700, v0
	v_dual_cndmask_b32 v3, v48, v68, s7 :: v_dual_cndmask_b32 v4, v49, v69, s7
	v_cndmask_b32_e64 v6, v46, v66, s7
	s_delay_alu instid0(VALU_DEP_3) | instskip(NEXT) | instid1(VALU_DEP_3)
	v_cmp_gt_i32_e32 vcc_lo, s20, v2
	v_dual_cndmask_b32 v2, v47, v67, s7 :: v_dual_cndmask_b32 v5, 0, v4, vcc_lo
	s_delay_alu instid0(VALU_DEP_1) | instskip(NEXT) | instid1(VALU_DEP_4)
	v_dual_cndmask_b32 v4, 0, v3 :: v_dual_cndmask_b32 v3, 0, v2
	v_dual_cndmask_b32 v2, 0, v6, vcc_lo :: v_dual_add_nc_u32 v6, s16, v1
	v_add_nc_u32_e32 v1, 0x100, v1
	global_store_b128 v6, v[2:5], s[8:9] scale_offset
	s_wait_xcnt 0x0
	s_or_b32 exec_lo, exec_lo, s0
	s_delay_alu instid0(SALU_CYCLE_1)
	s_mov_b32 s0, exec_lo
	v_cmpx_gt_i32_e64 s20, v1
	s_cbranch_execz .LBB27_43
.LBB27_61:
	s_wait_loadcnt 0x0
	v_or_b32_e32 v2, 0x800, v0
	v_dual_cndmask_b32 v4, v74, v70, s19 :: v_dual_cndmask_b32 v3, v75, v71, s19
	v_dual_cndmask_b32 v5, v77, v73, s19 :: v_dual_cndmask_b32 v6, v76, v72, s19
	s_delay_alu instid0(VALU_DEP_3) | instskip(NEXT) | instid1(VALU_DEP_3)
	v_cmp_gt_i32_e32 vcc_lo, s20, v2
	v_dual_cndmask_b32 v3, 0, v3 :: v_dual_cndmask_b32 v2, 0, v4
	s_delay_alu instid0(VALU_DEP_3)
	v_dual_cndmask_b32 v5, 0, v5 :: v_dual_cndmask_b32 v4, 0, v6
	v_add_nc_u32_e32 v6, s16, v1
	v_add_nc_u32_e32 v1, 0x100, v1
	global_store_b128 v6, v[2:5], s[8:9] scale_offset
	s_wait_xcnt 0x0
	s_or_b32 exec_lo, exec_lo, s0
	s_delay_alu instid0(SALU_CYCLE_1)
	s_mov_b32 s0, exec_lo
	v_cmpx_gt_i32_e64 s20, v1
	s_cbranch_execz .LBB27_44
.LBB27_62:
	s_wait_loadcnt 0x0
	v_or_b32_e32 v2, 0x900, v0
	v_dual_cndmask_b32 v4, v62, v82, s18 :: v_dual_cndmask_b32 v3, v63, v83, s18
	v_dual_cndmask_b32 v5, v65, v85, s18 :: v_dual_cndmask_b32 v6, v64, v84, s18
	s_delay_alu instid0(VALU_DEP_3) | instskip(NEXT) | instid1(VALU_DEP_3)
	v_cmp_gt_i32_e32 vcc_lo, s20, v2
	v_dual_cndmask_b32 v3, 0, v3 :: v_dual_cndmask_b32 v2, 0, v4
	s_delay_alu instid0(VALU_DEP_3)
	v_dual_cndmask_b32 v5, 0, v5 :: v_dual_cndmask_b32 v4, 0, v6
	v_add_nc_u32_e32 v6, s16, v1
	v_add_nc_u32_e32 v1, 0x100, v1
	global_store_b128 v6, v[2:5], s[8:9] scale_offset
	s_wait_xcnt 0x0
	s_or_b32 exec_lo, exec_lo, s0
	s_delay_alu instid0(SALU_CYCLE_1)
	s_mov_b32 s0, exec_lo
	v_cmpx_gt_i32_e64 s20, v1
	s_cbranch_execz .LBB27_45
.LBB27_63:
	s_wait_loadcnt 0x0
	v_or_b32_e32 v2, 0xa00, v0
	v_dual_cndmask_b32 v4, v90, v86, s22 :: v_dual_cndmask_b32 v3, v91, v87, s22
	v_dual_cndmask_b32 v5, v93, v89, s22 :: v_dual_cndmask_b32 v6, v92, v88, s22
	s_delay_alu instid0(VALU_DEP_3) | instskip(NEXT) | instid1(VALU_DEP_3)
	v_cmp_gt_i32_e32 vcc_lo, s20, v2
	v_dual_cndmask_b32 v3, 0, v3 :: v_dual_cndmask_b32 v2, 0, v4
	s_delay_alu instid0(VALU_DEP_3)
	v_dual_cndmask_b32 v5, 0, v5 :: v_dual_cndmask_b32 v4, 0, v6
	v_add_nc_u32_e32 v6, s16, v1
	v_add_nc_u32_e32 v1, 0x100, v1
	global_store_b128 v6, v[2:5], s[8:9] scale_offset
	s_wait_xcnt 0x0
	s_or_b32 exec_lo, exec_lo, s0
	s_delay_alu instid0(SALU_CYCLE_1)
	s_mov_b32 s0, exec_lo
	v_cmpx_gt_i32_e64 s20, v1
	s_cbranch_execz .LBB27_46
.LBB27_64:
	s_wait_loadcnt 0x0
	v_or_b32_e32 v2, 0xb00, v0
	v_dual_cndmask_b32 v4, v78, v98, s21 :: v_dual_cndmask_b32 v3, v79, v99, s21
	v_dual_cndmask_b32 v5, v81, v101, s21 :: v_dual_cndmask_b32 v6, v80, v100, s21
	s_delay_alu instid0(VALU_DEP_3) | instskip(NEXT) | instid1(VALU_DEP_3)
	v_cmp_gt_i32_e32 vcc_lo, s20, v2
	v_dual_cndmask_b32 v3, 0, v3 :: v_dual_cndmask_b32 v2, 0, v4
	s_delay_alu instid0(VALU_DEP_3)
	v_dual_cndmask_b32 v5, 0, v5 :: v_dual_cndmask_b32 v4, 0, v6
	v_add_nc_u32_e32 v6, s16, v1
	v_add_nc_u32_e32 v1, 0x100, v1
	global_store_b128 v6, v[2:5], s[8:9] scale_offset
	s_wait_xcnt 0x0
	s_or_b32 exec_lo, exec_lo, s0
	s_delay_alu instid0(SALU_CYCLE_1)
	s_mov_b32 s0, exec_lo
	v_cmpx_gt_i32_e64 s20, v1
	s_cbranch_execz .LBB27_47
.LBB27_65:
	s_wait_loadcnt 0x0
	v_or_b32_e32 v2, 0xc00, v0
	v_dual_cndmask_b32 v4, v106, v102, s24 :: v_dual_cndmask_b32 v3, v107, v103, s24
	v_dual_cndmask_b32 v5, v109, v105, s24 :: v_dual_cndmask_b32 v6, v108, v104, s24
	s_delay_alu instid0(VALU_DEP_3) | instskip(NEXT) | instid1(VALU_DEP_3)
	v_cmp_gt_i32_e32 vcc_lo, s20, v2
	v_dual_cndmask_b32 v3, 0, v3 :: v_dual_cndmask_b32 v2, 0, v4
	s_delay_alu instid0(VALU_DEP_3)
	v_dual_cndmask_b32 v5, 0, v5 :: v_dual_cndmask_b32 v4, 0, v6
	v_add_nc_u32_e32 v6, s16, v1
	v_add_nc_u32_e32 v1, 0x100, v1
	global_store_b128 v6, v[2:5], s[8:9] scale_offset
	s_wait_xcnt 0x0
	s_or_b32 exec_lo, exec_lo, s0
	s_delay_alu instid0(SALU_CYCLE_1)
	s_mov_b32 s0, exec_lo
	v_cmpx_gt_i32_e64 s20, v1
	s_cbranch_execz .LBB27_48
.LBB27_66:
	s_wait_loadcnt 0x0
	v_or_b32_e32 v2, 0xd00, v0
	v_dual_cndmask_b32 v4, v94, v114, s23 :: v_dual_cndmask_b32 v3, v95, v115, s23
	v_dual_cndmask_b32 v5, v97, v117, s23 :: v_dual_cndmask_b32 v6, v96, v116, s23
	s_delay_alu instid0(VALU_DEP_3) | instskip(NEXT) | instid1(VALU_DEP_3)
	v_cmp_gt_i32_e32 vcc_lo, s20, v2
	v_dual_cndmask_b32 v3, 0, v3 :: v_dual_cndmask_b32 v2, 0, v4
	s_delay_alu instid0(VALU_DEP_3)
	v_dual_cndmask_b32 v5, 0, v5 :: v_dual_cndmask_b32 v4, 0, v6
	v_add_nc_u32_e32 v6, s16, v1
	v_add_nc_u32_e32 v1, 0x100, v1
	global_store_b128 v6, v[2:5], s[8:9] scale_offset
	s_wait_xcnt 0x0
	s_or_b32 exec_lo, exec_lo, s0
	s_delay_alu instid0(SALU_CYCLE_1)
	s_mov_b32 s0, exec_lo
	v_cmpx_gt_i32_e64 s20, v1
	s_cbranch_execz .LBB27_49
.LBB27_67:
	s_wait_loadcnt 0x0
	v_or_b32_e32 v2, 0xe00, v0
	v_dual_cndmask_b32 v4, v122, v118, s26 :: v_dual_cndmask_b32 v3, v123, v119, s26
	v_dual_cndmask_b32 v5, v125, v121, s26 :: v_dual_cndmask_b32 v6, v124, v120, s26
	s_delay_alu instid0(VALU_DEP_3) | instskip(NEXT) | instid1(VALU_DEP_3)
	v_cmp_gt_i32_e32 vcc_lo, s20, v2
	v_dual_cndmask_b32 v3, 0, v3 :: v_dual_cndmask_b32 v2, 0, v4
	s_delay_alu instid0(VALU_DEP_3)
	v_dual_cndmask_b32 v5, 0, v5 :: v_dual_cndmask_b32 v4, 0, v6
	v_add_nc_u32_e32 v6, s16, v1
	v_add_nc_u32_e32 v1, 0x100, v1
	global_store_b128 v6, v[2:5], s[8:9] scale_offset
	s_wait_xcnt 0x0
	s_or_b32 exec_lo, exec_lo, s0
	s_delay_alu instid0(SALU_CYCLE_1)
	s_mov_b32 s0, exec_lo
	v_cmpx_gt_i32_e64 s20, v1
	s_cbranch_execnz .LBB27_50
	s_branch .LBB27_51
	.section	.rodata,"a",@progbits
	.p2align	6, 0x0
	.amdhsa_kernel _ZN2at6native29vectorized_elementwise_kernelILi8EZZZNS0_12_GLOBAL__N_117where_kernel_implERNS_14TensorIteratorEENKUlvE_clEvENKUlvE3_clEvEUlbN3c107complexIdEES9_E_St5arrayIPcLm4EEEEviT0_T1_
		.amdhsa_group_segment_fixed_size 0
		.amdhsa_private_segment_fixed_size 0
		.amdhsa_kernarg_size 40
		.amdhsa_user_sgpr_count 2
		.amdhsa_user_sgpr_dispatch_ptr 0
		.amdhsa_user_sgpr_queue_ptr 0
		.amdhsa_user_sgpr_kernarg_segment_ptr 1
		.amdhsa_user_sgpr_dispatch_id 0
		.amdhsa_user_sgpr_kernarg_preload_length 0
		.amdhsa_user_sgpr_kernarg_preload_offset 0
		.amdhsa_user_sgpr_private_segment_size 0
		.amdhsa_wavefront_size32 1
		.amdhsa_uses_dynamic_stack 0
		.amdhsa_enable_private_segment 0
		.amdhsa_system_sgpr_workgroup_id_x 1
		.amdhsa_system_sgpr_workgroup_id_y 0
		.amdhsa_system_sgpr_workgroup_id_z 0
		.amdhsa_system_sgpr_workgroup_info 0
		.amdhsa_system_vgpr_workitem_id 0
		.amdhsa_next_free_vgpr 143
		.amdhsa_next_free_sgpr 28
		.amdhsa_named_barrier_count 0
		.amdhsa_reserve_vcc 1
		.amdhsa_float_round_mode_32 0
		.amdhsa_float_round_mode_16_64 0
		.amdhsa_float_denorm_mode_32 3
		.amdhsa_float_denorm_mode_16_64 3
		.amdhsa_fp16_overflow 0
		.amdhsa_memory_ordered 1
		.amdhsa_forward_progress 1
		.amdhsa_inst_pref_size 43
		.amdhsa_round_robin_scheduling 0
		.amdhsa_exception_fp_ieee_invalid_op 0
		.amdhsa_exception_fp_denorm_src 0
		.amdhsa_exception_fp_ieee_div_zero 0
		.amdhsa_exception_fp_ieee_overflow 0
		.amdhsa_exception_fp_ieee_underflow 0
		.amdhsa_exception_fp_ieee_inexact 0
		.amdhsa_exception_int_div_zero 0
	.end_amdhsa_kernel
	.section	.text._ZN2at6native29vectorized_elementwise_kernelILi8EZZZNS0_12_GLOBAL__N_117where_kernel_implERNS_14TensorIteratorEENKUlvE_clEvENKUlvE3_clEvEUlbN3c107complexIdEES9_E_St5arrayIPcLm4EEEEviT0_T1_,"axG",@progbits,_ZN2at6native29vectorized_elementwise_kernelILi8EZZZNS0_12_GLOBAL__N_117where_kernel_implERNS_14TensorIteratorEENKUlvE_clEvENKUlvE3_clEvEUlbN3c107complexIdEES9_E_St5arrayIPcLm4EEEEviT0_T1_,comdat
.Lfunc_end27:
	.size	_ZN2at6native29vectorized_elementwise_kernelILi8EZZZNS0_12_GLOBAL__N_117where_kernel_implERNS_14TensorIteratorEENKUlvE_clEvENKUlvE3_clEvEUlbN3c107complexIdEES9_E_St5arrayIPcLm4EEEEviT0_T1_, .Lfunc_end27-_ZN2at6native29vectorized_elementwise_kernelILi8EZZZNS0_12_GLOBAL__N_117where_kernel_implERNS_14TensorIteratorEENKUlvE_clEvENKUlvE3_clEvEUlbN3c107complexIdEES9_E_St5arrayIPcLm4EEEEviT0_T1_
                                        ; -- End function
	.set _ZN2at6native29vectorized_elementwise_kernelILi8EZZZNS0_12_GLOBAL__N_117where_kernel_implERNS_14TensorIteratorEENKUlvE_clEvENKUlvE3_clEvEUlbN3c107complexIdEES9_E_St5arrayIPcLm4EEEEviT0_T1_.num_vgpr, 143
	.set _ZN2at6native29vectorized_elementwise_kernelILi8EZZZNS0_12_GLOBAL__N_117where_kernel_implERNS_14TensorIteratorEENKUlvE_clEvENKUlvE3_clEvEUlbN3c107complexIdEES9_E_St5arrayIPcLm4EEEEviT0_T1_.num_agpr, 0
	.set _ZN2at6native29vectorized_elementwise_kernelILi8EZZZNS0_12_GLOBAL__N_117where_kernel_implERNS_14TensorIteratorEENKUlvE_clEvENKUlvE3_clEvEUlbN3c107complexIdEES9_E_St5arrayIPcLm4EEEEviT0_T1_.numbered_sgpr, 28
	.set _ZN2at6native29vectorized_elementwise_kernelILi8EZZZNS0_12_GLOBAL__N_117where_kernel_implERNS_14TensorIteratorEENKUlvE_clEvENKUlvE3_clEvEUlbN3c107complexIdEES9_E_St5arrayIPcLm4EEEEviT0_T1_.num_named_barrier, 0
	.set _ZN2at6native29vectorized_elementwise_kernelILi8EZZZNS0_12_GLOBAL__N_117where_kernel_implERNS_14TensorIteratorEENKUlvE_clEvENKUlvE3_clEvEUlbN3c107complexIdEES9_E_St5arrayIPcLm4EEEEviT0_T1_.private_seg_size, 0
	.set _ZN2at6native29vectorized_elementwise_kernelILi8EZZZNS0_12_GLOBAL__N_117where_kernel_implERNS_14TensorIteratorEENKUlvE_clEvENKUlvE3_clEvEUlbN3c107complexIdEES9_E_St5arrayIPcLm4EEEEviT0_T1_.uses_vcc, 1
	.set _ZN2at6native29vectorized_elementwise_kernelILi8EZZZNS0_12_GLOBAL__N_117where_kernel_implERNS_14TensorIteratorEENKUlvE_clEvENKUlvE3_clEvEUlbN3c107complexIdEES9_E_St5arrayIPcLm4EEEEviT0_T1_.uses_flat_scratch, 0
	.set _ZN2at6native29vectorized_elementwise_kernelILi8EZZZNS0_12_GLOBAL__N_117where_kernel_implERNS_14TensorIteratorEENKUlvE_clEvENKUlvE3_clEvEUlbN3c107complexIdEES9_E_St5arrayIPcLm4EEEEviT0_T1_.has_dyn_sized_stack, 0
	.set _ZN2at6native29vectorized_elementwise_kernelILi8EZZZNS0_12_GLOBAL__N_117where_kernel_implERNS_14TensorIteratorEENKUlvE_clEvENKUlvE3_clEvEUlbN3c107complexIdEES9_E_St5arrayIPcLm4EEEEviT0_T1_.has_recursion, 0
	.set _ZN2at6native29vectorized_elementwise_kernelILi8EZZZNS0_12_GLOBAL__N_117where_kernel_implERNS_14TensorIteratorEENKUlvE_clEvENKUlvE3_clEvEUlbN3c107complexIdEES9_E_St5arrayIPcLm4EEEEviT0_T1_.has_indirect_call, 0
	.section	.AMDGPU.csdata,"",@progbits
; Kernel info:
; codeLenInByte = 5408
; TotalNumSgprs: 30
; NumVgprs: 143
; ScratchSize: 0
; MemoryBound: 1
; FloatMode: 240
; IeeeMode: 1
; LDSByteSize: 0 bytes/workgroup (compile time only)
; SGPRBlocks: 0
; VGPRBlocks: 8
; NumSGPRsForWavesPerEU: 30
; NumVGPRsForWavesPerEU: 143
; NamedBarCnt: 0
; Occupancy: 7
; WaveLimiterHint : 1
; COMPUTE_PGM_RSRC2:SCRATCH_EN: 0
; COMPUTE_PGM_RSRC2:USER_SGPR: 2
; COMPUTE_PGM_RSRC2:TRAP_HANDLER: 0
; COMPUTE_PGM_RSRC2:TGID_X_EN: 1
; COMPUTE_PGM_RSRC2:TGID_Y_EN: 0
; COMPUTE_PGM_RSRC2:TGID_Z_EN: 0
; COMPUTE_PGM_RSRC2:TIDIG_COMP_CNT: 0
	.section	.text._ZN2at6native29vectorized_elementwise_kernelILi4EZZZNS0_12_GLOBAL__N_117where_kernel_implERNS_14TensorIteratorEENKUlvE_clEvENKUlvE3_clEvEUlbN3c107complexIdEES9_E_St5arrayIPcLm4EEEEviT0_T1_,"axG",@progbits,_ZN2at6native29vectorized_elementwise_kernelILi4EZZZNS0_12_GLOBAL__N_117where_kernel_implERNS_14TensorIteratorEENKUlvE_clEvENKUlvE3_clEvEUlbN3c107complexIdEES9_E_St5arrayIPcLm4EEEEviT0_T1_,comdat
	.globl	_ZN2at6native29vectorized_elementwise_kernelILi4EZZZNS0_12_GLOBAL__N_117where_kernel_implERNS_14TensorIteratorEENKUlvE_clEvENKUlvE3_clEvEUlbN3c107complexIdEES9_E_St5arrayIPcLm4EEEEviT0_T1_ ; -- Begin function _ZN2at6native29vectorized_elementwise_kernelILi4EZZZNS0_12_GLOBAL__N_117where_kernel_implERNS_14TensorIteratorEENKUlvE_clEvENKUlvE3_clEvEUlbN3c107complexIdEES9_E_St5arrayIPcLm4EEEEviT0_T1_
	.p2align	8
	.type	_ZN2at6native29vectorized_elementwise_kernelILi4EZZZNS0_12_GLOBAL__N_117where_kernel_implERNS_14TensorIteratorEENKUlvE_clEvENKUlvE3_clEvEUlbN3c107complexIdEES9_E_St5arrayIPcLm4EEEEviT0_T1_,@function
_ZN2at6native29vectorized_elementwise_kernelILi4EZZZNS0_12_GLOBAL__N_117where_kernel_implERNS_14TensorIteratorEENKUlvE_clEvENKUlvE3_clEvEUlbN3c107complexIdEES9_E_St5arrayIPcLm4EEEEviT0_T1_: ; @_ZN2at6native29vectorized_elementwise_kernelILi4EZZZNS0_12_GLOBAL__N_117where_kernel_implERNS_14TensorIteratorEENKUlvE_clEvENKUlvE3_clEvEUlbN3c107complexIdEES9_E_St5arrayIPcLm4EEEEviT0_T1_
; %bb.0:
	s_clause 0x1
	s_load_b32 s2, s[0:1], 0x0
	s_load_b256 s[8:15], s[0:1], 0x8
	s_wait_xcnt 0x0
	s_bfe_u32 s0, ttmp6, 0x4000c
	s_and_b32 s1, ttmp6, 15
	s_add_co_i32 s0, s0, 1
	s_getreg_b32 s3, hwreg(HW_REG_IB_STS2, 6, 4)
	s_mul_i32 s0, ttmp9, s0
	s_mov_b32 s17, -1
	s_add_co_i32 s1, s1, s0
	s_cmp_eq_u32 s3, 0
	s_cselect_b32 s0, ttmp9, s1
	s_delay_alu instid0(SALU_CYCLE_1) | instskip(SKIP_2) | instid1(SALU_CYCLE_1)
	s_lshl_b32 s16, s0, 12
	s_wait_kmcnt 0x0
	s_sub_co_i32 s20, s2, s16
	s_cmp_gt_i32 s20, 0xfff
	s_cbranch_scc0 .LBB28_2
; %bb.1:
	s_ashr_i32 s17, s16, 31
	s_delay_alu instid0(SALU_CYCLE_1)
	s_add_nc_u64 s[2:3], s[10:11], s[16:17]
	s_lshl_b64 s[0:1], s[16:17], 4
	global_load_b32 v130, v0, s[2:3] scale_offset
	s_add_nc_u64 s[4:5], s[12:13], s[0:1]
	s_add_nc_u64 s[6:7], s[14:15], s[0:1]
	s_add_nc_u64 s[18:19], s[8:9], s[0:1]
	s_mov_b32 s17, 0
	s_wait_loadcnt 0x0
	v_cmp_lt_u32_e32 vcc_lo, 0xffffff, v130
	v_lshlrev_b32_e32 v1, 6, v0
	v_and_b32_e32 v134, 0xff, v130
	v_and_b32_e32 v135, 0xff00, v130
	;; [unrolled: 1-line block ×3, first 2 shown]
	s_clause 0x1
	global_load_b128 v[2:5], v1, s[4:5] offset:48
	global_load_b128 v[6:9], v1, s[6:7] offset:48
	s_clause 0x1
	global_load_b32 v131, v0, s[2:3] offset:1024 scale_offset
	global_load_b32 v132, v0, s[2:3] offset:2048 scale_offset
	s_clause 0x1
	global_load_b128 v[10:13], v1, s[4:5] offset:16432
	global_load_b128 v[14:17], v1, s[6:7] offset:16432
	global_load_b32 v133, v0, s[2:3] offset:3072 scale_offset
	s_clause 0x1b
	global_load_b128 v[18:21], v1, s[4:5] offset:32816
	global_load_b128 v[22:25], v1, s[6:7] offset:32816
	;; [unrolled: 1-line block ×4, first 2 shown]
	global_load_b128 v[34:37], v1, s[6:7]
	global_load_b128 v[38:41], v1, s[4:5]
	global_load_b128 v[42:45], v1, s[4:5] offset:16
	global_load_b128 v[46:49], v1, s[6:7] offset:16
	; meta instruction
	global_load_b128 v[50:53], v1, s[4:5] offset:32
	global_load_b128 v[54:57], v1, s[6:7] offset:32
	;; [unrolled: 1-line block ×20, first 2 shown]
	v_cmp_eq_u32_e64 s1, 0, v135
	s_wait_loadcnt 0x21
	v_dual_cndmask_b32 v3, v7, v3 :: v_dual_cndmask_b32 v2, v6, v2
	v_dual_cndmask_b32 v5, v9, v5 :: v_dual_cndmask_b32 v4, v8, v4
	s_wait_loadcnt 0x20
	v_and_b32_e32 v136, 0xff, v131
	v_cmp_lt_u32_e32 vcc_lo, 0xffffff, v131
	s_wait_loadcnt 0x1f
	v_cmp_lt_u32_e64 s0, 0xffffff, v132
	v_and_b32_e32 v137, 0xff00, v131
	v_and_b32_e32 v138, 0xff0000, v131
	;; [unrolled: 1-line block ×3, first 2 shown]
	s_wait_loadcnt 0x1d
	v_dual_cndmask_b32 v7, v15, v11 :: v_dual_cndmask_b32 v6, v14, v10
	v_dual_cndmask_b32 v9, v17, v13 :: v_dual_cndmask_b32 v8, v16, v12
	s_wait_loadcnt 0x1a
	v_dual_cndmask_b32 v11, v23, v19, s0 :: v_dual_cndmask_b32 v10, v22, v18, s0
	v_cndmask_b32_e64 v13, v25, v21, s0
	v_cmp_lt_u32_e32 vcc_lo, 0xffffff, v133
	v_cndmask_b32_e64 v12, v24, v20, s0
	v_cmp_eq_u32_e64 s0, 0, v134
	v_cmp_eq_u32_e64 s2, 0, v136
	v_and_b32_e32 v139, 0xff00, v132
	v_and_b32_e32 v140, 0xff0000, v132
	v_and_b32_e32 v132, 0xff, v133
	s_wait_loadcnt 0x18
	v_cndmask_b32_e32 v15, v31, v27, vcc_lo
	s_wait_loadcnt 0x16
	v_dual_cndmask_b32 v19, v39, v35, s0 :: v_dual_cndmask_b32 v14, v30, v26, vcc_lo
	s_wait_loadcnt 0x10
	v_dual_cndmask_b32 v31, v63, v59, s2 :: v_dual_cndmask_b32 v18, v38, v34, s0
	v_dual_cndmask_b32 v21, v41, v37, s0 :: v_dual_cndmask_b32 v20, v40, v36, s0
	v_cmp_eq_u32_e64 s0, 0, v137
	v_cmp_eq_u32_e64 s3, 0, v138
	s_wait_xcnt 0x1
	v_cmp_eq_u32_e64 s4, 0, v131
	v_and_b32_e32 v141, 0xff00, v133
	v_and_b32_e32 v142, 0xff0000, v133
	v_dual_cndmask_b32 v23, v43, v47, s1 :: v_dual_cndmask_b32 v17, v33, v29, vcc_lo
	v_cndmask_b32_e32 v16, v32, v28, vcc_lo
	v_cmp_eq_u32_e32 vcc_lo, 0, v130
	s_wait_loadcnt 0xe
	v_dual_cndmask_b32 v35, v67, v71, s0 :: v_dual_cndmask_b32 v22, v42, v46, s1
	s_wait_loadcnt 0xc
	v_dual_cndmask_b32 v39, v75, v79, s3 :: v_dual_cndmask_b32 v25, v45, v49, s1
	;; [unrolled: 2-line block ×3, first 2 shown]
	v_cmp_eq_u32_e64 s1, 0, v139
	v_cmp_eq_u32_e64 s5, 0, v140
	s_wait_xcnt 0x0
	v_cmp_eq_u32_e64 s6, 0, v132
	v_dual_cndmask_b32 v27, v51, v55 :: v_dual_cndmask_b32 v26, v50, v54
	s_wait_loadcnt 0x8
	v_cndmask_b32_e64 v47, v91, v95, s1
	s_wait_loadcnt 0x6
	v_dual_cndmask_b32 v51, v99, v103, s5 :: v_dual_cndmask_b32 v29, v53, v57, vcc_lo
	s_wait_loadcnt 0x4
	v_dual_cndmask_b32 v55, v111, v107, s6 :: v_dual_cndmask_b32 v28, v52, v56, vcc_lo
	v_cmp_eq_u32_e32 vcc_lo, 0, v141
	v_cmp_eq_u32_e64 s7, 0, v142
	v_dual_cndmask_b32 v30, v62, v58, s2 :: v_dual_cndmask_b32 v33, v65, v61, s2
	v_dual_cndmask_b32 v32, v64, v60, s2 :: v_dual_cndmask_b32 v34, v66, v70, s0
	s_wait_loadcnt 0x2
	v_cndmask_b32_e32 v59, v115, v119, vcc_lo
	s_wait_loadcnt 0x0
	v_dual_cndmask_b32 v63, v123, v127, s7 :: v_dual_cndmask_b32 v37, v69, v73, s0
	v_dual_cndmask_b32 v36, v68, v72, s0 :: v_dual_cndmask_b32 v38, v74, v78, s3
	;; [unrolled: 1-line block ×9, first 2 shown]
	v_dual_cndmask_b32 v58, v114, v118 :: v_dual_cndmask_b32 v61, v117, v121
	v_dual_cndmask_b32 v60, v116, v120, vcc_lo :: v_dual_cndmask_b32 v62, v122, v126, s7
	v_dual_cndmask_b32 v65, v125, v129, s7 :: v_dual_cndmask_b32 v64, v124, v128, s7
	s_clause 0xf
	global_store_b128 v1, v[18:21], s[18:19]
	global_store_b128 v1, v[22:25], s[18:19] offset:16
	global_store_b128 v1, v[26:29], s[18:19] offset:32
	;; [unrolled: 1-line block ×15, first 2 shown]
.LBB28_2:
	s_and_not1_b32 vcc_lo, exec_lo, s17
	s_cbranch_vccnz .LBB28_51
; %bb.3:
	s_wait_xcnt 0xc
	v_mov_b64_e32 v[2:3], 0
	s_wait_xcnt 0x4
	v_mov_b64_e32 v[10:11], 0
	v_mov_b64_e32 v[12:13], 0
	;; [unrolled: 1-line block ×4, first 2 shown]
	s_wait_xcnt 0x0
	v_dual_mov_b32 v1, v0 :: v_dual_bitop2_b32 v131, s16, v0 bitop3:0x54
	v_cmp_gt_i32_e32 vcc_lo, s20, v0
	v_or_b32_e32 v130, 0x100, v0
	v_mov_b32_e32 v132, v0
	s_mov_b32 s1, 0
	s_mov_b32 s2, 0
	s_and_saveexec_b32 s3, vcc_lo
	s_cbranch_execz .LBB28_5
; %bb.4:
	s_clause 0x2
	global_load_u8 v4, v131, s[10:11]
	global_load_b128 v[6:9], v131, s[12:13] scale_offset
	global_load_b128 v[10:13], v131, s[14:15] scale_offset
	v_or_b32_e32 v132, 0x100, v0
	s_wait_loadcnt 0x2
	v_cmp_ne_u16_e64 s0, 0, v4
	s_and_b32 s2, s0, exec_lo
.LBB28_5:
	s_wait_xcnt 0x0
	s_or_b32 exec_lo, exec_lo, s3
	v_mov_b64_e32 v[4:5], 0
	v_mov_b64_e32 v[18:19], 0
	v_mov_b64_e32 v[20:21], 0
	s_mov_b32 s3, exec_lo
	v_cmpx_gt_i32_e64 s20, v132
	s_cbranch_execz .LBB28_7
; %bb.6:
	v_add_nc_u32_e32 v14, s16, v132
	v_add_nc_u32_e32 v132, 0x100, v132
	s_clause 0x2
	global_load_u8 v15, v14, s[10:11]
	global_load_b128 v[18:21], v14, s[12:13] scale_offset
	global_load_b128 v[2:5], v14, s[14:15] scale_offset
	s_wait_loadcnt 0x2
	v_cmp_ne_u16_e64 s0, 0, v15
	s_and_b32 s1, s0, exec_lo
.LBB28_7:
	s_wait_xcnt 0x0
	s_or_b32 exec_lo, exec_lo, s3
	v_mov_b64_e32 v[14:15], 0
	v_mov_b64_e32 v[26:27], 0
	v_mov_b64_e32 v[28:29], 0
	v_mov_b64_e32 v[22:23], 0
	v_mov_b64_e32 v[24:25], 0
	s_mov_b32 s3, 0
	s_mov_b32 s4, 0
	s_mov_b32 s5, exec_lo
	v_cmpx_gt_i32_e64 s20, v132
	s_cbranch_execz .LBB28_9
; %bb.8:
	v_add_nc_u32_e32 v16, s16, v132
	v_add_nc_u32_e32 v132, 0x100, v132
	s_clause 0x2
	global_load_u8 v17, v16, s[10:11]
	global_load_b128 v[22:25], v16, s[12:13] scale_offset
	global_load_b128 v[26:29], v16, s[14:15] scale_offset
	s_wait_loadcnt 0x2
	v_cmp_ne_u16_e64 s0, 0, v17
	s_and_b32 s4, s0, exec_lo
.LBB28_9:
	s_wait_xcnt 0x0
	s_or_b32 exec_lo, exec_lo, s5
	v_mov_b64_e32 v[16:17], 0
	v_mov_b64_e32 v[34:35], 0
	v_mov_b64_e32 v[36:37], 0
	s_mov_b32 s5, exec_lo
	v_cmpx_gt_i32_e64 s20, v132
	s_cbranch_execz .LBB28_11
; %bb.10:
	v_add_nc_u32_e32 v30, s16, v132
	v_add_nc_u32_e32 v132, 0x100, v132
	s_clause 0x2
	global_load_u8 v31, v30, s[10:11]
	global_load_b128 v[34:37], v30, s[12:13] scale_offset
	global_load_b128 v[14:17], v30, s[14:15] scale_offset
	s_wait_loadcnt 0x2
	v_cmp_ne_u16_e64 s0, 0, v31
	s_and_b32 s3, s0, exec_lo
.LBB28_11:
	s_wait_xcnt 0x0
	s_or_b32 exec_lo, exec_lo, s5
	v_mov_b64_e32 v[30:31], 0
	v_mov_b64_e32 v[42:43], 0
	v_mov_b64_e32 v[44:45], 0
	v_mov_b64_e32 v[38:39], 0
	v_mov_b64_e32 v[40:41], 0
	s_mov_b32 s5, 0
	s_mov_b32 s6, 0
	s_mov_b32 s7, exec_lo
	v_cmpx_gt_i32_e64 s20, v132
	s_cbranch_execz .LBB28_13
; %bb.12:
	v_add_nc_u32_e32 v32, s16, v132
	v_add_nc_u32_e32 v132, 0x100, v132
	s_clause 0x2
	global_load_u8 v33, v32, s[10:11]
	global_load_b128 v[38:41], v32, s[12:13] scale_offset
	global_load_b128 v[42:45], v32, s[14:15] scale_offset
	s_wait_loadcnt 0x2
	v_cmp_ne_u16_e64 s0, 0, v33
	s_and_b32 s6, s0, exec_lo
.LBB28_13:
	s_wait_xcnt 0x0
	s_or_b32 exec_lo, exec_lo, s7
	v_mov_b64_e32 v[32:33], 0
	v_mov_b64_e32 v[50:51], 0
	v_mov_b64_e32 v[52:53], 0
	s_mov_b32 s7, exec_lo
	v_cmpx_gt_i32_e64 s20, v132
	s_cbranch_execz .LBB28_15
; %bb.14:
	v_add_nc_u32_e32 v46, s16, v132
	v_add_nc_u32_e32 v132, 0x100, v132
	s_clause 0x2
	global_load_u8 v47, v46, s[10:11]
	global_load_b128 v[50:53], v46, s[12:13] scale_offset
	global_load_b128 v[30:33], v46, s[14:15] scale_offset
	s_wait_loadcnt 0x2
	v_cmp_ne_u16_e64 s0, 0, v47
	s_and_b32 s5, s0, exec_lo
.LBB28_15:
	s_wait_xcnt 0x0
	s_or_b32 exec_lo, exec_lo, s7
	v_mov_b64_e32 v[46:47], 0
	v_mov_b64_e32 v[58:59], 0
	v_mov_b64_e32 v[60:61], 0
	v_mov_b64_e32 v[54:55], 0
	v_mov_b64_e32 v[56:57], 0
	s_mov_b32 s7, 0
	s_mov_b32 s17, 0
	s_mov_b32 s18, exec_lo
	v_cmpx_gt_i32_e64 s20, v132
	s_cbranch_execz .LBB28_17
; %bb.16:
	v_add_nc_u32_e32 v48, s16, v132
	v_add_nc_u32_e32 v132, 0x100, v132
	s_clause 0x2
	global_load_u8 v49, v48, s[10:11]
	global_load_b128 v[54:57], v48, s[12:13] scale_offset
	global_load_b128 v[58:61], v48, s[14:15] scale_offset
	s_wait_loadcnt 0x2
	v_cmp_ne_u16_e64 s0, 0, v49
	s_and_b32 s17, s0, exec_lo
.LBB28_17:
	s_wait_xcnt 0x0
	s_or_b32 exec_lo, exec_lo, s18
	v_mov_b64_e32 v[48:49], 0
	v_mov_b64_e32 v[66:67], 0
	v_mov_b64_e32 v[68:69], 0
	s_mov_b32 s18, exec_lo
	v_cmpx_gt_i32_e64 s20, v132
	s_cbranch_execz .LBB28_19
; %bb.18:
	v_add_nc_u32_e32 v62, s16, v132
	v_add_nc_u32_e32 v132, 0x100, v132
	s_clause 0x2
	global_load_u8 v63, v62, s[10:11]
	global_load_b128 v[66:69], v62, s[12:13] scale_offset
	global_load_b128 v[46:49], v62, s[14:15] scale_offset
	s_wait_loadcnt 0x2
	v_cmp_ne_u16_e64 s0, 0, v63
	s_and_b32 s7, s0, exec_lo
.LBB28_19:
	s_wait_xcnt 0x0
	s_or_b32 exec_lo, exec_lo, s18
	v_mov_b64_e32 v[62:63], 0
	v_mov_b64_e32 v[74:75], 0
	v_mov_b64_e32 v[76:77], 0
	v_mov_b64_e32 v[70:71], 0
	v_mov_b64_e32 v[72:73], 0
	s_mov_b32 s18, 0
	s_mov_b32 s19, 0
	s_mov_b32 s21, exec_lo
	v_cmpx_gt_i32_e64 s20, v132
	s_cbranch_execz .LBB28_21
; %bb.20:
	v_add_nc_u32_e32 v64, s16, v132
	v_add_nc_u32_e32 v132, 0x100, v132
	s_clause 0x2
	global_load_u8 v65, v64, s[10:11]
	global_load_b128 v[70:73], v64, s[12:13] scale_offset
	global_load_b128 v[74:77], v64, s[14:15] scale_offset
	s_wait_loadcnt 0x2
	v_cmp_ne_u16_e64 s0, 0, v65
	s_and_b32 s19, s0, exec_lo
.LBB28_21:
	s_wait_xcnt 0x0
	s_or_b32 exec_lo, exec_lo, s21
	v_mov_b64_e32 v[64:65], 0
	v_mov_b64_e32 v[82:83], 0
	v_mov_b64_e32 v[84:85], 0
	s_mov_b32 s21, exec_lo
	v_cmpx_gt_i32_e64 s20, v132
	s_cbranch_execz .LBB28_23
; %bb.22:
	v_add_nc_u32_e32 v78, s16, v132
	v_add_nc_u32_e32 v132, 0x100, v132
	s_clause 0x2
	global_load_u8 v79, v78, s[10:11]
	global_load_b128 v[82:85], v78, s[12:13] scale_offset
	global_load_b128 v[62:65], v78, s[14:15] scale_offset
	s_wait_loadcnt 0x2
	v_cmp_ne_u16_e64 s0, 0, v79
	s_and_b32 s18, s0, exec_lo
.LBB28_23:
	s_wait_xcnt 0x0
	s_or_b32 exec_lo, exec_lo, s21
	v_mov_b64_e32 v[78:79], 0
	v_mov_b64_e32 v[90:91], 0
	v_mov_b64_e32 v[92:93], 0
	v_mov_b64_e32 v[86:87], 0
	v_mov_b64_e32 v[88:89], 0
	s_mov_b32 s21, 0
	s_mov_b32 s22, 0
	s_mov_b32 s23, exec_lo
	v_cmpx_gt_i32_e64 s20, v132
	s_cbranch_execz .LBB28_25
; %bb.24:
	v_add_nc_u32_e32 v80, s16, v132
	v_add_nc_u32_e32 v132, 0x100, v132
	s_clause 0x2
	global_load_u8 v81, v80, s[10:11]
	global_load_b128 v[86:89], v80, s[12:13] scale_offset
	global_load_b128 v[90:93], v80, s[14:15] scale_offset
	s_wait_loadcnt 0x2
	v_cmp_ne_u16_e64 s0, 0, v81
	s_and_b32 s22, s0, exec_lo
.LBB28_25:
	s_wait_xcnt 0x0
	s_or_b32 exec_lo, exec_lo, s23
	v_mov_b64_e32 v[80:81], 0
	v_mov_b64_e32 v[98:99], 0
	v_mov_b64_e32 v[100:101], 0
	s_mov_b32 s23, exec_lo
	v_cmpx_gt_i32_e64 s20, v132
	s_cbranch_execz .LBB28_27
; %bb.26:
	v_add_nc_u32_e32 v94, s16, v132
	v_add_nc_u32_e32 v132, 0x100, v132
	s_clause 0x2
	global_load_u8 v95, v94, s[10:11]
	global_load_b128 v[98:101], v94, s[12:13] scale_offset
	global_load_b128 v[78:81], v94, s[14:15] scale_offset
	s_wait_loadcnt 0x2
	v_cmp_ne_u16_e64 s0, 0, v95
	s_and_b32 s21, s0, exec_lo
.LBB28_27:
	s_wait_xcnt 0x0
	s_or_b32 exec_lo, exec_lo, s23
	v_mov_b64_e32 v[94:95], 0
	v_mov_b64_e32 v[106:107], 0
	v_mov_b64_e32 v[108:109], 0
	v_mov_b64_e32 v[102:103], 0
	v_mov_b64_e32 v[104:105], 0
	s_mov_b32 s23, 0
	s_mov_b32 s24, 0
	s_mov_b32 s25, exec_lo
	v_cmpx_gt_i32_e64 s20, v132
	s_cbranch_execz .LBB28_29
; %bb.28:
	v_add_nc_u32_e32 v96, s16, v132
	v_add_nc_u32_e32 v132, 0x100, v132
	s_clause 0x2
	global_load_u8 v97, v96, s[10:11]
	global_load_b128 v[102:105], v96, s[12:13] scale_offset
	global_load_b128 v[106:109], v96, s[14:15] scale_offset
	s_wait_loadcnt 0x2
	v_cmp_ne_u16_e64 s0, 0, v97
	s_and_b32 s24, s0, exec_lo
.LBB28_29:
	s_wait_xcnt 0x0
	s_or_b32 exec_lo, exec_lo, s25
	v_mov_b64_e32 v[96:97], 0
	v_mov_b64_e32 v[114:115], 0
	v_mov_b64_e32 v[116:117], 0
	s_mov_b32 s25, exec_lo
	v_cmpx_gt_i32_e64 s20, v132
	s_cbranch_execz .LBB28_31
; %bb.30:
	v_add_nc_u32_e32 v110, s16, v132
	v_add_nc_u32_e32 v132, 0x100, v132
	s_clause 0x2
	global_load_u8 v111, v110, s[10:11]
	global_load_b128 v[114:117], v110, s[12:13] scale_offset
	global_load_b128 v[94:97], v110, s[14:15] scale_offset
	s_wait_loadcnt 0x2
	v_cmp_ne_u16_e64 s0, 0, v111
	s_and_b32 s23, s0, exec_lo
.LBB28_31:
	s_wait_xcnt 0x0
	s_or_b32 exec_lo, exec_lo, s25
	v_mov_b64_e32 v[110:111], 0
	v_mov_b64_e32 v[122:123], 0
	v_mov_b64_e32 v[124:125], 0
	v_mov_b64_e32 v[118:119], 0
	v_mov_b64_e32 v[120:121], 0
	s_mov_b32 s25, 0
	s_mov_b32 s26, 0
	s_mov_b32 s27, exec_lo
	v_cmpx_gt_i32_e64 s20, v132
	s_cbranch_execz .LBB28_33
; %bb.32:
	v_add_nc_u32_e32 v112, s16, v132
	v_add_nc_u32_e32 v132, 0x100, v132
	s_clause 0x2
	global_load_u8 v113, v112, s[10:11]
	global_load_b128 v[118:121], v112, s[12:13] scale_offset
	global_load_b128 v[122:125], v112, s[14:15] scale_offset
	s_wait_loadcnt 0x2
	v_cmp_ne_u16_e64 s0, 0, v113
	s_and_b32 s26, s0, exec_lo
.LBB28_33:
	s_wait_xcnt 0x0
	s_or_b32 exec_lo, exec_lo, s27
	v_mov_b64_e32 v[112:113], 0
	v_mov_b64_e32 v[126:127], 0
	;; [unrolled: 1-line block ×3, first 2 shown]
	s_mov_b32 s27, exec_lo
	v_cmpx_gt_i32_e64 s20, v132
	s_cbranch_execnz .LBB28_52
; %bb.34:
	s_or_b32 exec_lo, exec_lo, s27
	s_and_saveexec_b32 s0, vcc_lo
	s_cbranch_execnz .LBB28_53
.LBB28_35:
	s_or_b32 exec_lo, exec_lo, s0
	s_delay_alu instid0(SALU_CYCLE_1)
	s_mov_b32 s0, exec_lo
	v_cmpx_gt_i32_e64 s20, v1
	s_cbranch_execnz .LBB28_54
.LBB28_36:
	s_or_b32 exec_lo, exec_lo, s0
	s_delay_alu instid0(SALU_CYCLE_1)
	s_mov_b32 s0, exec_lo
	v_cmpx_gt_i32_e64 s20, v1
	s_cbranch_execnz .LBB28_55
.LBB28_37:
	s_or_b32 exec_lo, exec_lo, s0
	s_delay_alu instid0(SALU_CYCLE_1)
	s_mov_b32 s0, exec_lo
	v_cmpx_gt_i32_e64 s20, v1
	s_cbranch_execnz .LBB28_56
.LBB28_38:
	s_or_b32 exec_lo, exec_lo, s0
	s_delay_alu instid0(SALU_CYCLE_1)
	s_mov_b32 s0, exec_lo
	v_cmpx_gt_i32_e64 s20, v1
	s_cbranch_execnz .LBB28_57
.LBB28_39:
	s_or_b32 exec_lo, exec_lo, s0
	s_delay_alu instid0(SALU_CYCLE_1)
	s_mov_b32 s0, exec_lo
	v_cmpx_gt_i32_e64 s20, v1
	s_cbranch_execnz .LBB28_58
.LBB28_40:
	s_or_b32 exec_lo, exec_lo, s0
	s_delay_alu instid0(SALU_CYCLE_1)
	s_mov_b32 s0, exec_lo
	v_cmpx_gt_i32_e64 s20, v1
	s_cbranch_execnz .LBB28_59
.LBB28_41:
	s_or_b32 exec_lo, exec_lo, s0
	s_delay_alu instid0(SALU_CYCLE_1)
	s_mov_b32 s0, exec_lo
	v_cmpx_gt_i32_e64 s20, v1
	s_cbranch_execnz .LBB28_60
.LBB28_42:
	s_or_b32 exec_lo, exec_lo, s0
	s_delay_alu instid0(SALU_CYCLE_1)
	s_mov_b32 s0, exec_lo
	v_cmpx_gt_i32_e64 s20, v1
	s_cbranch_execnz .LBB28_61
.LBB28_43:
	s_or_b32 exec_lo, exec_lo, s0
	s_delay_alu instid0(SALU_CYCLE_1)
	s_mov_b32 s0, exec_lo
	v_cmpx_gt_i32_e64 s20, v1
	s_cbranch_execnz .LBB28_62
.LBB28_44:
	s_or_b32 exec_lo, exec_lo, s0
	s_delay_alu instid0(SALU_CYCLE_1)
	s_mov_b32 s0, exec_lo
	v_cmpx_gt_i32_e64 s20, v1
	s_cbranch_execnz .LBB28_63
.LBB28_45:
	s_or_b32 exec_lo, exec_lo, s0
	s_delay_alu instid0(SALU_CYCLE_1)
	s_mov_b32 s0, exec_lo
	v_cmpx_gt_i32_e64 s20, v1
	s_cbranch_execnz .LBB28_64
.LBB28_46:
	s_or_b32 exec_lo, exec_lo, s0
	s_delay_alu instid0(SALU_CYCLE_1)
	s_mov_b32 s0, exec_lo
	v_cmpx_gt_i32_e64 s20, v1
	s_cbranch_execnz .LBB28_65
.LBB28_47:
	s_or_b32 exec_lo, exec_lo, s0
	s_delay_alu instid0(SALU_CYCLE_1)
	s_mov_b32 s0, exec_lo
	v_cmpx_gt_i32_e64 s20, v1
	s_cbranch_execnz .LBB28_66
.LBB28_48:
	s_or_b32 exec_lo, exec_lo, s0
	s_delay_alu instid0(SALU_CYCLE_1)
	s_mov_b32 s0, exec_lo
	v_cmpx_gt_i32_e64 s20, v1
	s_cbranch_execnz .LBB28_67
.LBB28_49:
	s_or_b32 exec_lo, exec_lo, s0
	s_delay_alu instid0(SALU_CYCLE_1)
	s_mov_b32 s0, exec_lo
	v_cmpx_gt_i32_e64 s20, v1
	s_cbranch_execz .LBB28_51
.LBB28_50:
	v_or_b32_e32 v0, 0xf00, v0
	s_wait_loadcnt 0x0
	v_dual_cndmask_b32 v2, v110, v126, s25 :: v_dual_cndmask_b32 v3, v111, v127, s25
	v_cndmask_b32_e64 v4, v112, v128, s25
	s_delay_alu instid0(VALU_DEP_3) | instskip(NEXT) | instid1(VALU_DEP_3)
	v_cmp_gt_i32_e32 vcc_lo, s20, v0
	v_dual_cndmask_b32 v0, v113, v129, s25 :: v_dual_cndmask_b32 v3, 0, v3, vcc_lo
	s_delay_alu instid0(VALU_DEP_1) | instskip(NEXT) | instid1(VALU_DEP_4)
	v_dual_cndmask_b32 v2, 0, v2 :: v_dual_cndmask_b32 v5, 0, v0
	v_dual_add_nc_u32 v0, s16, v1 :: v_dual_cndmask_b32 v4, 0, v4, vcc_lo
	global_store_b128 v0, v[2:5], s[8:9] scale_offset
.LBB28_51:
	s_sendmsg sendmsg(MSG_DEALLOC_VGPRS)
	s_endpgm
.LBB28_52:
	v_add_nc_u32_e32 v132, s16, v132
	s_clause 0x2
	global_load_u8 v133, v132, s[10:11]
	global_load_b128 v[126:129], v132, s[12:13] scale_offset
	global_load_b128 v[110:113], v132, s[14:15] scale_offset
	s_wait_loadcnt 0x2
	v_cmp_ne_u16_e64 s0, 0, v133
	s_and_b32 s25, s0, exec_lo
	s_wait_xcnt 0x0
	s_or_b32 exec_lo, exec_lo, s27
	s_and_saveexec_b32 s0, vcc_lo
	s_cbranch_execz .LBB28_35
.LBB28_53:
	s_wait_loadcnt 0x0
	v_dual_cndmask_b32 v7, v11, v7, s2 :: v_dual_cndmask_b32 v6, v10, v6, s2
	v_dual_cndmask_b32 v9, v13, v9, s2 :: v_dual_cndmask_b32 v8, v12, v8, s2
	v_mov_b32_e32 v1, v130
	global_store_b128 v131, v[6:9], s[8:9] scale_offset
	s_wait_xcnt 0x0
	s_or_b32 exec_lo, exec_lo, s0
	s_delay_alu instid0(SALU_CYCLE_1)
	s_mov_b32 s0, exec_lo
	v_cmpx_gt_i32_e64 s20, v1
	s_cbranch_execz .LBB28_36
.LBB28_54:
	s_wait_loadcnt 0x0
	v_dual_cndmask_b32 v5, v5, v21, s1 :: v_dual_cndmask_b32 v4, v4, v20, s1
	v_cmp_gt_i32_e32 vcc_lo, s20, v130
	v_dual_cndmask_b32 v3, v3, v19, s1 :: v_dual_cndmask_b32 v2, v2, v18, s1
	v_add_nc_u32_e32 v6, s16, v1
	v_add_nc_u32_e32 v1, 0x100, v1
	v_dual_cndmask_b32 v5, 0, v5 :: v_dual_cndmask_b32 v4, 0, v4
	s_delay_alu instid0(VALU_DEP_4) | instskip(SKIP_3) | instid1(SALU_CYCLE_1)
	v_dual_cndmask_b32 v3, 0, v3 :: v_dual_cndmask_b32 v2, 0, v2
	global_store_b128 v6, v[2:5], s[8:9] scale_offset
	s_wait_xcnt 0x0
	s_or_b32 exec_lo, exec_lo, s0
	s_mov_b32 s0, exec_lo
	v_cmpx_gt_i32_e64 s20, v1
	s_cbranch_execz .LBB28_37
.LBB28_55:
	s_wait_loadcnt 0x0
	v_or_b32_e32 v2, 0x200, v0
	v_dual_cndmask_b32 v3, v28, v24, s4 :: v_dual_cndmask_b32 v4, v29, v25, s4
	v_cndmask_b32_e64 v6, v26, v22, s4
	s_delay_alu instid0(VALU_DEP_3) | instskip(NEXT) | instid1(VALU_DEP_3)
	v_cmp_gt_i32_e32 vcc_lo, s20, v2
	v_dual_cndmask_b32 v2, v27, v23, s4 :: v_dual_cndmask_b32 v5, 0, v4, vcc_lo
	s_delay_alu instid0(VALU_DEP_1) | instskip(NEXT) | instid1(VALU_DEP_4)
	v_dual_cndmask_b32 v4, 0, v3 :: v_dual_cndmask_b32 v3, 0, v2
	v_dual_cndmask_b32 v2, 0, v6, vcc_lo :: v_dual_add_nc_u32 v6, s16, v1
	v_add_nc_u32_e32 v1, 0x100, v1
	global_store_b128 v6, v[2:5], s[8:9] scale_offset
	s_wait_xcnt 0x0
	s_or_b32 exec_lo, exec_lo, s0
	s_delay_alu instid0(SALU_CYCLE_1)
	s_mov_b32 s0, exec_lo
	v_cmpx_gt_i32_e64 s20, v1
	s_cbranch_execz .LBB28_38
.LBB28_56:
	s_wait_loadcnt 0x0
	v_or_b32_e32 v2, 0x300, v0
	v_dual_cndmask_b32 v3, v16, v36, s3 :: v_dual_cndmask_b32 v4, v17, v37, s3
	v_cndmask_b32_e64 v6, v14, v34, s3
	s_delay_alu instid0(VALU_DEP_3) | instskip(NEXT) | instid1(VALU_DEP_3)
	v_cmp_gt_i32_e32 vcc_lo, s20, v2
	v_dual_cndmask_b32 v2, v15, v35, s3 :: v_dual_cndmask_b32 v5, 0, v4, vcc_lo
	s_delay_alu instid0(VALU_DEP_1) | instskip(NEXT) | instid1(VALU_DEP_4)
	v_dual_cndmask_b32 v4, 0, v3 :: v_dual_cndmask_b32 v3, 0, v2
	v_dual_cndmask_b32 v2, 0, v6, vcc_lo :: v_dual_add_nc_u32 v6, s16, v1
	v_add_nc_u32_e32 v1, 0x100, v1
	global_store_b128 v6, v[2:5], s[8:9] scale_offset
	s_wait_xcnt 0x0
	s_or_b32 exec_lo, exec_lo, s0
	s_delay_alu instid0(SALU_CYCLE_1)
	s_mov_b32 s0, exec_lo
	v_cmpx_gt_i32_e64 s20, v1
	s_cbranch_execz .LBB28_39
.LBB28_57:
	s_wait_loadcnt 0x0
	v_or_b32_e32 v2, 0x400, v0
	v_dual_cndmask_b32 v3, v44, v40, s6 :: v_dual_cndmask_b32 v4, v45, v41, s6
	v_cndmask_b32_e64 v6, v42, v38, s6
	s_delay_alu instid0(VALU_DEP_3) | instskip(NEXT) | instid1(VALU_DEP_3)
	v_cmp_gt_i32_e32 vcc_lo, s20, v2
	v_dual_cndmask_b32 v2, v43, v39, s6 :: v_dual_cndmask_b32 v5, 0, v4, vcc_lo
	s_delay_alu instid0(VALU_DEP_1) | instskip(NEXT) | instid1(VALU_DEP_4)
	v_dual_cndmask_b32 v4, 0, v3 :: v_dual_cndmask_b32 v3, 0, v2
	v_dual_cndmask_b32 v2, 0, v6, vcc_lo :: v_dual_add_nc_u32 v6, s16, v1
	v_add_nc_u32_e32 v1, 0x100, v1
	global_store_b128 v6, v[2:5], s[8:9] scale_offset
	s_wait_xcnt 0x0
	s_or_b32 exec_lo, exec_lo, s0
	s_delay_alu instid0(SALU_CYCLE_1)
	s_mov_b32 s0, exec_lo
	v_cmpx_gt_i32_e64 s20, v1
	s_cbranch_execz .LBB28_40
.LBB28_58:
	s_wait_loadcnt 0x0
	v_or_b32_e32 v2, 0x500, v0
	v_dual_cndmask_b32 v3, v32, v52, s5 :: v_dual_cndmask_b32 v4, v33, v53, s5
	v_cndmask_b32_e64 v6, v30, v50, s5
	s_delay_alu instid0(VALU_DEP_3) | instskip(NEXT) | instid1(VALU_DEP_3)
	v_cmp_gt_i32_e32 vcc_lo, s20, v2
	v_dual_cndmask_b32 v2, v31, v51, s5 :: v_dual_cndmask_b32 v5, 0, v4, vcc_lo
	s_delay_alu instid0(VALU_DEP_1) | instskip(NEXT) | instid1(VALU_DEP_4)
	v_dual_cndmask_b32 v4, 0, v3 :: v_dual_cndmask_b32 v3, 0, v2
	v_dual_cndmask_b32 v2, 0, v6, vcc_lo :: v_dual_add_nc_u32 v6, s16, v1
	v_add_nc_u32_e32 v1, 0x100, v1
	global_store_b128 v6, v[2:5], s[8:9] scale_offset
	s_wait_xcnt 0x0
	s_or_b32 exec_lo, exec_lo, s0
	s_delay_alu instid0(SALU_CYCLE_1)
	s_mov_b32 s0, exec_lo
	v_cmpx_gt_i32_e64 s20, v1
	s_cbranch_execz .LBB28_41
.LBB28_59:
	s_wait_loadcnt 0x0
	v_or_b32_e32 v2, 0x600, v0
	v_dual_cndmask_b32 v3, v60, v56, s17 :: v_dual_cndmask_b32 v4, v61, v57, s17
	v_cndmask_b32_e64 v6, v58, v54, s17
	s_delay_alu instid0(VALU_DEP_3) | instskip(NEXT) | instid1(VALU_DEP_3)
	v_cmp_gt_i32_e32 vcc_lo, s20, v2
	v_dual_cndmask_b32 v2, v59, v55, s17 :: v_dual_cndmask_b32 v5, 0, v4, vcc_lo
	s_delay_alu instid0(VALU_DEP_1) | instskip(NEXT) | instid1(VALU_DEP_4)
	v_dual_cndmask_b32 v4, 0, v3 :: v_dual_cndmask_b32 v3, 0, v2
	v_dual_cndmask_b32 v2, 0, v6, vcc_lo :: v_dual_add_nc_u32 v6, s16, v1
	v_add_nc_u32_e32 v1, 0x100, v1
	global_store_b128 v6, v[2:5], s[8:9] scale_offset
	s_wait_xcnt 0x0
	s_or_b32 exec_lo, exec_lo, s0
	s_delay_alu instid0(SALU_CYCLE_1)
	s_mov_b32 s0, exec_lo
	v_cmpx_gt_i32_e64 s20, v1
	s_cbranch_execz .LBB28_42
.LBB28_60:
	s_wait_loadcnt 0x0
	v_or_b32_e32 v2, 0x700, v0
	v_dual_cndmask_b32 v3, v48, v68, s7 :: v_dual_cndmask_b32 v4, v49, v69, s7
	v_cndmask_b32_e64 v6, v46, v66, s7
	s_delay_alu instid0(VALU_DEP_3) | instskip(NEXT) | instid1(VALU_DEP_3)
	v_cmp_gt_i32_e32 vcc_lo, s20, v2
	v_dual_cndmask_b32 v2, v47, v67, s7 :: v_dual_cndmask_b32 v5, 0, v4, vcc_lo
	s_delay_alu instid0(VALU_DEP_1) | instskip(NEXT) | instid1(VALU_DEP_4)
	v_dual_cndmask_b32 v4, 0, v3 :: v_dual_cndmask_b32 v3, 0, v2
	v_dual_cndmask_b32 v2, 0, v6, vcc_lo :: v_dual_add_nc_u32 v6, s16, v1
	v_add_nc_u32_e32 v1, 0x100, v1
	global_store_b128 v6, v[2:5], s[8:9] scale_offset
	s_wait_xcnt 0x0
	s_or_b32 exec_lo, exec_lo, s0
	s_delay_alu instid0(SALU_CYCLE_1)
	s_mov_b32 s0, exec_lo
	v_cmpx_gt_i32_e64 s20, v1
	s_cbranch_execz .LBB28_43
.LBB28_61:
	s_wait_loadcnt 0x0
	v_or_b32_e32 v2, 0x800, v0
	v_dual_cndmask_b32 v4, v74, v70, s19 :: v_dual_cndmask_b32 v3, v75, v71, s19
	v_dual_cndmask_b32 v5, v77, v73, s19 :: v_dual_cndmask_b32 v6, v76, v72, s19
	s_delay_alu instid0(VALU_DEP_3) | instskip(NEXT) | instid1(VALU_DEP_3)
	v_cmp_gt_i32_e32 vcc_lo, s20, v2
	v_dual_cndmask_b32 v3, 0, v3 :: v_dual_cndmask_b32 v2, 0, v4
	s_delay_alu instid0(VALU_DEP_3)
	v_dual_cndmask_b32 v5, 0, v5 :: v_dual_cndmask_b32 v4, 0, v6
	v_add_nc_u32_e32 v6, s16, v1
	v_add_nc_u32_e32 v1, 0x100, v1
	global_store_b128 v6, v[2:5], s[8:9] scale_offset
	s_wait_xcnt 0x0
	s_or_b32 exec_lo, exec_lo, s0
	s_delay_alu instid0(SALU_CYCLE_1)
	s_mov_b32 s0, exec_lo
	v_cmpx_gt_i32_e64 s20, v1
	s_cbranch_execz .LBB28_44
.LBB28_62:
	s_wait_loadcnt 0x0
	v_or_b32_e32 v2, 0x900, v0
	v_dual_cndmask_b32 v4, v62, v82, s18 :: v_dual_cndmask_b32 v3, v63, v83, s18
	v_dual_cndmask_b32 v5, v65, v85, s18 :: v_dual_cndmask_b32 v6, v64, v84, s18
	s_delay_alu instid0(VALU_DEP_3) | instskip(NEXT) | instid1(VALU_DEP_3)
	v_cmp_gt_i32_e32 vcc_lo, s20, v2
	v_dual_cndmask_b32 v3, 0, v3 :: v_dual_cndmask_b32 v2, 0, v4
	s_delay_alu instid0(VALU_DEP_3)
	v_dual_cndmask_b32 v5, 0, v5 :: v_dual_cndmask_b32 v4, 0, v6
	v_add_nc_u32_e32 v6, s16, v1
	v_add_nc_u32_e32 v1, 0x100, v1
	global_store_b128 v6, v[2:5], s[8:9] scale_offset
	s_wait_xcnt 0x0
	s_or_b32 exec_lo, exec_lo, s0
	s_delay_alu instid0(SALU_CYCLE_1)
	s_mov_b32 s0, exec_lo
	v_cmpx_gt_i32_e64 s20, v1
	s_cbranch_execz .LBB28_45
.LBB28_63:
	s_wait_loadcnt 0x0
	v_or_b32_e32 v2, 0xa00, v0
	v_dual_cndmask_b32 v4, v90, v86, s22 :: v_dual_cndmask_b32 v3, v91, v87, s22
	v_dual_cndmask_b32 v5, v93, v89, s22 :: v_dual_cndmask_b32 v6, v92, v88, s22
	s_delay_alu instid0(VALU_DEP_3) | instskip(NEXT) | instid1(VALU_DEP_3)
	v_cmp_gt_i32_e32 vcc_lo, s20, v2
	v_dual_cndmask_b32 v3, 0, v3 :: v_dual_cndmask_b32 v2, 0, v4
	s_delay_alu instid0(VALU_DEP_3)
	v_dual_cndmask_b32 v5, 0, v5 :: v_dual_cndmask_b32 v4, 0, v6
	v_add_nc_u32_e32 v6, s16, v1
	v_add_nc_u32_e32 v1, 0x100, v1
	global_store_b128 v6, v[2:5], s[8:9] scale_offset
	s_wait_xcnt 0x0
	s_or_b32 exec_lo, exec_lo, s0
	s_delay_alu instid0(SALU_CYCLE_1)
	s_mov_b32 s0, exec_lo
	v_cmpx_gt_i32_e64 s20, v1
	s_cbranch_execz .LBB28_46
.LBB28_64:
	s_wait_loadcnt 0x0
	v_or_b32_e32 v2, 0xb00, v0
	v_dual_cndmask_b32 v4, v78, v98, s21 :: v_dual_cndmask_b32 v3, v79, v99, s21
	v_dual_cndmask_b32 v5, v81, v101, s21 :: v_dual_cndmask_b32 v6, v80, v100, s21
	s_delay_alu instid0(VALU_DEP_3) | instskip(NEXT) | instid1(VALU_DEP_3)
	v_cmp_gt_i32_e32 vcc_lo, s20, v2
	v_dual_cndmask_b32 v3, 0, v3 :: v_dual_cndmask_b32 v2, 0, v4
	s_delay_alu instid0(VALU_DEP_3)
	v_dual_cndmask_b32 v5, 0, v5 :: v_dual_cndmask_b32 v4, 0, v6
	v_add_nc_u32_e32 v6, s16, v1
	v_add_nc_u32_e32 v1, 0x100, v1
	global_store_b128 v6, v[2:5], s[8:9] scale_offset
	s_wait_xcnt 0x0
	s_or_b32 exec_lo, exec_lo, s0
	s_delay_alu instid0(SALU_CYCLE_1)
	s_mov_b32 s0, exec_lo
	v_cmpx_gt_i32_e64 s20, v1
	s_cbranch_execz .LBB28_47
.LBB28_65:
	s_wait_loadcnt 0x0
	v_or_b32_e32 v2, 0xc00, v0
	v_dual_cndmask_b32 v4, v106, v102, s24 :: v_dual_cndmask_b32 v3, v107, v103, s24
	v_dual_cndmask_b32 v5, v109, v105, s24 :: v_dual_cndmask_b32 v6, v108, v104, s24
	s_delay_alu instid0(VALU_DEP_3) | instskip(NEXT) | instid1(VALU_DEP_3)
	v_cmp_gt_i32_e32 vcc_lo, s20, v2
	v_dual_cndmask_b32 v3, 0, v3 :: v_dual_cndmask_b32 v2, 0, v4
	s_delay_alu instid0(VALU_DEP_3)
	v_dual_cndmask_b32 v5, 0, v5 :: v_dual_cndmask_b32 v4, 0, v6
	v_add_nc_u32_e32 v6, s16, v1
	v_add_nc_u32_e32 v1, 0x100, v1
	global_store_b128 v6, v[2:5], s[8:9] scale_offset
	s_wait_xcnt 0x0
	s_or_b32 exec_lo, exec_lo, s0
	s_delay_alu instid0(SALU_CYCLE_1)
	s_mov_b32 s0, exec_lo
	v_cmpx_gt_i32_e64 s20, v1
	s_cbranch_execz .LBB28_48
.LBB28_66:
	s_wait_loadcnt 0x0
	v_or_b32_e32 v2, 0xd00, v0
	v_dual_cndmask_b32 v4, v94, v114, s23 :: v_dual_cndmask_b32 v3, v95, v115, s23
	v_dual_cndmask_b32 v5, v97, v117, s23 :: v_dual_cndmask_b32 v6, v96, v116, s23
	s_delay_alu instid0(VALU_DEP_3) | instskip(NEXT) | instid1(VALU_DEP_3)
	v_cmp_gt_i32_e32 vcc_lo, s20, v2
	v_dual_cndmask_b32 v3, 0, v3 :: v_dual_cndmask_b32 v2, 0, v4
	s_delay_alu instid0(VALU_DEP_3)
	v_dual_cndmask_b32 v5, 0, v5 :: v_dual_cndmask_b32 v4, 0, v6
	v_add_nc_u32_e32 v6, s16, v1
	v_add_nc_u32_e32 v1, 0x100, v1
	global_store_b128 v6, v[2:5], s[8:9] scale_offset
	s_wait_xcnt 0x0
	s_or_b32 exec_lo, exec_lo, s0
	s_delay_alu instid0(SALU_CYCLE_1)
	s_mov_b32 s0, exec_lo
	v_cmpx_gt_i32_e64 s20, v1
	s_cbranch_execz .LBB28_49
.LBB28_67:
	s_wait_loadcnt 0x0
	v_or_b32_e32 v2, 0xe00, v0
	v_dual_cndmask_b32 v4, v122, v118, s26 :: v_dual_cndmask_b32 v3, v123, v119, s26
	v_dual_cndmask_b32 v5, v125, v121, s26 :: v_dual_cndmask_b32 v6, v124, v120, s26
	s_delay_alu instid0(VALU_DEP_3) | instskip(NEXT) | instid1(VALU_DEP_3)
	v_cmp_gt_i32_e32 vcc_lo, s20, v2
	v_dual_cndmask_b32 v3, 0, v3 :: v_dual_cndmask_b32 v2, 0, v4
	s_delay_alu instid0(VALU_DEP_3)
	v_dual_cndmask_b32 v5, 0, v5 :: v_dual_cndmask_b32 v4, 0, v6
	v_add_nc_u32_e32 v6, s16, v1
	v_add_nc_u32_e32 v1, 0x100, v1
	global_store_b128 v6, v[2:5], s[8:9] scale_offset
	s_wait_xcnt 0x0
	s_or_b32 exec_lo, exec_lo, s0
	s_delay_alu instid0(SALU_CYCLE_1)
	s_mov_b32 s0, exec_lo
	v_cmpx_gt_i32_e64 s20, v1
	s_cbranch_execnz .LBB28_50
	s_branch .LBB28_51
	.section	.rodata,"a",@progbits
	.p2align	6, 0x0
	.amdhsa_kernel _ZN2at6native29vectorized_elementwise_kernelILi4EZZZNS0_12_GLOBAL__N_117where_kernel_implERNS_14TensorIteratorEENKUlvE_clEvENKUlvE3_clEvEUlbN3c107complexIdEES9_E_St5arrayIPcLm4EEEEviT0_T1_
		.amdhsa_group_segment_fixed_size 0
		.amdhsa_private_segment_fixed_size 0
		.amdhsa_kernarg_size 40
		.amdhsa_user_sgpr_count 2
		.amdhsa_user_sgpr_dispatch_ptr 0
		.amdhsa_user_sgpr_queue_ptr 0
		.amdhsa_user_sgpr_kernarg_segment_ptr 1
		.amdhsa_user_sgpr_dispatch_id 0
		.amdhsa_user_sgpr_kernarg_preload_length 0
		.amdhsa_user_sgpr_kernarg_preload_offset 0
		.amdhsa_user_sgpr_private_segment_size 0
		.amdhsa_wavefront_size32 1
		.amdhsa_uses_dynamic_stack 0
		.amdhsa_enable_private_segment 0
		.amdhsa_system_sgpr_workgroup_id_x 1
		.amdhsa_system_sgpr_workgroup_id_y 0
		.amdhsa_system_sgpr_workgroup_id_z 0
		.amdhsa_system_sgpr_workgroup_info 0
		.amdhsa_system_vgpr_workitem_id 0
		.amdhsa_next_free_vgpr 143
		.amdhsa_next_free_sgpr 28
		.amdhsa_named_barrier_count 0
		.amdhsa_reserve_vcc 1
		.amdhsa_float_round_mode_32 0
		.amdhsa_float_round_mode_16_64 0
		.amdhsa_float_denorm_mode_32 3
		.amdhsa_float_denorm_mode_16_64 3
		.amdhsa_fp16_overflow 0
		.amdhsa_memory_ordered 1
		.amdhsa_forward_progress 1
		.amdhsa_inst_pref_size 43
		.amdhsa_round_robin_scheduling 0
		.amdhsa_exception_fp_ieee_invalid_op 0
		.amdhsa_exception_fp_denorm_src 0
		.amdhsa_exception_fp_ieee_div_zero 0
		.amdhsa_exception_fp_ieee_overflow 0
		.amdhsa_exception_fp_ieee_underflow 0
		.amdhsa_exception_fp_ieee_inexact 0
		.amdhsa_exception_int_div_zero 0
	.end_amdhsa_kernel
	.section	.text._ZN2at6native29vectorized_elementwise_kernelILi4EZZZNS0_12_GLOBAL__N_117where_kernel_implERNS_14TensorIteratorEENKUlvE_clEvENKUlvE3_clEvEUlbN3c107complexIdEES9_E_St5arrayIPcLm4EEEEviT0_T1_,"axG",@progbits,_ZN2at6native29vectorized_elementwise_kernelILi4EZZZNS0_12_GLOBAL__N_117where_kernel_implERNS_14TensorIteratorEENKUlvE_clEvENKUlvE3_clEvEUlbN3c107complexIdEES9_E_St5arrayIPcLm4EEEEviT0_T1_,comdat
.Lfunc_end28:
	.size	_ZN2at6native29vectorized_elementwise_kernelILi4EZZZNS0_12_GLOBAL__N_117where_kernel_implERNS_14TensorIteratorEENKUlvE_clEvENKUlvE3_clEvEUlbN3c107complexIdEES9_E_St5arrayIPcLm4EEEEviT0_T1_, .Lfunc_end28-_ZN2at6native29vectorized_elementwise_kernelILi4EZZZNS0_12_GLOBAL__N_117where_kernel_implERNS_14TensorIteratorEENKUlvE_clEvENKUlvE3_clEvEUlbN3c107complexIdEES9_E_St5arrayIPcLm4EEEEviT0_T1_
                                        ; -- End function
	.set _ZN2at6native29vectorized_elementwise_kernelILi4EZZZNS0_12_GLOBAL__N_117where_kernel_implERNS_14TensorIteratorEENKUlvE_clEvENKUlvE3_clEvEUlbN3c107complexIdEES9_E_St5arrayIPcLm4EEEEviT0_T1_.num_vgpr, 143
	.set _ZN2at6native29vectorized_elementwise_kernelILi4EZZZNS0_12_GLOBAL__N_117where_kernel_implERNS_14TensorIteratorEENKUlvE_clEvENKUlvE3_clEvEUlbN3c107complexIdEES9_E_St5arrayIPcLm4EEEEviT0_T1_.num_agpr, 0
	.set _ZN2at6native29vectorized_elementwise_kernelILi4EZZZNS0_12_GLOBAL__N_117where_kernel_implERNS_14TensorIteratorEENKUlvE_clEvENKUlvE3_clEvEUlbN3c107complexIdEES9_E_St5arrayIPcLm4EEEEviT0_T1_.numbered_sgpr, 28
	.set _ZN2at6native29vectorized_elementwise_kernelILi4EZZZNS0_12_GLOBAL__N_117where_kernel_implERNS_14TensorIteratorEENKUlvE_clEvENKUlvE3_clEvEUlbN3c107complexIdEES9_E_St5arrayIPcLm4EEEEviT0_T1_.num_named_barrier, 0
	.set _ZN2at6native29vectorized_elementwise_kernelILi4EZZZNS0_12_GLOBAL__N_117where_kernel_implERNS_14TensorIteratorEENKUlvE_clEvENKUlvE3_clEvEUlbN3c107complexIdEES9_E_St5arrayIPcLm4EEEEviT0_T1_.private_seg_size, 0
	.set _ZN2at6native29vectorized_elementwise_kernelILi4EZZZNS0_12_GLOBAL__N_117where_kernel_implERNS_14TensorIteratorEENKUlvE_clEvENKUlvE3_clEvEUlbN3c107complexIdEES9_E_St5arrayIPcLm4EEEEviT0_T1_.uses_vcc, 1
	.set _ZN2at6native29vectorized_elementwise_kernelILi4EZZZNS0_12_GLOBAL__N_117where_kernel_implERNS_14TensorIteratorEENKUlvE_clEvENKUlvE3_clEvEUlbN3c107complexIdEES9_E_St5arrayIPcLm4EEEEviT0_T1_.uses_flat_scratch, 0
	.set _ZN2at6native29vectorized_elementwise_kernelILi4EZZZNS0_12_GLOBAL__N_117where_kernel_implERNS_14TensorIteratorEENKUlvE_clEvENKUlvE3_clEvEUlbN3c107complexIdEES9_E_St5arrayIPcLm4EEEEviT0_T1_.has_dyn_sized_stack, 0
	.set _ZN2at6native29vectorized_elementwise_kernelILi4EZZZNS0_12_GLOBAL__N_117where_kernel_implERNS_14TensorIteratorEENKUlvE_clEvENKUlvE3_clEvEUlbN3c107complexIdEES9_E_St5arrayIPcLm4EEEEviT0_T1_.has_recursion, 0
	.set _ZN2at6native29vectorized_elementwise_kernelILi4EZZZNS0_12_GLOBAL__N_117where_kernel_implERNS_14TensorIteratorEENKUlvE_clEvENKUlvE3_clEvEUlbN3c107complexIdEES9_E_St5arrayIPcLm4EEEEviT0_T1_.has_indirect_call, 0
	.section	.AMDGPU.csdata,"",@progbits
; Kernel info:
; codeLenInByte = 5456
; TotalNumSgprs: 30
; NumVgprs: 143
; ScratchSize: 0
; MemoryBound: 1
; FloatMode: 240
; IeeeMode: 1
; LDSByteSize: 0 bytes/workgroup (compile time only)
; SGPRBlocks: 0
; VGPRBlocks: 8
; NumSGPRsForWavesPerEU: 30
; NumVGPRsForWavesPerEU: 143
; NamedBarCnt: 0
; Occupancy: 7
; WaveLimiterHint : 1
; COMPUTE_PGM_RSRC2:SCRATCH_EN: 0
; COMPUTE_PGM_RSRC2:USER_SGPR: 2
; COMPUTE_PGM_RSRC2:TRAP_HANDLER: 0
; COMPUTE_PGM_RSRC2:TGID_X_EN: 1
; COMPUTE_PGM_RSRC2:TGID_Y_EN: 0
; COMPUTE_PGM_RSRC2:TGID_Z_EN: 0
; COMPUTE_PGM_RSRC2:TIDIG_COMP_CNT: 0
	.section	.text._ZN2at6native29vectorized_elementwise_kernelILi2EZZZNS0_12_GLOBAL__N_117where_kernel_implERNS_14TensorIteratorEENKUlvE_clEvENKUlvE3_clEvEUlbN3c107complexIdEES9_E_St5arrayIPcLm4EEEEviT0_T1_,"axG",@progbits,_ZN2at6native29vectorized_elementwise_kernelILi2EZZZNS0_12_GLOBAL__N_117where_kernel_implERNS_14TensorIteratorEENKUlvE_clEvENKUlvE3_clEvEUlbN3c107complexIdEES9_E_St5arrayIPcLm4EEEEviT0_T1_,comdat
	.globl	_ZN2at6native29vectorized_elementwise_kernelILi2EZZZNS0_12_GLOBAL__N_117where_kernel_implERNS_14TensorIteratorEENKUlvE_clEvENKUlvE3_clEvEUlbN3c107complexIdEES9_E_St5arrayIPcLm4EEEEviT0_T1_ ; -- Begin function _ZN2at6native29vectorized_elementwise_kernelILi2EZZZNS0_12_GLOBAL__N_117where_kernel_implERNS_14TensorIteratorEENKUlvE_clEvENKUlvE3_clEvEUlbN3c107complexIdEES9_E_St5arrayIPcLm4EEEEviT0_T1_
	.p2align	8
	.type	_ZN2at6native29vectorized_elementwise_kernelILi2EZZZNS0_12_GLOBAL__N_117where_kernel_implERNS_14TensorIteratorEENKUlvE_clEvENKUlvE3_clEvEUlbN3c107complexIdEES9_E_St5arrayIPcLm4EEEEviT0_T1_,@function
_ZN2at6native29vectorized_elementwise_kernelILi2EZZZNS0_12_GLOBAL__N_117where_kernel_implERNS_14TensorIteratorEENKUlvE_clEvENKUlvE3_clEvEUlbN3c107complexIdEES9_E_St5arrayIPcLm4EEEEviT0_T1_: ; @_ZN2at6native29vectorized_elementwise_kernelILi2EZZZNS0_12_GLOBAL__N_117where_kernel_implERNS_14TensorIteratorEENKUlvE_clEvENKUlvE3_clEvEUlbN3c107complexIdEES9_E_St5arrayIPcLm4EEEEviT0_T1_
; %bb.0:
	s_clause 0x1
	s_load_b32 s2, s[0:1], 0x0
	s_load_b256 s[8:15], s[0:1], 0x8
	s_wait_xcnt 0x0
	s_bfe_u32 s0, ttmp6, 0x4000c
	s_and_b32 s1, ttmp6, 15
	s_add_co_i32 s0, s0, 1
	s_getreg_b32 s3, hwreg(HW_REG_IB_STS2, 6, 4)
	s_mul_i32 s0, ttmp9, s0
	s_mov_b32 s17, -1
	s_add_co_i32 s1, s1, s0
	s_cmp_eq_u32 s3, 0
	s_cselect_b32 s0, ttmp9, s1
	s_delay_alu instid0(SALU_CYCLE_1) | instskip(SKIP_2) | instid1(SALU_CYCLE_1)
	s_lshl_b32 s16, s0, 12
	s_wait_kmcnt 0x0
	s_sub_co_i32 s18, s2, s16
	s_cmp_gt_i32 s18, 0xfff
	s_cbranch_scc0 .LBB29_2
; %bb.1:
	s_ashr_i32 s17, s16, 31
	s_delay_alu instid0(SALU_CYCLE_1)
	s_add_nc_u64 s[2:3], s[10:11], s[16:17]
	s_lshl_b64 s[0:1], s[16:17], 4
	global_load_u16 v126, v0, s[2:3] scale_offset
	s_add_nc_u64 s[4:5], s[12:13], s[0:1]
	s_add_nc_u64 s[6:7], s[14:15], s[0:1]
	;; [unrolled: 1-line block ×3, first 2 shown]
	s_mov_b32 s17, 0
	s_wait_loadcnt 0x0
	v_cmp_lt_u16_e32 vcc_lo, 0xff, v126
	v_lshlrev_b32_e32 v1, 5, v0
	v_and_b32_e32 v126, 0xff, v126
	s_clause 0x1
	global_load_b128 v[2:5], v1, s[4:5] offset:16
	global_load_b128 v[6:9], v1, s[6:7] offset:16
	s_clause 0x3
	global_load_u16 v127, v0, s[2:3] offset:512 scale_offset
	global_load_u16 v128, v0, s[2:3] offset:1024 scale_offset
	;; [unrolled: 1-line block ×4, first 2 shown]
	s_clause 0x1
	global_load_b128 v[10:13], v1, s[4:5] offset:8208
	global_load_b128 v[14:17], v1, s[6:7] offset:8208
	s_clause 0x2
	global_load_u16 v131, v0, s[2:3] offset:2560 scale_offset
	global_load_u16 v132, v0, s[2:3] offset:3072 scale_offset
	;; [unrolled: 1-line block ×3, first 2 shown]
	s_clause 0x17
	global_load_b128 v[18:21], v1, s[4:5] offset:16400
	global_load_b128 v[22:25], v1, s[6:7] offset:16400
	;; [unrolled: 1-line block ×4, first 2 shown]
	; meta instruction
	global_load_b128 v[34:37], v1, s[4:5] offset:32784
	global_load_b128 v[38:41], v1, s[6:7] offset:32784
	;; [unrolled: 1-line block ×8, first 2 shown]
	global_load_b128 v[66:69], v1, s[4:5]
	global_load_b128 v[70:73], v1, s[6:7]
	global_load_b128 v[74:77], v1, s[4:5] offset:8192
	global_load_b128 v[78:81], v1, s[6:7] offset:8192
	;; [unrolled: 1-line block ×10, first 2 shown]
	s_wait_loadcnt 0x21
	v_cndmask_b32_e32 v3, v7, v3, vcc_lo
	s_clause 0x2
	global_load_b128 v[114:117], v1, s[6:7] offset:40960
	global_load_b128 v[118:121], v1, s[4:5] offset:57344
	;; [unrolled: 1-line block ×3, first 2 shown]
	v_dual_cndmask_b32 v2, v6, v2 :: v_dual_cndmask_b32 v5, v9, v5
	v_cndmask_b32_e32 v4, v8, v4, vcc_lo
	global_load_b128 v[6:9], v1, s[6:7] offset:57344
	s_wait_loadcnt 0x24
	v_cmp_lt_u16_e32 vcc_lo, 0xff, v127
	s_wait_loadcnt 0x23
	v_cmp_lt_u16_e64 s0, 0xff, v128
	v_and_b32_e32 v134, 0xff, v127
	v_and_b32_e32 v127, 0xff, v128
	s_wait_loadcnt 0x1c
	s_wait_xcnt 0x1c
	v_cmp_lt_u16_e64 s2, 0xff, v133
	v_dual_cndmask_b32 v11, v15, v11 :: v_dual_cndmask_b32 v10, v14, v10
	v_dual_cndmask_b32 v13, v17, v13 :: v_dual_cndmask_b32 v12, v16, v12
	s_wait_loadcnt 0x1a
	v_dual_cndmask_b32 v15, v23, v19, s0 :: v_dual_cndmask_b32 v14, v22, v18, s0
	v_cndmask_b32_e64 v17, v25, v21, s0
	v_cmp_lt_u16_e64 vcc_lo, 0xff, v129
	v_cndmask_b32_e64 v16, v24, v20, s0
	v_cmp_lt_u16_e64 s0, 0xff, v130
	v_and_b32_e32 v128, 0xff, v129
	v_and_b32_e32 v135, 0xff, v130
	;; [unrolled: 1-line block ×3, first 2 shown]
	v_cmp_lt_u16_e64 s1, 0xff, v131
	s_wait_loadcnt 0x16
	v_dual_cndmask_b32 v23, v39, v35, s0 :: v_dual_cndmask_b32 v18, v30, v26, vcc_lo
	s_wait_loadcnt 0x10
	v_dual_cndmask_b32 v35, v63, v59, s2 :: v_dual_cndmask_b32 v22, v38, v34, s0
	v_dual_cndmask_b32 v25, v41, v37, s0 :: v_dual_cndmask_b32 v24, v40, v36, s0
	v_cmp_eq_u16_e64 s0, 0, v126
	v_cmp_eq_u16_e64 s3, 0, v134
	s_wait_xcnt 0x2
	v_cmp_eq_u16_e64 s4, 0, v127
	v_and_b32_e32 v137, 0xff, v132
	v_and_b32_e32 v138, 0xff, v133
	v_cndmask_b32_e32 v19, v31, v27, vcc_lo
	v_dual_cndmask_b32 v27, v47, v43, s1 :: v_dual_cndmask_b32 v21, v33, v29, vcc_lo
	v_cndmask_b32_e32 v20, v32, v28, vcc_lo
	v_cmp_lt_u16_e64 vcc_lo, 0xff, v132
	s_wait_loadcnt 0xe
	v_dual_cndmask_b32 v39, v67, v71, s0 :: v_dual_cndmask_b32 v26, v46, v42, s1
	s_wait_loadcnt 0xc
	v_dual_cndmask_b32 v43, v75, v79, s3 :: v_dual_cndmask_b32 v29, v49, v45, s1
	;; [unrolled: 2-line block ×3, first 2 shown]
	v_cmp_eq_u16_e64 s1, 0, v128
	v_cmp_eq_u16_e64 s5, 0, v135
	s_wait_xcnt 0x0
	v_cmp_eq_u16_e64 s6, 0, v136
	v_dual_cndmask_b32 v31, v55, v51 :: v_dual_cndmask_b32 v30, v54, v50
	s_wait_loadcnt 0x6
	v_cndmask_b32_e64 v51, v91, v103, s1
	s_wait_loadcnt 0x4
	v_dual_cndmask_b32 v55, v95, v111, s5 :: v_dual_cndmask_b32 v33, v57, v53, vcc_lo
	v_cmp_eq_u16_e64 s7, 0, v138
	v_dual_cndmask_b32 v36, v64, v60, s2 :: v_dual_cndmask_b32 v38, v66, v70, s0
	v_dual_cndmask_b32 v41, v69, v73, s0 :: v_dual_cndmask_b32 v40, v68, v72, s0
	;; [unrolled: 1-line block ×6, first 2 shown]
	v_dual_cndmask_b32 v57, v97, v113, s5 :: v_dual_cndmask_b32 v32, v56, v52, vcc_lo
	v_cmp_eq_u16_e64 vcc_lo, 0, v137
	v_dual_cndmask_b32 v52, v92, v104, s1 :: v_dual_cndmask_b32 v54, v94, v110, s5
	v_dual_cndmask_b32 v56, v96, v112, s5 :: v_dual_cndmask_b32 v37, v65, v61, s2
	s_wait_loadcnt 0x3
	v_dual_cndmask_b32 v34, v62, v58, s2 :: v_dual_cndmask_b32 v59, v99, v115, s6
	v_dual_cndmask_b32 v58, v98, v114, s6 :: v_dual_cndmask_b32 v61, v101, v117, s6
	s_wait_loadcnt 0x1
	v_dual_cndmask_b32 v63, v107, v123, vcc_lo :: v_dual_cndmask_b32 v60, v100, v116, s6
	s_wait_loadcnt 0x0
	v_dual_cndmask_b32 v62, v106, v122, vcc_lo :: v_dual_cndmask_b32 v7, v119, v7, s7
	v_dual_cndmask_b32 v65, v109, v125 :: v_dual_cndmask_b32 v64, v108, v124
	v_dual_cndmask_b32 v6, v118, v6, s7 :: v_dual_cndmask_b32 v9, v121, v9, s7
	v_cndmask_b32_e64 v8, v120, v8, s7
	s_clause 0xf
	global_store_b128 v1, v[38:41], s[20:21]
	global_store_b128 v1, v[2:5], s[20:21] offset:16
	global_store_b128 v1, v[42:45], s[20:21] offset:8192
	;; [unrolled: 1-line block ×15, first 2 shown]
.LBB29_2:
	s_and_not1_b32 vcc_lo, exec_lo, s17
	s_cbranch_vccnz .LBB29_51
; %bb.3:
	s_wait_xcnt 0xe
	v_mov_b64_e32 v[2:3], 0
	s_wait_xcnt 0xc
	v_mov_b64_e32 v[10:11], 0
	v_mov_b64_e32 v[12:13], 0
	s_wait_xcnt 0x1
	v_mov_b64_e32 v[6:7], 0
	v_mov_b64_e32 v[8:9], 0
	s_wait_xcnt 0x0
	v_dual_mov_b32 v1, v0 :: v_dual_bitop2_b32 v131, s16, v0 bitop3:0x54
	v_cmp_gt_i32_e32 vcc_lo, s18, v0
	v_or_b32_e32 v130, 0x100, v0
	v_mov_b32_e32 v132, v0
	s_mov_b32 s1, 0
	s_mov_b32 s2, 0
	s_and_saveexec_b32 s3, vcc_lo
	s_cbranch_execz .LBB29_5
; %bb.4:
	s_clause 0x2
	global_load_u8 v4, v131, s[10:11]
	global_load_b128 v[6:9], v131, s[12:13] scale_offset
	global_load_b128 v[10:13], v131, s[14:15] scale_offset
	v_or_b32_e32 v132, 0x100, v0
	s_wait_loadcnt 0x2
	v_cmp_ne_u16_e64 s0, 0, v4
	s_and_b32 s2, s0, exec_lo
.LBB29_5:
	s_wait_xcnt 0x0
	s_or_b32 exec_lo, exec_lo, s3
	v_mov_b64_e32 v[4:5], 0
	v_mov_b64_e32 v[18:19], 0
	v_mov_b64_e32 v[20:21], 0
	s_mov_b32 s3, exec_lo
	v_cmpx_gt_i32_e64 s18, v132
	s_cbranch_execz .LBB29_7
; %bb.6:
	v_add_nc_u32_e32 v14, s16, v132
	v_add_nc_u32_e32 v132, 0x100, v132
	s_clause 0x2
	global_load_u8 v15, v14, s[10:11]
	global_load_b128 v[18:21], v14, s[12:13] scale_offset
	global_load_b128 v[2:5], v14, s[14:15] scale_offset
	s_wait_loadcnt 0x2
	v_cmp_ne_u16_e64 s0, 0, v15
	s_and_b32 s1, s0, exec_lo
.LBB29_7:
	s_wait_xcnt 0x0
	s_or_b32 exec_lo, exec_lo, s3
	v_mov_b64_e32 v[14:15], 0
	v_mov_b64_e32 v[26:27], 0
	v_mov_b64_e32 v[28:29], 0
	v_mov_b64_e32 v[22:23], 0
	v_mov_b64_e32 v[24:25], 0
	s_mov_b32 s3, 0
	s_mov_b32 s4, 0
	s_mov_b32 s5, exec_lo
	v_cmpx_gt_i32_e64 s18, v132
	s_cbranch_execz .LBB29_9
; %bb.8:
	v_add_nc_u32_e32 v16, s16, v132
	v_add_nc_u32_e32 v132, 0x100, v132
	s_clause 0x2
	global_load_u8 v17, v16, s[10:11]
	global_load_b128 v[22:25], v16, s[12:13] scale_offset
	global_load_b128 v[26:29], v16, s[14:15] scale_offset
	s_wait_loadcnt 0x2
	v_cmp_ne_u16_e64 s0, 0, v17
	s_and_b32 s4, s0, exec_lo
.LBB29_9:
	s_wait_xcnt 0x0
	s_or_b32 exec_lo, exec_lo, s5
	v_mov_b64_e32 v[16:17], 0
	v_mov_b64_e32 v[34:35], 0
	v_mov_b64_e32 v[36:37], 0
	s_mov_b32 s5, exec_lo
	v_cmpx_gt_i32_e64 s18, v132
	s_cbranch_execz .LBB29_11
; %bb.10:
	v_add_nc_u32_e32 v30, s16, v132
	v_add_nc_u32_e32 v132, 0x100, v132
	s_clause 0x2
	global_load_u8 v31, v30, s[10:11]
	global_load_b128 v[34:37], v30, s[12:13] scale_offset
	global_load_b128 v[14:17], v30, s[14:15] scale_offset
	s_wait_loadcnt 0x2
	v_cmp_ne_u16_e64 s0, 0, v31
	s_and_b32 s3, s0, exec_lo
.LBB29_11:
	s_wait_xcnt 0x0
	s_or_b32 exec_lo, exec_lo, s5
	v_mov_b64_e32 v[30:31], 0
	v_mov_b64_e32 v[42:43], 0
	v_mov_b64_e32 v[44:45], 0
	v_mov_b64_e32 v[38:39], 0
	v_mov_b64_e32 v[40:41], 0
	s_mov_b32 s5, 0
	s_mov_b32 s6, 0
	s_mov_b32 s7, exec_lo
	v_cmpx_gt_i32_e64 s18, v132
	s_cbranch_execz .LBB29_13
; %bb.12:
	v_add_nc_u32_e32 v32, s16, v132
	v_add_nc_u32_e32 v132, 0x100, v132
	s_clause 0x2
	global_load_u8 v33, v32, s[10:11]
	global_load_b128 v[38:41], v32, s[12:13] scale_offset
	global_load_b128 v[42:45], v32, s[14:15] scale_offset
	s_wait_loadcnt 0x2
	v_cmp_ne_u16_e64 s0, 0, v33
	s_and_b32 s6, s0, exec_lo
.LBB29_13:
	;; [unrolled: 42-line block ×7, first 2 shown]
	s_wait_xcnt 0x0
	s_or_b32 exec_lo, exec_lo, s27
	v_mov_b64_e32 v[112:113], 0
	v_mov_b64_e32 v[126:127], 0
	v_mov_b64_e32 v[128:129], 0
	s_mov_b32 s27, exec_lo
	v_cmpx_gt_i32_e64 s18, v132
	s_cbranch_execnz .LBB29_52
; %bb.34:
	s_or_b32 exec_lo, exec_lo, s27
	s_and_saveexec_b32 s0, vcc_lo
	s_cbranch_execnz .LBB29_53
.LBB29_35:
	s_or_b32 exec_lo, exec_lo, s0
	s_delay_alu instid0(SALU_CYCLE_1)
	s_mov_b32 s0, exec_lo
	v_cmpx_gt_i32_e64 s18, v1
	s_cbranch_execnz .LBB29_54
.LBB29_36:
	s_or_b32 exec_lo, exec_lo, s0
	s_delay_alu instid0(SALU_CYCLE_1)
	s_mov_b32 s0, exec_lo
	v_cmpx_gt_i32_e64 s18, v1
	s_cbranch_execnz .LBB29_55
.LBB29_37:
	s_or_b32 exec_lo, exec_lo, s0
	s_delay_alu instid0(SALU_CYCLE_1)
	s_mov_b32 s0, exec_lo
	v_cmpx_gt_i32_e64 s18, v1
	s_cbranch_execnz .LBB29_56
.LBB29_38:
	s_or_b32 exec_lo, exec_lo, s0
	s_delay_alu instid0(SALU_CYCLE_1)
	s_mov_b32 s0, exec_lo
	v_cmpx_gt_i32_e64 s18, v1
	s_cbranch_execnz .LBB29_57
.LBB29_39:
	s_or_b32 exec_lo, exec_lo, s0
	s_delay_alu instid0(SALU_CYCLE_1)
	s_mov_b32 s0, exec_lo
	v_cmpx_gt_i32_e64 s18, v1
	s_cbranch_execnz .LBB29_58
.LBB29_40:
	s_or_b32 exec_lo, exec_lo, s0
	s_delay_alu instid0(SALU_CYCLE_1)
	s_mov_b32 s0, exec_lo
	v_cmpx_gt_i32_e64 s18, v1
	s_cbranch_execnz .LBB29_59
.LBB29_41:
	s_or_b32 exec_lo, exec_lo, s0
	s_delay_alu instid0(SALU_CYCLE_1)
	s_mov_b32 s0, exec_lo
	v_cmpx_gt_i32_e64 s18, v1
	s_cbranch_execnz .LBB29_60
.LBB29_42:
	s_or_b32 exec_lo, exec_lo, s0
	s_delay_alu instid0(SALU_CYCLE_1)
	s_mov_b32 s0, exec_lo
	v_cmpx_gt_i32_e64 s18, v1
	s_cbranch_execnz .LBB29_61
.LBB29_43:
	s_or_b32 exec_lo, exec_lo, s0
	s_delay_alu instid0(SALU_CYCLE_1)
	s_mov_b32 s0, exec_lo
	v_cmpx_gt_i32_e64 s18, v1
	s_cbranch_execnz .LBB29_62
.LBB29_44:
	s_or_b32 exec_lo, exec_lo, s0
	s_delay_alu instid0(SALU_CYCLE_1)
	s_mov_b32 s0, exec_lo
	v_cmpx_gt_i32_e64 s18, v1
	s_cbranch_execnz .LBB29_63
.LBB29_45:
	s_or_b32 exec_lo, exec_lo, s0
	s_delay_alu instid0(SALU_CYCLE_1)
	s_mov_b32 s0, exec_lo
	v_cmpx_gt_i32_e64 s18, v1
	s_cbranch_execnz .LBB29_64
.LBB29_46:
	s_or_b32 exec_lo, exec_lo, s0
	s_delay_alu instid0(SALU_CYCLE_1)
	s_mov_b32 s0, exec_lo
	v_cmpx_gt_i32_e64 s18, v1
	s_cbranch_execnz .LBB29_65
.LBB29_47:
	s_or_b32 exec_lo, exec_lo, s0
	s_delay_alu instid0(SALU_CYCLE_1)
	s_mov_b32 s0, exec_lo
	v_cmpx_gt_i32_e64 s18, v1
	s_cbranch_execnz .LBB29_66
.LBB29_48:
	s_or_b32 exec_lo, exec_lo, s0
	s_delay_alu instid0(SALU_CYCLE_1)
	s_mov_b32 s0, exec_lo
	v_cmpx_gt_i32_e64 s18, v1
	s_cbranch_execnz .LBB29_67
.LBB29_49:
	s_or_b32 exec_lo, exec_lo, s0
	s_delay_alu instid0(SALU_CYCLE_1)
	s_mov_b32 s0, exec_lo
	v_cmpx_gt_i32_e64 s18, v1
	s_cbranch_execz .LBB29_51
.LBB29_50:
	v_or_b32_e32 v0, 0xf00, v0
	s_wait_loadcnt 0x0
	v_dual_cndmask_b32 v2, v110, v126, s25 :: v_dual_cndmask_b32 v3, v111, v127, s25
	v_cndmask_b32_e64 v4, v112, v128, s25
	s_delay_alu instid0(VALU_DEP_3) | instskip(NEXT) | instid1(VALU_DEP_3)
	v_cmp_gt_i32_e32 vcc_lo, s18, v0
	v_dual_cndmask_b32 v0, v113, v129, s25 :: v_dual_cndmask_b32 v3, 0, v3, vcc_lo
	s_delay_alu instid0(VALU_DEP_1) | instskip(NEXT) | instid1(VALU_DEP_4)
	v_dual_cndmask_b32 v2, 0, v2 :: v_dual_cndmask_b32 v5, 0, v0
	v_dual_add_nc_u32 v0, s16, v1 :: v_dual_cndmask_b32 v4, 0, v4, vcc_lo
	global_store_b128 v0, v[2:5], s[8:9] scale_offset
.LBB29_51:
	s_sendmsg sendmsg(MSG_DEALLOC_VGPRS)
	s_endpgm
.LBB29_52:
	v_add_nc_u32_e32 v132, s16, v132
	s_clause 0x2
	global_load_u8 v133, v132, s[10:11]
	global_load_b128 v[126:129], v132, s[12:13] scale_offset
	global_load_b128 v[110:113], v132, s[14:15] scale_offset
	s_wait_loadcnt 0x2
	v_cmp_ne_u16_e64 s0, 0, v133
	s_and_b32 s25, s0, exec_lo
	s_wait_xcnt 0x0
	s_or_b32 exec_lo, exec_lo, s27
	s_and_saveexec_b32 s0, vcc_lo
	s_cbranch_execz .LBB29_35
.LBB29_53:
	s_wait_loadcnt 0x0
	v_dual_cndmask_b32 v7, v11, v7, s2 :: v_dual_cndmask_b32 v6, v10, v6, s2
	v_dual_cndmask_b32 v9, v13, v9, s2 :: v_dual_cndmask_b32 v8, v12, v8, s2
	v_mov_b32_e32 v1, v130
	global_store_b128 v131, v[6:9], s[8:9] scale_offset
	s_wait_xcnt 0x0
	s_or_b32 exec_lo, exec_lo, s0
	s_delay_alu instid0(SALU_CYCLE_1)
	s_mov_b32 s0, exec_lo
	v_cmpx_gt_i32_e64 s18, v1
	s_cbranch_execz .LBB29_36
.LBB29_54:
	s_wait_loadcnt 0x0
	v_dual_cndmask_b32 v5, v5, v21, s1 :: v_dual_cndmask_b32 v4, v4, v20, s1
	v_cmp_gt_i32_e32 vcc_lo, s18, v130
	v_dual_cndmask_b32 v3, v3, v19, s1 :: v_dual_cndmask_b32 v2, v2, v18, s1
	v_add_nc_u32_e32 v6, s16, v1
	v_add_nc_u32_e32 v1, 0x100, v1
	v_dual_cndmask_b32 v5, 0, v5 :: v_dual_cndmask_b32 v4, 0, v4
	s_delay_alu instid0(VALU_DEP_4) | instskip(SKIP_3) | instid1(SALU_CYCLE_1)
	v_dual_cndmask_b32 v3, 0, v3 :: v_dual_cndmask_b32 v2, 0, v2
	global_store_b128 v6, v[2:5], s[8:9] scale_offset
	s_wait_xcnt 0x0
	s_or_b32 exec_lo, exec_lo, s0
	s_mov_b32 s0, exec_lo
	v_cmpx_gt_i32_e64 s18, v1
	s_cbranch_execz .LBB29_37
.LBB29_55:
	s_wait_loadcnt 0x0
	v_or_b32_e32 v2, 0x200, v0
	v_dual_cndmask_b32 v3, v28, v24, s4 :: v_dual_cndmask_b32 v4, v29, v25, s4
	v_cndmask_b32_e64 v6, v26, v22, s4
	s_delay_alu instid0(VALU_DEP_3) | instskip(NEXT) | instid1(VALU_DEP_3)
	v_cmp_gt_i32_e32 vcc_lo, s18, v2
	v_dual_cndmask_b32 v2, v27, v23, s4 :: v_dual_cndmask_b32 v5, 0, v4, vcc_lo
	s_delay_alu instid0(VALU_DEP_1) | instskip(NEXT) | instid1(VALU_DEP_4)
	v_dual_cndmask_b32 v4, 0, v3 :: v_dual_cndmask_b32 v3, 0, v2
	v_dual_cndmask_b32 v2, 0, v6, vcc_lo :: v_dual_add_nc_u32 v6, s16, v1
	v_add_nc_u32_e32 v1, 0x100, v1
	global_store_b128 v6, v[2:5], s[8:9] scale_offset
	s_wait_xcnt 0x0
	s_or_b32 exec_lo, exec_lo, s0
	s_delay_alu instid0(SALU_CYCLE_1)
	s_mov_b32 s0, exec_lo
	v_cmpx_gt_i32_e64 s18, v1
	s_cbranch_execz .LBB29_38
.LBB29_56:
	s_wait_loadcnt 0x0
	v_or_b32_e32 v2, 0x300, v0
	v_dual_cndmask_b32 v3, v16, v36, s3 :: v_dual_cndmask_b32 v4, v17, v37, s3
	v_cndmask_b32_e64 v6, v14, v34, s3
	s_delay_alu instid0(VALU_DEP_3) | instskip(NEXT) | instid1(VALU_DEP_3)
	v_cmp_gt_i32_e32 vcc_lo, s18, v2
	v_dual_cndmask_b32 v2, v15, v35, s3 :: v_dual_cndmask_b32 v5, 0, v4, vcc_lo
	s_delay_alu instid0(VALU_DEP_1) | instskip(NEXT) | instid1(VALU_DEP_4)
	v_dual_cndmask_b32 v4, 0, v3 :: v_dual_cndmask_b32 v3, 0, v2
	v_dual_cndmask_b32 v2, 0, v6, vcc_lo :: v_dual_add_nc_u32 v6, s16, v1
	v_add_nc_u32_e32 v1, 0x100, v1
	global_store_b128 v6, v[2:5], s[8:9] scale_offset
	s_wait_xcnt 0x0
	s_or_b32 exec_lo, exec_lo, s0
	s_delay_alu instid0(SALU_CYCLE_1)
	s_mov_b32 s0, exec_lo
	v_cmpx_gt_i32_e64 s18, v1
	s_cbranch_execz .LBB29_39
.LBB29_57:
	s_wait_loadcnt 0x0
	v_or_b32_e32 v2, 0x400, v0
	v_dual_cndmask_b32 v3, v44, v40, s6 :: v_dual_cndmask_b32 v4, v45, v41, s6
	v_cndmask_b32_e64 v6, v42, v38, s6
	s_delay_alu instid0(VALU_DEP_3) | instskip(NEXT) | instid1(VALU_DEP_3)
	v_cmp_gt_i32_e32 vcc_lo, s18, v2
	v_dual_cndmask_b32 v2, v43, v39, s6 :: v_dual_cndmask_b32 v5, 0, v4, vcc_lo
	s_delay_alu instid0(VALU_DEP_1) | instskip(NEXT) | instid1(VALU_DEP_4)
	v_dual_cndmask_b32 v4, 0, v3 :: v_dual_cndmask_b32 v3, 0, v2
	v_dual_cndmask_b32 v2, 0, v6, vcc_lo :: v_dual_add_nc_u32 v6, s16, v1
	v_add_nc_u32_e32 v1, 0x100, v1
	global_store_b128 v6, v[2:5], s[8:9] scale_offset
	s_wait_xcnt 0x0
	s_or_b32 exec_lo, exec_lo, s0
	s_delay_alu instid0(SALU_CYCLE_1)
	s_mov_b32 s0, exec_lo
	v_cmpx_gt_i32_e64 s18, v1
	s_cbranch_execz .LBB29_40
.LBB29_58:
	s_wait_loadcnt 0x0
	v_or_b32_e32 v2, 0x500, v0
	v_dual_cndmask_b32 v3, v32, v52, s5 :: v_dual_cndmask_b32 v4, v33, v53, s5
	v_cndmask_b32_e64 v6, v30, v50, s5
	s_delay_alu instid0(VALU_DEP_3) | instskip(NEXT) | instid1(VALU_DEP_3)
	v_cmp_gt_i32_e32 vcc_lo, s18, v2
	v_dual_cndmask_b32 v2, v31, v51, s5 :: v_dual_cndmask_b32 v5, 0, v4, vcc_lo
	s_delay_alu instid0(VALU_DEP_1) | instskip(NEXT) | instid1(VALU_DEP_4)
	v_dual_cndmask_b32 v4, 0, v3 :: v_dual_cndmask_b32 v3, 0, v2
	v_dual_cndmask_b32 v2, 0, v6, vcc_lo :: v_dual_add_nc_u32 v6, s16, v1
	v_add_nc_u32_e32 v1, 0x100, v1
	global_store_b128 v6, v[2:5], s[8:9] scale_offset
	s_wait_xcnt 0x0
	s_or_b32 exec_lo, exec_lo, s0
	s_delay_alu instid0(SALU_CYCLE_1)
	s_mov_b32 s0, exec_lo
	v_cmpx_gt_i32_e64 s18, v1
	s_cbranch_execz .LBB29_41
.LBB29_59:
	s_wait_loadcnt 0x0
	v_or_b32_e32 v2, 0x600, v0
	v_dual_cndmask_b32 v3, v60, v56, s17 :: v_dual_cndmask_b32 v4, v61, v57, s17
	v_cndmask_b32_e64 v6, v58, v54, s17
	s_delay_alu instid0(VALU_DEP_3) | instskip(NEXT) | instid1(VALU_DEP_3)
	v_cmp_gt_i32_e32 vcc_lo, s18, v2
	v_dual_cndmask_b32 v2, v59, v55, s17 :: v_dual_cndmask_b32 v5, 0, v4, vcc_lo
	s_delay_alu instid0(VALU_DEP_1) | instskip(NEXT) | instid1(VALU_DEP_4)
	v_dual_cndmask_b32 v4, 0, v3 :: v_dual_cndmask_b32 v3, 0, v2
	v_dual_cndmask_b32 v2, 0, v6, vcc_lo :: v_dual_add_nc_u32 v6, s16, v1
	v_add_nc_u32_e32 v1, 0x100, v1
	global_store_b128 v6, v[2:5], s[8:9] scale_offset
	s_wait_xcnt 0x0
	s_or_b32 exec_lo, exec_lo, s0
	s_delay_alu instid0(SALU_CYCLE_1)
	s_mov_b32 s0, exec_lo
	v_cmpx_gt_i32_e64 s18, v1
	s_cbranch_execz .LBB29_42
.LBB29_60:
	s_wait_loadcnt 0x0
	v_or_b32_e32 v2, 0x700, v0
	v_dual_cndmask_b32 v3, v48, v68, s7 :: v_dual_cndmask_b32 v4, v49, v69, s7
	v_cndmask_b32_e64 v6, v46, v66, s7
	s_delay_alu instid0(VALU_DEP_3) | instskip(NEXT) | instid1(VALU_DEP_3)
	v_cmp_gt_i32_e32 vcc_lo, s18, v2
	v_dual_cndmask_b32 v2, v47, v67, s7 :: v_dual_cndmask_b32 v5, 0, v4, vcc_lo
	s_delay_alu instid0(VALU_DEP_1) | instskip(NEXT) | instid1(VALU_DEP_4)
	v_dual_cndmask_b32 v4, 0, v3 :: v_dual_cndmask_b32 v3, 0, v2
	v_dual_cndmask_b32 v2, 0, v6, vcc_lo :: v_dual_add_nc_u32 v6, s16, v1
	v_add_nc_u32_e32 v1, 0x100, v1
	global_store_b128 v6, v[2:5], s[8:9] scale_offset
	s_wait_xcnt 0x0
	s_or_b32 exec_lo, exec_lo, s0
	s_delay_alu instid0(SALU_CYCLE_1)
	s_mov_b32 s0, exec_lo
	v_cmpx_gt_i32_e64 s18, v1
	s_cbranch_execz .LBB29_43
.LBB29_61:
	s_wait_loadcnt 0x0
	v_or_b32_e32 v2, 0x800, v0
	v_dual_cndmask_b32 v4, v74, v70, s20 :: v_dual_cndmask_b32 v3, v75, v71, s20
	v_dual_cndmask_b32 v5, v77, v73, s20 :: v_dual_cndmask_b32 v6, v76, v72, s20
	s_delay_alu instid0(VALU_DEP_3) | instskip(NEXT) | instid1(VALU_DEP_3)
	v_cmp_gt_i32_e32 vcc_lo, s18, v2
	v_dual_cndmask_b32 v3, 0, v3 :: v_dual_cndmask_b32 v2, 0, v4
	s_delay_alu instid0(VALU_DEP_3)
	v_dual_cndmask_b32 v5, 0, v5 :: v_dual_cndmask_b32 v4, 0, v6
	v_add_nc_u32_e32 v6, s16, v1
	v_add_nc_u32_e32 v1, 0x100, v1
	global_store_b128 v6, v[2:5], s[8:9] scale_offset
	s_wait_xcnt 0x0
	s_or_b32 exec_lo, exec_lo, s0
	s_delay_alu instid0(SALU_CYCLE_1)
	s_mov_b32 s0, exec_lo
	v_cmpx_gt_i32_e64 s18, v1
	s_cbranch_execz .LBB29_44
.LBB29_62:
	s_wait_loadcnt 0x0
	v_or_b32_e32 v2, 0x900, v0
	v_dual_cndmask_b32 v4, v62, v82, s19 :: v_dual_cndmask_b32 v3, v63, v83, s19
	v_dual_cndmask_b32 v5, v65, v85, s19 :: v_dual_cndmask_b32 v6, v64, v84, s19
	s_delay_alu instid0(VALU_DEP_3) | instskip(NEXT) | instid1(VALU_DEP_3)
	v_cmp_gt_i32_e32 vcc_lo, s18, v2
	v_dual_cndmask_b32 v3, 0, v3 :: v_dual_cndmask_b32 v2, 0, v4
	s_delay_alu instid0(VALU_DEP_3)
	v_dual_cndmask_b32 v5, 0, v5 :: v_dual_cndmask_b32 v4, 0, v6
	v_add_nc_u32_e32 v6, s16, v1
	v_add_nc_u32_e32 v1, 0x100, v1
	global_store_b128 v6, v[2:5], s[8:9] scale_offset
	s_wait_xcnt 0x0
	s_or_b32 exec_lo, exec_lo, s0
	s_delay_alu instid0(SALU_CYCLE_1)
	s_mov_b32 s0, exec_lo
	v_cmpx_gt_i32_e64 s18, v1
	s_cbranch_execz .LBB29_45
.LBB29_63:
	s_wait_loadcnt 0x0
	v_or_b32_e32 v2, 0xa00, v0
	v_dual_cndmask_b32 v4, v90, v86, s22 :: v_dual_cndmask_b32 v3, v91, v87, s22
	v_dual_cndmask_b32 v5, v93, v89, s22 :: v_dual_cndmask_b32 v6, v92, v88, s22
	s_delay_alu instid0(VALU_DEP_3) | instskip(NEXT) | instid1(VALU_DEP_3)
	v_cmp_gt_i32_e32 vcc_lo, s18, v2
	v_dual_cndmask_b32 v3, 0, v3 :: v_dual_cndmask_b32 v2, 0, v4
	s_delay_alu instid0(VALU_DEP_3)
	v_dual_cndmask_b32 v5, 0, v5 :: v_dual_cndmask_b32 v4, 0, v6
	v_add_nc_u32_e32 v6, s16, v1
	v_add_nc_u32_e32 v1, 0x100, v1
	global_store_b128 v6, v[2:5], s[8:9] scale_offset
	s_wait_xcnt 0x0
	s_or_b32 exec_lo, exec_lo, s0
	s_delay_alu instid0(SALU_CYCLE_1)
	s_mov_b32 s0, exec_lo
	v_cmpx_gt_i32_e64 s18, v1
	s_cbranch_execz .LBB29_46
.LBB29_64:
	s_wait_loadcnt 0x0
	v_or_b32_e32 v2, 0xb00, v0
	v_dual_cndmask_b32 v4, v78, v98, s21 :: v_dual_cndmask_b32 v3, v79, v99, s21
	v_dual_cndmask_b32 v5, v81, v101, s21 :: v_dual_cndmask_b32 v6, v80, v100, s21
	s_delay_alu instid0(VALU_DEP_3) | instskip(NEXT) | instid1(VALU_DEP_3)
	v_cmp_gt_i32_e32 vcc_lo, s18, v2
	v_dual_cndmask_b32 v3, 0, v3 :: v_dual_cndmask_b32 v2, 0, v4
	s_delay_alu instid0(VALU_DEP_3)
	v_dual_cndmask_b32 v5, 0, v5 :: v_dual_cndmask_b32 v4, 0, v6
	v_add_nc_u32_e32 v6, s16, v1
	v_add_nc_u32_e32 v1, 0x100, v1
	global_store_b128 v6, v[2:5], s[8:9] scale_offset
	s_wait_xcnt 0x0
	s_or_b32 exec_lo, exec_lo, s0
	s_delay_alu instid0(SALU_CYCLE_1)
	s_mov_b32 s0, exec_lo
	v_cmpx_gt_i32_e64 s18, v1
	s_cbranch_execz .LBB29_47
.LBB29_65:
	s_wait_loadcnt 0x0
	v_or_b32_e32 v2, 0xc00, v0
	v_dual_cndmask_b32 v4, v106, v102, s24 :: v_dual_cndmask_b32 v3, v107, v103, s24
	v_dual_cndmask_b32 v5, v109, v105, s24 :: v_dual_cndmask_b32 v6, v108, v104, s24
	s_delay_alu instid0(VALU_DEP_3) | instskip(NEXT) | instid1(VALU_DEP_3)
	v_cmp_gt_i32_e32 vcc_lo, s18, v2
	v_dual_cndmask_b32 v3, 0, v3 :: v_dual_cndmask_b32 v2, 0, v4
	s_delay_alu instid0(VALU_DEP_3)
	v_dual_cndmask_b32 v5, 0, v5 :: v_dual_cndmask_b32 v4, 0, v6
	v_add_nc_u32_e32 v6, s16, v1
	v_add_nc_u32_e32 v1, 0x100, v1
	global_store_b128 v6, v[2:5], s[8:9] scale_offset
	s_wait_xcnt 0x0
	s_or_b32 exec_lo, exec_lo, s0
	s_delay_alu instid0(SALU_CYCLE_1)
	s_mov_b32 s0, exec_lo
	v_cmpx_gt_i32_e64 s18, v1
	s_cbranch_execz .LBB29_48
.LBB29_66:
	s_wait_loadcnt 0x0
	v_or_b32_e32 v2, 0xd00, v0
	v_dual_cndmask_b32 v4, v94, v114, s23 :: v_dual_cndmask_b32 v3, v95, v115, s23
	v_dual_cndmask_b32 v5, v97, v117, s23 :: v_dual_cndmask_b32 v6, v96, v116, s23
	s_delay_alu instid0(VALU_DEP_3) | instskip(NEXT) | instid1(VALU_DEP_3)
	v_cmp_gt_i32_e32 vcc_lo, s18, v2
	v_dual_cndmask_b32 v3, 0, v3 :: v_dual_cndmask_b32 v2, 0, v4
	s_delay_alu instid0(VALU_DEP_3)
	v_dual_cndmask_b32 v5, 0, v5 :: v_dual_cndmask_b32 v4, 0, v6
	v_add_nc_u32_e32 v6, s16, v1
	v_add_nc_u32_e32 v1, 0x100, v1
	global_store_b128 v6, v[2:5], s[8:9] scale_offset
	s_wait_xcnt 0x0
	s_or_b32 exec_lo, exec_lo, s0
	s_delay_alu instid0(SALU_CYCLE_1)
	s_mov_b32 s0, exec_lo
	v_cmpx_gt_i32_e64 s18, v1
	s_cbranch_execz .LBB29_49
.LBB29_67:
	s_wait_loadcnt 0x0
	v_or_b32_e32 v2, 0xe00, v0
	v_dual_cndmask_b32 v4, v122, v118, s26 :: v_dual_cndmask_b32 v3, v123, v119, s26
	v_dual_cndmask_b32 v5, v125, v121, s26 :: v_dual_cndmask_b32 v6, v124, v120, s26
	s_delay_alu instid0(VALU_DEP_3) | instskip(NEXT) | instid1(VALU_DEP_3)
	v_cmp_gt_i32_e32 vcc_lo, s18, v2
	v_dual_cndmask_b32 v3, 0, v3 :: v_dual_cndmask_b32 v2, 0, v4
	s_delay_alu instid0(VALU_DEP_3)
	v_dual_cndmask_b32 v5, 0, v5 :: v_dual_cndmask_b32 v4, 0, v6
	v_add_nc_u32_e32 v6, s16, v1
	v_add_nc_u32_e32 v1, 0x100, v1
	global_store_b128 v6, v[2:5], s[8:9] scale_offset
	s_wait_xcnt 0x0
	s_or_b32 exec_lo, exec_lo, s0
	s_delay_alu instid0(SALU_CYCLE_1)
	s_mov_b32 s0, exec_lo
	v_cmpx_gt_i32_e64 s18, v1
	s_cbranch_execnz .LBB29_50
	s_branch .LBB29_51
	.section	.rodata,"a",@progbits
	.p2align	6, 0x0
	.amdhsa_kernel _ZN2at6native29vectorized_elementwise_kernelILi2EZZZNS0_12_GLOBAL__N_117where_kernel_implERNS_14TensorIteratorEENKUlvE_clEvENKUlvE3_clEvEUlbN3c107complexIdEES9_E_St5arrayIPcLm4EEEEviT0_T1_
		.amdhsa_group_segment_fixed_size 0
		.amdhsa_private_segment_fixed_size 0
		.amdhsa_kernarg_size 40
		.amdhsa_user_sgpr_count 2
		.amdhsa_user_sgpr_dispatch_ptr 0
		.amdhsa_user_sgpr_queue_ptr 0
		.amdhsa_user_sgpr_kernarg_segment_ptr 1
		.amdhsa_user_sgpr_dispatch_id 0
		.amdhsa_user_sgpr_kernarg_preload_length 0
		.amdhsa_user_sgpr_kernarg_preload_offset 0
		.amdhsa_user_sgpr_private_segment_size 0
		.amdhsa_wavefront_size32 1
		.amdhsa_uses_dynamic_stack 0
		.amdhsa_enable_private_segment 0
		.amdhsa_system_sgpr_workgroup_id_x 1
		.amdhsa_system_sgpr_workgroup_id_y 0
		.amdhsa_system_sgpr_workgroup_id_z 0
		.amdhsa_system_sgpr_workgroup_info 0
		.amdhsa_system_vgpr_workitem_id 0
		.amdhsa_next_free_vgpr 139
		.amdhsa_next_free_sgpr 28
		.amdhsa_named_barrier_count 0
		.amdhsa_reserve_vcc 1
		.amdhsa_float_round_mode_32 0
		.amdhsa_float_round_mode_16_64 0
		.amdhsa_float_denorm_mode_32 3
		.amdhsa_float_denorm_mode_16_64 3
		.amdhsa_fp16_overflow 0
		.amdhsa_memory_ordered 1
		.amdhsa_forward_progress 1
		.amdhsa_inst_pref_size 44
		.amdhsa_round_robin_scheduling 0
		.amdhsa_exception_fp_ieee_invalid_op 0
		.amdhsa_exception_fp_denorm_src 0
		.amdhsa_exception_fp_ieee_div_zero 0
		.amdhsa_exception_fp_ieee_overflow 0
		.amdhsa_exception_fp_ieee_underflow 0
		.amdhsa_exception_fp_ieee_inexact 0
		.amdhsa_exception_int_div_zero 0
	.end_amdhsa_kernel
	.section	.text._ZN2at6native29vectorized_elementwise_kernelILi2EZZZNS0_12_GLOBAL__N_117where_kernel_implERNS_14TensorIteratorEENKUlvE_clEvENKUlvE3_clEvEUlbN3c107complexIdEES9_E_St5arrayIPcLm4EEEEviT0_T1_,"axG",@progbits,_ZN2at6native29vectorized_elementwise_kernelILi2EZZZNS0_12_GLOBAL__N_117where_kernel_implERNS_14TensorIteratorEENKUlvE_clEvENKUlvE3_clEvEUlbN3c107complexIdEES9_E_St5arrayIPcLm4EEEEviT0_T1_,comdat
.Lfunc_end29:
	.size	_ZN2at6native29vectorized_elementwise_kernelILi2EZZZNS0_12_GLOBAL__N_117where_kernel_implERNS_14TensorIteratorEENKUlvE_clEvENKUlvE3_clEvEUlbN3c107complexIdEES9_E_St5arrayIPcLm4EEEEviT0_T1_, .Lfunc_end29-_ZN2at6native29vectorized_elementwise_kernelILi2EZZZNS0_12_GLOBAL__N_117where_kernel_implERNS_14TensorIteratorEENKUlvE_clEvENKUlvE3_clEvEUlbN3c107complexIdEES9_E_St5arrayIPcLm4EEEEviT0_T1_
                                        ; -- End function
	.set _ZN2at6native29vectorized_elementwise_kernelILi2EZZZNS0_12_GLOBAL__N_117where_kernel_implERNS_14TensorIteratorEENKUlvE_clEvENKUlvE3_clEvEUlbN3c107complexIdEES9_E_St5arrayIPcLm4EEEEviT0_T1_.num_vgpr, 139
	.set _ZN2at6native29vectorized_elementwise_kernelILi2EZZZNS0_12_GLOBAL__N_117where_kernel_implERNS_14TensorIteratorEENKUlvE_clEvENKUlvE3_clEvEUlbN3c107complexIdEES9_E_St5arrayIPcLm4EEEEviT0_T1_.num_agpr, 0
	.set _ZN2at6native29vectorized_elementwise_kernelILi2EZZZNS0_12_GLOBAL__N_117where_kernel_implERNS_14TensorIteratorEENKUlvE_clEvENKUlvE3_clEvEUlbN3c107complexIdEES9_E_St5arrayIPcLm4EEEEviT0_T1_.numbered_sgpr, 28
	.set _ZN2at6native29vectorized_elementwise_kernelILi2EZZZNS0_12_GLOBAL__N_117where_kernel_implERNS_14TensorIteratorEENKUlvE_clEvENKUlvE3_clEvEUlbN3c107complexIdEES9_E_St5arrayIPcLm4EEEEviT0_T1_.num_named_barrier, 0
	.set _ZN2at6native29vectorized_elementwise_kernelILi2EZZZNS0_12_GLOBAL__N_117where_kernel_implERNS_14TensorIteratorEENKUlvE_clEvENKUlvE3_clEvEUlbN3c107complexIdEES9_E_St5arrayIPcLm4EEEEviT0_T1_.private_seg_size, 0
	.set _ZN2at6native29vectorized_elementwise_kernelILi2EZZZNS0_12_GLOBAL__N_117where_kernel_implERNS_14TensorIteratorEENKUlvE_clEvENKUlvE3_clEvEUlbN3c107complexIdEES9_E_St5arrayIPcLm4EEEEviT0_T1_.uses_vcc, 1
	.set _ZN2at6native29vectorized_elementwise_kernelILi2EZZZNS0_12_GLOBAL__N_117where_kernel_implERNS_14TensorIteratorEENKUlvE_clEvENKUlvE3_clEvEUlbN3c107complexIdEES9_E_St5arrayIPcLm4EEEEviT0_T1_.uses_flat_scratch, 0
	.set _ZN2at6native29vectorized_elementwise_kernelILi2EZZZNS0_12_GLOBAL__N_117where_kernel_implERNS_14TensorIteratorEENKUlvE_clEvENKUlvE3_clEvEUlbN3c107complexIdEES9_E_St5arrayIPcLm4EEEEviT0_T1_.has_dyn_sized_stack, 0
	.set _ZN2at6native29vectorized_elementwise_kernelILi2EZZZNS0_12_GLOBAL__N_117where_kernel_implERNS_14TensorIteratorEENKUlvE_clEvENKUlvE3_clEvEUlbN3c107complexIdEES9_E_St5arrayIPcLm4EEEEviT0_T1_.has_recursion, 0
	.set _ZN2at6native29vectorized_elementwise_kernelILi2EZZZNS0_12_GLOBAL__N_117where_kernel_implERNS_14TensorIteratorEENKUlvE_clEvENKUlvE3_clEvEUlbN3c107complexIdEES9_E_St5arrayIPcLm4EEEEviT0_T1_.has_indirect_call, 0
	.section	.AMDGPU.csdata,"",@progbits
; Kernel info:
; codeLenInByte = 5516
; TotalNumSgprs: 30
; NumVgprs: 139
; ScratchSize: 0
; MemoryBound: 1
; FloatMode: 240
; IeeeMode: 1
; LDSByteSize: 0 bytes/workgroup (compile time only)
; SGPRBlocks: 0
; VGPRBlocks: 8
; NumSGPRsForWavesPerEU: 30
; NumVGPRsForWavesPerEU: 139
; NamedBarCnt: 0
; Occupancy: 7
; WaveLimiterHint : 1
; COMPUTE_PGM_RSRC2:SCRATCH_EN: 0
; COMPUTE_PGM_RSRC2:USER_SGPR: 2
; COMPUTE_PGM_RSRC2:TRAP_HANDLER: 0
; COMPUTE_PGM_RSRC2:TGID_X_EN: 1
; COMPUTE_PGM_RSRC2:TGID_Y_EN: 0
; COMPUTE_PGM_RSRC2:TGID_Z_EN: 0
; COMPUTE_PGM_RSRC2:TIDIG_COMP_CNT: 0
	.section	.text._ZN2at6native27unrolled_elementwise_kernelIZZZNS0_12_GLOBAL__N_117where_kernel_implERNS_14TensorIteratorEENKUlvE_clEvENKUlvE3_clEvEUlbN3c107complexIdEES9_E_St5arrayIPcLm4EELi4E23TrivialOffsetCalculatorILi3EjESE_ILi1EjENS0_6memory15LoadWithoutCastENSH_16StoreWithoutCastEEEviT_T0_T2_T3_T4_T5_,"axG",@progbits,_ZN2at6native27unrolled_elementwise_kernelIZZZNS0_12_GLOBAL__N_117where_kernel_implERNS_14TensorIteratorEENKUlvE_clEvENKUlvE3_clEvEUlbN3c107complexIdEES9_E_St5arrayIPcLm4EELi4E23TrivialOffsetCalculatorILi3EjESE_ILi1EjENS0_6memory15LoadWithoutCastENSH_16StoreWithoutCastEEEviT_T0_T2_T3_T4_T5_,comdat
	.globl	_ZN2at6native27unrolled_elementwise_kernelIZZZNS0_12_GLOBAL__N_117where_kernel_implERNS_14TensorIteratorEENKUlvE_clEvENKUlvE3_clEvEUlbN3c107complexIdEES9_E_St5arrayIPcLm4EELi4E23TrivialOffsetCalculatorILi3EjESE_ILi1EjENS0_6memory15LoadWithoutCastENSH_16StoreWithoutCastEEEviT_T0_T2_T3_T4_T5_ ; -- Begin function _ZN2at6native27unrolled_elementwise_kernelIZZZNS0_12_GLOBAL__N_117where_kernel_implERNS_14TensorIteratorEENKUlvE_clEvENKUlvE3_clEvEUlbN3c107complexIdEES9_E_St5arrayIPcLm4EELi4E23TrivialOffsetCalculatorILi3EjESE_ILi1EjENS0_6memory15LoadWithoutCastENSH_16StoreWithoutCastEEEviT_T0_T2_T3_T4_T5_
	.p2align	8
	.type	_ZN2at6native27unrolled_elementwise_kernelIZZZNS0_12_GLOBAL__N_117where_kernel_implERNS_14TensorIteratorEENKUlvE_clEvENKUlvE3_clEvEUlbN3c107complexIdEES9_E_St5arrayIPcLm4EELi4E23TrivialOffsetCalculatorILi3EjESE_ILi1EjENS0_6memory15LoadWithoutCastENSH_16StoreWithoutCastEEEviT_T0_T2_T3_T4_T5_,@function
_ZN2at6native27unrolled_elementwise_kernelIZZZNS0_12_GLOBAL__N_117where_kernel_implERNS_14TensorIteratorEENKUlvE_clEvENKUlvE3_clEvEUlbN3c107complexIdEES9_E_St5arrayIPcLm4EELi4E23TrivialOffsetCalculatorILi3EjESE_ILi1EjENS0_6memory15LoadWithoutCastENSH_16StoreWithoutCastEEEviT_T0_T2_T3_T4_T5_: ; @_ZN2at6native27unrolled_elementwise_kernelIZZZNS0_12_GLOBAL__N_117where_kernel_implERNS_14TensorIteratorEENKUlvE_clEvENKUlvE3_clEvEUlbN3c107complexIdEES9_E_St5arrayIPcLm4EELi4E23TrivialOffsetCalculatorILi3EjESE_ILi1EjENS0_6memory15LoadWithoutCastENSH_16StoreWithoutCastEEEviT_T0_T2_T3_T4_T5_
; %bb.0:
	s_load_b32 s2, s[0:1], 0x0
	s_bfe_u32 s12, ttmp6, 0x4000c
	s_load_b256 s[4:11], s[0:1], 0x8
	s_add_co_i32 s12, s12, 1
	s_and_b32 s3, ttmp6, 15
	s_wait_xcnt 0x0
	s_mul_i32 s0, ttmp9, s12
	s_getreg_b32 s13, hwreg(HW_REG_IB_STS2, 6, 4)
	s_add_co_i32 s3, s3, s0
	s_cmp_eq_u32 s13, 0
	v_mov_b64_e32 v[2:3], 0
	s_cselect_b32 s0, ttmp9, s3
	v_mov_b64_e32 v[10:11], 0
	s_lshl_b32 s1, s0, 10
	v_mov_b64_e32 v[12:13], 0
	v_mov_b64_e32 v[6:7], 0
	;; [unrolled: 1-line block ×3, first 2 shown]
	v_dual_mov_b32 v1, v0 :: v_dual_bitop2_b32 v35, s1, v0 bitop3:0x54
	v_or_b32_e32 v34, 0x100, v0
	v_mov_b32_e32 v36, v0
	s_wait_kmcnt 0x0
	s_sub_co_i32 s2, s2, s1
	s_mov_b32 s3, 0
	v_cmp_gt_i32_e32 vcc_lo, s2, v0
	s_mov_b32 s12, 0
	s_and_saveexec_b32 s13, vcc_lo
	s_cbranch_execz .LBB30_2
; %bb.1:
	s_clause 0x2
	global_load_u8 v4, v35, s[6:7]
	global_load_b128 v[6:9], v35, s[8:9] scale_offset
	global_load_b128 v[10:13], v35, s[10:11] scale_offset
	v_or_b32_e32 v36, 0x100, v0
	s_wait_loadcnt 0x2
	v_cmp_ne_u16_e64 s0, 0, v4
	s_and_b32 s12, s0, exec_lo
.LBB30_2:
	s_wait_xcnt 0x0
	s_or_b32 exec_lo, exec_lo, s13
	v_mov_b64_e32 v[4:5], 0
	v_mov_b64_e32 v[18:19], 0
	;; [unrolled: 1-line block ×3, first 2 shown]
	s_mov_b32 s13, exec_lo
	v_cmpx_gt_i32_e64 s2, v36
	s_cbranch_execz .LBB30_4
; %bb.3:
	v_add_nc_u32_e32 v14, s1, v36
	v_add_nc_u32_e32 v36, 0x100, v36
	s_clause 0x2
	global_load_u8 v15, v14, s[6:7]
	global_load_b128 v[18:21], v14, s[8:9] scale_offset
	global_load_b128 v[2:5], v14, s[10:11] scale_offset
	s_wait_loadcnt 0x2
	v_cmp_ne_u16_e64 s0, 0, v15
	s_and_b32 s3, s0, exec_lo
.LBB30_4:
	s_wait_xcnt 0x0
	s_or_b32 exec_lo, exec_lo, s13
	v_mov_b64_e32 v[14:15], 0
	v_mov_b64_e32 v[26:27], 0
	;; [unrolled: 1-line block ×5, first 2 shown]
	s_mov_b32 s13, 0
	s_mov_b32 s14, 0
	s_mov_b32 s15, exec_lo
	v_cmpx_gt_i32_e64 s2, v36
	s_cbranch_execz .LBB30_6
; %bb.5:
	v_add_nc_u32_e32 v16, s1, v36
	v_add_nc_u32_e32 v36, 0x100, v36
	s_clause 0x2
	global_load_u8 v17, v16, s[6:7]
	global_load_b128 v[22:25], v16, s[8:9] scale_offset
	global_load_b128 v[26:29], v16, s[10:11] scale_offset
	s_wait_loadcnt 0x2
	v_cmp_ne_u16_e64 s0, 0, v17
	s_and_b32 s14, s0, exec_lo
.LBB30_6:
	s_wait_xcnt 0x0
	s_or_b32 exec_lo, exec_lo, s15
	v_mov_b64_e32 v[16:17], 0
	v_mov_b64_e32 v[30:31], 0
	;; [unrolled: 1-line block ×3, first 2 shown]
	s_mov_b32 s15, exec_lo
	v_cmpx_gt_i32_e64 s2, v36
	s_cbranch_execnz .LBB30_12
; %bb.7:
	s_or_b32 exec_lo, exec_lo, s15
	s_and_saveexec_b32 s0, vcc_lo
	s_cbranch_execnz .LBB30_13
.LBB30_8:
	s_or_b32 exec_lo, exec_lo, s0
	s_delay_alu instid0(SALU_CYCLE_1)
	s_mov_b32 s0, exec_lo
	v_cmpx_gt_i32_e64 s2, v1
	s_cbranch_execnz .LBB30_14
.LBB30_9:
	s_or_b32 exec_lo, exec_lo, s0
	s_delay_alu instid0(SALU_CYCLE_1)
	s_mov_b32 s0, exec_lo
	v_cmpx_gt_i32_e64 s2, v1
	s_cbranch_execnz .LBB30_15
.LBB30_10:
	s_or_b32 exec_lo, exec_lo, s0
	s_delay_alu instid0(SALU_CYCLE_1)
	s_mov_b32 s0, exec_lo
	v_cmpx_gt_i32_e64 s2, v1
	s_cbranch_execnz .LBB30_16
.LBB30_11:
	s_endpgm
.LBB30_12:
	v_add_nc_u32_e32 v36, s1, v36
	s_clause 0x2
	global_load_u8 v37, v36, s[6:7]
	global_load_b128 v[30:33], v36, s[8:9] scale_offset
	global_load_b128 v[14:17], v36, s[10:11] scale_offset
	s_wait_loadcnt 0x2
	v_cmp_ne_u16_e64 s0, 0, v37
	s_and_b32 s13, s0, exec_lo
	s_wait_xcnt 0x0
	s_or_b32 exec_lo, exec_lo, s15
	s_and_saveexec_b32 s0, vcc_lo
	s_cbranch_execz .LBB30_8
.LBB30_13:
	s_wait_loadcnt 0x0
	v_dual_cndmask_b32 v9, v13, v9, s12 :: v_dual_cndmask_b32 v8, v12, v8, s12
	v_dual_cndmask_b32 v7, v11, v7, s12 :: v_dual_cndmask_b32 v6, v10, v6, s12
	v_mov_b32_e32 v1, v34
	global_store_b128 v35, v[6:9], s[4:5] scale_offset
	s_wait_xcnt 0x0
	s_or_b32 exec_lo, exec_lo, s0
	s_delay_alu instid0(SALU_CYCLE_1)
	s_mov_b32 s0, exec_lo
	v_cmpx_gt_i32_e64 s2, v1
	s_cbranch_execz .LBB30_9
.LBB30_14:
	s_wait_loadcnt 0x0
	v_dual_cndmask_b32 v5, v5, v21, s3 :: v_dual_cndmask_b32 v4, v4, v20, s3
	v_cmp_gt_i32_e32 vcc_lo, s2, v34
	v_dual_cndmask_b32 v3, v3, v19, s3 :: v_dual_cndmask_b32 v2, v2, v18, s3
	v_add_nc_u32_e32 v6, 0x100, v1
	v_add_nc_u32_e32 v7, s1, v1
	v_dual_cndmask_b32 v5, 0, v5 :: v_dual_cndmask_b32 v4, 0, v4
	s_delay_alu instid0(VALU_DEP_4) | instskip(NEXT) | instid1(VALU_DEP_4)
	v_dual_cndmask_b32 v3, 0, v3 :: v_dual_cndmask_b32 v2, 0, v2
	v_mov_b32_e32 v1, v6
	global_store_b128 v7, v[2:5], s[4:5] scale_offset
	s_wait_xcnt 0x0
	s_or_b32 exec_lo, exec_lo, s0
	s_delay_alu instid0(SALU_CYCLE_1)
	s_mov_b32 s0, exec_lo
	v_cmpx_gt_i32_e64 s2, v1
	s_cbranch_execz .LBB30_10
.LBB30_15:
	s_wait_loadcnt 0x0
	v_or_b32_e32 v2, 0x200, v0
	v_dual_cndmask_b32 v4, v26, v22, s14 :: v_dual_cndmask_b32 v3, v27, v23, s14
	v_dual_cndmask_b32 v5, v29, v25, s14 :: v_dual_cndmask_b32 v6, v28, v24, s14
	s_delay_alu instid0(VALU_DEP_3) | instskip(NEXT) | instid1(VALU_DEP_3)
	v_cmp_gt_i32_e32 vcc_lo, s2, v2
	v_dual_cndmask_b32 v2, 0, v4 :: v_dual_add_nc_u32 v7, 0x100, v1
	s_delay_alu instid0(VALU_DEP_3) | instskip(NEXT) | instid1(VALU_DEP_4)
	v_dual_cndmask_b32 v3, 0, v3, vcc_lo :: v_dual_cndmask_b32 v5, 0, v5, vcc_lo
	v_dual_cndmask_b32 v4, 0, v6, vcc_lo :: v_dual_add_nc_u32 v6, s1, v1
	s_delay_alu instid0(VALU_DEP_3) | instskip(SKIP_3) | instid1(SALU_CYCLE_1)
	v_mov_b32_e32 v1, v7
	global_store_b128 v6, v[2:5], s[4:5] scale_offset
	s_wait_xcnt 0x0
	s_or_b32 exec_lo, exec_lo, s0
	s_mov_b32 s0, exec_lo
	v_cmpx_gt_i32_e64 s2, v1
	s_cbranch_execz .LBB30_11
.LBB30_16:
	v_or_b32_e32 v0, 0x300, v0
	s_wait_loadcnt 0x0
	v_dual_cndmask_b32 v2, v14, v30, s13 :: v_dual_cndmask_b32 v3, v15, v31, s13
	v_cndmask_b32_e64 v4, v16, v32, s13
	s_delay_alu instid0(VALU_DEP_3) | instskip(NEXT) | instid1(VALU_DEP_3)
	v_cmp_gt_i32_e32 vcc_lo, s2, v0
	v_dual_cndmask_b32 v0, v17, v33, s13 :: v_dual_cndmask_b32 v3, 0, v3, vcc_lo
	s_delay_alu instid0(VALU_DEP_1) | instskip(NEXT) | instid1(VALU_DEP_4)
	v_dual_cndmask_b32 v2, 0, v2 :: v_dual_cndmask_b32 v5, 0, v0
	v_dual_add_nc_u32 v0, s1, v1 :: v_dual_cndmask_b32 v4, 0, v4, vcc_lo
	global_store_b128 v0, v[2:5], s[4:5] scale_offset
	s_endpgm
	.section	.rodata,"a",@progbits
	.p2align	6, 0x0
	.amdhsa_kernel _ZN2at6native27unrolled_elementwise_kernelIZZZNS0_12_GLOBAL__N_117where_kernel_implERNS_14TensorIteratorEENKUlvE_clEvENKUlvE3_clEvEUlbN3c107complexIdEES9_E_St5arrayIPcLm4EELi4E23TrivialOffsetCalculatorILi3EjESE_ILi1EjENS0_6memory15LoadWithoutCastENSH_16StoreWithoutCastEEEviT_T0_T2_T3_T4_T5_
		.amdhsa_group_segment_fixed_size 0
		.amdhsa_private_segment_fixed_size 0
		.amdhsa_kernarg_size 44
		.amdhsa_user_sgpr_count 2
		.amdhsa_user_sgpr_dispatch_ptr 0
		.amdhsa_user_sgpr_queue_ptr 0
		.amdhsa_user_sgpr_kernarg_segment_ptr 1
		.amdhsa_user_sgpr_dispatch_id 0
		.amdhsa_user_sgpr_kernarg_preload_length 0
		.amdhsa_user_sgpr_kernarg_preload_offset 0
		.amdhsa_user_sgpr_private_segment_size 0
		.amdhsa_wavefront_size32 1
		.amdhsa_uses_dynamic_stack 0
		.amdhsa_enable_private_segment 0
		.amdhsa_system_sgpr_workgroup_id_x 1
		.amdhsa_system_sgpr_workgroup_id_y 0
		.amdhsa_system_sgpr_workgroup_id_z 0
		.amdhsa_system_sgpr_workgroup_info 0
		.amdhsa_system_vgpr_workitem_id 0
		.amdhsa_next_free_vgpr 38
		.amdhsa_next_free_sgpr 16
		.amdhsa_named_barrier_count 0
		.amdhsa_reserve_vcc 1
		.amdhsa_float_round_mode_32 0
		.amdhsa_float_round_mode_16_64 0
		.amdhsa_float_denorm_mode_32 3
		.amdhsa_float_denorm_mode_16_64 3
		.amdhsa_fp16_overflow 0
		.amdhsa_memory_ordered 1
		.amdhsa_forward_progress 1
		.amdhsa_inst_pref_size 8
		.amdhsa_round_robin_scheduling 0
		.amdhsa_exception_fp_ieee_invalid_op 0
		.amdhsa_exception_fp_denorm_src 0
		.amdhsa_exception_fp_ieee_div_zero 0
		.amdhsa_exception_fp_ieee_overflow 0
		.amdhsa_exception_fp_ieee_underflow 0
		.amdhsa_exception_fp_ieee_inexact 0
		.amdhsa_exception_int_div_zero 0
	.end_amdhsa_kernel
	.section	.text._ZN2at6native27unrolled_elementwise_kernelIZZZNS0_12_GLOBAL__N_117where_kernel_implERNS_14TensorIteratorEENKUlvE_clEvENKUlvE3_clEvEUlbN3c107complexIdEES9_E_St5arrayIPcLm4EELi4E23TrivialOffsetCalculatorILi3EjESE_ILi1EjENS0_6memory15LoadWithoutCastENSH_16StoreWithoutCastEEEviT_T0_T2_T3_T4_T5_,"axG",@progbits,_ZN2at6native27unrolled_elementwise_kernelIZZZNS0_12_GLOBAL__N_117where_kernel_implERNS_14TensorIteratorEENKUlvE_clEvENKUlvE3_clEvEUlbN3c107complexIdEES9_E_St5arrayIPcLm4EELi4E23TrivialOffsetCalculatorILi3EjESE_ILi1EjENS0_6memory15LoadWithoutCastENSH_16StoreWithoutCastEEEviT_T0_T2_T3_T4_T5_,comdat
.Lfunc_end30:
	.size	_ZN2at6native27unrolled_elementwise_kernelIZZZNS0_12_GLOBAL__N_117where_kernel_implERNS_14TensorIteratorEENKUlvE_clEvENKUlvE3_clEvEUlbN3c107complexIdEES9_E_St5arrayIPcLm4EELi4E23TrivialOffsetCalculatorILi3EjESE_ILi1EjENS0_6memory15LoadWithoutCastENSH_16StoreWithoutCastEEEviT_T0_T2_T3_T4_T5_, .Lfunc_end30-_ZN2at6native27unrolled_elementwise_kernelIZZZNS0_12_GLOBAL__N_117where_kernel_implERNS_14TensorIteratorEENKUlvE_clEvENKUlvE3_clEvEUlbN3c107complexIdEES9_E_St5arrayIPcLm4EELi4E23TrivialOffsetCalculatorILi3EjESE_ILi1EjENS0_6memory15LoadWithoutCastENSH_16StoreWithoutCastEEEviT_T0_T2_T3_T4_T5_
                                        ; -- End function
	.set _ZN2at6native27unrolled_elementwise_kernelIZZZNS0_12_GLOBAL__N_117where_kernel_implERNS_14TensorIteratorEENKUlvE_clEvENKUlvE3_clEvEUlbN3c107complexIdEES9_E_St5arrayIPcLm4EELi4E23TrivialOffsetCalculatorILi3EjESE_ILi1EjENS0_6memory15LoadWithoutCastENSH_16StoreWithoutCastEEEviT_T0_T2_T3_T4_T5_.num_vgpr, 38
	.set _ZN2at6native27unrolled_elementwise_kernelIZZZNS0_12_GLOBAL__N_117where_kernel_implERNS_14TensorIteratorEENKUlvE_clEvENKUlvE3_clEvEUlbN3c107complexIdEES9_E_St5arrayIPcLm4EELi4E23TrivialOffsetCalculatorILi3EjESE_ILi1EjENS0_6memory15LoadWithoutCastENSH_16StoreWithoutCastEEEviT_T0_T2_T3_T4_T5_.num_agpr, 0
	.set _ZN2at6native27unrolled_elementwise_kernelIZZZNS0_12_GLOBAL__N_117where_kernel_implERNS_14TensorIteratorEENKUlvE_clEvENKUlvE3_clEvEUlbN3c107complexIdEES9_E_St5arrayIPcLm4EELi4E23TrivialOffsetCalculatorILi3EjESE_ILi1EjENS0_6memory15LoadWithoutCastENSH_16StoreWithoutCastEEEviT_T0_T2_T3_T4_T5_.numbered_sgpr, 16
	.set _ZN2at6native27unrolled_elementwise_kernelIZZZNS0_12_GLOBAL__N_117where_kernel_implERNS_14TensorIteratorEENKUlvE_clEvENKUlvE3_clEvEUlbN3c107complexIdEES9_E_St5arrayIPcLm4EELi4E23TrivialOffsetCalculatorILi3EjESE_ILi1EjENS0_6memory15LoadWithoutCastENSH_16StoreWithoutCastEEEviT_T0_T2_T3_T4_T5_.num_named_barrier, 0
	.set _ZN2at6native27unrolled_elementwise_kernelIZZZNS0_12_GLOBAL__N_117where_kernel_implERNS_14TensorIteratorEENKUlvE_clEvENKUlvE3_clEvEUlbN3c107complexIdEES9_E_St5arrayIPcLm4EELi4E23TrivialOffsetCalculatorILi3EjESE_ILi1EjENS0_6memory15LoadWithoutCastENSH_16StoreWithoutCastEEEviT_T0_T2_T3_T4_T5_.private_seg_size, 0
	.set _ZN2at6native27unrolled_elementwise_kernelIZZZNS0_12_GLOBAL__N_117where_kernel_implERNS_14TensorIteratorEENKUlvE_clEvENKUlvE3_clEvEUlbN3c107complexIdEES9_E_St5arrayIPcLm4EELi4E23TrivialOffsetCalculatorILi3EjESE_ILi1EjENS0_6memory15LoadWithoutCastENSH_16StoreWithoutCastEEEviT_T0_T2_T3_T4_T5_.uses_vcc, 1
	.set _ZN2at6native27unrolled_elementwise_kernelIZZZNS0_12_GLOBAL__N_117where_kernel_implERNS_14TensorIteratorEENKUlvE_clEvENKUlvE3_clEvEUlbN3c107complexIdEES9_E_St5arrayIPcLm4EELi4E23TrivialOffsetCalculatorILi3EjESE_ILi1EjENS0_6memory15LoadWithoutCastENSH_16StoreWithoutCastEEEviT_T0_T2_T3_T4_T5_.uses_flat_scratch, 0
	.set _ZN2at6native27unrolled_elementwise_kernelIZZZNS0_12_GLOBAL__N_117where_kernel_implERNS_14TensorIteratorEENKUlvE_clEvENKUlvE3_clEvEUlbN3c107complexIdEES9_E_St5arrayIPcLm4EELi4E23TrivialOffsetCalculatorILi3EjESE_ILi1EjENS0_6memory15LoadWithoutCastENSH_16StoreWithoutCastEEEviT_T0_T2_T3_T4_T5_.has_dyn_sized_stack, 0
	.set _ZN2at6native27unrolled_elementwise_kernelIZZZNS0_12_GLOBAL__N_117where_kernel_implERNS_14TensorIteratorEENKUlvE_clEvENKUlvE3_clEvEUlbN3c107complexIdEES9_E_St5arrayIPcLm4EELi4E23TrivialOffsetCalculatorILi3EjESE_ILi1EjENS0_6memory15LoadWithoutCastENSH_16StoreWithoutCastEEEviT_T0_T2_T3_T4_T5_.has_recursion, 0
	.set _ZN2at6native27unrolled_elementwise_kernelIZZZNS0_12_GLOBAL__N_117where_kernel_implERNS_14TensorIteratorEENKUlvE_clEvENKUlvE3_clEvEUlbN3c107complexIdEES9_E_St5arrayIPcLm4EELi4E23TrivialOffsetCalculatorILi3EjESE_ILi1EjENS0_6memory15LoadWithoutCastENSH_16StoreWithoutCastEEEviT_T0_T2_T3_T4_T5_.has_indirect_call, 0
	.section	.AMDGPU.csdata,"",@progbits
; Kernel info:
; codeLenInByte = 1020
; TotalNumSgprs: 18
; NumVgprs: 38
; ScratchSize: 0
; MemoryBound: 1
; FloatMode: 240
; IeeeMode: 1
; LDSByteSize: 0 bytes/workgroup (compile time only)
; SGPRBlocks: 0
; VGPRBlocks: 2
; NumSGPRsForWavesPerEU: 18
; NumVGPRsForWavesPerEU: 38
; NamedBarCnt: 0
; Occupancy: 16
; WaveLimiterHint : 0
; COMPUTE_PGM_RSRC2:SCRATCH_EN: 0
; COMPUTE_PGM_RSRC2:USER_SGPR: 2
; COMPUTE_PGM_RSRC2:TRAP_HANDLER: 0
; COMPUTE_PGM_RSRC2:TGID_X_EN: 1
; COMPUTE_PGM_RSRC2:TGID_Y_EN: 0
; COMPUTE_PGM_RSRC2:TGID_Z_EN: 0
; COMPUTE_PGM_RSRC2:TIDIG_COMP_CNT: 0
	.section	.text._ZN2at6native32elementwise_kernel_manual_unrollILi128ELi4EZNS0_22gpu_kernel_impl_nocastIZZZNS0_12_GLOBAL__N_117where_kernel_implERNS_14TensorIteratorEENKUlvE_clEvENKUlvE3_clEvEUlbN3c107complexIdEESA_E_EEvRNS_18TensorIteratorBaseERKT_EUlibE_EEviT1_,"axG",@progbits,_ZN2at6native32elementwise_kernel_manual_unrollILi128ELi4EZNS0_22gpu_kernel_impl_nocastIZZZNS0_12_GLOBAL__N_117where_kernel_implERNS_14TensorIteratorEENKUlvE_clEvENKUlvE3_clEvEUlbN3c107complexIdEESA_E_EEvRNS_18TensorIteratorBaseERKT_EUlibE_EEviT1_,comdat
	.globl	_ZN2at6native32elementwise_kernel_manual_unrollILi128ELi4EZNS0_22gpu_kernel_impl_nocastIZZZNS0_12_GLOBAL__N_117where_kernel_implERNS_14TensorIteratorEENKUlvE_clEvENKUlvE3_clEvEUlbN3c107complexIdEESA_E_EEvRNS_18TensorIteratorBaseERKT_EUlibE_EEviT1_ ; -- Begin function _ZN2at6native32elementwise_kernel_manual_unrollILi128ELi4EZNS0_22gpu_kernel_impl_nocastIZZZNS0_12_GLOBAL__N_117where_kernel_implERNS_14TensorIteratorEENKUlvE_clEvENKUlvE3_clEvEUlbN3c107complexIdEESA_E_EEvRNS_18TensorIteratorBaseERKT_EUlibE_EEviT1_
	.p2align	8
	.type	_ZN2at6native32elementwise_kernel_manual_unrollILi128ELi4EZNS0_22gpu_kernel_impl_nocastIZZZNS0_12_GLOBAL__N_117where_kernel_implERNS_14TensorIteratorEENKUlvE_clEvENKUlvE3_clEvEUlbN3c107complexIdEESA_E_EEvRNS_18TensorIteratorBaseERKT_EUlibE_EEviT1_,@function
_ZN2at6native32elementwise_kernel_manual_unrollILi128ELi4EZNS0_22gpu_kernel_impl_nocastIZZZNS0_12_GLOBAL__N_117where_kernel_implERNS_14TensorIteratorEENKUlvE_clEvENKUlvE3_clEvEUlbN3c107complexIdEESA_E_EEvRNS_18TensorIteratorBaseERKT_EUlibE_EEviT1_: ; @_ZN2at6native32elementwise_kernel_manual_unrollILi128ELi4EZNS0_22gpu_kernel_impl_nocastIZZZNS0_12_GLOBAL__N_117where_kernel_implERNS_14TensorIteratorEENKUlvE_clEvENKUlvE3_clEvEUlbN3c107complexIdEESA_E_EEvRNS_18TensorIteratorBaseERKT_EUlibE_EEviT1_
; %bb.0:
	s_clause 0x1
	s_load_b32 s33, s[0:1], 0x8
	s_load_b32 s39, s[0:1], 0x0
	s_bfe_u32 s2, ttmp6, 0x4000c
	s_and_b32 s3, ttmp6, 15
	s_add_co_i32 s2, s2, 1
	s_getreg_b32 s4, hwreg(HW_REG_IB_STS2, 6, 4)
	s_mul_i32 s2, ttmp9, s2
	s_add_nc_u64 s[20:21], s[0:1], 8
	s_add_co_i32 s3, s3, s2
	s_cmp_eq_u32 s4, 0
	s_mov_b32 s12, 0
	s_cselect_b32 s2, ttmp9, s3
                                        ; implicit-def: $vgpr6_vgpr7
                                        ; implicit-def: $vgpr4_vgpr5
	s_wait_xcnt 0x0
	s_mov_b32 s0, exec_lo
	v_lshl_or_b32 v0, s2, 9, v0
	s_delay_alu instid0(VALU_DEP_1) | instskip(SKIP_2) | instid1(SALU_CYCLE_1)
	v_or_b32_e32 v8, 0x180, v0
	s_wait_kmcnt 0x0
	s_add_co_i32 s34, s33, -1
	s_cmp_gt_u32 s34, 1
	s_cselect_b32 s35, -1, 0
	v_cmpx_le_i32_e64 s39, v8
	s_xor_b32 s36, exec_lo, s0
	s_cbranch_execnz .LBB31_4
; %bb.1:
	s_and_not1_saveexec_b32 s13, s36
	s_cbranch_execnz .LBB31_57
.LBB31_2:
	s_or_b32 exec_lo, exec_lo, s13
	s_and_saveexec_b32 s0, s12
	s_cbranch_execnz .LBB31_102
.LBB31_3:
	s_endpgm
.LBB31_4:
	s_clause 0x3
	s_load_b128 s[16:19], s[20:21], 0x4
	s_load_b64 s[22:23], s[20:21], 0x14
	s_load_b256 s[8:15], s[20:21], 0xc4
	s_load_b256 s[0:7], s[20:21], 0x1c8
	s_cmp_lg_u32 s33, 0
	s_mov_b32 s27, 0
	s_cselect_b32 s40, -1, 0
	s_min_u32 s38, s34, 15
	s_cmp_gt_u32 s33, 1
	s_mov_b32 s25, s27
	s_cselect_b32 s37, -1, 0
	s_wait_kmcnt 0x0
	s_mov_b32 s26, s17
	s_mov_b32 s24, s22
	s_mov_b32 s17, exec_lo
	v_cmpx_gt_i32_e64 s39, v0
	s_cbranch_execnz .LBB31_7
; %bb.5:
	s_or_b32 exec_lo, exec_lo, s17
	s_delay_alu instid0(SALU_CYCLE_1)
	s_mov_b32 s17, exec_lo
	v_cmpx_gt_i32_e64 s39, v0
	s_cbranch_execnz .LBB31_19
.LBB31_6:
	s_or_b32 exec_lo, exec_lo, s17
	s_delay_alu instid0(SALU_CYCLE_1)
	s_mov_b32 s17, exec_lo
	v_cmpx_gt_i32_e64 s39, v0
	s_cbranch_execnz .LBB31_31
	s_branch .LBB31_43
.LBB31_7:
	s_and_not1_b32 vcc_lo, exec_lo, s35
	s_cbranch_vccnz .LBB31_13
; %bb.8:
	s_and_not1_b32 vcc_lo, exec_lo, s40
	s_cbranch_vccnz .LBB31_14
; %bb.9:
	v_dual_mov_b32 v6, 0 :: v_dual_mov_b32 v1, v0
	v_dual_mov_b32 v7, 0 :: v_dual_mov_b32 v4, 0
	v_mov_b32_e32 v5, 0
	s_add_co_i32 s22, s38, 1
	s_mov_b64 s[28:29], 0xffffffffffffffe0
	s_and_b32 s22, s22, 30
	s_add_nc_u64 s[28:29], s[20:21], s[28:29]
	s_mov_b64 s[30:31], s[20:21]
.LBB31_10:                              ; =>This Inner Loop Header: Depth=1
	s_clause 0x1
	s_load_b128 s[52:55], s[30:31], 0x4
	s_load_b64 s[42:43], s[30:31], 0x14
	s_load_b256 s[44:51], s[28:29], 0xe4
	s_add_co_i32 s22, s22, -2
	s_wait_xcnt 0x0
	s_add_nc_u64 s[30:31], s[30:31], 24
	s_cmp_lg_u32 s22, 0
	s_add_nc_u64 s[28:29], s[28:29], 32
	s_wait_kmcnt 0x0
	v_mul_hi_u32 v2, s53, v1
	s_delay_alu instid0(VALU_DEP_1) | instskip(NEXT) | instid1(VALU_DEP_1)
	v_add_nc_u32_e32 v2, v1, v2
	v_lshrrev_b32_e32 v2, s54, v2
	s_delay_alu instid0(VALU_DEP_1) | instskip(SKIP_1) | instid1(VALU_DEP_1)
	v_mul_hi_u32 v3, s42, v2
	v_mul_lo_u32 v8, v2, s52
	v_dual_add_nc_u32 v3, v2, v3 :: v_dual_sub_nc_u32 v8, v1, v8
	s_delay_alu instid0(VALU_DEP_1) | instskip(NEXT) | instid1(VALU_DEP_2)
	v_lshrrev_b32_e32 v1, s43, v3
	v_mad_u32 v5, v8, s45, v5
	v_mad_u32 v4, v8, s44, v4
	v_mad_u32 v7, v8, s47, v7
	v_mad_u32 v6, v8, s46, v6
	v_mul_lo_u32 v3, v1, s55
	s_delay_alu instid0(VALU_DEP_1) | instskip(NEXT) | instid1(VALU_DEP_1)
	v_sub_nc_u32_e32 v2, v2, v3
	v_mad_u32 v5, v2, s49, v5
	v_mad_u32 v4, v2, s48, v4
	;; [unrolled: 1-line block ×4, first 2 shown]
	s_cbranch_scc1 .LBB31_10
; %bb.11:
	s_bitcmp1_b32 s38, 0
	s_cselect_b32 s22, -1, 0
	s_delay_alu instid0(SALU_CYCLE_1)
	s_and_b32 vcc_lo, exec_lo, s22
	s_cbranch_vccnz .LBB31_15
; %bb.12:
	s_load_b96 s[48:50], s[30:31], 0x4
	s_load_b128 s[44:47], s[28:29], 0xe4
	s_wait_kmcnt 0x0
	v_mul_hi_u32 v2, s49, v1
	s_delay_alu instid0(VALU_DEP_1) | instskip(NEXT) | instid1(VALU_DEP_1)
	v_add_nc_u32_e32 v2, v1, v2
	v_lshrrev_b32_e32 v2, s50, v2
	s_delay_alu instid0(VALU_DEP_1) | instskip(NEXT) | instid1(VALU_DEP_1)
	v_mul_lo_u32 v2, v2, s48
	v_sub_nc_u32_e32 v1, v1, v2
	s_delay_alu instid0(VALU_DEP_1)
	v_mad_u32 v4, v1, s44, v4
	v_mad_u32 v5, v1, s45, v5
	;; [unrolled: 1-line block ×4, first 2 shown]
	s_cbranch_execz .LBB31_16
	s_branch .LBB31_18
.LBB31_13:
                                        ; implicit-def: $vgpr5
                                        ; implicit-def: $vgpr4
                                        ; implicit-def: $vgpr7
                                        ; implicit-def: $vgpr6
	s_branch .LBB31_16
.LBB31_14:
	v_dual_mov_b32 v5, 0 :: v_dual_mov_b32 v4, 0
	v_dual_mov_b32 v7, 0 :: v_dual_mov_b32 v6, 0
.LBB31_15:
	s_cbranch_execnz .LBB31_18
.LBB31_16:
	v_mov_b32_e32 v1, 0
	s_and_not1_b32 vcc_lo, exec_lo, s37
	s_delay_alu instid0(VALU_DEP_1) | instskip(NEXT) | instid1(VALU_DEP_1)
	v_mul_u64_e32 v[2:3], s[26:27], v[0:1]
	v_add_nc_u32_e32 v2, v0, v3
	s_delay_alu instid0(VALU_DEP_1) | instskip(NEXT) | instid1(VALU_DEP_1)
	v_lshrrev_b32_e32 v2, s18, v2
	v_mul_lo_u32 v3, v2, s16
	s_delay_alu instid0(VALU_DEP_1) | instskip(NEXT) | instid1(VALU_DEP_1)
	v_sub_nc_u32_e32 v3, v0, v3
	v_mul_lo_u32 v5, v3, s9
	v_mul_lo_u32 v4, v3, s8
	;; [unrolled: 1-line block ×4, first 2 shown]
	s_cbranch_vccnz .LBB31_18
; %bb.17:
	v_mov_b32_e32 v3, v1
	s_delay_alu instid0(VALU_DEP_1) | instskip(NEXT) | instid1(VALU_DEP_1)
	v_mul_u64_e32 v[8:9], s[24:25], v[2:3]
	v_add_nc_u32_e32 v1, v2, v9
	s_delay_alu instid0(VALU_DEP_1) | instskip(NEXT) | instid1(VALU_DEP_1)
	v_lshrrev_b32_e32 v1, s23, v1
	v_mul_lo_u32 v1, v1, s19
	s_delay_alu instid0(VALU_DEP_1) | instskip(NEXT) | instid1(VALU_DEP_1)
	v_sub_nc_u32_e32 v1, v2, v1
	v_mad_u32 v4, v1, s12, v4
	v_mad_u32 v5, v1, s13, v5
	;; [unrolled: 1-line block ×4, first 2 shown]
.LBB31_18:
	global_load_u8 v1, v5, s[2:3]
	global_load_b128 v[8:11], v6, s[4:5]
	global_load_b128 v[12:15], v7, s[6:7]
	v_add_nc_u32_e32 v0, 0x80, v0
	s_wait_loadcnt 0x2
	v_cmp_eq_u16_e32 vcc_lo, 0, v1
	s_wait_loadcnt 0x0
	v_dual_cndmask_b32 v7, v9, v13 :: v_dual_cndmask_b32 v6, v8, v12
	v_dual_cndmask_b32 v9, v11, v15 :: v_dual_cndmask_b32 v8, v10, v14
	global_store_b128 v4, v[6:9], s[0:1]
	s_wait_xcnt 0x0
	s_or_b32 exec_lo, exec_lo, s17
	s_delay_alu instid0(SALU_CYCLE_1)
	s_mov_b32 s17, exec_lo
	v_cmpx_gt_i32_e64 s39, v0
	s_cbranch_execz .LBB31_6
.LBB31_19:
	s_and_not1_b32 vcc_lo, exec_lo, s35
	s_cbranch_vccnz .LBB31_25
; %bb.20:
	s_and_not1_b32 vcc_lo, exec_lo, s40
	s_cbranch_vccnz .LBB31_26
; %bb.21:
	v_dual_mov_b32 v5, 0 :: v_dual_mov_b32 v1, v0
	v_dual_mov_b32 v7, 0 :: v_dual_mov_b32 v4, 0
	v_mov_b32_e32 v6, 0
	s_add_co_i32 s22, s38, 1
	s_mov_b64 s[28:29], 0xffffffffffffffe0
	s_and_b32 s22, s22, 30
	s_add_nc_u64 s[28:29], s[20:21], s[28:29]
	s_mov_b64 s[30:31], s[20:21]
.LBB31_22:                              ; =>This Inner Loop Header: Depth=1
	s_clause 0x1
	s_load_b128 s[52:55], s[30:31], 0x4
	s_load_b64 s[42:43], s[30:31], 0x14
	s_load_b256 s[44:51], s[28:29], 0xe4
	s_add_co_i32 s22, s22, -2
	s_wait_xcnt 0x0
	s_add_nc_u64 s[30:31], s[30:31], 24
	s_cmp_eq_u32 s22, 0
	s_add_nc_u64 s[28:29], s[28:29], 32
	s_wait_kmcnt 0x0
	v_mul_hi_u32 v2, s53, v1
	s_delay_alu instid0(VALU_DEP_1) | instskip(NEXT) | instid1(VALU_DEP_1)
	v_add_nc_u32_e32 v2, v1, v2
	v_lshrrev_b32_e32 v2, s54, v2
	s_delay_alu instid0(VALU_DEP_1) | instskip(SKIP_1) | instid1(VALU_DEP_1)
	v_mul_hi_u32 v3, s42, v2
	v_mul_lo_u32 v8, v2, s52
	v_dual_add_nc_u32 v3, v2, v3 :: v_dual_sub_nc_u32 v8, v1, v8
	s_delay_alu instid0(VALU_DEP_1) | instskip(NEXT) | instid1(VALU_DEP_2)
	v_lshrrev_b32_e32 v1, s43, v3
	v_mad_u32 v6, v8, s45, v6
	v_mad_u32 v4, v8, s44, v4
	;; [unrolled: 1-line block ×4, first 2 shown]
	v_mul_lo_u32 v3, v1, s55
	s_delay_alu instid0(VALU_DEP_1) | instskip(NEXT) | instid1(VALU_DEP_1)
	v_sub_nc_u32_e32 v2, v2, v3
	v_mad_u32 v6, v2, s49, v6
	v_mad_u32 v4, v2, s48, v4
	;; [unrolled: 1-line block ×4, first 2 shown]
	s_cbranch_scc0 .LBB31_22
; %bb.23:
	s_bitcmp1_b32 s38, 0
	s_cselect_b32 s22, -1, 0
	s_delay_alu instid0(SALU_CYCLE_1)
	s_and_b32 vcc_lo, exec_lo, s22
	s_cbranch_vccnz .LBB31_27
; %bb.24:
	s_load_b96 s[48:50], s[30:31], 0x4
	s_load_b128 s[44:47], s[28:29], 0xe4
	s_wait_kmcnt 0x0
	v_mul_hi_u32 v2, s49, v1
	s_delay_alu instid0(VALU_DEP_1) | instskip(NEXT) | instid1(VALU_DEP_1)
	v_add_nc_u32_e32 v2, v1, v2
	v_lshrrev_b32_e32 v2, s50, v2
	s_delay_alu instid0(VALU_DEP_1) | instskip(NEXT) | instid1(VALU_DEP_1)
	v_mul_lo_u32 v2, v2, s48
	v_sub_nc_u32_e32 v1, v1, v2
	s_delay_alu instid0(VALU_DEP_1)
	v_mad_u32 v4, v1, s44, v4
	v_mad_u32 v6, v1, s45, v6
	;; [unrolled: 1-line block ×4, first 2 shown]
	s_branch .LBB31_27
.LBB31_25:
                                        ; implicit-def: $vgpr6
                                        ; implicit-def: $vgpr4
                                        ; implicit-def: $vgpr7
                                        ; implicit-def: $vgpr5
	s_branch .LBB31_28
.LBB31_26:
	v_dual_mov_b32 v6, 0 :: v_dual_mov_b32 v4, 0
	v_dual_mov_b32 v7, 0 :: v_dual_mov_b32 v5, 0
.LBB31_27:
	s_cbranch_execnz .LBB31_30
.LBB31_28:
	v_mov_b32_e32 v1, 0
	s_and_not1_b32 vcc_lo, exec_lo, s37
	s_delay_alu instid0(VALU_DEP_1) | instskip(NEXT) | instid1(VALU_DEP_1)
	v_mul_u64_e32 v[2:3], s[26:27], v[0:1]
	v_add_nc_u32_e32 v2, v0, v3
	s_delay_alu instid0(VALU_DEP_1) | instskip(NEXT) | instid1(VALU_DEP_1)
	v_lshrrev_b32_e32 v2, s18, v2
	v_mul_lo_u32 v3, v2, s16
	s_delay_alu instid0(VALU_DEP_1) | instskip(NEXT) | instid1(VALU_DEP_1)
	v_sub_nc_u32_e32 v3, v0, v3
	v_mul_lo_u32 v6, v3, s9
	v_mul_lo_u32 v4, v3, s8
	;; [unrolled: 1-line block ×4, first 2 shown]
	s_cbranch_vccnz .LBB31_30
; %bb.29:
	v_mov_b32_e32 v3, v1
	s_delay_alu instid0(VALU_DEP_1) | instskip(NEXT) | instid1(VALU_DEP_1)
	v_mul_u64_e32 v[8:9], s[24:25], v[2:3]
	v_add_nc_u32_e32 v1, v2, v9
	s_delay_alu instid0(VALU_DEP_1) | instskip(NEXT) | instid1(VALU_DEP_1)
	v_lshrrev_b32_e32 v1, s23, v1
	v_mul_lo_u32 v1, v1, s19
	s_delay_alu instid0(VALU_DEP_1) | instskip(NEXT) | instid1(VALU_DEP_1)
	v_sub_nc_u32_e32 v1, v2, v1
	v_mad_u32 v4, v1, s12, v4
	v_mad_u32 v6, v1, s13, v6
	;; [unrolled: 1-line block ×4, first 2 shown]
.LBB31_30:
	global_load_u8 v1, v6, s[2:3]
	global_load_b128 v[8:11], v5, s[4:5]
	global_load_b128 v[12:15], v7, s[6:7]
	v_add_nc_u32_e32 v0, 0x80, v0
	s_wait_loadcnt 0x2
	v_cmp_eq_u16_e32 vcc_lo, 0, v1
	s_wait_loadcnt 0x0
	v_dual_cndmask_b32 v7, v9, v13 :: v_dual_cndmask_b32 v6, v8, v12
	v_dual_cndmask_b32 v9, v11, v15 :: v_dual_cndmask_b32 v8, v10, v14
	global_store_b128 v4, v[6:9], s[0:1]
	s_wait_xcnt 0x0
	s_or_b32 exec_lo, exec_lo, s17
	s_delay_alu instid0(SALU_CYCLE_1)
	s_mov_b32 s17, exec_lo
	v_cmpx_gt_i32_e64 s39, v0
	s_cbranch_execz .LBB31_43
.LBB31_31:
	s_and_not1_b32 vcc_lo, exec_lo, s35
	s_cbranch_vccnz .LBB31_37
; %bb.32:
	s_and_not1_b32 vcc_lo, exec_lo, s40
	s_cbranch_vccnz .LBB31_38
; %bb.33:
	v_dual_mov_b32 v6, 0 :: v_dual_mov_b32 v1, v0
	v_dual_mov_b32 v7, 0 :: v_dual_mov_b32 v4, 0
	v_mov_b32_e32 v5, 0
	s_add_co_i32 s22, s38, 1
	s_mov_b64 s[28:29], 0xffffffffffffffe0
	s_and_b32 s22, s22, 30
	s_add_nc_u64 s[28:29], s[20:21], s[28:29]
	s_mov_b64 s[30:31], s[20:21]
.LBB31_34:                              ; =>This Inner Loop Header: Depth=1
	s_clause 0x1
	s_load_b128 s[52:55], s[30:31], 0x4
	s_load_b64 s[42:43], s[30:31], 0x14
	s_load_b256 s[44:51], s[28:29], 0xe4
	s_add_co_i32 s22, s22, -2
	s_wait_xcnt 0x0
	s_add_nc_u64 s[30:31], s[30:31], 24
	s_cmp_eq_u32 s22, 0
	s_add_nc_u64 s[28:29], s[28:29], 32
	s_wait_kmcnt 0x0
	v_mul_hi_u32 v2, s53, v1
	s_delay_alu instid0(VALU_DEP_1) | instskip(NEXT) | instid1(VALU_DEP_1)
	v_add_nc_u32_e32 v2, v1, v2
	v_lshrrev_b32_e32 v2, s54, v2
	s_delay_alu instid0(VALU_DEP_1) | instskip(SKIP_1) | instid1(VALU_DEP_1)
	v_mul_hi_u32 v3, s42, v2
	v_mul_lo_u32 v8, v2, s52
	v_dual_add_nc_u32 v3, v2, v3 :: v_dual_sub_nc_u32 v8, v1, v8
	s_delay_alu instid0(VALU_DEP_1) | instskip(NEXT) | instid1(VALU_DEP_2)
	v_lshrrev_b32_e32 v1, s43, v3
	v_mad_u32 v5, v8, s45, v5
	v_mad_u32 v4, v8, s44, v4
	;; [unrolled: 1-line block ×4, first 2 shown]
	v_mul_lo_u32 v3, v1, s55
	s_delay_alu instid0(VALU_DEP_1) | instskip(NEXT) | instid1(VALU_DEP_1)
	v_sub_nc_u32_e32 v2, v2, v3
	v_mad_u32 v5, v2, s49, v5
	v_mad_u32 v4, v2, s48, v4
	;; [unrolled: 1-line block ×4, first 2 shown]
	s_cbranch_scc0 .LBB31_34
; %bb.35:
	s_bitcmp1_b32 s38, 0
	s_cselect_b32 s22, -1, 0
	s_delay_alu instid0(SALU_CYCLE_1)
	s_and_b32 vcc_lo, exec_lo, s22
	s_cbranch_vccnz .LBB31_39
; %bb.36:
	s_load_b96 s[48:50], s[30:31], 0x4
	s_load_b128 s[44:47], s[28:29], 0xe4
	s_wait_kmcnt 0x0
	v_mul_hi_u32 v2, s49, v1
	s_delay_alu instid0(VALU_DEP_1) | instskip(NEXT) | instid1(VALU_DEP_1)
	v_add_nc_u32_e32 v2, v1, v2
	v_lshrrev_b32_e32 v2, s50, v2
	s_delay_alu instid0(VALU_DEP_1) | instskip(NEXT) | instid1(VALU_DEP_1)
	v_mul_lo_u32 v2, v2, s48
	v_sub_nc_u32_e32 v1, v1, v2
	s_delay_alu instid0(VALU_DEP_1)
	v_mad_u32 v4, v1, s44, v4
	v_mad_u32 v5, v1, s45, v5
	;; [unrolled: 1-line block ×4, first 2 shown]
	s_branch .LBB31_39
.LBB31_37:
                                        ; implicit-def: $vgpr5
                                        ; implicit-def: $vgpr4
                                        ; implicit-def: $vgpr7
                                        ; implicit-def: $vgpr6
	s_branch .LBB31_40
.LBB31_38:
	v_dual_mov_b32 v5, 0 :: v_dual_mov_b32 v4, 0
	v_dual_mov_b32 v7, 0 :: v_dual_mov_b32 v6, 0
.LBB31_39:
	s_cbranch_execnz .LBB31_42
.LBB31_40:
	v_mov_b32_e32 v1, 0
	s_and_not1_b32 vcc_lo, exec_lo, s37
	s_delay_alu instid0(VALU_DEP_1) | instskip(NEXT) | instid1(VALU_DEP_1)
	v_mul_u64_e32 v[2:3], s[26:27], v[0:1]
	v_add_nc_u32_e32 v2, v0, v3
	s_delay_alu instid0(VALU_DEP_1) | instskip(NEXT) | instid1(VALU_DEP_1)
	v_lshrrev_b32_e32 v2, s18, v2
	v_mul_lo_u32 v3, v2, s16
	s_delay_alu instid0(VALU_DEP_1) | instskip(NEXT) | instid1(VALU_DEP_1)
	v_sub_nc_u32_e32 v3, v0, v3
	v_mul_lo_u32 v5, v3, s9
	v_mul_lo_u32 v4, v3, s8
	;; [unrolled: 1-line block ×4, first 2 shown]
	s_cbranch_vccnz .LBB31_42
; %bb.41:
	v_mov_b32_e32 v3, v1
	s_delay_alu instid0(VALU_DEP_1) | instskip(NEXT) | instid1(VALU_DEP_1)
	v_mul_u64_e32 v[8:9], s[24:25], v[2:3]
	v_add_nc_u32_e32 v1, v2, v9
	s_delay_alu instid0(VALU_DEP_1) | instskip(NEXT) | instid1(VALU_DEP_1)
	v_lshrrev_b32_e32 v1, s23, v1
	v_mul_lo_u32 v1, v1, s19
	s_delay_alu instid0(VALU_DEP_1) | instskip(NEXT) | instid1(VALU_DEP_1)
	v_sub_nc_u32_e32 v1, v2, v1
	v_mad_u32 v4, v1, s12, v4
	v_mad_u32 v5, v1, s13, v5
	;; [unrolled: 1-line block ×4, first 2 shown]
.LBB31_42:
	global_load_u8 v1, v5, s[2:3]
	global_load_b128 v[8:11], v6, s[4:5]
	global_load_b128 v[12:15], v7, s[6:7]
	v_add_nc_u32_e32 v0, 0x80, v0
	s_wait_loadcnt 0x2
	v_cmp_eq_u16_e32 vcc_lo, 0, v1
	s_wait_loadcnt 0x0
	v_dual_cndmask_b32 v7, v9, v13 :: v_dual_cndmask_b32 v6, v8, v12
	v_dual_cndmask_b32 v9, v11, v15 :: v_dual_cndmask_b32 v8, v10, v14
	global_store_b128 v4, v[6:9], s[0:1]
.LBB31_43:
	s_wait_xcnt 0x0
	s_or_b32 exec_lo, exec_lo, s17
	s_mov_b32 s22, 0
	s_mov_b32 s17, exec_lo
                                        ; implicit-def: $vgpr6_vgpr7
                                        ; implicit-def: $vgpr4_vgpr5
	v_cmpx_gt_i32_e64 s39, v0
	s_cbranch_execz .LBB31_56
; %bb.44:
	s_and_not1_b32 vcc_lo, exec_lo, s35
	s_cbranch_vccnz .LBB31_50
; %bb.45:
	s_and_not1_b32 vcc_lo, exec_lo, s40
	s_cbranch_vccnz .LBB31_51
; %bb.46:
	v_dual_mov_b32 v6, 0 :: v_dual_mov_b32 v1, v0
	v_dual_mov_b32 v7, 0 :: v_dual_mov_b32 v2, 0
	v_mov_b32_e32 v3, 0
	s_add_co_i32 s22, s38, 1
	s_mov_b64 s[28:29], 0xffffffffffffffe0
	s_and_b32 s22, s22, 30
	s_add_nc_u64 s[28:29], s[20:21], s[28:29]
	s_mov_b64 s[30:31], s[20:21]
.LBB31_47:                              ; =>This Inner Loop Header: Depth=1
	s_clause 0x1
	s_load_b128 s[48:51], s[30:31], 0x4
	s_load_b64 s[52:53], s[30:31], 0x14
	s_load_b256 s[40:47], s[28:29], 0xe4
	s_add_co_i32 s22, s22, -2
	s_wait_xcnt 0x0
	s_add_nc_u64 s[30:31], s[30:31], 24
	s_cmp_eq_u32 s22, 0
	s_add_nc_u64 s[28:29], s[28:29], 32
	s_wait_kmcnt 0x0
	v_mul_hi_u32 v4, s49, v1
	s_delay_alu instid0(VALU_DEP_1) | instskip(NEXT) | instid1(VALU_DEP_1)
	v_add_nc_u32_e32 v4, v1, v4
	v_lshrrev_b32_e32 v4, s50, v4
	s_delay_alu instid0(VALU_DEP_1) | instskip(SKIP_1) | instid1(VALU_DEP_1)
	v_mul_hi_u32 v5, s52, v4
	v_mul_lo_u32 v8, v4, s48
	v_dual_add_nc_u32 v5, v4, v5 :: v_dual_sub_nc_u32 v8, v1, v8
	s_delay_alu instid0(VALU_DEP_1) | instskip(NEXT) | instid1(VALU_DEP_2)
	v_lshrrev_b32_e32 v1, s53, v5
	v_mad_u32 v3, v8, s41, v3
	v_mad_u32 v2, v8, s40, v2
	;; [unrolled: 1-line block ×4, first 2 shown]
	v_mul_lo_u32 v5, v1, s51
	s_delay_alu instid0(VALU_DEP_1) | instskip(NEXT) | instid1(VALU_DEP_1)
	v_sub_nc_u32_e32 v4, v4, v5
	v_mad_u32 v3, v4, s45, v3
	v_mad_u32 v2, v4, s44, v2
	;; [unrolled: 1-line block ×4, first 2 shown]
	s_cbranch_scc0 .LBB31_47
; %bb.48:
	s_bitcmp1_b32 s38, 0
	s_cselect_b32 s22, -1, 0
	s_delay_alu instid0(SALU_CYCLE_1)
	s_and_b32 vcc_lo, exec_lo, s22
	s_cbranch_vccnz .LBB31_52
; %bb.49:
	s_load_b96 s[44:46], s[30:31], 0x4
	s_load_b128 s[40:43], s[28:29], 0xe4
	s_wait_kmcnt 0x0
	v_mul_hi_u32 v4, s45, v1
	s_delay_alu instid0(VALU_DEP_1) | instskip(NEXT) | instid1(VALU_DEP_1)
	v_add_nc_u32_e32 v4, v1, v4
	v_lshrrev_b32_e32 v4, s46, v4
	s_delay_alu instid0(VALU_DEP_1) | instskip(NEXT) | instid1(VALU_DEP_1)
	v_mul_lo_u32 v4, v4, s44
	v_sub_nc_u32_e32 v1, v1, v4
	s_delay_alu instid0(VALU_DEP_1)
	v_mad_u32 v2, v1, s40, v2
	v_mad_u32 v3, v1, s41, v3
	;; [unrolled: 1-line block ×4, first 2 shown]
	s_branch .LBB31_52
.LBB31_50:
                                        ; implicit-def: $vgpr3
                                        ; implicit-def: $vgpr2
                                        ; implicit-def: $vgpr7
                                        ; implicit-def: $vgpr6
	s_branch .LBB31_53
.LBB31_51:
	v_dual_mov_b32 v3, 0 :: v_dual_mov_b32 v2, 0
	v_dual_mov_b32 v7, 0 :: v_dual_mov_b32 v6, 0
.LBB31_52:
	s_cbranch_execnz .LBB31_55
.LBB31_53:
	v_mov_b32_e32 v1, 0
	s_and_not1_b32 vcc_lo, exec_lo, s37
	s_delay_alu instid0(VALU_DEP_1) | instskip(NEXT) | instid1(VALU_DEP_1)
	v_mul_u64_e32 v[2:3], s[26:27], v[0:1]
	v_add_nc_u32_e32 v2, v0, v3
	s_delay_alu instid0(VALU_DEP_1) | instskip(NEXT) | instid1(VALU_DEP_1)
	v_lshrrev_b32_e32 v4, s18, v2
	v_mul_lo_u32 v2, v4, s16
	s_delay_alu instid0(VALU_DEP_1) | instskip(NEXT) | instid1(VALU_DEP_1)
	v_sub_nc_u32_e32 v0, v0, v2
	v_mul_lo_u32 v3, v0, s9
	v_mul_lo_u32 v2, v0, s8
	;; [unrolled: 1-line block ×4, first 2 shown]
	s_cbranch_vccnz .LBB31_55
; %bb.54:
	v_mov_b32_e32 v5, v1
	s_delay_alu instid0(VALU_DEP_1) | instskip(NEXT) | instid1(VALU_DEP_1)
	v_mul_u64_e32 v[0:1], s[24:25], v[4:5]
	v_add_nc_u32_e32 v0, v4, v1
	s_delay_alu instid0(VALU_DEP_1) | instskip(NEXT) | instid1(VALU_DEP_1)
	v_lshrrev_b32_e32 v0, s23, v0
	v_mul_lo_u32 v0, v0, s19
	s_delay_alu instid0(VALU_DEP_1) | instskip(NEXT) | instid1(VALU_DEP_1)
	v_sub_nc_u32_e32 v0, v4, v0
	v_mad_u32 v2, v0, s12, v2
	v_mad_u32 v3, v0, s13, v3
	v_mad_u32 v6, v0, s14, v6
	v_mad_u32 v7, v0, s15, v7
.LBB31_55:
	global_load_u8 v0, v3, s[2:3]
	global_load_b128 v[8:11], v6, s[4:5]
	global_load_b128 v[12:15], v7, s[6:7]
	s_mov_b32 s22, exec_lo
	s_wait_loadcnt 0x2
	v_cmp_eq_u16_e32 vcc_lo, 0, v0
	s_wait_loadcnt 0x0
	s_wait_xcnt 0x2
	v_dual_mov_b32 v3, 0 :: v_dual_cndmask_b32 v1, v9, v13, vcc_lo
	s_delay_alu instid0(VALU_DEP_1)
	v_add_nc_u64_e32 v[4:5], s[0:1], v[2:3]
	s_wait_xcnt 0x0
	v_dual_cndmask_b32 v0, v8, v12 :: v_dual_cndmask_b32 v7, v11, v15
	v_cndmask_b32_e32 v6, v10, v14, vcc_lo
	global_store_b64 v2, v[0:1], s[0:1]
.LBB31_56:
	s_wait_xcnt 0x0
	s_or_b32 exec_lo, exec_lo, s17
	s_delay_alu instid0(SALU_CYCLE_1)
	s_and_b32 s12, s22, exec_lo
                                        ; implicit-def: $vgpr8
                                        ; implicit-def: $vgpr0
	s_and_not1_saveexec_b32 s13, s36
	s_cbranch_execz .LBB31_2
.LBB31_57:
	v_cndmask_b32_e64 v6, 0, 1, s35
	s_and_not1_b32 vcc_lo, exec_lo, s35
	s_cbranch_vccnz .LBB31_63
; %bb.58:
	s_cmp_lg_u32 s33, 0
	s_mov_b32 s4, 0
	s_cbranch_scc0 .LBB31_67
; %bb.59:
	s_min_u32 s5, s34, 15
	v_dual_mov_b32 v1, 0 :: v_dual_mov_b32 v5, v0
	v_dual_mov_b32 v4, 0 :: v_dual_mov_b32 v2, 0
	v_mov_b32_e32 v3, 0
	s_add_co_i32 s2, s5, 1
	s_mov_b64 s[0:1], 0xffffffffffffffe0
	s_and_b32 s6, s2, 30
	s_add_nc_u64 s[0:1], s[20:21], s[0:1]
	s_mov_b64 s[2:3], s[20:21]
.LBB31_60:                              ; =>This Inner Loop Header: Depth=1
	s_clause 0x1
	s_load_b128 s[8:11], s[2:3], 0x4
	s_load_b64 s[14:15], s[2:3], 0x14
	s_load_b256 s[24:31], s[0:1], 0xe4
	s_add_co_i32 s6, s6, -2
	s_wait_xcnt 0x0
	s_add_nc_u64 s[2:3], s[2:3], 24
	s_cmp_lg_u32 s6, 0
	s_add_nc_u64 s[0:1], s[0:1], 32
	s_wait_kmcnt 0x0
	v_mul_hi_u32 v7, s9, v5
	s_delay_alu instid0(VALU_DEP_1) | instskip(NEXT) | instid1(VALU_DEP_1)
	v_add_nc_u32_e32 v7, v5, v7
	v_lshrrev_b32_e32 v7, s10, v7
	s_delay_alu instid0(VALU_DEP_1) | instskip(SKIP_1) | instid1(VALU_DEP_1)
	v_mul_hi_u32 v9, s14, v7
	v_mul_lo_u32 v10, v7, s8
	v_dual_add_nc_u32 v9, v7, v9 :: v_dual_sub_nc_u32 v10, v5, v10
	s_delay_alu instid0(VALU_DEP_1) | instskip(NEXT) | instid1(VALU_DEP_2)
	v_lshrrev_b32_e32 v5, s15, v9
	v_mad_u32 v3, v10, s25, v3
	v_mad_u32 v2, v10, s24, v2
	v_mad_u32 v4, v10, s27, v4
	v_mad_u32 v1, v10, s26, v1
	v_mul_lo_u32 v9, v5, s11
	s_delay_alu instid0(VALU_DEP_1) | instskip(NEXT) | instid1(VALU_DEP_1)
	v_sub_nc_u32_e32 v7, v7, v9
	v_mad_u32 v3, v7, s29, v3
	v_mad_u32 v2, v7, s28, v2
	;; [unrolled: 1-line block ×4, first 2 shown]
	s_cbranch_scc1 .LBB31_60
; %bb.61:
	s_bitcmp1_b32 s5, 0
	s_cselect_b32 s5, -1, 0
	s_delay_alu instid0(SALU_CYCLE_1)
	s_and_b32 vcc_lo, exec_lo, s5
	s_cbranch_vccnz .LBB31_64
; %bb.62:
	s_load_b96 s[16:18], s[2:3], 0x4
	s_load_b128 s[8:11], s[0:1], 0xe4
	s_wait_kmcnt 0x0
	v_mul_hi_u32 v7, s17, v5
	s_delay_alu instid0(VALU_DEP_1) | instskip(NEXT) | instid1(VALU_DEP_1)
	v_add_nc_u32_e32 v7, v5, v7
	v_lshrrev_b32_e32 v7, s18, v7
	s_delay_alu instid0(VALU_DEP_1) | instskip(NEXT) | instid1(VALU_DEP_1)
	v_mul_lo_u32 v7, v7, s16
	v_sub_nc_u32_e32 v5, v5, v7
	s_delay_alu instid0(VALU_DEP_1)
	v_mad_u32 v2, v5, s8, v2
	v_mad_u32 v3, v5, s9, v3
	;; [unrolled: 1-line block ×4, first 2 shown]
	s_and_not1_b32 vcc_lo, exec_lo, s4
	s_cbranch_vccz .LBB31_65
	s_branch .LBB31_68
.LBB31_63:
	s_mov_b32 s4, -1
                                        ; implicit-def: $vgpr3
                                        ; implicit-def: $vgpr2
                                        ; implicit-def: $vgpr4
                                        ; implicit-def: $vgpr1
.LBB31_64:
	s_delay_alu instid0(SALU_CYCLE_1)
	s_and_not1_b32 vcc_lo, exec_lo, s4
	s_cbranch_vccnz .LBB31_68
.LBB31_65:
	s_clause 0x1
	s_load_b96 s[4:6], s[20:21], 0x4
	s_load_b128 s[0:3], s[20:21], 0xc4
	s_cmp_lt_u32 s33, 2
	s_wait_kmcnt 0x0
	v_mul_hi_u32 v1, s5, v0
	s_delay_alu instid0(VALU_DEP_1) | instskip(NEXT) | instid1(VALU_DEP_1)
	v_add_nc_u32_e32 v1, v0, v1
	v_lshrrev_b32_e32 v5, s6, v1
	s_delay_alu instid0(VALU_DEP_1) | instskip(NEXT) | instid1(VALU_DEP_1)
	v_mul_lo_u32 v1, v5, s4
	v_sub_nc_u32_e32 v1, v0, v1
	s_delay_alu instid0(VALU_DEP_1)
	v_mul_lo_u32 v3, v1, s1
	v_mul_lo_u32 v2, v1, s0
	;; [unrolled: 1-line block ×4, first 2 shown]
	s_cbranch_scc1 .LBB31_68
; %bb.66:
	s_clause 0x1
	s_load_b96 s[4:6], s[20:21], 0x10
	s_load_b128 s[0:3], s[20:21], 0xd4
	s_wait_kmcnt 0x0
	v_mul_hi_u32 v7, s5, v5
	s_delay_alu instid0(VALU_DEP_1) | instskip(NEXT) | instid1(VALU_DEP_1)
	v_add_nc_u32_e32 v7, v5, v7
	v_lshrrev_b32_e32 v7, s6, v7
	s_delay_alu instid0(VALU_DEP_1) | instskip(NEXT) | instid1(VALU_DEP_1)
	v_mul_lo_u32 v7, v7, s4
	v_sub_nc_u32_e32 v5, v5, v7
	s_delay_alu instid0(VALU_DEP_1)
	v_mad_u32 v2, v5, s0, v2
	v_mad_u32 v3, v5, s1, v3
	;; [unrolled: 1-line block ×4, first 2 shown]
	s_branch .LBB31_68
.LBB31_67:
	v_dual_mov_b32 v3, 0 :: v_dual_mov_b32 v2, 0
	v_dual_mov_b32 v4, 0 :: v_dual_mov_b32 v1, 0
	s_and_not1_b32 vcc_lo, exec_lo, s4
	s_cbranch_vccz .LBB31_65
.LBB31_68:
	v_cmp_ne_u32_e32 vcc_lo, 1, v6
	v_add_nc_u32_e32 v11, 0x80, v0
	s_cbranch_vccnz .LBB31_74
; %bb.69:
	s_cmp_lg_u32 s33, 0
	s_mov_b32 s4, 0
	s_cbranch_scc0 .LBB31_78
; %bb.70:
	s_min_u32 s5, s34, 15
	v_dual_mov_b32 v5, 0 :: v_dual_mov_b32 v12, v11
	v_dual_mov_b32 v10, 0 :: v_dual_mov_b32 v9, 0
	v_mov_b32_e32 v7, 0
	s_add_co_i32 s2, s5, 1
	s_mov_b64 s[0:1], 0xffffffffffffffe0
	s_and_b32 s6, s2, 30
	s_add_nc_u64 s[0:1], s[20:21], s[0:1]
	s_mov_b64 s[2:3], s[20:21]
.LBB31_71:                              ; =>This Inner Loop Header: Depth=1
	s_clause 0x1
	s_load_b128 s[8:11], s[2:3], 0x4
	s_load_b64 s[14:15], s[2:3], 0x14
	s_load_b256 s[24:31], s[0:1], 0xe4
	s_add_co_i32 s6, s6, -2
	s_wait_xcnt 0x0
	s_add_nc_u64 s[2:3], s[2:3], 24
	s_cmp_lg_u32 s6, 0
	s_add_nc_u64 s[0:1], s[0:1], 32
	s_wait_kmcnt 0x0
	v_mul_hi_u32 v13, s9, v12
	s_delay_alu instid0(VALU_DEP_1) | instskip(NEXT) | instid1(VALU_DEP_1)
	v_add_nc_u32_e32 v13, v12, v13
	v_lshrrev_b32_e32 v13, s10, v13
	s_delay_alu instid0(VALU_DEP_1) | instskip(SKIP_1) | instid1(VALU_DEP_1)
	v_mul_hi_u32 v14, s14, v13
	v_mul_lo_u32 v15, v13, s8
	v_dual_add_nc_u32 v14, v13, v14 :: v_dual_sub_nc_u32 v15, v12, v15
	s_delay_alu instid0(VALU_DEP_1) | instskip(NEXT) | instid1(VALU_DEP_2)
	v_lshrrev_b32_e32 v12, s15, v14
	v_mad_u32 v7, v15, s25, v7
	v_mad_u32 v9, v15, s24, v9
	;; [unrolled: 1-line block ×4, first 2 shown]
	v_mul_lo_u32 v14, v12, s11
	s_delay_alu instid0(VALU_DEP_1) | instskip(NEXT) | instid1(VALU_DEP_1)
	v_sub_nc_u32_e32 v13, v13, v14
	v_mad_u32 v7, v13, s29, v7
	v_mad_u32 v9, v13, s28, v9
	;; [unrolled: 1-line block ×4, first 2 shown]
	s_cbranch_scc1 .LBB31_71
; %bb.72:
	s_bitcmp1_b32 s5, 0
	s_cselect_b32 s5, -1, 0
	s_delay_alu instid0(SALU_CYCLE_1)
	s_and_b32 vcc_lo, exec_lo, s5
	s_cbranch_vccnz .LBB31_75
; %bb.73:
	s_load_b96 s[16:18], s[2:3], 0x4
	s_load_b128 s[8:11], s[0:1], 0xe4
	s_wait_kmcnt 0x0
	v_mul_hi_u32 v13, s17, v12
	s_delay_alu instid0(VALU_DEP_1) | instskip(NEXT) | instid1(VALU_DEP_1)
	v_add_nc_u32_e32 v13, v12, v13
	v_lshrrev_b32_e32 v13, s18, v13
	s_delay_alu instid0(VALU_DEP_1) | instskip(NEXT) | instid1(VALU_DEP_1)
	v_mul_lo_u32 v13, v13, s16
	v_sub_nc_u32_e32 v12, v12, v13
	s_delay_alu instid0(VALU_DEP_1)
	v_mad_u32 v9, v12, s8, v9
	v_mad_u32 v7, v12, s9, v7
	;; [unrolled: 1-line block ×4, first 2 shown]
	s_and_not1_b32 vcc_lo, exec_lo, s4
	s_cbranch_vccz .LBB31_76
	s_branch .LBB31_79
.LBB31_74:
	s_mov_b32 s4, -1
                                        ; implicit-def: $vgpr7
                                        ; implicit-def: $vgpr9
                                        ; implicit-def: $vgpr10
                                        ; implicit-def: $vgpr5
.LBB31_75:
	s_delay_alu instid0(SALU_CYCLE_1)
	s_and_not1_b32 vcc_lo, exec_lo, s4
	s_cbranch_vccnz .LBB31_79
.LBB31_76:
	s_clause 0x1
	s_load_b96 s[4:6], s[20:21], 0x4
	s_load_b128 s[0:3], s[20:21], 0xc4
	s_cmp_lt_u32 s33, 2
	s_wait_kmcnt 0x0
	v_mul_hi_u32 v5, s5, v11
	s_delay_alu instid0(VALU_DEP_1) | instskip(NEXT) | instid1(VALU_DEP_1)
	v_add_nc_u32_e32 v5, v11, v5
	v_lshrrev_b32_e32 v12, s6, v5
	s_delay_alu instid0(VALU_DEP_1) | instskip(NEXT) | instid1(VALU_DEP_1)
	v_mul_lo_u32 v5, v12, s4
	v_sub_nc_u32_e32 v5, v11, v5
	s_delay_alu instid0(VALU_DEP_1)
	v_mul_lo_u32 v7, v5, s1
	v_mul_lo_u32 v9, v5, s0
	;; [unrolled: 1-line block ×4, first 2 shown]
	s_cbranch_scc1 .LBB31_79
; %bb.77:
	s_clause 0x1
	s_load_b96 s[4:6], s[20:21], 0x10
	s_load_b128 s[0:3], s[20:21], 0xd4
	s_wait_kmcnt 0x0
	v_mul_hi_u32 v11, s5, v12
	s_delay_alu instid0(VALU_DEP_1) | instskip(NEXT) | instid1(VALU_DEP_1)
	v_add_nc_u32_e32 v11, v12, v11
	v_lshrrev_b32_e32 v11, s6, v11
	s_delay_alu instid0(VALU_DEP_1) | instskip(NEXT) | instid1(VALU_DEP_1)
	v_mul_lo_u32 v11, v11, s4
	v_sub_nc_u32_e32 v11, v12, v11
	s_delay_alu instid0(VALU_DEP_1)
	v_mad_u32 v9, v11, s0, v9
	v_mad_u32 v7, v11, s1, v7
	;; [unrolled: 1-line block ×4, first 2 shown]
	s_branch .LBB31_79
.LBB31_78:
	v_dual_mov_b32 v7, 0 :: v_dual_mov_b32 v9, 0
	v_dual_mov_b32 v10, 0 :: v_dual_mov_b32 v5, 0
	s_and_not1_b32 vcc_lo, exec_lo, s4
	s_cbranch_vccz .LBB31_76
.LBB31_79:
	v_cmp_ne_u32_e32 vcc_lo, 1, v6
	v_add_nc_u32_e32 v0, 0x100, v0
	s_cbranch_vccnz .LBB31_85
; %bb.80:
	s_cmp_lg_u32 s33, 0
	s_mov_b32 s4, 0
	s_cbranch_scc0 .LBB31_89
; %bb.81:
	s_min_u32 s5, s34, 15
	v_dual_mov_b32 v14, 0 :: v_dual_mov_b32 v15, v0
	v_dual_mov_b32 v13, 0 :: v_dual_mov_b32 v11, 0
	v_mov_b32_e32 v12, 0
	s_add_co_i32 s2, s5, 1
	s_mov_b64 s[0:1], 0xffffffffffffffe0
	s_and_b32 s6, s2, 30
	s_add_nc_u64 s[0:1], s[20:21], s[0:1]
	s_mov_b64 s[2:3], s[20:21]
.LBB31_82:                              ; =>This Inner Loop Header: Depth=1
	s_clause 0x1
	s_load_b128 s[8:11], s[2:3], 0x4
	s_load_b64 s[14:15], s[2:3], 0x14
	s_load_b256 s[24:31], s[0:1], 0xe4
	s_add_co_i32 s6, s6, -2
	s_wait_xcnt 0x0
	s_add_nc_u64 s[2:3], s[2:3], 24
	s_cmp_lg_u32 s6, 0
	s_add_nc_u64 s[0:1], s[0:1], 32
	s_wait_kmcnt 0x0
	v_mul_hi_u32 v16, s9, v15
	s_delay_alu instid0(VALU_DEP_1) | instskip(NEXT) | instid1(VALU_DEP_1)
	v_add_nc_u32_e32 v16, v15, v16
	v_lshrrev_b32_e32 v16, s10, v16
	s_delay_alu instid0(VALU_DEP_1) | instskip(SKIP_1) | instid1(VALU_DEP_1)
	v_mul_hi_u32 v17, s14, v16
	v_mul_lo_u32 v18, v16, s8
	v_dual_add_nc_u32 v17, v16, v17 :: v_dual_sub_nc_u32 v18, v15, v18
	s_delay_alu instid0(VALU_DEP_1) | instskip(NEXT) | instid1(VALU_DEP_2)
	v_lshrrev_b32_e32 v15, s15, v17
	v_mad_u32 v12, v18, s25, v12
	v_mad_u32 v11, v18, s24, v11
	;; [unrolled: 1-line block ×4, first 2 shown]
	v_mul_lo_u32 v17, v15, s11
	s_delay_alu instid0(VALU_DEP_1) | instskip(NEXT) | instid1(VALU_DEP_1)
	v_sub_nc_u32_e32 v16, v16, v17
	v_mad_u32 v12, v16, s29, v12
	v_mad_u32 v11, v16, s28, v11
	;; [unrolled: 1-line block ×4, first 2 shown]
	s_cbranch_scc1 .LBB31_82
; %bb.83:
	s_bitcmp1_b32 s5, 0
	s_cselect_b32 s5, -1, 0
	s_delay_alu instid0(SALU_CYCLE_1)
	s_and_b32 vcc_lo, exec_lo, s5
	s_cbranch_vccnz .LBB31_86
; %bb.84:
	s_load_b96 s[16:18], s[2:3], 0x4
	s_load_b128 s[8:11], s[0:1], 0xe4
	s_wait_kmcnt 0x0
	v_mul_hi_u32 v16, s17, v15
	s_delay_alu instid0(VALU_DEP_1) | instskip(NEXT) | instid1(VALU_DEP_1)
	v_add_nc_u32_e32 v16, v15, v16
	v_lshrrev_b32_e32 v16, s18, v16
	s_delay_alu instid0(VALU_DEP_1) | instskip(NEXT) | instid1(VALU_DEP_1)
	v_mul_lo_u32 v16, v16, s16
	v_sub_nc_u32_e32 v15, v15, v16
	s_delay_alu instid0(VALU_DEP_1)
	v_mad_u32 v11, v15, s8, v11
	v_mad_u32 v12, v15, s9, v12
	;; [unrolled: 1-line block ×4, first 2 shown]
	s_and_not1_b32 vcc_lo, exec_lo, s4
	s_cbranch_vccz .LBB31_87
	s_branch .LBB31_90
.LBB31_85:
	s_mov_b32 s4, -1
                                        ; implicit-def: $vgpr12
                                        ; implicit-def: $vgpr11
                                        ; implicit-def: $vgpr13
                                        ; implicit-def: $vgpr14
.LBB31_86:
	s_delay_alu instid0(SALU_CYCLE_1)
	s_and_not1_b32 vcc_lo, exec_lo, s4
	s_cbranch_vccnz .LBB31_90
.LBB31_87:
	s_clause 0x1
	s_load_b96 s[4:6], s[20:21], 0x4
	s_load_b128 s[0:3], s[20:21], 0xc4
	s_cmp_lt_u32 s33, 2
	s_wait_kmcnt 0x0
	v_mul_hi_u32 v11, s5, v0
	s_delay_alu instid0(VALU_DEP_1) | instskip(NEXT) | instid1(VALU_DEP_1)
	v_add_nc_u32_e32 v11, v0, v11
	v_lshrrev_b32_e32 v15, s6, v11
	s_delay_alu instid0(VALU_DEP_1) | instskip(NEXT) | instid1(VALU_DEP_1)
	v_mul_lo_u32 v11, v15, s4
	v_sub_nc_u32_e32 v0, v0, v11
	s_delay_alu instid0(VALU_DEP_1)
	v_mul_lo_u32 v12, v0, s1
	v_mul_lo_u32 v11, v0, s0
	;; [unrolled: 1-line block ×4, first 2 shown]
	s_cbranch_scc1 .LBB31_90
; %bb.88:
	s_clause 0x1
	s_load_b96 s[4:6], s[20:21], 0x10
	s_load_b128 s[0:3], s[20:21], 0xd4
	s_wait_kmcnt 0x0
	v_mul_hi_u32 v0, s5, v15
	s_delay_alu instid0(VALU_DEP_1) | instskip(NEXT) | instid1(VALU_DEP_1)
	v_add_nc_u32_e32 v0, v15, v0
	v_lshrrev_b32_e32 v0, s6, v0
	s_delay_alu instid0(VALU_DEP_1) | instskip(NEXT) | instid1(VALU_DEP_1)
	v_mul_lo_u32 v0, v0, s4
	v_sub_nc_u32_e32 v0, v15, v0
	s_delay_alu instid0(VALU_DEP_1)
	v_mad_u32 v11, v0, s0, v11
	v_mad_u32 v12, v0, s1, v12
	;; [unrolled: 1-line block ×4, first 2 shown]
	s_branch .LBB31_90
.LBB31_89:
	v_dual_mov_b32 v12, 0 :: v_dual_mov_b32 v11, 0
	v_dual_mov_b32 v13, 0 :: v_dual_mov_b32 v14, 0
	s_and_not1_b32 vcc_lo, exec_lo, s4
	s_cbranch_vccz .LBB31_87
.LBB31_90:
	v_cmp_ne_u32_e32 vcc_lo, 1, v6
	s_cbranch_vccnz .LBB31_96
; %bb.91:
	s_cmp_lg_u32 s33, 0
	s_mov_b32 s4, 0
	s_cbranch_scc0 .LBB31_100
; %bb.92:
	s_min_u32 s5, s34, 15
	v_dual_mov_b32 v16, 0 :: v_dual_mov_b32 v17, v8
	v_dual_mov_b32 v15, 0 :: v_dual_mov_b32 v0, 0
	v_mov_b32_e32 v6, 0
	s_add_co_i32 s2, s5, 1
	s_mov_b64 s[0:1], 0xffffffffffffffe0
	s_and_b32 s6, s2, 30
	s_add_nc_u64 s[0:1], s[20:21], s[0:1]
	s_mov_b64 s[2:3], s[20:21]
.LBB31_93:                              ; =>This Inner Loop Header: Depth=1
	s_clause 0x1
	s_load_b128 s[8:11], s[2:3], 0x4
	s_load_b64 s[14:15], s[2:3], 0x14
	s_load_b256 s[24:31], s[0:1], 0xe4
	s_add_co_i32 s6, s6, -2
	s_wait_xcnt 0x0
	s_add_nc_u64 s[2:3], s[2:3], 24
	s_cmp_lg_u32 s6, 0
	s_add_nc_u64 s[0:1], s[0:1], 32
	s_wait_kmcnt 0x0
	v_mul_hi_u32 v18, s9, v17
	s_delay_alu instid0(VALU_DEP_1) | instskip(NEXT) | instid1(VALU_DEP_1)
	v_add_nc_u32_e32 v18, v17, v18
	v_lshrrev_b32_e32 v18, s10, v18
	s_delay_alu instid0(VALU_DEP_1) | instskip(SKIP_1) | instid1(VALU_DEP_1)
	v_mul_hi_u32 v19, s14, v18
	v_mul_lo_u32 v20, v18, s8
	v_dual_add_nc_u32 v19, v18, v19 :: v_dual_sub_nc_u32 v20, v17, v20
	s_delay_alu instid0(VALU_DEP_1) | instskip(NEXT) | instid1(VALU_DEP_2)
	v_lshrrev_b32_e32 v17, s15, v19
	v_mad_u32 v6, v20, s25, v6
	v_mad_u32 v0, v20, s24, v0
	;; [unrolled: 1-line block ×4, first 2 shown]
	v_mul_lo_u32 v19, v17, s11
	s_delay_alu instid0(VALU_DEP_1) | instskip(NEXT) | instid1(VALU_DEP_1)
	v_sub_nc_u32_e32 v18, v18, v19
	v_mad_u32 v6, v18, s29, v6
	v_mad_u32 v0, v18, s28, v0
	;; [unrolled: 1-line block ×4, first 2 shown]
	s_cbranch_scc1 .LBB31_93
; %bb.94:
	s_bitcmp1_b32 s5, 0
	s_cselect_b32 s5, -1, 0
	s_delay_alu instid0(SALU_CYCLE_1)
	s_and_b32 vcc_lo, exec_lo, s5
	s_cbranch_vccnz .LBB31_97
; %bb.95:
	s_load_b96 s[16:18], s[2:3], 0x4
	s_load_b128 s[8:11], s[0:1], 0xe4
	s_wait_kmcnt 0x0
	v_mul_hi_u32 v18, s17, v17
	s_delay_alu instid0(VALU_DEP_1) | instskip(NEXT) | instid1(VALU_DEP_1)
	v_add_nc_u32_e32 v18, v17, v18
	v_lshrrev_b32_e32 v18, s18, v18
	s_delay_alu instid0(VALU_DEP_1) | instskip(NEXT) | instid1(VALU_DEP_1)
	v_mul_lo_u32 v18, v18, s16
	v_sub_nc_u32_e32 v17, v17, v18
	s_delay_alu instid0(VALU_DEP_1)
	v_mad_u32 v0, v17, s8, v0
	v_mad_u32 v6, v17, s9, v6
	;; [unrolled: 1-line block ×4, first 2 shown]
	s_and_not1_b32 vcc_lo, exec_lo, s4
	s_cbranch_vccz .LBB31_98
	s_branch .LBB31_101
.LBB31_96:
	s_mov_b32 s4, -1
                                        ; implicit-def: $vgpr6
                                        ; implicit-def: $vgpr0
                                        ; implicit-def: $vgpr15
                                        ; implicit-def: $vgpr16
.LBB31_97:
	s_delay_alu instid0(SALU_CYCLE_1)
	s_and_not1_b32 vcc_lo, exec_lo, s4
	s_cbranch_vccnz .LBB31_101
.LBB31_98:
	s_clause 0x1
	s_load_b96 s[4:6], s[20:21], 0x4
	s_load_b128 s[0:3], s[20:21], 0xc4
	s_cmp_lt_u32 s33, 2
	s_wait_kmcnt 0x0
	v_mul_hi_u32 v0, s5, v8
	s_delay_alu instid0(VALU_DEP_1) | instskip(NEXT) | instid1(VALU_DEP_1)
	v_add_nc_u32_e32 v0, v8, v0
	v_lshrrev_b32_e32 v17, s6, v0
	s_delay_alu instid0(VALU_DEP_1) | instskip(NEXT) | instid1(VALU_DEP_1)
	v_mul_lo_u32 v0, v17, s4
	v_sub_nc_u32_e32 v8, v8, v0
	s_delay_alu instid0(VALU_DEP_1)
	v_mul_lo_u32 v6, v8, s1
	v_mul_lo_u32 v0, v8, s0
	;; [unrolled: 1-line block ×4, first 2 shown]
	s_cbranch_scc1 .LBB31_101
; %bb.99:
	s_clause 0x1
	s_load_b96 s[4:6], s[20:21], 0x10
	s_load_b128 s[0:3], s[20:21], 0xd4
	s_wait_kmcnt 0x0
	v_mul_hi_u32 v8, s5, v17
	s_delay_alu instid0(VALU_DEP_1) | instskip(NEXT) | instid1(VALU_DEP_1)
	v_add_nc_u32_e32 v8, v17, v8
	v_lshrrev_b32_e32 v8, s6, v8
	s_delay_alu instid0(VALU_DEP_1) | instskip(NEXT) | instid1(VALU_DEP_1)
	v_mul_lo_u32 v8, v8, s4
	v_sub_nc_u32_e32 v8, v17, v8
	s_delay_alu instid0(VALU_DEP_1)
	v_mad_u32 v0, v8, s0, v0
	v_mad_u32 v6, v8, s1, v6
	;; [unrolled: 1-line block ×4, first 2 shown]
	s_branch .LBB31_101
.LBB31_100:
	v_dual_mov_b32 v6, 0 :: v_dual_mov_b32 v0, 0
	v_dual_mov_b32 v15, 0 :: v_dual_mov_b32 v16, 0
	s_and_not1_b32 vcc_lo, exec_lo, s4
	s_cbranch_vccz .LBB31_98
.LBB31_101:
	s_load_b256 s[4:11], s[20:21], 0x1c8
	s_or_b32 s12, s12, exec_lo
	s_wait_kmcnt 0x0
	global_load_u8 v8, v3, s[6:7]
	global_load_b128 v[18:21], v1, s[8:9]
	global_load_b128 v[22:25], v4, s[10:11]
	global_load_u8 v17, v7, s[6:7]
	global_load_b128 v[26:29], v5, s[8:9]
	global_load_b128 v[30:33], v10, s[10:11]
	;; [unrolled: 3-line block ×4, first 2 shown]
	s_wait_loadcnt 0xb
	v_cmp_eq_u16_e32 vcc_lo, 0, v8
	s_wait_xcnt 0xa
	v_mov_b32_e32 v1, 0
	s_wait_loadcnt 0x8
	v_cmp_eq_u16_e64 s0, 0, v17
	s_wait_xcnt 0x3
	v_cndmask_b32_e32 v13, v19, v23, vcc_lo
	s_wait_loadcnt 0x5
	v_cmp_eq_u16_e64 s1, 0, v50
	v_add_nc_u64_e32 v[4:5], s[4:5], v[0:1]
	v_dual_cndmask_b32 v17, v27, v31, s0 :: v_dual_cndmask_b32 v12, v18, v22, vcc_lo
	s_wait_loadcnt 0x2
	v_cmp_eq_u16_e64 s2, 0, v51
	s_wait_xcnt 0x0
	v_dual_cndmask_b32 v23, v35, v39, s1 :: v_dual_cndmask_b32 v15, v21, v25, vcc_lo
	v_dual_cndmask_b32 v16, v26, v30, s0 :: v_dual_cndmask_b32 v19, v29, v33, s0
	s_wait_loadcnt 0x0
	v_dual_cndmask_b32 v27, v43, v47, s2 :: v_dual_cndmask_b32 v14, v20, v24, vcc_lo
	v_dual_cndmask_b32 v18, v28, v32, s0 :: v_dual_cndmask_b32 v22, v34, v38, s1
	v_dual_cndmask_b32 v25, v37, v41, s1 :: v_dual_cndmask_b32 v24, v36, v40, s1
	;; [unrolled: 1-line block ×3, first 2 shown]
	v_cndmask_b32_e64 v6, v44, v48, s2
	s_clause 0x3
	global_store_b128 v2, v[12:15], s[4:5]
	global_store_b128 v9, v[16:19], s[4:5]
	;; [unrolled: 1-line block ×3, first 2 shown]
	global_store_b64 v0, v[26:27], s[4:5]
	s_wait_xcnt 0x0
	s_or_b32 exec_lo, exec_lo, s13
	s_and_saveexec_b32 s0, s12
	s_cbranch_execz .LBB31_3
.LBB31_102:
	global_store_b64 v[4:5], v[6:7], off offset:8
	s_endpgm
	.section	.rodata,"a",@progbits
	.p2align	6, 0x0
	.amdhsa_kernel _ZN2at6native32elementwise_kernel_manual_unrollILi128ELi4EZNS0_22gpu_kernel_impl_nocastIZZZNS0_12_GLOBAL__N_117where_kernel_implERNS_14TensorIteratorEENKUlvE_clEvENKUlvE3_clEvEUlbN3c107complexIdEESA_E_EEvRNS_18TensorIteratorBaseERKT_EUlibE_EEviT1_
		.amdhsa_group_segment_fixed_size 0
		.amdhsa_private_segment_fixed_size 0
		.amdhsa_kernarg_size 504
		.amdhsa_user_sgpr_count 2
		.amdhsa_user_sgpr_dispatch_ptr 0
		.amdhsa_user_sgpr_queue_ptr 0
		.amdhsa_user_sgpr_kernarg_segment_ptr 1
		.amdhsa_user_sgpr_dispatch_id 0
		.amdhsa_user_sgpr_kernarg_preload_length 0
		.amdhsa_user_sgpr_kernarg_preload_offset 0
		.amdhsa_user_sgpr_private_segment_size 0
		.amdhsa_wavefront_size32 1
		.amdhsa_uses_dynamic_stack 0
		.amdhsa_enable_private_segment 0
		.amdhsa_system_sgpr_workgroup_id_x 1
		.amdhsa_system_sgpr_workgroup_id_y 0
		.amdhsa_system_sgpr_workgroup_id_z 0
		.amdhsa_system_sgpr_workgroup_info 0
		.amdhsa_system_vgpr_workitem_id 0
		.amdhsa_next_free_vgpr 52
		.amdhsa_next_free_sgpr 56
		.amdhsa_named_barrier_count 0
		.amdhsa_reserve_vcc 1
		.amdhsa_float_round_mode_32 0
		.amdhsa_float_round_mode_16_64 0
		.amdhsa_float_denorm_mode_32 3
		.amdhsa_float_denorm_mode_16_64 3
		.amdhsa_fp16_overflow 0
		.amdhsa_memory_ordered 1
		.amdhsa_forward_progress 1
		.amdhsa_inst_pref_size 47
		.amdhsa_round_robin_scheduling 0
		.amdhsa_exception_fp_ieee_invalid_op 0
		.amdhsa_exception_fp_denorm_src 0
		.amdhsa_exception_fp_ieee_div_zero 0
		.amdhsa_exception_fp_ieee_overflow 0
		.amdhsa_exception_fp_ieee_underflow 0
		.amdhsa_exception_fp_ieee_inexact 0
		.amdhsa_exception_int_div_zero 0
	.end_amdhsa_kernel
	.section	.text._ZN2at6native32elementwise_kernel_manual_unrollILi128ELi4EZNS0_22gpu_kernel_impl_nocastIZZZNS0_12_GLOBAL__N_117where_kernel_implERNS_14TensorIteratorEENKUlvE_clEvENKUlvE3_clEvEUlbN3c107complexIdEESA_E_EEvRNS_18TensorIteratorBaseERKT_EUlibE_EEviT1_,"axG",@progbits,_ZN2at6native32elementwise_kernel_manual_unrollILi128ELi4EZNS0_22gpu_kernel_impl_nocastIZZZNS0_12_GLOBAL__N_117where_kernel_implERNS_14TensorIteratorEENKUlvE_clEvENKUlvE3_clEvEUlbN3c107complexIdEESA_E_EEvRNS_18TensorIteratorBaseERKT_EUlibE_EEviT1_,comdat
.Lfunc_end31:
	.size	_ZN2at6native32elementwise_kernel_manual_unrollILi128ELi4EZNS0_22gpu_kernel_impl_nocastIZZZNS0_12_GLOBAL__N_117where_kernel_implERNS_14TensorIteratorEENKUlvE_clEvENKUlvE3_clEvEUlbN3c107complexIdEESA_E_EEvRNS_18TensorIteratorBaseERKT_EUlibE_EEviT1_, .Lfunc_end31-_ZN2at6native32elementwise_kernel_manual_unrollILi128ELi4EZNS0_22gpu_kernel_impl_nocastIZZZNS0_12_GLOBAL__N_117where_kernel_implERNS_14TensorIteratorEENKUlvE_clEvENKUlvE3_clEvEUlbN3c107complexIdEESA_E_EEvRNS_18TensorIteratorBaseERKT_EUlibE_EEviT1_
                                        ; -- End function
	.set _ZN2at6native32elementwise_kernel_manual_unrollILi128ELi4EZNS0_22gpu_kernel_impl_nocastIZZZNS0_12_GLOBAL__N_117where_kernel_implERNS_14TensorIteratorEENKUlvE_clEvENKUlvE3_clEvEUlbN3c107complexIdEESA_E_EEvRNS_18TensorIteratorBaseERKT_EUlibE_EEviT1_.num_vgpr, 52
	.set _ZN2at6native32elementwise_kernel_manual_unrollILi128ELi4EZNS0_22gpu_kernel_impl_nocastIZZZNS0_12_GLOBAL__N_117where_kernel_implERNS_14TensorIteratorEENKUlvE_clEvENKUlvE3_clEvEUlbN3c107complexIdEESA_E_EEvRNS_18TensorIteratorBaseERKT_EUlibE_EEviT1_.num_agpr, 0
	.set _ZN2at6native32elementwise_kernel_manual_unrollILi128ELi4EZNS0_22gpu_kernel_impl_nocastIZZZNS0_12_GLOBAL__N_117where_kernel_implERNS_14TensorIteratorEENKUlvE_clEvENKUlvE3_clEvEUlbN3c107complexIdEESA_E_EEvRNS_18TensorIteratorBaseERKT_EUlibE_EEviT1_.numbered_sgpr, 56
	.set _ZN2at6native32elementwise_kernel_manual_unrollILi128ELi4EZNS0_22gpu_kernel_impl_nocastIZZZNS0_12_GLOBAL__N_117where_kernel_implERNS_14TensorIteratorEENKUlvE_clEvENKUlvE3_clEvEUlbN3c107complexIdEESA_E_EEvRNS_18TensorIteratorBaseERKT_EUlibE_EEviT1_.num_named_barrier, 0
	.set _ZN2at6native32elementwise_kernel_manual_unrollILi128ELi4EZNS0_22gpu_kernel_impl_nocastIZZZNS0_12_GLOBAL__N_117where_kernel_implERNS_14TensorIteratorEENKUlvE_clEvENKUlvE3_clEvEUlbN3c107complexIdEESA_E_EEvRNS_18TensorIteratorBaseERKT_EUlibE_EEviT1_.private_seg_size, 0
	.set _ZN2at6native32elementwise_kernel_manual_unrollILi128ELi4EZNS0_22gpu_kernel_impl_nocastIZZZNS0_12_GLOBAL__N_117where_kernel_implERNS_14TensorIteratorEENKUlvE_clEvENKUlvE3_clEvEUlbN3c107complexIdEESA_E_EEvRNS_18TensorIteratorBaseERKT_EUlibE_EEviT1_.uses_vcc, 1
	.set _ZN2at6native32elementwise_kernel_manual_unrollILi128ELi4EZNS0_22gpu_kernel_impl_nocastIZZZNS0_12_GLOBAL__N_117where_kernel_implERNS_14TensorIteratorEENKUlvE_clEvENKUlvE3_clEvEUlbN3c107complexIdEESA_E_EEvRNS_18TensorIteratorBaseERKT_EUlibE_EEviT1_.uses_flat_scratch, 0
	.set _ZN2at6native32elementwise_kernel_manual_unrollILi128ELi4EZNS0_22gpu_kernel_impl_nocastIZZZNS0_12_GLOBAL__N_117where_kernel_implERNS_14TensorIteratorEENKUlvE_clEvENKUlvE3_clEvEUlbN3c107complexIdEESA_E_EEvRNS_18TensorIteratorBaseERKT_EUlibE_EEviT1_.has_dyn_sized_stack, 0
	.set _ZN2at6native32elementwise_kernel_manual_unrollILi128ELi4EZNS0_22gpu_kernel_impl_nocastIZZZNS0_12_GLOBAL__N_117where_kernel_implERNS_14TensorIteratorEENKUlvE_clEvENKUlvE3_clEvEUlbN3c107complexIdEESA_E_EEvRNS_18TensorIteratorBaseERKT_EUlibE_EEviT1_.has_recursion, 0
	.set _ZN2at6native32elementwise_kernel_manual_unrollILi128ELi4EZNS0_22gpu_kernel_impl_nocastIZZZNS0_12_GLOBAL__N_117where_kernel_implERNS_14TensorIteratorEENKUlvE_clEvENKUlvE3_clEvEUlbN3c107complexIdEESA_E_EEvRNS_18TensorIteratorBaseERKT_EUlibE_EEviT1_.has_indirect_call, 0
	.section	.AMDGPU.csdata,"",@progbits
; Kernel info:
; codeLenInByte = 5944
; TotalNumSgprs: 58
; NumVgprs: 52
; ScratchSize: 0
; MemoryBound: 0
; FloatMode: 240
; IeeeMode: 1
; LDSByteSize: 0 bytes/workgroup (compile time only)
; SGPRBlocks: 0
; VGPRBlocks: 3
; NumSGPRsForWavesPerEU: 58
; NumVGPRsForWavesPerEU: 52
; NamedBarCnt: 0
; Occupancy: 16
; WaveLimiterHint : 1
; COMPUTE_PGM_RSRC2:SCRATCH_EN: 0
; COMPUTE_PGM_RSRC2:USER_SGPR: 2
; COMPUTE_PGM_RSRC2:TRAP_HANDLER: 0
; COMPUTE_PGM_RSRC2:TGID_X_EN: 1
; COMPUTE_PGM_RSRC2:TGID_Y_EN: 0
; COMPUTE_PGM_RSRC2:TGID_Z_EN: 0
; COMPUTE_PGM_RSRC2:TIDIG_COMP_CNT: 0
	.section	.text._ZN2at6native29vectorized_elementwise_kernelILi16EZZZNS0_12_GLOBAL__N_120isposinf_kernel_implERNS_18TensorIteratorBaseEENKUlvE_clEvENKUlvE_clEvEUldE_St5arrayIPcLm2EEEEviT0_T1_,"axG",@progbits,_ZN2at6native29vectorized_elementwise_kernelILi16EZZZNS0_12_GLOBAL__N_120isposinf_kernel_implERNS_18TensorIteratorBaseEENKUlvE_clEvENKUlvE_clEvEUldE_St5arrayIPcLm2EEEEviT0_T1_,comdat
	.globl	_ZN2at6native29vectorized_elementwise_kernelILi16EZZZNS0_12_GLOBAL__N_120isposinf_kernel_implERNS_18TensorIteratorBaseEENKUlvE_clEvENKUlvE_clEvEUldE_St5arrayIPcLm2EEEEviT0_T1_ ; -- Begin function _ZN2at6native29vectorized_elementwise_kernelILi16EZZZNS0_12_GLOBAL__N_120isposinf_kernel_implERNS_18TensorIteratorBaseEENKUlvE_clEvENKUlvE_clEvEUldE_St5arrayIPcLm2EEEEviT0_T1_
	.p2align	8
	.type	_ZN2at6native29vectorized_elementwise_kernelILi16EZZZNS0_12_GLOBAL__N_120isposinf_kernel_implERNS_18TensorIteratorBaseEENKUlvE_clEvENKUlvE_clEvEUldE_St5arrayIPcLm2EEEEviT0_T1_,@function
_ZN2at6native29vectorized_elementwise_kernelILi16EZZZNS0_12_GLOBAL__N_120isposinf_kernel_implERNS_18TensorIteratorBaseEENKUlvE_clEvENKUlvE_clEvEUldE_St5arrayIPcLm2EEEEviT0_T1_: ; @_ZN2at6native29vectorized_elementwise_kernelILi16EZZZNS0_12_GLOBAL__N_120isposinf_kernel_implERNS_18TensorIteratorBaseEENKUlvE_clEvENKUlvE_clEvEUldE_St5arrayIPcLm2EEEEviT0_T1_
; %bb.0:
	s_clause 0x1
	s_load_b32 s3, s[0:1], 0x0
	s_load_b128 s[4:7], s[0:1], 0x8
	s_wait_xcnt 0x0
	s_bfe_u32 s0, ttmp6, 0x4000c
	s_and_b32 s1, ttmp6, 15
	s_add_co_i32 s0, s0, 1
	s_getreg_b32 s2, hwreg(HW_REG_IB_STS2, 6, 4)
	s_mul_i32 s0, ttmp9, s0
	s_delay_alu instid0(SALU_CYCLE_1) | instskip(SKIP_2) | instid1(SALU_CYCLE_1)
	s_add_co_i32 s1, s1, s0
	s_cmp_eq_u32 s2, 0
	s_cselect_b32 s0, ttmp9, s1
	s_lshl_b32 s2, s0, 12
	s_mov_b32 s0, -1
	s_wait_kmcnt 0x0
	s_sub_co_i32 s1, s3, s2
	s_delay_alu instid0(SALU_CYCLE_1)
	s_cmp_gt_i32 s1, 0xfff
	s_cbranch_scc0 .LBB32_2
; %bb.1:
	s_ashr_i32 s3, s2, 31
	v_lshlrev_b32_e32 v1, 7, v0
	s_lshl_b64 s[8:9], s[2:3], 3
	s_mov_b32 s0, 0
	s_add_nc_u64 s[8:9], s[6:7], s[8:9]
	s_clause 0x7
	global_load_b128 v[2:5], v1, s[8:9] offset:32
	global_load_b128 v[6:9], v1, s[8:9] offset:48
	global_load_b128 v[10:13], v1, s[8:9]
	global_load_b128 v[14:17], v1, s[8:9] offset:16
	global_load_b128 v[18:21], v1, s[8:9] offset:96
	;; [unrolled: 1-line block ×5, first 2 shown]
	s_wait_xcnt 0x0
	s_add_nc_u64 s[8:9], s[4:5], s[2:3]
	s_wait_loadcnt 0x7
	v_cmp_eq_f64_e32 vcc_lo, 0x7ff00000, v[4:5]
	v_cndmask_b32_e64 v1, 0, 1, vcc_lo
	v_cmp_eq_f64_e32 vcc_lo, 0x7ff00000, v[2:3]
	s_delay_alu instid0(VALU_DEP_2) | instskip(SKIP_3) | instid1(VALU_DEP_2)
	v_lshlrev_b16 v1, 8, v1
	v_cndmask_b32_e64 v2, 0, 1, vcc_lo
	s_wait_loadcnt 0x6
	v_cmp_eq_f64_e32 vcc_lo, 0x7ff00000, v[8:9]
	v_or_b32_e32 v1, v2, v1
	v_cndmask_b32_e64 v3, 0, 1, vcc_lo
	v_cmp_eq_f64_e32 vcc_lo, 0x7ff00000, v[6:7]
	s_delay_alu instid0(VALU_DEP_2) | instskip(SKIP_3) | instid1(VALU_DEP_2)
	v_lshlrev_b16 v3, 8, v3
	v_cndmask_b32_e64 v4, 0, 1, vcc_lo
	s_wait_loadcnt 0x5
	v_cmp_eq_f64_e32 vcc_lo, 0x7ff00000, v[12:13]
	v_or_b32_e32 v2, v4, v3
	s_delay_alu instid0(VALU_DEP_1) | instskip(SKIP_3) | instid1(VALU_DEP_2)
	v_lshlrev_b32_e32 v2, 16, v2
	v_and_b32_e32 v1, 0xffff, v1
	v_cndmask_b32_e64 v5, 0, 1, vcc_lo
	v_cmp_eq_f64_e32 vcc_lo, 0x7ff00000, v[10:11]
	v_lshlrev_b16 v5, 8, v5
	v_cndmask_b32_e64 v6, 0, 1, vcc_lo
	s_wait_loadcnt 0x4
	v_cmp_eq_f64_e32 vcc_lo, 0x7ff00000, v[16:17]
	v_cndmask_b32_e64 v7, 0, 1, vcc_lo
	v_cmp_eq_f64_e32 vcc_lo, 0x7ff00000, v[14:15]
	s_delay_alu instid0(VALU_DEP_2) | instskip(SKIP_3) | instid1(VALU_DEP_2)
	v_lshlrev_b16 v7, 8, v7
	v_cndmask_b32_e64 v8, 0, 1, vcc_lo
	s_wait_loadcnt 0x3
	v_cmp_eq_f64_e32 vcc_lo, 0x7ff00000, v[20:21]
	v_or_b32_e32 v4, v8, v7
	v_or_b32_e32 v3, v6, v5
	v_cndmask_b32_e64 v9, 0, 1, vcc_lo
	v_cmp_eq_f64_e32 vcc_lo, 0x7ff00000, v[18:19]
	s_delay_alu instid0(VALU_DEP_2)
	v_lshlrev_b16 v9, 8, v9
	v_cndmask_b32_e64 v10, 0, 1, vcc_lo
	s_wait_loadcnt 0x2
	v_cmp_eq_f64_e32 vcc_lo, 0x7ff00000, v[24:25]
	v_cndmask_b32_e64 v11, 0, 1, vcc_lo
	v_cmp_eq_f64_e32 vcc_lo, 0x7ff00000, v[22:23]
	s_delay_alu instid0(VALU_DEP_2) | instskip(SKIP_3) | instid1(VALU_DEP_2)
	v_lshlrev_b16 v11, 8, v11
	v_cndmask_b32_e64 v12, 0, 1, vcc_lo
	s_wait_loadcnt 0x1
	v_cmp_eq_f64_e32 vcc_lo, 0x7ff00000, v[28:29]
	v_or_b32_e32 v6, v12, v11
	s_delay_alu instid0(VALU_DEP_1) | instskip(SKIP_2) | instid1(VALU_DEP_2)
	v_dual_lshlrev_b32 v6, 16, v6 :: v_dual_lshlrev_b32 v4, 16, v4
	v_cndmask_b32_e64 v13, 0, 1, vcc_lo
	v_cmp_eq_f64_e32 vcc_lo, 0x7ff00000, v[26:27]
	v_lshlrev_b16 v13, 8, v13
	v_cndmask_b32_e64 v14, 0, 1, vcc_lo
	s_wait_loadcnt 0x0
	v_cmp_eq_f64_e32 vcc_lo, 0x7ff00000, v[32:33]
	s_delay_alu instid0(VALU_DEP_2) | instskip(NEXT) | instid1(VALU_DEP_1)
	v_or_b32_e32 v7, v14, v13
	v_and_b32_e32 v7, 0xffff, v7
	v_cndmask_b32_e64 v15, 0, 1, vcc_lo
	v_cmp_eq_f64_e32 vcc_lo, 0x7ff00000, v[30:31]
	s_delay_alu instid0(VALU_DEP_2) | instskip(SKIP_1) | instid1(VALU_DEP_1)
	v_lshlrev_b16 v15, 8, v15
	v_cndmask_b32_e64 v16, 0, 1, vcc_lo
	v_or_b32_e32 v8, v16, v15
	v_or_b32_e32 v5, v10, v9
	v_and_b32_e32 v9, 0xffff, v3
	s_delay_alu instid0(VALU_DEP_3) | instskip(NEXT) | instid1(VALU_DEP_3)
	v_dual_lshlrev_b32 v8, 16, v8 :: v_dual_bitop2_b32 v3, v1, v2 bitop3:0x54
	v_and_b32_e32 v5, 0xffff, v5
	s_delay_alu instid0(VALU_DEP_3) | instskip(NEXT) | instid1(VALU_DEP_3)
	v_or_b32_e32 v2, v9, v4
	v_or_b32_e32 v4, v7, v8
	s_delay_alu instid0(VALU_DEP_3)
	v_or_b32_e32 v5, v5, v6
	global_store_b128 v0, v[2:5], s[8:9] scale_offset
.LBB32_2:
	s_and_not1_b32 vcc_lo, exec_lo, s0
	s_cbranch_vccnz .LBB32_50
; %bb.3:
	v_cmp_gt_i32_e32 vcc_lo, s1, v0
	s_wait_xcnt 0x0
	v_dual_mov_b32 v3, v0 :: v_dual_bitop2_b32 v1, s2, v0 bitop3:0x54
	v_or_b32_e32 v2, 0x100, v0
	s_mov_b32 s3, 0
	s_mov_b32 s9, 0
	s_and_saveexec_b32 s8, vcc_lo
	s_cbranch_execz .LBB32_5
; %bb.4:
	global_load_b64 v[4:5], v1, s[6:7] scale_offset
	v_or_b32_e32 v3, 0x100, v0
	s_wait_loadcnt 0x0
	v_cmp_eq_f64_e64 s0, 0x7ff00000, v[4:5]
	s_and_b32 s9, s0, exec_lo
.LBB32_5:
	s_wait_xcnt 0x0
	s_or_b32 exec_lo, exec_lo, s8
	s_delay_alu instid0(SALU_CYCLE_1)
	s_mov_b32 s8, exec_lo
	v_cmpx_gt_i32_e64 s1, v3
	s_cbranch_execz .LBB32_7
; %bb.6:
	v_add_nc_u32_e32 v4, s2, v3
	v_add_nc_u32_e32 v3, 0x100, v3
	global_load_b64 v[4:5], v4, s[6:7] scale_offset
	s_wait_loadcnt 0x0
	v_cmp_eq_f64_e64 s0, 0x7ff00000, v[4:5]
	s_and_b32 s3, s0, exec_lo
.LBB32_7:
	s_wait_xcnt 0x0
	s_or_b32 exec_lo, exec_lo, s8
	s_mov_b32 s8, 0
	s_mov_b32 s11, 0
	s_mov_b32 s10, exec_lo
	v_cmpx_gt_i32_e64 s1, v3
	s_cbranch_execz .LBB32_9
; %bb.8:
	v_add_nc_u32_e32 v4, s2, v3
	v_add_nc_u32_e32 v3, 0x100, v3
	global_load_b64 v[4:5], v4, s[6:7] scale_offset
	s_wait_loadcnt 0x0
	v_cmp_eq_f64_e64 s0, 0x7ff00000, v[4:5]
	s_and_b32 s11, s0, exec_lo
.LBB32_9:
	s_wait_xcnt 0x0
	s_or_b32 exec_lo, exec_lo, s10
	s_delay_alu instid0(SALU_CYCLE_1)
	s_mov_b32 s10, exec_lo
	v_cmpx_gt_i32_e64 s1, v3
	s_cbranch_execz .LBB32_11
; %bb.10:
	v_add_nc_u32_e32 v4, s2, v3
	v_add_nc_u32_e32 v3, 0x100, v3
	global_load_b64 v[4:5], v4, s[6:7] scale_offset
	s_wait_loadcnt 0x0
	v_cmp_eq_f64_e64 s0, 0x7ff00000, v[4:5]
	s_and_b32 s8, s0, exec_lo
.LBB32_11:
	s_wait_xcnt 0x0
	s_or_b32 exec_lo, exec_lo, s10
	s_mov_b32 s10, 0
	s_mov_b32 s13, 0
	s_mov_b32 s12, exec_lo
	v_cmpx_gt_i32_e64 s1, v3
	s_cbranch_execz .LBB32_13
; %bb.12:
	v_add_nc_u32_e32 v4, s2, v3
	v_add_nc_u32_e32 v3, 0x100, v3
	global_load_b64 v[4:5], v4, s[6:7] scale_offset
	s_wait_loadcnt 0x0
	v_cmp_eq_f64_e64 s0, 0x7ff00000, v[4:5]
	s_and_b32 s13, s0, exec_lo
.LBB32_13:
	;; [unrolled: 29-line block ×6, first 2 shown]
	s_wait_xcnt 0x0
	s_or_b32 exec_lo, exec_lo, s20
	s_delay_alu instid0(SALU_CYCLE_1)
	s_mov_b32 s20, exec_lo
	v_cmpx_gt_i32_e64 s1, v3
	s_cbranch_execz .LBB32_31
; %bb.30:
	v_add_nc_u32_e32 v4, s2, v3
	v_add_nc_u32_e32 v3, 0x100, v3
	global_load_b64 v[4:5], v4, s[6:7] scale_offset
	s_wait_loadcnt 0x0
	v_cmp_eq_f64_e64 s0, 0x7ff00000, v[4:5]
	s_and_b32 s18, s0, exec_lo
.LBB32_31:
	s_wait_xcnt 0x0
	s_or_b32 exec_lo, exec_lo, s20
	s_mov_b32 s20, 0
	s_mov_b32 s22, 0
	s_mov_b32 s23, exec_lo
	v_cmpx_gt_i32_e64 s1, v3
	s_cbranch_execnz .LBB32_51
; %bb.32:
	s_or_b32 exec_lo, exec_lo, s23
	s_delay_alu instid0(SALU_CYCLE_1)
	s_mov_b32 s23, exec_lo
	v_cmpx_gt_i32_e64 s1, v3
	s_cbranch_execnz .LBB32_52
.LBB32_33:
	s_or_b32 exec_lo, exec_lo, s23
	s_and_saveexec_b32 s0, vcc_lo
	s_cbranch_execnz .LBB32_53
.LBB32_34:
	s_or_b32 exec_lo, exec_lo, s0
	s_delay_alu instid0(SALU_CYCLE_1)
	s_mov_b32 s0, exec_lo
	v_cmpx_gt_i32_e64 s1, v0
	s_cbranch_execnz .LBB32_54
.LBB32_35:
	s_or_b32 exec_lo, exec_lo, s0
	s_delay_alu instid0(SALU_CYCLE_1)
	s_mov_b32 s0, exec_lo
	v_cmpx_gt_i32_e64 s1, v0
	s_cbranch_execnz .LBB32_55
.LBB32_36:
	s_or_b32 exec_lo, exec_lo, s0
	s_delay_alu instid0(SALU_CYCLE_1)
	s_mov_b32 s0, exec_lo
	v_cmpx_gt_i32_e64 s1, v0
	s_cbranch_execnz .LBB32_56
.LBB32_37:
	s_or_b32 exec_lo, exec_lo, s0
	s_delay_alu instid0(SALU_CYCLE_1)
	s_mov_b32 s0, exec_lo
	v_cmpx_gt_i32_e64 s1, v0
	s_cbranch_execnz .LBB32_57
.LBB32_38:
	s_or_b32 exec_lo, exec_lo, s0
	s_delay_alu instid0(SALU_CYCLE_1)
	s_mov_b32 s0, exec_lo
	v_cmpx_gt_i32_e64 s1, v0
	s_cbranch_execnz .LBB32_58
.LBB32_39:
	s_or_b32 exec_lo, exec_lo, s0
	s_delay_alu instid0(SALU_CYCLE_1)
	s_mov_b32 s0, exec_lo
	v_cmpx_gt_i32_e64 s1, v0
	s_cbranch_execnz .LBB32_59
.LBB32_40:
	s_or_b32 exec_lo, exec_lo, s0
	s_delay_alu instid0(SALU_CYCLE_1)
	s_mov_b32 s0, exec_lo
	v_cmpx_gt_i32_e64 s1, v0
	s_cbranch_execnz .LBB32_60
.LBB32_41:
	s_or_b32 exec_lo, exec_lo, s0
	s_delay_alu instid0(SALU_CYCLE_1)
	s_mov_b32 s0, exec_lo
	v_cmpx_gt_i32_e64 s1, v0
	s_cbranch_execnz .LBB32_61
.LBB32_42:
	s_or_b32 exec_lo, exec_lo, s0
	s_delay_alu instid0(SALU_CYCLE_1)
	s_mov_b32 s0, exec_lo
	v_cmpx_gt_i32_e64 s1, v0
	s_cbranch_execnz .LBB32_62
.LBB32_43:
	s_or_b32 exec_lo, exec_lo, s0
	s_delay_alu instid0(SALU_CYCLE_1)
	s_mov_b32 s0, exec_lo
	v_cmpx_gt_i32_e64 s1, v0
	s_cbranch_execnz .LBB32_63
.LBB32_44:
	s_or_b32 exec_lo, exec_lo, s0
	s_delay_alu instid0(SALU_CYCLE_1)
	s_mov_b32 s0, exec_lo
	v_cmpx_gt_i32_e64 s1, v0
	s_cbranch_execnz .LBB32_64
.LBB32_45:
	s_or_b32 exec_lo, exec_lo, s0
	s_delay_alu instid0(SALU_CYCLE_1)
	s_mov_b32 s0, exec_lo
	v_cmpx_gt_i32_e64 s1, v0
	s_cbranch_execnz .LBB32_65
.LBB32_46:
	s_or_b32 exec_lo, exec_lo, s0
	s_delay_alu instid0(SALU_CYCLE_1)
	s_mov_b32 s0, exec_lo
	v_cmpx_gt_i32_e64 s1, v0
	s_cbranch_execnz .LBB32_66
.LBB32_47:
	s_or_b32 exec_lo, exec_lo, s0
	s_delay_alu instid0(SALU_CYCLE_1)
	s_mov_b32 s0, exec_lo
	v_cmpx_gt_i32_e64 s1, v0
	s_cbranch_execnz .LBB32_67
.LBB32_48:
	s_or_b32 exec_lo, exec_lo, s0
	s_delay_alu instid0(SALU_CYCLE_1)
	s_mov_b32 s0, exec_lo
	v_cmpx_gt_i32_e64 s1, v0
	s_cbranch_execz .LBB32_50
.LBB32_49:
	v_cndmask_b32_e64 v1, 0, 1, s20
	v_add_nc_u32_e32 v0, s2, v0
	global_store_b8 v0, v1, s[4:5]
.LBB32_50:
	s_endpgm
.LBB32_51:
	v_add_nc_u32_e32 v4, s2, v3
	v_add_nc_u32_e32 v3, 0x100, v3
	global_load_b64 v[4:5], v4, s[6:7] scale_offset
	s_wait_loadcnt 0x0
	v_cmp_eq_f64_e64 s0, 0x7ff00000, v[4:5]
	s_and_b32 s22, s0, exec_lo
	s_wait_xcnt 0x0
	s_or_b32 exec_lo, exec_lo, s23
	s_delay_alu instid0(SALU_CYCLE_1)
	s_mov_b32 s23, exec_lo
	v_cmpx_gt_i32_e64 s1, v3
	s_cbranch_execz .LBB32_33
.LBB32_52:
	v_add_nc_u32_e32 v3, s2, v3
	global_load_b64 v[4:5], v3, s[6:7] scale_offset
	s_wait_loadcnt 0x0
	v_cmp_eq_f64_e64 s0, 0x7ff00000, v[4:5]
	s_and_b32 s20, s0, exec_lo
	s_wait_xcnt 0x0
	s_or_b32 exec_lo, exec_lo, s23
	s_and_saveexec_b32 s0, vcc_lo
	s_cbranch_execz .LBB32_34
.LBB32_53:
	v_cndmask_b32_e64 v3, 0, 1, s9
	v_mov_b32_e32 v0, v2
	global_store_b8 v1, v3, s[4:5]
	s_wait_xcnt 0x0
	s_or_b32 exec_lo, exec_lo, s0
	s_delay_alu instid0(SALU_CYCLE_1)
	s_mov_b32 s0, exec_lo
	v_cmpx_gt_i32_e64 s1, v0
	s_cbranch_execz .LBB32_35
.LBB32_54:
	v_cndmask_b32_e64 v1, 0, 1, s3
	v_add_nc_u32_e32 v2, s2, v0
	v_add_nc_u32_e32 v0, 0x100, v0
	global_store_b8 v2, v1, s[4:5]
	s_wait_xcnt 0x0
	s_or_b32 exec_lo, exec_lo, s0
	s_delay_alu instid0(SALU_CYCLE_1)
	s_mov_b32 s0, exec_lo
	v_cmpx_gt_i32_e64 s1, v0
	s_cbranch_execz .LBB32_36
.LBB32_55:
	v_cndmask_b32_e64 v1, 0, 1, s11
	v_add_nc_u32_e32 v2, s2, v0
	v_add_nc_u32_e32 v0, 0x100, v0
	global_store_b8 v2, v1, s[4:5]
	s_wait_xcnt 0x0
	s_or_b32 exec_lo, exec_lo, s0
	s_delay_alu instid0(SALU_CYCLE_1)
	s_mov_b32 s0, exec_lo
	v_cmpx_gt_i32_e64 s1, v0
	s_cbranch_execz .LBB32_37
.LBB32_56:
	v_cndmask_b32_e64 v1, 0, 1, s8
	v_add_nc_u32_e32 v2, s2, v0
	v_add_nc_u32_e32 v0, 0x100, v0
	global_store_b8 v2, v1, s[4:5]
	s_wait_xcnt 0x0
	s_or_b32 exec_lo, exec_lo, s0
	s_delay_alu instid0(SALU_CYCLE_1)
	s_mov_b32 s0, exec_lo
	v_cmpx_gt_i32_e64 s1, v0
	s_cbranch_execz .LBB32_38
.LBB32_57:
	v_cndmask_b32_e64 v1, 0, 1, s13
	v_add_nc_u32_e32 v2, s2, v0
	v_add_nc_u32_e32 v0, 0x100, v0
	global_store_b8 v2, v1, s[4:5]
	s_wait_xcnt 0x0
	s_or_b32 exec_lo, exec_lo, s0
	s_delay_alu instid0(SALU_CYCLE_1)
	s_mov_b32 s0, exec_lo
	v_cmpx_gt_i32_e64 s1, v0
	s_cbranch_execz .LBB32_39
.LBB32_58:
	v_cndmask_b32_e64 v1, 0, 1, s10
	v_add_nc_u32_e32 v2, s2, v0
	v_add_nc_u32_e32 v0, 0x100, v0
	global_store_b8 v2, v1, s[4:5]
	s_wait_xcnt 0x0
	s_or_b32 exec_lo, exec_lo, s0
	s_delay_alu instid0(SALU_CYCLE_1)
	s_mov_b32 s0, exec_lo
	v_cmpx_gt_i32_e64 s1, v0
	s_cbranch_execz .LBB32_40
.LBB32_59:
	v_cndmask_b32_e64 v1, 0, 1, s15
	v_add_nc_u32_e32 v2, s2, v0
	v_add_nc_u32_e32 v0, 0x100, v0
	global_store_b8 v2, v1, s[4:5]
	s_wait_xcnt 0x0
	s_or_b32 exec_lo, exec_lo, s0
	s_delay_alu instid0(SALU_CYCLE_1)
	s_mov_b32 s0, exec_lo
	v_cmpx_gt_i32_e64 s1, v0
	s_cbranch_execz .LBB32_41
.LBB32_60:
	v_cndmask_b32_e64 v1, 0, 1, s12
	v_add_nc_u32_e32 v2, s2, v0
	v_add_nc_u32_e32 v0, 0x100, v0
	global_store_b8 v2, v1, s[4:5]
	s_wait_xcnt 0x0
	s_or_b32 exec_lo, exec_lo, s0
	s_delay_alu instid0(SALU_CYCLE_1)
	s_mov_b32 s0, exec_lo
	v_cmpx_gt_i32_e64 s1, v0
	s_cbranch_execz .LBB32_42
.LBB32_61:
	v_cndmask_b32_e64 v1, 0, 1, s17
	v_add_nc_u32_e32 v2, s2, v0
	v_add_nc_u32_e32 v0, 0x100, v0
	global_store_b8 v2, v1, s[4:5]
	s_wait_xcnt 0x0
	s_or_b32 exec_lo, exec_lo, s0
	s_delay_alu instid0(SALU_CYCLE_1)
	s_mov_b32 s0, exec_lo
	v_cmpx_gt_i32_e64 s1, v0
	s_cbranch_execz .LBB32_43
.LBB32_62:
	v_cndmask_b32_e64 v1, 0, 1, s14
	v_add_nc_u32_e32 v2, s2, v0
	v_add_nc_u32_e32 v0, 0x100, v0
	global_store_b8 v2, v1, s[4:5]
	s_wait_xcnt 0x0
	s_or_b32 exec_lo, exec_lo, s0
	s_delay_alu instid0(SALU_CYCLE_1)
	s_mov_b32 s0, exec_lo
	v_cmpx_gt_i32_e64 s1, v0
	s_cbranch_execz .LBB32_44
.LBB32_63:
	v_cndmask_b32_e64 v1, 0, 1, s19
	v_add_nc_u32_e32 v2, s2, v0
	v_add_nc_u32_e32 v0, 0x100, v0
	global_store_b8 v2, v1, s[4:5]
	s_wait_xcnt 0x0
	s_or_b32 exec_lo, exec_lo, s0
	s_delay_alu instid0(SALU_CYCLE_1)
	s_mov_b32 s0, exec_lo
	v_cmpx_gt_i32_e64 s1, v0
	s_cbranch_execz .LBB32_45
.LBB32_64:
	v_cndmask_b32_e64 v1, 0, 1, s16
	v_add_nc_u32_e32 v2, s2, v0
	v_add_nc_u32_e32 v0, 0x100, v0
	global_store_b8 v2, v1, s[4:5]
	s_wait_xcnt 0x0
	s_or_b32 exec_lo, exec_lo, s0
	s_delay_alu instid0(SALU_CYCLE_1)
	s_mov_b32 s0, exec_lo
	v_cmpx_gt_i32_e64 s1, v0
	s_cbranch_execz .LBB32_46
.LBB32_65:
	v_cndmask_b32_e64 v1, 0, 1, s21
	v_add_nc_u32_e32 v2, s2, v0
	v_add_nc_u32_e32 v0, 0x100, v0
	global_store_b8 v2, v1, s[4:5]
	s_wait_xcnt 0x0
	s_or_b32 exec_lo, exec_lo, s0
	s_delay_alu instid0(SALU_CYCLE_1)
	s_mov_b32 s0, exec_lo
	v_cmpx_gt_i32_e64 s1, v0
	s_cbranch_execz .LBB32_47
.LBB32_66:
	v_cndmask_b32_e64 v1, 0, 1, s18
	v_add_nc_u32_e32 v2, s2, v0
	v_add_nc_u32_e32 v0, 0x100, v0
	global_store_b8 v2, v1, s[4:5]
	s_wait_xcnt 0x0
	s_or_b32 exec_lo, exec_lo, s0
	s_delay_alu instid0(SALU_CYCLE_1)
	s_mov_b32 s0, exec_lo
	v_cmpx_gt_i32_e64 s1, v0
	s_cbranch_execz .LBB32_48
.LBB32_67:
	v_cndmask_b32_e64 v1, 0, 1, s22
	v_add_nc_u32_e32 v2, s2, v0
	v_add_nc_u32_e32 v0, 0x100, v0
	global_store_b8 v2, v1, s[4:5]
	s_wait_xcnt 0x0
	s_or_b32 exec_lo, exec_lo, s0
	s_delay_alu instid0(SALU_CYCLE_1)
	s_mov_b32 s0, exec_lo
	v_cmpx_gt_i32_e64 s1, v0
	s_cbranch_execnz .LBB32_49
	s_branch .LBB32_50
	.section	.rodata,"a",@progbits
	.p2align	6, 0x0
	.amdhsa_kernel _ZN2at6native29vectorized_elementwise_kernelILi16EZZZNS0_12_GLOBAL__N_120isposinf_kernel_implERNS_18TensorIteratorBaseEENKUlvE_clEvENKUlvE_clEvEUldE_St5arrayIPcLm2EEEEviT0_T1_
		.amdhsa_group_segment_fixed_size 0
		.amdhsa_private_segment_fixed_size 0
		.amdhsa_kernarg_size 24
		.amdhsa_user_sgpr_count 2
		.amdhsa_user_sgpr_dispatch_ptr 0
		.amdhsa_user_sgpr_queue_ptr 0
		.amdhsa_user_sgpr_kernarg_segment_ptr 1
		.amdhsa_user_sgpr_dispatch_id 0
		.amdhsa_user_sgpr_kernarg_preload_length 0
		.amdhsa_user_sgpr_kernarg_preload_offset 0
		.amdhsa_user_sgpr_private_segment_size 0
		.amdhsa_wavefront_size32 1
		.amdhsa_uses_dynamic_stack 0
		.amdhsa_enable_private_segment 0
		.amdhsa_system_sgpr_workgroup_id_x 1
		.amdhsa_system_sgpr_workgroup_id_y 0
		.amdhsa_system_sgpr_workgroup_id_z 0
		.amdhsa_system_sgpr_workgroup_info 0
		.amdhsa_system_vgpr_workitem_id 0
		.amdhsa_next_free_vgpr 34
		.amdhsa_next_free_sgpr 24
		.amdhsa_named_barrier_count 0
		.amdhsa_reserve_vcc 1
		.amdhsa_float_round_mode_32 0
		.amdhsa_float_round_mode_16_64 0
		.amdhsa_float_denorm_mode_32 3
		.amdhsa_float_denorm_mode_16_64 3
		.amdhsa_fp16_overflow 0
		.amdhsa_memory_ordered 1
		.amdhsa_forward_progress 1
		.amdhsa_inst_pref_size 26
		.amdhsa_round_robin_scheduling 0
		.amdhsa_exception_fp_ieee_invalid_op 0
		.amdhsa_exception_fp_denorm_src 0
		.amdhsa_exception_fp_ieee_div_zero 0
		.amdhsa_exception_fp_ieee_overflow 0
		.amdhsa_exception_fp_ieee_underflow 0
		.amdhsa_exception_fp_ieee_inexact 0
		.amdhsa_exception_int_div_zero 0
	.end_amdhsa_kernel
	.section	.text._ZN2at6native29vectorized_elementwise_kernelILi16EZZZNS0_12_GLOBAL__N_120isposinf_kernel_implERNS_18TensorIteratorBaseEENKUlvE_clEvENKUlvE_clEvEUldE_St5arrayIPcLm2EEEEviT0_T1_,"axG",@progbits,_ZN2at6native29vectorized_elementwise_kernelILi16EZZZNS0_12_GLOBAL__N_120isposinf_kernel_implERNS_18TensorIteratorBaseEENKUlvE_clEvENKUlvE_clEvEUldE_St5arrayIPcLm2EEEEviT0_T1_,comdat
.Lfunc_end32:
	.size	_ZN2at6native29vectorized_elementwise_kernelILi16EZZZNS0_12_GLOBAL__N_120isposinf_kernel_implERNS_18TensorIteratorBaseEENKUlvE_clEvENKUlvE_clEvEUldE_St5arrayIPcLm2EEEEviT0_T1_, .Lfunc_end32-_ZN2at6native29vectorized_elementwise_kernelILi16EZZZNS0_12_GLOBAL__N_120isposinf_kernel_implERNS_18TensorIteratorBaseEENKUlvE_clEvENKUlvE_clEvEUldE_St5arrayIPcLm2EEEEviT0_T1_
                                        ; -- End function
	.set _ZN2at6native29vectorized_elementwise_kernelILi16EZZZNS0_12_GLOBAL__N_120isposinf_kernel_implERNS_18TensorIteratorBaseEENKUlvE_clEvENKUlvE_clEvEUldE_St5arrayIPcLm2EEEEviT0_T1_.num_vgpr, 34
	.set _ZN2at6native29vectorized_elementwise_kernelILi16EZZZNS0_12_GLOBAL__N_120isposinf_kernel_implERNS_18TensorIteratorBaseEENKUlvE_clEvENKUlvE_clEvEUldE_St5arrayIPcLm2EEEEviT0_T1_.num_agpr, 0
	.set _ZN2at6native29vectorized_elementwise_kernelILi16EZZZNS0_12_GLOBAL__N_120isposinf_kernel_implERNS_18TensorIteratorBaseEENKUlvE_clEvENKUlvE_clEvEUldE_St5arrayIPcLm2EEEEviT0_T1_.numbered_sgpr, 24
	.set _ZN2at6native29vectorized_elementwise_kernelILi16EZZZNS0_12_GLOBAL__N_120isposinf_kernel_implERNS_18TensorIteratorBaseEENKUlvE_clEvENKUlvE_clEvEUldE_St5arrayIPcLm2EEEEviT0_T1_.num_named_barrier, 0
	.set _ZN2at6native29vectorized_elementwise_kernelILi16EZZZNS0_12_GLOBAL__N_120isposinf_kernel_implERNS_18TensorIteratorBaseEENKUlvE_clEvENKUlvE_clEvEUldE_St5arrayIPcLm2EEEEviT0_T1_.private_seg_size, 0
	.set _ZN2at6native29vectorized_elementwise_kernelILi16EZZZNS0_12_GLOBAL__N_120isposinf_kernel_implERNS_18TensorIteratorBaseEENKUlvE_clEvENKUlvE_clEvEUldE_St5arrayIPcLm2EEEEviT0_T1_.uses_vcc, 1
	.set _ZN2at6native29vectorized_elementwise_kernelILi16EZZZNS0_12_GLOBAL__N_120isposinf_kernel_implERNS_18TensorIteratorBaseEENKUlvE_clEvENKUlvE_clEvEUldE_St5arrayIPcLm2EEEEviT0_T1_.uses_flat_scratch, 0
	.set _ZN2at6native29vectorized_elementwise_kernelILi16EZZZNS0_12_GLOBAL__N_120isposinf_kernel_implERNS_18TensorIteratorBaseEENKUlvE_clEvENKUlvE_clEvEUldE_St5arrayIPcLm2EEEEviT0_T1_.has_dyn_sized_stack, 0
	.set _ZN2at6native29vectorized_elementwise_kernelILi16EZZZNS0_12_GLOBAL__N_120isposinf_kernel_implERNS_18TensorIteratorBaseEENKUlvE_clEvENKUlvE_clEvEUldE_St5arrayIPcLm2EEEEviT0_T1_.has_recursion, 0
	.set _ZN2at6native29vectorized_elementwise_kernelILi16EZZZNS0_12_GLOBAL__N_120isposinf_kernel_implERNS_18TensorIteratorBaseEENKUlvE_clEvENKUlvE_clEvEUldE_St5arrayIPcLm2EEEEviT0_T1_.has_indirect_call, 0
	.section	.AMDGPU.csdata,"",@progbits
; Kernel info:
; codeLenInByte = 3268
; TotalNumSgprs: 26
; NumVgprs: 34
; ScratchSize: 0
; MemoryBound: 1
; FloatMode: 240
; IeeeMode: 1
; LDSByteSize: 0 bytes/workgroup (compile time only)
; SGPRBlocks: 0
; VGPRBlocks: 2
; NumSGPRsForWavesPerEU: 26
; NumVGPRsForWavesPerEU: 34
; NamedBarCnt: 0
; Occupancy: 16
; WaveLimiterHint : 0
; COMPUTE_PGM_RSRC2:SCRATCH_EN: 0
; COMPUTE_PGM_RSRC2:USER_SGPR: 2
; COMPUTE_PGM_RSRC2:TRAP_HANDLER: 0
; COMPUTE_PGM_RSRC2:TGID_X_EN: 1
; COMPUTE_PGM_RSRC2:TGID_Y_EN: 0
; COMPUTE_PGM_RSRC2:TGID_Z_EN: 0
; COMPUTE_PGM_RSRC2:TIDIG_COMP_CNT: 0
	.section	.text._ZN2at6native29vectorized_elementwise_kernelILi8EZZZNS0_12_GLOBAL__N_120isposinf_kernel_implERNS_18TensorIteratorBaseEENKUlvE_clEvENKUlvE_clEvEUldE_St5arrayIPcLm2EEEEviT0_T1_,"axG",@progbits,_ZN2at6native29vectorized_elementwise_kernelILi8EZZZNS0_12_GLOBAL__N_120isposinf_kernel_implERNS_18TensorIteratorBaseEENKUlvE_clEvENKUlvE_clEvEUldE_St5arrayIPcLm2EEEEviT0_T1_,comdat
	.globl	_ZN2at6native29vectorized_elementwise_kernelILi8EZZZNS0_12_GLOBAL__N_120isposinf_kernel_implERNS_18TensorIteratorBaseEENKUlvE_clEvENKUlvE_clEvEUldE_St5arrayIPcLm2EEEEviT0_T1_ ; -- Begin function _ZN2at6native29vectorized_elementwise_kernelILi8EZZZNS0_12_GLOBAL__N_120isposinf_kernel_implERNS_18TensorIteratorBaseEENKUlvE_clEvENKUlvE_clEvEUldE_St5arrayIPcLm2EEEEviT0_T1_
	.p2align	8
	.type	_ZN2at6native29vectorized_elementwise_kernelILi8EZZZNS0_12_GLOBAL__N_120isposinf_kernel_implERNS_18TensorIteratorBaseEENKUlvE_clEvENKUlvE_clEvEUldE_St5arrayIPcLm2EEEEviT0_T1_,@function
_ZN2at6native29vectorized_elementwise_kernelILi8EZZZNS0_12_GLOBAL__N_120isposinf_kernel_implERNS_18TensorIteratorBaseEENKUlvE_clEvENKUlvE_clEvEUldE_St5arrayIPcLm2EEEEviT0_T1_: ; @_ZN2at6native29vectorized_elementwise_kernelILi8EZZZNS0_12_GLOBAL__N_120isposinf_kernel_implERNS_18TensorIteratorBaseEENKUlvE_clEvENKUlvE_clEvEUldE_St5arrayIPcLm2EEEEviT0_T1_
; %bb.0:
	s_clause 0x1
	s_load_b32 s3, s[0:1], 0x0
	s_load_b128 s[4:7], s[0:1], 0x8
	s_wait_xcnt 0x0
	s_bfe_u32 s0, ttmp6, 0x4000c
	s_and_b32 s1, ttmp6, 15
	s_add_co_i32 s0, s0, 1
	s_getreg_b32 s2, hwreg(HW_REG_IB_STS2, 6, 4)
	s_mul_i32 s0, ttmp9, s0
	s_delay_alu instid0(SALU_CYCLE_1) | instskip(SKIP_2) | instid1(SALU_CYCLE_1)
	s_add_co_i32 s1, s1, s0
	s_cmp_eq_u32 s2, 0
	s_cselect_b32 s0, ttmp9, s1
	s_lshl_b32 s2, s0, 12
	s_mov_b32 s0, -1
	s_wait_kmcnt 0x0
	s_sub_co_i32 s1, s3, s2
	s_delay_alu instid0(SALU_CYCLE_1)
	s_cmp_gt_i32 s1, 0xfff
	s_cbranch_scc0 .LBB33_2
; %bb.1:
	s_ashr_i32 s3, s2, 31
	v_lshlrev_b32_e32 v1, 6, v0
	s_lshl_b64 s[8:9], s[2:3], 3
	s_mov_b32 s0, 0
	s_add_nc_u64 s[8:9], s[6:7], s[8:9]
	s_clause 0x7
	global_load_b128 v[2:5], v1, s[8:9]
	global_load_b128 v[6:9], v1, s[8:9] offset:16
	global_load_b128 v[10:13], v1, s[8:9] offset:32
	;; [unrolled: 1-line block ×7, first 2 shown]
	s_wait_xcnt 0x0
	v_or3_b32 v1, 0, 0, 0
	s_add_nc_u64 s[8:9], s[4:5], s[2:3]
	s_wait_loadcnt 0x7
	v_cmp_eq_f64_e32 vcc_lo, 0x7ff00000, v[2:3]
	v_cndmask_b32_e64 v2, 0, 1, vcc_lo
	v_cmp_eq_f64_e32 vcc_lo, 0x7ff00000, v[4:5]
	v_cndmask_b32_e64 v3, 0, 0x100, vcc_lo
	s_wait_loadcnt 0x6
	v_cmp_eq_f64_e32 vcc_lo, 0x7ff00000, v[6:7]
	s_delay_alu instid0(VALU_DEP_2)
	v_or_b32_e32 v2, v3, v2
	v_cndmask_b32_e64 v4, 0, 0x10000, vcc_lo
	v_cmp_eq_f64_e32 vcc_lo, 0x7ff00000, v[8:9]
	v_cndmask_b32_e64 v5, 0, 0x1000000, vcc_lo
	s_wait_loadcnt 0x5
	v_cmp_eq_f64_e32 vcc_lo, 0x7ff00000, v[10:11]
	s_delay_alu instid0(VALU_DEP_2) | instskip(NEXT) | instid1(VALU_DEP_1)
	v_or3_b32 v2, v2, v4, v5
	v_or3_b32 v2, v2, 0, 0
	s_delay_alu instid0(VALU_DEP_1)
	v_or3_b32 v2, v2, 0, 0
	v_cndmask_b32_e64 v6, 0, 1, vcc_lo
	v_cmp_eq_f64_e32 vcc_lo, 0x7ff00000, v[12:13]
	v_cndmask_b32_e64 v7, 0, 0x100, vcc_lo
	s_wait_loadcnt 0x4
	v_cmp_eq_f64_e32 vcc_lo, 0x7ff00000, v[14:15]
	s_delay_alu instid0(VALU_DEP_2)
	v_or3_b32 v5, v1, v6, v7
	v_cndmask_b32_e64 v8, 0, 0x10000, vcc_lo
	v_cmp_eq_f64_e32 vcc_lo, 0x7ff00000, v[16:17]
	v_cndmask_b32_e64 v9, 0, 0x1000000, vcc_lo
	s_wait_loadcnt 0x3
	v_cmp_eq_f64_e32 vcc_lo, 0x7ff00000, v[18:19]
	v_cndmask_b32_e64 v10, 0, 1, vcc_lo
	v_cmp_eq_f64_e32 vcc_lo, 0x7ff00000, v[20:21]
	v_cndmask_b32_e64 v11, 0, 0x100, vcc_lo
	s_wait_loadcnt 0x2
	v_cmp_eq_f64_e32 vcc_lo, 0x7ff00000, v[22:23]
	s_delay_alu instid0(VALU_DEP_2)
	v_or_b32_e32 v3, v11, v10
	v_cndmask_b32_e64 v12, 0, 0x10000, vcc_lo
	v_cmp_eq_f64_e32 vcc_lo, 0x7ff00000, v[24:25]
	v_cndmask_b32_e64 v13, 0, 0x1000000, vcc_lo
	s_wait_loadcnt 0x1
	v_cmp_eq_f64_e32 vcc_lo, 0x7ff00000, v[26:27]
	s_delay_alu instid0(VALU_DEP_2) | instskip(NEXT) | instid1(VALU_DEP_1)
	v_or3_b32 v3, v3, v12, v13
	v_or3_b32 v6, v3, 0, 0
	;; [unrolled: 1-line block ×3, first 2 shown]
	v_cndmask_b32_e64 v14, 0, 1, vcc_lo
	v_cmp_eq_f64_e32 vcc_lo, 0x7ff00000, v[28:29]
	v_cndmask_b32_e64 v10, 0, 0x100, vcc_lo
	s_wait_loadcnt 0x0
	v_cmp_eq_f64_e32 vcc_lo, 0x7ff00000, v[30:31]
	s_delay_alu instid0(VALU_DEP_2) | instskip(SKIP_3) | instid1(VALU_DEP_1)
	v_or3_b32 v1, v1, v14, v10
	v_cndmask_b32_e64 v11, 0, 0x10000, vcc_lo
	v_cmp_eq_f64_e32 vcc_lo, 0x7ff00000, v[32:33]
	v_cndmask_b32_e64 v4, 0, 0x1000000, vcc_lo
	v_or3_b32 v5, v1, v11, v4
	v_or3_b32 v4, v6, 0, 0
	s_clause 0x1
	global_store_b64 v0, v[2:3], s[8:9] scale_offset
	global_store_b64 v0, v[4:5], s[8:9] offset:2048 scale_offset
.LBB33_2:
	s_and_not1_b32 vcc_lo, exec_lo, s0
	s_cbranch_vccnz .LBB33_50
; %bb.3:
	v_cmp_gt_i32_e32 vcc_lo, s1, v0
	s_wait_xcnt 0x1
	v_dual_mov_b32 v3, v0 :: v_dual_bitop2_b32 v1, s2, v0 bitop3:0x54
	v_or_b32_e32 v2, 0x100, v0
	s_mov_b32 s3, 0
	s_wait_xcnt 0x0
	s_mov_b32 s9, 0
	s_and_saveexec_b32 s8, vcc_lo
	s_cbranch_execz .LBB33_5
; %bb.4:
	global_load_b64 v[4:5], v1, s[6:7] scale_offset
	v_or_b32_e32 v3, 0x100, v0
	s_wait_loadcnt 0x0
	v_cmp_eq_f64_e64 s0, 0x7ff00000, v[4:5]
	s_and_b32 s9, s0, exec_lo
.LBB33_5:
	s_wait_xcnt 0x0
	s_or_b32 exec_lo, exec_lo, s8
	s_delay_alu instid0(SALU_CYCLE_1)
	s_mov_b32 s8, exec_lo
	v_cmpx_gt_i32_e64 s1, v3
	s_cbranch_execz .LBB33_7
; %bb.6:
	v_add_nc_u32_e32 v4, s2, v3
	v_add_nc_u32_e32 v3, 0x100, v3
	global_load_b64 v[4:5], v4, s[6:7] scale_offset
	s_wait_loadcnt 0x0
	v_cmp_eq_f64_e64 s0, 0x7ff00000, v[4:5]
	s_and_b32 s3, s0, exec_lo
.LBB33_7:
	s_wait_xcnt 0x0
	s_or_b32 exec_lo, exec_lo, s8
	s_mov_b32 s8, 0
	s_mov_b32 s11, 0
	s_mov_b32 s10, exec_lo
	v_cmpx_gt_i32_e64 s1, v3
	s_cbranch_execz .LBB33_9
; %bb.8:
	v_add_nc_u32_e32 v4, s2, v3
	v_add_nc_u32_e32 v3, 0x100, v3
	global_load_b64 v[4:5], v4, s[6:7] scale_offset
	s_wait_loadcnt 0x0
	v_cmp_eq_f64_e64 s0, 0x7ff00000, v[4:5]
	s_and_b32 s11, s0, exec_lo
.LBB33_9:
	s_wait_xcnt 0x0
	s_or_b32 exec_lo, exec_lo, s10
	s_delay_alu instid0(SALU_CYCLE_1)
	s_mov_b32 s10, exec_lo
	v_cmpx_gt_i32_e64 s1, v3
	s_cbranch_execz .LBB33_11
; %bb.10:
	v_add_nc_u32_e32 v4, s2, v3
	v_add_nc_u32_e32 v3, 0x100, v3
	global_load_b64 v[4:5], v4, s[6:7] scale_offset
	s_wait_loadcnt 0x0
	v_cmp_eq_f64_e64 s0, 0x7ff00000, v[4:5]
	s_and_b32 s8, s0, exec_lo
.LBB33_11:
	s_wait_xcnt 0x0
	s_or_b32 exec_lo, exec_lo, s10
	s_mov_b32 s10, 0
	s_mov_b32 s13, 0
	s_mov_b32 s12, exec_lo
	v_cmpx_gt_i32_e64 s1, v3
	s_cbranch_execz .LBB33_13
; %bb.12:
	v_add_nc_u32_e32 v4, s2, v3
	v_add_nc_u32_e32 v3, 0x100, v3
	global_load_b64 v[4:5], v4, s[6:7] scale_offset
	s_wait_loadcnt 0x0
	v_cmp_eq_f64_e64 s0, 0x7ff00000, v[4:5]
	s_and_b32 s13, s0, exec_lo
.LBB33_13:
	;; [unrolled: 29-line block ×6, first 2 shown]
	s_wait_xcnt 0x0
	s_or_b32 exec_lo, exec_lo, s20
	s_delay_alu instid0(SALU_CYCLE_1)
	s_mov_b32 s20, exec_lo
	v_cmpx_gt_i32_e64 s1, v3
	s_cbranch_execz .LBB33_31
; %bb.30:
	v_add_nc_u32_e32 v4, s2, v3
	v_add_nc_u32_e32 v3, 0x100, v3
	global_load_b64 v[4:5], v4, s[6:7] scale_offset
	s_wait_loadcnt 0x0
	v_cmp_eq_f64_e64 s0, 0x7ff00000, v[4:5]
	s_and_b32 s18, s0, exec_lo
.LBB33_31:
	s_wait_xcnt 0x0
	s_or_b32 exec_lo, exec_lo, s20
	s_mov_b32 s20, 0
	s_mov_b32 s22, 0
	s_mov_b32 s23, exec_lo
	v_cmpx_gt_i32_e64 s1, v3
	s_cbranch_execnz .LBB33_51
; %bb.32:
	s_or_b32 exec_lo, exec_lo, s23
	s_delay_alu instid0(SALU_CYCLE_1)
	s_mov_b32 s23, exec_lo
	v_cmpx_gt_i32_e64 s1, v3
	s_cbranch_execnz .LBB33_52
.LBB33_33:
	s_or_b32 exec_lo, exec_lo, s23
	s_and_saveexec_b32 s0, vcc_lo
	s_cbranch_execnz .LBB33_53
.LBB33_34:
	s_or_b32 exec_lo, exec_lo, s0
	s_delay_alu instid0(SALU_CYCLE_1)
	s_mov_b32 s0, exec_lo
	v_cmpx_gt_i32_e64 s1, v0
	s_cbranch_execnz .LBB33_54
.LBB33_35:
	s_or_b32 exec_lo, exec_lo, s0
	s_delay_alu instid0(SALU_CYCLE_1)
	s_mov_b32 s0, exec_lo
	v_cmpx_gt_i32_e64 s1, v0
	s_cbranch_execnz .LBB33_55
.LBB33_36:
	s_or_b32 exec_lo, exec_lo, s0
	s_delay_alu instid0(SALU_CYCLE_1)
	s_mov_b32 s0, exec_lo
	v_cmpx_gt_i32_e64 s1, v0
	s_cbranch_execnz .LBB33_56
.LBB33_37:
	s_or_b32 exec_lo, exec_lo, s0
	s_delay_alu instid0(SALU_CYCLE_1)
	s_mov_b32 s0, exec_lo
	v_cmpx_gt_i32_e64 s1, v0
	s_cbranch_execnz .LBB33_57
.LBB33_38:
	s_or_b32 exec_lo, exec_lo, s0
	s_delay_alu instid0(SALU_CYCLE_1)
	s_mov_b32 s0, exec_lo
	v_cmpx_gt_i32_e64 s1, v0
	s_cbranch_execnz .LBB33_58
.LBB33_39:
	s_or_b32 exec_lo, exec_lo, s0
	s_delay_alu instid0(SALU_CYCLE_1)
	s_mov_b32 s0, exec_lo
	v_cmpx_gt_i32_e64 s1, v0
	s_cbranch_execnz .LBB33_59
.LBB33_40:
	s_or_b32 exec_lo, exec_lo, s0
	s_delay_alu instid0(SALU_CYCLE_1)
	s_mov_b32 s0, exec_lo
	v_cmpx_gt_i32_e64 s1, v0
	s_cbranch_execnz .LBB33_60
.LBB33_41:
	s_or_b32 exec_lo, exec_lo, s0
	s_delay_alu instid0(SALU_CYCLE_1)
	s_mov_b32 s0, exec_lo
	v_cmpx_gt_i32_e64 s1, v0
	s_cbranch_execnz .LBB33_61
.LBB33_42:
	s_or_b32 exec_lo, exec_lo, s0
	s_delay_alu instid0(SALU_CYCLE_1)
	s_mov_b32 s0, exec_lo
	v_cmpx_gt_i32_e64 s1, v0
	s_cbranch_execnz .LBB33_62
.LBB33_43:
	s_or_b32 exec_lo, exec_lo, s0
	s_delay_alu instid0(SALU_CYCLE_1)
	s_mov_b32 s0, exec_lo
	v_cmpx_gt_i32_e64 s1, v0
	s_cbranch_execnz .LBB33_63
.LBB33_44:
	s_or_b32 exec_lo, exec_lo, s0
	s_delay_alu instid0(SALU_CYCLE_1)
	s_mov_b32 s0, exec_lo
	v_cmpx_gt_i32_e64 s1, v0
	s_cbranch_execnz .LBB33_64
.LBB33_45:
	s_or_b32 exec_lo, exec_lo, s0
	s_delay_alu instid0(SALU_CYCLE_1)
	s_mov_b32 s0, exec_lo
	v_cmpx_gt_i32_e64 s1, v0
	s_cbranch_execnz .LBB33_65
.LBB33_46:
	s_or_b32 exec_lo, exec_lo, s0
	s_delay_alu instid0(SALU_CYCLE_1)
	s_mov_b32 s0, exec_lo
	v_cmpx_gt_i32_e64 s1, v0
	s_cbranch_execnz .LBB33_66
.LBB33_47:
	s_or_b32 exec_lo, exec_lo, s0
	s_delay_alu instid0(SALU_CYCLE_1)
	s_mov_b32 s0, exec_lo
	v_cmpx_gt_i32_e64 s1, v0
	s_cbranch_execnz .LBB33_67
.LBB33_48:
	s_or_b32 exec_lo, exec_lo, s0
	s_delay_alu instid0(SALU_CYCLE_1)
	s_mov_b32 s0, exec_lo
	v_cmpx_gt_i32_e64 s1, v0
	s_cbranch_execz .LBB33_50
.LBB33_49:
	v_cndmask_b32_e64 v1, 0, 1, s20
	v_add_nc_u32_e32 v0, s2, v0
	global_store_b8 v0, v1, s[4:5]
.LBB33_50:
	s_endpgm
.LBB33_51:
	v_add_nc_u32_e32 v4, s2, v3
	v_add_nc_u32_e32 v3, 0x100, v3
	global_load_b64 v[4:5], v4, s[6:7] scale_offset
	s_wait_loadcnt 0x0
	v_cmp_eq_f64_e64 s0, 0x7ff00000, v[4:5]
	s_and_b32 s22, s0, exec_lo
	s_wait_xcnt 0x0
	s_or_b32 exec_lo, exec_lo, s23
	s_delay_alu instid0(SALU_CYCLE_1)
	s_mov_b32 s23, exec_lo
	v_cmpx_gt_i32_e64 s1, v3
	s_cbranch_execz .LBB33_33
.LBB33_52:
	v_add_nc_u32_e32 v3, s2, v3
	global_load_b64 v[4:5], v3, s[6:7] scale_offset
	s_wait_loadcnt 0x0
	v_cmp_eq_f64_e64 s0, 0x7ff00000, v[4:5]
	s_and_b32 s20, s0, exec_lo
	s_wait_xcnt 0x0
	s_or_b32 exec_lo, exec_lo, s23
	s_and_saveexec_b32 s0, vcc_lo
	s_cbranch_execz .LBB33_34
.LBB33_53:
	v_cndmask_b32_e64 v3, 0, 1, s9
	v_mov_b32_e32 v0, v2
	global_store_b8 v1, v3, s[4:5]
	s_wait_xcnt 0x0
	s_or_b32 exec_lo, exec_lo, s0
	s_delay_alu instid0(SALU_CYCLE_1)
	s_mov_b32 s0, exec_lo
	v_cmpx_gt_i32_e64 s1, v0
	s_cbranch_execz .LBB33_35
.LBB33_54:
	v_cndmask_b32_e64 v1, 0, 1, s3
	v_add_nc_u32_e32 v2, s2, v0
	v_add_nc_u32_e32 v0, 0x100, v0
	global_store_b8 v2, v1, s[4:5]
	s_wait_xcnt 0x0
	s_or_b32 exec_lo, exec_lo, s0
	s_delay_alu instid0(SALU_CYCLE_1)
	s_mov_b32 s0, exec_lo
	v_cmpx_gt_i32_e64 s1, v0
	s_cbranch_execz .LBB33_36
.LBB33_55:
	v_cndmask_b32_e64 v1, 0, 1, s11
	v_add_nc_u32_e32 v2, s2, v0
	v_add_nc_u32_e32 v0, 0x100, v0
	global_store_b8 v2, v1, s[4:5]
	s_wait_xcnt 0x0
	s_or_b32 exec_lo, exec_lo, s0
	s_delay_alu instid0(SALU_CYCLE_1)
	s_mov_b32 s0, exec_lo
	v_cmpx_gt_i32_e64 s1, v0
	s_cbranch_execz .LBB33_37
.LBB33_56:
	v_cndmask_b32_e64 v1, 0, 1, s8
	v_add_nc_u32_e32 v2, s2, v0
	v_add_nc_u32_e32 v0, 0x100, v0
	global_store_b8 v2, v1, s[4:5]
	s_wait_xcnt 0x0
	s_or_b32 exec_lo, exec_lo, s0
	s_delay_alu instid0(SALU_CYCLE_1)
	s_mov_b32 s0, exec_lo
	v_cmpx_gt_i32_e64 s1, v0
	s_cbranch_execz .LBB33_38
.LBB33_57:
	v_cndmask_b32_e64 v1, 0, 1, s13
	v_add_nc_u32_e32 v2, s2, v0
	v_add_nc_u32_e32 v0, 0x100, v0
	global_store_b8 v2, v1, s[4:5]
	s_wait_xcnt 0x0
	s_or_b32 exec_lo, exec_lo, s0
	s_delay_alu instid0(SALU_CYCLE_1)
	s_mov_b32 s0, exec_lo
	v_cmpx_gt_i32_e64 s1, v0
	s_cbranch_execz .LBB33_39
.LBB33_58:
	v_cndmask_b32_e64 v1, 0, 1, s10
	v_add_nc_u32_e32 v2, s2, v0
	v_add_nc_u32_e32 v0, 0x100, v0
	global_store_b8 v2, v1, s[4:5]
	s_wait_xcnt 0x0
	s_or_b32 exec_lo, exec_lo, s0
	s_delay_alu instid0(SALU_CYCLE_1)
	s_mov_b32 s0, exec_lo
	v_cmpx_gt_i32_e64 s1, v0
	s_cbranch_execz .LBB33_40
.LBB33_59:
	v_cndmask_b32_e64 v1, 0, 1, s15
	v_add_nc_u32_e32 v2, s2, v0
	v_add_nc_u32_e32 v0, 0x100, v0
	global_store_b8 v2, v1, s[4:5]
	s_wait_xcnt 0x0
	s_or_b32 exec_lo, exec_lo, s0
	s_delay_alu instid0(SALU_CYCLE_1)
	s_mov_b32 s0, exec_lo
	v_cmpx_gt_i32_e64 s1, v0
	s_cbranch_execz .LBB33_41
.LBB33_60:
	v_cndmask_b32_e64 v1, 0, 1, s12
	v_add_nc_u32_e32 v2, s2, v0
	v_add_nc_u32_e32 v0, 0x100, v0
	global_store_b8 v2, v1, s[4:5]
	s_wait_xcnt 0x0
	s_or_b32 exec_lo, exec_lo, s0
	s_delay_alu instid0(SALU_CYCLE_1)
	s_mov_b32 s0, exec_lo
	v_cmpx_gt_i32_e64 s1, v0
	s_cbranch_execz .LBB33_42
.LBB33_61:
	v_cndmask_b32_e64 v1, 0, 1, s17
	v_add_nc_u32_e32 v2, s2, v0
	v_add_nc_u32_e32 v0, 0x100, v0
	global_store_b8 v2, v1, s[4:5]
	s_wait_xcnt 0x0
	s_or_b32 exec_lo, exec_lo, s0
	s_delay_alu instid0(SALU_CYCLE_1)
	s_mov_b32 s0, exec_lo
	v_cmpx_gt_i32_e64 s1, v0
	s_cbranch_execz .LBB33_43
.LBB33_62:
	v_cndmask_b32_e64 v1, 0, 1, s14
	v_add_nc_u32_e32 v2, s2, v0
	v_add_nc_u32_e32 v0, 0x100, v0
	global_store_b8 v2, v1, s[4:5]
	s_wait_xcnt 0x0
	s_or_b32 exec_lo, exec_lo, s0
	s_delay_alu instid0(SALU_CYCLE_1)
	s_mov_b32 s0, exec_lo
	v_cmpx_gt_i32_e64 s1, v0
	s_cbranch_execz .LBB33_44
.LBB33_63:
	v_cndmask_b32_e64 v1, 0, 1, s19
	v_add_nc_u32_e32 v2, s2, v0
	v_add_nc_u32_e32 v0, 0x100, v0
	global_store_b8 v2, v1, s[4:5]
	s_wait_xcnt 0x0
	s_or_b32 exec_lo, exec_lo, s0
	s_delay_alu instid0(SALU_CYCLE_1)
	s_mov_b32 s0, exec_lo
	v_cmpx_gt_i32_e64 s1, v0
	s_cbranch_execz .LBB33_45
.LBB33_64:
	v_cndmask_b32_e64 v1, 0, 1, s16
	v_add_nc_u32_e32 v2, s2, v0
	v_add_nc_u32_e32 v0, 0x100, v0
	global_store_b8 v2, v1, s[4:5]
	s_wait_xcnt 0x0
	s_or_b32 exec_lo, exec_lo, s0
	s_delay_alu instid0(SALU_CYCLE_1)
	s_mov_b32 s0, exec_lo
	v_cmpx_gt_i32_e64 s1, v0
	s_cbranch_execz .LBB33_46
.LBB33_65:
	v_cndmask_b32_e64 v1, 0, 1, s21
	v_add_nc_u32_e32 v2, s2, v0
	v_add_nc_u32_e32 v0, 0x100, v0
	global_store_b8 v2, v1, s[4:5]
	s_wait_xcnt 0x0
	s_or_b32 exec_lo, exec_lo, s0
	s_delay_alu instid0(SALU_CYCLE_1)
	s_mov_b32 s0, exec_lo
	v_cmpx_gt_i32_e64 s1, v0
	s_cbranch_execz .LBB33_47
.LBB33_66:
	v_cndmask_b32_e64 v1, 0, 1, s18
	v_add_nc_u32_e32 v2, s2, v0
	v_add_nc_u32_e32 v0, 0x100, v0
	global_store_b8 v2, v1, s[4:5]
	s_wait_xcnt 0x0
	s_or_b32 exec_lo, exec_lo, s0
	s_delay_alu instid0(SALU_CYCLE_1)
	s_mov_b32 s0, exec_lo
	v_cmpx_gt_i32_e64 s1, v0
	s_cbranch_execz .LBB33_48
.LBB33_67:
	v_cndmask_b32_e64 v1, 0, 1, s22
	v_add_nc_u32_e32 v2, s2, v0
	v_add_nc_u32_e32 v0, 0x100, v0
	global_store_b8 v2, v1, s[4:5]
	s_wait_xcnt 0x0
	s_or_b32 exec_lo, exec_lo, s0
	s_delay_alu instid0(SALU_CYCLE_1)
	s_mov_b32 s0, exec_lo
	v_cmpx_gt_i32_e64 s1, v0
	s_cbranch_execnz .LBB33_49
	s_branch .LBB33_50
	.section	.rodata,"a",@progbits
	.p2align	6, 0x0
	.amdhsa_kernel _ZN2at6native29vectorized_elementwise_kernelILi8EZZZNS0_12_GLOBAL__N_120isposinf_kernel_implERNS_18TensorIteratorBaseEENKUlvE_clEvENKUlvE_clEvEUldE_St5arrayIPcLm2EEEEviT0_T1_
		.amdhsa_group_segment_fixed_size 0
		.amdhsa_private_segment_fixed_size 0
		.amdhsa_kernarg_size 24
		.amdhsa_user_sgpr_count 2
		.amdhsa_user_sgpr_dispatch_ptr 0
		.amdhsa_user_sgpr_queue_ptr 0
		.amdhsa_user_sgpr_kernarg_segment_ptr 1
		.amdhsa_user_sgpr_dispatch_id 0
		.amdhsa_user_sgpr_kernarg_preload_length 0
		.amdhsa_user_sgpr_kernarg_preload_offset 0
		.amdhsa_user_sgpr_private_segment_size 0
		.amdhsa_wavefront_size32 1
		.amdhsa_uses_dynamic_stack 0
		.amdhsa_enable_private_segment 0
		.amdhsa_system_sgpr_workgroup_id_x 1
		.amdhsa_system_sgpr_workgroup_id_y 0
		.amdhsa_system_sgpr_workgroup_id_z 0
		.amdhsa_system_sgpr_workgroup_info 0
		.amdhsa_system_vgpr_workitem_id 0
		.amdhsa_next_free_vgpr 34
		.amdhsa_next_free_sgpr 24
		.amdhsa_named_barrier_count 0
		.amdhsa_reserve_vcc 1
		.amdhsa_float_round_mode_32 0
		.amdhsa_float_round_mode_16_64 0
		.amdhsa_float_denorm_mode_32 3
		.amdhsa_float_denorm_mode_16_64 3
		.amdhsa_fp16_overflow 0
		.amdhsa_memory_ordered 1
		.amdhsa_forward_progress 1
		.amdhsa_inst_pref_size 26
		.amdhsa_round_robin_scheduling 0
		.amdhsa_exception_fp_ieee_invalid_op 0
		.amdhsa_exception_fp_denorm_src 0
		.amdhsa_exception_fp_ieee_div_zero 0
		.amdhsa_exception_fp_ieee_overflow 0
		.amdhsa_exception_fp_ieee_underflow 0
		.amdhsa_exception_fp_ieee_inexact 0
		.amdhsa_exception_int_div_zero 0
	.end_amdhsa_kernel
	.section	.text._ZN2at6native29vectorized_elementwise_kernelILi8EZZZNS0_12_GLOBAL__N_120isposinf_kernel_implERNS_18TensorIteratorBaseEENKUlvE_clEvENKUlvE_clEvEUldE_St5arrayIPcLm2EEEEviT0_T1_,"axG",@progbits,_ZN2at6native29vectorized_elementwise_kernelILi8EZZZNS0_12_GLOBAL__N_120isposinf_kernel_implERNS_18TensorIteratorBaseEENKUlvE_clEvENKUlvE_clEvEUldE_St5arrayIPcLm2EEEEviT0_T1_,comdat
.Lfunc_end33:
	.size	_ZN2at6native29vectorized_elementwise_kernelILi8EZZZNS0_12_GLOBAL__N_120isposinf_kernel_implERNS_18TensorIteratorBaseEENKUlvE_clEvENKUlvE_clEvEUldE_St5arrayIPcLm2EEEEviT0_T1_, .Lfunc_end33-_ZN2at6native29vectorized_elementwise_kernelILi8EZZZNS0_12_GLOBAL__N_120isposinf_kernel_implERNS_18TensorIteratorBaseEENKUlvE_clEvENKUlvE_clEvEUldE_St5arrayIPcLm2EEEEviT0_T1_
                                        ; -- End function
	.set _ZN2at6native29vectorized_elementwise_kernelILi8EZZZNS0_12_GLOBAL__N_120isposinf_kernel_implERNS_18TensorIteratorBaseEENKUlvE_clEvENKUlvE_clEvEUldE_St5arrayIPcLm2EEEEviT0_T1_.num_vgpr, 34
	.set _ZN2at6native29vectorized_elementwise_kernelILi8EZZZNS0_12_GLOBAL__N_120isposinf_kernel_implERNS_18TensorIteratorBaseEENKUlvE_clEvENKUlvE_clEvEUldE_St5arrayIPcLm2EEEEviT0_T1_.num_agpr, 0
	.set _ZN2at6native29vectorized_elementwise_kernelILi8EZZZNS0_12_GLOBAL__N_120isposinf_kernel_implERNS_18TensorIteratorBaseEENKUlvE_clEvENKUlvE_clEvEUldE_St5arrayIPcLm2EEEEviT0_T1_.numbered_sgpr, 24
	.set _ZN2at6native29vectorized_elementwise_kernelILi8EZZZNS0_12_GLOBAL__N_120isposinf_kernel_implERNS_18TensorIteratorBaseEENKUlvE_clEvENKUlvE_clEvEUldE_St5arrayIPcLm2EEEEviT0_T1_.num_named_barrier, 0
	.set _ZN2at6native29vectorized_elementwise_kernelILi8EZZZNS0_12_GLOBAL__N_120isposinf_kernel_implERNS_18TensorIteratorBaseEENKUlvE_clEvENKUlvE_clEvEUldE_St5arrayIPcLm2EEEEviT0_T1_.private_seg_size, 0
	.set _ZN2at6native29vectorized_elementwise_kernelILi8EZZZNS0_12_GLOBAL__N_120isposinf_kernel_implERNS_18TensorIteratorBaseEENKUlvE_clEvENKUlvE_clEvEUldE_St5arrayIPcLm2EEEEviT0_T1_.uses_vcc, 1
	.set _ZN2at6native29vectorized_elementwise_kernelILi8EZZZNS0_12_GLOBAL__N_120isposinf_kernel_implERNS_18TensorIteratorBaseEENKUlvE_clEvENKUlvE_clEvEUldE_St5arrayIPcLm2EEEEviT0_T1_.uses_flat_scratch, 0
	.set _ZN2at6native29vectorized_elementwise_kernelILi8EZZZNS0_12_GLOBAL__N_120isposinf_kernel_implERNS_18TensorIteratorBaseEENKUlvE_clEvENKUlvE_clEvEUldE_St5arrayIPcLm2EEEEviT0_T1_.has_dyn_sized_stack, 0
	.set _ZN2at6native29vectorized_elementwise_kernelILi8EZZZNS0_12_GLOBAL__N_120isposinf_kernel_implERNS_18TensorIteratorBaseEENKUlvE_clEvENKUlvE_clEvEUldE_St5arrayIPcLm2EEEEviT0_T1_.has_recursion, 0
	.set _ZN2at6native29vectorized_elementwise_kernelILi8EZZZNS0_12_GLOBAL__N_120isposinf_kernel_implERNS_18TensorIteratorBaseEENKUlvE_clEvENKUlvE_clEvEUldE_St5arrayIPcLm2EEEEviT0_T1_.has_indirect_call, 0
	.section	.AMDGPU.csdata,"",@progbits
; Kernel info:
; codeLenInByte = 3244
; TotalNumSgprs: 26
; NumVgprs: 34
; ScratchSize: 0
; MemoryBound: 0
; FloatMode: 240
; IeeeMode: 1
; LDSByteSize: 0 bytes/workgroup (compile time only)
; SGPRBlocks: 0
; VGPRBlocks: 2
; NumSGPRsForWavesPerEU: 26
; NumVGPRsForWavesPerEU: 34
; NamedBarCnt: 0
; Occupancy: 16
; WaveLimiterHint : 1
; COMPUTE_PGM_RSRC2:SCRATCH_EN: 0
; COMPUTE_PGM_RSRC2:USER_SGPR: 2
; COMPUTE_PGM_RSRC2:TRAP_HANDLER: 0
; COMPUTE_PGM_RSRC2:TGID_X_EN: 1
; COMPUTE_PGM_RSRC2:TGID_Y_EN: 0
; COMPUTE_PGM_RSRC2:TGID_Z_EN: 0
; COMPUTE_PGM_RSRC2:TIDIG_COMP_CNT: 0
	.section	.text._ZN2at6native29vectorized_elementwise_kernelILi4EZZZNS0_12_GLOBAL__N_120isposinf_kernel_implERNS_18TensorIteratorBaseEENKUlvE_clEvENKUlvE_clEvEUldE_St5arrayIPcLm2EEEEviT0_T1_,"axG",@progbits,_ZN2at6native29vectorized_elementwise_kernelILi4EZZZNS0_12_GLOBAL__N_120isposinf_kernel_implERNS_18TensorIteratorBaseEENKUlvE_clEvENKUlvE_clEvEUldE_St5arrayIPcLm2EEEEviT0_T1_,comdat
	.globl	_ZN2at6native29vectorized_elementwise_kernelILi4EZZZNS0_12_GLOBAL__N_120isposinf_kernel_implERNS_18TensorIteratorBaseEENKUlvE_clEvENKUlvE_clEvEUldE_St5arrayIPcLm2EEEEviT0_T1_ ; -- Begin function _ZN2at6native29vectorized_elementwise_kernelILi4EZZZNS0_12_GLOBAL__N_120isposinf_kernel_implERNS_18TensorIteratorBaseEENKUlvE_clEvENKUlvE_clEvEUldE_St5arrayIPcLm2EEEEviT0_T1_
	.p2align	8
	.type	_ZN2at6native29vectorized_elementwise_kernelILi4EZZZNS0_12_GLOBAL__N_120isposinf_kernel_implERNS_18TensorIteratorBaseEENKUlvE_clEvENKUlvE_clEvEUldE_St5arrayIPcLm2EEEEviT0_T1_,@function
_ZN2at6native29vectorized_elementwise_kernelILi4EZZZNS0_12_GLOBAL__N_120isposinf_kernel_implERNS_18TensorIteratorBaseEENKUlvE_clEvENKUlvE_clEvEUldE_St5arrayIPcLm2EEEEviT0_T1_: ; @_ZN2at6native29vectorized_elementwise_kernelILi4EZZZNS0_12_GLOBAL__N_120isposinf_kernel_implERNS_18TensorIteratorBaseEENKUlvE_clEvENKUlvE_clEvEUldE_St5arrayIPcLm2EEEEviT0_T1_
; %bb.0:
	s_clause 0x1
	s_load_b32 s3, s[0:1], 0x0
	s_load_b128 s[4:7], s[0:1], 0x8
	s_wait_xcnt 0x0
	s_bfe_u32 s0, ttmp6, 0x4000c
	s_and_b32 s1, ttmp6, 15
	s_add_co_i32 s0, s0, 1
	s_getreg_b32 s2, hwreg(HW_REG_IB_STS2, 6, 4)
	s_mul_i32 s0, ttmp9, s0
	s_delay_alu instid0(SALU_CYCLE_1) | instskip(SKIP_2) | instid1(SALU_CYCLE_1)
	s_add_co_i32 s1, s1, s0
	s_cmp_eq_u32 s2, 0
	s_cselect_b32 s0, ttmp9, s1
	s_lshl_b32 s2, s0, 12
	s_mov_b32 s0, -1
	s_wait_kmcnt 0x0
	s_sub_co_i32 s1, s3, s2
	s_delay_alu instid0(SALU_CYCLE_1)
	s_cmp_gt_i32 s1, 0xfff
	s_cbranch_scc0 .LBB34_2
; %bb.1:
	s_ashr_i32 s3, s2, 31
	v_lshlrev_b32_e32 v1, 5, v0
	s_lshl_b64 s[8:9], s[2:3], 3
	s_mov_b32 s0, 0
	s_add_nc_u64 s[8:9], s[6:7], s[8:9]
	s_clause 0x7
	global_load_b128 v[2:5], v1, s[8:9]
	global_load_b128 v[6:9], v1, s[8:9] offset:16
	global_load_b128 v[10:13], v1, s[8:9] offset:8192
	;; [unrolled: 1-line block ×7, first 2 shown]
	s_wait_xcnt 0x0
	s_add_nc_u64 s[8:9], s[4:5], s[2:3]
	s_wait_loadcnt 0x7
	v_cmp_eq_f64_e32 vcc_lo, 0x7ff00000, v[2:3]
	v_cndmask_b32_e64 v1, 0, 1, vcc_lo
	v_cmp_eq_f64_e32 vcc_lo, 0x7ff00000, v[4:5]
	v_cndmask_b32_e64 v2, 0, 0x100, vcc_lo
	s_wait_loadcnt 0x6
	v_cmp_eq_f64_e32 vcc_lo, 0x7ff00000, v[6:7]
	s_delay_alu instid0(VALU_DEP_2)
	v_or_b32_e32 v1, v2, v1
	v_cndmask_b32_e64 v3, 0, 0x10000, vcc_lo
	v_cmp_eq_f64_e32 vcc_lo, 0x7ff00000, v[8:9]
	v_cndmask_b32_e64 v4, 0, 0x1000000, vcc_lo
	s_wait_loadcnt 0x5
	v_cmp_eq_f64_e32 vcc_lo, 0x7ff00000, v[10:11]
	s_delay_alu instid0(VALU_DEP_2)
	v_or3_b32 v1, v1, v3, v4
	v_cndmask_b32_e64 v5, 0, 1, vcc_lo
	v_cmp_eq_f64_e32 vcc_lo, 0x7ff00000, v[12:13]
	v_cndmask_b32_e64 v6, 0, 0x100, vcc_lo
	s_wait_loadcnt 0x4
	v_cmp_eq_f64_e32 vcc_lo, 0x7ff00000, v[14:15]
	s_delay_alu instid0(VALU_DEP_2)
	v_or_b32_e32 v2, v6, v5
	v_cndmask_b32_e64 v7, 0, 0x10000, vcc_lo
	v_cmp_eq_f64_e32 vcc_lo, 0x7ff00000, v[16:17]
	v_cndmask_b32_e64 v8, 0, 0x1000000, vcc_lo
	s_wait_loadcnt 0x3
	v_cmp_eq_f64_e32 vcc_lo, 0x7ff00000, v[18:19]
	s_delay_alu instid0(VALU_DEP_2)
	v_or3_b32 v2, v2, v7, v8
	;; [unrolled: 14-line block ×3, first 2 shown]
	v_cndmask_b32_e64 v13, 0, 1, vcc_lo
	v_cmp_eq_f64_e32 vcc_lo, 0x7ff00000, v[28:29]
	v_cndmask_b32_e64 v14, 0, 0x100, vcc_lo
	s_wait_loadcnt 0x0
	v_cmp_eq_f64_e32 vcc_lo, 0x7ff00000, v[30:31]
	s_delay_alu instid0(VALU_DEP_2) | instskip(SKIP_3) | instid1(VALU_DEP_1)
	v_or_b32_e32 v6, v14, v13
	v_cndmask_b32_e64 v15, 0, 0x10000, vcc_lo
	v_cmp_eq_f64_e32 vcc_lo, 0x7ff00000, v[32:33]
	v_cndmask_b32_e64 v16, 0, 0x1000000, vcc_lo
	v_or3_b32 v4, v6, v15, v16
	s_clause 0x3
	global_store_b32 v0, v1, s[8:9] scale_offset
	global_store_b32 v0, v2, s[8:9] offset:1024 scale_offset
	global_store_b32 v0, v3, s[8:9] offset:2048 scale_offset
	;; [unrolled: 1-line block ×3, first 2 shown]
.LBB34_2:
	s_and_not1_b32 vcc_lo, exec_lo, s0
	s_cbranch_vccnz .LBB34_50
; %bb.3:
	v_cmp_gt_i32_e32 vcc_lo, s1, v0
	s_wait_xcnt 0x1
	v_dual_mov_b32 v3, v0 :: v_dual_bitop2_b32 v1, s2, v0 bitop3:0x54
	v_or_b32_e32 v2, 0x100, v0
	s_mov_b32 s3, 0
	s_wait_xcnt 0x0
	s_mov_b32 s9, 0
	s_and_saveexec_b32 s8, vcc_lo
	s_cbranch_execz .LBB34_5
; %bb.4:
	global_load_b64 v[4:5], v1, s[6:7] scale_offset
	v_or_b32_e32 v3, 0x100, v0
	s_wait_loadcnt 0x0
	v_cmp_eq_f64_e64 s0, 0x7ff00000, v[4:5]
	s_and_b32 s9, s0, exec_lo
.LBB34_5:
	s_wait_xcnt 0x0
	s_or_b32 exec_lo, exec_lo, s8
	s_delay_alu instid0(SALU_CYCLE_1)
	s_mov_b32 s8, exec_lo
	v_cmpx_gt_i32_e64 s1, v3
	s_cbranch_execz .LBB34_7
; %bb.6:
	v_add_nc_u32_e32 v4, s2, v3
	v_add_nc_u32_e32 v3, 0x100, v3
	global_load_b64 v[4:5], v4, s[6:7] scale_offset
	s_wait_loadcnt 0x0
	v_cmp_eq_f64_e64 s0, 0x7ff00000, v[4:5]
	s_and_b32 s3, s0, exec_lo
.LBB34_7:
	s_wait_xcnt 0x0
	s_or_b32 exec_lo, exec_lo, s8
	s_mov_b32 s8, 0
	s_mov_b32 s11, 0
	s_mov_b32 s10, exec_lo
	v_cmpx_gt_i32_e64 s1, v3
	s_cbranch_execz .LBB34_9
; %bb.8:
	v_add_nc_u32_e32 v4, s2, v3
	v_add_nc_u32_e32 v3, 0x100, v3
	global_load_b64 v[4:5], v4, s[6:7] scale_offset
	s_wait_loadcnt 0x0
	v_cmp_eq_f64_e64 s0, 0x7ff00000, v[4:5]
	s_and_b32 s11, s0, exec_lo
.LBB34_9:
	s_wait_xcnt 0x0
	s_or_b32 exec_lo, exec_lo, s10
	s_delay_alu instid0(SALU_CYCLE_1)
	s_mov_b32 s10, exec_lo
	v_cmpx_gt_i32_e64 s1, v3
	s_cbranch_execz .LBB34_11
; %bb.10:
	v_add_nc_u32_e32 v4, s2, v3
	v_add_nc_u32_e32 v3, 0x100, v3
	global_load_b64 v[4:5], v4, s[6:7] scale_offset
	s_wait_loadcnt 0x0
	v_cmp_eq_f64_e64 s0, 0x7ff00000, v[4:5]
	s_and_b32 s8, s0, exec_lo
.LBB34_11:
	s_wait_xcnt 0x0
	s_or_b32 exec_lo, exec_lo, s10
	s_mov_b32 s10, 0
	s_mov_b32 s13, 0
	s_mov_b32 s12, exec_lo
	v_cmpx_gt_i32_e64 s1, v3
	s_cbranch_execz .LBB34_13
; %bb.12:
	v_add_nc_u32_e32 v4, s2, v3
	v_add_nc_u32_e32 v3, 0x100, v3
	global_load_b64 v[4:5], v4, s[6:7] scale_offset
	s_wait_loadcnt 0x0
	v_cmp_eq_f64_e64 s0, 0x7ff00000, v[4:5]
	s_and_b32 s13, s0, exec_lo
.LBB34_13:
	;; [unrolled: 29-line block ×6, first 2 shown]
	s_wait_xcnt 0x0
	s_or_b32 exec_lo, exec_lo, s20
	s_delay_alu instid0(SALU_CYCLE_1)
	s_mov_b32 s20, exec_lo
	v_cmpx_gt_i32_e64 s1, v3
	s_cbranch_execz .LBB34_31
; %bb.30:
	v_add_nc_u32_e32 v4, s2, v3
	v_add_nc_u32_e32 v3, 0x100, v3
	global_load_b64 v[4:5], v4, s[6:7] scale_offset
	s_wait_loadcnt 0x0
	v_cmp_eq_f64_e64 s0, 0x7ff00000, v[4:5]
	s_and_b32 s18, s0, exec_lo
.LBB34_31:
	s_wait_xcnt 0x0
	s_or_b32 exec_lo, exec_lo, s20
	s_mov_b32 s20, 0
	s_mov_b32 s22, 0
	s_mov_b32 s23, exec_lo
	v_cmpx_gt_i32_e64 s1, v3
	s_cbranch_execnz .LBB34_51
; %bb.32:
	s_or_b32 exec_lo, exec_lo, s23
	s_delay_alu instid0(SALU_CYCLE_1)
	s_mov_b32 s23, exec_lo
	v_cmpx_gt_i32_e64 s1, v3
	s_cbranch_execnz .LBB34_52
.LBB34_33:
	s_or_b32 exec_lo, exec_lo, s23
	s_and_saveexec_b32 s0, vcc_lo
	s_cbranch_execnz .LBB34_53
.LBB34_34:
	s_or_b32 exec_lo, exec_lo, s0
	s_delay_alu instid0(SALU_CYCLE_1)
	s_mov_b32 s0, exec_lo
	v_cmpx_gt_i32_e64 s1, v0
	s_cbranch_execnz .LBB34_54
.LBB34_35:
	s_or_b32 exec_lo, exec_lo, s0
	s_delay_alu instid0(SALU_CYCLE_1)
	s_mov_b32 s0, exec_lo
	v_cmpx_gt_i32_e64 s1, v0
	s_cbranch_execnz .LBB34_55
.LBB34_36:
	s_or_b32 exec_lo, exec_lo, s0
	s_delay_alu instid0(SALU_CYCLE_1)
	s_mov_b32 s0, exec_lo
	v_cmpx_gt_i32_e64 s1, v0
	s_cbranch_execnz .LBB34_56
.LBB34_37:
	s_or_b32 exec_lo, exec_lo, s0
	s_delay_alu instid0(SALU_CYCLE_1)
	s_mov_b32 s0, exec_lo
	v_cmpx_gt_i32_e64 s1, v0
	s_cbranch_execnz .LBB34_57
.LBB34_38:
	s_or_b32 exec_lo, exec_lo, s0
	s_delay_alu instid0(SALU_CYCLE_1)
	s_mov_b32 s0, exec_lo
	v_cmpx_gt_i32_e64 s1, v0
	s_cbranch_execnz .LBB34_58
.LBB34_39:
	s_or_b32 exec_lo, exec_lo, s0
	s_delay_alu instid0(SALU_CYCLE_1)
	s_mov_b32 s0, exec_lo
	v_cmpx_gt_i32_e64 s1, v0
	s_cbranch_execnz .LBB34_59
.LBB34_40:
	s_or_b32 exec_lo, exec_lo, s0
	s_delay_alu instid0(SALU_CYCLE_1)
	s_mov_b32 s0, exec_lo
	v_cmpx_gt_i32_e64 s1, v0
	s_cbranch_execnz .LBB34_60
.LBB34_41:
	s_or_b32 exec_lo, exec_lo, s0
	s_delay_alu instid0(SALU_CYCLE_1)
	s_mov_b32 s0, exec_lo
	v_cmpx_gt_i32_e64 s1, v0
	s_cbranch_execnz .LBB34_61
.LBB34_42:
	s_or_b32 exec_lo, exec_lo, s0
	s_delay_alu instid0(SALU_CYCLE_1)
	s_mov_b32 s0, exec_lo
	v_cmpx_gt_i32_e64 s1, v0
	s_cbranch_execnz .LBB34_62
.LBB34_43:
	s_or_b32 exec_lo, exec_lo, s0
	s_delay_alu instid0(SALU_CYCLE_1)
	s_mov_b32 s0, exec_lo
	v_cmpx_gt_i32_e64 s1, v0
	s_cbranch_execnz .LBB34_63
.LBB34_44:
	s_or_b32 exec_lo, exec_lo, s0
	s_delay_alu instid0(SALU_CYCLE_1)
	s_mov_b32 s0, exec_lo
	v_cmpx_gt_i32_e64 s1, v0
	s_cbranch_execnz .LBB34_64
.LBB34_45:
	s_or_b32 exec_lo, exec_lo, s0
	s_delay_alu instid0(SALU_CYCLE_1)
	s_mov_b32 s0, exec_lo
	v_cmpx_gt_i32_e64 s1, v0
	s_cbranch_execnz .LBB34_65
.LBB34_46:
	s_or_b32 exec_lo, exec_lo, s0
	s_delay_alu instid0(SALU_CYCLE_1)
	s_mov_b32 s0, exec_lo
	v_cmpx_gt_i32_e64 s1, v0
	s_cbranch_execnz .LBB34_66
.LBB34_47:
	s_or_b32 exec_lo, exec_lo, s0
	s_delay_alu instid0(SALU_CYCLE_1)
	s_mov_b32 s0, exec_lo
	v_cmpx_gt_i32_e64 s1, v0
	s_cbranch_execnz .LBB34_67
.LBB34_48:
	s_or_b32 exec_lo, exec_lo, s0
	s_delay_alu instid0(SALU_CYCLE_1)
	s_mov_b32 s0, exec_lo
	v_cmpx_gt_i32_e64 s1, v0
	s_cbranch_execz .LBB34_50
.LBB34_49:
	v_cndmask_b32_e64 v1, 0, 1, s20
	v_add_nc_u32_e32 v0, s2, v0
	global_store_b8 v0, v1, s[4:5]
.LBB34_50:
	s_endpgm
.LBB34_51:
	v_add_nc_u32_e32 v4, s2, v3
	v_add_nc_u32_e32 v3, 0x100, v3
	global_load_b64 v[4:5], v4, s[6:7] scale_offset
	s_wait_loadcnt 0x0
	v_cmp_eq_f64_e64 s0, 0x7ff00000, v[4:5]
	s_and_b32 s22, s0, exec_lo
	s_wait_xcnt 0x0
	s_or_b32 exec_lo, exec_lo, s23
	s_delay_alu instid0(SALU_CYCLE_1)
	s_mov_b32 s23, exec_lo
	v_cmpx_gt_i32_e64 s1, v3
	s_cbranch_execz .LBB34_33
.LBB34_52:
	v_add_nc_u32_e32 v3, s2, v3
	global_load_b64 v[4:5], v3, s[6:7] scale_offset
	s_wait_loadcnt 0x0
	v_cmp_eq_f64_e64 s0, 0x7ff00000, v[4:5]
	s_and_b32 s20, s0, exec_lo
	s_wait_xcnt 0x0
	s_or_b32 exec_lo, exec_lo, s23
	s_and_saveexec_b32 s0, vcc_lo
	s_cbranch_execz .LBB34_34
.LBB34_53:
	v_cndmask_b32_e64 v3, 0, 1, s9
	v_mov_b32_e32 v0, v2
	global_store_b8 v1, v3, s[4:5]
	s_wait_xcnt 0x0
	s_or_b32 exec_lo, exec_lo, s0
	s_delay_alu instid0(SALU_CYCLE_1)
	s_mov_b32 s0, exec_lo
	v_cmpx_gt_i32_e64 s1, v0
	s_cbranch_execz .LBB34_35
.LBB34_54:
	v_cndmask_b32_e64 v1, 0, 1, s3
	v_add_nc_u32_e32 v2, s2, v0
	v_add_nc_u32_e32 v0, 0x100, v0
	global_store_b8 v2, v1, s[4:5]
	s_wait_xcnt 0x0
	s_or_b32 exec_lo, exec_lo, s0
	s_delay_alu instid0(SALU_CYCLE_1)
	s_mov_b32 s0, exec_lo
	v_cmpx_gt_i32_e64 s1, v0
	s_cbranch_execz .LBB34_36
.LBB34_55:
	v_cndmask_b32_e64 v1, 0, 1, s11
	v_add_nc_u32_e32 v2, s2, v0
	v_add_nc_u32_e32 v0, 0x100, v0
	global_store_b8 v2, v1, s[4:5]
	s_wait_xcnt 0x0
	s_or_b32 exec_lo, exec_lo, s0
	s_delay_alu instid0(SALU_CYCLE_1)
	s_mov_b32 s0, exec_lo
	v_cmpx_gt_i32_e64 s1, v0
	s_cbranch_execz .LBB34_37
.LBB34_56:
	v_cndmask_b32_e64 v1, 0, 1, s8
	v_add_nc_u32_e32 v2, s2, v0
	v_add_nc_u32_e32 v0, 0x100, v0
	global_store_b8 v2, v1, s[4:5]
	s_wait_xcnt 0x0
	s_or_b32 exec_lo, exec_lo, s0
	s_delay_alu instid0(SALU_CYCLE_1)
	s_mov_b32 s0, exec_lo
	v_cmpx_gt_i32_e64 s1, v0
	s_cbranch_execz .LBB34_38
.LBB34_57:
	v_cndmask_b32_e64 v1, 0, 1, s13
	v_add_nc_u32_e32 v2, s2, v0
	v_add_nc_u32_e32 v0, 0x100, v0
	global_store_b8 v2, v1, s[4:5]
	s_wait_xcnt 0x0
	s_or_b32 exec_lo, exec_lo, s0
	s_delay_alu instid0(SALU_CYCLE_1)
	s_mov_b32 s0, exec_lo
	v_cmpx_gt_i32_e64 s1, v0
	s_cbranch_execz .LBB34_39
.LBB34_58:
	v_cndmask_b32_e64 v1, 0, 1, s10
	v_add_nc_u32_e32 v2, s2, v0
	v_add_nc_u32_e32 v0, 0x100, v0
	global_store_b8 v2, v1, s[4:5]
	s_wait_xcnt 0x0
	s_or_b32 exec_lo, exec_lo, s0
	s_delay_alu instid0(SALU_CYCLE_1)
	s_mov_b32 s0, exec_lo
	v_cmpx_gt_i32_e64 s1, v0
	s_cbranch_execz .LBB34_40
.LBB34_59:
	v_cndmask_b32_e64 v1, 0, 1, s15
	v_add_nc_u32_e32 v2, s2, v0
	v_add_nc_u32_e32 v0, 0x100, v0
	global_store_b8 v2, v1, s[4:5]
	s_wait_xcnt 0x0
	s_or_b32 exec_lo, exec_lo, s0
	s_delay_alu instid0(SALU_CYCLE_1)
	s_mov_b32 s0, exec_lo
	v_cmpx_gt_i32_e64 s1, v0
	s_cbranch_execz .LBB34_41
.LBB34_60:
	v_cndmask_b32_e64 v1, 0, 1, s12
	v_add_nc_u32_e32 v2, s2, v0
	v_add_nc_u32_e32 v0, 0x100, v0
	global_store_b8 v2, v1, s[4:5]
	s_wait_xcnt 0x0
	s_or_b32 exec_lo, exec_lo, s0
	s_delay_alu instid0(SALU_CYCLE_1)
	s_mov_b32 s0, exec_lo
	v_cmpx_gt_i32_e64 s1, v0
	s_cbranch_execz .LBB34_42
.LBB34_61:
	v_cndmask_b32_e64 v1, 0, 1, s17
	v_add_nc_u32_e32 v2, s2, v0
	v_add_nc_u32_e32 v0, 0x100, v0
	global_store_b8 v2, v1, s[4:5]
	s_wait_xcnt 0x0
	s_or_b32 exec_lo, exec_lo, s0
	s_delay_alu instid0(SALU_CYCLE_1)
	s_mov_b32 s0, exec_lo
	v_cmpx_gt_i32_e64 s1, v0
	s_cbranch_execz .LBB34_43
.LBB34_62:
	v_cndmask_b32_e64 v1, 0, 1, s14
	v_add_nc_u32_e32 v2, s2, v0
	v_add_nc_u32_e32 v0, 0x100, v0
	global_store_b8 v2, v1, s[4:5]
	s_wait_xcnt 0x0
	s_or_b32 exec_lo, exec_lo, s0
	s_delay_alu instid0(SALU_CYCLE_1)
	s_mov_b32 s0, exec_lo
	v_cmpx_gt_i32_e64 s1, v0
	s_cbranch_execz .LBB34_44
.LBB34_63:
	v_cndmask_b32_e64 v1, 0, 1, s19
	v_add_nc_u32_e32 v2, s2, v0
	v_add_nc_u32_e32 v0, 0x100, v0
	global_store_b8 v2, v1, s[4:5]
	s_wait_xcnt 0x0
	s_or_b32 exec_lo, exec_lo, s0
	s_delay_alu instid0(SALU_CYCLE_1)
	s_mov_b32 s0, exec_lo
	v_cmpx_gt_i32_e64 s1, v0
	s_cbranch_execz .LBB34_45
.LBB34_64:
	v_cndmask_b32_e64 v1, 0, 1, s16
	v_add_nc_u32_e32 v2, s2, v0
	v_add_nc_u32_e32 v0, 0x100, v0
	global_store_b8 v2, v1, s[4:5]
	s_wait_xcnt 0x0
	s_or_b32 exec_lo, exec_lo, s0
	s_delay_alu instid0(SALU_CYCLE_1)
	s_mov_b32 s0, exec_lo
	v_cmpx_gt_i32_e64 s1, v0
	s_cbranch_execz .LBB34_46
.LBB34_65:
	v_cndmask_b32_e64 v1, 0, 1, s21
	v_add_nc_u32_e32 v2, s2, v0
	v_add_nc_u32_e32 v0, 0x100, v0
	global_store_b8 v2, v1, s[4:5]
	s_wait_xcnt 0x0
	s_or_b32 exec_lo, exec_lo, s0
	s_delay_alu instid0(SALU_CYCLE_1)
	s_mov_b32 s0, exec_lo
	v_cmpx_gt_i32_e64 s1, v0
	s_cbranch_execz .LBB34_47
.LBB34_66:
	v_cndmask_b32_e64 v1, 0, 1, s18
	v_add_nc_u32_e32 v2, s2, v0
	v_add_nc_u32_e32 v0, 0x100, v0
	global_store_b8 v2, v1, s[4:5]
	s_wait_xcnt 0x0
	s_or_b32 exec_lo, exec_lo, s0
	s_delay_alu instid0(SALU_CYCLE_1)
	s_mov_b32 s0, exec_lo
	v_cmpx_gt_i32_e64 s1, v0
	s_cbranch_execz .LBB34_48
.LBB34_67:
	v_cndmask_b32_e64 v1, 0, 1, s22
	v_add_nc_u32_e32 v2, s2, v0
	v_add_nc_u32_e32 v0, 0x100, v0
	global_store_b8 v2, v1, s[4:5]
	s_wait_xcnt 0x0
	s_or_b32 exec_lo, exec_lo, s0
	s_delay_alu instid0(SALU_CYCLE_1)
	s_mov_b32 s0, exec_lo
	v_cmpx_gt_i32_e64 s1, v0
	s_cbranch_execnz .LBB34_49
	s_branch .LBB34_50
	.section	.rodata,"a",@progbits
	.p2align	6, 0x0
	.amdhsa_kernel _ZN2at6native29vectorized_elementwise_kernelILi4EZZZNS0_12_GLOBAL__N_120isposinf_kernel_implERNS_18TensorIteratorBaseEENKUlvE_clEvENKUlvE_clEvEUldE_St5arrayIPcLm2EEEEviT0_T1_
		.amdhsa_group_segment_fixed_size 0
		.amdhsa_private_segment_fixed_size 0
		.amdhsa_kernarg_size 24
		.amdhsa_user_sgpr_count 2
		.amdhsa_user_sgpr_dispatch_ptr 0
		.amdhsa_user_sgpr_queue_ptr 0
		.amdhsa_user_sgpr_kernarg_segment_ptr 1
		.amdhsa_user_sgpr_dispatch_id 0
		.amdhsa_user_sgpr_kernarg_preload_length 0
		.amdhsa_user_sgpr_kernarg_preload_offset 0
		.amdhsa_user_sgpr_private_segment_size 0
		.amdhsa_wavefront_size32 1
		.amdhsa_uses_dynamic_stack 0
		.amdhsa_enable_private_segment 0
		.amdhsa_system_sgpr_workgroup_id_x 1
		.amdhsa_system_sgpr_workgroup_id_y 0
		.amdhsa_system_sgpr_workgroup_id_z 0
		.amdhsa_system_sgpr_workgroup_info 0
		.amdhsa_system_vgpr_workitem_id 0
		.amdhsa_next_free_vgpr 34
		.amdhsa_next_free_sgpr 24
		.amdhsa_named_barrier_count 0
		.amdhsa_reserve_vcc 1
		.amdhsa_float_round_mode_32 0
		.amdhsa_float_round_mode_16_64 0
		.amdhsa_float_denorm_mode_32 3
		.amdhsa_float_denorm_mode_16_64 3
		.amdhsa_fp16_overflow 0
		.amdhsa_memory_ordered 1
		.amdhsa_forward_progress 1
		.amdhsa_inst_pref_size 26
		.amdhsa_round_robin_scheduling 0
		.amdhsa_exception_fp_ieee_invalid_op 0
		.amdhsa_exception_fp_denorm_src 0
		.amdhsa_exception_fp_ieee_div_zero 0
		.amdhsa_exception_fp_ieee_overflow 0
		.amdhsa_exception_fp_ieee_underflow 0
		.amdhsa_exception_fp_ieee_inexact 0
		.amdhsa_exception_int_div_zero 0
	.end_amdhsa_kernel
	.section	.text._ZN2at6native29vectorized_elementwise_kernelILi4EZZZNS0_12_GLOBAL__N_120isposinf_kernel_implERNS_18TensorIteratorBaseEENKUlvE_clEvENKUlvE_clEvEUldE_St5arrayIPcLm2EEEEviT0_T1_,"axG",@progbits,_ZN2at6native29vectorized_elementwise_kernelILi4EZZZNS0_12_GLOBAL__N_120isposinf_kernel_implERNS_18TensorIteratorBaseEENKUlvE_clEvENKUlvE_clEvEUldE_St5arrayIPcLm2EEEEviT0_T1_,comdat
.Lfunc_end34:
	.size	_ZN2at6native29vectorized_elementwise_kernelILi4EZZZNS0_12_GLOBAL__N_120isposinf_kernel_implERNS_18TensorIteratorBaseEENKUlvE_clEvENKUlvE_clEvEUldE_St5arrayIPcLm2EEEEviT0_T1_, .Lfunc_end34-_ZN2at6native29vectorized_elementwise_kernelILi4EZZZNS0_12_GLOBAL__N_120isposinf_kernel_implERNS_18TensorIteratorBaseEENKUlvE_clEvENKUlvE_clEvEUldE_St5arrayIPcLm2EEEEviT0_T1_
                                        ; -- End function
	.set _ZN2at6native29vectorized_elementwise_kernelILi4EZZZNS0_12_GLOBAL__N_120isposinf_kernel_implERNS_18TensorIteratorBaseEENKUlvE_clEvENKUlvE_clEvEUldE_St5arrayIPcLm2EEEEviT0_T1_.num_vgpr, 34
	.set _ZN2at6native29vectorized_elementwise_kernelILi4EZZZNS0_12_GLOBAL__N_120isposinf_kernel_implERNS_18TensorIteratorBaseEENKUlvE_clEvENKUlvE_clEvEUldE_St5arrayIPcLm2EEEEviT0_T1_.num_agpr, 0
	.set _ZN2at6native29vectorized_elementwise_kernelILi4EZZZNS0_12_GLOBAL__N_120isposinf_kernel_implERNS_18TensorIteratorBaseEENKUlvE_clEvENKUlvE_clEvEUldE_St5arrayIPcLm2EEEEviT0_T1_.numbered_sgpr, 24
	.set _ZN2at6native29vectorized_elementwise_kernelILi4EZZZNS0_12_GLOBAL__N_120isposinf_kernel_implERNS_18TensorIteratorBaseEENKUlvE_clEvENKUlvE_clEvEUldE_St5arrayIPcLm2EEEEviT0_T1_.num_named_barrier, 0
	.set _ZN2at6native29vectorized_elementwise_kernelILi4EZZZNS0_12_GLOBAL__N_120isposinf_kernel_implERNS_18TensorIteratorBaseEENKUlvE_clEvENKUlvE_clEvEUldE_St5arrayIPcLm2EEEEviT0_T1_.private_seg_size, 0
	.set _ZN2at6native29vectorized_elementwise_kernelILi4EZZZNS0_12_GLOBAL__N_120isposinf_kernel_implERNS_18TensorIteratorBaseEENKUlvE_clEvENKUlvE_clEvEUldE_St5arrayIPcLm2EEEEviT0_T1_.uses_vcc, 1
	.set _ZN2at6native29vectorized_elementwise_kernelILi4EZZZNS0_12_GLOBAL__N_120isposinf_kernel_implERNS_18TensorIteratorBaseEENKUlvE_clEvENKUlvE_clEvEUldE_St5arrayIPcLm2EEEEviT0_T1_.uses_flat_scratch, 0
	.set _ZN2at6native29vectorized_elementwise_kernelILi4EZZZNS0_12_GLOBAL__N_120isposinf_kernel_implERNS_18TensorIteratorBaseEENKUlvE_clEvENKUlvE_clEvEUldE_St5arrayIPcLm2EEEEviT0_T1_.has_dyn_sized_stack, 0
	.set _ZN2at6native29vectorized_elementwise_kernelILi4EZZZNS0_12_GLOBAL__N_120isposinf_kernel_implERNS_18TensorIteratorBaseEENKUlvE_clEvENKUlvE_clEvEUldE_St5arrayIPcLm2EEEEviT0_T1_.has_recursion, 0
	.set _ZN2at6native29vectorized_elementwise_kernelILi4EZZZNS0_12_GLOBAL__N_120isposinf_kernel_implERNS_18TensorIteratorBaseEENKUlvE_clEvENKUlvE_clEvEUldE_St5arrayIPcLm2EEEEviT0_T1_.has_indirect_call, 0
	.section	.AMDGPU.csdata,"",@progbits
; Kernel info:
; codeLenInByte = 3220
; TotalNumSgprs: 26
; NumVgprs: 34
; ScratchSize: 0
; MemoryBound: 0
; FloatMode: 240
; IeeeMode: 1
; LDSByteSize: 0 bytes/workgroup (compile time only)
; SGPRBlocks: 0
; VGPRBlocks: 2
; NumSGPRsForWavesPerEU: 26
; NumVGPRsForWavesPerEU: 34
; NamedBarCnt: 0
; Occupancy: 16
; WaveLimiterHint : 1
; COMPUTE_PGM_RSRC2:SCRATCH_EN: 0
; COMPUTE_PGM_RSRC2:USER_SGPR: 2
; COMPUTE_PGM_RSRC2:TRAP_HANDLER: 0
; COMPUTE_PGM_RSRC2:TGID_X_EN: 1
; COMPUTE_PGM_RSRC2:TGID_Y_EN: 0
; COMPUTE_PGM_RSRC2:TGID_Z_EN: 0
; COMPUTE_PGM_RSRC2:TIDIG_COMP_CNT: 0
	.section	.text._ZN2at6native29vectorized_elementwise_kernelILi2EZZZNS0_12_GLOBAL__N_120isposinf_kernel_implERNS_18TensorIteratorBaseEENKUlvE_clEvENKUlvE_clEvEUldE_St5arrayIPcLm2EEEEviT0_T1_,"axG",@progbits,_ZN2at6native29vectorized_elementwise_kernelILi2EZZZNS0_12_GLOBAL__N_120isposinf_kernel_implERNS_18TensorIteratorBaseEENKUlvE_clEvENKUlvE_clEvEUldE_St5arrayIPcLm2EEEEviT0_T1_,comdat
	.globl	_ZN2at6native29vectorized_elementwise_kernelILi2EZZZNS0_12_GLOBAL__N_120isposinf_kernel_implERNS_18TensorIteratorBaseEENKUlvE_clEvENKUlvE_clEvEUldE_St5arrayIPcLm2EEEEviT0_T1_ ; -- Begin function _ZN2at6native29vectorized_elementwise_kernelILi2EZZZNS0_12_GLOBAL__N_120isposinf_kernel_implERNS_18TensorIteratorBaseEENKUlvE_clEvENKUlvE_clEvEUldE_St5arrayIPcLm2EEEEviT0_T1_
	.p2align	8
	.type	_ZN2at6native29vectorized_elementwise_kernelILi2EZZZNS0_12_GLOBAL__N_120isposinf_kernel_implERNS_18TensorIteratorBaseEENKUlvE_clEvENKUlvE_clEvEUldE_St5arrayIPcLm2EEEEviT0_T1_,@function
_ZN2at6native29vectorized_elementwise_kernelILi2EZZZNS0_12_GLOBAL__N_120isposinf_kernel_implERNS_18TensorIteratorBaseEENKUlvE_clEvENKUlvE_clEvEUldE_St5arrayIPcLm2EEEEviT0_T1_: ; @_ZN2at6native29vectorized_elementwise_kernelILi2EZZZNS0_12_GLOBAL__N_120isposinf_kernel_implERNS_18TensorIteratorBaseEENKUlvE_clEvENKUlvE_clEvEUldE_St5arrayIPcLm2EEEEviT0_T1_
; %bb.0:
	s_clause 0x1
	s_load_b32 s3, s[0:1], 0x0
	s_load_b128 s[4:7], s[0:1], 0x8
	s_wait_xcnt 0x0
	s_bfe_u32 s0, ttmp6, 0x4000c
	s_and_b32 s1, ttmp6, 15
	s_add_co_i32 s0, s0, 1
	s_getreg_b32 s2, hwreg(HW_REG_IB_STS2, 6, 4)
	s_mul_i32 s0, ttmp9, s0
	s_delay_alu instid0(SALU_CYCLE_1) | instskip(SKIP_2) | instid1(SALU_CYCLE_1)
	s_add_co_i32 s1, s1, s0
	s_cmp_eq_u32 s2, 0
	s_cselect_b32 s0, ttmp9, s1
	s_lshl_b32 s2, s0, 12
	s_mov_b32 s0, -1
	s_wait_kmcnt 0x0
	s_sub_co_i32 s1, s3, s2
	s_delay_alu instid0(SALU_CYCLE_1)
	s_cmp_gt_i32 s1, 0xfff
	s_cbranch_scc0 .LBB35_2
; %bb.1:
	s_ashr_i32 s3, s2, 31
	s_mov_b32 s0, 0
	s_lshl_b64 s[8:9], s[2:3], 3
	s_delay_alu instid0(SALU_CYCLE_1)
	s_add_nc_u64 s[8:9], s[6:7], s[8:9]
	s_clause 0x7
	global_load_b128 v[2:5], v0, s[8:9] scale_offset
	global_load_b128 v[6:9], v0, s[8:9] offset:4096 scale_offset
	global_load_b128 v[10:13], v0, s[8:9] offset:8192 scale_offset
	;; [unrolled: 1-line block ×7, first 2 shown]
	s_wait_xcnt 0x0
	s_add_nc_u64 s[8:9], s[4:5], s[2:3]
	s_wait_loadcnt 0x7
	v_cmp_eq_f64_e32 vcc_lo, 0x7ff00000, v[2:3]
	v_cndmask_b32_e64 v1, 0, 1, vcc_lo
	v_cmp_eq_f64_e32 vcc_lo, 0x7ff00000, v[4:5]
	v_cndmask_b32_e64 v2, 0, 0x100, vcc_lo
	s_wait_loadcnt 0x6
	v_cmp_eq_f64_e32 vcc_lo, 0x7ff00000, v[6:7]
	s_delay_alu instid0(VALU_DEP_2)
	v_or_b32_e32 v1, v2, v1
	v_cndmask_b32_e64 v3, 0, 1, vcc_lo
	v_cmp_eq_f64_e32 vcc_lo, 0x7ff00000, v[8:9]
	v_cndmask_b32_e64 v4, 0, 0x100, vcc_lo
	s_wait_loadcnt 0x5
	v_cmp_eq_f64_e32 vcc_lo, 0x7ff00000, v[10:11]
	s_delay_alu instid0(VALU_DEP_2)
	v_or_b32_e32 v2, v4, v3
	;; [unrolled: 7-line block ×6, first 2 shown]
	v_cndmask_b32_e64 v13, 0, 1, vcc_lo
	v_cmp_eq_f64_e32 vcc_lo, 0x7ff00000, v[28:29]
	v_cndmask_b32_e64 v14, 0, 0x100, vcc_lo
	s_wait_loadcnt 0x0
	v_cmp_eq_f64_e32 vcc_lo, 0x7ff00000, v[30:31]
	s_delay_alu instid0(VALU_DEP_2) | instskip(SKIP_3) | instid1(VALU_DEP_1)
	v_or_b32_e32 v7, v14, v13
	v_cndmask_b32_e64 v15, 0, 1, vcc_lo
	v_cmp_eq_f64_e32 vcc_lo, 0x7ff00000, v[32:33]
	v_cndmask_b32_e64 v16, 0, 0x100, vcc_lo
	v_or_b32_e32 v8, v16, v15
	s_clause 0x7
	global_store_b16 v0, v1, s[8:9] scale_offset
	global_store_b16 v0, v2, s[8:9] offset:512 scale_offset
	global_store_b16 v0, v3, s[8:9] offset:1024 scale_offset
	;; [unrolled: 1-line block ×7, first 2 shown]
.LBB35_2:
	s_and_not1_b32 vcc_lo, exec_lo, s0
	s_cbranch_vccnz .LBB35_50
; %bb.3:
	v_cmp_gt_i32_e32 vcc_lo, s1, v0
	s_wait_xcnt 0x5
	v_dual_mov_b32 v3, v0 :: v_dual_bitop2_b32 v1, s2, v0 bitop3:0x54
	v_or_b32_e32 v2, 0x100, v0
	s_mov_b32 s3, 0
	s_wait_xcnt 0x0
	s_mov_b32 s9, 0
	s_and_saveexec_b32 s8, vcc_lo
	s_cbranch_execz .LBB35_5
; %bb.4:
	global_load_b64 v[4:5], v1, s[6:7] scale_offset
	v_or_b32_e32 v3, 0x100, v0
	s_wait_loadcnt 0x0
	v_cmp_eq_f64_e64 s0, 0x7ff00000, v[4:5]
	s_and_b32 s9, s0, exec_lo
.LBB35_5:
	s_wait_xcnt 0x0
	s_or_b32 exec_lo, exec_lo, s8
	s_delay_alu instid0(SALU_CYCLE_1)
	s_mov_b32 s8, exec_lo
	v_cmpx_gt_i32_e64 s1, v3
	s_cbranch_execz .LBB35_7
; %bb.6:
	v_add_nc_u32_e32 v4, s2, v3
	v_add_nc_u32_e32 v3, 0x100, v3
	global_load_b64 v[4:5], v4, s[6:7] scale_offset
	s_wait_loadcnt 0x0
	v_cmp_eq_f64_e64 s0, 0x7ff00000, v[4:5]
	s_and_b32 s3, s0, exec_lo
.LBB35_7:
	s_wait_xcnt 0x0
	s_or_b32 exec_lo, exec_lo, s8
	s_mov_b32 s8, 0
	s_mov_b32 s11, 0
	s_mov_b32 s10, exec_lo
	v_cmpx_gt_i32_e64 s1, v3
	s_cbranch_execz .LBB35_9
; %bb.8:
	v_add_nc_u32_e32 v4, s2, v3
	v_add_nc_u32_e32 v3, 0x100, v3
	global_load_b64 v[4:5], v4, s[6:7] scale_offset
	s_wait_loadcnt 0x0
	v_cmp_eq_f64_e64 s0, 0x7ff00000, v[4:5]
	s_and_b32 s11, s0, exec_lo
.LBB35_9:
	s_wait_xcnt 0x0
	s_or_b32 exec_lo, exec_lo, s10
	s_delay_alu instid0(SALU_CYCLE_1)
	s_mov_b32 s10, exec_lo
	v_cmpx_gt_i32_e64 s1, v3
	s_cbranch_execz .LBB35_11
; %bb.10:
	v_add_nc_u32_e32 v4, s2, v3
	v_add_nc_u32_e32 v3, 0x100, v3
	global_load_b64 v[4:5], v4, s[6:7] scale_offset
	s_wait_loadcnt 0x0
	v_cmp_eq_f64_e64 s0, 0x7ff00000, v[4:5]
	s_and_b32 s8, s0, exec_lo
.LBB35_11:
	s_wait_xcnt 0x0
	s_or_b32 exec_lo, exec_lo, s10
	s_mov_b32 s10, 0
	s_mov_b32 s13, 0
	s_mov_b32 s12, exec_lo
	v_cmpx_gt_i32_e64 s1, v3
	s_cbranch_execz .LBB35_13
; %bb.12:
	v_add_nc_u32_e32 v4, s2, v3
	v_add_nc_u32_e32 v3, 0x100, v3
	global_load_b64 v[4:5], v4, s[6:7] scale_offset
	s_wait_loadcnt 0x0
	v_cmp_eq_f64_e64 s0, 0x7ff00000, v[4:5]
	s_and_b32 s13, s0, exec_lo
.LBB35_13:
	;; [unrolled: 29-line block ×6, first 2 shown]
	s_wait_xcnt 0x0
	s_or_b32 exec_lo, exec_lo, s20
	s_delay_alu instid0(SALU_CYCLE_1)
	s_mov_b32 s20, exec_lo
	v_cmpx_gt_i32_e64 s1, v3
	s_cbranch_execz .LBB35_31
; %bb.30:
	v_add_nc_u32_e32 v4, s2, v3
	v_add_nc_u32_e32 v3, 0x100, v3
	global_load_b64 v[4:5], v4, s[6:7] scale_offset
	s_wait_loadcnt 0x0
	v_cmp_eq_f64_e64 s0, 0x7ff00000, v[4:5]
	s_and_b32 s18, s0, exec_lo
.LBB35_31:
	s_wait_xcnt 0x0
	s_or_b32 exec_lo, exec_lo, s20
	s_mov_b32 s20, 0
	s_mov_b32 s22, 0
	s_mov_b32 s23, exec_lo
	v_cmpx_gt_i32_e64 s1, v3
	s_cbranch_execnz .LBB35_51
; %bb.32:
	s_or_b32 exec_lo, exec_lo, s23
	s_delay_alu instid0(SALU_CYCLE_1)
	s_mov_b32 s23, exec_lo
	v_cmpx_gt_i32_e64 s1, v3
	s_cbranch_execnz .LBB35_52
.LBB35_33:
	s_or_b32 exec_lo, exec_lo, s23
	s_and_saveexec_b32 s0, vcc_lo
	s_cbranch_execnz .LBB35_53
.LBB35_34:
	s_or_b32 exec_lo, exec_lo, s0
	s_delay_alu instid0(SALU_CYCLE_1)
	s_mov_b32 s0, exec_lo
	v_cmpx_gt_i32_e64 s1, v0
	s_cbranch_execnz .LBB35_54
.LBB35_35:
	s_or_b32 exec_lo, exec_lo, s0
	s_delay_alu instid0(SALU_CYCLE_1)
	s_mov_b32 s0, exec_lo
	v_cmpx_gt_i32_e64 s1, v0
	s_cbranch_execnz .LBB35_55
.LBB35_36:
	s_or_b32 exec_lo, exec_lo, s0
	s_delay_alu instid0(SALU_CYCLE_1)
	s_mov_b32 s0, exec_lo
	v_cmpx_gt_i32_e64 s1, v0
	s_cbranch_execnz .LBB35_56
.LBB35_37:
	s_or_b32 exec_lo, exec_lo, s0
	s_delay_alu instid0(SALU_CYCLE_1)
	s_mov_b32 s0, exec_lo
	v_cmpx_gt_i32_e64 s1, v0
	s_cbranch_execnz .LBB35_57
.LBB35_38:
	s_or_b32 exec_lo, exec_lo, s0
	s_delay_alu instid0(SALU_CYCLE_1)
	s_mov_b32 s0, exec_lo
	v_cmpx_gt_i32_e64 s1, v0
	s_cbranch_execnz .LBB35_58
.LBB35_39:
	s_or_b32 exec_lo, exec_lo, s0
	s_delay_alu instid0(SALU_CYCLE_1)
	s_mov_b32 s0, exec_lo
	v_cmpx_gt_i32_e64 s1, v0
	s_cbranch_execnz .LBB35_59
.LBB35_40:
	s_or_b32 exec_lo, exec_lo, s0
	s_delay_alu instid0(SALU_CYCLE_1)
	s_mov_b32 s0, exec_lo
	v_cmpx_gt_i32_e64 s1, v0
	s_cbranch_execnz .LBB35_60
.LBB35_41:
	s_or_b32 exec_lo, exec_lo, s0
	s_delay_alu instid0(SALU_CYCLE_1)
	s_mov_b32 s0, exec_lo
	v_cmpx_gt_i32_e64 s1, v0
	s_cbranch_execnz .LBB35_61
.LBB35_42:
	s_or_b32 exec_lo, exec_lo, s0
	s_delay_alu instid0(SALU_CYCLE_1)
	s_mov_b32 s0, exec_lo
	v_cmpx_gt_i32_e64 s1, v0
	s_cbranch_execnz .LBB35_62
.LBB35_43:
	s_or_b32 exec_lo, exec_lo, s0
	s_delay_alu instid0(SALU_CYCLE_1)
	s_mov_b32 s0, exec_lo
	v_cmpx_gt_i32_e64 s1, v0
	s_cbranch_execnz .LBB35_63
.LBB35_44:
	s_or_b32 exec_lo, exec_lo, s0
	s_delay_alu instid0(SALU_CYCLE_1)
	s_mov_b32 s0, exec_lo
	v_cmpx_gt_i32_e64 s1, v0
	s_cbranch_execnz .LBB35_64
.LBB35_45:
	s_or_b32 exec_lo, exec_lo, s0
	s_delay_alu instid0(SALU_CYCLE_1)
	s_mov_b32 s0, exec_lo
	v_cmpx_gt_i32_e64 s1, v0
	s_cbranch_execnz .LBB35_65
.LBB35_46:
	s_or_b32 exec_lo, exec_lo, s0
	s_delay_alu instid0(SALU_CYCLE_1)
	s_mov_b32 s0, exec_lo
	v_cmpx_gt_i32_e64 s1, v0
	s_cbranch_execnz .LBB35_66
.LBB35_47:
	s_or_b32 exec_lo, exec_lo, s0
	s_delay_alu instid0(SALU_CYCLE_1)
	s_mov_b32 s0, exec_lo
	v_cmpx_gt_i32_e64 s1, v0
	s_cbranch_execnz .LBB35_67
.LBB35_48:
	s_or_b32 exec_lo, exec_lo, s0
	s_delay_alu instid0(SALU_CYCLE_1)
	s_mov_b32 s0, exec_lo
	v_cmpx_gt_i32_e64 s1, v0
	s_cbranch_execz .LBB35_50
.LBB35_49:
	v_cndmask_b32_e64 v1, 0, 1, s20
	v_add_nc_u32_e32 v0, s2, v0
	global_store_b8 v0, v1, s[4:5]
.LBB35_50:
	s_endpgm
.LBB35_51:
	v_add_nc_u32_e32 v4, s2, v3
	v_add_nc_u32_e32 v3, 0x100, v3
	global_load_b64 v[4:5], v4, s[6:7] scale_offset
	s_wait_loadcnt 0x0
	v_cmp_eq_f64_e64 s0, 0x7ff00000, v[4:5]
	s_and_b32 s22, s0, exec_lo
	s_wait_xcnt 0x0
	s_or_b32 exec_lo, exec_lo, s23
	s_delay_alu instid0(SALU_CYCLE_1)
	s_mov_b32 s23, exec_lo
	v_cmpx_gt_i32_e64 s1, v3
	s_cbranch_execz .LBB35_33
.LBB35_52:
	v_add_nc_u32_e32 v3, s2, v3
	global_load_b64 v[4:5], v3, s[6:7] scale_offset
	s_wait_loadcnt 0x0
	v_cmp_eq_f64_e64 s0, 0x7ff00000, v[4:5]
	s_and_b32 s20, s0, exec_lo
	s_wait_xcnt 0x0
	s_or_b32 exec_lo, exec_lo, s23
	s_and_saveexec_b32 s0, vcc_lo
	s_cbranch_execz .LBB35_34
.LBB35_53:
	v_cndmask_b32_e64 v3, 0, 1, s9
	v_mov_b32_e32 v0, v2
	global_store_b8 v1, v3, s[4:5]
	s_wait_xcnt 0x0
	s_or_b32 exec_lo, exec_lo, s0
	s_delay_alu instid0(SALU_CYCLE_1)
	s_mov_b32 s0, exec_lo
	v_cmpx_gt_i32_e64 s1, v0
	s_cbranch_execz .LBB35_35
.LBB35_54:
	v_cndmask_b32_e64 v1, 0, 1, s3
	v_add_nc_u32_e32 v2, s2, v0
	v_add_nc_u32_e32 v0, 0x100, v0
	global_store_b8 v2, v1, s[4:5]
	s_wait_xcnt 0x0
	s_or_b32 exec_lo, exec_lo, s0
	s_delay_alu instid0(SALU_CYCLE_1)
	s_mov_b32 s0, exec_lo
	v_cmpx_gt_i32_e64 s1, v0
	s_cbranch_execz .LBB35_36
.LBB35_55:
	v_cndmask_b32_e64 v1, 0, 1, s11
	v_add_nc_u32_e32 v2, s2, v0
	v_add_nc_u32_e32 v0, 0x100, v0
	global_store_b8 v2, v1, s[4:5]
	s_wait_xcnt 0x0
	s_or_b32 exec_lo, exec_lo, s0
	s_delay_alu instid0(SALU_CYCLE_1)
	s_mov_b32 s0, exec_lo
	v_cmpx_gt_i32_e64 s1, v0
	s_cbranch_execz .LBB35_37
.LBB35_56:
	v_cndmask_b32_e64 v1, 0, 1, s8
	v_add_nc_u32_e32 v2, s2, v0
	v_add_nc_u32_e32 v0, 0x100, v0
	global_store_b8 v2, v1, s[4:5]
	s_wait_xcnt 0x0
	s_or_b32 exec_lo, exec_lo, s0
	s_delay_alu instid0(SALU_CYCLE_1)
	s_mov_b32 s0, exec_lo
	v_cmpx_gt_i32_e64 s1, v0
	s_cbranch_execz .LBB35_38
.LBB35_57:
	v_cndmask_b32_e64 v1, 0, 1, s13
	v_add_nc_u32_e32 v2, s2, v0
	v_add_nc_u32_e32 v0, 0x100, v0
	global_store_b8 v2, v1, s[4:5]
	s_wait_xcnt 0x0
	s_or_b32 exec_lo, exec_lo, s0
	s_delay_alu instid0(SALU_CYCLE_1)
	s_mov_b32 s0, exec_lo
	v_cmpx_gt_i32_e64 s1, v0
	s_cbranch_execz .LBB35_39
.LBB35_58:
	v_cndmask_b32_e64 v1, 0, 1, s10
	v_add_nc_u32_e32 v2, s2, v0
	v_add_nc_u32_e32 v0, 0x100, v0
	global_store_b8 v2, v1, s[4:5]
	s_wait_xcnt 0x0
	s_or_b32 exec_lo, exec_lo, s0
	s_delay_alu instid0(SALU_CYCLE_1)
	s_mov_b32 s0, exec_lo
	v_cmpx_gt_i32_e64 s1, v0
	s_cbranch_execz .LBB35_40
.LBB35_59:
	v_cndmask_b32_e64 v1, 0, 1, s15
	v_add_nc_u32_e32 v2, s2, v0
	v_add_nc_u32_e32 v0, 0x100, v0
	global_store_b8 v2, v1, s[4:5]
	s_wait_xcnt 0x0
	s_or_b32 exec_lo, exec_lo, s0
	s_delay_alu instid0(SALU_CYCLE_1)
	s_mov_b32 s0, exec_lo
	v_cmpx_gt_i32_e64 s1, v0
	s_cbranch_execz .LBB35_41
.LBB35_60:
	v_cndmask_b32_e64 v1, 0, 1, s12
	v_add_nc_u32_e32 v2, s2, v0
	v_add_nc_u32_e32 v0, 0x100, v0
	global_store_b8 v2, v1, s[4:5]
	s_wait_xcnt 0x0
	s_or_b32 exec_lo, exec_lo, s0
	s_delay_alu instid0(SALU_CYCLE_1)
	s_mov_b32 s0, exec_lo
	v_cmpx_gt_i32_e64 s1, v0
	s_cbranch_execz .LBB35_42
.LBB35_61:
	v_cndmask_b32_e64 v1, 0, 1, s17
	v_add_nc_u32_e32 v2, s2, v0
	v_add_nc_u32_e32 v0, 0x100, v0
	global_store_b8 v2, v1, s[4:5]
	s_wait_xcnt 0x0
	s_or_b32 exec_lo, exec_lo, s0
	s_delay_alu instid0(SALU_CYCLE_1)
	s_mov_b32 s0, exec_lo
	v_cmpx_gt_i32_e64 s1, v0
	s_cbranch_execz .LBB35_43
.LBB35_62:
	v_cndmask_b32_e64 v1, 0, 1, s14
	v_add_nc_u32_e32 v2, s2, v0
	v_add_nc_u32_e32 v0, 0x100, v0
	global_store_b8 v2, v1, s[4:5]
	s_wait_xcnt 0x0
	s_or_b32 exec_lo, exec_lo, s0
	s_delay_alu instid0(SALU_CYCLE_1)
	s_mov_b32 s0, exec_lo
	v_cmpx_gt_i32_e64 s1, v0
	s_cbranch_execz .LBB35_44
.LBB35_63:
	v_cndmask_b32_e64 v1, 0, 1, s19
	v_add_nc_u32_e32 v2, s2, v0
	v_add_nc_u32_e32 v0, 0x100, v0
	global_store_b8 v2, v1, s[4:5]
	s_wait_xcnt 0x0
	s_or_b32 exec_lo, exec_lo, s0
	s_delay_alu instid0(SALU_CYCLE_1)
	s_mov_b32 s0, exec_lo
	v_cmpx_gt_i32_e64 s1, v0
	s_cbranch_execz .LBB35_45
.LBB35_64:
	v_cndmask_b32_e64 v1, 0, 1, s16
	v_add_nc_u32_e32 v2, s2, v0
	v_add_nc_u32_e32 v0, 0x100, v0
	global_store_b8 v2, v1, s[4:5]
	s_wait_xcnt 0x0
	s_or_b32 exec_lo, exec_lo, s0
	s_delay_alu instid0(SALU_CYCLE_1)
	s_mov_b32 s0, exec_lo
	v_cmpx_gt_i32_e64 s1, v0
	s_cbranch_execz .LBB35_46
.LBB35_65:
	v_cndmask_b32_e64 v1, 0, 1, s21
	v_add_nc_u32_e32 v2, s2, v0
	v_add_nc_u32_e32 v0, 0x100, v0
	global_store_b8 v2, v1, s[4:5]
	s_wait_xcnt 0x0
	s_or_b32 exec_lo, exec_lo, s0
	s_delay_alu instid0(SALU_CYCLE_1)
	s_mov_b32 s0, exec_lo
	v_cmpx_gt_i32_e64 s1, v0
	s_cbranch_execz .LBB35_47
.LBB35_66:
	v_cndmask_b32_e64 v1, 0, 1, s18
	v_add_nc_u32_e32 v2, s2, v0
	v_add_nc_u32_e32 v0, 0x100, v0
	global_store_b8 v2, v1, s[4:5]
	s_wait_xcnt 0x0
	s_or_b32 exec_lo, exec_lo, s0
	s_delay_alu instid0(SALU_CYCLE_1)
	s_mov_b32 s0, exec_lo
	v_cmpx_gt_i32_e64 s1, v0
	s_cbranch_execz .LBB35_48
.LBB35_67:
	v_cndmask_b32_e64 v1, 0, 1, s22
	v_add_nc_u32_e32 v2, s2, v0
	v_add_nc_u32_e32 v0, 0x100, v0
	global_store_b8 v2, v1, s[4:5]
	s_wait_xcnt 0x0
	s_or_b32 exec_lo, exec_lo, s0
	s_delay_alu instid0(SALU_CYCLE_1)
	s_mov_b32 s0, exec_lo
	v_cmpx_gt_i32_e64 s1, v0
	s_cbranch_execnz .LBB35_49
	s_branch .LBB35_50
	.section	.rodata,"a",@progbits
	.p2align	6, 0x0
	.amdhsa_kernel _ZN2at6native29vectorized_elementwise_kernelILi2EZZZNS0_12_GLOBAL__N_120isposinf_kernel_implERNS_18TensorIteratorBaseEENKUlvE_clEvENKUlvE_clEvEUldE_St5arrayIPcLm2EEEEviT0_T1_
		.amdhsa_group_segment_fixed_size 0
		.amdhsa_private_segment_fixed_size 0
		.amdhsa_kernarg_size 24
		.amdhsa_user_sgpr_count 2
		.amdhsa_user_sgpr_dispatch_ptr 0
		.amdhsa_user_sgpr_queue_ptr 0
		.amdhsa_user_sgpr_kernarg_segment_ptr 1
		.amdhsa_user_sgpr_dispatch_id 0
		.amdhsa_user_sgpr_kernarg_preload_length 0
		.amdhsa_user_sgpr_kernarg_preload_offset 0
		.amdhsa_user_sgpr_private_segment_size 0
		.amdhsa_wavefront_size32 1
		.amdhsa_uses_dynamic_stack 0
		.amdhsa_enable_private_segment 0
		.amdhsa_system_sgpr_workgroup_id_x 1
		.amdhsa_system_sgpr_workgroup_id_y 0
		.amdhsa_system_sgpr_workgroup_id_z 0
		.amdhsa_system_sgpr_workgroup_info 0
		.amdhsa_system_vgpr_workitem_id 0
		.amdhsa_next_free_vgpr 34
		.amdhsa_next_free_sgpr 24
		.amdhsa_named_barrier_count 0
		.amdhsa_reserve_vcc 1
		.amdhsa_float_round_mode_32 0
		.amdhsa_float_round_mode_16_64 0
		.amdhsa_float_denorm_mode_32 3
		.amdhsa_float_denorm_mode_16_64 3
		.amdhsa_fp16_overflow 0
		.amdhsa_memory_ordered 1
		.amdhsa_forward_progress 1
		.amdhsa_inst_pref_size 26
		.amdhsa_round_robin_scheduling 0
		.amdhsa_exception_fp_ieee_invalid_op 0
		.amdhsa_exception_fp_denorm_src 0
		.amdhsa_exception_fp_ieee_div_zero 0
		.amdhsa_exception_fp_ieee_overflow 0
		.amdhsa_exception_fp_ieee_underflow 0
		.amdhsa_exception_fp_ieee_inexact 0
		.amdhsa_exception_int_div_zero 0
	.end_amdhsa_kernel
	.section	.text._ZN2at6native29vectorized_elementwise_kernelILi2EZZZNS0_12_GLOBAL__N_120isposinf_kernel_implERNS_18TensorIteratorBaseEENKUlvE_clEvENKUlvE_clEvEUldE_St5arrayIPcLm2EEEEviT0_T1_,"axG",@progbits,_ZN2at6native29vectorized_elementwise_kernelILi2EZZZNS0_12_GLOBAL__N_120isposinf_kernel_implERNS_18TensorIteratorBaseEENKUlvE_clEvENKUlvE_clEvEUldE_St5arrayIPcLm2EEEEviT0_T1_,comdat
.Lfunc_end35:
	.size	_ZN2at6native29vectorized_elementwise_kernelILi2EZZZNS0_12_GLOBAL__N_120isposinf_kernel_implERNS_18TensorIteratorBaseEENKUlvE_clEvENKUlvE_clEvEUldE_St5arrayIPcLm2EEEEviT0_T1_, .Lfunc_end35-_ZN2at6native29vectorized_elementwise_kernelILi2EZZZNS0_12_GLOBAL__N_120isposinf_kernel_implERNS_18TensorIteratorBaseEENKUlvE_clEvENKUlvE_clEvEUldE_St5arrayIPcLm2EEEEviT0_T1_
                                        ; -- End function
	.set _ZN2at6native29vectorized_elementwise_kernelILi2EZZZNS0_12_GLOBAL__N_120isposinf_kernel_implERNS_18TensorIteratorBaseEENKUlvE_clEvENKUlvE_clEvEUldE_St5arrayIPcLm2EEEEviT0_T1_.num_vgpr, 34
	.set _ZN2at6native29vectorized_elementwise_kernelILi2EZZZNS0_12_GLOBAL__N_120isposinf_kernel_implERNS_18TensorIteratorBaseEENKUlvE_clEvENKUlvE_clEvEUldE_St5arrayIPcLm2EEEEviT0_T1_.num_agpr, 0
	.set _ZN2at6native29vectorized_elementwise_kernelILi2EZZZNS0_12_GLOBAL__N_120isposinf_kernel_implERNS_18TensorIteratorBaseEENKUlvE_clEvENKUlvE_clEvEUldE_St5arrayIPcLm2EEEEviT0_T1_.numbered_sgpr, 24
	.set _ZN2at6native29vectorized_elementwise_kernelILi2EZZZNS0_12_GLOBAL__N_120isposinf_kernel_implERNS_18TensorIteratorBaseEENKUlvE_clEvENKUlvE_clEvEUldE_St5arrayIPcLm2EEEEviT0_T1_.num_named_barrier, 0
	.set _ZN2at6native29vectorized_elementwise_kernelILi2EZZZNS0_12_GLOBAL__N_120isposinf_kernel_implERNS_18TensorIteratorBaseEENKUlvE_clEvENKUlvE_clEvEUldE_St5arrayIPcLm2EEEEviT0_T1_.private_seg_size, 0
	.set _ZN2at6native29vectorized_elementwise_kernelILi2EZZZNS0_12_GLOBAL__N_120isposinf_kernel_implERNS_18TensorIteratorBaseEENKUlvE_clEvENKUlvE_clEvEUldE_St5arrayIPcLm2EEEEviT0_T1_.uses_vcc, 1
	.set _ZN2at6native29vectorized_elementwise_kernelILi2EZZZNS0_12_GLOBAL__N_120isposinf_kernel_implERNS_18TensorIteratorBaseEENKUlvE_clEvENKUlvE_clEvEUldE_St5arrayIPcLm2EEEEviT0_T1_.uses_flat_scratch, 0
	.set _ZN2at6native29vectorized_elementwise_kernelILi2EZZZNS0_12_GLOBAL__N_120isposinf_kernel_implERNS_18TensorIteratorBaseEENKUlvE_clEvENKUlvE_clEvEUldE_St5arrayIPcLm2EEEEviT0_T1_.has_dyn_sized_stack, 0
	.set _ZN2at6native29vectorized_elementwise_kernelILi2EZZZNS0_12_GLOBAL__N_120isposinf_kernel_implERNS_18TensorIteratorBaseEENKUlvE_clEvENKUlvE_clEvEUldE_St5arrayIPcLm2EEEEviT0_T1_.has_recursion, 0
	.set _ZN2at6native29vectorized_elementwise_kernelILi2EZZZNS0_12_GLOBAL__N_120isposinf_kernel_implERNS_18TensorIteratorBaseEENKUlvE_clEvENKUlvE_clEvEUldE_St5arrayIPcLm2EEEEviT0_T1_.has_indirect_call, 0
	.section	.AMDGPU.csdata,"",@progbits
; Kernel info:
; codeLenInByte = 3236
; TotalNumSgprs: 26
; NumVgprs: 34
; ScratchSize: 0
; MemoryBound: 0
; FloatMode: 240
; IeeeMode: 1
; LDSByteSize: 0 bytes/workgroup (compile time only)
; SGPRBlocks: 0
; VGPRBlocks: 2
; NumSGPRsForWavesPerEU: 26
; NumVGPRsForWavesPerEU: 34
; NamedBarCnt: 0
; Occupancy: 16
; WaveLimiterHint : 1
; COMPUTE_PGM_RSRC2:SCRATCH_EN: 0
; COMPUTE_PGM_RSRC2:USER_SGPR: 2
; COMPUTE_PGM_RSRC2:TRAP_HANDLER: 0
; COMPUTE_PGM_RSRC2:TGID_X_EN: 1
; COMPUTE_PGM_RSRC2:TGID_Y_EN: 0
; COMPUTE_PGM_RSRC2:TGID_Z_EN: 0
; COMPUTE_PGM_RSRC2:TIDIG_COMP_CNT: 0
	.section	.text._ZN2at6native27unrolled_elementwise_kernelIZZZNS0_12_GLOBAL__N_120isposinf_kernel_implERNS_18TensorIteratorBaseEENKUlvE_clEvENKUlvE_clEvEUldE_St5arrayIPcLm2EELi4E23TrivialOffsetCalculatorILi1EjESC_NS0_6memory15LoadWithoutCastENSD_16StoreWithoutCastEEEviT_T0_T2_T3_T4_T5_,"axG",@progbits,_ZN2at6native27unrolled_elementwise_kernelIZZZNS0_12_GLOBAL__N_120isposinf_kernel_implERNS_18TensorIteratorBaseEENKUlvE_clEvENKUlvE_clEvEUldE_St5arrayIPcLm2EELi4E23TrivialOffsetCalculatorILi1EjESC_NS0_6memory15LoadWithoutCastENSD_16StoreWithoutCastEEEviT_T0_T2_T3_T4_T5_,comdat
	.globl	_ZN2at6native27unrolled_elementwise_kernelIZZZNS0_12_GLOBAL__N_120isposinf_kernel_implERNS_18TensorIteratorBaseEENKUlvE_clEvENKUlvE_clEvEUldE_St5arrayIPcLm2EELi4E23TrivialOffsetCalculatorILi1EjESC_NS0_6memory15LoadWithoutCastENSD_16StoreWithoutCastEEEviT_T0_T2_T3_T4_T5_ ; -- Begin function _ZN2at6native27unrolled_elementwise_kernelIZZZNS0_12_GLOBAL__N_120isposinf_kernel_implERNS_18TensorIteratorBaseEENKUlvE_clEvENKUlvE_clEvEUldE_St5arrayIPcLm2EELi4E23TrivialOffsetCalculatorILi1EjESC_NS0_6memory15LoadWithoutCastENSD_16StoreWithoutCastEEEviT_T0_T2_T3_T4_T5_
	.p2align	8
	.type	_ZN2at6native27unrolled_elementwise_kernelIZZZNS0_12_GLOBAL__N_120isposinf_kernel_implERNS_18TensorIteratorBaseEENKUlvE_clEvENKUlvE_clEvEUldE_St5arrayIPcLm2EELi4E23TrivialOffsetCalculatorILi1EjESC_NS0_6memory15LoadWithoutCastENSD_16StoreWithoutCastEEEviT_T0_T2_T3_T4_T5_,@function
_ZN2at6native27unrolled_elementwise_kernelIZZZNS0_12_GLOBAL__N_120isposinf_kernel_implERNS_18TensorIteratorBaseEENKUlvE_clEvENKUlvE_clEvEUldE_St5arrayIPcLm2EELi4E23TrivialOffsetCalculatorILi1EjESC_NS0_6memory15LoadWithoutCastENSD_16StoreWithoutCastEEEviT_T0_T2_T3_T4_T5_: ; @_ZN2at6native27unrolled_elementwise_kernelIZZZNS0_12_GLOBAL__N_120isposinf_kernel_implERNS_18TensorIteratorBaseEENKUlvE_clEvENKUlvE_clEvEUldE_St5arrayIPcLm2EELi4E23TrivialOffsetCalculatorILi1EjESC_NS0_6memory15LoadWithoutCastENSD_16StoreWithoutCastEEEviT_T0_T2_T3_T4_T5_
; %bb.0:
	s_clause 0x1
	s_load_b32 s2, s[0:1], 0x0
	s_load_b128 s[4:7], s[0:1], 0x8
	s_bfe_u32 s3, ttmp6, 0x4000c
	s_wait_xcnt 0x0
	s_and_b32 s0, ttmp6, 15
	s_add_co_i32 s3, s3, 1
	v_or_b32_e32 v1, 0x100, v0
	s_mul_i32 s1, ttmp9, s3
	s_getreg_b32 s3, hwreg(HW_REG_IB_STS2, 6, 4)
	s_add_co_i32 s0, s0, s1
	s_cmp_eq_u32 s3, 0
	s_mov_b32 s8, 0
	s_cselect_b32 s0, ttmp9, s0
	s_mov_b32 s3, 0
	s_lshl_b32 s1, s0, 10
	s_delay_alu instid0(SALU_CYCLE_1) | instskip(SKIP_2) | instid1(SALU_CYCLE_1)
	v_dual_mov_b32 v3, v0 :: v_dual_bitop2_b32 v2, s1, v0 bitop3:0x54
	s_wait_kmcnt 0x0
	s_sub_co_i32 s2, s2, s1
	v_cmp_gt_i32_e32 vcc_lo, s2, v0
	s_and_saveexec_b32 s9, vcc_lo
	s_cbranch_execz .LBB36_2
; %bb.1:
	global_load_b64 v[4:5], v2, s[6:7] scale_offset
	v_or_b32_e32 v3, 0x100, v0
	s_wait_loadcnt 0x0
	v_cmp_eq_f64_e64 s0, 0x7ff00000, v[4:5]
	s_and_b32 s3, s0, exec_lo
.LBB36_2:
	s_or_b32 exec_lo, exec_lo, s9
	s_delay_alu instid0(SALU_CYCLE_1)
	s_mov_b32 s9, exec_lo
	v_cmpx_gt_i32_e64 s2, v3
	s_cbranch_execz .LBB36_4
; %bb.3:
	v_add_nc_u32_e32 v4, s1, v3
	v_add_nc_u32_e32 v3, 0x100, v3
	global_load_b64 v[4:5], v4, s[6:7] scale_offset
	s_wait_loadcnt 0x0
	v_cmp_eq_f64_e64 s0, 0x7ff00000, v[4:5]
	s_and_b32 s8, s0, exec_lo
.LBB36_4:
	s_or_b32 exec_lo, exec_lo, s9
	s_mov_b32 s9, 0
	s_mov_b32 s10, 0
	s_mov_b32 s11, exec_lo
	v_cmpx_gt_i32_e64 s2, v3
	s_cbranch_execz .LBB36_6
; %bb.5:
	v_add_nc_u32_e32 v4, s1, v3
	v_add_nc_u32_e32 v3, 0x100, v3
	global_load_b64 v[4:5], v4, s[6:7] scale_offset
	s_wait_loadcnt 0x0
	v_cmp_eq_f64_e64 s0, 0x7ff00000, v[4:5]
	s_and_b32 s10, s0, exec_lo
.LBB36_6:
	s_or_b32 exec_lo, exec_lo, s11
	s_delay_alu instid0(SALU_CYCLE_1)
	s_mov_b32 s11, exec_lo
	v_cmpx_gt_i32_e64 s2, v3
	s_cbranch_execz .LBB36_8
; %bb.7:
	v_add_nc_u32_e32 v3, s1, v3
	global_load_b64 v[4:5], v3, s[6:7] scale_offset
	s_wait_loadcnt 0x0
	v_cmp_eq_f64_e64 s0, 0x7ff00000, v[4:5]
	s_and_b32 s9, s0, exec_lo
.LBB36_8:
	s_or_b32 exec_lo, exec_lo, s11
	v_cndmask_b32_e64 v3, 0, 1, s3
	v_cndmask_b32_e64 v4, 0, 1, s8
	;; [unrolled: 1-line block ×3, first 2 shown]
	v_cmp_gt_i32_e64 s0, s2, v1
	s_delay_alu instid0(VALU_DEP_4) | instskip(NEXT) | instid1(VALU_DEP_4)
	v_cndmask_b32_e32 v3, 0, v3, vcc_lo
	v_lshlrev_b16 v4, 8, v4
	s_delay_alu instid0(VALU_DEP_1) | instskip(NEXT) | instid1(VALU_DEP_1)
	v_dual_lshlrev_b32 v5, 16, v5 :: v_dual_bitop2_b32 v4, v3, v4 bitop3:0x54
	v_and_b32_e32 v4, 0xffff, v4
	s_delay_alu instid0(VALU_DEP_1) | instskip(SKIP_1) | instid1(VALU_DEP_2)
	v_cndmask_b32_e64 v3, v3, v4, s0
	v_or_b32_e32 v4, 0x200, v0
	v_or_b32_e32 v5, v3, v5
	s_delay_alu instid0(VALU_DEP_2) | instskip(SKIP_1) | instid1(VALU_DEP_2)
	v_cmp_gt_i32_e64 s0, s2, v4
	v_cndmask_b32_e64 v4, 0, 1, s9
	v_cndmask_b32_e64 v3, v3, v5, s0
	s_delay_alu instid0(VALU_DEP_2) | instskip(NEXT) | instid1(VALU_DEP_2)
	v_lshlrev_b16 v4, 8, v4
	v_lshrrev_b32_e32 v5, 16, v3
	s_delay_alu instid0(VALU_DEP_1) | instskip(SKIP_1) | instid1(VALU_DEP_2)
	v_bitop3_b16 v4, v5, v4, 0xff bitop3:0xec
	v_or_b32_e32 v5, 0x300, v0
	v_lshlrev_b32_e32 v4, 16, v4
	s_delay_alu instid0(VALU_DEP_2) | instskip(NEXT) | instid1(VALU_DEP_2)
	v_cmp_gt_i32_e64 s0, s2, v5
	v_and_or_b32 v4, 0xffff, v3, v4
	s_delay_alu instid0(VALU_DEP_1)
	v_cndmask_b32_e64 v3, v3, v4, s0
	s_and_saveexec_b32 s0, vcc_lo
	s_cbranch_execnz .LBB36_13
; %bb.9:
	s_or_b32 exec_lo, exec_lo, s0
	s_delay_alu instid0(SALU_CYCLE_1)
	s_mov_b32 s0, exec_lo
	v_cmpx_gt_i32_e64 s2, v0
	s_cbranch_execnz .LBB36_14
.LBB36_10:
	s_or_b32 exec_lo, exec_lo, s0
	s_delay_alu instid0(SALU_CYCLE_1)
	s_mov_b32 s0, exec_lo
	v_cmpx_gt_i32_e64 s2, v0
	s_cbranch_execnz .LBB36_15
.LBB36_11:
	s_or_b32 exec_lo, exec_lo, s0
	s_delay_alu instid0(SALU_CYCLE_1)
	s_mov_b32 s0, exec_lo
	v_cmpx_gt_i32_e64 s2, v0
	s_cbranch_execnz .LBB36_16
.LBB36_12:
	s_endpgm
.LBB36_13:
	v_mov_b32_e32 v0, v1
	global_store_b8 v2, v3, s[4:5]
	s_wait_xcnt 0x0
	s_or_b32 exec_lo, exec_lo, s0
	s_delay_alu instid0(SALU_CYCLE_1)
	s_mov_b32 s0, exec_lo
	v_cmpx_gt_i32_e64 s2, v0
	s_cbranch_execz .LBB36_10
.LBB36_14:
	v_add_nc_u32_e32 v1, 0x100, v0
	v_dual_add_nc_u32 v2, s1, v0 :: v_dual_lshrrev_b32 v4, 8, v3
	s_delay_alu instid0(VALU_DEP_2) | instskip(SKIP_3) | instid1(SALU_CYCLE_1)
	v_mov_b32_e32 v0, v1
	global_store_b8 v2, v4, s[4:5]
	s_wait_xcnt 0x0
	s_or_b32 exec_lo, exec_lo, s0
	s_mov_b32 s0, exec_lo
	v_cmpx_gt_i32_e64 s2, v0
	s_cbranch_execz .LBB36_11
.LBB36_15:
	v_add_nc_u32_e32 v1, 0x100, v0
	s_delay_alu instid0(VALU_DEP_1) | instskip(SKIP_3) | instid1(SALU_CYCLE_1)
	v_dual_add_nc_u32 v2, s1, v0 :: v_dual_mov_b32 v0, v1
	global_store_d16_hi_b8 v2, v3, s[4:5]
	s_wait_xcnt 0x0
	s_or_b32 exec_lo, exec_lo, s0
	s_mov_b32 s0, exec_lo
	v_cmpx_gt_i32_e64 s2, v0
	s_cbranch_execz .LBB36_12
.LBB36_16:
	v_dual_add_nc_u32 v0, s1, v0 :: v_dual_lshrrev_b32 v1, 24, v3
	global_store_b8 v0, v1, s[4:5]
	s_endpgm
	.section	.rodata,"a",@progbits
	.p2align	6, 0x0
	.amdhsa_kernel _ZN2at6native27unrolled_elementwise_kernelIZZZNS0_12_GLOBAL__N_120isposinf_kernel_implERNS_18TensorIteratorBaseEENKUlvE_clEvENKUlvE_clEvEUldE_St5arrayIPcLm2EELi4E23TrivialOffsetCalculatorILi1EjESC_NS0_6memory15LoadWithoutCastENSD_16StoreWithoutCastEEEviT_T0_T2_T3_T4_T5_
		.amdhsa_group_segment_fixed_size 0
		.amdhsa_private_segment_fixed_size 0
		.amdhsa_kernarg_size 28
		.amdhsa_user_sgpr_count 2
		.amdhsa_user_sgpr_dispatch_ptr 0
		.amdhsa_user_sgpr_queue_ptr 0
		.amdhsa_user_sgpr_kernarg_segment_ptr 1
		.amdhsa_user_sgpr_dispatch_id 0
		.amdhsa_user_sgpr_kernarg_preload_length 0
		.amdhsa_user_sgpr_kernarg_preload_offset 0
		.amdhsa_user_sgpr_private_segment_size 0
		.amdhsa_wavefront_size32 1
		.amdhsa_uses_dynamic_stack 0
		.amdhsa_enable_private_segment 0
		.amdhsa_system_sgpr_workgroup_id_x 1
		.amdhsa_system_sgpr_workgroup_id_y 0
		.amdhsa_system_sgpr_workgroup_id_z 0
		.amdhsa_system_sgpr_workgroup_info 0
		.amdhsa_system_vgpr_workitem_id 0
		.amdhsa_next_free_vgpr 6
		.amdhsa_next_free_sgpr 12
		.amdhsa_named_barrier_count 0
		.amdhsa_reserve_vcc 1
		.amdhsa_float_round_mode_32 0
		.amdhsa_float_round_mode_16_64 0
		.amdhsa_float_denorm_mode_32 3
		.amdhsa_float_denorm_mode_16_64 3
		.amdhsa_fp16_overflow 0
		.amdhsa_memory_ordered 1
		.amdhsa_forward_progress 1
		.amdhsa_inst_pref_size 7
		.amdhsa_round_robin_scheduling 0
		.amdhsa_exception_fp_ieee_invalid_op 0
		.amdhsa_exception_fp_denorm_src 0
		.amdhsa_exception_fp_ieee_div_zero 0
		.amdhsa_exception_fp_ieee_overflow 0
		.amdhsa_exception_fp_ieee_underflow 0
		.amdhsa_exception_fp_ieee_inexact 0
		.amdhsa_exception_int_div_zero 0
	.end_amdhsa_kernel
	.section	.text._ZN2at6native27unrolled_elementwise_kernelIZZZNS0_12_GLOBAL__N_120isposinf_kernel_implERNS_18TensorIteratorBaseEENKUlvE_clEvENKUlvE_clEvEUldE_St5arrayIPcLm2EELi4E23TrivialOffsetCalculatorILi1EjESC_NS0_6memory15LoadWithoutCastENSD_16StoreWithoutCastEEEviT_T0_T2_T3_T4_T5_,"axG",@progbits,_ZN2at6native27unrolled_elementwise_kernelIZZZNS0_12_GLOBAL__N_120isposinf_kernel_implERNS_18TensorIteratorBaseEENKUlvE_clEvENKUlvE_clEvEUldE_St5arrayIPcLm2EELi4E23TrivialOffsetCalculatorILi1EjESC_NS0_6memory15LoadWithoutCastENSD_16StoreWithoutCastEEEviT_T0_T2_T3_T4_T5_,comdat
.Lfunc_end36:
	.size	_ZN2at6native27unrolled_elementwise_kernelIZZZNS0_12_GLOBAL__N_120isposinf_kernel_implERNS_18TensorIteratorBaseEENKUlvE_clEvENKUlvE_clEvEUldE_St5arrayIPcLm2EELi4E23TrivialOffsetCalculatorILi1EjESC_NS0_6memory15LoadWithoutCastENSD_16StoreWithoutCastEEEviT_T0_T2_T3_T4_T5_, .Lfunc_end36-_ZN2at6native27unrolled_elementwise_kernelIZZZNS0_12_GLOBAL__N_120isposinf_kernel_implERNS_18TensorIteratorBaseEENKUlvE_clEvENKUlvE_clEvEUldE_St5arrayIPcLm2EELi4E23TrivialOffsetCalculatorILi1EjESC_NS0_6memory15LoadWithoutCastENSD_16StoreWithoutCastEEEviT_T0_T2_T3_T4_T5_
                                        ; -- End function
	.set _ZN2at6native27unrolled_elementwise_kernelIZZZNS0_12_GLOBAL__N_120isposinf_kernel_implERNS_18TensorIteratorBaseEENKUlvE_clEvENKUlvE_clEvEUldE_St5arrayIPcLm2EELi4E23TrivialOffsetCalculatorILi1EjESC_NS0_6memory15LoadWithoutCastENSD_16StoreWithoutCastEEEviT_T0_T2_T3_T4_T5_.num_vgpr, 6
	.set _ZN2at6native27unrolled_elementwise_kernelIZZZNS0_12_GLOBAL__N_120isposinf_kernel_implERNS_18TensorIteratorBaseEENKUlvE_clEvENKUlvE_clEvEUldE_St5arrayIPcLm2EELi4E23TrivialOffsetCalculatorILi1EjESC_NS0_6memory15LoadWithoutCastENSD_16StoreWithoutCastEEEviT_T0_T2_T3_T4_T5_.num_agpr, 0
	.set _ZN2at6native27unrolled_elementwise_kernelIZZZNS0_12_GLOBAL__N_120isposinf_kernel_implERNS_18TensorIteratorBaseEENKUlvE_clEvENKUlvE_clEvEUldE_St5arrayIPcLm2EELi4E23TrivialOffsetCalculatorILi1EjESC_NS0_6memory15LoadWithoutCastENSD_16StoreWithoutCastEEEviT_T0_T2_T3_T4_T5_.numbered_sgpr, 12
	.set _ZN2at6native27unrolled_elementwise_kernelIZZZNS0_12_GLOBAL__N_120isposinf_kernel_implERNS_18TensorIteratorBaseEENKUlvE_clEvENKUlvE_clEvEUldE_St5arrayIPcLm2EELi4E23TrivialOffsetCalculatorILi1EjESC_NS0_6memory15LoadWithoutCastENSD_16StoreWithoutCastEEEviT_T0_T2_T3_T4_T5_.num_named_barrier, 0
	.set _ZN2at6native27unrolled_elementwise_kernelIZZZNS0_12_GLOBAL__N_120isposinf_kernel_implERNS_18TensorIteratorBaseEENKUlvE_clEvENKUlvE_clEvEUldE_St5arrayIPcLm2EELi4E23TrivialOffsetCalculatorILi1EjESC_NS0_6memory15LoadWithoutCastENSD_16StoreWithoutCastEEEviT_T0_T2_T3_T4_T5_.private_seg_size, 0
	.set _ZN2at6native27unrolled_elementwise_kernelIZZZNS0_12_GLOBAL__N_120isposinf_kernel_implERNS_18TensorIteratorBaseEENKUlvE_clEvENKUlvE_clEvEUldE_St5arrayIPcLm2EELi4E23TrivialOffsetCalculatorILi1EjESC_NS0_6memory15LoadWithoutCastENSD_16StoreWithoutCastEEEviT_T0_T2_T3_T4_T5_.uses_vcc, 1
	.set _ZN2at6native27unrolled_elementwise_kernelIZZZNS0_12_GLOBAL__N_120isposinf_kernel_implERNS_18TensorIteratorBaseEENKUlvE_clEvENKUlvE_clEvEUldE_St5arrayIPcLm2EELi4E23TrivialOffsetCalculatorILi1EjESC_NS0_6memory15LoadWithoutCastENSD_16StoreWithoutCastEEEviT_T0_T2_T3_T4_T5_.uses_flat_scratch, 0
	.set _ZN2at6native27unrolled_elementwise_kernelIZZZNS0_12_GLOBAL__N_120isposinf_kernel_implERNS_18TensorIteratorBaseEENKUlvE_clEvENKUlvE_clEvEUldE_St5arrayIPcLm2EELi4E23TrivialOffsetCalculatorILi1EjESC_NS0_6memory15LoadWithoutCastENSD_16StoreWithoutCastEEEviT_T0_T2_T3_T4_T5_.has_dyn_sized_stack, 0
	.set _ZN2at6native27unrolled_elementwise_kernelIZZZNS0_12_GLOBAL__N_120isposinf_kernel_implERNS_18TensorIteratorBaseEENKUlvE_clEvENKUlvE_clEvEUldE_St5arrayIPcLm2EELi4E23TrivialOffsetCalculatorILi1EjESC_NS0_6memory15LoadWithoutCastENSD_16StoreWithoutCastEEEviT_T0_T2_T3_T4_T5_.has_recursion, 0
	.set _ZN2at6native27unrolled_elementwise_kernelIZZZNS0_12_GLOBAL__N_120isposinf_kernel_implERNS_18TensorIteratorBaseEENKUlvE_clEvENKUlvE_clEvEUldE_St5arrayIPcLm2EELi4E23TrivialOffsetCalculatorILi1EjESC_NS0_6memory15LoadWithoutCastENSD_16StoreWithoutCastEEEviT_T0_T2_T3_T4_T5_.has_indirect_call, 0
	.section	.AMDGPU.csdata,"",@progbits
; Kernel info:
; codeLenInByte = 844
; TotalNumSgprs: 14
; NumVgprs: 6
; ScratchSize: 0
; MemoryBound: 0
; FloatMode: 240
; IeeeMode: 1
; LDSByteSize: 0 bytes/workgroup (compile time only)
; SGPRBlocks: 0
; VGPRBlocks: 0
; NumSGPRsForWavesPerEU: 14
; NumVGPRsForWavesPerEU: 6
; NamedBarCnt: 0
; Occupancy: 16
; WaveLimiterHint : 0
; COMPUTE_PGM_RSRC2:SCRATCH_EN: 0
; COMPUTE_PGM_RSRC2:USER_SGPR: 2
; COMPUTE_PGM_RSRC2:TRAP_HANDLER: 0
; COMPUTE_PGM_RSRC2:TGID_X_EN: 1
; COMPUTE_PGM_RSRC2:TGID_Y_EN: 0
; COMPUTE_PGM_RSRC2:TGID_Z_EN: 0
; COMPUTE_PGM_RSRC2:TIDIG_COMP_CNT: 0
	.section	.text._ZN2at6native32elementwise_kernel_manual_unrollILi128ELi8EZNS0_22gpu_kernel_impl_nocastIZZZNS0_12_GLOBAL__N_120isposinf_kernel_implERNS_18TensorIteratorBaseEENKUlvE_clEvENKUlvE_clEvEUldE_EEvS5_RKT_EUlibE_EEviT1_,"axG",@progbits,_ZN2at6native32elementwise_kernel_manual_unrollILi128ELi8EZNS0_22gpu_kernel_impl_nocastIZZZNS0_12_GLOBAL__N_120isposinf_kernel_implERNS_18TensorIteratorBaseEENKUlvE_clEvENKUlvE_clEvEUldE_EEvS5_RKT_EUlibE_EEviT1_,comdat
	.globl	_ZN2at6native32elementwise_kernel_manual_unrollILi128ELi8EZNS0_22gpu_kernel_impl_nocastIZZZNS0_12_GLOBAL__N_120isposinf_kernel_implERNS_18TensorIteratorBaseEENKUlvE_clEvENKUlvE_clEvEUldE_EEvS5_RKT_EUlibE_EEviT1_ ; -- Begin function _ZN2at6native32elementwise_kernel_manual_unrollILi128ELi8EZNS0_22gpu_kernel_impl_nocastIZZZNS0_12_GLOBAL__N_120isposinf_kernel_implERNS_18TensorIteratorBaseEENKUlvE_clEvENKUlvE_clEvEUldE_EEvS5_RKT_EUlibE_EEviT1_
	.p2align	8
	.type	_ZN2at6native32elementwise_kernel_manual_unrollILi128ELi8EZNS0_22gpu_kernel_impl_nocastIZZZNS0_12_GLOBAL__N_120isposinf_kernel_implERNS_18TensorIteratorBaseEENKUlvE_clEvENKUlvE_clEvEUldE_EEvS5_RKT_EUlibE_EEviT1_,@function
_ZN2at6native32elementwise_kernel_manual_unrollILi128ELi8EZNS0_22gpu_kernel_impl_nocastIZZZNS0_12_GLOBAL__N_120isposinf_kernel_implERNS_18TensorIteratorBaseEENKUlvE_clEvENKUlvE_clEvEUldE_EEvS5_RKT_EUlibE_EEviT1_: ; @_ZN2at6native32elementwise_kernel_manual_unrollILi128ELi8EZNS0_22gpu_kernel_impl_nocastIZZZNS0_12_GLOBAL__N_120isposinf_kernel_implERNS_18TensorIteratorBaseEENKUlvE_clEvENKUlvE_clEvEUldE_EEvS5_RKT_EUlibE_EEviT1_
; %bb.0:
	s_clause 0x1
	s_load_b32 s28, s[0:1], 0x8
	s_load_b32 s34, s[0:1], 0x0
	s_bfe_u32 s2, ttmp6, 0x4000c
	s_and_b32 s3, ttmp6, 15
	s_add_co_i32 s2, s2, 1
	s_getreg_b32 s4, hwreg(HW_REG_IB_STS2, 6, 4)
	s_mul_i32 s2, ttmp9, s2
	s_add_nc_u64 s[12:13], s[0:1], 8
	s_add_co_i32 s3, s3, s2
	s_cmp_eq_u32 s4, 0
	s_mov_b32 s17, 0
	s_cselect_b32 s2, ttmp9, s3
	s_wait_xcnt 0x0
	s_mov_b32 s0, exec_lo
	v_lshl_or_b32 v0, s2, 10, v0
	s_delay_alu instid0(VALU_DEP_1) | instskip(SKIP_2) | instid1(SALU_CYCLE_1)
	v_or_b32_e32 v16, 0x380, v0
	s_wait_kmcnt 0x0
	s_add_co_i32 s29, s28, -1
	s_cmp_gt_u32 s29, 1
	s_cselect_b32 s30, -1, 0
	v_cmpx_le_i32_e64 s34, v16
	s_xor_b32 s31, exec_lo, s0
	s_cbranch_execz .LBB37_7
; %bb.1:
	s_clause 0x3
	s_load_b128 s[4:7], s[12:13], 0x4
	s_load_b64 s[14:15], s[12:13], 0x14
	s_load_b128 s[8:11], s[12:13], 0xc4
	s_load_b128 s[0:3], s[12:13], 0x148
	s_cmp_lg_u32 s28, 0
	s_add_nc_u64 s[20:21], s[12:13], 0xc4
	s_cselect_b32 s36, -1, 0
	s_min_u32 s35, s29, 15
	s_cmp_gt_u32 s28, 1
	s_mov_b32 s19, s17
	s_cselect_b32 s33, -1, 0
	s_wait_kmcnt 0x0
	s_mov_b32 s16, s5
	s_mov_b32 s18, s14
	s_mov_b32 s5, exec_lo
	v_cmpx_gt_i32_e64 s34, v0
	s_cbranch_execz .LBB37_14
; %bb.2:
	s_and_not1_b32 vcc_lo, exec_lo, s30
	s_cbranch_vccnz .LBB37_21
; %bb.3:
	s_and_not1_b32 vcc_lo, exec_lo, s36
	s_cbranch_vccnz .LBB37_129
; %bb.4:
	s_add_co_i32 s14, s35, 1
	s_cmp_eq_u32 s29, 2
	s_cbranch_scc1 .LBB37_131
; %bb.5:
	v_dual_mov_b32 v2, 0 :: v_dual_mov_b32 v3, 0
	v_mov_b32_e32 v1, v0
	s_and_b32 s22, s14, 28
	s_mov_b32 s23, 0
	s_mov_b64 s[24:25], s[12:13]
	s_mov_b64 s[26:27], s[20:21]
.LBB37_6:                               ; =>This Inner Loop Header: Depth=1
	s_clause 0x1
	s_load_b256 s[40:47], s[24:25], 0x4
	s_load_b128 s[56:59], s[24:25], 0x24
	s_load_b256 s[48:55], s[26:27], 0x0
	s_add_co_i32 s23, s23, 4
	s_wait_xcnt 0x0
	s_add_nc_u64 s[24:25], s[24:25], 48
	s_cmp_lg_u32 s22, s23
	s_add_nc_u64 s[26:27], s[26:27], 32
	s_wait_kmcnt 0x0
	v_mul_hi_u32 v4, s41, v1
	s_delay_alu instid0(VALU_DEP_1) | instskip(NEXT) | instid1(VALU_DEP_1)
	v_add_nc_u32_e32 v4, v1, v4
	v_lshrrev_b32_e32 v4, s42, v4
	s_delay_alu instid0(VALU_DEP_1) | instskip(NEXT) | instid1(VALU_DEP_1)
	v_mul_hi_u32 v5, s44, v4
	v_add_nc_u32_e32 v5, v4, v5
	s_delay_alu instid0(VALU_DEP_1) | instskip(NEXT) | instid1(VALU_DEP_1)
	v_lshrrev_b32_e32 v5, s45, v5
	v_mul_hi_u32 v6, s47, v5
	s_delay_alu instid0(VALU_DEP_1) | instskip(SKIP_1) | instid1(VALU_DEP_1)
	v_add_nc_u32_e32 v6, v5, v6
	v_mul_lo_u32 v7, v4, s40
	v_sub_nc_u32_e32 v1, v1, v7
	v_mul_lo_u32 v7, v5, s43
	s_delay_alu instid0(VALU_DEP_4) | instskip(NEXT) | instid1(VALU_DEP_3)
	v_lshrrev_b32_e32 v6, s56, v6
	v_mad_u32 v3, v1, s49, v3
	v_mad_u32 v1, v1, s48, v2
	s_delay_alu instid0(VALU_DEP_4) | instskip(NEXT) | instid1(VALU_DEP_4)
	v_sub_nc_u32_e32 v2, v4, v7
	v_mul_hi_u32 v8, s58, v6
	v_mul_lo_u32 v4, v6, s46
	s_delay_alu instid0(VALU_DEP_3) | instskip(SKIP_1) | instid1(VALU_DEP_4)
	v_mad_u32 v3, v2, s51, v3
	v_mad_u32 v2, v2, s50, v1
	v_add_nc_u32_e32 v7, v6, v8
	s_delay_alu instid0(VALU_DEP_1) | instskip(NEXT) | instid1(VALU_DEP_1)
	v_dual_sub_nc_u32 v4, v5, v4 :: v_dual_lshrrev_b32 v1, s59, v7
	v_mad_u32 v3, v4, s53, v3
	s_delay_alu instid0(VALU_DEP_4) | instskip(NEXT) | instid1(VALU_DEP_3)
	v_mad_u32 v2, v4, s52, v2
	v_mul_lo_u32 v5, v1, s57
	s_delay_alu instid0(VALU_DEP_1) | instskip(NEXT) | instid1(VALU_DEP_1)
	v_sub_nc_u32_e32 v4, v6, v5
	v_mad_u32 v3, v4, s55, v3
	s_delay_alu instid0(VALU_DEP_4)
	v_mad_u32 v2, v4, s54, v2
	s_cbranch_scc1 .LBB37_6
	s_branch .LBB37_132
.LBB37_7:
	s_and_not1_saveexec_b32 s0, s31
	s_cbranch_execz .LBB37_221
.LBB37_8:
	v_cndmask_b32_e64 v14, 0, 1, s30
	s_and_not1_b32 vcc_lo, exec_lo, s30
	s_cbranch_vccnz .LBB37_20
; %bb.9:
	s_cmp_lg_u32 s28, 0
	s_mov_b32 s6, 0
	s_cbranch_scc0 .LBB37_23
; %bb.10:
	s_min_u32 s1, s29, 15
	s_delay_alu instid0(SALU_CYCLE_1)
	s_add_co_i32 s1, s1, 1
	s_cmp_eq_u32 s29, 2
	s_cbranch_scc1 .LBB37_24
; %bb.11:
	v_dual_mov_b32 v2, 0 :: v_dual_mov_b32 v3, 0
	v_mov_b32_e32 v1, v0
	s_and_b32 s0, s1, 28
	s_add_nc_u64 s[2:3], s[12:13], 0xc4
	s_mov_b32 s7, 0
	s_mov_b64 s[4:5], s[12:13]
.LBB37_12:                              ; =>This Inner Loop Header: Depth=1
	s_clause 0x1
	s_load_b256 s[16:23], s[4:5], 0x4
	s_load_b128 s[8:11], s[4:5], 0x24
	s_load_b256 s[36:43], s[2:3], 0x0
	s_add_co_i32 s7, s7, 4
	s_wait_xcnt 0x0
	s_add_nc_u64 s[4:5], s[4:5], 48
	s_cmp_lg_u32 s0, s7
	s_add_nc_u64 s[2:3], s[2:3], 32
	s_wait_kmcnt 0x0
	v_mul_hi_u32 v4, s17, v1
	s_delay_alu instid0(VALU_DEP_1) | instskip(NEXT) | instid1(VALU_DEP_1)
	v_add_nc_u32_e32 v4, v1, v4
	v_lshrrev_b32_e32 v4, s18, v4
	s_delay_alu instid0(VALU_DEP_1) | instskip(NEXT) | instid1(VALU_DEP_1)
	v_mul_hi_u32 v5, s20, v4
	v_add_nc_u32_e32 v5, v4, v5
	s_delay_alu instid0(VALU_DEP_1) | instskip(NEXT) | instid1(VALU_DEP_1)
	v_lshrrev_b32_e32 v5, s21, v5
	v_mul_hi_u32 v6, s23, v5
	s_delay_alu instid0(VALU_DEP_1) | instskip(SKIP_1) | instid1(VALU_DEP_1)
	v_add_nc_u32_e32 v6, v5, v6
	v_mul_lo_u32 v7, v4, s16
	v_sub_nc_u32_e32 v1, v1, v7
	v_mul_lo_u32 v7, v5, s19
	s_delay_alu instid0(VALU_DEP_4) | instskip(NEXT) | instid1(VALU_DEP_3)
	v_lshrrev_b32_e32 v6, s8, v6
	v_mad_u32 v3, v1, s37, v3
	v_mad_u32 v1, v1, s36, v2
	s_delay_alu instid0(VALU_DEP_4) | instskip(NEXT) | instid1(VALU_DEP_4)
	v_sub_nc_u32_e32 v2, v4, v7
	v_mul_hi_u32 v8, s10, v6
	v_mul_lo_u32 v4, v6, s22
	s_delay_alu instid0(VALU_DEP_3) | instskip(SKIP_1) | instid1(VALU_DEP_4)
	v_mad_u32 v3, v2, s39, v3
	v_mad_u32 v2, v2, s38, v1
	v_add_nc_u32_e32 v7, v6, v8
	s_delay_alu instid0(VALU_DEP_1) | instskip(NEXT) | instid1(VALU_DEP_1)
	v_dual_sub_nc_u32 v4, v5, v4 :: v_dual_lshrrev_b32 v1, s11, v7
	v_mad_u32 v3, v4, s41, v3
	s_delay_alu instid0(VALU_DEP_4) | instskip(NEXT) | instid1(VALU_DEP_3)
	v_mad_u32 v2, v4, s40, v2
	v_mul_lo_u32 v5, v1, s9
	s_delay_alu instid0(VALU_DEP_1) | instskip(NEXT) | instid1(VALU_DEP_1)
	v_sub_nc_u32_e32 v4, v6, v5
	v_mad_u32 v3, v4, s43, v3
	s_delay_alu instid0(VALU_DEP_4)
	v_mad_u32 v2, v4, s42, v2
	s_cbranch_scc1 .LBB37_12
; %bb.13:
	s_and_b32 s4, s1, 3
	s_mov_b32 s1, 0
	s_cmp_eq_u32 s4, 0
	s_cbranch_scc0 .LBB37_25
	s_branch .LBB37_27
.LBB37_14:
	s_or_b32 exec_lo, exec_lo, s5
	s_delay_alu instid0(SALU_CYCLE_1)
	s_mov_b32 s5, exec_lo
	v_cmpx_gt_i32_e64 s34, v0
	s_cbranch_execz .LBB37_139
.LBB37_15:
	s_and_not1_b32 vcc_lo, exec_lo, s30
	s_cbranch_vccnz .LBB37_22
; %bb.16:
	s_and_not1_b32 vcc_lo, exec_lo, s36
	s_cbranch_vccnz .LBB37_130
; %bb.17:
	s_add_co_i32 s14, s35, 1
	s_cmp_eq_u32 s29, 2
	s_cbranch_scc1 .LBB37_147
; %bb.18:
	v_dual_mov_b32 v2, 0 :: v_dual_mov_b32 v3, 0
	v_mov_b32_e32 v1, v0
	s_and_b32 s22, s14, 28
	s_mov_b32 s23, 0
	s_mov_b64 s[24:25], s[12:13]
	s_mov_b64 s[26:27], s[20:21]
.LBB37_19:                              ; =>This Inner Loop Header: Depth=1
	s_clause 0x1
	s_load_b256 s[40:47], s[24:25], 0x4
	s_load_b128 s[56:59], s[24:25], 0x24
	s_load_b256 s[48:55], s[26:27], 0x0
	s_add_co_i32 s23, s23, 4
	s_wait_xcnt 0x0
	s_add_nc_u64 s[24:25], s[24:25], 48
	s_cmp_eq_u32 s22, s23
	s_add_nc_u64 s[26:27], s[26:27], 32
	s_wait_kmcnt 0x0
	v_mul_hi_u32 v4, s41, v1
	s_delay_alu instid0(VALU_DEP_1) | instskip(NEXT) | instid1(VALU_DEP_1)
	v_add_nc_u32_e32 v4, v1, v4
	v_lshrrev_b32_e32 v4, s42, v4
	s_delay_alu instid0(VALU_DEP_1) | instskip(NEXT) | instid1(VALU_DEP_1)
	v_mul_hi_u32 v5, s44, v4
	v_add_nc_u32_e32 v5, v4, v5
	s_delay_alu instid0(VALU_DEP_1) | instskip(NEXT) | instid1(VALU_DEP_1)
	v_lshrrev_b32_e32 v5, s45, v5
	v_mul_hi_u32 v6, s47, v5
	s_delay_alu instid0(VALU_DEP_1) | instskip(SKIP_1) | instid1(VALU_DEP_1)
	v_add_nc_u32_e32 v6, v5, v6
	v_mul_lo_u32 v7, v4, s40
	v_sub_nc_u32_e32 v1, v1, v7
	v_mul_lo_u32 v7, v5, s43
	s_delay_alu instid0(VALU_DEP_4) | instskip(NEXT) | instid1(VALU_DEP_3)
	v_lshrrev_b32_e32 v6, s56, v6
	v_mad_u32 v3, v1, s49, v3
	v_mad_u32 v1, v1, s48, v2
	s_delay_alu instid0(VALU_DEP_4) | instskip(NEXT) | instid1(VALU_DEP_4)
	v_sub_nc_u32_e32 v2, v4, v7
	v_mul_hi_u32 v8, s58, v6
	v_mul_lo_u32 v4, v6, s46
	s_delay_alu instid0(VALU_DEP_3) | instskip(SKIP_1) | instid1(VALU_DEP_4)
	v_mad_u32 v3, v2, s51, v3
	v_mad_u32 v2, v2, s50, v1
	v_add_nc_u32_e32 v7, v6, v8
	s_delay_alu instid0(VALU_DEP_1) | instskip(NEXT) | instid1(VALU_DEP_1)
	v_dual_sub_nc_u32 v4, v5, v4 :: v_dual_lshrrev_b32 v1, s59, v7
	v_mad_u32 v3, v4, s53, v3
	s_delay_alu instid0(VALU_DEP_4) | instskip(NEXT) | instid1(VALU_DEP_3)
	v_mad_u32 v2, v4, s52, v2
	v_mul_lo_u32 v5, v1, s57
	s_delay_alu instid0(VALU_DEP_1) | instskip(NEXT) | instid1(VALU_DEP_1)
	v_sub_nc_u32_e32 v4, v6, v5
	v_mad_u32 v3, v4, s55, v3
	s_delay_alu instid0(VALU_DEP_4)
	v_mad_u32 v2, v4, s54, v2
	s_cbranch_scc0 .LBB37_19
	s_branch .LBB37_148
.LBB37_20:
	s_mov_b32 s6, -1
                                        ; implicit-def: $vgpr3
	s_branch .LBB37_27
.LBB37_21:
                                        ; implicit-def: $vgpr3
	s_branch .LBB37_136
.LBB37_22:
                                        ; implicit-def: $vgpr3
	s_branch .LBB37_152
.LBB37_23:
	v_dual_mov_b32 v3, 0 :: v_dual_mov_b32 v2, 0
	s_branch .LBB37_27
.LBB37_24:
	v_mov_b64_e32 v[2:3], 0
	v_mov_b32_e32 v1, v0
	s_mov_b32 s0, 0
	s_and_b32 s4, s1, 3
	s_mov_b32 s1, 0
	s_cmp_eq_u32 s4, 0
	s_cbranch_scc1 .LBB37_27
.LBB37_25:
	s_lshl_b32 s2, s0, 3
	s_mov_b32 s3, s1
	s_mul_u64 s[8:9], s[0:1], 12
	s_add_nc_u64 s[2:3], s[12:13], s[2:3]
	s_delay_alu instid0(SALU_CYCLE_1)
	s_add_nc_u64 s[0:1], s[2:3], 0xc4
	s_add_nc_u64 s[2:3], s[12:13], s[8:9]
.LBB37_26:                              ; =>This Inner Loop Header: Depth=1
	s_load_b96 s[8:10], s[2:3], 0x4
	s_add_co_i32 s4, s4, -1
	s_wait_xcnt 0x0
	s_add_nc_u64 s[2:3], s[2:3], 12
	s_cmp_lg_u32 s4, 0
	s_wait_kmcnt 0x0
	v_mul_hi_u32 v4, s9, v1
	s_delay_alu instid0(VALU_DEP_1) | instskip(NEXT) | instid1(VALU_DEP_1)
	v_add_nc_u32_e32 v4, v1, v4
	v_lshrrev_b32_e32 v4, s10, v4
	s_load_b64 s[10:11], s[0:1], 0x0
	s_wait_xcnt 0x0
	s_add_nc_u64 s[0:1], s[0:1], 8
	s_delay_alu instid0(VALU_DEP_1) | instskip(NEXT) | instid1(VALU_DEP_1)
	v_mul_lo_u32 v5, v4, s8
	v_sub_nc_u32_e32 v1, v1, v5
	s_wait_kmcnt 0x0
	s_delay_alu instid0(VALU_DEP_1)
	v_mad_u32 v3, v1, s11, v3
	v_mad_u32 v2, v1, s10, v2
	v_mov_b32_e32 v1, v4
	s_cbranch_scc1 .LBB37_26
.LBB37_27:
	s_and_not1_b32 vcc_lo, exec_lo, s6
	s_cbranch_vccnz .LBB37_30
; %bb.28:
	s_clause 0x1
	s_load_b96 s[0:2], s[12:13], 0x4
	s_load_b64 s[4:5], s[12:13], 0xc4
	s_cmp_lt_u32 s28, 2
	s_wait_kmcnt 0x0
	v_mul_hi_u32 v1, s1, v0
	s_delay_alu instid0(VALU_DEP_1) | instskip(NEXT) | instid1(VALU_DEP_1)
	v_add_nc_u32_e32 v1, v0, v1
	v_lshrrev_b32_e32 v1, s2, v1
	s_delay_alu instid0(VALU_DEP_1) | instskip(NEXT) | instid1(VALU_DEP_1)
	v_mul_lo_u32 v2, v1, s0
	v_sub_nc_u32_e32 v2, v0, v2
	s_delay_alu instid0(VALU_DEP_1)
	v_mul_lo_u32 v3, v2, s5
	v_mul_lo_u32 v2, v2, s4
	s_cbranch_scc1 .LBB37_30
; %bb.29:
	s_clause 0x1
	s_load_b96 s[0:2], s[12:13], 0x10
	s_load_b64 s[4:5], s[12:13], 0xcc
	s_wait_kmcnt 0x0
	v_mul_hi_u32 v4, s1, v1
	s_delay_alu instid0(VALU_DEP_1) | instskip(NEXT) | instid1(VALU_DEP_1)
	v_add_nc_u32_e32 v4, v1, v4
	v_lshrrev_b32_e32 v4, s2, v4
	s_delay_alu instid0(VALU_DEP_1) | instskip(NEXT) | instid1(VALU_DEP_1)
	v_mul_lo_u32 v4, v4, s0
	v_sub_nc_u32_e32 v1, v1, v4
	s_delay_alu instid0(VALU_DEP_1)
	v_mad_u32 v2, v1, s4, v2
	v_mad_u32 v3, v1, s5, v3
.LBB37_30:
	v_cmp_ne_u32_e32 vcc_lo, 1, v14
	v_add_nc_u32_e32 v1, 0x80, v0
	s_cbranch_vccnz .LBB37_36
; %bb.31:
	s_cmp_lg_u32 s28, 0
	s_mov_b32 s6, 0
	s_cbranch_scc0 .LBB37_37
; %bb.32:
	s_min_u32 s1, s29, 15
	s_delay_alu instid0(SALU_CYCLE_1)
	s_add_co_i32 s1, s1, 1
	s_cmp_eq_u32 s29, 2
	s_cbranch_scc1 .LBB37_38
; %bb.33:
	v_dual_mov_b32 v4, 0 :: v_dual_mov_b32 v5, 0
	v_mov_b32_e32 v6, v1
	s_and_b32 s0, s1, 28
	s_add_nc_u64 s[2:3], s[12:13], 0xc4
	s_mov_b32 s7, 0
	s_mov_b64 s[4:5], s[12:13]
.LBB37_34:                              ; =>This Inner Loop Header: Depth=1
	s_clause 0x1
	s_load_b256 s[16:23], s[4:5], 0x4
	s_load_b128 s[8:11], s[4:5], 0x24
	s_load_b256 s[36:43], s[2:3], 0x0
	s_add_co_i32 s7, s7, 4
	s_wait_xcnt 0x0
	s_add_nc_u64 s[4:5], s[4:5], 48
	s_cmp_lg_u32 s0, s7
	s_add_nc_u64 s[2:3], s[2:3], 32
	s_wait_kmcnt 0x0
	v_mul_hi_u32 v7, s17, v6
	s_delay_alu instid0(VALU_DEP_1) | instskip(NEXT) | instid1(VALU_DEP_1)
	v_add_nc_u32_e32 v7, v6, v7
	v_lshrrev_b32_e32 v7, s18, v7
	s_delay_alu instid0(VALU_DEP_1) | instskip(NEXT) | instid1(VALU_DEP_1)
	v_mul_hi_u32 v8, s20, v7
	v_add_nc_u32_e32 v8, v7, v8
	s_delay_alu instid0(VALU_DEP_1) | instskip(NEXT) | instid1(VALU_DEP_1)
	v_lshrrev_b32_e32 v8, s21, v8
	v_mul_hi_u32 v9, s23, v8
	s_delay_alu instid0(VALU_DEP_1) | instskip(SKIP_1) | instid1(VALU_DEP_1)
	v_add_nc_u32_e32 v9, v8, v9
	v_mul_lo_u32 v10, v7, s16
	v_sub_nc_u32_e32 v6, v6, v10
	v_mul_lo_u32 v10, v8, s19
	s_delay_alu instid0(VALU_DEP_4) | instskip(NEXT) | instid1(VALU_DEP_3)
	v_lshrrev_b32_e32 v9, s8, v9
	v_mad_u32 v5, v6, s37, v5
	v_mad_u32 v4, v6, s36, v4
	s_delay_alu instid0(VALU_DEP_4) | instskip(NEXT) | instid1(VALU_DEP_4)
	v_sub_nc_u32_e32 v6, v7, v10
	v_mul_hi_u32 v11, s10, v9
	v_mul_lo_u32 v7, v9, s22
	s_delay_alu instid0(VALU_DEP_3) | instskip(SKIP_1) | instid1(VALU_DEP_4)
	v_mad_u32 v5, v6, s39, v5
	v_mad_u32 v4, v6, s38, v4
	v_add_nc_u32_e32 v10, v9, v11
	s_delay_alu instid0(VALU_DEP_1) | instskip(NEXT) | instid1(VALU_DEP_1)
	v_dual_sub_nc_u32 v7, v8, v7 :: v_dual_lshrrev_b32 v6, s11, v10
	v_mad_u32 v5, v7, s41, v5
	s_delay_alu instid0(VALU_DEP_4) | instskip(NEXT) | instid1(VALU_DEP_3)
	v_mad_u32 v4, v7, s40, v4
	v_mul_lo_u32 v8, v6, s9
	s_delay_alu instid0(VALU_DEP_1) | instskip(NEXT) | instid1(VALU_DEP_1)
	v_sub_nc_u32_e32 v7, v9, v8
	v_mad_u32 v5, v7, s43, v5
	s_delay_alu instid0(VALU_DEP_4)
	v_mad_u32 v4, v7, s42, v4
	s_cbranch_scc1 .LBB37_34
; %bb.35:
	s_and_b32 s4, s1, 3
	s_mov_b32 s1, 0
	s_cmp_eq_u32 s4, 0
	s_cbranch_scc0 .LBB37_39
	s_branch .LBB37_41
.LBB37_36:
	s_mov_b32 s6, -1
                                        ; implicit-def: $vgpr5
	s_branch .LBB37_41
.LBB37_37:
	v_dual_mov_b32 v5, 0 :: v_dual_mov_b32 v4, 0
	s_branch .LBB37_41
.LBB37_38:
	v_mov_b64_e32 v[4:5], 0
	v_mov_b32_e32 v6, v1
	s_mov_b32 s0, 0
	s_and_b32 s4, s1, 3
	s_mov_b32 s1, 0
	s_cmp_eq_u32 s4, 0
	s_cbranch_scc1 .LBB37_41
.LBB37_39:
	s_lshl_b32 s2, s0, 3
	s_mov_b32 s3, s1
	s_mul_u64 s[8:9], s[0:1], 12
	s_add_nc_u64 s[2:3], s[12:13], s[2:3]
	s_delay_alu instid0(SALU_CYCLE_1)
	s_add_nc_u64 s[0:1], s[2:3], 0xc4
	s_add_nc_u64 s[2:3], s[12:13], s[8:9]
.LBB37_40:                              ; =>This Inner Loop Header: Depth=1
	s_load_b96 s[8:10], s[2:3], 0x4
	s_add_co_i32 s4, s4, -1
	s_wait_xcnt 0x0
	s_add_nc_u64 s[2:3], s[2:3], 12
	s_cmp_lg_u32 s4, 0
	s_wait_kmcnt 0x0
	v_mul_hi_u32 v7, s9, v6
	s_delay_alu instid0(VALU_DEP_1) | instskip(NEXT) | instid1(VALU_DEP_1)
	v_add_nc_u32_e32 v7, v6, v7
	v_lshrrev_b32_e32 v7, s10, v7
	s_load_b64 s[10:11], s[0:1], 0x0
	s_wait_xcnt 0x0
	s_add_nc_u64 s[0:1], s[0:1], 8
	s_delay_alu instid0(VALU_DEP_1) | instskip(NEXT) | instid1(VALU_DEP_1)
	v_mul_lo_u32 v8, v7, s8
	v_sub_nc_u32_e32 v6, v6, v8
	s_wait_kmcnt 0x0
	s_delay_alu instid0(VALU_DEP_1)
	v_mad_u32 v5, v6, s11, v5
	v_mad_u32 v4, v6, s10, v4
	v_mov_b32_e32 v6, v7
	s_cbranch_scc1 .LBB37_40
.LBB37_41:
	s_and_not1_b32 vcc_lo, exec_lo, s6
	s_cbranch_vccnz .LBB37_44
; %bb.42:
	s_clause 0x1
	s_load_b96 s[0:2], s[12:13], 0x4
	s_load_b64 s[4:5], s[12:13], 0xc4
	s_cmp_lt_u32 s28, 2
	s_wait_kmcnt 0x0
	v_mul_hi_u32 v4, s1, v1
	s_delay_alu instid0(VALU_DEP_1) | instskip(NEXT) | instid1(VALU_DEP_1)
	v_add_nc_u32_e32 v4, v1, v4
	v_lshrrev_b32_e32 v6, s2, v4
	s_delay_alu instid0(VALU_DEP_1) | instskip(NEXT) | instid1(VALU_DEP_1)
	v_mul_lo_u32 v4, v6, s0
	v_sub_nc_u32_e32 v1, v1, v4
	s_delay_alu instid0(VALU_DEP_1)
	v_mul_lo_u32 v5, v1, s5
	v_mul_lo_u32 v4, v1, s4
	s_cbranch_scc1 .LBB37_44
; %bb.43:
	s_clause 0x1
	s_load_b96 s[0:2], s[12:13], 0x10
	s_load_b64 s[4:5], s[12:13], 0xcc
	s_wait_kmcnt 0x0
	v_mul_hi_u32 v1, s1, v6
	s_delay_alu instid0(VALU_DEP_1) | instskip(NEXT) | instid1(VALU_DEP_1)
	v_add_nc_u32_e32 v1, v6, v1
	v_lshrrev_b32_e32 v1, s2, v1
	s_delay_alu instid0(VALU_DEP_1) | instskip(NEXT) | instid1(VALU_DEP_1)
	v_mul_lo_u32 v1, v1, s0
	v_sub_nc_u32_e32 v1, v6, v1
	s_delay_alu instid0(VALU_DEP_1)
	v_mad_u32 v4, v1, s4, v4
	v_mad_u32 v5, v1, s5, v5
.LBB37_44:
	v_cmp_ne_u32_e32 vcc_lo, 1, v14
	v_add_nc_u32_e32 v1, 0x100, v0
	s_cbranch_vccnz .LBB37_50
; %bb.45:
	s_cmp_lg_u32 s28, 0
	s_mov_b32 s6, 0
	s_cbranch_scc0 .LBB37_51
; %bb.46:
	s_min_u32 s1, s29, 15
	s_delay_alu instid0(SALU_CYCLE_1)
	s_add_co_i32 s1, s1, 1
	s_cmp_eq_u32 s29, 2
	s_cbranch_scc1 .LBB37_52
; %bb.47:
	v_dual_mov_b32 v6, 0 :: v_dual_mov_b32 v7, 0
	v_mov_b32_e32 v8, v1
	s_and_b32 s0, s1, 28
	s_add_nc_u64 s[2:3], s[12:13], 0xc4
	s_mov_b32 s7, 0
	s_mov_b64 s[4:5], s[12:13]
.LBB37_48:                              ; =>This Inner Loop Header: Depth=1
	s_clause 0x1
	s_load_b256 s[16:23], s[4:5], 0x4
	s_load_b128 s[8:11], s[4:5], 0x24
	s_load_b256 s[36:43], s[2:3], 0x0
	s_add_co_i32 s7, s7, 4
	s_wait_xcnt 0x0
	s_add_nc_u64 s[4:5], s[4:5], 48
	s_cmp_lg_u32 s0, s7
	s_add_nc_u64 s[2:3], s[2:3], 32
	s_wait_kmcnt 0x0
	v_mul_hi_u32 v9, s17, v8
	s_delay_alu instid0(VALU_DEP_1) | instskip(NEXT) | instid1(VALU_DEP_1)
	v_add_nc_u32_e32 v9, v8, v9
	v_lshrrev_b32_e32 v9, s18, v9
	s_delay_alu instid0(VALU_DEP_1) | instskip(NEXT) | instid1(VALU_DEP_1)
	v_mul_hi_u32 v10, s20, v9
	v_add_nc_u32_e32 v10, v9, v10
	s_delay_alu instid0(VALU_DEP_1) | instskip(NEXT) | instid1(VALU_DEP_1)
	v_lshrrev_b32_e32 v10, s21, v10
	v_mul_hi_u32 v11, s23, v10
	s_delay_alu instid0(VALU_DEP_1) | instskip(SKIP_1) | instid1(VALU_DEP_1)
	v_add_nc_u32_e32 v11, v10, v11
	v_mul_lo_u32 v12, v9, s16
	v_sub_nc_u32_e32 v8, v8, v12
	v_mul_lo_u32 v12, v10, s19
	s_delay_alu instid0(VALU_DEP_4) | instskip(NEXT) | instid1(VALU_DEP_3)
	v_lshrrev_b32_e32 v11, s8, v11
	v_mad_u32 v7, v8, s37, v7
	v_mad_u32 v6, v8, s36, v6
	s_delay_alu instid0(VALU_DEP_4) | instskip(NEXT) | instid1(VALU_DEP_4)
	v_sub_nc_u32_e32 v8, v9, v12
	v_mul_hi_u32 v13, s10, v11
	v_mul_lo_u32 v9, v11, s22
	s_delay_alu instid0(VALU_DEP_3) | instskip(SKIP_1) | instid1(VALU_DEP_4)
	v_mad_u32 v7, v8, s39, v7
	v_mad_u32 v6, v8, s38, v6
	v_add_nc_u32_e32 v12, v11, v13
	s_delay_alu instid0(VALU_DEP_1) | instskip(NEXT) | instid1(VALU_DEP_1)
	v_dual_sub_nc_u32 v9, v10, v9 :: v_dual_lshrrev_b32 v8, s11, v12
	v_mad_u32 v7, v9, s41, v7
	s_delay_alu instid0(VALU_DEP_4) | instskip(NEXT) | instid1(VALU_DEP_3)
	v_mad_u32 v6, v9, s40, v6
	v_mul_lo_u32 v10, v8, s9
	s_delay_alu instid0(VALU_DEP_1) | instskip(NEXT) | instid1(VALU_DEP_1)
	v_sub_nc_u32_e32 v9, v11, v10
	v_mad_u32 v7, v9, s43, v7
	s_delay_alu instid0(VALU_DEP_4)
	v_mad_u32 v6, v9, s42, v6
	s_cbranch_scc1 .LBB37_48
; %bb.49:
	s_and_b32 s4, s1, 3
	s_mov_b32 s1, 0
	s_cmp_eq_u32 s4, 0
	s_cbranch_scc0 .LBB37_53
	s_branch .LBB37_55
.LBB37_50:
	s_mov_b32 s6, -1
                                        ; implicit-def: $vgpr7
	s_branch .LBB37_55
.LBB37_51:
	v_dual_mov_b32 v7, 0 :: v_dual_mov_b32 v6, 0
	s_branch .LBB37_55
.LBB37_52:
	v_mov_b64_e32 v[6:7], 0
	v_mov_b32_e32 v8, v1
	s_mov_b32 s0, 0
	s_and_b32 s4, s1, 3
	s_mov_b32 s1, 0
	s_cmp_eq_u32 s4, 0
	s_cbranch_scc1 .LBB37_55
.LBB37_53:
	s_lshl_b32 s2, s0, 3
	s_mov_b32 s3, s1
	s_mul_u64 s[8:9], s[0:1], 12
	s_add_nc_u64 s[2:3], s[12:13], s[2:3]
	s_delay_alu instid0(SALU_CYCLE_1)
	s_add_nc_u64 s[0:1], s[2:3], 0xc4
	s_add_nc_u64 s[2:3], s[12:13], s[8:9]
.LBB37_54:                              ; =>This Inner Loop Header: Depth=1
	s_load_b96 s[8:10], s[2:3], 0x4
	s_add_co_i32 s4, s4, -1
	s_wait_xcnt 0x0
	s_add_nc_u64 s[2:3], s[2:3], 12
	s_cmp_lg_u32 s4, 0
	s_wait_kmcnt 0x0
	v_mul_hi_u32 v9, s9, v8
	s_delay_alu instid0(VALU_DEP_1) | instskip(NEXT) | instid1(VALU_DEP_1)
	v_add_nc_u32_e32 v9, v8, v9
	v_lshrrev_b32_e32 v9, s10, v9
	s_load_b64 s[10:11], s[0:1], 0x0
	s_wait_xcnt 0x0
	s_add_nc_u64 s[0:1], s[0:1], 8
	s_delay_alu instid0(VALU_DEP_1) | instskip(NEXT) | instid1(VALU_DEP_1)
	v_mul_lo_u32 v10, v9, s8
	v_sub_nc_u32_e32 v8, v8, v10
	s_wait_kmcnt 0x0
	s_delay_alu instid0(VALU_DEP_1)
	v_mad_u32 v7, v8, s11, v7
	v_mad_u32 v6, v8, s10, v6
	v_mov_b32_e32 v8, v9
	s_cbranch_scc1 .LBB37_54
.LBB37_55:
	s_and_not1_b32 vcc_lo, exec_lo, s6
	s_cbranch_vccnz .LBB37_58
; %bb.56:
	s_clause 0x1
	s_load_b96 s[0:2], s[12:13], 0x4
	s_load_b64 s[4:5], s[12:13], 0xc4
	s_cmp_lt_u32 s28, 2
	s_wait_kmcnt 0x0
	v_mul_hi_u32 v6, s1, v1
	s_delay_alu instid0(VALU_DEP_1) | instskip(NEXT) | instid1(VALU_DEP_1)
	v_add_nc_u32_e32 v6, v1, v6
	v_lshrrev_b32_e32 v8, s2, v6
	s_delay_alu instid0(VALU_DEP_1) | instskip(NEXT) | instid1(VALU_DEP_1)
	v_mul_lo_u32 v6, v8, s0
	v_sub_nc_u32_e32 v1, v1, v6
	s_delay_alu instid0(VALU_DEP_1)
	v_mul_lo_u32 v7, v1, s5
	v_mul_lo_u32 v6, v1, s4
	s_cbranch_scc1 .LBB37_58
; %bb.57:
	s_clause 0x1
	s_load_b96 s[0:2], s[12:13], 0x10
	s_load_b64 s[4:5], s[12:13], 0xcc
	s_wait_kmcnt 0x0
	v_mul_hi_u32 v1, s1, v8
	s_delay_alu instid0(VALU_DEP_1) | instskip(NEXT) | instid1(VALU_DEP_1)
	v_add_nc_u32_e32 v1, v8, v1
	v_lshrrev_b32_e32 v1, s2, v1
	s_delay_alu instid0(VALU_DEP_1) | instskip(NEXT) | instid1(VALU_DEP_1)
	v_mul_lo_u32 v1, v1, s0
	v_sub_nc_u32_e32 v1, v8, v1
	s_delay_alu instid0(VALU_DEP_1)
	v_mad_u32 v6, v1, s4, v6
	v_mad_u32 v7, v1, s5, v7
.LBB37_58:
	v_cmp_ne_u32_e32 vcc_lo, 1, v14
	v_add_nc_u32_e32 v1, 0x180, v0
	s_cbranch_vccnz .LBB37_64
; %bb.59:
	s_cmp_lg_u32 s28, 0
	s_mov_b32 s6, 0
	s_cbranch_scc0 .LBB37_65
; %bb.60:
	s_min_u32 s1, s29, 15
	s_delay_alu instid0(SALU_CYCLE_1)
	s_add_co_i32 s1, s1, 1
	s_cmp_eq_u32 s29, 2
	s_cbranch_scc1 .LBB37_66
; %bb.61:
	v_dual_mov_b32 v8, 0 :: v_dual_mov_b32 v9, 0
	v_mov_b32_e32 v10, v1
	s_and_b32 s0, s1, 28
	s_add_nc_u64 s[2:3], s[12:13], 0xc4
	s_mov_b32 s7, 0
	s_mov_b64 s[4:5], s[12:13]
.LBB37_62:                              ; =>This Inner Loop Header: Depth=1
	s_clause 0x1
	s_load_b256 s[16:23], s[4:5], 0x4
	s_load_b128 s[8:11], s[4:5], 0x24
	s_load_b256 s[36:43], s[2:3], 0x0
	s_add_co_i32 s7, s7, 4
	s_wait_xcnt 0x0
	s_add_nc_u64 s[4:5], s[4:5], 48
	s_cmp_lg_u32 s0, s7
	s_add_nc_u64 s[2:3], s[2:3], 32
	s_wait_kmcnt 0x0
	v_mul_hi_u32 v11, s17, v10
	s_delay_alu instid0(VALU_DEP_1) | instskip(NEXT) | instid1(VALU_DEP_1)
	v_add_nc_u32_e32 v11, v10, v11
	v_lshrrev_b32_e32 v11, s18, v11
	s_delay_alu instid0(VALU_DEP_1) | instskip(NEXT) | instid1(VALU_DEP_1)
	v_mul_hi_u32 v12, s20, v11
	v_add_nc_u32_e32 v12, v11, v12
	s_delay_alu instid0(VALU_DEP_1) | instskip(NEXT) | instid1(VALU_DEP_1)
	v_lshrrev_b32_e32 v12, s21, v12
	v_mul_hi_u32 v13, s23, v12
	s_delay_alu instid0(VALU_DEP_1) | instskip(SKIP_1) | instid1(VALU_DEP_1)
	v_add_nc_u32_e32 v13, v12, v13
	v_mul_lo_u32 v15, v11, s16
	v_sub_nc_u32_e32 v10, v10, v15
	v_mul_lo_u32 v15, v12, s19
	s_delay_alu instid0(VALU_DEP_4) | instskip(NEXT) | instid1(VALU_DEP_3)
	v_lshrrev_b32_e32 v13, s8, v13
	v_mad_u32 v9, v10, s37, v9
	v_mad_u32 v8, v10, s36, v8
	s_delay_alu instid0(VALU_DEP_4) | instskip(NEXT) | instid1(VALU_DEP_4)
	v_sub_nc_u32_e32 v10, v11, v15
	v_mul_hi_u32 v17, s10, v13
	v_mul_lo_u32 v11, v13, s22
	s_delay_alu instid0(VALU_DEP_3) | instskip(SKIP_1) | instid1(VALU_DEP_3)
	v_mad_u32 v9, v10, s39, v9
	v_mad_u32 v8, v10, s38, v8
	v_dual_add_nc_u32 v15, v13, v17 :: v_dual_sub_nc_u32 v11, v12, v11
	s_delay_alu instid0(VALU_DEP_1) | instskip(NEXT) | instid1(VALU_DEP_2)
	v_lshrrev_b32_e32 v10, s11, v15
	v_mad_u32 v9, v11, s41, v9
	s_delay_alu instid0(VALU_DEP_4) | instskip(NEXT) | instid1(VALU_DEP_3)
	v_mad_u32 v8, v11, s40, v8
	v_mul_lo_u32 v12, v10, s9
	s_delay_alu instid0(VALU_DEP_1) | instskip(NEXT) | instid1(VALU_DEP_1)
	v_sub_nc_u32_e32 v11, v13, v12
	v_mad_u32 v9, v11, s43, v9
	s_delay_alu instid0(VALU_DEP_4)
	v_mad_u32 v8, v11, s42, v8
	s_cbranch_scc1 .LBB37_62
; %bb.63:
	s_and_b32 s4, s1, 3
	s_mov_b32 s1, 0
	s_cmp_eq_u32 s4, 0
	s_cbranch_scc0 .LBB37_67
	s_branch .LBB37_69
.LBB37_64:
	s_mov_b32 s6, -1
                                        ; implicit-def: $vgpr9
	s_branch .LBB37_69
.LBB37_65:
	v_dual_mov_b32 v9, 0 :: v_dual_mov_b32 v8, 0
	s_branch .LBB37_69
.LBB37_66:
	v_mov_b64_e32 v[8:9], 0
	v_mov_b32_e32 v10, v1
	s_mov_b32 s0, 0
	s_and_b32 s4, s1, 3
	s_mov_b32 s1, 0
	s_cmp_eq_u32 s4, 0
	s_cbranch_scc1 .LBB37_69
.LBB37_67:
	s_lshl_b32 s2, s0, 3
	s_mov_b32 s3, s1
	s_mul_u64 s[8:9], s[0:1], 12
	s_add_nc_u64 s[2:3], s[12:13], s[2:3]
	s_delay_alu instid0(SALU_CYCLE_1)
	s_add_nc_u64 s[0:1], s[2:3], 0xc4
	s_add_nc_u64 s[2:3], s[12:13], s[8:9]
.LBB37_68:                              ; =>This Inner Loop Header: Depth=1
	s_load_b96 s[8:10], s[2:3], 0x4
	s_add_co_i32 s4, s4, -1
	s_wait_xcnt 0x0
	s_add_nc_u64 s[2:3], s[2:3], 12
	s_cmp_lg_u32 s4, 0
	s_wait_kmcnt 0x0
	v_mul_hi_u32 v11, s9, v10
	s_delay_alu instid0(VALU_DEP_1) | instskip(NEXT) | instid1(VALU_DEP_1)
	v_add_nc_u32_e32 v11, v10, v11
	v_lshrrev_b32_e32 v11, s10, v11
	s_load_b64 s[10:11], s[0:1], 0x0
	s_wait_xcnt 0x0
	s_add_nc_u64 s[0:1], s[0:1], 8
	s_delay_alu instid0(VALU_DEP_1) | instskip(NEXT) | instid1(VALU_DEP_1)
	v_mul_lo_u32 v12, v11, s8
	v_sub_nc_u32_e32 v10, v10, v12
	s_wait_kmcnt 0x0
	s_delay_alu instid0(VALU_DEP_1)
	v_mad_u32 v9, v10, s11, v9
	v_mad_u32 v8, v10, s10, v8
	v_mov_b32_e32 v10, v11
	s_cbranch_scc1 .LBB37_68
.LBB37_69:
	s_and_not1_b32 vcc_lo, exec_lo, s6
	s_cbranch_vccnz .LBB37_72
; %bb.70:
	s_clause 0x1
	s_load_b96 s[0:2], s[12:13], 0x4
	s_load_b64 s[4:5], s[12:13], 0xc4
	s_cmp_lt_u32 s28, 2
	s_wait_kmcnt 0x0
	v_mul_hi_u32 v8, s1, v1
	s_delay_alu instid0(VALU_DEP_1) | instskip(NEXT) | instid1(VALU_DEP_1)
	v_add_nc_u32_e32 v8, v1, v8
	v_lshrrev_b32_e32 v10, s2, v8
	s_delay_alu instid0(VALU_DEP_1) | instskip(NEXT) | instid1(VALU_DEP_1)
	v_mul_lo_u32 v8, v10, s0
	v_sub_nc_u32_e32 v1, v1, v8
	s_delay_alu instid0(VALU_DEP_1)
	v_mul_lo_u32 v9, v1, s5
	v_mul_lo_u32 v8, v1, s4
	s_cbranch_scc1 .LBB37_72
; %bb.71:
	s_clause 0x1
	s_load_b96 s[0:2], s[12:13], 0x10
	s_load_b64 s[4:5], s[12:13], 0xcc
	s_wait_kmcnt 0x0
	v_mul_hi_u32 v1, s1, v10
	s_delay_alu instid0(VALU_DEP_1) | instskip(NEXT) | instid1(VALU_DEP_1)
	v_add_nc_u32_e32 v1, v10, v1
	v_lshrrev_b32_e32 v1, s2, v1
	s_delay_alu instid0(VALU_DEP_1) | instskip(NEXT) | instid1(VALU_DEP_1)
	v_mul_lo_u32 v1, v1, s0
	v_sub_nc_u32_e32 v1, v10, v1
	s_delay_alu instid0(VALU_DEP_1)
	v_mad_u32 v8, v1, s4, v8
	v_mad_u32 v9, v1, s5, v9
.LBB37_72:
	v_cmp_ne_u32_e32 vcc_lo, 1, v14
	v_add_nc_u32_e32 v1, 0x200, v0
	s_cbranch_vccnz .LBB37_78
; %bb.73:
	s_cmp_lg_u32 s28, 0
	s_mov_b32 s6, 0
	s_cbranch_scc0 .LBB37_79
; %bb.74:
	s_min_u32 s1, s29, 15
	s_delay_alu instid0(SALU_CYCLE_1)
	s_add_co_i32 s1, s1, 1
	s_cmp_eq_u32 s29, 2
	s_cbranch_scc1 .LBB37_80
; %bb.75:
	v_dual_mov_b32 v10, 0 :: v_dual_mov_b32 v11, 0
	v_mov_b32_e32 v12, v1
	s_and_b32 s0, s1, 28
	s_add_nc_u64 s[2:3], s[12:13], 0xc4
	s_mov_b32 s7, 0
	s_mov_b64 s[4:5], s[12:13]
.LBB37_76:                              ; =>This Inner Loop Header: Depth=1
	s_clause 0x1
	s_load_b256 s[16:23], s[4:5], 0x4
	s_load_b128 s[8:11], s[4:5], 0x24
	s_load_b256 s[36:43], s[2:3], 0x0
	s_add_co_i32 s7, s7, 4
	s_wait_xcnt 0x0
	s_add_nc_u64 s[4:5], s[4:5], 48
	s_cmp_lg_u32 s0, s7
	s_add_nc_u64 s[2:3], s[2:3], 32
	s_wait_kmcnt 0x0
	v_mul_hi_u32 v13, s17, v12
	s_delay_alu instid0(VALU_DEP_1) | instskip(NEXT) | instid1(VALU_DEP_1)
	v_add_nc_u32_e32 v13, v12, v13
	v_lshrrev_b32_e32 v13, s18, v13
	s_delay_alu instid0(VALU_DEP_1) | instskip(NEXT) | instid1(VALU_DEP_1)
	v_mul_lo_u32 v18, v13, s16
	v_sub_nc_u32_e32 v12, v12, v18
	v_mul_hi_u32 v15, s20, v13
	s_delay_alu instid0(VALU_DEP_2) | instskip(SKIP_1) | instid1(VALU_DEP_3)
	v_mad_u32 v11, v12, s37, v11
	v_mad_u32 v10, v12, s36, v10
	v_add_nc_u32_e32 v15, v13, v15
	s_delay_alu instid0(VALU_DEP_1) | instskip(NEXT) | instid1(VALU_DEP_1)
	v_lshrrev_b32_e32 v15, s21, v15
	v_mul_hi_u32 v17, s23, v15
	v_mul_lo_u32 v18, v15, s19
	s_delay_alu instid0(VALU_DEP_1) | instskip(NEXT) | instid1(VALU_DEP_1)
	v_dual_add_nc_u32 v17, v15, v17 :: v_dual_sub_nc_u32 v12, v13, v18
	v_lshrrev_b32_e32 v17, s8, v17
	s_delay_alu instid0(VALU_DEP_2) | instskip(SKIP_1) | instid1(VALU_DEP_3)
	v_mad_u32 v11, v12, s39, v11
	v_mad_u32 v10, v12, s38, v10
	v_mul_hi_u32 v19, s10, v17
	v_mul_lo_u32 v13, v17, s22
	s_delay_alu instid0(VALU_DEP_1) | instskip(NEXT) | instid1(VALU_DEP_1)
	v_dual_add_nc_u32 v18, v17, v19 :: v_dual_sub_nc_u32 v13, v15, v13
	v_lshrrev_b32_e32 v12, s11, v18
	s_delay_alu instid0(VALU_DEP_2) | instskip(SKIP_1) | instid1(VALU_DEP_3)
	v_mad_u32 v11, v13, s41, v11
	v_mad_u32 v10, v13, s40, v10
	v_mul_lo_u32 v15, v12, s9
	s_delay_alu instid0(VALU_DEP_1) | instskip(NEXT) | instid1(VALU_DEP_1)
	v_sub_nc_u32_e32 v13, v17, v15
	v_mad_u32 v11, v13, s43, v11
	s_delay_alu instid0(VALU_DEP_4)
	v_mad_u32 v10, v13, s42, v10
	s_cbranch_scc1 .LBB37_76
; %bb.77:
	s_and_b32 s4, s1, 3
	s_mov_b32 s1, 0
	s_cmp_eq_u32 s4, 0
	s_cbranch_scc0 .LBB37_81
	s_branch .LBB37_83
.LBB37_78:
	s_mov_b32 s6, -1
                                        ; implicit-def: $vgpr11
	s_branch .LBB37_83
.LBB37_79:
	v_dual_mov_b32 v11, 0 :: v_dual_mov_b32 v10, 0
	s_branch .LBB37_83
.LBB37_80:
	v_mov_b64_e32 v[10:11], 0
	v_mov_b32_e32 v12, v1
	s_mov_b32 s0, 0
	s_and_b32 s4, s1, 3
	s_mov_b32 s1, 0
	s_cmp_eq_u32 s4, 0
	s_cbranch_scc1 .LBB37_83
.LBB37_81:
	s_lshl_b32 s2, s0, 3
	s_mov_b32 s3, s1
	s_mul_u64 s[8:9], s[0:1], 12
	s_add_nc_u64 s[2:3], s[12:13], s[2:3]
	s_delay_alu instid0(SALU_CYCLE_1)
	s_add_nc_u64 s[0:1], s[2:3], 0xc4
	s_add_nc_u64 s[2:3], s[12:13], s[8:9]
.LBB37_82:                              ; =>This Inner Loop Header: Depth=1
	s_load_b96 s[8:10], s[2:3], 0x4
	s_add_co_i32 s4, s4, -1
	s_wait_xcnt 0x0
	s_add_nc_u64 s[2:3], s[2:3], 12
	s_cmp_lg_u32 s4, 0
	s_wait_kmcnt 0x0
	v_mul_hi_u32 v13, s9, v12
	s_delay_alu instid0(VALU_DEP_1) | instskip(NEXT) | instid1(VALU_DEP_1)
	v_add_nc_u32_e32 v13, v12, v13
	v_lshrrev_b32_e32 v13, s10, v13
	s_load_b64 s[10:11], s[0:1], 0x0
	s_wait_xcnt 0x0
	s_add_nc_u64 s[0:1], s[0:1], 8
	s_delay_alu instid0(VALU_DEP_1) | instskip(NEXT) | instid1(VALU_DEP_1)
	v_mul_lo_u32 v15, v13, s8
	v_sub_nc_u32_e32 v12, v12, v15
	s_wait_kmcnt 0x0
	s_delay_alu instid0(VALU_DEP_1)
	v_mad_u32 v11, v12, s11, v11
	v_mad_u32 v10, v12, s10, v10
	v_mov_b32_e32 v12, v13
	s_cbranch_scc1 .LBB37_82
.LBB37_83:
	s_and_not1_b32 vcc_lo, exec_lo, s6
	s_cbranch_vccnz .LBB37_86
; %bb.84:
	s_clause 0x1
	s_load_b96 s[0:2], s[12:13], 0x4
	s_load_b64 s[4:5], s[12:13], 0xc4
	s_cmp_lt_u32 s28, 2
	s_wait_kmcnt 0x0
	v_mul_hi_u32 v10, s1, v1
	s_delay_alu instid0(VALU_DEP_1) | instskip(NEXT) | instid1(VALU_DEP_1)
	v_add_nc_u32_e32 v10, v1, v10
	v_lshrrev_b32_e32 v12, s2, v10
	s_delay_alu instid0(VALU_DEP_1) | instskip(NEXT) | instid1(VALU_DEP_1)
	v_mul_lo_u32 v10, v12, s0
	v_sub_nc_u32_e32 v1, v1, v10
	s_delay_alu instid0(VALU_DEP_1)
	v_mul_lo_u32 v11, v1, s5
	v_mul_lo_u32 v10, v1, s4
	s_cbranch_scc1 .LBB37_86
; %bb.85:
	s_clause 0x1
	s_load_b96 s[0:2], s[12:13], 0x10
	s_load_b64 s[4:5], s[12:13], 0xcc
	s_wait_kmcnt 0x0
	v_mul_hi_u32 v1, s1, v12
	s_delay_alu instid0(VALU_DEP_1) | instskip(NEXT) | instid1(VALU_DEP_1)
	v_add_nc_u32_e32 v1, v12, v1
	v_lshrrev_b32_e32 v1, s2, v1
	s_delay_alu instid0(VALU_DEP_1) | instskip(NEXT) | instid1(VALU_DEP_1)
	v_mul_lo_u32 v1, v1, s0
	v_sub_nc_u32_e32 v1, v12, v1
	s_delay_alu instid0(VALU_DEP_1)
	v_mad_u32 v10, v1, s4, v10
	v_mad_u32 v11, v1, s5, v11
.LBB37_86:
	v_cmp_ne_u32_e32 vcc_lo, 1, v14
	v_add_nc_u32_e32 v1, 0x280, v0
	s_cbranch_vccnz .LBB37_92
; %bb.87:
	s_cmp_lg_u32 s28, 0
	s_mov_b32 s6, 0
	s_cbranch_scc0 .LBB37_93
; %bb.88:
	s_min_u32 s1, s29, 15
	s_delay_alu instid0(SALU_CYCLE_1)
	s_add_co_i32 s1, s1, 1
	s_cmp_eq_u32 s29, 2
	s_cbranch_scc1 .LBB37_94
; %bb.89:
	v_dual_mov_b32 v12, 0 :: v_dual_mov_b32 v13, 0
	v_mov_b32_e32 v15, v1
	s_and_b32 s0, s1, 28
	s_add_nc_u64 s[2:3], s[12:13], 0xc4
	s_mov_b32 s7, 0
	s_mov_b64 s[4:5], s[12:13]
.LBB37_90:                              ; =>This Inner Loop Header: Depth=1
	s_clause 0x1
	s_load_b256 s[16:23], s[4:5], 0x4
	s_load_b128 s[8:11], s[4:5], 0x24
	s_load_b256 s[36:43], s[2:3], 0x0
	s_add_co_i32 s7, s7, 4
	s_wait_xcnt 0x0
	s_add_nc_u64 s[4:5], s[4:5], 48
	s_cmp_lg_u32 s0, s7
	s_add_nc_u64 s[2:3], s[2:3], 32
	s_wait_kmcnt 0x0
	v_mul_hi_u32 v17, s17, v15
	s_delay_alu instid0(VALU_DEP_1) | instskip(NEXT) | instid1(VALU_DEP_1)
	v_add_nc_u32_e32 v17, v15, v17
	v_lshrrev_b32_e32 v17, s18, v17
	s_delay_alu instid0(VALU_DEP_1) | instskip(NEXT) | instid1(VALU_DEP_1)
	v_mul_hi_u32 v18, s20, v17
	v_add_nc_u32_e32 v18, v17, v18
	s_delay_alu instid0(VALU_DEP_1) | instskip(NEXT) | instid1(VALU_DEP_1)
	v_lshrrev_b32_e32 v18, s21, v18
	v_mul_hi_u32 v19, s23, v18
	s_delay_alu instid0(VALU_DEP_1) | instskip(SKIP_1) | instid1(VALU_DEP_1)
	v_add_nc_u32_e32 v19, v18, v19
	v_mul_lo_u32 v20, v17, s16
	v_sub_nc_u32_e32 v15, v15, v20
	v_mul_lo_u32 v20, v18, s19
	s_delay_alu instid0(VALU_DEP_4) | instskip(NEXT) | instid1(VALU_DEP_3)
	v_lshrrev_b32_e32 v19, s8, v19
	v_mad_u32 v13, v15, s37, v13
	v_mad_u32 v12, v15, s36, v12
	s_delay_alu instid0(VALU_DEP_4) | instskip(NEXT) | instid1(VALU_DEP_4)
	v_sub_nc_u32_e32 v15, v17, v20
	v_mul_hi_u32 v21, s10, v19
	v_mul_lo_u32 v17, v19, s22
	s_delay_alu instid0(VALU_DEP_3) | instskip(SKIP_1) | instid1(VALU_DEP_4)
	v_mad_u32 v13, v15, s39, v13
	v_mad_u32 v12, v15, s38, v12
	v_add_nc_u32_e32 v20, v19, v21
	s_delay_alu instid0(VALU_DEP_1) | instskip(NEXT) | instid1(VALU_DEP_1)
	v_dual_sub_nc_u32 v17, v18, v17 :: v_dual_lshrrev_b32 v15, s11, v20
	v_mad_u32 v13, v17, s41, v13
	s_delay_alu instid0(VALU_DEP_4) | instskip(NEXT) | instid1(VALU_DEP_3)
	v_mad_u32 v12, v17, s40, v12
	v_mul_lo_u32 v18, v15, s9
	s_delay_alu instid0(VALU_DEP_1) | instskip(NEXT) | instid1(VALU_DEP_1)
	v_sub_nc_u32_e32 v17, v19, v18
	v_mad_u32 v13, v17, s43, v13
	s_delay_alu instid0(VALU_DEP_4)
	v_mad_u32 v12, v17, s42, v12
	s_cbranch_scc1 .LBB37_90
; %bb.91:
	s_and_b32 s4, s1, 3
	s_mov_b32 s1, 0
	s_cmp_eq_u32 s4, 0
	s_cbranch_scc0 .LBB37_95
	s_branch .LBB37_97
.LBB37_92:
	s_mov_b32 s6, -1
                                        ; implicit-def: $vgpr13
	s_branch .LBB37_97
.LBB37_93:
	v_dual_mov_b32 v13, 0 :: v_dual_mov_b32 v12, 0
	s_branch .LBB37_97
.LBB37_94:
	v_mov_b64_e32 v[12:13], 0
	v_mov_b32_e32 v15, v1
	s_mov_b32 s0, 0
	s_and_b32 s4, s1, 3
	s_mov_b32 s1, 0
	s_cmp_eq_u32 s4, 0
	s_cbranch_scc1 .LBB37_97
.LBB37_95:
	s_lshl_b32 s2, s0, 3
	s_mov_b32 s3, s1
	s_mul_u64 s[8:9], s[0:1], 12
	s_add_nc_u64 s[2:3], s[12:13], s[2:3]
	s_delay_alu instid0(SALU_CYCLE_1)
	s_add_nc_u64 s[0:1], s[2:3], 0xc4
	s_add_nc_u64 s[2:3], s[12:13], s[8:9]
.LBB37_96:                              ; =>This Inner Loop Header: Depth=1
	s_load_b96 s[8:10], s[2:3], 0x4
	s_add_co_i32 s4, s4, -1
	s_wait_xcnt 0x0
	s_add_nc_u64 s[2:3], s[2:3], 12
	s_cmp_lg_u32 s4, 0
	s_wait_kmcnt 0x0
	v_mul_hi_u32 v17, s9, v15
	s_delay_alu instid0(VALU_DEP_1) | instskip(NEXT) | instid1(VALU_DEP_1)
	v_add_nc_u32_e32 v17, v15, v17
	v_lshrrev_b32_e32 v17, s10, v17
	s_load_b64 s[10:11], s[0:1], 0x0
	s_wait_xcnt 0x0
	s_add_nc_u64 s[0:1], s[0:1], 8
	s_delay_alu instid0(VALU_DEP_1) | instskip(NEXT) | instid1(VALU_DEP_1)
	v_mul_lo_u32 v18, v17, s8
	v_sub_nc_u32_e32 v15, v15, v18
	s_wait_kmcnt 0x0
	s_delay_alu instid0(VALU_DEP_1)
	v_mad_u32 v13, v15, s11, v13
	v_mad_u32 v12, v15, s10, v12
	v_mov_b32_e32 v15, v17
	s_cbranch_scc1 .LBB37_96
.LBB37_97:
	s_and_not1_b32 vcc_lo, exec_lo, s6
	s_cbranch_vccnz .LBB37_100
; %bb.98:
	s_clause 0x1
	s_load_b96 s[0:2], s[12:13], 0x4
	s_load_b64 s[4:5], s[12:13], 0xc4
	s_cmp_lt_u32 s28, 2
	s_wait_kmcnt 0x0
	v_mul_hi_u32 v12, s1, v1
	s_delay_alu instid0(VALU_DEP_1) | instskip(NEXT) | instid1(VALU_DEP_1)
	v_add_nc_u32_e32 v12, v1, v12
	v_lshrrev_b32_e32 v15, s2, v12
	s_delay_alu instid0(VALU_DEP_1) | instskip(NEXT) | instid1(VALU_DEP_1)
	v_mul_lo_u32 v12, v15, s0
	v_sub_nc_u32_e32 v1, v1, v12
	s_delay_alu instid0(VALU_DEP_1)
	v_mul_lo_u32 v13, v1, s5
	v_mul_lo_u32 v12, v1, s4
	s_cbranch_scc1 .LBB37_100
; %bb.99:
	s_clause 0x1
	s_load_b96 s[0:2], s[12:13], 0x10
	s_load_b64 s[4:5], s[12:13], 0xcc
	s_wait_kmcnt 0x0
	v_mul_hi_u32 v1, s1, v15
	s_delay_alu instid0(VALU_DEP_1) | instskip(NEXT) | instid1(VALU_DEP_1)
	v_add_nc_u32_e32 v1, v15, v1
	v_lshrrev_b32_e32 v1, s2, v1
	s_delay_alu instid0(VALU_DEP_1) | instskip(NEXT) | instid1(VALU_DEP_1)
	v_mul_lo_u32 v1, v1, s0
	v_sub_nc_u32_e32 v1, v15, v1
	s_delay_alu instid0(VALU_DEP_1)
	v_mad_u32 v12, v1, s4, v12
	v_mad_u32 v13, v1, s5, v13
.LBB37_100:
	v_cmp_ne_u32_e32 vcc_lo, 1, v14
	v_add_nc_u32_e32 v15, 0x300, v0
	s_cbranch_vccnz .LBB37_106
; %bb.101:
	s_cmp_lg_u32 s28, 0
	s_mov_b32 s6, 0
	s_cbranch_scc0 .LBB37_107
; %bb.102:
	s_min_u32 s1, s29, 15
	s_delay_alu instid0(SALU_CYCLE_1)
	s_add_co_i32 s1, s1, 1
	s_cmp_eq_u32 s29, 2
	s_cbranch_scc1 .LBB37_108
; %bb.103:
	v_dual_mov_b32 v0, 0 :: v_dual_mov_b32 v1, 0
	v_mov_b32_e32 v17, v15
	s_and_b32 s0, s1, 28
	s_add_nc_u64 s[2:3], s[12:13], 0xc4
	s_mov_b32 s7, 0
	s_mov_b64 s[4:5], s[12:13]
.LBB37_104:                             ; =>This Inner Loop Header: Depth=1
	s_clause 0x1
	s_load_b256 s[16:23], s[4:5], 0x4
	s_load_b128 s[8:11], s[4:5], 0x24
	s_load_b256 s[36:43], s[2:3], 0x0
	s_add_co_i32 s7, s7, 4
	s_wait_xcnt 0x0
	s_add_nc_u64 s[4:5], s[4:5], 48
	s_cmp_lg_u32 s0, s7
	s_add_nc_u64 s[2:3], s[2:3], 32
	s_wait_kmcnt 0x0
	v_mul_hi_u32 v18, s17, v17
	s_delay_alu instid0(VALU_DEP_1) | instskip(NEXT) | instid1(VALU_DEP_1)
	v_add_nc_u32_e32 v18, v17, v18
	v_lshrrev_b32_e32 v18, s18, v18
	s_delay_alu instid0(VALU_DEP_1) | instskip(NEXT) | instid1(VALU_DEP_1)
	v_mul_hi_u32 v19, s20, v18
	v_add_nc_u32_e32 v19, v18, v19
	s_delay_alu instid0(VALU_DEP_1) | instskip(NEXT) | instid1(VALU_DEP_1)
	v_lshrrev_b32_e32 v19, s21, v19
	v_mul_hi_u32 v20, s23, v19
	s_delay_alu instid0(VALU_DEP_1) | instskip(SKIP_1) | instid1(VALU_DEP_1)
	v_add_nc_u32_e32 v20, v19, v20
	v_mul_lo_u32 v21, v18, s16
	v_sub_nc_u32_e32 v17, v17, v21
	v_mul_lo_u32 v21, v19, s19
	s_delay_alu instid0(VALU_DEP_4) | instskip(NEXT) | instid1(VALU_DEP_3)
	v_lshrrev_b32_e32 v20, s8, v20
	v_mad_u32 v1, v17, s37, v1
	v_mad_u32 v0, v17, s36, v0
	s_delay_alu instid0(VALU_DEP_4) | instskip(NEXT) | instid1(VALU_DEP_4)
	v_sub_nc_u32_e32 v17, v18, v21
	v_mul_hi_u32 v22, s10, v20
	v_mul_lo_u32 v18, v20, s22
	s_delay_alu instid0(VALU_DEP_3) | instskip(SKIP_1) | instid1(VALU_DEP_4)
	v_mad_u32 v1, v17, s39, v1
	v_mad_u32 v0, v17, s38, v0
	v_add_nc_u32_e32 v21, v20, v22
	s_delay_alu instid0(VALU_DEP_1) | instskip(NEXT) | instid1(VALU_DEP_1)
	v_dual_sub_nc_u32 v18, v19, v18 :: v_dual_lshrrev_b32 v17, s11, v21
	v_mad_u32 v1, v18, s41, v1
	s_delay_alu instid0(VALU_DEP_4) | instskip(NEXT) | instid1(VALU_DEP_3)
	v_mad_u32 v0, v18, s40, v0
	v_mul_lo_u32 v19, v17, s9
	s_delay_alu instid0(VALU_DEP_1) | instskip(NEXT) | instid1(VALU_DEP_1)
	v_sub_nc_u32_e32 v18, v20, v19
	v_mad_u32 v1, v18, s43, v1
	s_delay_alu instid0(VALU_DEP_4)
	v_mad_u32 v0, v18, s42, v0
	s_cbranch_scc1 .LBB37_104
; %bb.105:
	s_and_b32 s4, s1, 3
	s_mov_b32 s1, 0
	s_cmp_eq_u32 s4, 0
	s_cbranch_scc0 .LBB37_109
	s_branch .LBB37_111
.LBB37_106:
	s_mov_b32 s6, -1
                                        ; implicit-def: $vgpr1
	s_branch .LBB37_111
.LBB37_107:
	v_dual_mov_b32 v1, 0 :: v_dual_mov_b32 v0, 0
	s_branch .LBB37_111
.LBB37_108:
	v_mov_b64_e32 v[0:1], 0
	v_mov_b32_e32 v17, v15
	s_mov_b32 s0, 0
	s_and_b32 s4, s1, 3
	s_mov_b32 s1, 0
	s_cmp_eq_u32 s4, 0
	s_cbranch_scc1 .LBB37_111
.LBB37_109:
	s_lshl_b32 s2, s0, 3
	s_mov_b32 s3, s1
	s_mul_u64 s[8:9], s[0:1], 12
	s_add_nc_u64 s[2:3], s[12:13], s[2:3]
	s_delay_alu instid0(SALU_CYCLE_1)
	s_add_nc_u64 s[0:1], s[2:3], 0xc4
	s_add_nc_u64 s[2:3], s[12:13], s[8:9]
.LBB37_110:                             ; =>This Inner Loop Header: Depth=1
	s_load_b96 s[8:10], s[2:3], 0x4
	s_add_co_i32 s4, s4, -1
	s_wait_xcnt 0x0
	s_add_nc_u64 s[2:3], s[2:3], 12
	s_cmp_lg_u32 s4, 0
	s_wait_kmcnt 0x0
	v_mul_hi_u32 v18, s9, v17
	s_delay_alu instid0(VALU_DEP_1) | instskip(NEXT) | instid1(VALU_DEP_1)
	v_add_nc_u32_e32 v18, v17, v18
	v_lshrrev_b32_e32 v18, s10, v18
	s_load_b64 s[10:11], s[0:1], 0x0
	s_wait_xcnt 0x0
	s_add_nc_u64 s[0:1], s[0:1], 8
	s_delay_alu instid0(VALU_DEP_1) | instskip(NEXT) | instid1(VALU_DEP_1)
	v_mul_lo_u32 v19, v18, s8
	v_sub_nc_u32_e32 v17, v17, v19
	s_wait_kmcnt 0x0
	s_delay_alu instid0(VALU_DEP_1)
	v_mad_u32 v1, v17, s11, v1
	v_mad_u32 v0, v17, s10, v0
	v_mov_b32_e32 v17, v18
	s_cbranch_scc1 .LBB37_110
.LBB37_111:
	s_and_not1_b32 vcc_lo, exec_lo, s6
	s_cbranch_vccnz .LBB37_114
; %bb.112:
	s_clause 0x1
	s_load_b96 s[0:2], s[12:13], 0x4
	s_load_b64 s[4:5], s[12:13], 0xc4
	s_cmp_lt_u32 s28, 2
	s_wait_kmcnt 0x0
	v_mul_hi_u32 v0, s1, v15
	s_delay_alu instid0(VALU_DEP_1) | instskip(NEXT) | instid1(VALU_DEP_1)
	v_add_nc_u32_e32 v0, v15, v0
	v_lshrrev_b32_e32 v17, s2, v0
	s_delay_alu instid0(VALU_DEP_1) | instskip(NEXT) | instid1(VALU_DEP_1)
	v_mul_lo_u32 v0, v17, s0
	v_sub_nc_u32_e32 v0, v15, v0
	s_delay_alu instid0(VALU_DEP_1)
	v_mul_lo_u32 v1, v0, s5
	v_mul_lo_u32 v0, v0, s4
	s_cbranch_scc1 .LBB37_114
; %bb.113:
	s_clause 0x1
	s_load_b96 s[0:2], s[12:13], 0x10
	s_load_b64 s[4:5], s[12:13], 0xcc
	s_wait_kmcnt 0x0
	v_mul_hi_u32 v15, s1, v17
	s_delay_alu instid0(VALU_DEP_1) | instskip(NEXT) | instid1(VALU_DEP_1)
	v_add_nc_u32_e32 v15, v17, v15
	v_lshrrev_b32_e32 v15, s2, v15
	s_delay_alu instid0(VALU_DEP_1) | instskip(NEXT) | instid1(VALU_DEP_1)
	v_mul_lo_u32 v15, v15, s0
	v_sub_nc_u32_e32 v15, v17, v15
	s_delay_alu instid0(VALU_DEP_1)
	v_mad_u32 v0, v15, s4, v0
	v_mad_u32 v1, v15, s5, v1
.LBB37_114:
	v_cmp_ne_u32_e32 vcc_lo, 1, v14
	s_cbranch_vccnz .LBB37_120
; %bb.115:
	s_cmp_lg_u32 s28, 0
	s_mov_b32 s6, 0
	s_cbranch_scc0 .LBB37_121
; %bb.116:
	s_min_u32 s1, s29, 15
	s_delay_alu instid0(SALU_CYCLE_1)
	s_add_co_i32 s1, s1, 1
	s_cmp_eq_u32 s29, 2
	s_cbranch_scc1 .LBB37_122
; %bb.117:
	v_dual_mov_b32 v14, 0 :: v_dual_mov_b32 v15, 0
	v_mov_b32_e32 v17, v16
	s_and_b32 s0, s1, 28
	s_add_nc_u64 s[2:3], s[12:13], 0xc4
	s_mov_b32 s7, 0
	s_mov_b64 s[4:5], s[12:13]
.LBB37_118:                             ; =>This Inner Loop Header: Depth=1
	s_clause 0x1
	s_load_b256 s[16:23], s[4:5], 0x4
	s_load_b128 s[8:11], s[4:5], 0x24
	s_load_b256 s[36:43], s[2:3], 0x0
	s_add_co_i32 s7, s7, 4
	s_wait_xcnt 0x0
	s_add_nc_u64 s[4:5], s[4:5], 48
	s_cmp_lg_u32 s0, s7
	s_add_nc_u64 s[2:3], s[2:3], 32
	s_wait_kmcnt 0x0
	v_mul_hi_u32 v18, s17, v17
	s_delay_alu instid0(VALU_DEP_1) | instskip(NEXT) | instid1(VALU_DEP_1)
	v_add_nc_u32_e32 v18, v17, v18
	v_lshrrev_b32_e32 v18, s18, v18
	s_delay_alu instid0(VALU_DEP_1) | instskip(NEXT) | instid1(VALU_DEP_1)
	v_mul_hi_u32 v19, s20, v18
	v_add_nc_u32_e32 v19, v18, v19
	s_delay_alu instid0(VALU_DEP_1) | instskip(NEXT) | instid1(VALU_DEP_1)
	v_lshrrev_b32_e32 v19, s21, v19
	v_mul_hi_u32 v20, s23, v19
	s_delay_alu instid0(VALU_DEP_1) | instskip(SKIP_1) | instid1(VALU_DEP_1)
	v_add_nc_u32_e32 v20, v19, v20
	v_mul_lo_u32 v21, v18, s16
	v_sub_nc_u32_e32 v17, v17, v21
	v_mul_lo_u32 v21, v19, s19
	s_delay_alu instid0(VALU_DEP_4) | instskip(NEXT) | instid1(VALU_DEP_3)
	v_lshrrev_b32_e32 v20, s8, v20
	v_mad_u32 v15, v17, s37, v15
	v_mad_u32 v14, v17, s36, v14
	s_delay_alu instid0(VALU_DEP_4) | instskip(NEXT) | instid1(VALU_DEP_4)
	v_sub_nc_u32_e32 v17, v18, v21
	v_mul_hi_u32 v22, s10, v20
	v_mul_lo_u32 v18, v20, s22
	s_delay_alu instid0(VALU_DEP_3) | instskip(SKIP_1) | instid1(VALU_DEP_4)
	v_mad_u32 v15, v17, s39, v15
	v_mad_u32 v14, v17, s38, v14
	v_add_nc_u32_e32 v21, v20, v22
	s_delay_alu instid0(VALU_DEP_1) | instskip(NEXT) | instid1(VALU_DEP_1)
	v_dual_sub_nc_u32 v18, v19, v18 :: v_dual_lshrrev_b32 v17, s11, v21
	v_mad_u32 v15, v18, s41, v15
	s_delay_alu instid0(VALU_DEP_4) | instskip(NEXT) | instid1(VALU_DEP_3)
	v_mad_u32 v14, v18, s40, v14
	v_mul_lo_u32 v19, v17, s9
	s_delay_alu instid0(VALU_DEP_1) | instskip(NEXT) | instid1(VALU_DEP_1)
	v_sub_nc_u32_e32 v18, v20, v19
	v_mad_u32 v15, v18, s43, v15
	s_delay_alu instid0(VALU_DEP_4)
	v_mad_u32 v14, v18, s42, v14
	s_cbranch_scc1 .LBB37_118
; %bb.119:
	s_and_b32 s4, s1, 3
	s_mov_b32 s1, 0
	s_cmp_eq_u32 s4, 0
	s_cbranch_scc0 .LBB37_123
	s_branch .LBB37_125
.LBB37_120:
	s_mov_b32 s6, -1
                                        ; implicit-def: $vgpr15
	s_branch .LBB37_125
.LBB37_121:
	v_dual_mov_b32 v15, 0 :: v_dual_mov_b32 v14, 0
	s_branch .LBB37_125
.LBB37_122:
	v_mov_b64_e32 v[14:15], 0
	v_mov_b32_e32 v17, v16
	s_mov_b32 s0, 0
	s_and_b32 s4, s1, 3
	s_mov_b32 s1, 0
	s_cmp_eq_u32 s4, 0
	s_cbranch_scc1 .LBB37_125
.LBB37_123:
	s_lshl_b32 s2, s0, 3
	s_mov_b32 s3, s1
	s_mul_u64 s[8:9], s[0:1], 12
	s_add_nc_u64 s[2:3], s[12:13], s[2:3]
	s_delay_alu instid0(SALU_CYCLE_1)
	s_add_nc_u64 s[0:1], s[2:3], 0xc4
	s_add_nc_u64 s[2:3], s[12:13], s[8:9]
.LBB37_124:                             ; =>This Inner Loop Header: Depth=1
	s_load_b96 s[8:10], s[2:3], 0x4
	s_add_co_i32 s4, s4, -1
	s_wait_xcnt 0x0
	s_add_nc_u64 s[2:3], s[2:3], 12
	s_cmp_lg_u32 s4, 0
	s_wait_kmcnt 0x0
	v_mul_hi_u32 v18, s9, v17
	s_delay_alu instid0(VALU_DEP_1) | instskip(NEXT) | instid1(VALU_DEP_1)
	v_add_nc_u32_e32 v18, v17, v18
	v_lshrrev_b32_e32 v18, s10, v18
	s_load_b64 s[10:11], s[0:1], 0x0
	s_wait_xcnt 0x0
	s_add_nc_u64 s[0:1], s[0:1], 8
	s_delay_alu instid0(VALU_DEP_1) | instskip(NEXT) | instid1(VALU_DEP_1)
	v_mul_lo_u32 v19, v18, s8
	v_sub_nc_u32_e32 v17, v17, v19
	s_wait_kmcnt 0x0
	s_delay_alu instid0(VALU_DEP_1)
	v_mad_u32 v15, v17, s11, v15
	v_mad_u32 v14, v17, s10, v14
	v_mov_b32_e32 v17, v18
	s_cbranch_scc1 .LBB37_124
.LBB37_125:
	s_and_not1_b32 vcc_lo, exec_lo, s6
	s_cbranch_vccnz .LBB37_128
; %bb.126:
	s_clause 0x1
	s_load_b96 s[0:2], s[12:13], 0x4
	s_load_b64 s[4:5], s[12:13], 0xc4
	s_cmp_lt_u32 s28, 2
	s_wait_kmcnt 0x0
	v_mul_hi_u32 v14, s1, v16
	s_delay_alu instid0(VALU_DEP_1) | instskip(NEXT) | instid1(VALU_DEP_1)
	v_add_nc_u32_e32 v14, v16, v14
	v_lshrrev_b32_e32 v17, s2, v14
	s_delay_alu instid0(VALU_DEP_1) | instskip(NEXT) | instid1(VALU_DEP_1)
	v_mul_lo_u32 v14, v17, s0
	v_sub_nc_u32_e32 v14, v16, v14
	s_delay_alu instid0(VALU_DEP_1)
	v_mul_lo_u32 v15, v14, s5
	v_mul_lo_u32 v14, v14, s4
	s_cbranch_scc1 .LBB37_128
; %bb.127:
	s_clause 0x1
	s_load_b96 s[0:2], s[12:13], 0x10
	s_load_b64 s[4:5], s[12:13], 0xcc
	s_wait_kmcnt 0x0
	v_mul_hi_u32 v16, s1, v17
	s_delay_alu instid0(VALU_DEP_1) | instskip(NEXT) | instid1(VALU_DEP_1)
	v_add_nc_u32_e32 v16, v17, v16
	v_lshrrev_b32_e32 v16, s2, v16
	s_delay_alu instid0(VALU_DEP_1) | instskip(NEXT) | instid1(VALU_DEP_1)
	v_mul_lo_u32 v16, v16, s0
	v_sub_nc_u32_e32 v16, v17, v16
	s_delay_alu instid0(VALU_DEP_1)
	v_mad_u32 v14, v16, s4, v14
	v_mad_u32 v15, v16, s5, v15
.LBB37_128:
	s_load_b128 s[0:3], s[12:13], 0x148
	s_wait_kmcnt 0x0
	s_clause 0x7
	global_load_b64 v[16:17], v3, s[2:3]
	global_load_b64 v[18:19], v5, s[2:3]
	;; [unrolled: 1-line block ×8, first 2 shown]
	s_wait_loadcnt 0x7
	v_cmp_eq_f64_e32 vcc_lo, 0x7ff00000, v[16:17]
	s_wait_xcnt 0x1
	v_cndmask_b32_e64 v1, 0, 1, vcc_lo
	s_wait_loadcnt 0x6
	v_cmp_eq_f64_e32 vcc_lo, 0x7ff00000, v[18:19]
	v_cndmask_b32_e64 v3, 0, 1, vcc_lo
	s_wait_loadcnt 0x5
	v_cmp_eq_f64_e32 vcc_lo, 0x7ff00000, v[20:21]
	;; [unrolled: 3-line block ×7, first 2 shown]
	s_wait_xcnt 0x0
	v_cndmask_b32_e64 v15, 0, 1, vcc_lo
	s_clause 0x7
	global_store_b8 v2, v1, s[0:1]
	global_store_b8 v4, v3, s[0:1]
	;; [unrolled: 1-line block ×8, first 2 shown]
	s_endpgm
.LBB37_129:
	v_dual_mov_b32 v3, 0 :: v_dual_mov_b32 v2, 0
	s_branch .LBB37_135
.LBB37_130:
	v_dual_mov_b32 v3, 0 :: v_dual_mov_b32 v2, 0
	s_branch .LBB37_151
.LBB37_131:
	v_mov_b64_e32 v[2:3], 0
	v_mov_b32_e32 v1, v0
	s_mov_b32 s22, 0
.LBB37_132:
	s_and_b32 s14, s14, 3
	s_mov_b32 s23, 0
	s_cmp_eq_u32 s14, 0
	s_cbranch_scc1 .LBB37_135
; %bb.133:
	s_lshl_b32 s24, s22, 3
	s_mov_b32 s25, s23
	s_mul_u64 s[26:27], s[22:23], 12
	s_add_nc_u64 s[24:25], s[12:13], s[24:25]
	s_delay_alu instid0(SALU_CYCLE_1)
	s_add_nc_u64 s[22:23], s[24:25], 0xc4
	s_add_nc_u64 s[24:25], s[12:13], s[26:27]
.LBB37_134:                             ; =>This Inner Loop Header: Depth=1
	s_load_b96 s[40:42], s[24:25], 0x4
	s_load_b64 s[26:27], s[22:23], 0x0
	s_add_co_i32 s14, s14, -1
	s_wait_xcnt 0x0
	s_add_nc_u64 s[24:25], s[24:25], 12
	s_cmp_lg_u32 s14, 0
	s_add_nc_u64 s[22:23], s[22:23], 8
	s_wait_kmcnt 0x0
	v_mul_hi_u32 v4, s41, v1
	s_delay_alu instid0(VALU_DEP_1) | instskip(NEXT) | instid1(VALU_DEP_1)
	v_add_nc_u32_e32 v4, v1, v4
	v_lshrrev_b32_e32 v4, s42, v4
	s_delay_alu instid0(VALU_DEP_1) | instskip(NEXT) | instid1(VALU_DEP_1)
	v_mul_lo_u32 v5, v4, s40
	v_sub_nc_u32_e32 v1, v1, v5
	s_delay_alu instid0(VALU_DEP_1)
	v_mad_u32 v3, v1, s27, v3
	v_mad_u32 v2, v1, s26, v2
	v_mov_b32_e32 v1, v4
	s_cbranch_scc1 .LBB37_134
.LBB37_135:
	s_cbranch_execnz .LBB37_138
.LBB37_136:
	v_mov_b32_e32 v1, 0
	s_and_not1_b32 vcc_lo, exec_lo, s33
	s_delay_alu instid0(VALU_DEP_1) | instskip(NEXT) | instid1(VALU_DEP_1)
	v_mul_u64_e32 v[2:3], s[16:17], v[0:1]
	v_add_nc_u32_e32 v2, v0, v3
	s_delay_alu instid0(VALU_DEP_1) | instskip(NEXT) | instid1(VALU_DEP_1)
	v_lshrrev_b32_e32 v4, s6, v2
	v_mul_lo_u32 v2, v4, s4
	s_delay_alu instid0(VALU_DEP_1) | instskip(NEXT) | instid1(VALU_DEP_1)
	v_sub_nc_u32_e32 v2, v0, v2
	v_mul_lo_u32 v3, v2, s9
	v_mul_lo_u32 v2, v2, s8
	s_cbranch_vccnz .LBB37_138
; %bb.137:
	v_mov_b32_e32 v5, v1
	s_delay_alu instid0(VALU_DEP_1) | instskip(NEXT) | instid1(VALU_DEP_1)
	v_mul_u64_e32 v[6:7], s[18:19], v[4:5]
	v_add_nc_u32_e32 v1, v4, v7
	s_delay_alu instid0(VALU_DEP_1) | instskip(NEXT) | instid1(VALU_DEP_1)
	v_lshrrev_b32_e32 v1, s15, v1
	v_mul_lo_u32 v1, v1, s7
	s_delay_alu instid0(VALU_DEP_1) | instskip(NEXT) | instid1(VALU_DEP_1)
	v_sub_nc_u32_e32 v1, v4, v1
	v_mad_u32 v2, v1, s10, v2
	v_mad_u32 v3, v1, s11, v3
.LBB37_138:
	global_load_b64 v[4:5], v3, s[2:3]
	v_add_nc_u32_e32 v0, 0x80, v0
	s_wait_loadcnt 0x0
	v_cmp_eq_f64_e32 vcc_lo, 0x7ff00000, v[4:5]
	v_cndmask_b32_e64 v1, 0, 1, vcc_lo
	global_store_b8 v2, v1, s[0:1]
	s_wait_xcnt 0x0
	s_or_b32 exec_lo, exec_lo, s5
	s_delay_alu instid0(SALU_CYCLE_1)
	s_mov_b32 s5, exec_lo
	v_cmpx_gt_i32_e64 s34, v0
	s_cbranch_execnz .LBB37_15
.LBB37_139:
	s_or_b32 exec_lo, exec_lo, s5
	s_delay_alu instid0(SALU_CYCLE_1)
	s_mov_b32 s5, exec_lo
	v_cmpx_gt_i32_e64 s34, v0
	s_cbranch_execz .LBB37_155
.LBB37_140:
	s_and_not1_b32 vcc_lo, exec_lo, s30
	s_cbranch_vccnz .LBB37_145
; %bb.141:
	s_and_not1_b32 vcc_lo, exec_lo, s36
	s_cbranch_vccnz .LBB37_146
; %bb.142:
	s_add_co_i32 s14, s35, 1
	s_cmp_eq_u32 s29, 2
	s_cbranch_scc1 .LBB37_163
; %bb.143:
	v_dual_mov_b32 v2, 0 :: v_dual_mov_b32 v3, 0
	v_mov_b32_e32 v1, v0
	s_and_b32 s22, s14, 28
	s_mov_b32 s23, 0
	s_mov_b64 s[24:25], s[12:13]
	s_mov_b64 s[26:27], s[20:21]
.LBB37_144:                             ; =>This Inner Loop Header: Depth=1
	s_clause 0x1
	s_load_b256 s[40:47], s[24:25], 0x4
	s_load_b128 s[56:59], s[24:25], 0x24
	s_load_b256 s[48:55], s[26:27], 0x0
	s_add_co_i32 s23, s23, 4
	s_wait_xcnt 0x0
	s_add_nc_u64 s[24:25], s[24:25], 48
	s_cmp_eq_u32 s22, s23
	s_add_nc_u64 s[26:27], s[26:27], 32
	s_wait_kmcnt 0x0
	v_mul_hi_u32 v4, s41, v1
	s_delay_alu instid0(VALU_DEP_1) | instskip(NEXT) | instid1(VALU_DEP_1)
	v_add_nc_u32_e32 v4, v1, v4
	v_lshrrev_b32_e32 v4, s42, v4
	s_delay_alu instid0(VALU_DEP_1) | instskip(NEXT) | instid1(VALU_DEP_1)
	v_mul_hi_u32 v5, s44, v4
	v_add_nc_u32_e32 v5, v4, v5
	s_delay_alu instid0(VALU_DEP_1) | instskip(NEXT) | instid1(VALU_DEP_1)
	v_lshrrev_b32_e32 v5, s45, v5
	v_mul_hi_u32 v6, s47, v5
	s_delay_alu instid0(VALU_DEP_1) | instskip(SKIP_1) | instid1(VALU_DEP_1)
	v_add_nc_u32_e32 v6, v5, v6
	v_mul_lo_u32 v7, v4, s40
	v_sub_nc_u32_e32 v1, v1, v7
	v_mul_lo_u32 v7, v5, s43
	s_delay_alu instid0(VALU_DEP_4) | instskip(NEXT) | instid1(VALU_DEP_3)
	v_lshrrev_b32_e32 v6, s56, v6
	v_mad_u32 v3, v1, s49, v3
	v_mad_u32 v1, v1, s48, v2
	s_delay_alu instid0(VALU_DEP_4) | instskip(NEXT) | instid1(VALU_DEP_4)
	v_sub_nc_u32_e32 v2, v4, v7
	v_mul_hi_u32 v8, s58, v6
	v_mul_lo_u32 v4, v6, s46
	s_delay_alu instid0(VALU_DEP_3) | instskip(SKIP_1) | instid1(VALU_DEP_4)
	v_mad_u32 v3, v2, s51, v3
	v_mad_u32 v2, v2, s50, v1
	v_add_nc_u32_e32 v7, v6, v8
	s_delay_alu instid0(VALU_DEP_1) | instskip(NEXT) | instid1(VALU_DEP_1)
	v_dual_sub_nc_u32 v4, v5, v4 :: v_dual_lshrrev_b32 v1, s59, v7
	v_mad_u32 v3, v4, s53, v3
	s_delay_alu instid0(VALU_DEP_4) | instskip(NEXT) | instid1(VALU_DEP_3)
	v_mad_u32 v2, v4, s52, v2
	v_mul_lo_u32 v5, v1, s57
	s_delay_alu instid0(VALU_DEP_1) | instskip(NEXT) | instid1(VALU_DEP_1)
	v_sub_nc_u32_e32 v4, v6, v5
	v_mad_u32 v3, v4, s55, v3
	s_delay_alu instid0(VALU_DEP_4)
	v_mad_u32 v2, v4, s54, v2
	s_cbranch_scc0 .LBB37_144
	s_branch .LBB37_164
.LBB37_145:
                                        ; implicit-def: $vgpr3
	s_branch .LBB37_168
.LBB37_146:
	v_dual_mov_b32 v3, 0 :: v_dual_mov_b32 v2, 0
	s_branch .LBB37_167
.LBB37_147:
	v_mov_b64_e32 v[2:3], 0
	v_mov_b32_e32 v1, v0
	s_mov_b32 s22, 0
.LBB37_148:
	s_and_b32 s14, s14, 3
	s_mov_b32 s23, 0
	s_cmp_eq_u32 s14, 0
	s_cbranch_scc1 .LBB37_151
; %bb.149:
	s_lshl_b32 s24, s22, 3
	s_mov_b32 s25, s23
	s_mul_u64 s[26:27], s[22:23], 12
	s_add_nc_u64 s[24:25], s[12:13], s[24:25]
	s_delay_alu instid0(SALU_CYCLE_1)
	s_add_nc_u64 s[22:23], s[24:25], 0xc4
	s_add_nc_u64 s[24:25], s[12:13], s[26:27]
.LBB37_150:                             ; =>This Inner Loop Header: Depth=1
	s_load_b96 s[40:42], s[24:25], 0x4
	s_load_b64 s[26:27], s[22:23], 0x0
	s_add_co_i32 s14, s14, -1
	s_wait_xcnt 0x0
	s_add_nc_u64 s[24:25], s[24:25], 12
	s_cmp_lg_u32 s14, 0
	s_add_nc_u64 s[22:23], s[22:23], 8
	s_wait_kmcnt 0x0
	v_mul_hi_u32 v4, s41, v1
	s_delay_alu instid0(VALU_DEP_1) | instskip(NEXT) | instid1(VALU_DEP_1)
	v_add_nc_u32_e32 v4, v1, v4
	v_lshrrev_b32_e32 v4, s42, v4
	s_delay_alu instid0(VALU_DEP_1) | instskip(NEXT) | instid1(VALU_DEP_1)
	v_mul_lo_u32 v5, v4, s40
	v_sub_nc_u32_e32 v1, v1, v5
	s_delay_alu instid0(VALU_DEP_1)
	v_mad_u32 v3, v1, s27, v3
	v_mad_u32 v2, v1, s26, v2
	v_mov_b32_e32 v1, v4
	s_cbranch_scc1 .LBB37_150
.LBB37_151:
	s_cbranch_execnz .LBB37_154
.LBB37_152:
	v_mov_b32_e32 v1, 0
	s_and_not1_b32 vcc_lo, exec_lo, s33
	s_delay_alu instid0(VALU_DEP_1) | instskip(NEXT) | instid1(VALU_DEP_1)
	v_mul_u64_e32 v[2:3], s[16:17], v[0:1]
	v_add_nc_u32_e32 v2, v0, v3
	s_delay_alu instid0(VALU_DEP_1) | instskip(NEXT) | instid1(VALU_DEP_1)
	v_lshrrev_b32_e32 v4, s6, v2
	v_mul_lo_u32 v2, v4, s4
	s_delay_alu instid0(VALU_DEP_1) | instskip(NEXT) | instid1(VALU_DEP_1)
	v_sub_nc_u32_e32 v2, v0, v2
	v_mul_lo_u32 v3, v2, s9
	v_mul_lo_u32 v2, v2, s8
	s_cbranch_vccnz .LBB37_154
; %bb.153:
	v_mov_b32_e32 v5, v1
	s_delay_alu instid0(VALU_DEP_1) | instskip(NEXT) | instid1(VALU_DEP_1)
	v_mul_u64_e32 v[6:7], s[18:19], v[4:5]
	v_add_nc_u32_e32 v1, v4, v7
	s_delay_alu instid0(VALU_DEP_1) | instskip(NEXT) | instid1(VALU_DEP_1)
	v_lshrrev_b32_e32 v1, s15, v1
	v_mul_lo_u32 v1, v1, s7
	s_delay_alu instid0(VALU_DEP_1) | instskip(NEXT) | instid1(VALU_DEP_1)
	v_sub_nc_u32_e32 v1, v4, v1
	v_mad_u32 v2, v1, s10, v2
	v_mad_u32 v3, v1, s11, v3
.LBB37_154:
	global_load_b64 v[4:5], v3, s[2:3]
	v_add_nc_u32_e32 v0, 0x80, v0
	s_wait_loadcnt 0x0
	v_cmp_eq_f64_e32 vcc_lo, 0x7ff00000, v[4:5]
	v_cndmask_b32_e64 v1, 0, 1, vcc_lo
	global_store_b8 v2, v1, s[0:1]
	s_wait_xcnt 0x0
	s_or_b32 exec_lo, exec_lo, s5
	s_delay_alu instid0(SALU_CYCLE_1)
	s_mov_b32 s5, exec_lo
	v_cmpx_gt_i32_e64 s34, v0
	s_cbranch_execnz .LBB37_140
.LBB37_155:
	s_or_b32 exec_lo, exec_lo, s5
	s_delay_alu instid0(SALU_CYCLE_1)
	s_mov_b32 s5, exec_lo
	v_cmpx_gt_i32_e64 s34, v0
	s_cbranch_execz .LBB37_171
.LBB37_156:
	s_and_not1_b32 vcc_lo, exec_lo, s30
	s_cbranch_vccnz .LBB37_161
; %bb.157:
	s_and_not1_b32 vcc_lo, exec_lo, s36
	s_cbranch_vccnz .LBB37_162
; %bb.158:
	s_add_co_i32 s14, s35, 1
	s_cmp_eq_u32 s29, 2
	s_cbranch_scc1 .LBB37_179
; %bb.159:
	v_dual_mov_b32 v2, 0 :: v_dual_mov_b32 v3, 0
	v_mov_b32_e32 v1, v0
	s_and_b32 s22, s14, 28
	s_mov_b32 s23, 0
	s_mov_b64 s[24:25], s[12:13]
	s_mov_b64 s[26:27], s[20:21]
.LBB37_160:                             ; =>This Inner Loop Header: Depth=1
	s_clause 0x1
	s_load_b256 s[40:47], s[24:25], 0x4
	s_load_b128 s[56:59], s[24:25], 0x24
	s_load_b256 s[48:55], s[26:27], 0x0
	s_add_co_i32 s23, s23, 4
	s_wait_xcnt 0x0
	s_add_nc_u64 s[24:25], s[24:25], 48
	s_cmp_eq_u32 s22, s23
	s_add_nc_u64 s[26:27], s[26:27], 32
	s_wait_kmcnt 0x0
	v_mul_hi_u32 v4, s41, v1
	s_delay_alu instid0(VALU_DEP_1) | instskip(NEXT) | instid1(VALU_DEP_1)
	v_add_nc_u32_e32 v4, v1, v4
	v_lshrrev_b32_e32 v4, s42, v4
	s_delay_alu instid0(VALU_DEP_1) | instskip(NEXT) | instid1(VALU_DEP_1)
	v_mul_hi_u32 v5, s44, v4
	v_add_nc_u32_e32 v5, v4, v5
	s_delay_alu instid0(VALU_DEP_1) | instskip(NEXT) | instid1(VALU_DEP_1)
	v_lshrrev_b32_e32 v5, s45, v5
	v_mul_hi_u32 v6, s47, v5
	s_delay_alu instid0(VALU_DEP_1) | instskip(SKIP_1) | instid1(VALU_DEP_1)
	v_add_nc_u32_e32 v6, v5, v6
	v_mul_lo_u32 v7, v4, s40
	v_sub_nc_u32_e32 v1, v1, v7
	v_mul_lo_u32 v7, v5, s43
	s_delay_alu instid0(VALU_DEP_4) | instskip(NEXT) | instid1(VALU_DEP_3)
	v_lshrrev_b32_e32 v6, s56, v6
	v_mad_u32 v3, v1, s49, v3
	v_mad_u32 v1, v1, s48, v2
	s_delay_alu instid0(VALU_DEP_4) | instskip(NEXT) | instid1(VALU_DEP_4)
	v_sub_nc_u32_e32 v2, v4, v7
	v_mul_hi_u32 v8, s58, v6
	v_mul_lo_u32 v4, v6, s46
	s_delay_alu instid0(VALU_DEP_3) | instskip(SKIP_1) | instid1(VALU_DEP_4)
	v_mad_u32 v3, v2, s51, v3
	v_mad_u32 v2, v2, s50, v1
	v_add_nc_u32_e32 v7, v6, v8
	s_delay_alu instid0(VALU_DEP_1) | instskip(NEXT) | instid1(VALU_DEP_1)
	v_dual_sub_nc_u32 v4, v5, v4 :: v_dual_lshrrev_b32 v1, s59, v7
	v_mad_u32 v3, v4, s53, v3
	s_delay_alu instid0(VALU_DEP_4) | instskip(NEXT) | instid1(VALU_DEP_3)
	v_mad_u32 v2, v4, s52, v2
	v_mul_lo_u32 v5, v1, s57
	s_delay_alu instid0(VALU_DEP_1) | instskip(NEXT) | instid1(VALU_DEP_1)
	v_sub_nc_u32_e32 v4, v6, v5
	v_mad_u32 v3, v4, s55, v3
	s_delay_alu instid0(VALU_DEP_4)
	v_mad_u32 v2, v4, s54, v2
	s_cbranch_scc0 .LBB37_160
	s_branch .LBB37_180
.LBB37_161:
                                        ; implicit-def: $vgpr3
	s_branch .LBB37_184
.LBB37_162:
	v_dual_mov_b32 v3, 0 :: v_dual_mov_b32 v2, 0
	s_branch .LBB37_183
.LBB37_163:
	v_mov_b64_e32 v[2:3], 0
	v_mov_b32_e32 v1, v0
	s_mov_b32 s22, 0
.LBB37_164:
	s_and_b32 s14, s14, 3
	s_mov_b32 s23, 0
	s_cmp_eq_u32 s14, 0
	s_cbranch_scc1 .LBB37_167
; %bb.165:
	s_lshl_b32 s24, s22, 3
	s_mov_b32 s25, s23
	s_mul_u64 s[26:27], s[22:23], 12
	s_add_nc_u64 s[24:25], s[12:13], s[24:25]
	s_delay_alu instid0(SALU_CYCLE_1)
	s_add_nc_u64 s[22:23], s[24:25], 0xc4
	s_add_nc_u64 s[24:25], s[12:13], s[26:27]
.LBB37_166:                             ; =>This Inner Loop Header: Depth=1
	s_load_b96 s[40:42], s[24:25], 0x4
	s_load_b64 s[26:27], s[22:23], 0x0
	s_add_co_i32 s14, s14, -1
	s_wait_xcnt 0x0
	s_add_nc_u64 s[24:25], s[24:25], 12
	s_cmp_lg_u32 s14, 0
	s_add_nc_u64 s[22:23], s[22:23], 8
	s_wait_kmcnt 0x0
	v_mul_hi_u32 v4, s41, v1
	s_delay_alu instid0(VALU_DEP_1) | instskip(NEXT) | instid1(VALU_DEP_1)
	v_add_nc_u32_e32 v4, v1, v4
	v_lshrrev_b32_e32 v4, s42, v4
	s_delay_alu instid0(VALU_DEP_1) | instskip(NEXT) | instid1(VALU_DEP_1)
	v_mul_lo_u32 v5, v4, s40
	v_sub_nc_u32_e32 v1, v1, v5
	s_delay_alu instid0(VALU_DEP_1)
	v_mad_u32 v3, v1, s27, v3
	v_mad_u32 v2, v1, s26, v2
	v_mov_b32_e32 v1, v4
	s_cbranch_scc1 .LBB37_166
.LBB37_167:
	s_cbranch_execnz .LBB37_170
.LBB37_168:
	v_mov_b32_e32 v1, 0
	s_and_not1_b32 vcc_lo, exec_lo, s33
	s_delay_alu instid0(VALU_DEP_1) | instskip(NEXT) | instid1(VALU_DEP_1)
	v_mul_u64_e32 v[2:3], s[16:17], v[0:1]
	v_add_nc_u32_e32 v2, v0, v3
	s_delay_alu instid0(VALU_DEP_1) | instskip(NEXT) | instid1(VALU_DEP_1)
	v_lshrrev_b32_e32 v4, s6, v2
	v_mul_lo_u32 v2, v4, s4
	s_delay_alu instid0(VALU_DEP_1) | instskip(NEXT) | instid1(VALU_DEP_1)
	v_sub_nc_u32_e32 v2, v0, v2
	v_mul_lo_u32 v3, v2, s9
	v_mul_lo_u32 v2, v2, s8
	s_cbranch_vccnz .LBB37_170
; %bb.169:
	v_mov_b32_e32 v5, v1
	s_delay_alu instid0(VALU_DEP_1) | instskip(NEXT) | instid1(VALU_DEP_1)
	v_mul_u64_e32 v[6:7], s[18:19], v[4:5]
	v_add_nc_u32_e32 v1, v4, v7
	s_delay_alu instid0(VALU_DEP_1) | instskip(NEXT) | instid1(VALU_DEP_1)
	v_lshrrev_b32_e32 v1, s15, v1
	v_mul_lo_u32 v1, v1, s7
	s_delay_alu instid0(VALU_DEP_1) | instskip(NEXT) | instid1(VALU_DEP_1)
	v_sub_nc_u32_e32 v1, v4, v1
	v_mad_u32 v2, v1, s10, v2
	v_mad_u32 v3, v1, s11, v3
.LBB37_170:
	global_load_b64 v[4:5], v3, s[2:3]
	v_add_nc_u32_e32 v0, 0x80, v0
	s_wait_loadcnt 0x0
	v_cmp_eq_f64_e32 vcc_lo, 0x7ff00000, v[4:5]
	v_cndmask_b32_e64 v1, 0, 1, vcc_lo
	global_store_b8 v2, v1, s[0:1]
	s_wait_xcnt 0x0
	s_or_b32 exec_lo, exec_lo, s5
	s_delay_alu instid0(SALU_CYCLE_1)
	s_mov_b32 s5, exec_lo
	v_cmpx_gt_i32_e64 s34, v0
	s_cbranch_execnz .LBB37_156
.LBB37_171:
	s_or_b32 exec_lo, exec_lo, s5
	s_delay_alu instid0(SALU_CYCLE_1)
	s_mov_b32 s5, exec_lo
	v_cmpx_gt_i32_e64 s34, v0
	s_cbranch_execz .LBB37_187
.LBB37_172:
	s_and_not1_b32 vcc_lo, exec_lo, s30
	s_cbranch_vccnz .LBB37_177
; %bb.173:
	s_and_not1_b32 vcc_lo, exec_lo, s36
	s_cbranch_vccnz .LBB37_178
; %bb.174:
	s_add_co_i32 s14, s35, 1
	s_cmp_eq_u32 s29, 2
	s_cbranch_scc1 .LBB37_195
; %bb.175:
	v_dual_mov_b32 v2, 0 :: v_dual_mov_b32 v3, 0
	v_mov_b32_e32 v1, v0
	s_and_b32 s22, s14, 28
	s_mov_b32 s23, 0
	s_mov_b64 s[24:25], s[12:13]
	s_mov_b64 s[26:27], s[20:21]
.LBB37_176:                             ; =>This Inner Loop Header: Depth=1
	s_clause 0x1
	s_load_b256 s[40:47], s[24:25], 0x4
	s_load_b128 s[56:59], s[24:25], 0x24
	s_load_b256 s[48:55], s[26:27], 0x0
	s_add_co_i32 s23, s23, 4
	s_wait_xcnt 0x0
	s_add_nc_u64 s[24:25], s[24:25], 48
	s_cmp_eq_u32 s22, s23
	s_add_nc_u64 s[26:27], s[26:27], 32
	s_wait_kmcnt 0x0
	v_mul_hi_u32 v4, s41, v1
	s_delay_alu instid0(VALU_DEP_1) | instskip(NEXT) | instid1(VALU_DEP_1)
	v_add_nc_u32_e32 v4, v1, v4
	v_lshrrev_b32_e32 v4, s42, v4
	s_delay_alu instid0(VALU_DEP_1) | instskip(NEXT) | instid1(VALU_DEP_1)
	v_mul_hi_u32 v5, s44, v4
	v_add_nc_u32_e32 v5, v4, v5
	s_delay_alu instid0(VALU_DEP_1) | instskip(NEXT) | instid1(VALU_DEP_1)
	v_lshrrev_b32_e32 v5, s45, v5
	v_mul_hi_u32 v6, s47, v5
	s_delay_alu instid0(VALU_DEP_1) | instskip(SKIP_1) | instid1(VALU_DEP_1)
	v_add_nc_u32_e32 v6, v5, v6
	v_mul_lo_u32 v7, v4, s40
	v_sub_nc_u32_e32 v1, v1, v7
	v_mul_lo_u32 v7, v5, s43
	s_delay_alu instid0(VALU_DEP_4) | instskip(NEXT) | instid1(VALU_DEP_3)
	v_lshrrev_b32_e32 v6, s56, v6
	v_mad_u32 v3, v1, s49, v3
	v_mad_u32 v1, v1, s48, v2
	s_delay_alu instid0(VALU_DEP_4) | instskip(NEXT) | instid1(VALU_DEP_4)
	v_sub_nc_u32_e32 v2, v4, v7
	v_mul_hi_u32 v8, s58, v6
	v_mul_lo_u32 v4, v6, s46
	s_delay_alu instid0(VALU_DEP_3) | instskip(SKIP_1) | instid1(VALU_DEP_4)
	v_mad_u32 v3, v2, s51, v3
	v_mad_u32 v2, v2, s50, v1
	v_add_nc_u32_e32 v7, v6, v8
	s_delay_alu instid0(VALU_DEP_1) | instskip(NEXT) | instid1(VALU_DEP_1)
	v_dual_sub_nc_u32 v4, v5, v4 :: v_dual_lshrrev_b32 v1, s59, v7
	v_mad_u32 v3, v4, s53, v3
	s_delay_alu instid0(VALU_DEP_4) | instskip(NEXT) | instid1(VALU_DEP_3)
	v_mad_u32 v2, v4, s52, v2
	v_mul_lo_u32 v5, v1, s57
	s_delay_alu instid0(VALU_DEP_1) | instskip(NEXT) | instid1(VALU_DEP_1)
	v_sub_nc_u32_e32 v4, v6, v5
	v_mad_u32 v3, v4, s55, v3
	s_delay_alu instid0(VALU_DEP_4)
	v_mad_u32 v2, v4, s54, v2
	s_cbranch_scc0 .LBB37_176
	s_branch .LBB37_196
.LBB37_177:
                                        ; implicit-def: $vgpr3
	s_branch .LBB37_200
.LBB37_178:
	v_dual_mov_b32 v3, 0 :: v_dual_mov_b32 v2, 0
	s_branch .LBB37_199
.LBB37_179:
	v_mov_b64_e32 v[2:3], 0
	v_mov_b32_e32 v1, v0
	s_mov_b32 s22, 0
.LBB37_180:
	s_and_b32 s14, s14, 3
	s_mov_b32 s23, 0
	s_cmp_eq_u32 s14, 0
	s_cbranch_scc1 .LBB37_183
; %bb.181:
	s_lshl_b32 s24, s22, 3
	s_mov_b32 s25, s23
	s_mul_u64 s[26:27], s[22:23], 12
	s_add_nc_u64 s[24:25], s[12:13], s[24:25]
	s_delay_alu instid0(SALU_CYCLE_1)
	s_add_nc_u64 s[22:23], s[24:25], 0xc4
	s_add_nc_u64 s[24:25], s[12:13], s[26:27]
.LBB37_182:                             ; =>This Inner Loop Header: Depth=1
	s_load_b96 s[40:42], s[24:25], 0x4
	s_load_b64 s[26:27], s[22:23], 0x0
	s_add_co_i32 s14, s14, -1
	s_wait_xcnt 0x0
	s_add_nc_u64 s[24:25], s[24:25], 12
	s_cmp_lg_u32 s14, 0
	s_add_nc_u64 s[22:23], s[22:23], 8
	s_wait_kmcnt 0x0
	v_mul_hi_u32 v4, s41, v1
	s_delay_alu instid0(VALU_DEP_1) | instskip(NEXT) | instid1(VALU_DEP_1)
	v_add_nc_u32_e32 v4, v1, v4
	v_lshrrev_b32_e32 v4, s42, v4
	s_delay_alu instid0(VALU_DEP_1) | instskip(NEXT) | instid1(VALU_DEP_1)
	v_mul_lo_u32 v5, v4, s40
	v_sub_nc_u32_e32 v1, v1, v5
	s_delay_alu instid0(VALU_DEP_1)
	v_mad_u32 v3, v1, s27, v3
	v_mad_u32 v2, v1, s26, v2
	v_mov_b32_e32 v1, v4
	s_cbranch_scc1 .LBB37_182
.LBB37_183:
	s_cbranch_execnz .LBB37_186
.LBB37_184:
	v_mov_b32_e32 v1, 0
	s_and_not1_b32 vcc_lo, exec_lo, s33
	s_delay_alu instid0(VALU_DEP_1) | instskip(NEXT) | instid1(VALU_DEP_1)
	v_mul_u64_e32 v[2:3], s[16:17], v[0:1]
	v_add_nc_u32_e32 v2, v0, v3
	s_delay_alu instid0(VALU_DEP_1) | instskip(NEXT) | instid1(VALU_DEP_1)
	v_lshrrev_b32_e32 v4, s6, v2
	v_mul_lo_u32 v2, v4, s4
	s_delay_alu instid0(VALU_DEP_1) | instskip(NEXT) | instid1(VALU_DEP_1)
	v_sub_nc_u32_e32 v2, v0, v2
	v_mul_lo_u32 v3, v2, s9
	v_mul_lo_u32 v2, v2, s8
	s_cbranch_vccnz .LBB37_186
; %bb.185:
	v_mov_b32_e32 v5, v1
	s_delay_alu instid0(VALU_DEP_1) | instskip(NEXT) | instid1(VALU_DEP_1)
	v_mul_u64_e32 v[6:7], s[18:19], v[4:5]
	v_add_nc_u32_e32 v1, v4, v7
	s_delay_alu instid0(VALU_DEP_1) | instskip(NEXT) | instid1(VALU_DEP_1)
	v_lshrrev_b32_e32 v1, s15, v1
	v_mul_lo_u32 v1, v1, s7
	s_delay_alu instid0(VALU_DEP_1) | instskip(NEXT) | instid1(VALU_DEP_1)
	v_sub_nc_u32_e32 v1, v4, v1
	v_mad_u32 v2, v1, s10, v2
	v_mad_u32 v3, v1, s11, v3
.LBB37_186:
	global_load_b64 v[4:5], v3, s[2:3]
	v_add_nc_u32_e32 v0, 0x80, v0
	s_wait_loadcnt 0x0
	v_cmp_eq_f64_e32 vcc_lo, 0x7ff00000, v[4:5]
	v_cndmask_b32_e64 v1, 0, 1, vcc_lo
	global_store_b8 v2, v1, s[0:1]
	s_wait_xcnt 0x0
	s_or_b32 exec_lo, exec_lo, s5
	s_delay_alu instid0(SALU_CYCLE_1)
	s_mov_b32 s5, exec_lo
	v_cmpx_gt_i32_e64 s34, v0
	s_cbranch_execnz .LBB37_172
.LBB37_187:
	s_or_b32 exec_lo, exec_lo, s5
	s_delay_alu instid0(SALU_CYCLE_1)
	s_mov_b32 s5, exec_lo
	v_cmpx_gt_i32_e64 s34, v0
	s_cbranch_execz .LBB37_203
.LBB37_188:
	s_and_not1_b32 vcc_lo, exec_lo, s30
	s_cbranch_vccnz .LBB37_193
; %bb.189:
	s_and_not1_b32 vcc_lo, exec_lo, s36
	s_cbranch_vccnz .LBB37_194
; %bb.190:
	s_add_co_i32 s14, s35, 1
	s_cmp_eq_u32 s29, 2
	s_cbranch_scc1 .LBB37_211
; %bb.191:
	v_dual_mov_b32 v2, 0 :: v_dual_mov_b32 v3, 0
	v_mov_b32_e32 v1, v0
	s_and_b32 s22, s14, 28
	s_mov_b32 s23, 0
	s_mov_b64 s[24:25], s[12:13]
	s_mov_b64 s[26:27], s[20:21]
.LBB37_192:                             ; =>This Inner Loop Header: Depth=1
	s_clause 0x1
	s_load_b256 s[40:47], s[24:25], 0x4
	s_load_b128 s[56:59], s[24:25], 0x24
	s_load_b256 s[48:55], s[26:27], 0x0
	s_add_co_i32 s23, s23, 4
	s_wait_xcnt 0x0
	s_add_nc_u64 s[24:25], s[24:25], 48
	s_cmp_eq_u32 s22, s23
	s_add_nc_u64 s[26:27], s[26:27], 32
	s_wait_kmcnt 0x0
	v_mul_hi_u32 v4, s41, v1
	s_delay_alu instid0(VALU_DEP_1) | instskip(NEXT) | instid1(VALU_DEP_1)
	v_add_nc_u32_e32 v4, v1, v4
	v_lshrrev_b32_e32 v4, s42, v4
	s_delay_alu instid0(VALU_DEP_1) | instskip(NEXT) | instid1(VALU_DEP_1)
	v_mul_hi_u32 v5, s44, v4
	v_add_nc_u32_e32 v5, v4, v5
	s_delay_alu instid0(VALU_DEP_1) | instskip(NEXT) | instid1(VALU_DEP_1)
	v_lshrrev_b32_e32 v5, s45, v5
	v_mul_hi_u32 v6, s47, v5
	s_delay_alu instid0(VALU_DEP_1) | instskip(SKIP_1) | instid1(VALU_DEP_1)
	v_add_nc_u32_e32 v6, v5, v6
	v_mul_lo_u32 v7, v4, s40
	v_sub_nc_u32_e32 v1, v1, v7
	v_mul_lo_u32 v7, v5, s43
	s_delay_alu instid0(VALU_DEP_4) | instskip(NEXT) | instid1(VALU_DEP_3)
	v_lshrrev_b32_e32 v6, s56, v6
	v_mad_u32 v3, v1, s49, v3
	v_mad_u32 v1, v1, s48, v2
	s_delay_alu instid0(VALU_DEP_4) | instskip(NEXT) | instid1(VALU_DEP_4)
	v_sub_nc_u32_e32 v2, v4, v7
	v_mul_hi_u32 v8, s58, v6
	v_mul_lo_u32 v4, v6, s46
	s_delay_alu instid0(VALU_DEP_3) | instskip(SKIP_1) | instid1(VALU_DEP_4)
	v_mad_u32 v3, v2, s51, v3
	v_mad_u32 v2, v2, s50, v1
	v_add_nc_u32_e32 v7, v6, v8
	s_delay_alu instid0(VALU_DEP_1) | instskip(NEXT) | instid1(VALU_DEP_1)
	v_dual_sub_nc_u32 v4, v5, v4 :: v_dual_lshrrev_b32 v1, s59, v7
	v_mad_u32 v3, v4, s53, v3
	s_delay_alu instid0(VALU_DEP_4) | instskip(NEXT) | instid1(VALU_DEP_3)
	v_mad_u32 v2, v4, s52, v2
	v_mul_lo_u32 v5, v1, s57
	s_delay_alu instid0(VALU_DEP_1) | instskip(NEXT) | instid1(VALU_DEP_1)
	v_sub_nc_u32_e32 v4, v6, v5
	v_mad_u32 v3, v4, s55, v3
	s_delay_alu instid0(VALU_DEP_4)
	v_mad_u32 v2, v4, s54, v2
	s_cbranch_scc0 .LBB37_192
	s_branch .LBB37_212
.LBB37_193:
                                        ; implicit-def: $vgpr3
	s_branch .LBB37_216
.LBB37_194:
	v_dual_mov_b32 v3, 0 :: v_dual_mov_b32 v2, 0
	s_branch .LBB37_215
.LBB37_195:
	v_mov_b64_e32 v[2:3], 0
	v_mov_b32_e32 v1, v0
	s_mov_b32 s22, 0
.LBB37_196:
	s_and_b32 s14, s14, 3
	s_mov_b32 s23, 0
	s_cmp_eq_u32 s14, 0
	s_cbranch_scc1 .LBB37_199
; %bb.197:
	s_lshl_b32 s24, s22, 3
	s_mov_b32 s25, s23
	s_mul_u64 s[26:27], s[22:23], 12
	s_add_nc_u64 s[24:25], s[12:13], s[24:25]
	s_delay_alu instid0(SALU_CYCLE_1)
	s_add_nc_u64 s[22:23], s[24:25], 0xc4
	s_add_nc_u64 s[24:25], s[12:13], s[26:27]
.LBB37_198:                             ; =>This Inner Loop Header: Depth=1
	s_load_b96 s[40:42], s[24:25], 0x4
	s_load_b64 s[26:27], s[22:23], 0x0
	s_add_co_i32 s14, s14, -1
	s_wait_xcnt 0x0
	s_add_nc_u64 s[24:25], s[24:25], 12
	s_cmp_lg_u32 s14, 0
	s_add_nc_u64 s[22:23], s[22:23], 8
	s_wait_kmcnt 0x0
	v_mul_hi_u32 v4, s41, v1
	s_delay_alu instid0(VALU_DEP_1) | instskip(NEXT) | instid1(VALU_DEP_1)
	v_add_nc_u32_e32 v4, v1, v4
	v_lshrrev_b32_e32 v4, s42, v4
	s_delay_alu instid0(VALU_DEP_1) | instskip(NEXT) | instid1(VALU_DEP_1)
	v_mul_lo_u32 v5, v4, s40
	v_sub_nc_u32_e32 v1, v1, v5
	s_delay_alu instid0(VALU_DEP_1)
	v_mad_u32 v3, v1, s27, v3
	v_mad_u32 v2, v1, s26, v2
	v_mov_b32_e32 v1, v4
	s_cbranch_scc1 .LBB37_198
.LBB37_199:
	s_cbranch_execnz .LBB37_202
.LBB37_200:
	v_mov_b32_e32 v1, 0
	s_and_not1_b32 vcc_lo, exec_lo, s33
	s_delay_alu instid0(VALU_DEP_1) | instskip(NEXT) | instid1(VALU_DEP_1)
	v_mul_u64_e32 v[2:3], s[16:17], v[0:1]
	v_add_nc_u32_e32 v2, v0, v3
	s_delay_alu instid0(VALU_DEP_1) | instskip(NEXT) | instid1(VALU_DEP_1)
	v_lshrrev_b32_e32 v4, s6, v2
	v_mul_lo_u32 v2, v4, s4
	s_delay_alu instid0(VALU_DEP_1) | instskip(NEXT) | instid1(VALU_DEP_1)
	v_sub_nc_u32_e32 v2, v0, v2
	v_mul_lo_u32 v3, v2, s9
	v_mul_lo_u32 v2, v2, s8
	s_cbranch_vccnz .LBB37_202
; %bb.201:
	v_mov_b32_e32 v5, v1
	s_delay_alu instid0(VALU_DEP_1) | instskip(NEXT) | instid1(VALU_DEP_1)
	v_mul_u64_e32 v[6:7], s[18:19], v[4:5]
	v_add_nc_u32_e32 v1, v4, v7
	s_delay_alu instid0(VALU_DEP_1) | instskip(NEXT) | instid1(VALU_DEP_1)
	v_lshrrev_b32_e32 v1, s15, v1
	v_mul_lo_u32 v1, v1, s7
	s_delay_alu instid0(VALU_DEP_1) | instskip(NEXT) | instid1(VALU_DEP_1)
	v_sub_nc_u32_e32 v1, v4, v1
	v_mad_u32 v2, v1, s10, v2
	v_mad_u32 v3, v1, s11, v3
.LBB37_202:
	global_load_b64 v[4:5], v3, s[2:3]
	v_add_nc_u32_e32 v0, 0x80, v0
	s_wait_loadcnt 0x0
	v_cmp_eq_f64_e32 vcc_lo, 0x7ff00000, v[4:5]
	v_cndmask_b32_e64 v1, 0, 1, vcc_lo
	global_store_b8 v2, v1, s[0:1]
	s_wait_xcnt 0x0
	s_or_b32 exec_lo, exec_lo, s5
	s_delay_alu instid0(SALU_CYCLE_1)
	s_mov_b32 s5, exec_lo
	v_cmpx_gt_i32_e64 s34, v0
	s_cbranch_execnz .LBB37_188
.LBB37_203:
	s_or_b32 exec_lo, exec_lo, s5
	s_delay_alu instid0(SALU_CYCLE_1)
	s_mov_b32 s5, exec_lo
	v_cmpx_gt_i32_e64 s34, v0
	s_cbranch_execz .LBB37_219
.LBB37_204:
	s_and_not1_b32 vcc_lo, exec_lo, s30
	s_cbranch_vccnz .LBB37_209
; %bb.205:
	s_and_not1_b32 vcc_lo, exec_lo, s36
	s_cbranch_vccnz .LBB37_210
; %bb.206:
	s_add_co_i32 s14, s35, 1
	s_cmp_eq_u32 s29, 2
	s_cbranch_scc1 .LBB37_222
; %bb.207:
	v_dual_mov_b32 v2, 0 :: v_dual_mov_b32 v3, 0
	v_mov_b32_e32 v1, v0
	s_and_b32 s22, s14, 28
	s_mov_b32 s23, 0
	s_mov_b64 s[24:25], s[12:13]
	s_mov_b64 s[26:27], s[20:21]
.LBB37_208:                             ; =>This Inner Loop Header: Depth=1
	s_clause 0x1
	s_load_b256 s[40:47], s[24:25], 0x4
	s_load_b128 s[56:59], s[24:25], 0x24
	s_load_b256 s[48:55], s[26:27], 0x0
	s_add_co_i32 s23, s23, 4
	s_wait_xcnt 0x0
	s_add_nc_u64 s[24:25], s[24:25], 48
	s_cmp_eq_u32 s22, s23
	s_add_nc_u64 s[26:27], s[26:27], 32
	s_wait_kmcnt 0x0
	v_mul_hi_u32 v4, s41, v1
	s_delay_alu instid0(VALU_DEP_1) | instskip(NEXT) | instid1(VALU_DEP_1)
	v_add_nc_u32_e32 v4, v1, v4
	v_lshrrev_b32_e32 v4, s42, v4
	s_delay_alu instid0(VALU_DEP_1) | instskip(NEXT) | instid1(VALU_DEP_1)
	v_mul_hi_u32 v5, s44, v4
	v_add_nc_u32_e32 v5, v4, v5
	s_delay_alu instid0(VALU_DEP_1) | instskip(NEXT) | instid1(VALU_DEP_1)
	v_lshrrev_b32_e32 v5, s45, v5
	v_mul_hi_u32 v6, s47, v5
	s_delay_alu instid0(VALU_DEP_1) | instskip(SKIP_1) | instid1(VALU_DEP_1)
	v_add_nc_u32_e32 v6, v5, v6
	v_mul_lo_u32 v7, v4, s40
	v_sub_nc_u32_e32 v1, v1, v7
	v_mul_lo_u32 v7, v5, s43
	s_delay_alu instid0(VALU_DEP_4) | instskip(NEXT) | instid1(VALU_DEP_3)
	v_lshrrev_b32_e32 v6, s56, v6
	v_mad_u32 v3, v1, s49, v3
	v_mad_u32 v1, v1, s48, v2
	s_delay_alu instid0(VALU_DEP_4) | instskip(NEXT) | instid1(VALU_DEP_4)
	v_sub_nc_u32_e32 v2, v4, v7
	v_mul_hi_u32 v8, s58, v6
	v_mul_lo_u32 v4, v6, s46
	s_delay_alu instid0(VALU_DEP_3) | instskip(SKIP_1) | instid1(VALU_DEP_4)
	v_mad_u32 v3, v2, s51, v3
	v_mad_u32 v2, v2, s50, v1
	v_add_nc_u32_e32 v7, v6, v8
	s_delay_alu instid0(VALU_DEP_1) | instskip(NEXT) | instid1(VALU_DEP_1)
	v_dual_sub_nc_u32 v4, v5, v4 :: v_dual_lshrrev_b32 v1, s59, v7
	v_mad_u32 v3, v4, s53, v3
	s_delay_alu instid0(VALU_DEP_4) | instskip(NEXT) | instid1(VALU_DEP_3)
	v_mad_u32 v2, v4, s52, v2
	v_mul_lo_u32 v5, v1, s57
	s_delay_alu instid0(VALU_DEP_1) | instskip(NEXT) | instid1(VALU_DEP_1)
	v_sub_nc_u32_e32 v4, v6, v5
	v_mad_u32 v3, v4, s55, v3
	s_delay_alu instid0(VALU_DEP_4)
	v_mad_u32 v2, v4, s54, v2
	s_cbranch_scc0 .LBB37_208
	s_branch .LBB37_223
.LBB37_209:
                                        ; implicit-def: $vgpr3
	s_branch .LBB37_227
.LBB37_210:
	v_dual_mov_b32 v3, 0 :: v_dual_mov_b32 v2, 0
	s_branch .LBB37_226
.LBB37_211:
	v_mov_b64_e32 v[2:3], 0
	v_mov_b32_e32 v1, v0
	s_mov_b32 s22, 0
.LBB37_212:
	s_and_b32 s14, s14, 3
	s_mov_b32 s23, 0
	s_cmp_eq_u32 s14, 0
	s_cbranch_scc1 .LBB37_215
; %bb.213:
	s_lshl_b32 s24, s22, 3
	s_mov_b32 s25, s23
	s_mul_u64 s[26:27], s[22:23], 12
	s_add_nc_u64 s[24:25], s[12:13], s[24:25]
	s_delay_alu instid0(SALU_CYCLE_1)
	s_add_nc_u64 s[22:23], s[24:25], 0xc4
	s_add_nc_u64 s[24:25], s[12:13], s[26:27]
.LBB37_214:                             ; =>This Inner Loop Header: Depth=1
	s_load_b96 s[40:42], s[24:25], 0x4
	s_load_b64 s[26:27], s[22:23], 0x0
	s_add_co_i32 s14, s14, -1
	s_wait_xcnt 0x0
	s_add_nc_u64 s[24:25], s[24:25], 12
	s_cmp_lg_u32 s14, 0
	s_add_nc_u64 s[22:23], s[22:23], 8
	s_wait_kmcnt 0x0
	v_mul_hi_u32 v4, s41, v1
	s_delay_alu instid0(VALU_DEP_1) | instskip(NEXT) | instid1(VALU_DEP_1)
	v_add_nc_u32_e32 v4, v1, v4
	v_lshrrev_b32_e32 v4, s42, v4
	s_delay_alu instid0(VALU_DEP_1) | instskip(NEXT) | instid1(VALU_DEP_1)
	v_mul_lo_u32 v5, v4, s40
	v_sub_nc_u32_e32 v1, v1, v5
	s_delay_alu instid0(VALU_DEP_1)
	v_mad_u32 v3, v1, s27, v3
	v_mad_u32 v2, v1, s26, v2
	v_mov_b32_e32 v1, v4
	s_cbranch_scc1 .LBB37_214
.LBB37_215:
	s_cbranch_execnz .LBB37_218
.LBB37_216:
	v_mov_b32_e32 v1, 0
	s_and_not1_b32 vcc_lo, exec_lo, s33
	s_delay_alu instid0(VALU_DEP_1) | instskip(NEXT) | instid1(VALU_DEP_1)
	v_mul_u64_e32 v[2:3], s[16:17], v[0:1]
	v_add_nc_u32_e32 v2, v0, v3
	s_delay_alu instid0(VALU_DEP_1) | instskip(NEXT) | instid1(VALU_DEP_1)
	v_lshrrev_b32_e32 v4, s6, v2
	v_mul_lo_u32 v2, v4, s4
	s_delay_alu instid0(VALU_DEP_1) | instskip(NEXT) | instid1(VALU_DEP_1)
	v_sub_nc_u32_e32 v2, v0, v2
	v_mul_lo_u32 v3, v2, s9
	v_mul_lo_u32 v2, v2, s8
	s_cbranch_vccnz .LBB37_218
; %bb.217:
	v_mov_b32_e32 v5, v1
	s_delay_alu instid0(VALU_DEP_1) | instskip(NEXT) | instid1(VALU_DEP_1)
	v_mul_u64_e32 v[6:7], s[18:19], v[4:5]
	v_add_nc_u32_e32 v1, v4, v7
	s_delay_alu instid0(VALU_DEP_1) | instskip(NEXT) | instid1(VALU_DEP_1)
	v_lshrrev_b32_e32 v1, s15, v1
	v_mul_lo_u32 v1, v1, s7
	s_delay_alu instid0(VALU_DEP_1) | instskip(NEXT) | instid1(VALU_DEP_1)
	v_sub_nc_u32_e32 v1, v4, v1
	v_mad_u32 v2, v1, s10, v2
	v_mad_u32 v3, v1, s11, v3
.LBB37_218:
	global_load_b64 v[4:5], v3, s[2:3]
	v_add_nc_u32_e32 v0, 0x80, v0
	s_wait_loadcnt 0x0
	v_cmp_eq_f64_e32 vcc_lo, 0x7ff00000, v[4:5]
	v_cndmask_b32_e64 v1, 0, 1, vcc_lo
	global_store_b8 v2, v1, s[0:1]
	s_wait_xcnt 0x0
	s_or_b32 exec_lo, exec_lo, s5
	s_delay_alu instid0(SALU_CYCLE_1)
	s_mov_b32 s5, exec_lo
	v_cmpx_gt_i32_e64 s34, v0
	s_cbranch_execnz .LBB37_204
.LBB37_219:
	s_or_b32 exec_lo, exec_lo, s5
	s_delay_alu instid0(SALU_CYCLE_1)
	s_mov_b32 s5, exec_lo
	v_cmpx_gt_i32_e64 s34, v0
	s_cbranch_execnz .LBB37_230
.LBB37_220:
	s_or_b32 exec_lo, exec_lo, s5
                                        ; implicit-def: $vgpr16
                                        ; implicit-def: $vgpr0
	s_and_not1_saveexec_b32 s0, s31
	s_cbranch_execnz .LBB37_8
.LBB37_221:
	s_endpgm
.LBB37_222:
	v_mov_b64_e32 v[2:3], 0
	v_mov_b32_e32 v1, v0
	s_mov_b32 s22, 0
.LBB37_223:
	s_and_b32 s14, s14, 3
	s_mov_b32 s23, 0
	s_cmp_eq_u32 s14, 0
	s_cbranch_scc1 .LBB37_226
; %bb.224:
	s_lshl_b32 s24, s22, 3
	s_mov_b32 s25, s23
	s_mul_u64 s[26:27], s[22:23], 12
	s_add_nc_u64 s[24:25], s[12:13], s[24:25]
	s_delay_alu instid0(SALU_CYCLE_1)
	s_add_nc_u64 s[22:23], s[24:25], 0xc4
	s_add_nc_u64 s[24:25], s[12:13], s[26:27]
.LBB37_225:                             ; =>This Inner Loop Header: Depth=1
	s_load_b96 s[40:42], s[24:25], 0x4
	s_load_b64 s[26:27], s[22:23], 0x0
	s_add_co_i32 s14, s14, -1
	s_wait_xcnt 0x0
	s_add_nc_u64 s[24:25], s[24:25], 12
	s_cmp_lg_u32 s14, 0
	s_add_nc_u64 s[22:23], s[22:23], 8
	s_wait_kmcnt 0x0
	v_mul_hi_u32 v4, s41, v1
	s_delay_alu instid0(VALU_DEP_1) | instskip(NEXT) | instid1(VALU_DEP_1)
	v_add_nc_u32_e32 v4, v1, v4
	v_lshrrev_b32_e32 v4, s42, v4
	s_delay_alu instid0(VALU_DEP_1) | instskip(NEXT) | instid1(VALU_DEP_1)
	v_mul_lo_u32 v5, v4, s40
	v_sub_nc_u32_e32 v1, v1, v5
	s_delay_alu instid0(VALU_DEP_1)
	v_mad_u32 v3, v1, s27, v3
	v_mad_u32 v2, v1, s26, v2
	v_mov_b32_e32 v1, v4
	s_cbranch_scc1 .LBB37_225
.LBB37_226:
	s_cbranch_execnz .LBB37_229
.LBB37_227:
	v_mov_b32_e32 v1, 0
	s_and_not1_b32 vcc_lo, exec_lo, s33
	s_delay_alu instid0(VALU_DEP_1) | instskip(NEXT) | instid1(VALU_DEP_1)
	v_mul_u64_e32 v[2:3], s[16:17], v[0:1]
	v_add_nc_u32_e32 v2, v0, v3
	s_delay_alu instid0(VALU_DEP_1) | instskip(NEXT) | instid1(VALU_DEP_1)
	v_lshrrev_b32_e32 v4, s6, v2
	v_mul_lo_u32 v2, v4, s4
	s_delay_alu instid0(VALU_DEP_1) | instskip(NEXT) | instid1(VALU_DEP_1)
	v_sub_nc_u32_e32 v2, v0, v2
	v_mul_lo_u32 v3, v2, s9
	v_mul_lo_u32 v2, v2, s8
	s_cbranch_vccnz .LBB37_229
; %bb.228:
	v_mov_b32_e32 v5, v1
	s_delay_alu instid0(VALU_DEP_1) | instskip(NEXT) | instid1(VALU_DEP_1)
	v_mul_u64_e32 v[6:7], s[18:19], v[4:5]
	v_add_nc_u32_e32 v1, v4, v7
	s_delay_alu instid0(VALU_DEP_1) | instskip(NEXT) | instid1(VALU_DEP_1)
	v_lshrrev_b32_e32 v1, s15, v1
	v_mul_lo_u32 v1, v1, s7
	s_delay_alu instid0(VALU_DEP_1) | instskip(NEXT) | instid1(VALU_DEP_1)
	v_sub_nc_u32_e32 v1, v4, v1
	v_mad_u32 v2, v1, s10, v2
	v_mad_u32 v3, v1, s11, v3
.LBB37_229:
	global_load_b64 v[4:5], v3, s[2:3]
	v_add_nc_u32_e32 v0, 0x80, v0
	s_wait_loadcnt 0x0
	v_cmp_eq_f64_e32 vcc_lo, 0x7ff00000, v[4:5]
	v_cndmask_b32_e64 v1, 0, 1, vcc_lo
	global_store_b8 v2, v1, s[0:1]
	s_wait_xcnt 0x0
	s_or_b32 exec_lo, exec_lo, s5
	s_delay_alu instid0(SALU_CYCLE_1)
	s_mov_b32 s5, exec_lo
	v_cmpx_gt_i32_e64 s34, v0
	s_cbranch_execz .LBB37_220
.LBB37_230:
	s_and_not1_b32 vcc_lo, exec_lo, s30
	s_cbranch_vccnz .LBB37_235
; %bb.231:
	s_and_not1_b32 vcc_lo, exec_lo, s36
	s_cbranch_vccnz .LBB37_236
; %bb.232:
	s_add_co_i32 s35, s35, 1
	s_cmp_eq_u32 s29, 2
	s_cbranch_scc1 .LBB37_237
; %bb.233:
	v_dual_mov_b32 v2, 0 :: v_dual_mov_b32 v3, 0
	v_mov_b32_e32 v1, v0
	s_and_b32 s22, s35, 28
	s_mov_b32 s14, 0
	s_mov_b64 s[24:25], s[12:13]
.LBB37_234:                             ; =>This Inner Loop Header: Depth=1
	s_clause 0x1
	s_load_b256 s[36:43], s[24:25], 0x4
	s_load_b128 s[52:55], s[24:25], 0x24
	s_load_b256 s[44:51], s[20:21], 0x0
	s_add_co_i32 s14, s14, 4
	s_wait_xcnt 0x0
	s_add_nc_u64 s[24:25], s[24:25], 48
	s_cmp_eq_u32 s22, s14
	s_add_nc_u64 s[20:21], s[20:21], 32
	s_wait_kmcnt 0x0
	v_mul_hi_u32 v4, s37, v1
	s_delay_alu instid0(VALU_DEP_1) | instskip(NEXT) | instid1(VALU_DEP_1)
	v_add_nc_u32_e32 v4, v1, v4
	v_lshrrev_b32_e32 v4, s38, v4
	s_delay_alu instid0(VALU_DEP_1) | instskip(NEXT) | instid1(VALU_DEP_1)
	v_mul_hi_u32 v5, s40, v4
	v_add_nc_u32_e32 v5, v4, v5
	s_delay_alu instid0(VALU_DEP_1) | instskip(NEXT) | instid1(VALU_DEP_1)
	v_lshrrev_b32_e32 v5, s41, v5
	v_mul_hi_u32 v6, s43, v5
	s_delay_alu instid0(VALU_DEP_1) | instskip(SKIP_1) | instid1(VALU_DEP_1)
	v_add_nc_u32_e32 v6, v5, v6
	v_mul_lo_u32 v7, v4, s36
	v_sub_nc_u32_e32 v1, v1, v7
	v_mul_lo_u32 v7, v5, s39
	s_delay_alu instid0(VALU_DEP_4) | instskip(NEXT) | instid1(VALU_DEP_3)
	v_lshrrev_b32_e32 v6, s52, v6
	v_mad_u32 v3, v1, s45, v3
	v_mad_u32 v1, v1, s44, v2
	s_delay_alu instid0(VALU_DEP_4) | instskip(NEXT) | instid1(VALU_DEP_4)
	v_sub_nc_u32_e32 v2, v4, v7
	v_mul_hi_u32 v8, s54, v6
	v_mul_lo_u32 v4, v6, s42
	s_delay_alu instid0(VALU_DEP_3) | instskip(SKIP_1) | instid1(VALU_DEP_4)
	v_mad_u32 v3, v2, s47, v3
	v_mad_u32 v2, v2, s46, v1
	v_add_nc_u32_e32 v7, v6, v8
	s_delay_alu instid0(VALU_DEP_1) | instskip(NEXT) | instid1(VALU_DEP_1)
	v_dual_sub_nc_u32 v4, v5, v4 :: v_dual_lshrrev_b32 v1, s55, v7
	v_mad_u32 v3, v4, s49, v3
	s_delay_alu instid0(VALU_DEP_4) | instskip(NEXT) | instid1(VALU_DEP_3)
	v_mad_u32 v2, v4, s48, v2
	v_mul_lo_u32 v5, v1, s53
	s_delay_alu instid0(VALU_DEP_1) | instskip(NEXT) | instid1(VALU_DEP_1)
	v_sub_nc_u32_e32 v4, v6, v5
	v_mad_u32 v3, v4, s51, v3
	s_delay_alu instid0(VALU_DEP_4)
	v_mad_u32 v2, v4, s50, v2
	s_cbranch_scc0 .LBB37_234
	s_branch .LBB37_238
.LBB37_235:
                                        ; implicit-def: $vgpr3
	s_branch .LBB37_242
.LBB37_236:
	v_dual_mov_b32 v3, 0 :: v_dual_mov_b32 v2, 0
	s_branch .LBB37_241
.LBB37_237:
	v_mov_b64_e32 v[2:3], 0
	v_mov_b32_e32 v1, v0
	s_mov_b32 s22, 0
.LBB37_238:
	s_and_b32 s14, s35, 3
	s_mov_b32 s23, 0
	s_cmp_eq_u32 s14, 0
	s_cbranch_scc1 .LBB37_241
; %bb.239:
	s_lshl_b32 s20, s22, 3
	s_mov_b32 s21, s23
	s_mul_u64 s[22:23], s[22:23], 12
	s_add_nc_u64 s[20:21], s[12:13], s[20:21]
	s_add_nc_u64 s[22:23], s[12:13], s[22:23]
	;; [unrolled: 1-line block ×3, first 2 shown]
.LBB37_240:                             ; =>This Inner Loop Header: Depth=1
	s_load_b96 s[24:26], s[22:23], 0x4
	s_add_co_i32 s14, s14, -1
	s_wait_xcnt 0x0
	s_add_nc_u64 s[22:23], s[22:23], 12
	s_cmp_lg_u32 s14, 0
	s_wait_kmcnt 0x0
	v_mul_hi_u32 v4, s25, v1
	s_delay_alu instid0(VALU_DEP_1) | instskip(NEXT) | instid1(VALU_DEP_1)
	v_add_nc_u32_e32 v4, v1, v4
	v_lshrrev_b32_e32 v4, s26, v4
	s_load_b64 s[26:27], s[20:21], 0x0
	s_wait_xcnt 0x0
	s_add_nc_u64 s[20:21], s[20:21], 8
	s_delay_alu instid0(VALU_DEP_1) | instskip(NEXT) | instid1(VALU_DEP_1)
	v_mul_lo_u32 v5, v4, s24
	v_sub_nc_u32_e32 v1, v1, v5
	s_wait_kmcnt 0x0
	s_delay_alu instid0(VALU_DEP_1)
	v_mad_u32 v3, v1, s27, v3
	v_mad_u32 v2, v1, s26, v2
	v_mov_b32_e32 v1, v4
	s_cbranch_scc1 .LBB37_240
.LBB37_241:
	s_cbranch_execnz .LBB37_244
.LBB37_242:
	v_mov_b32_e32 v1, 0
	s_and_not1_b32 vcc_lo, exec_lo, s33
	s_delay_alu instid0(VALU_DEP_1) | instskip(NEXT) | instid1(VALU_DEP_1)
	v_mul_u64_e32 v[2:3], s[16:17], v[0:1]
	v_add_nc_u32_e32 v2, v0, v3
	s_delay_alu instid0(VALU_DEP_1) | instskip(NEXT) | instid1(VALU_DEP_1)
	v_lshrrev_b32_e32 v4, s6, v2
	v_mul_lo_u32 v2, v4, s4
	s_delay_alu instid0(VALU_DEP_1) | instskip(NEXT) | instid1(VALU_DEP_1)
	v_sub_nc_u32_e32 v0, v0, v2
	v_mul_lo_u32 v3, v0, s9
	v_mul_lo_u32 v2, v0, s8
	s_cbranch_vccnz .LBB37_244
; %bb.243:
	v_mov_b32_e32 v5, v1
	s_delay_alu instid0(VALU_DEP_1) | instskip(NEXT) | instid1(VALU_DEP_1)
	v_mul_u64_e32 v[0:1], s[18:19], v[4:5]
	v_add_nc_u32_e32 v0, v4, v1
	s_delay_alu instid0(VALU_DEP_1) | instskip(NEXT) | instid1(VALU_DEP_1)
	v_lshrrev_b32_e32 v0, s15, v0
	v_mul_lo_u32 v0, v0, s7
	s_delay_alu instid0(VALU_DEP_1) | instskip(NEXT) | instid1(VALU_DEP_1)
	v_sub_nc_u32_e32 v0, v4, v0
	v_mad_u32 v2, v0, s10, v2
	v_mad_u32 v3, v0, s11, v3
.LBB37_244:
	global_load_b64 v[0:1], v3, s[2:3]
	s_wait_loadcnt 0x0
	v_cmp_eq_f64_e32 vcc_lo, 0x7ff00000, v[0:1]
	v_cndmask_b32_e64 v0, 0, 1, vcc_lo
	global_store_b8 v2, v0, s[0:1]
	s_wait_xcnt 0x0
	s_or_b32 exec_lo, exec_lo, s5
                                        ; implicit-def: $vgpr16
                                        ; implicit-def: $vgpr0
	s_and_not1_saveexec_b32 s0, s31
	s_cbranch_execz .LBB37_221
	s_branch .LBB37_8
	.section	.rodata,"a",@progbits
	.p2align	6, 0x0
	.amdhsa_kernel _ZN2at6native32elementwise_kernel_manual_unrollILi128ELi8EZNS0_22gpu_kernel_impl_nocastIZZZNS0_12_GLOBAL__N_120isposinf_kernel_implERNS_18TensorIteratorBaseEENKUlvE_clEvENKUlvE_clEvEUldE_EEvS5_RKT_EUlibE_EEviT1_
		.amdhsa_group_segment_fixed_size 0
		.amdhsa_private_segment_fixed_size 0
		.amdhsa_kernarg_size 360
		.amdhsa_user_sgpr_count 2
		.amdhsa_user_sgpr_dispatch_ptr 0
		.amdhsa_user_sgpr_queue_ptr 0
		.amdhsa_user_sgpr_kernarg_segment_ptr 1
		.amdhsa_user_sgpr_dispatch_id 0
		.amdhsa_user_sgpr_kernarg_preload_length 0
		.amdhsa_user_sgpr_kernarg_preload_offset 0
		.amdhsa_user_sgpr_private_segment_size 0
		.amdhsa_wavefront_size32 1
		.amdhsa_uses_dynamic_stack 0
		.amdhsa_enable_private_segment 0
		.amdhsa_system_sgpr_workgroup_id_x 1
		.amdhsa_system_sgpr_workgroup_id_y 0
		.amdhsa_system_sgpr_workgroup_id_z 0
		.amdhsa_system_sgpr_workgroup_info 0
		.amdhsa_system_vgpr_workitem_id 0
		.amdhsa_next_free_vgpr 32
		.amdhsa_next_free_sgpr 60
		.amdhsa_named_barrier_count 0
		.amdhsa_reserve_vcc 1
		.amdhsa_float_round_mode_32 0
		.amdhsa_float_round_mode_16_64 0
		.amdhsa_float_denorm_mode_32 3
		.amdhsa_float_denorm_mode_16_64 3
		.amdhsa_fp16_overflow 0
		.amdhsa_memory_ordered 1
		.amdhsa_forward_progress 1
		.amdhsa_inst_pref_size 99
		.amdhsa_round_robin_scheduling 0
		.amdhsa_exception_fp_ieee_invalid_op 0
		.amdhsa_exception_fp_denorm_src 0
		.amdhsa_exception_fp_ieee_div_zero 0
		.amdhsa_exception_fp_ieee_overflow 0
		.amdhsa_exception_fp_ieee_underflow 0
		.amdhsa_exception_fp_ieee_inexact 0
		.amdhsa_exception_int_div_zero 0
	.end_amdhsa_kernel
	.section	.text._ZN2at6native32elementwise_kernel_manual_unrollILi128ELi8EZNS0_22gpu_kernel_impl_nocastIZZZNS0_12_GLOBAL__N_120isposinf_kernel_implERNS_18TensorIteratorBaseEENKUlvE_clEvENKUlvE_clEvEUldE_EEvS5_RKT_EUlibE_EEviT1_,"axG",@progbits,_ZN2at6native32elementwise_kernel_manual_unrollILi128ELi8EZNS0_22gpu_kernel_impl_nocastIZZZNS0_12_GLOBAL__N_120isposinf_kernel_implERNS_18TensorIteratorBaseEENKUlvE_clEvENKUlvE_clEvEUldE_EEvS5_RKT_EUlibE_EEviT1_,comdat
.Lfunc_end37:
	.size	_ZN2at6native32elementwise_kernel_manual_unrollILi128ELi8EZNS0_22gpu_kernel_impl_nocastIZZZNS0_12_GLOBAL__N_120isposinf_kernel_implERNS_18TensorIteratorBaseEENKUlvE_clEvENKUlvE_clEvEUldE_EEvS5_RKT_EUlibE_EEviT1_, .Lfunc_end37-_ZN2at6native32elementwise_kernel_manual_unrollILi128ELi8EZNS0_22gpu_kernel_impl_nocastIZZZNS0_12_GLOBAL__N_120isposinf_kernel_implERNS_18TensorIteratorBaseEENKUlvE_clEvENKUlvE_clEvEUldE_EEvS5_RKT_EUlibE_EEviT1_
                                        ; -- End function
	.set _ZN2at6native32elementwise_kernel_manual_unrollILi128ELi8EZNS0_22gpu_kernel_impl_nocastIZZZNS0_12_GLOBAL__N_120isposinf_kernel_implERNS_18TensorIteratorBaseEENKUlvE_clEvENKUlvE_clEvEUldE_EEvS5_RKT_EUlibE_EEviT1_.num_vgpr, 32
	.set _ZN2at6native32elementwise_kernel_manual_unrollILi128ELi8EZNS0_22gpu_kernel_impl_nocastIZZZNS0_12_GLOBAL__N_120isposinf_kernel_implERNS_18TensorIteratorBaseEENKUlvE_clEvENKUlvE_clEvEUldE_EEvS5_RKT_EUlibE_EEviT1_.num_agpr, 0
	.set _ZN2at6native32elementwise_kernel_manual_unrollILi128ELi8EZNS0_22gpu_kernel_impl_nocastIZZZNS0_12_GLOBAL__N_120isposinf_kernel_implERNS_18TensorIteratorBaseEENKUlvE_clEvENKUlvE_clEvEUldE_EEvS5_RKT_EUlibE_EEviT1_.numbered_sgpr, 60
	.set _ZN2at6native32elementwise_kernel_manual_unrollILi128ELi8EZNS0_22gpu_kernel_impl_nocastIZZZNS0_12_GLOBAL__N_120isposinf_kernel_implERNS_18TensorIteratorBaseEENKUlvE_clEvENKUlvE_clEvEUldE_EEvS5_RKT_EUlibE_EEviT1_.num_named_barrier, 0
	.set _ZN2at6native32elementwise_kernel_manual_unrollILi128ELi8EZNS0_22gpu_kernel_impl_nocastIZZZNS0_12_GLOBAL__N_120isposinf_kernel_implERNS_18TensorIteratorBaseEENKUlvE_clEvENKUlvE_clEvEUldE_EEvS5_RKT_EUlibE_EEviT1_.private_seg_size, 0
	.set _ZN2at6native32elementwise_kernel_manual_unrollILi128ELi8EZNS0_22gpu_kernel_impl_nocastIZZZNS0_12_GLOBAL__N_120isposinf_kernel_implERNS_18TensorIteratorBaseEENKUlvE_clEvENKUlvE_clEvEUldE_EEvS5_RKT_EUlibE_EEviT1_.uses_vcc, 1
	.set _ZN2at6native32elementwise_kernel_manual_unrollILi128ELi8EZNS0_22gpu_kernel_impl_nocastIZZZNS0_12_GLOBAL__N_120isposinf_kernel_implERNS_18TensorIteratorBaseEENKUlvE_clEvENKUlvE_clEvEUldE_EEvS5_RKT_EUlibE_EEviT1_.uses_flat_scratch, 0
	.set _ZN2at6native32elementwise_kernel_manual_unrollILi128ELi8EZNS0_22gpu_kernel_impl_nocastIZZZNS0_12_GLOBAL__N_120isposinf_kernel_implERNS_18TensorIteratorBaseEENKUlvE_clEvENKUlvE_clEvEUldE_EEvS5_RKT_EUlibE_EEviT1_.has_dyn_sized_stack, 0
	.set _ZN2at6native32elementwise_kernel_manual_unrollILi128ELi8EZNS0_22gpu_kernel_impl_nocastIZZZNS0_12_GLOBAL__N_120isposinf_kernel_implERNS_18TensorIteratorBaseEENKUlvE_clEvENKUlvE_clEvEUldE_EEvS5_RKT_EUlibE_EEviT1_.has_recursion, 0
	.set _ZN2at6native32elementwise_kernel_manual_unrollILi128ELi8EZNS0_22gpu_kernel_impl_nocastIZZZNS0_12_GLOBAL__N_120isposinf_kernel_implERNS_18TensorIteratorBaseEENKUlvE_clEvENKUlvE_clEvEUldE_EEvS5_RKT_EUlibE_EEviT1_.has_indirect_call, 0
	.section	.AMDGPU.csdata,"",@progbits
; Kernel info:
; codeLenInByte = 12548
; TotalNumSgprs: 62
; NumVgprs: 32
; ScratchSize: 0
; MemoryBound: 0
; FloatMode: 240
; IeeeMode: 1
; LDSByteSize: 0 bytes/workgroup (compile time only)
; SGPRBlocks: 0
; VGPRBlocks: 1
; NumSGPRsForWavesPerEU: 62
; NumVGPRsForWavesPerEU: 32
; NamedBarCnt: 0
; Occupancy: 16
; WaveLimiterHint : 1
; COMPUTE_PGM_RSRC2:SCRATCH_EN: 0
; COMPUTE_PGM_RSRC2:USER_SGPR: 2
; COMPUTE_PGM_RSRC2:TRAP_HANDLER: 0
; COMPUTE_PGM_RSRC2:TGID_X_EN: 1
; COMPUTE_PGM_RSRC2:TGID_Y_EN: 0
; COMPUTE_PGM_RSRC2:TGID_Z_EN: 0
; COMPUTE_PGM_RSRC2:TIDIG_COMP_CNT: 0
	.section	.text._ZN2at6native32elementwise_kernel_manual_unrollILi128ELi4EZNS0_15gpu_kernel_implIZZZNS0_12_GLOBAL__N_120isposinf_kernel_implERNS_18TensorIteratorBaseEENKUlvE_clEvENKUlvE_clEvEUldE_EEvS5_RKT_EUlibE_EEviT1_,"axG",@progbits,_ZN2at6native32elementwise_kernel_manual_unrollILi128ELi4EZNS0_15gpu_kernel_implIZZZNS0_12_GLOBAL__N_120isposinf_kernel_implERNS_18TensorIteratorBaseEENKUlvE_clEvENKUlvE_clEvEUldE_EEvS5_RKT_EUlibE_EEviT1_,comdat
	.globl	_ZN2at6native32elementwise_kernel_manual_unrollILi128ELi4EZNS0_15gpu_kernel_implIZZZNS0_12_GLOBAL__N_120isposinf_kernel_implERNS_18TensorIteratorBaseEENKUlvE_clEvENKUlvE_clEvEUldE_EEvS5_RKT_EUlibE_EEviT1_ ; -- Begin function _ZN2at6native32elementwise_kernel_manual_unrollILi128ELi4EZNS0_15gpu_kernel_implIZZZNS0_12_GLOBAL__N_120isposinf_kernel_implERNS_18TensorIteratorBaseEENKUlvE_clEvENKUlvE_clEvEUldE_EEvS5_RKT_EUlibE_EEviT1_
	.p2align	8
	.type	_ZN2at6native32elementwise_kernel_manual_unrollILi128ELi4EZNS0_15gpu_kernel_implIZZZNS0_12_GLOBAL__N_120isposinf_kernel_implERNS_18TensorIteratorBaseEENKUlvE_clEvENKUlvE_clEvEUldE_EEvS5_RKT_EUlibE_EEviT1_,@function
_ZN2at6native32elementwise_kernel_manual_unrollILi128ELi4EZNS0_15gpu_kernel_implIZZZNS0_12_GLOBAL__N_120isposinf_kernel_implERNS_18TensorIteratorBaseEENKUlvE_clEvENKUlvE_clEvEUldE_EEvS5_RKT_EUlibE_EEviT1_: ; @_ZN2at6native32elementwise_kernel_manual_unrollILi128ELi4EZNS0_15gpu_kernel_implIZZZNS0_12_GLOBAL__N_120isposinf_kernel_implERNS_18TensorIteratorBaseEENKUlvE_clEvENKUlvE_clEvEUldE_EEvS5_RKT_EUlibE_EEviT1_
; %bb.0:
	v_mov_b32_e32 v1, 0
	s_bfe_u32 s10, ttmp6, 0x4000c
	s_clause 0x1
	s_load_b32 s13, s[0:1], 0x0
	s_load_b128 s[4:7], s[0:1], 0x8
	s_add_co_i32 s10, s10, 1
	s_and_b32 s9, ttmp6, 15
	global_load_u16 v1, v1, s[0:1] offset:33
	s_load_b64 s[2:3], s[0:1], 0x18
	s_wait_xcnt 0x0
	s_mul_i32 s1, ttmp9, s10
	s_getreg_b32 s11, hwreg(HW_REG_IB_STS2, 6, 4)
	s_add_co_i32 s9, s9, s1
	s_mov_b32 s12, 0
	s_wait_loadcnt 0x0
	v_readfirstlane_b32 s8, v1
	s_and_b32 s0, 0xffff, s8
	s_delay_alu instid0(SALU_CYCLE_1)
	s_lshr_b32 s10, s0, 8
	s_cmp_eq_u32 s11, 0
	s_cselect_b32 s0, ttmp9, s9
	s_mov_b32 s9, 0
	v_lshl_or_b32 v10, s0, 9, v0
	s_mov_b32 s0, exec_lo
	s_delay_alu instid0(VALU_DEP_1) | instskip(SKIP_1) | instid1(VALU_DEP_1)
	v_or_b32_e32 v0, 0x180, v10
	s_wait_kmcnt 0x0
	v_cmpx_le_i32_e64 s13, v0
	s_xor_b32 s11, exec_lo, s0
	s_cbranch_execz .LBB38_1031
; %bb.1:
	s_mov_b32 s1, -1
	s_mov_b32 s16, 0
	s_mov_b32 s14, 0
	s_mov_b32 s15, exec_lo
	v_cmpx_gt_i32_e64 s13, v10
	s_cbranch_execz .LBB38_252
; %bb.2:
	v_mul_lo_u32 v0, v10, s3
	s_and_b32 s0, 0xffff, s10
	s_delay_alu instid0(SALU_CYCLE_1) | instskip(NEXT) | instid1(VALU_DEP_1)
	s_cmp_lt_i32 s0, 11
	v_ashrrev_i32_e32 v1, 31, v0
	s_delay_alu instid0(VALU_DEP_1)
	v_add_nc_u64_e32 v[0:1], s[6:7], v[0:1]
	s_cbranch_scc1 .LBB38_9
; %bb.3:
	s_cmp_gt_i32 s0, 25
	s_cbranch_scc0 .LBB38_18
; %bb.4:
	s_cmp_gt_i32 s0, 28
	s_cbranch_scc0 .LBB38_21
	;; [unrolled: 3-line block ×4, first 2 shown]
; %bb.7:
	s_cmp_eq_u32 s0, 46
	s_cbranch_scc0 .LBB38_27
; %bb.8:
	global_load_b32 v2, v[0:1], off
	s_wait_loadcnt 0x0
	v_lshlrev_b32_e32 v2, 16, v2
	s_delay_alu instid0(VALU_DEP_1)
	v_cvt_f64_f32_e32 v[2:3], v2
	s_branch .LBB38_29
.LBB38_9:
	s_mov_b32 s1, 0
                                        ; implicit-def: $vgpr2_vgpr3
	s_cbranch_execnz .LBB38_202
.LBB38_10:
	s_and_not1_b32 vcc_lo, exec_lo, s1
	s_cbranch_vccnz .LBB38_249
.LBB38_11:
	s_wait_loadcnt 0x0
	s_delay_alu instid0(VALU_DEP_1) | instskip(SKIP_2) | instid1(SALU_CYCLE_1)
	v_cmp_eq_f64_e64 s0, 0x7ff00000, v[2:3]
	v_mul_lo_u32 v0, v10, s2
	s_and_b32 s12, s8, 0xff
	s_cmp_lt_i32 s12, 11
	s_delay_alu instid0(VALU_DEP_1) | instskip(NEXT) | instid1(VALU_DEP_1)
	v_ashrrev_i32_e32 v1, 31, v0
	v_add_nc_u64_e32 v[0:1], s[4:5], v[0:1]
	s_cbranch_scc1 .LBB38_19
; %bb.12:
	s_and_b32 s17, 0xffff, s12
	s_delay_alu instid0(SALU_CYCLE_1)
	s_cmp_gt_i32 s17, 25
	s_cbranch_scc0 .LBB38_22
; %bb.13:
	s_cmp_gt_i32 s17, 28
	s_cbranch_scc0 .LBB38_24
; %bb.14:
	;; [unrolled: 3-line block ×4, first 2 shown]
	s_mov_b32 s19, 0
	s_mov_b32 s1, -1
	s_cmp_eq_u32 s17, 46
	s_mov_b32 s18, 0
	s_cbranch_scc0 .LBB38_33
; %bb.17:
	v_cndmask_b32_e64 v2, 0, 1.0, s0
	s_mov_b32 s18, -1
	s_mov_b32 s1, 0
	s_delay_alu instid0(VALU_DEP_1) | instskip(NEXT) | instid1(VALU_DEP_1)
	v_bfe_u32 v3, v2, 16, 1
	v_add3_u32 v2, v2, v3, 0x7fff
	s_delay_alu instid0(VALU_DEP_1)
	v_lshrrev_b32_e32 v2, 16, v2
	global_store_b32 v[0:1], v2, off
	s_branch .LBB38_33
.LBB38_18:
	s_mov_b32 s1, 0
                                        ; implicit-def: $vgpr2_vgpr3
	s_cbranch_execnz .LBB38_167
	s_branch .LBB38_201
.LBB38_19:
	s_mov_b32 s1, 0
	s_mov_b32 s18, 0
	s_cbranch_execnz .LBB38_102
.LBB38_20:
	s_and_not1_b32 vcc_lo, exec_lo, s18
	s_cbranch_vccnz .LBB38_250
	s_branch .LBB38_140
.LBB38_21:
	s_mov_b32 s12, -1
	s_mov_b32 s1, 0
                                        ; implicit-def: $vgpr2_vgpr3
	s_branch .LBB38_148
.LBB38_22:
	s_mov_b32 s19, -1
	s_mov_b32 s1, 0
	s_mov_b32 s18, 0
	s_branch .LBB38_60
.LBB38_23:
	s_mov_b32 s12, -1
	s_mov_b32 s1, 0
                                        ; implicit-def: $vgpr2_vgpr3
	s_branch .LBB38_143
.LBB38_24:
	s_mov_b32 s19, -1
	s_mov_b32 s1, 0
	s_mov_b32 s18, 0
	s_branch .LBB38_43
.LBB38_25:
	s_mov_b32 s12, -1
	s_branch .LBB38_28
.LBB38_26:
	s_mov_b32 s19, -1
	s_mov_b32 s1, 0
	s_mov_b32 s18, 0
	s_branch .LBB38_39
.LBB38_27:
	s_mov_b32 s14, -1
.LBB38_28:
	s_mov_b32 s1, 0
                                        ; implicit-def: $vgpr2_vgpr3
.LBB38_29:
	s_and_b32 vcc_lo, exec_lo, s12
	s_cbranch_vccz .LBB38_142
; %bb.30:
	s_cmp_eq_u32 s0, 44
	s_cbranch_scc0 .LBB38_141
; %bb.31:
	global_load_u8 v4, v[0:1], off
	s_mov_b32 s14, 0
	s_mov_b32 s1, -1
	s_wait_loadcnt 0x0
	v_cmp_ne_u32_e32 vcc_lo, 0xff, v4
	v_lshlrev_b32_e32 v2, 23, v4
	s_delay_alu instid0(VALU_DEP_1) | instskip(NEXT) | instid1(VALU_DEP_1)
	v_cvt_f64_f32_e32 v[2:3], v2
	v_cndmask_b32_e32 v2, 0x20000000, v2, vcc_lo
	s_delay_alu instid0(VALU_DEP_2) | instskip(SKIP_1) | instid1(VALU_DEP_2)
	v_cndmask_b32_e32 v3, 0x7ff80000, v3, vcc_lo
	v_cmp_ne_u32_e32 vcc_lo, 0, v4
	v_cndmask_b32_e32 v3, 0x38000000, v3, vcc_lo
	s_delay_alu instid0(VALU_DEP_4)
	v_cndmask_b32_e32 v2, 0, v2, vcc_lo
	s_branch .LBB38_142
.LBB38_32:
	s_mov_b32 s19, -1
	s_mov_b32 s1, 0
	s_mov_b32 s18, 0
.LBB38_33:
	s_and_b32 vcc_lo, exec_lo, s19
	s_cbranch_vccz .LBB38_38
; %bb.34:
	s_cmp_eq_u32 s17, 44
	s_mov_b32 s1, -1
	s_cbranch_scc0 .LBB38_38
; %bb.35:
	v_cndmask_b32_e64 v4, 0, 1.0, s0
	s_mov_b32 s18, exec_lo
	s_wait_xcnt 0x0
	s_delay_alu instid0(VALU_DEP_1) | instskip(NEXT) | instid1(VALU_DEP_1)
	v_dual_mov_b32 v3, 0xff :: v_dual_lshrrev_b32 v2, 23, v4
	v_cmpx_ne_u32_e32 0xff, v2
; %bb.36:
	v_and_b32_e32 v3, 0x400000, v4
	v_and_or_b32 v4, 0x3fffff, v4, v2
	s_delay_alu instid0(VALU_DEP_2) | instskip(NEXT) | instid1(VALU_DEP_2)
	v_cmp_ne_u32_e32 vcc_lo, 0, v3
	v_cmp_ne_u32_e64 s1, 0, v4
	s_and_b32 s1, vcc_lo, s1
	s_delay_alu instid0(SALU_CYCLE_1) | instskip(NEXT) | instid1(VALU_DEP_1)
	v_cndmask_b32_e64 v3, 0, 1, s1
	v_add_nc_u32_e32 v3, v2, v3
; %bb.37:
	s_or_b32 exec_lo, exec_lo, s18
	s_mov_b32 s18, -1
	s_mov_b32 s1, 0
	global_store_b8 v[0:1], v3, off
.LBB38_38:
	s_mov_b32 s19, 0
.LBB38_39:
	s_delay_alu instid0(SALU_CYCLE_1)
	s_and_b32 vcc_lo, exec_lo, s19
	s_cbranch_vccz .LBB38_42
; %bb.40:
	s_cmp_eq_u32 s17, 29
	s_mov_b32 s1, -1
	s_cbranch_scc0 .LBB38_42
; %bb.41:
	s_mov_b32 s1, 0
	s_wait_xcnt 0x0
	v_cndmask_b32_e64 v2, 0, 1, s0
	v_mov_b32_e32 v3, s1
	s_mov_b32 s18, -1
	s_mov_b32 s19, 0
	global_store_b64 v[0:1], v[2:3], off
	s_branch .LBB38_43
.LBB38_42:
	s_mov_b32 s19, 0
.LBB38_43:
	s_delay_alu instid0(SALU_CYCLE_1)
	s_and_b32 vcc_lo, exec_lo, s19
	s_cbranch_vccz .LBB38_59
; %bb.44:
	s_cmp_lt_i32 s17, 27
	s_mov_b32 s18, -1
	s_cbranch_scc1 .LBB38_50
; %bb.45:
	s_cmp_gt_i32 s17, 27
	s_cbranch_scc0 .LBB38_47
; %bb.46:
	s_wait_xcnt 0x0
	v_cndmask_b32_e64 v2, 0, 1, s0
	s_mov_b32 s18, 0
	global_store_b32 v[0:1], v2, off
.LBB38_47:
	s_and_not1_b32 vcc_lo, exec_lo, s18
	s_cbranch_vccnz .LBB38_49
; %bb.48:
	s_wait_xcnt 0x0
	v_cndmask_b32_e64 v2, 0, 1, s0
	global_store_b16 v[0:1], v2, off
.LBB38_49:
	s_mov_b32 s18, 0
.LBB38_50:
	s_delay_alu instid0(SALU_CYCLE_1)
	s_and_not1_b32 vcc_lo, exec_lo, s18
	s_cbranch_vccnz .LBB38_58
; %bb.51:
	s_wait_xcnt 0x0
	v_cndmask_b32_e64 v3, 0, 1.0, s0
	v_mov_b32_e32 v4, 0x80
	s_mov_b32 s18, exec_lo
	s_delay_alu instid0(VALU_DEP_2)
	v_cmpx_gt_u32_e32 0x43800000, v3
	s_cbranch_execz .LBB38_57
; %bb.52:
	s_mov_b32 s19, 0
	s_mov_b32 s20, exec_lo
                                        ; implicit-def: $vgpr2
	v_cmpx_lt_u32_e32 0x3bffffff, v3
	s_xor_b32 s20, exec_lo, s20
	s_cbranch_execz .LBB38_279
; %bb.53:
	v_bfe_u32 v2, v3, 20, 1
	s_mov_b32 s19, exec_lo
	s_delay_alu instid0(VALU_DEP_1) | instskip(NEXT) | instid1(VALU_DEP_1)
	v_add3_u32 v2, v3, v2, 0x487ffff
                                        ; implicit-def: $vgpr3
	v_lshrrev_b32_e32 v2, 20, v2
	s_and_not1_saveexec_b32 s20, s20
	s_cbranch_execnz .LBB38_280
.LBB38_54:
	s_or_b32 exec_lo, exec_lo, s20
	v_mov_b32_e32 v4, 0
	s_and_saveexec_b32 s20, s19
.LBB38_55:
	v_mov_b32_e32 v4, v2
.LBB38_56:
	s_or_b32 exec_lo, exec_lo, s20
.LBB38_57:
	s_delay_alu instid0(SALU_CYCLE_1)
	s_or_b32 exec_lo, exec_lo, s18
	global_store_b8 v[0:1], v4, off
.LBB38_58:
	s_mov_b32 s18, -1
.LBB38_59:
	s_mov_b32 s19, 0
.LBB38_60:
	s_delay_alu instid0(SALU_CYCLE_1)
	s_and_b32 vcc_lo, exec_lo, s19
	s_cbranch_vccz .LBB38_101
; %bb.61:
	s_cmp_gt_i32 s17, 22
	s_mov_b32 s19, -1
	s_cbranch_scc0 .LBB38_93
; %bb.62:
	s_cmp_lt_i32 s17, 24
	s_mov_b32 s18, -1
	s_cbranch_scc1 .LBB38_82
; %bb.63:
	s_cmp_gt_i32 s17, 24
	s_cbranch_scc0 .LBB38_71
; %bb.64:
	s_wait_xcnt 0x0
	v_cndmask_b32_e64 v3, 0, 1.0, s0
	v_mov_b32_e32 v4, 0x80
	s_mov_b32 s18, exec_lo
	s_delay_alu instid0(VALU_DEP_2)
	v_cmpx_gt_u32_e32 0x47800000, v3
	s_cbranch_execz .LBB38_70
; %bb.65:
	s_mov_b32 s19, 0
	s_mov_b32 s20, exec_lo
                                        ; implicit-def: $vgpr2
	v_cmpx_lt_u32_e32 0x37ffffff, v3
	s_xor_b32 s20, exec_lo, s20
	s_cbranch_execz .LBB38_283
; %bb.66:
	v_bfe_u32 v2, v3, 21, 1
	s_mov_b32 s19, exec_lo
	s_delay_alu instid0(VALU_DEP_1) | instskip(NEXT) | instid1(VALU_DEP_1)
	v_add3_u32 v2, v3, v2, 0x88fffff
                                        ; implicit-def: $vgpr3
	v_lshrrev_b32_e32 v2, 21, v2
	s_and_not1_saveexec_b32 s20, s20
	s_cbranch_execnz .LBB38_284
.LBB38_67:
	s_or_b32 exec_lo, exec_lo, s20
	v_mov_b32_e32 v4, 0
	s_and_saveexec_b32 s20, s19
.LBB38_68:
	v_mov_b32_e32 v4, v2
.LBB38_69:
	s_or_b32 exec_lo, exec_lo, s20
.LBB38_70:
	s_delay_alu instid0(SALU_CYCLE_1)
	s_or_b32 exec_lo, exec_lo, s18
	s_mov_b32 s18, 0
	global_store_b8 v[0:1], v4, off
.LBB38_71:
	s_and_b32 vcc_lo, exec_lo, s18
	s_cbranch_vccz .LBB38_81
; %bb.72:
	s_wait_xcnt 0x0
	v_cndmask_b32_e64 v3, 0, 1.0, s0
	s_mov_b32 s18, exec_lo
                                        ; implicit-def: $vgpr2
	s_delay_alu instid0(VALU_DEP_1)
	v_cmpx_gt_u32_e32 0x43f00000, v3
	s_xor_b32 s18, exec_lo, s18
	s_cbranch_execz .LBB38_78
; %bb.73:
	s_mov_b32 s19, exec_lo
                                        ; implicit-def: $vgpr2
	v_cmpx_lt_u32_e32 0x3c7fffff, v3
	s_xor_b32 s19, exec_lo, s19
; %bb.74:
	v_bfe_u32 v2, v3, 20, 1
	s_delay_alu instid0(VALU_DEP_1) | instskip(NEXT) | instid1(VALU_DEP_1)
	v_add3_u32 v2, v3, v2, 0x407ffff
	v_and_b32_e32 v3, 0xff00000, v2
	v_lshrrev_b32_e32 v2, 20, v2
	s_delay_alu instid0(VALU_DEP_2) | instskip(NEXT) | instid1(VALU_DEP_2)
	v_cmp_ne_u32_e32 vcc_lo, 0x7f00000, v3
                                        ; implicit-def: $vgpr3
	v_cndmask_b32_e32 v2, 0x7e, v2, vcc_lo
; %bb.75:
	s_and_not1_saveexec_b32 s19, s19
; %bb.76:
	v_add_f32_e32 v2, 0x46800000, v3
; %bb.77:
	s_or_b32 exec_lo, exec_lo, s19
                                        ; implicit-def: $vgpr3
.LBB38_78:
	s_and_not1_saveexec_b32 s18, s18
; %bb.79:
	v_mov_b32_e32 v2, 0x7f
	v_cmp_lt_u32_e32 vcc_lo, 0x7f800000, v3
	s_delay_alu instid0(VALU_DEP_2)
	v_cndmask_b32_e32 v2, 0x7e, v2, vcc_lo
; %bb.80:
	s_or_b32 exec_lo, exec_lo, s18
	global_store_b8 v[0:1], v2, off
.LBB38_81:
	s_mov_b32 s18, 0
.LBB38_82:
	s_delay_alu instid0(SALU_CYCLE_1)
	s_and_not1_b32 vcc_lo, exec_lo, s18
	s_cbranch_vccnz .LBB38_92
; %bb.83:
	s_wait_xcnt 0x0
	v_cndmask_b32_e64 v3, 0, 1.0, s0
	s_mov_b32 s18, exec_lo
                                        ; implicit-def: $vgpr2
	s_delay_alu instid0(VALU_DEP_1)
	v_cmpx_gt_u32_e32 0x47800000, v3
	s_xor_b32 s18, exec_lo, s18
	s_cbranch_execz .LBB38_89
; %bb.84:
	s_mov_b32 s19, exec_lo
                                        ; implicit-def: $vgpr2
	v_cmpx_lt_u32_e32 0x387fffff, v3
	s_xor_b32 s19, exec_lo, s19
; %bb.85:
	v_bfe_u32 v2, v3, 21, 1
	s_delay_alu instid0(VALU_DEP_1) | instskip(NEXT) | instid1(VALU_DEP_1)
	v_add3_u32 v2, v3, v2, 0x80fffff
                                        ; implicit-def: $vgpr3
	v_lshrrev_b32_e32 v2, 21, v2
; %bb.86:
	s_and_not1_saveexec_b32 s19, s19
; %bb.87:
	v_add_f32_e32 v2, 0x43000000, v3
; %bb.88:
	s_or_b32 exec_lo, exec_lo, s19
                                        ; implicit-def: $vgpr3
.LBB38_89:
	s_and_not1_saveexec_b32 s18, s18
; %bb.90:
	v_mov_b32_e32 v2, 0x7f
	v_cmp_lt_u32_e32 vcc_lo, 0x7f800000, v3
	s_delay_alu instid0(VALU_DEP_2)
	v_cndmask_b32_e32 v2, 0x7c, v2, vcc_lo
; %bb.91:
	s_or_b32 exec_lo, exec_lo, s18
	global_store_b8 v[0:1], v2, off
.LBB38_92:
	s_mov_b32 s19, 0
	s_mov_b32 s18, -1
.LBB38_93:
	s_and_not1_b32 vcc_lo, exec_lo, s19
	s_cbranch_vccnz .LBB38_101
; %bb.94:
	s_cmp_gt_i32 s17, 14
	s_mov_b32 s19, -1
	s_cbranch_scc0 .LBB38_98
; %bb.95:
	s_cmp_eq_u32 s17, 15
	s_mov_b32 s1, -1
	s_cbranch_scc0 .LBB38_97
; %bb.96:
	s_wait_xcnt 0x0
	v_cndmask_b32_e64 v2, 0, 1.0, s0
	s_mov_b32 s18, -1
	s_mov_b32 s1, 0
	s_delay_alu instid0(VALU_DEP_1) | instskip(NEXT) | instid1(VALU_DEP_1)
	v_bfe_u32 v3, v2, 16, 1
	v_add3_u32 v2, v2, v3, 0x7fff
	global_store_d16_hi_b16 v[0:1], v2, off
.LBB38_97:
	s_mov_b32 s19, 0
.LBB38_98:
	s_delay_alu instid0(SALU_CYCLE_1)
	s_and_b32 vcc_lo, exec_lo, s19
	s_cbranch_vccz .LBB38_101
; %bb.99:
	s_cmp_eq_u32 s17, 11
	s_mov_b32 s1, -1
	s_cbranch_scc0 .LBB38_101
; %bb.100:
	s_wait_xcnt 0x0
	v_cndmask_b32_e64 v2, 0, 1, s0
	s_mov_b32 s18, -1
	s_mov_b32 s1, 0
	global_store_b8 v[0:1], v2, off
.LBB38_101:
	s_branch .LBB38_20
.LBB38_102:
	s_and_b32 s12, 0xffff, s12
	s_mov_b32 s17, -1
	s_cmp_lt_i32 s12, 5
	s_cbranch_scc1 .LBB38_123
; %bb.103:
	s_cmp_lt_i32 s12, 8
	s_cbranch_scc1 .LBB38_113
; %bb.104:
	;; [unrolled: 3-line block ×3, first 2 shown]
	s_cmp_gt_i32 s12, 9
	s_cbranch_scc0 .LBB38_107
; %bb.106:
	s_wait_xcnt 0x0
	v_cndmask_b32_e64 v2, 0, 1, s0
	v_mov_b32_e32 v4, 0
	s_mov_b32 s17, 0
	s_delay_alu instid0(VALU_DEP_2) | instskip(NEXT) | instid1(VALU_DEP_2)
	v_cvt_f64_u32_e32 v[2:3], v2
	v_mov_b32_e32 v5, v4
	global_store_b128 v[0:1], v[2:5], off
.LBB38_107:
	s_and_not1_b32 vcc_lo, exec_lo, s17
	s_cbranch_vccnz .LBB38_109
; %bb.108:
	s_wait_xcnt 0x0
	v_cndmask_b32_e64 v2, 0, 1.0, s0
	v_mov_b32_e32 v3, 0
	global_store_b64 v[0:1], v[2:3], off
.LBB38_109:
	s_mov_b32 s17, 0
.LBB38_110:
	s_delay_alu instid0(SALU_CYCLE_1)
	s_and_not1_b32 vcc_lo, exec_lo, s17
	s_cbranch_vccnz .LBB38_112
; %bb.111:
	s_wait_xcnt 0x0
	v_cndmask_b32_e64 v2, 0, 1.0, s0
	s_delay_alu instid0(VALU_DEP_1) | instskip(NEXT) | instid1(VALU_DEP_1)
	v_cvt_f16_f32_e32 v2, v2
	v_and_b32_e32 v2, 0xffff, v2
	global_store_b32 v[0:1], v2, off
.LBB38_112:
	s_mov_b32 s17, 0
.LBB38_113:
	s_delay_alu instid0(SALU_CYCLE_1)
	s_and_not1_b32 vcc_lo, exec_lo, s17
	s_cbranch_vccnz .LBB38_122
; %bb.114:
	s_cmp_lt_i32 s12, 6
	s_mov_b32 s17, -1
	s_cbranch_scc1 .LBB38_120
; %bb.115:
	s_cmp_gt_i32 s12, 6
	s_cbranch_scc0 .LBB38_117
; %bb.116:
	s_wait_xcnt 0x0
	v_cndmask_b32_e64 v2, 0, 1, s0
	s_mov_b32 s17, 0
	s_delay_alu instid0(VALU_DEP_1)
	v_cvt_f64_u32_e32 v[2:3], v2
	global_store_b64 v[0:1], v[2:3], off
.LBB38_117:
	s_and_not1_b32 vcc_lo, exec_lo, s17
	s_cbranch_vccnz .LBB38_119
; %bb.118:
	s_wait_xcnt 0x0
	v_cndmask_b32_e64 v2, 0, 1.0, s0
	global_store_b32 v[0:1], v2, off
.LBB38_119:
	s_mov_b32 s17, 0
.LBB38_120:
	s_delay_alu instid0(SALU_CYCLE_1)
	s_and_not1_b32 vcc_lo, exec_lo, s17
	s_cbranch_vccnz .LBB38_122
; %bb.121:
	s_wait_xcnt 0x0
	v_cndmask_b32_e64 v2, 0, 1.0, s0
	s_delay_alu instid0(VALU_DEP_1)
	v_cvt_f16_f32_e32 v2, v2
	global_store_b16 v[0:1], v2, off
.LBB38_122:
	s_mov_b32 s17, 0
.LBB38_123:
	s_delay_alu instid0(SALU_CYCLE_1)
	s_and_not1_b32 vcc_lo, exec_lo, s17
	s_cbranch_vccnz .LBB38_139
; %bb.124:
	s_cmp_lt_i32 s12, 2
	s_mov_b32 s17, -1
	s_cbranch_scc1 .LBB38_134
; %bb.125:
	s_cmp_lt_i32 s12, 3
	s_cbranch_scc1 .LBB38_131
; %bb.126:
	s_cmp_gt_i32 s12, 3
	s_cbranch_scc0 .LBB38_128
; %bb.127:
	s_mov_b32 s17, 0
	s_wait_xcnt 0x0
	v_cndmask_b32_e64 v2, 0, 1, s0
	v_mov_b32_e32 v3, s17
	global_store_b64 v[0:1], v[2:3], off
.LBB38_128:
	s_and_not1_b32 vcc_lo, exec_lo, s17
	s_cbranch_vccnz .LBB38_130
; %bb.129:
	s_wait_xcnt 0x0
	v_cndmask_b32_e64 v2, 0, 1, s0
	global_store_b32 v[0:1], v2, off
.LBB38_130:
	s_mov_b32 s17, 0
.LBB38_131:
	s_delay_alu instid0(SALU_CYCLE_1)
	s_and_not1_b32 vcc_lo, exec_lo, s17
	s_cbranch_vccnz .LBB38_133
; %bb.132:
	s_wait_xcnt 0x0
	v_cndmask_b32_e64 v2, 0, 1, s0
	global_store_b16 v[0:1], v2, off
.LBB38_133:
	s_mov_b32 s17, 0
.LBB38_134:
	s_delay_alu instid0(SALU_CYCLE_1)
	s_and_not1_b32 vcc_lo, exec_lo, s17
	s_cbranch_vccnz .LBB38_139
; %bb.135:
	s_wait_xcnt 0x0
	v_cndmask_b32_e64 v2, 0, 1, s0
	s_cmp_gt_i32 s12, 0
	s_mov_b32 s0, -1
	s_cbranch_scc0 .LBB38_137
; %bb.136:
	s_mov_b32 s0, 0
	global_store_b8 v[0:1], v2, off
.LBB38_137:
	s_and_not1_b32 vcc_lo, exec_lo, s0
	s_cbranch_vccnz .LBB38_139
; %bb.138:
	global_store_b8 v[0:1], v2, off
.LBB38_139:
.LBB38_140:
	v_add_nc_u32_e32 v10, 0x80, v10
	s_mov_b32 s0, -1
	s_branch .LBB38_251
.LBB38_141:
	s_mov_b32 s14, -1
                                        ; implicit-def: $vgpr2_vgpr3
.LBB38_142:
	s_mov_b32 s12, 0
.LBB38_143:
	s_delay_alu instid0(SALU_CYCLE_1)
	s_and_b32 vcc_lo, exec_lo, s12
	s_cbranch_vccz .LBB38_147
; %bb.144:
	s_cmp_eq_u32 s0, 29
	s_cbranch_scc0 .LBB38_146
; %bb.145:
	global_load_b64 v[2:3], v[0:1], off
	s_mov_b32 s1, -1
	s_mov_b32 s14, 0
	s_mov_b32 s12, 0
	s_wait_loadcnt 0x0
	v_cvt_f64_u32_e32 v[4:5], v3
	v_cvt_f64_u32_e32 v[2:3], v2
	s_delay_alu instid0(VALU_DEP_2) | instskip(NEXT) | instid1(VALU_DEP_1)
	v_ldexp_f64 v[4:5], v[4:5], 32
	v_add_f64_e32 v[2:3], v[4:5], v[2:3]
	s_branch .LBB38_148
.LBB38_146:
	s_mov_b32 s14, -1
                                        ; implicit-def: $vgpr2_vgpr3
.LBB38_147:
	s_mov_b32 s12, 0
.LBB38_148:
	s_delay_alu instid0(SALU_CYCLE_1)
	s_and_b32 vcc_lo, exec_lo, s12
	s_cbranch_vccz .LBB38_166
; %bb.149:
	s_cmp_lt_i32 s0, 27
	s_cbranch_scc1 .LBB38_152
; %bb.150:
	s_cmp_gt_i32 s0, 27
	s_cbranch_scc0 .LBB38_153
; %bb.151:
	global_load_b32 v2, v[0:1], off
	s_mov_b32 s1, 0
	s_wait_loadcnt 0x0
	v_cvt_f64_u32_e32 v[2:3], v2
	s_branch .LBB38_154
.LBB38_152:
	s_mov_b32 s1, -1
                                        ; implicit-def: $vgpr2_vgpr3
	s_branch .LBB38_157
.LBB38_153:
	s_mov_b32 s1, -1
                                        ; implicit-def: $vgpr2_vgpr3
.LBB38_154:
	s_delay_alu instid0(SALU_CYCLE_1)
	s_and_not1_b32 vcc_lo, exec_lo, s1
	s_cbranch_vccnz .LBB38_156
; %bb.155:
	global_load_u16 v2, v[0:1], off
	s_wait_loadcnt 0x0
	v_cvt_f64_u32_e32 v[2:3], v2
.LBB38_156:
	s_mov_b32 s1, 0
.LBB38_157:
	s_delay_alu instid0(SALU_CYCLE_1)
	s_and_not1_b32 vcc_lo, exec_lo, s1
	s_cbranch_vccnz .LBB38_165
; %bb.158:
	global_load_u8 v4, v[0:1], off
	s_mov_b32 s1, 0
	s_mov_b32 s12, exec_lo
	s_wait_loadcnt 0x0
	v_cmpx_lt_i16_e32 0x7f, v4
	s_xor_b32 s12, exec_lo, s12
	s_cbranch_execz .LBB38_178
; %bb.159:
	s_mov_b32 s1, -1
	s_mov_b32 s17, exec_lo
	v_cmpx_eq_u16_e32 0x80, v4
; %bb.160:
	s_xor_b32 s1, exec_lo, -1
; %bb.161:
	s_or_b32 exec_lo, exec_lo, s17
	s_delay_alu instid0(SALU_CYCLE_1)
	s_and_b32 s1, s1, exec_lo
	s_or_saveexec_b32 s12, s12
	v_mov_b64_e32 v[2:3], 0x7ff8000020000000
	s_xor_b32 exec_lo, exec_lo, s12
	s_cbranch_execnz .LBB38_179
.LBB38_162:
	s_or_b32 exec_lo, exec_lo, s12
	s_and_saveexec_b32 s12, s1
	s_cbranch_execz .LBB38_164
.LBB38_163:
	v_and_b32_e32 v2, 0xffff, v4
	s_delay_alu instid0(VALU_DEP_1) | instskip(SKIP_1) | instid1(VALU_DEP_2)
	v_and_b32_e32 v3, 7, v2
	v_bfe_u32 v7, v2, 3, 4
	v_clz_i32_u32_e32 v5, v3
	s_delay_alu instid0(VALU_DEP_2) | instskip(NEXT) | instid1(VALU_DEP_2)
	v_cmp_eq_u32_e32 vcc_lo, 0, v7
	v_min_u32_e32 v5, 32, v5
	s_delay_alu instid0(VALU_DEP_1) | instskip(NEXT) | instid1(VALU_DEP_1)
	v_subrev_nc_u32_e32 v6, 28, v5
	v_dual_lshlrev_b32 v2, v6, v2 :: v_dual_sub_nc_u32 v5, 29, v5
	s_delay_alu instid0(VALU_DEP_1) | instskip(NEXT) | instid1(VALU_DEP_2)
	v_dual_lshlrev_b32 v4, 24, v4 :: v_dual_bitop2_b32 v2, 7, v2 bitop3:0x40
	v_cndmask_b32_e32 v5, v7, v5, vcc_lo
	s_delay_alu instid0(VALU_DEP_2) | instskip(NEXT) | instid1(VALU_DEP_3)
	v_cndmask_b32_e32 v2, v3, v2, vcc_lo
	v_and_b32_e32 v3, 0x80000000, v4
	s_delay_alu instid0(VALU_DEP_3) | instskip(NEXT) | instid1(VALU_DEP_3)
	v_lshl_add_u32 v4, v5, 23, 0x3b800000
	v_lshlrev_b32_e32 v2, 20, v2
	s_delay_alu instid0(VALU_DEP_1) | instskip(NEXT) | instid1(VALU_DEP_1)
	v_or3_b32 v2, v3, v4, v2
	v_cvt_f64_f32_e32 v[2:3], v2
.LBB38_164:
	s_or_b32 exec_lo, exec_lo, s12
.LBB38_165:
	s_mov_b32 s1, -1
.LBB38_166:
	s_branch .LBB38_201
.LBB38_167:
	s_cmp_gt_i32 s0, 22
	s_cbranch_scc0 .LBB38_177
; %bb.168:
	s_cmp_lt_i32 s0, 24
	s_cbranch_scc1 .LBB38_180
; %bb.169:
	s_cmp_gt_i32 s0, 24
	s_cbranch_scc0 .LBB38_181
; %bb.170:
	global_load_u8 v4, v[0:1], off
	s_mov_b32 s1, 0
	s_mov_b32 s12, exec_lo
	s_wait_loadcnt 0x0
	v_cmpx_lt_i16_e32 0x7f, v4
	s_xor_b32 s12, exec_lo, s12
	s_cbranch_execz .LBB38_193
; %bb.171:
	s_mov_b32 s1, -1
	s_mov_b32 s17, exec_lo
	v_cmpx_eq_u16_e32 0x80, v4
; %bb.172:
	s_xor_b32 s1, exec_lo, -1
; %bb.173:
	s_or_b32 exec_lo, exec_lo, s17
	s_delay_alu instid0(SALU_CYCLE_1)
	s_and_b32 s1, s1, exec_lo
	s_or_saveexec_b32 s12, s12
	v_mov_b64_e32 v[2:3], 0x7ff8000020000000
	s_xor_b32 exec_lo, exec_lo, s12
	s_cbranch_execnz .LBB38_194
.LBB38_174:
	s_or_b32 exec_lo, exec_lo, s12
	s_and_saveexec_b32 s12, s1
	s_cbranch_execz .LBB38_176
.LBB38_175:
	v_and_b32_e32 v2, 0xffff, v4
	s_delay_alu instid0(VALU_DEP_1) | instskip(SKIP_1) | instid1(VALU_DEP_2)
	v_and_b32_e32 v3, 3, v2
	v_bfe_u32 v7, v2, 2, 5
	v_clz_i32_u32_e32 v5, v3
	s_delay_alu instid0(VALU_DEP_2) | instskip(NEXT) | instid1(VALU_DEP_2)
	v_cmp_eq_u32_e32 vcc_lo, 0, v7
	v_min_u32_e32 v5, 32, v5
	s_delay_alu instid0(VALU_DEP_1) | instskip(NEXT) | instid1(VALU_DEP_1)
	v_subrev_nc_u32_e32 v6, 29, v5
	v_dual_lshlrev_b32 v2, v6, v2 :: v_dual_sub_nc_u32 v5, 30, v5
	s_delay_alu instid0(VALU_DEP_1) | instskip(NEXT) | instid1(VALU_DEP_2)
	v_dual_lshlrev_b32 v4, 24, v4 :: v_dual_bitop2_b32 v2, 3, v2 bitop3:0x40
	v_cndmask_b32_e32 v5, v7, v5, vcc_lo
	s_delay_alu instid0(VALU_DEP_2) | instskip(NEXT) | instid1(VALU_DEP_3)
	v_cndmask_b32_e32 v2, v3, v2, vcc_lo
	v_and_b32_e32 v3, 0x80000000, v4
	s_delay_alu instid0(VALU_DEP_3) | instskip(NEXT) | instid1(VALU_DEP_3)
	v_lshl_add_u32 v4, v5, 23, 0x37800000
	v_lshlrev_b32_e32 v2, 21, v2
	s_delay_alu instid0(VALU_DEP_1) | instskip(NEXT) | instid1(VALU_DEP_1)
	v_or3_b32 v2, v3, v4, v2
	v_cvt_f64_f32_e32 v[2:3], v2
.LBB38_176:
	s_or_b32 exec_lo, exec_lo, s12
	s_mov_b32 s1, 0
	s_branch .LBB38_182
.LBB38_177:
	s_mov_b32 s12, -1
                                        ; implicit-def: $vgpr2_vgpr3
	s_branch .LBB38_188
.LBB38_178:
	s_or_saveexec_b32 s12, s12
	v_mov_b64_e32 v[2:3], 0x7ff8000020000000
	s_xor_b32 exec_lo, exec_lo, s12
	s_cbranch_execz .LBB38_162
.LBB38_179:
	v_cmp_ne_u16_e32 vcc_lo, 0, v4
	v_mov_b64_e32 v[2:3], 0
	s_and_not1_b32 s1, s1, exec_lo
	s_and_b32 s17, vcc_lo, exec_lo
	s_delay_alu instid0(SALU_CYCLE_1)
	s_or_b32 s1, s1, s17
	s_or_b32 exec_lo, exec_lo, s12
	s_and_saveexec_b32 s12, s1
	s_cbranch_execnz .LBB38_163
	s_branch .LBB38_164
.LBB38_180:
	s_mov_b32 s1, -1
                                        ; implicit-def: $vgpr2_vgpr3
	s_branch .LBB38_185
.LBB38_181:
	s_mov_b32 s1, -1
                                        ; implicit-def: $vgpr2_vgpr3
.LBB38_182:
	s_delay_alu instid0(SALU_CYCLE_1)
	s_and_b32 vcc_lo, exec_lo, s1
	s_cbranch_vccz .LBB38_184
; %bb.183:
	global_load_u8 v2, v[0:1], off
	s_wait_loadcnt 0x0
	v_lshlrev_b32_e32 v2, 24, v2
	s_delay_alu instid0(VALU_DEP_1) | instskip(NEXT) | instid1(VALU_DEP_1)
	v_and_b32_e32 v3, 0x7f000000, v2
	v_clz_i32_u32_e32 v4, v3
	v_cmp_ne_u32_e32 vcc_lo, 0, v3
	v_add_nc_u32_e32 v6, 0x1000000, v3
	s_delay_alu instid0(VALU_DEP_3) | instskip(NEXT) | instid1(VALU_DEP_1)
	v_min_u32_e32 v4, 32, v4
	v_sub_nc_u32_e64 v4, v4, 4 clamp
	s_delay_alu instid0(VALU_DEP_1) | instskip(NEXT) | instid1(VALU_DEP_1)
	v_dual_lshlrev_b32 v5, v4, v3 :: v_dual_lshlrev_b32 v4, 23, v4
	v_lshrrev_b32_e32 v5, 4, v5
	s_delay_alu instid0(VALU_DEP_1) | instskip(NEXT) | instid1(VALU_DEP_1)
	v_dual_sub_nc_u32 v4, v5, v4 :: v_dual_ashrrev_i32 v5, 8, v6
	v_add_nc_u32_e32 v4, 0x3c000000, v4
	s_delay_alu instid0(VALU_DEP_1) | instskip(NEXT) | instid1(VALU_DEP_1)
	v_and_or_b32 v4, 0x7f800000, v5, v4
	v_cndmask_b32_e32 v3, 0, v4, vcc_lo
	s_delay_alu instid0(VALU_DEP_1) | instskip(NEXT) | instid1(VALU_DEP_1)
	v_and_or_b32 v2, 0x80000000, v2, v3
	v_cvt_f64_f32_e32 v[2:3], v2
.LBB38_184:
	s_mov_b32 s1, 0
.LBB38_185:
	s_delay_alu instid0(SALU_CYCLE_1)
	s_and_not1_b32 vcc_lo, exec_lo, s1
	s_cbranch_vccnz .LBB38_187
; %bb.186:
	global_load_u8 v2, v[0:1], off
	s_wait_loadcnt 0x0
	v_lshlrev_b32_e32 v3, 25, v2
	v_lshlrev_b16 v2, 8, v2
	s_delay_alu instid0(VALU_DEP_1) | instskip(SKIP_1) | instid1(VALU_DEP_2)
	v_and_or_b32 v5, 0x7f00, v2, 0.5
	v_bfe_i32 v2, v2, 0, 16
	v_dual_add_f32 v5, -0.5, v5 :: v_dual_lshrrev_b32 v4, 4, v3
	v_cmp_gt_u32_e32 vcc_lo, 0x8000000, v3
	s_delay_alu instid0(VALU_DEP_2) | instskip(NEXT) | instid1(VALU_DEP_1)
	v_or_b32_e32 v4, 0x70000000, v4
	v_mul_f32_e32 v4, 0x7800000, v4
	s_delay_alu instid0(VALU_DEP_1) | instskip(NEXT) | instid1(VALU_DEP_1)
	v_cndmask_b32_e32 v3, v4, v5, vcc_lo
	v_and_or_b32 v2, 0x80000000, v2, v3
	s_delay_alu instid0(VALU_DEP_1)
	v_cvt_f64_f32_e32 v[2:3], v2
.LBB38_187:
	s_mov_b32 s12, 0
	s_mov_b32 s1, -1
.LBB38_188:
	s_and_not1_b32 vcc_lo, exec_lo, s12
	s_cbranch_vccnz .LBB38_201
; %bb.189:
	s_cmp_gt_i32 s0, 14
	s_cbranch_scc0 .LBB38_192
; %bb.190:
	s_cmp_eq_u32 s0, 15
	s_cbranch_scc0 .LBB38_195
; %bb.191:
	global_load_u16 v2, v[0:1], off
	s_mov_b32 s1, -1
	s_mov_b32 s14, 0
	s_wait_loadcnt 0x0
	v_lshlrev_b32_e32 v2, 16, v2
	s_delay_alu instid0(VALU_DEP_1)
	v_cvt_f64_f32_e32 v[2:3], v2
	s_branch .LBB38_196
.LBB38_192:
	s_mov_b32 s12, -1
                                        ; implicit-def: $vgpr2_vgpr3
	s_branch .LBB38_197
.LBB38_193:
	s_or_saveexec_b32 s12, s12
	v_mov_b64_e32 v[2:3], 0x7ff8000020000000
	s_xor_b32 exec_lo, exec_lo, s12
	s_cbranch_execz .LBB38_174
.LBB38_194:
	v_cmp_ne_u16_e32 vcc_lo, 0, v4
	v_mov_b64_e32 v[2:3], 0
	s_and_not1_b32 s1, s1, exec_lo
	s_and_b32 s17, vcc_lo, exec_lo
	s_delay_alu instid0(SALU_CYCLE_1)
	s_or_b32 s1, s1, s17
	s_or_b32 exec_lo, exec_lo, s12
	s_and_saveexec_b32 s12, s1
	s_cbranch_execnz .LBB38_175
	s_branch .LBB38_176
.LBB38_195:
	s_mov_b32 s14, -1
                                        ; implicit-def: $vgpr2_vgpr3
.LBB38_196:
	s_mov_b32 s12, 0
.LBB38_197:
	s_delay_alu instid0(SALU_CYCLE_1)
	s_and_b32 vcc_lo, exec_lo, s12
	s_cbranch_vccz .LBB38_201
; %bb.198:
	s_cmp_eq_u32 s0, 11
	s_cbranch_scc0 .LBB38_200
; %bb.199:
	global_load_u8 v2, v[0:1], off
	s_mov_b32 s14, 0
	s_mov_b32 s1, -1
	s_wait_loadcnt 0x0
	v_cmp_ne_u16_e32 vcc_lo, 0, v2
	v_mov_b32_e32 v2, 0
	v_cndmask_b32_e64 v3, 0, 0x3ff00000, vcc_lo
	s_branch .LBB38_201
.LBB38_200:
	s_mov_b32 s14, -1
                                        ; implicit-def: $vgpr2_vgpr3
.LBB38_201:
	s_branch .LBB38_10
.LBB38_202:
	s_cmp_lt_i32 s0, 5
	s_cbranch_scc1 .LBB38_207
; %bb.203:
	s_cmp_lt_i32 s0, 8
	s_cbranch_scc1 .LBB38_208
; %bb.204:
	;; [unrolled: 3-line block ×3, first 2 shown]
	s_cmp_gt_i32 s0, 9
	s_cbranch_scc0 .LBB38_210
; %bb.206:
	global_load_b64 v[2:3], v[0:1], off
	s_mov_b32 s1, 0
	s_branch .LBB38_211
.LBB38_207:
                                        ; implicit-def: $vgpr2_vgpr3
	s_branch .LBB38_229
.LBB38_208:
	s_mov_b32 s1, -1
                                        ; implicit-def: $vgpr2_vgpr3
	s_branch .LBB38_217
.LBB38_209:
	s_mov_b32 s1, -1
                                        ; implicit-def: $vgpr2_vgpr3
	s_branch .LBB38_214
.LBB38_210:
	s_mov_b32 s1, -1
                                        ; implicit-def: $vgpr2_vgpr3
.LBB38_211:
	s_delay_alu instid0(SALU_CYCLE_1)
	s_and_not1_b32 vcc_lo, exec_lo, s1
	s_cbranch_vccnz .LBB38_213
; %bb.212:
	s_wait_loadcnt 0x0
	global_load_b32 v2, v[0:1], off
	s_wait_loadcnt 0x0
	v_cvt_f64_f32_e32 v[2:3], v2
.LBB38_213:
	s_mov_b32 s1, 0
.LBB38_214:
	s_delay_alu instid0(SALU_CYCLE_1)
	s_and_not1_b32 vcc_lo, exec_lo, s1
	s_cbranch_vccnz .LBB38_216
; %bb.215:
	s_wait_loadcnt 0x0
	global_load_b32 v2, v[0:1], off
	s_wait_loadcnt 0x0
	v_cvt_f32_f16_e32 v2, v2
	s_delay_alu instid0(VALU_DEP_1)
	v_cvt_f64_f32_e32 v[2:3], v2
.LBB38_216:
	s_mov_b32 s1, 0
.LBB38_217:
	s_delay_alu instid0(SALU_CYCLE_1)
	s_and_not1_b32 vcc_lo, exec_lo, s1
	s_cbranch_vccnz .LBB38_228
; %bb.218:
	s_cmp_lt_i32 s0, 6
	s_cbranch_scc1 .LBB38_221
; %bb.219:
	s_cmp_gt_i32 s0, 6
	s_cbranch_scc0 .LBB38_222
; %bb.220:
	s_wait_loadcnt 0x0
	global_load_b64 v[2:3], v[0:1], off
	s_mov_b32 s1, 0
	s_branch .LBB38_223
.LBB38_221:
	s_mov_b32 s1, -1
                                        ; implicit-def: $vgpr2_vgpr3
	s_branch .LBB38_226
.LBB38_222:
	s_mov_b32 s1, -1
                                        ; implicit-def: $vgpr2_vgpr3
.LBB38_223:
	s_delay_alu instid0(SALU_CYCLE_1)
	s_and_not1_b32 vcc_lo, exec_lo, s1
	s_cbranch_vccnz .LBB38_225
; %bb.224:
	s_wait_loadcnt 0x0
	global_load_b32 v2, v[0:1], off
	s_wait_loadcnt 0x0
	v_cvt_f64_f32_e32 v[2:3], v2
.LBB38_225:
	s_mov_b32 s1, 0
.LBB38_226:
	s_delay_alu instid0(SALU_CYCLE_1)
	s_and_not1_b32 vcc_lo, exec_lo, s1
	s_cbranch_vccnz .LBB38_228
; %bb.227:
	s_wait_loadcnt 0x0
	global_load_u16 v2, v[0:1], off
	s_wait_loadcnt 0x0
	v_cvt_f32_f16_e32 v2, v2
	s_delay_alu instid0(VALU_DEP_1)
	v_cvt_f64_f32_e32 v[2:3], v2
.LBB38_228:
	s_cbranch_execnz .LBB38_248
.LBB38_229:
	s_cmp_lt_i32 s0, 2
	s_cbranch_scc1 .LBB38_233
; %bb.230:
	s_cmp_lt_i32 s0, 3
	s_cbranch_scc1 .LBB38_234
; %bb.231:
	s_cmp_gt_i32 s0, 3
	s_cbranch_scc0 .LBB38_235
; %bb.232:
	s_wait_loadcnt 0x0
	global_load_b64 v[2:3], v[0:1], off
	s_mov_b32 s1, 0
	s_wait_loadcnt 0x0
	v_cvt_f64_i32_e32 v[4:5], v3
	v_cvt_f64_u32_e32 v[2:3], v2
	s_delay_alu instid0(VALU_DEP_2) | instskip(NEXT) | instid1(VALU_DEP_1)
	v_ldexp_f64 v[4:5], v[4:5], 32
	v_add_f64_e32 v[2:3], v[4:5], v[2:3]
	s_branch .LBB38_236
.LBB38_233:
	s_mov_b32 s1, -1
                                        ; implicit-def: $vgpr2_vgpr3
	s_branch .LBB38_242
.LBB38_234:
	s_mov_b32 s1, -1
                                        ; implicit-def: $vgpr2_vgpr3
	s_branch .LBB38_239
.LBB38_235:
	s_mov_b32 s1, -1
                                        ; implicit-def: $vgpr2_vgpr3
.LBB38_236:
	s_delay_alu instid0(SALU_CYCLE_1)
	s_and_not1_b32 vcc_lo, exec_lo, s1
	s_cbranch_vccnz .LBB38_238
; %bb.237:
	s_wait_loadcnt 0x0
	global_load_b32 v2, v[0:1], off
	s_wait_loadcnt 0x0
	v_cvt_f64_i32_e32 v[2:3], v2
.LBB38_238:
	s_mov_b32 s1, 0
.LBB38_239:
	s_delay_alu instid0(SALU_CYCLE_1)
	s_and_not1_b32 vcc_lo, exec_lo, s1
	s_cbranch_vccnz .LBB38_241
; %bb.240:
	s_wait_loadcnt 0x0
	global_load_i16 v2, v[0:1], off
	s_wait_loadcnt 0x0
	v_cvt_f64_i32_e32 v[2:3], v2
.LBB38_241:
	s_mov_b32 s1, 0
.LBB38_242:
	s_delay_alu instid0(SALU_CYCLE_1)
	s_and_not1_b32 vcc_lo, exec_lo, s1
	s_cbranch_vccnz .LBB38_248
; %bb.243:
	s_cmp_gt_i32 s0, 0
	s_mov_b32 s0, 0
	s_cbranch_scc0 .LBB38_245
; %bb.244:
	s_wait_loadcnt 0x0
	global_load_i8 v2, v[0:1], off
	s_wait_loadcnt 0x0
	v_cvt_f64_i32_e32 v[2:3], v2
	s_branch .LBB38_246
.LBB38_245:
	s_mov_b32 s0, -1
                                        ; implicit-def: $vgpr2_vgpr3
.LBB38_246:
	s_delay_alu instid0(SALU_CYCLE_1)
	s_and_not1_b32 vcc_lo, exec_lo, s0
	s_cbranch_vccnz .LBB38_248
; %bb.247:
	global_load_u8 v0, v[0:1], off
	s_wait_loadcnt 0x0
	v_cvt_f64_u32_e32 v[2:3], v0
.LBB38_248:
	s_branch .LBB38_11
.LBB38_249:
	s_mov_b32 s1, 0
.LBB38_250:
	s_mov_b32 s0, 0
                                        ; implicit-def: $vgpr10
.LBB38_251:
	s_and_b32 s12, s1, exec_lo
	s_and_b32 s14, s14, exec_lo
	s_or_not1_b32 s1, s0, exec_lo
.LBB38_252:
	s_wait_xcnt 0x0
	s_or_b32 exec_lo, exec_lo, s15
	s_mov_b32 s17, 0
	s_mov_b32 s0, 0
                                        ; implicit-def: $vgpr0_vgpr1
                                        ; implicit-def: $vgpr2_vgpr3
	s_and_saveexec_b32 s15, s1
	s_cbranch_execz .LBB38_261
; %bb.253:
	s_mov_b32 s0, -1
	s_mov_b32 s16, s14
	s_mov_b32 s17, s12
	s_mov_b32 s18, exec_lo
	v_cmpx_gt_i32_e64 s13, v10
	s_cbranch_execz .LBB38_515
; %bb.254:
	v_mul_lo_u32 v0, v10, s3
	s_and_b32 s0, 0xffff, s10
	s_delay_alu instid0(SALU_CYCLE_1) | instskip(NEXT) | instid1(VALU_DEP_1)
	s_cmp_lt_i32 s0, 11
	v_ashrrev_i32_e32 v1, 31, v0
	s_delay_alu instid0(VALU_DEP_1)
	v_add_nc_u64_e32 v[0:1], s[6:7], v[0:1]
	s_cbranch_scc1 .LBB38_264
; %bb.255:
	s_cmp_gt_i32 s0, 25
	s_cbranch_scc0 .LBB38_273
; %bb.256:
	s_cmp_gt_i32 s0, 28
	s_cbranch_scc0 .LBB38_275
	;; [unrolled: 3-line block ×4, first 2 shown]
; %bb.259:
	s_cmp_eq_u32 s0, 46
	s_mov_b32 s17, 0
	s_cbranch_scc0 .LBB38_285
; %bb.260:
	s_wait_loadcnt 0x0
	global_load_b32 v2, v[0:1], off
	s_mov_b32 s1, -1
	s_mov_b32 s16, 0
	s_wait_loadcnt 0x0
	v_lshlrev_b32_e32 v2, 16, v2
	s_delay_alu instid0(VALU_DEP_1)
	v_cvt_f64_f32_e32 v[2:3], v2
	s_branch .LBB38_287
.LBB38_261:
	s_or_b32 exec_lo, exec_lo, s15
	s_mov_b32 s1, 0
	s_and_saveexec_b32 s13, s14
	s_cbranch_execnz .LBB38_863
.LBB38_262:
	s_or_b32 exec_lo, exec_lo, s13
	s_and_saveexec_b32 s13, s16
	s_delay_alu instid0(SALU_CYCLE_1)
	s_xor_b32 s13, exec_lo, s13
	s_cbranch_execz .LBB38_864
.LBB38_263:
	s_wait_loadcnt 0x0
	global_load_u8 v2, v[0:1], off
	s_or_b32 s0, s0, exec_lo
	s_wait_loadcnt 0x0
	v_cmp_ne_u16_e32 vcc_lo, 0, v2
	v_mov_b32_e32 v2, 0
	v_cndmask_b32_e64 v3, 0, 0x3ff00000, vcc_lo
	s_wait_xcnt 0x0
	s_or_b32 exec_lo, exec_lo, s13
	s_and_saveexec_b32 s13, s17
	s_cbranch_execz .LBB38_910
	s_branch .LBB38_865
.LBB38_264:
	s_mov_b32 s1, 0
	s_mov_b32 s16, s14
                                        ; implicit-def: $vgpr2_vgpr3
	s_cbranch_execnz .LBB38_464
.LBB38_265:
	s_and_not1_b32 vcc_lo, exec_lo, s1
	s_cbranch_vccnz .LBB38_512
.LBB38_266:
	s_wait_loadcnt 0x0
	s_delay_alu instid0(VALU_DEP_1) | instskip(SKIP_3) | instid1(SALU_CYCLE_1)
	v_cmp_eq_f64_e64 s0, 0x7ff00000, v[2:3]
	s_wait_xcnt 0x0
	v_mul_lo_u32 v0, v10, s2
	s_and_b32 s17, s8, 0xff
	s_cmp_lt_i32 s17, 11
	s_delay_alu instid0(VALU_DEP_1) | instskip(NEXT) | instid1(VALU_DEP_1)
	v_ashrrev_i32_e32 v1, 31, v0
	v_add_nc_u64_e32 v[0:1], s[4:5], v[0:1]
	s_cbranch_scc1 .LBB38_274
; %bb.267:
	s_and_b32 s19, 0xffff, s17
	s_delay_alu instid0(SALU_CYCLE_1)
	s_cmp_gt_i32 s19, 25
	s_cbranch_scc0 .LBB38_276
; %bb.268:
	s_cmp_gt_i32 s19, 28
	s_cbranch_scc0 .LBB38_278
; %bb.269:
	s_cmp_gt_i32 s19, 43
	s_cbranch_scc0 .LBB38_282
; %bb.270:
	s_cmp_gt_i32 s19, 45
	s_cbranch_scc0 .LBB38_290
; %bb.271:
	s_mov_b32 s21, 0
	s_mov_b32 s1, -1
	s_cmp_eq_u32 s19, 46
	s_mov_b32 s20, 0
	s_cbranch_scc0 .LBB38_291
; %bb.272:
	v_cndmask_b32_e64 v2, 0, 1.0, s0
	s_mov_b32 s20, -1
	s_mov_b32 s1, 0
	s_delay_alu instid0(VALU_DEP_1) | instskip(NEXT) | instid1(VALU_DEP_1)
	v_bfe_u32 v3, v2, 16, 1
	v_add3_u32 v2, v2, v3, 0x7fff
	s_delay_alu instid0(VALU_DEP_1)
	v_lshrrev_b32_e32 v2, 16, v2
	global_store_b32 v[0:1], v2, off
	s_branch .LBB38_291
.LBB38_273:
	s_mov_b32 s17, -1
	s_mov_b32 s1, 0
	s_mov_b32 s16, s14
                                        ; implicit-def: $vgpr2_vgpr3
	s_branch .LBB38_428
.LBB38_274:
	s_mov_b32 s19, -1
	s_mov_b32 s20, 0
	s_mov_b32 s1, s12
	s_branch .LBB38_360
.LBB38_275:
	s_mov_b32 s17, -1
	s_mov_b32 s1, 0
	s_mov_b32 s16, s14
                                        ; implicit-def: $vgpr2_vgpr3
	s_branch .LBB38_409
.LBB38_276:
	s_mov_b32 s21, -1
	s_mov_b32 s20, 0
	s_mov_b32 s1, s12
	s_branch .LBB38_318
.LBB38_277:
	s_mov_b32 s17, -1
	s_mov_b32 s1, 0
	s_mov_b32 s16, s14
                                        ; implicit-def: $vgpr2_vgpr3
	s_branch .LBB38_404
.LBB38_278:
	s_mov_b32 s21, -1
	s_mov_b32 s20, 0
	s_mov_b32 s1, s12
	s_branch .LBB38_301
.LBB38_279:
	s_and_not1_saveexec_b32 s20, s20
	s_cbranch_execz .LBB38_54
.LBB38_280:
	v_add_f32_e32 v2, 0x46000000, v3
	s_and_not1_b32 s19, s19, exec_lo
	s_delay_alu instid0(VALU_DEP_1) | instskip(NEXT) | instid1(VALU_DEP_1)
	v_and_b32_e32 v2, 0xff, v2
	v_cmp_ne_u32_e32 vcc_lo, 0, v2
	s_and_b32 s21, vcc_lo, exec_lo
	s_delay_alu instid0(SALU_CYCLE_1)
	s_or_b32 s19, s19, s21
	s_or_b32 exec_lo, exec_lo, s20
	v_mov_b32_e32 v4, 0
	s_and_saveexec_b32 s20, s19
	s_cbranch_execnz .LBB38_55
	s_branch .LBB38_56
.LBB38_281:
	s_mov_b32 s17, -1
	s_mov_b32 s1, 0
	s_mov_b32 s16, s14
	s_branch .LBB38_286
.LBB38_282:
	s_mov_b32 s21, -1
	s_mov_b32 s20, 0
	s_mov_b32 s1, s12
	s_branch .LBB38_297
.LBB38_283:
	s_and_not1_saveexec_b32 s20, s20
	s_cbranch_execz .LBB38_67
.LBB38_284:
	v_add_f32_e32 v2, 0x42800000, v3
	s_and_not1_b32 s19, s19, exec_lo
	s_delay_alu instid0(VALU_DEP_1) | instskip(NEXT) | instid1(VALU_DEP_1)
	v_and_b32_e32 v2, 0xff, v2
	v_cmp_ne_u32_e32 vcc_lo, 0, v2
	s_and_b32 s21, vcc_lo, exec_lo
	s_delay_alu instid0(SALU_CYCLE_1)
	s_or_b32 s19, s19, s21
	s_or_b32 exec_lo, exec_lo, s20
	v_mov_b32_e32 v4, 0
	s_and_saveexec_b32 s20, s19
	s_cbranch_execnz .LBB38_68
	s_branch .LBB38_69
.LBB38_285:
	s_mov_b32 s16, -1
	s_mov_b32 s1, 0
.LBB38_286:
                                        ; implicit-def: $vgpr2_vgpr3
.LBB38_287:
	s_and_b32 vcc_lo, exec_lo, s17
	s_cbranch_vccz .LBB38_403
; %bb.288:
	s_cmp_eq_u32 s0, 44
	s_cbranch_scc0 .LBB38_402
; %bb.289:
	global_load_u8 v4, v[0:1], off
	s_mov_b32 s16, 0
	s_mov_b32 s1, -1
	s_wait_loadcnt 0x0
	v_cmp_ne_u32_e32 vcc_lo, 0xff, v4
	v_lshlrev_b32_e32 v2, 23, v4
	s_delay_alu instid0(VALU_DEP_1) | instskip(NEXT) | instid1(VALU_DEP_1)
	v_cvt_f64_f32_e32 v[2:3], v2
	v_cndmask_b32_e32 v2, 0x20000000, v2, vcc_lo
	s_delay_alu instid0(VALU_DEP_2) | instskip(SKIP_1) | instid1(VALU_DEP_2)
	v_cndmask_b32_e32 v3, 0x7ff80000, v3, vcc_lo
	v_cmp_ne_u32_e32 vcc_lo, 0, v4
	v_cndmask_b32_e32 v3, 0x38000000, v3, vcc_lo
	s_delay_alu instid0(VALU_DEP_4)
	v_cndmask_b32_e32 v2, 0, v2, vcc_lo
	s_branch .LBB38_403
.LBB38_290:
	s_mov_b32 s21, -1
	s_mov_b32 s20, 0
	s_mov_b32 s1, s12
.LBB38_291:
	s_and_b32 vcc_lo, exec_lo, s21
	s_cbranch_vccz .LBB38_296
; %bb.292:
	s_cmp_eq_u32 s19, 44
	s_mov_b32 s1, -1
	s_cbranch_scc0 .LBB38_296
; %bb.293:
	v_cndmask_b32_e64 v4, 0, 1.0, s0
	s_mov_b32 s20, exec_lo
	s_wait_xcnt 0x0
	s_delay_alu instid0(VALU_DEP_1) | instskip(NEXT) | instid1(VALU_DEP_1)
	v_dual_mov_b32 v3, 0xff :: v_dual_lshrrev_b32 v2, 23, v4
	v_cmpx_ne_u32_e32 0xff, v2
; %bb.294:
	v_and_b32_e32 v3, 0x400000, v4
	v_and_or_b32 v4, 0x3fffff, v4, v2
	s_delay_alu instid0(VALU_DEP_2) | instskip(NEXT) | instid1(VALU_DEP_2)
	v_cmp_ne_u32_e32 vcc_lo, 0, v3
	v_cmp_ne_u32_e64 s1, 0, v4
	s_and_b32 s1, vcc_lo, s1
	s_delay_alu instid0(SALU_CYCLE_1) | instskip(NEXT) | instid1(VALU_DEP_1)
	v_cndmask_b32_e64 v3, 0, 1, s1
	v_add_nc_u32_e32 v3, v2, v3
; %bb.295:
	s_or_b32 exec_lo, exec_lo, s20
	s_mov_b32 s20, -1
	s_mov_b32 s1, 0
	global_store_b8 v[0:1], v3, off
.LBB38_296:
	s_mov_b32 s21, 0
.LBB38_297:
	s_delay_alu instid0(SALU_CYCLE_1)
	s_and_b32 vcc_lo, exec_lo, s21
	s_cbranch_vccz .LBB38_300
; %bb.298:
	s_cmp_eq_u32 s19, 29
	s_mov_b32 s1, -1
	s_cbranch_scc0 .LBB38_300
; %bb.299:
	s_mov_b32 s1, 0
	s_wait_xcnt 0x0
	v_cndmask_b32_e64 v2, 0, 1, s0
	v_mov_b32_e32 v3, s1
	s_mov_b32 s20, -1
	s_mov_b32 s21, 0
	global_store_b64 v[0:1], v[2:3], off
	s_branch .LBB38_301
.LBB38_300:
	s_mov_b32 s21, 0
.LBB38_301:
	s_delay_alu instid0(SALU_CYCLE_1)
	s_and_b32 vcc_lo, exec_lo, s21
	s_cbranch_vccz .LBB38_317
; %bb.302:
	s_cmp_lt_i32 s19, 27
	s_mov_b32 s20, -1
	s_cbranch_scc1 .LBB38_308
; %bb.303:
	s_cmp_gt_i32 s19, 27
	s_cbranch_scc0 .LBB38_305
; %bb.304:
	s_wait_xcnt 0x0
	v_cndmask_b32_e64 v2, 0, 1, s0
	s_mov_b32 s20, 0
	global_store_b32 v[0:1], v2, off
.LBB38_305:
	s_and_not1_b32 vcc_lo, exec_lo, s20
	s_cbranch_vccnz .LBB38_307
; %bb.306:
	s_wait_xcnt 0x0
	v_cndmask_b32_e64 v2, 0, 1, s0
	global_store_b16 v[0:1], v2, off
.LBB38_307:
	s_mov_b32 s20, 0
.LBB38_308:
	s_delay_alu instid0(SALU_CYCLE_1)
	s_and_not1_b32 vcc_lo, exec_lo, s20
	s_cbranch_vccnz .LBB38_316
; %bb.309:
	s_wait_xcnt 0x0
	v_cndmask_b32_e64 v3, 0, 1.0, s0
	v_mov_b32_e32 v4, 0x80
	s_mov_b32 s20, exec_lo
	s_delay_alu instid0(VALU_DEP_2)
	v_cmpx_gt_u32_e32 0x43800000, v3
	s_cbranch_execz .LBB38_315
; %bb.310:
	s_mov_b32 s21, 0
	s_mov_b32 s22, exec_lo
                                        ; implicit-def: $vgpr2
	v_cmpx_lt_u32_e32 0x3bffffff, v3
	s_xor_b32 s22, exec_lo, s22
	s_cbranch_execz .LBB38_528
; %bb.311:
	v_bfe_u32 v2, v3, 20, 1
	s_mov_b32 s21, exec_lo
	s_delay_alu instid0(VALU_DEP_1) | instskip(NEXT) | instid1(VALU_DEP_1)
	v_add3_u32 v2, v3, v2, 0x487ffff
                                        ; implicit-def: $vgpr3
	v_lshrrev_b32_e32 v2, 20, v2
	s_and_not1_saveexec_b32 s22, s22
	s_cbranch_execnz .LBB38_529
.LBB38_312:
	s_or_b32 exec_lo, exec_lo, s22
	v_mov_b32_e32 v4, 0
	s_and_saveexec_b32 s22, s21
.LBB38_313:
	v_mov_b32_e32 v4, v2
.LBB38_314:
	s_or_b32 exec_lo, exec_lo, s22
.LBB38_315:
	s_delay_alu instid0(SALU_CYCLE_1)
	s_or_b32 exec_lo, exec_lo, s20
	global_store_b8 v[0:1], v4, off
.LBB38_316:
	s_mov_b32 s20, -1
.LBB38_317:
	s_mov_b32 s21, 0
.LBB38_318:
	s_delay_alu instid0(SALU_CYCLE_1)
	s_and_b32 vcc_lo, exec_lo, s21
	s_cbranch_vccz .LBB38_359
; %bb.319:
	s_cmp_gt_i32 s19, 22
	s_mov_b32 s21, -1
	s_cbranch_scc0 .LBB38_351
; %bb.320:
	s_cmp_lt_i32 s19, 24
	s_mov_b32 s20, -1
	s_cbranch_scc1 .LBB38_340
; %bb.321:
	s_cmp_gt_i32 s19, 24
	s_cbranch_scc0 .LBB38_329
; %bb.322:
	s_wait_xcnt 0x0
	v_cndmask_b32_e64 v3, 0, 1.0, s0
	v_mov_b32_e32 v4, 0x80
	s_mov_b32 s20, exec_lo
	s_delay_alu instid0(VALU_DEP_2)
	v_cmpx_gt_u32_e32 0x47800000, v3
	s_cbranch_execz .LBB38_328
; %bb.323:
	s_mov_b32 s21, 0
	s_mov_b32 s22, exec_lo
                                        ; implicit-def: $vgpr2
	v_cmpx_lt_u32_e32 0x37ffffff, v3
	s_xor_b32 s22, exec_lo, s22
	s_cbranch_execz .LBB38_531
; %bb.324:
	v_bfe_u32 v2, v3, 21, 1
	s_mov_b32 s21, exec_lo
	s_delay_alu instid0(VALU_DEP_1) | instskip(NEXT) | instid1(VALU_DEP_1)
	v_add3_u32 v2, v3, v2, 0x88fffff
                                        ; implicit-def: $vgpr3
	v_lshrrev_b32_e32 v2, 21, v2
	s_and_not1_saveexec_b32 s22, s22
	s_cbranch_execnz .LBB38_532
.LBB38_325:
	s_or_b32 exec_lo, exec_lo, s22
	v_mov_b32_e32 v4, 0
	s_and_saveexec_b32 s22, s21
.LBB38_326:
	v_mov_b32_e32 v4, v2
.LBB38_327:
	s_or_b32 exec_lo, exec_lo, s22
.LBB38_328:
	s_delay_alu instid0(SALU_CYCLE_1)
	s_or_b32 exec_lo, exec_lo, s20
	s_mov_b32 s20, 0
	global_store_b8 v[0:1], v4, off
.LBB38_329:
	s_and_b32 vcc_lo, exec_lo, s20
	s_cbranch_vccz .LBB38_339
; %bb.330:
	s_wait_xcnt 0x0
	v_cndmask_b32_e64 v3, 0, 1.0, s0
	s_mov_b32 s20, exec_lo
                                        ; implicit-def: $vgpr2
	s_delay_alu instid0(VALU_DEP_1)
	v_cmpx_gt_u32_e32 0x43f00000, v3
	s_xor_b32 s20, exec_lo, s20
	s_cbranch_execz .LBB38_336
; %bb.331:
	s_mov_b32 s21, exec_lo
                                        ; implicit-def: $vgpr2
	v_cmpx_lt_u32_e32 0x3c7fffff, v3
	s_xor_b32 s21, exec_lo, s21
; %bb.332:
	v_bfe_u32 v2, v3, 20, 1
	s_delay_alu instid0(VALU_DEP_1) | instskip(NEXT) | instid1(VALU_DEP_1)
	v_add3_u32 v2, v3, v2, 0x407ffff
	v_and_b32_e32 v3, 0xff00000, v2
	v_lshrrev_b32_e32 v2, 20, v2
	s_delay_alu instid0(VALU_DEP_2) | instskip(NEXT) | instid1(VALU_DEP_2)
	v_cmp_ne_u32_e32 vcc_lo, 0x7f00000, v3
                                        ; implicit-def: $vgpr3
	v_cndmask_b32_e32 v2, 0x7e, v2, vcc_lo
; %bb.333:
	s_and_not1_saveexec_b32 s21, s21
; %bb.334:
	v_add_f32_e32 v2, 0x46800000, v3
; %bb.335:
	s_or_b32 exec_lo, exec_lo, s21
                                        ; implicit-def: $vgpr3
.LBB38_336:
	s_and_not1_saveexec_b32 s20, s20
; %bb.337:
	v_mov_b32_e32 v2, 0x7f
	v_cmp_lt_u32_e32 vcc_lo, 0x7f800000, v3
	s_delay_alu instid0(VALU_DEP_2)
	v_cndmask_b32_e32 v2, 0x7e, v2, vcc_lo
; %bb.338:
	s_or_b32 exec_lo, exec_lo, s20
	global_store_b8 v[0:1], v2, off
.LBB38_339:
	s_mov_b32 s20, 0
.LBB38_340:
	s_delay_alu instid0(SALU_CYCLE_1)
	s_and_not1_b32 vcc_lo, exec_lo, s20
	s_cbranch_vccnz .LBB38_350
; %bb.341:
	s_wait_xcnt 0x0
	v_cndmask_b32_e64 v3, 0, 1.0, s0
	s_mov_b32 s20, exec_lo
                                        ; implicit-def: $vgpr2
	s_delay_alu instid0(VALU_DEP_1)
	v_cmpx_gt_u32_e32 0x47800000, v3
	s_xor_b32 s20, exec_lo, s20
	s_cbranch_execz .LBB38_347
; %bb.342:
	s_mov_b32 s21, exec_lo
                                        ; implicit-def: $vgpr2
	v_cmpx_lt_u32_e32 0x387fffff, v3
	s_xor_b32 s21, exec_lo, s21
; %bb.343:
	v_bfe_u32 v2, v3, 21, 1
	s_delay_alu instid0(VALU_DEP_1) | instskip(NEXT) | instid1(VALU_DEP_1)
	v_add3_u32 v2, v3, v2, 0x80fffff
                                        ; implicit-def: $vgpr3
	v_lshrrev_b32_e32 v2, 21, v2
; %bb.344:
	s_and_not1_saveexec_b32 s21, s21
; %bb.345:
	v_add_f32_e32 v2, 0x43000000, v3
; %bb.346:
	s_or_b32 exec_lo, exec_lo, s21
                                        ; implicit-def: $vgpr3
.LBB38_347:
	s_and_not1_saveexec_b32 s20, s20
; %bb.348:
	v_mov_b32_e32 v2, 0x7f
	v_cmp_lt_u32_e32 vcc_lo, 0x7f800000, v3
	s_delay_alu instid0(VALU_DEP_2)
	v_cndmask_b32_e32 v2, 0x7c, v2, vcc_lo
; %bb.349:
	s_or_b32 exec_lo, exec_lo, s20
	global_store_b8 v[0:1], v2, off
.LBB38_350:
	s_mov_b32 s21, 0
	s_mov_b32 s20, -1
.LBB38_351:
	s_and_not1_b32 vcc_lo, exec_lo, s21
	s_cbranch_vccnz .LBB38_359
; %bb.352:
	s_cmp_gt_i32 s19, 14
	s_mov_b32 s21, -1
	s_cbranch_scc0 .LBB38_356
; %bb.353:
	s_cmp_eq_u32 s19, 15
	s_mov_b32 s1, -1
	s_cbranch_scc0 .LBB38_355
; %bb.354:
	s_wait_xcnt 0x0
	v_cndmask_b32_e64 v2, 0, 1.0, s0
	s_mov_b32 s20, -1
	s_mov_b32 s1, 0
	s_delay_alu instid0(VALU_DEP_1) | instskip(NEXT) | instid1(VALU_DEP_1)
	v_bfe_u32 v3, v2, 16, 1
	v_add3_u32 v2, v2, v3, 0x7fff
	global_store_d16_hi_b16 v[0:1], v2, off
.LBB38_355:
	s_mov_b32 s21, 0
.LBB38_356:
	s_delay_alu instid0(SALU_CYCLE_1)
	s_and_b32 vcc_lo, exec_lo, s21
	s_cbranch_vccz .LBB38_359
; %bb.357:
	s_cmp_eq_u32 s19, 11
	s_mov_b32 s1, -1
	s_cbranch_scc0 .LBB38_359
; %bb.358:
	s_wait_xcnt 0x0
	v_cndmask_b32_e64 v2, 0, 1, s0
	s_mov_b32 s20, -1
	s_mov_b32 s1, 0
	global_store_b8 v[0:1], v2, off
.LBB38_359:
	s_mov_b32 s19, 0
.LBB38_360:
	s_delay_alu instid0(SALU_CYCLE_1)
	s_and_b32 vcc_lo, exec_lo, s19
	s_cbranch_vccz .LBB38_399
; %bb.361:
	s_and_b32 s17, 0xffff, s17
	s_mov_b32 s19, -1
	s_cmp_lt_i32 s17, 5
	s_cbranch_scc1 .LBB38_382
; %bb.362:
	s_cmp_lt_i32 s17, 8
	s_cbranch_scc1 .LBB38_372
; %bb.363:
	;; [unrolled: 3-line block ×3, first 2 shown]
	s_cmp_gt_i32 s17, 9
	s_cbranch_scc0 .LBB38_366
; %bb.365:
	s_wait_xcnt 0x0
	v_cndmask_b32_e64 v2, 0, 1, s0
	v_mov_b32_e32 v4, 0
	s_mov_b32 s19, 0
	s_delay_alu instid0(VALU_DEP_2) | instskip(NEXT) | instid1(VALU_DEP_2)
	v_cvt_f64_u32_e32 v[2:3], v2
	v_mov_b32_e32 v5, v4
	global_store_b128 v[0:1], v[2:5], off
.LBB38_366:
	s_and_not1_b32 vcc_lo, exec_lo, s19
	s_cbranch_vccnz .LBB38_368
; %bb.367:
	s_wait_xcnt 0x0
	v_cndmask_b32_e64 v2, 0, 1.0, s0
	v_mov_b32_e32 v3, 0
	global_store_b64 v[0:1], v[2:3], off
.LBB38_368:
	s_mov_b32 s19, 0
.LBB38_369:
	s_delay_alu instid0(SALU_CYCLE_1)
	s_and_not1_b32 vcc_lo, exec_lo, s19
	s_cbranch_vccnz .LBB38_371
; %bb.370:
	s_wait_xcnt 0x0
	v_cndmask_b32_e64 v2, 0, 1.0, s0
	s_delay_alu instid0(VALU_DEP_1) | instskip(NEXT) | instid1(VALU_DEP_1)
	v_cvt_f16_f32_e32 v2, v2
	v_and_b32_e32 v2, 0xffff, v2
	global_store_b32 v[0:1], v2, off
.LBB38_371:
	s_mov_b32 s19, 0
.LBB38_372:
	s_delay_alu instid0(SALU_CYCLE_1)
	s_and_not1_b32 vcc_lo, exec_lo, s19
	s_cbranch_vccnz .LBB38_381
; %bb.373:
	s_cmp_lt_i32 s17, 6
	s_mov_b32 s19, -1
	s_cbranch_scc1 .LBB38_379
; %bb.374:
	s_cmp_gt_i32 s17, 6
	s_cbranch_scc0 .LBB38_376
; %bb.375:
	s_wait_xcnt 0x0
	v_cndmask_b32_e64 v2, 0, 1, s0
	s_mov_b32 s19, 0
	s_delay_alu instid0(VALU_DEP_1)
	v_cvt_f64_u32_e32 v[2:3], v2
	global_store_b64 v[0:1], v[2:3], off
.LBB38_376:
	s_and_not1_b32 vcc_lo, exec_lo, s19
	s_cbranch_vccnz .LBB38_378
; %bb.377:
	s_wait_xcnt 0x0
	v_cndmask_b32_e64 v2, 0, 1.0, s0
	global_store_b32 v[0:1], v2, off
.LBB38_378:
	s_mov_b32 s19, 0
.LBB38_379:
	s_delay_alu instid0(SALU_CYCLE_1)
	s_and_not1_b32 vcc_lo, exec_lo, s19
	s_cbranch_vccnz .LBB38_381
; %bb.380:
	s_wait_xcnt 0x0
	v_cndmask_b32_e64 v2, 0, 1.0, s0
	s_delay_alu instid0(VALU_DEP_1)
	v_cvt_f16_f32_e32 v2, v2
	global_store_b16 v[0:1], v2, off
.LBB38_381:
	s_mov_b32 s19, 0
.LBB38_382:
	s_delay_alu instid0(SALU_CYCLE_1)
	s_and_not1_b32 vcc_lo, exec_lo, s19
	s_cbranch_vccnz .LBB38_398
; %bb.383:
	s_cmp_lt_i32 s17, 2
	s_mov_b32 s19, -1
	s_cbranch_scc1 .LBB38_393
; %bb.384:
	s_cmp_lt_i32 s17, 3
	s_cbranch_scc1 .LBB38_390
; %bb.385:
	s_cmp_gt_i32 s17, 3
	s_cbranch_scc0 .LBB38_387
; %bb.386:
	s_mov_b32 s19, 0
	s_wait_xcnt 0x0
	v_cndmask_b32_e64 v2, 0, 1, s0
	v_mov_b32_e32 v3, s19
	global_store_b64 v[0:1], v[2:3], off
.LBB38_387:
	s_and_not1_b32 vcc_lo, exec_lo, s19
	s_cbranch_vccnz .LBB38_389
; %bb.388:
	s_wait_xcnt 0x0
	v_cndmask_b32_e64 v2, 0, 1, s0
	global_store_b32 v[0:1], v2, off
.LBB38_389:
	s_mov_b32 s19, 0
.LBB38_390:
	s_delay_alu instid0(SALU_CYCLE_1)
	s_and_not1_b32 vcc_lo, exec_lo, s19
	s_cbranch_vccnz .LBB38_392
; %bb.391:
	s_wait_xcnt 0x0
	v_cndmask_b32_e64 v2, 0, 1, s0
	global_store_b16 v[0:1], v2, off
.LBB38_392:
	s_mov_b32 s19, 0
.LBB38_393:
	s_delay_alu instid0(SALU_CYCLE_1)
	s_and_not1_b32 vcc_lo, exec_lo, s19
	s_cbranch_vccnz .LBB38_398
; %bb.394:
	s_wait_xcnt 0x0
	v_cndmask_b32_e64 v2, 0, 1, s0
	s_cmp_gt_i32 s17, 0
	s_mov_b32 s0, -1
	s_cbranch_scc0 .LBB38_396
; %bb.395:
	s_mov_b32 s0, 0
	global_store_b8 v[0:1], v2, off
.LBB38_396:
	s_and_not1_b32 vcc_lo, exec_lo, s0
	s_cbranch_vccnz .LBB38_398
; %bb.397:
	global_store_b8 v[0:1], v2, off
.LBB38_398:
	s_mov_b32 s20, -1
.LBB38_399:
	s_delay_alu instid0(SALU_CYCLE_1)
	s_and_not1_b32 vcc_lo, exec_lo, s20
	s_cbranch_vccnz .LBB38_401
; %bb.400:
	v_add_nc_u32_e32 v10, 0x80, v10
	s_mov_b32 s0, -1
	s_branch .LBB38_514
.LBB38_401:
	s_mov_b32 s0, 0
	s_branch .LBB38_513
.LBB38_402:
	s_mov_b32 s16, -1
                                        ; implicit-def: $vgpr2_vgpr3
.LBB38_403:
	s_mov_b32 s17, 0
.LBB38_404:
	s_delay_alu instid0(SALU_CYCLE_1)
	s_and_b32 vcc_lo, exec_lo, s17
	s_cbranch_vccz .LBB38_408
; %bb.405:
	s_cmp_eq_u32 s0, 29
	s_cbranch_scc0 .LBB38_407
; %bb.406:
	s_wait_loadcnt 0x0
	global_load_b64 v[2:3], v[0:1], off
	s_mov_b32 s1, -1
	s_mov_b32 s16, 0
	s_mov_b32 s17, 0
	s_wait_loadcnt 0x0
	v_cvt_f64_u32_e32 v[4:5], v3
	v_cvt_f64_u32_e32 v[2:3], v2
	s_delay_alu instid0(VALU_DEP_2) | instskip(NEXT) | instid1(VALU_DEP_1)
	v_ldexp_f64 v[4:5], v[4:5], 32
	v_add_f64_e32 v[2:3], v[4:5], v[2:3]
	s_branch .LBB38_409
.LBB38_407:
	s_mov_b32 s16, -1
                                        ; implicit-def: $vgpr2_vgpr3
.LBB38_408:
	s_mov_b32 s17, 0
.LBB38_409:
	s_delay_alu instid0(SALU_CYCLE_1)
	s_and_b32 vcc_lo, exec_lo, s17
	s_cbranch_vccz .LBB38_427
; %bb.410:
	s_cmp_lt_i32 s0, 27
	s_cbranch_scc1 .LBB38_413
; %bb.411:
	s_cmp_gt_i32 s0, 27
	s_cbranch_scc0 .LBB38_414
; %bb.412:
	s_wait_loadcnt 0x0
	global_load_b32 v2, v[0:1], off
	s_mov_b32 s1, 0
	s_wait_loadcnt 0x0
	v_cvt_f64_u32_e32 v[2:3], v2
	s_branch .LBB38_415
.LBB38_413:
	s_mov_b32 s1, -1
                                        ; implicit-def: $vgpr2_vgpr3
	s_branch .LBB38_418
.LBB38_414:
	s_mov_b32 s1, -1
                                        ; implicit-def: $vgpr2_vgpr3
.LBB38_415:
	s_delay_alu instid0(SALU_CYCLE_1)
	s_and_not1_b32 vcc_lo, exec_lo, s1
	s_cbranch_vccnz .LBB38_417
; %bb.416:
	s_wait_loadcnt 0x0
	global_load_u16 v2, v[0:1], off
	s_wait_loadcnt 0x0
	v_cvt_f64_u32_e32 v[2:3], v2
.LBB38_417:
	s_mov_b32 s1, 0
.LBB38_418:
	s_delay_alu instid0(SALU_CYCLE_1)
	s_and_not1_b32 vcc_lo, exec_lo, s1
	s_cbranch_vccnz .LBB38_426
; %bb.419:
	global_load_u8 v4, v[0:1], off
	s_mov_b32 s1, 0
	s_mov_b32 s17, exec_lo
	s_wait_loadcnt 0x0
	v_cmpx_lt_i16_e32 0x7f, v4
	s_xor_b32 s17, exec_lo, s17
	s_cbranch_execz .LBB38_440
; %bb.420:
	s_mov_b32 s1, -1
	s_mov_b32 s19, exec_lo
	v_cmpx_eq_u16_e32 0x80, v4
; %bb.421:
	s_xor_b32 s1, exec_lo, -1
; %bb.422:
	s_or_b32 exec_lo, exec_lo, s19
	s_delay_alu instid0(SALU_CYCLE_1)
	s_and_b32 s1, s1, exec_lo
	s_or_saveexec_b32 s17, s17
	v_mov_b64_e32 v[2:3], 0x7ff8000020000000
	s_xor_b32 exec_lo, exec_lo, s17
	s_cbranch_execnz .LBB38_441
.LBB38_423:
	s_or_b32 exec_lo, exec_lo, s17
	s_and_saveexec_b32 s17, s1
	s_cbranch_execz .LBB38_425
.LBB38_424:
	v_and_b32_e32 v2, 0xffff, v4
	s_delay_alu instid0(VALU_DEP_1) | instskip(SKIP_1) | instid1(VALU_DEP_2)
	v_and_b32_e32 v3, 7, v2
	v_bfe_u32 v7, v2, 3, 4
	v_clz_i32_u32_e32 v5, v3
	s_delay_alu instid0(VALU_DEP_2) | instskip(NEXT) | instid1(VALU_DEP_2)
	v_cmp_eq_u32_e32 vcc_lo, 0, v7
	v_min_u32_e32 v5, 32, v5
	s_delay_alu instid0(VALU_DEP_1) | instskip(NEXT) | instid1(VALU_DEP_1)
	v_subrev_nc_u32_e32 v6, 28, v5
	v_dual_lshlrev_b32 v2, v6, v2 :: v_dual_sub_nc_u32 v5, 29, v5
	s_delay_alu instid0(VALU_DEP_1) | instskip(NEXT) | instid1(VALU_DEP_2)
	v_dual_lshlrev_b32 v4, 24, v4 :: v_dual_bitop2_b32 v2, 7, v2 bitop3:0x40
	v_cndmask_b32_e32 v5, v7, v5, vcc_lo
	s_delay_alu instid0(VALU_DEP_2) | instskip(NEXT) | instid1(VALU_DEP_3)
	v_cndmask_b32_e32 v2, v3, v2, vcc_lo
	v_and_b32_e32 v3, 0x80000000, v4
	s_delay_alu instid0(VALU_DEP_3) | instskip(NEXT) | instid1(VALU_DEP_3)
	v_lshl_add_u32 v4, v5, 23, 0x3b800000
	v_lshlrev_b32_e32 v2, 20, v2
	s_delay_alu instid0(VALU_DEP_1) | instskip(NEXT) | instid1(VALU_DEP_1)
	v_or3_b32 v2, v3, v4, v2
	v_cvt_f64_f32_e32 v[2:3], v2
.LBB38_425:
	s_or_b32 exec_lo, exec_lo, s17
.LBB38_426:
	s_mov_b32 s1, -1
.LBB38_427:
	s_mov_b32 s17, 0
.LBB38_428:
	s_delay_alu instid0(SALU_CYCLE_1)
	s_and_b32 vcc_lo, exec_lo, s17
	s_cbranch_vccz .LBB38_463
; %bb.429:
	s_cmp_gt_i32 s0, 22
	s_cbranch_scc0 .LBB38_439
; %bb.430:
	s_cmp_lt_i32 s0, 24
	s_cbranch_scc1 .LBB38_442
; %bb.431:
	s_cmp_gt_i32 s0, 24
	s_cbranch_scc0 .LBB38_443
; %bb.432:
	global_load_u8 v4, v[0:1], off
	s_mov_b32 s1, 0
	s_mov_b32 s17, exec_lo
	s_wait_loadcnt 0x0
	v_cmpx_lt_i16_e32 0x7f, v4
	s_xor_b32 s17, exec_lo, s17
	s_cbranch_execz .LBB38_455
; %bb.433:
	s_mov_b32 s1, -1
	s_mov_b32 s19, exec_lo
	v_cmpx_eq_u16_e32 0x80, v4
; %bb.434:
	s_xor_b32 s1, exec_lo, -1
; %bb.435:
	s_or_b32 exec_lo, exec_lo, s19
	s_delay_alu instid0(SALU_CYCLE_1)
	s_and_b32 s1, s1, exec_lo
	s_or_saveexec_b32 s17, s17
	v_mov_b64_e32 v[2:3], 0x7ff8000020000000
	s_xor_b32 exec_lo, exec_lo, s17
	s_cbranch_execnz .LBB38_456
.LBB38_436:
	s_or_b32 exec_lo, exec_lo, s17
	s_and_saveexec_b32 s17, s1
	s_cbranch_execz .LBB38_438
.LBB38_437:
	v_and_b32_e32 v2, 0xffff, v4
	s_delay_alu instid0(VALU_DEP_1) | instskip(SKIP_1) | instid1(VALU_DEP_2)
	v_and_b32_e32 v3, 3, v2
	v_bfe_u32 v7, v2, 2, 5
	v_clz_i32_u32_e32 v5, v3
	s_delay_alu instid0(VALU_DEP_2) | instskip(NEXT) | instid1(VALU_DEP_2)
	v_cmp_eq_u32_e32 vcc_lo, 0, v7
	v_min_u32_e32 v5, 32, v5
	s_delay_alu instid0(VALU_DEP_1) | instskip(NEXT) | instid1(VALU_DEP_1)
	v_subrev_nc_u32_e32 v6, 29, v5
	v_dual_lshlrev_b32 v2, v6, v2 :: v_dual_sub_nc_u32 v5, 30, v5
	s_delay_alu instid0(VALU_DEP_1) | instskip(NEXT) | instid1(VALU_DEP_2)
	v_dual_lshlrev_b32 v4, 24, v4 :: v_dual_bitop2_b32 v2, 3, v2 bitop3:0x40
	v_cndmask_b32_e32 v5, v7, v5, vcc_lo
	s_delay_alu instid0(VALU_DEP_2) | instskip(NEXT) | instid1(VALU_DEP_3)
	v_cndmask_b32_e32 v2, v3, v2, vcc_lo
	v_and_b32_e32 v3, 0x80000000, v4
	s_delay_alu instid0(VALU_DEP_3) | instskip(NEXT) | instid1(VALU_DEP_3)
	v_lshl_add_u32 v4, v5, 23, 0x37800000
	v_lshlrev_b32_e32 v2, 21, v2
	s_delay_alu instid0(VALU_DEP_1) | instskip(NEXT) | instid1(VALU_DEP_1)
	v_or3_b32 v2, v3, v4, v2
	v_cvt_f64_f32_e32 v[2:3], v2
.LBB38_438:
	s_or_b32 exec_lo, exec_lo, s17
	s_mov_b32 s1, 0
	s_branch .LBB38_444
.LBB38_439:
	s_mov_b32 s17, -1
                                        ; implicit-def: $vgpr2_vgpr3
	s_branch .LBB38_450
.LBB38_440:
	s_or_saveexec_b32 s17, s17
	v_mov_b64_e32 v[2:3], 0x7ff8000020000000
	s_xor_b32 exec_lo, exec_lo, s17
	s_cbranch_execz .LBB38_423
.LBB38_441:
	v_cmp_ne_u16_e32 vcc_lo, 0, v4
	v_mov_b64_e32 v[2:3], 0
	s_and_not1_b32 s1, s1, exec_lo
	s_and_b32 s19, vcc_lo, exec_lo
	s_delay_alu instid0(SALU_CYCLE_1)
	s_or_b32 s1, s1, s19
	s_or_b32 exec_lo, exec_lo, s17
	s_and_saveexec_b32 s17, s1
	s_cbranch_execnz .LBB38_424
	s_branch .LBB38_425
.LBB38_442:
	s_mov_b32 s1, -1
                                        ; implicit-def: $vgpr2_vgpr3
	s_branch .LBB38_447
.LBB38_443:
	s_mov_b32 s1, -1
                                        ; implicit-def: $vgpr2_vgpr3
.LBB38_444:
	s_delay_alu instid0(SALU_CYCLE_1)
	s_and_b32 vcc_lo, exec_lo, s1
	s_cbranch_vccz .LBB38_446
; %bb.445:
	s_wait_loadcnt 0x0
	global_load_u8 v2, v[0:1], off
	s_wait_loadcnt 0x0
	v_lshlrev_b32_e32 v2, 24, v2
	s_delay_alu instid0(VALU_DEP_1) | instskip(NEXT) | instid1(VALU_DEP_1)
	v_and_b32_e32 v3, 0x7f000000, v2
	v_clz_i32_u32_e32 v4, v3
	v_cmp_ne_u32_e32 vcc_lo, 0, v3
	v_add_nc_u32_e32 v6, 0x1000000, v3
	s_delay_alu instid0(VALU_DEP_3) | instskip(NEXT) | instid1(VALU_DEP_1)
	v_min_u32_e32 v4, 32, v4
	v_sub_nc_u32_e64 v4, v4, 4 clamp
	s_delay_alu instid0(VALU_DEP_1) | instskip(NEXT) | instid1(VALU_DEP_1)
	v_dual_lshlrev_b32 v5, v4, v3 :: v_dual_lshlrev_b32 v4, 23, v4
	v_lshrrev_b32_e32 v5, 4, v5
	s_delay_alu instid0(VALU_DEP_1) | instskip(NEXT) | instid1(VALU_DEP_1)
	v_dual_sub_nc_u32 v4, v5, v4 :: v_dual_ashrrev_i32 v5, 8, v6
	v_add_nc_u32_e32 v4, 0x3c000000, v4
	s_delay_alu instid0(VALU_DEP_1) | instskip(NEXT) | instid1(VALU_DEP_1)
	v_and_or_b32 v4, 0x7f800000, v5, v4
	v_cndmask_b32_e32 v3, 0, v4, vcc_lo
	s_delay_alu instid0(VALU_DEP_1) | instskip(NEXT) | instid1(VALU_DEP_1)
	v_and_or_b32 v2, 0x80000000, v2, v3
	v_cvt_f64_f32_e32 v[2:3], v2
.LBB38_446:
	s_mov_b32 s1, 0
.LBB38_447:
	s_delay_alu instid0(SALU_CYCLE_1)
	s_and_not1_b32 vcc_lo, exec_lo, s1
	s_cbranch_vccnz .LBB38_449
; %bb.448:
	s_wait_loadcnt 0x0
	global_load_u8 v2, v[0:1], off
	s_wait_loadcnt 0x0
	v_lshlrev_b32_e32 v3, 25, v2
	v_lshlrev_b16 v2, 8, v2
	s_delay_alu instid0(VALU_DEP_1) | instskip(SKIP_1) | instid1(VALU_DEP_2)
	v_and_or_b32 v5, 0x7f00, v2, 0.5
	v_bfe_i32 v2, v2, 0, 16
	v_dual_add_f32 v5, -0.5, v5 :: v_dual_lshrrev_b32 v4, 4, v3
	v_cmp_gt_u32_e32 vcc_lo, 0x8000000, v3
	s_delay_alu instid0(VALU_DEP_2) | instskip(NEXT) | instid1(VALU_DEP_1)
	v_or_b32_e32 v4, 0x70000000, v4
	v_mul_f32_e32 v4, 0x7800000, v4
	s_delay_alu instid0(VALU_DEP_1) | instskip(NEXT) | instid1(VALU_DEP_1)
	v_cndmask_b32_e32 v3, v4, v5, vcc_lo
	v_and_or_b32 v2, 0x80000000, v2, v3
	s_delay_alu instid0(VALU_DEP_1)
	v_cvt_f64_f32_e32 v[2:3], v2
.LBB38_449:
	s_mov_b32 s17, 0
	s_mov_b32 s1, -1
.LBB38_450:
	s_and_not1_b32 vcc_lo, exec_lo, s17
	s_cbranch_vccnz .LBB38_463
; %bb.451:
	s_cmp_gt_i32 s0, 14
	s_cbranch_scc0 .LBB38_454
; %bb.452:
	s_cmp_eq_u32 s0, 15
	s_cbranch_scc0 .LBB38_457
; %bb.453:
	s_wait_loadcnt 0x0
	global_load_u16 v2, v[0:1], off
	s_mov_b32 s1, -1
	s_mov_b32 s16, 0
	s_wait_loadcnt 0x0
	v_lshlrev_b32_e32 v2, 16, v2
	s_delay_alu instid0(VALU_DEP_1)
	v_cvt_f64_f32_e32 v[2:3], v2
	s_branch .LBB38_458
.LBB38_454:
	s_mov_b32 s17, -1
                                        ; implicit-def: $vgpr2_vgpr3
	s_branch .LBB38_459
.LBB38_455:
	s_or_saveexec_b32 s17, s17
	v_mov_b64_e32 v[2:3], 0x7ff8000020000000
	s_xor_b32 exec_lo, exec_lo, s17
	s_cbranch_execz .LBB38_436
.LBB38_456:
	v_cmp_ne_u16_e32 vcc_lo, 0, v4
	v_mov_b64_e32 v[2:3], 0
	s_and_not1_b32 s1, s1, exec_lo
	s_and_b32 s19, vcc_lo, exec_lo
	s_delay_alu instid0(SALU_CYCLE_1)
	s_or_b32 s1, s1, s19
	s_or_b32 exec_lo, exec_lo, s17
	s_and_saveexec_b32 s17, s1
	s_cbranch_execnz .LBB38_437
	s_branch .LBB38_438
.LBB38_457:
	s_mov_b32 s16, -1
                                        ; implicit-def: $vgpr2_vgpr3
.LBB38_458:
	s_mov_b32 s17, 0
.LBB38_459:
	s_delay_alu instid0(SALU_CYCLE_1)
	s_and_b32 vcc_lo, exec_lo, s17
	s_cbranch_vccz .LBB38_463
; %bb.460:
	s_cmp_eq_u32 s0, 11
	s_cbranch_scc0 .LBB38_462
; %bb.461:
	s_wait_loadcnt 0x0
	global_load_u8 v2, v[0:1], off
	s_mov_b32 s16, 0
	s_mov_b32 s1, -1
	s_wait_loadcnt 0x0
	v_cmp_ne_u16_e32 vcc_lo, 0, v2
	v_mov_b32_e32 v2, 0
	v_cndmask_b32_e64 v3, 0, 0x3ff00000, vcc_lo
	s_branch .LBB38_463
.LBB38_462:
	s_mov_b32 s16, -1
                                        ; implicit-def: $vgpr2_vgpr3
.LBB38_463:
	s_branch .LBB38_265
.LBB38_464:
	s_cmp_lt_i32 s0, 5
	s_cbranch_scc1 .LBB38_469
; %bb.465:
	s_cmp_lt_i32 s0, 8
	s_cbranch_scc1 .LBB38_470
; %bb.466:
	;; [unrolled: 3-line block ×3, first 2 shown]
	s_cmp_gt_i32 s0, 9
	s_cbranch_scc0 .LBB38_472
; %bb.468:
	s_wait_loadcnt 0x0
	global_load_b64 v[2:3], v[0:1], off
	s_mov_b32 s1, 0
	s_branch .LBB38_473
.LBB38_469:
	s_mov_b32 s1, -1
                                        ; implicit-def: $vgpr2_vgpr3
	s_branch .LBB38_491
.LBB38_470:
	s_mov_b32 s1, -1
                                        ; implicit-def: $vgpr2_vgpr3
	s_branch .LBB38_479
.LBB38_471:
	s_mov_b32 s1, -1
                                        ; implicit-def: $vgpr2_vgpr3
	s_branch .LBB38_476
.LBB38_472:
	s_mov_b32 s1, -1
                                        ; implicit-def: $vgpr2_vgpr3
.LBB38_473:
	s_delay_alu instid0(SALU_CYCLE_1)
	s_and_not1_b32 vcc_lo, exec_lo, s1
	s_cbranch_vccnz .LBB38_475
; %bb.474:
	s_wait_loadcnt 0x0
	global_load_b32 v2, v[0:1], off
	s_wait_loadcnt 0x0
	v_cvt_f64_f32_e32 v[2:3], v2
.LBB38_475:
	s_mov_b32 s1, 0
.LBB38_476:
	s_delay_alu instid0(SALU_CYCLE_1)
	s_and_not1_b32 vcc_lo, exec_lo, s1
	s_cbranch_vccnz .LBB38_478
; %bb.477:
	s_wait_loadcnt 0x0
	global_load_b32 v2, v[0:1], off
	s_wait_loadcnt 0x0
	v_cvt_f32_f16_e32 v2, v2
	s_delay_alu instid0(VALU_DEP_1)
	v_cvt_f64_f32_e32 v[2:3], v2
.LBB38_478:
	s_mov_b32 s1, 0
.LBB38_479:
	s_delay_alu instid0(SALU_CYCLE_1)
	s_and_not1_b32 vcc_lo, exec_lo, s1
	s_cbranch_vccnz .LBB38_490
; %bb.480:
	s_cmp_lt_i32 s0, 6
	s_cbranch_scc1 .LBB38_483
; %bb.481:
	s_cmp_gt_i32 s0, 6
	s_cbranch_scc0 .LBB38_484
; %bb.482:
	s_wait_loadcnt 0x0
	global_load_b64 v[2:3], v[0:1], off
	s_mov_b32 s1, 0
	s_branch .LBB38_485
.LBB38_483:
	s_mov_b32 s1, -1
                                        ; implicit-def: $vgpr2_vgpr3
	s_branch .LBB38_488
.LBB38_484:
	s_mov_b32 s1, -1
                                        ; implicit-def: $vgpr2_vgpr3
.LBB38_485:
	s_delay_alu instid0(SALU_CYCLE_1)
	s_and_not1_b32 vcc_lo, exec_lo, s1
	s_cbranch_vccnz .LBB38_487
; %bb.486:
	s_wait_loadcnt 0x0
	global_load_b32 v2, v[0:1], off
	s_wait_loadcnt 0x0
	v_cvt_f64_f32_e32 v[2:3], v2
.LBB38_487:
	s_mov_b32 s1, 0
.LBB38_488:
	s_delay_alu instid0(SALU_CYCLE_1)
	s_and_not1_b32 vcc_lo, exec_lo, s1
	s_cbranch_vccnz .LBB38_490
; %bb.489:
	s_wait_loadcnt 0x0
	global_load_u16 v2, v[0:1], off
	s_wait_loadcnt 0x0
	v_cvt_f32_f16_e32 v2, v2
	s_delay_alu instid0(VALU_DEP_1)
	v_cvt_f64_f32_e32 v[2:3], v2
.LBB38_490:
	s_mov_b32 s1, 0
.LBB38_491:
	s_delay_alu instid0(SALU_CYCLE_1)
	s_and_not1_b32 vcc_lo, exec_lo, s1
	s_cbranch_vccnz .LBB38_511
; %bb.492:
	s_cmp_lt_i32 s0, 2
	s_cbranch_scc1 .LBB38_496
; %bb.493:
	s_cmp_lt_i32 s0, 3
	s_cbranch_scc1 .LBB38_497
; %bb.494:
	s_cmp_gt_i32 s0, 3
	s_cbranch_scc0 .LBB38_498
; %bb.495:
	s_wait_loadcnt 0x0
	global_load_b64 v[2:3], v[0:1], off
	s_mov_b32 s1, 0
	s_wait_loadcnt 0x0
	v_cvt_f64_i32_e32 v[4:5], v3
	v_cvt_f64_u32_e32 v[2:3], v2
	s_delay_alu instid0(VALU_DEP_2) | instskip(NEXT) | instid1(VALU_DEP_1)
	v_ldexp_f64 v[4:5], v[4:5], 32
	v_add_f64_e32 v[2:3], v[4:5], v[2:3]
	s_branch .LBB38_499
.LBB38_496:
	s_mov_b32 s1, -1
                                        ; implicit-def: $vgpr2_vgpr3
	s_branch .LBB38_505
.LBB38_497:
	s_mov_b32 s1, -1
                                        ; implicit-def: $vgpr2_vgpr3
	s_branch .LBB38_502
.LBB38_498:
	s_mov_b32 s1, -1
                                        ; implicit-def: $vgpr2_vgpr3
.LBB38_499:
	s_delay_alu instid0(SALU_CYCLE_1)
	s_and_not1_b32 vcc_lo, exec_lo, s1
	s_cbranch_vccnz .LBB38_501
; %bb.500:
	s_wait_loadcnt 0x0
	global_load_b32 v2, v[0:1], off
	s_wait_loadcnt 0x0
	v_cvt_f64_i32_e32 v[2:3], v2
.LBB38_501:
	s_mov_b32 s1, 0
.LBB38_502:
	s_delay_alu instid0(SALU_CYCLE_1)
	s_and_not1_b32 vcc_lo, exec_lo, s1
	s_cbranch_vccnz .LBB38_504
; %bb.503:
	s_wait_loadcnt 0x0
	global_load_i16 v2, v[0:1], off
	s_wait_loadcnt 0x0
	v_cvt_f64_i32_e32 v[2:3], v2
.LBB38_504:
	s_mov_b32 s1, 0
.LBB38_505:
	s_delay_alu instid0(SALU_CYCLE_1)
	s_and_not1_b32 vcc_lo, exec_lo, s1
	s_cbranch_vccnz .LBB38_511
; %bb.506:
	s_cmp_gt_i32 s0, 0
	s_mov_b32 s0, 0
	s_cbranch_scc0 .LBB38_508
; %bb.507:
	s_wait_loadcnt 0x0
	global_load_i8 v2, v[0:1], off
	s_wait_loadcnt 0x0
	v_cvt_f64_i32_e32 v[2:3], v2
	s_branch .LBB38_509
.LBB38_508:
	s_mov_b32 s0, -1
                                        ; implicit-def: $vgpr2_vgpr3
.LBB38_509:
	s_delay_alu instid0(SALU_CYCLE_1)
	s_and_not1_b32 vcc_lo, exec_lo, s0
	s_cbranch_vccnz .LBB38_511
; %bb.510:
	global_load_u8 v0, v[0:1], off
	s_wait_loadcnt 0x0
	v_cvt_f64_u32_e32 v[2:3], v0
.LBB38_511:
	s_branch .LBB38_266
.LBB38_512:
	s_mov_b32 s0, 0
	s_mov_b32 s1, s12
.LBB38_513:
                                        ; implicit-def: $vgpr10
.LBB38_514:
	s_and_not1_b32 s17, s12, exec_lo
	s_and_b32 s1, s1, exec_lo
	s_and_not1_b32 s19, s14, exec_lo
	s_and_b32 s16, s16, exec_lo
	s_or_b32 s17, s17, s1
	s_or_b32 s16, s19, s16
	s_or_not1_b32 s0, s0, exec_lo
.LBB38_515:
	s_wait_xcnt 0x0
	s_or_b32 exec_lo, exec_lo, s18
	s_mov_b32 s1, 0
	s_mov_b32 s19, 0
	;; [unrolled: 1-line block ×3, first 2 shown]
                                        ; implicit-def: $vgpr0_vgpr1
                                        ; implicit-def: $vgpr2_vgpr3
	s_and_saveexec_b32 s18, s0
	s_cbranch_execz .LBB38_862
; %bb.516:
	s_mov_b32 s20, -1
	s_mov_b32 s0, s16
	s_mov_b32 s1, s17
	s_mov_b32 s19, exec_lo
	v_cmpx_gt_i32_e64 s13, v10
	s_cbranch_execz .LBB38_776
; %bb.517:
	v_mul_lo_u32 v0, v10, s3
	s_and_b32 s0, 0xffff, s10
	s_delay_alu instid0(SALU_CYCLE_1) | instskip(NEXT) | instid1(VALU_DEP_1)
	s_cmp_lt_i32 s0, 11
	v_ashrrev_i32_e32 v1, 31, v0
	s_delay_alu instid0(VALU_DEP_1)
	v_add_nc_u64_e32 v[0:1], s[6:7], v[0:1]
	s_cbranch_scc1 .LBB38_524
; %bb.518:
	s_cmp_gt_i32 s0, 25
	s_cbranch_scc0 .LBB38_525
; %bb.519:
	s_cmp_gt_i32 s0, 28
	s_cbranch_scc0 .LBB38_526
	;; [unrolled: 3-line block ×4, first 2 shown]
; %bb.522:
	s_cmp_eq_u32 s0, 46
	s_mov_b32 s21, 0
	s_cbranch_scc0 .LBB38_533
; %bb.523:
	s_wait_loadcnt 0x0
	global_load_b32 v2, v[0:1], off
	s_mov_b32 s1, -1
	s_mov_b32 s20, 0
	s_wait_loadcnt 0x0
	v_lshlrev_b32_e32 v2, 16, v2
	s_delay_alu instid0(VALU_DEP_1)
	v_cvt_f64_f32_e32 v[2:3], v2
	s_branch .LBB38_535
.LBB38_524:
	s_mov_b32 s21, -1
	s_mov_b32 s1, 0
	s_mov_b32 s20, s16
                                        ; implicit-def: $vgpr2_vgpr3
	s_branch .LBB38_600
.LBB38_525:
	s_mov_b32 s21, -1
	s_mov_b32 s1, 0
	s_mov_b32 s20, s16
                                        ; implicit-def: $vgpr2_vgpr3
	s_branch .LBB38_564
.LBB38_526:
	s_mov_b32 s21, -1
	s_mov_b32 s1, 0
	s_mov_b32 s20, s16
                                        ; implicit-def: $vgpr2_vgpr3
	s_branch .LBB38_545
.LBB38_527:
	s_mov_b32 s21, -1
	s_mov_b32 s1, 0
	s_mov_b32 s20, s16
                                        ; implicit-def: $vgpr2_vgpr3
	s_branch .LBB38_540
.LBB38_528:
	s_and_not1_saveexec_b32 s22, s22
	s_cbranch_execz .LBB38_312
.LBB38_529:
	v_add_f32_e32 v2, 0x46000000, v3
	s_and_not1_b32 s21, s21, exec_lo
	s_delay_alu instid0(VALU_DEP_1) | instskip(NEXT) | instid1(VALU_DEP_1)
	v_and_b32_e32 v2, 0xff, v2
	v_cmp_ne_u32_e32 vcc_lo, 0, v2
	s_and_b32 s23, vcc_lo, exec_lo
	s_delay_alu instid0(SALU_CYCLE_1)
	s_or_b32 s21, s21, s23
	s_or_b32 exec_lo, exec_lo, s22
	v_mov_b32_e32 v4, 0
	s_and_saveexec_b32 s22, s21
	s_cbranch_execnz .LBB38_313
	s_branch .LBB38_314
.LBB38_530:
	s_mov_b32 s21, -1
	s_mov_b32 s1, 0
	s_mov_b32 s20, s16
	s_branch .LBB38_534
.LBB38_531:
	s_and_not1_saveexec_b32 s22, s22
	s_cbranch_execz .LBB38_325
.LBB38_532:
	v_add_f32_e32 v2, 0x42800000, v3
	s_and_not1_b32 s21, s21, exec_lo
	s_delay_alu instid0(VALU_DEP_1) | instskip(NEXT) | instid1(VALU_DEP_1)
	v_and_b32_e32 v2, 0xff, v2
	v_cmp_ne_u32_e32 vcc_lo, 0, v2
	s_and_b32 s23, vcc_lo, exec_lo
	s_delay_alu instid0(SALU_CYCLE_1)
	s_or_b32 s21, s21, s23
	s_or_b32 exec_lo, exec_lo, s22
	v_mov_b32_e32 v4, 0
	s_and_saveexec_b32 s22, s21
	s_cbranch_execnz .LBB38_326
	s_branch .LBB38_327
.LBB38_533:
	s_mov_b32 s1, 0
.LBB38_534:
                                        ; implicit-def: $vgpr2_vgpr3
.LBB38_535:
	s_and_b32 vcc_lo, exec_lo, s21
	s_cbranch_vccz .LBB38_539
; %bb.536:
	s_cmp_eq_u32 s0, 44
	s_cbranch_scc0 .LBB38_538
; %bb.537:
	global_load_u8 v4, v[0:1], off
	s_mov_b32 s20, 0
	s_mov_b32 s1, -1
	s_wait_loadcnt 0x0
	v_cmp_ne_u32_e32 vcc_lo, 0xff, v4
	v_lshlrev_b32_e32 v2, 23, v4
	s_delay_alu instid0(VALU_DEP_1) | instskip(NEXT) | instid1(VALU_DEP_1)
	v_cvt_f64_f32_e32 v[2:3], v2
	v_cndmask_b32_e32 v2, 0x20000000, v2, vcc_lo
	s_delay_alu instid0(VALU_DEP_2) | instskip(SKIP_1) | instid1(VALU_DEP_2)
	v_cndmask_b32_e32 v3, 0x7ff80000, v3, vcc_lo
	v_cmp_ne_u32_e32 vcc_lo, 0, v4
	v_cndmask_b32_e32 v3, 0x38000000, v3, vcc_lo
	s_delay_alu instid0(VALU_DEP_4)
	v_cndmask_b32_e32 v2, 0, v2, vcc_lo
	s_branch .LBB38_539
.LBB38_538:
	s_mov_b32 s20, -1
                                        ; implicit-def: $vgpr2_vgpr3
.LBB38_539:
	s_mov_b32 s21, 0
.LBB38_540:
	s_delay_alu instid0(SALU_CYCLE_1)
	s_and_b32 vcc_lo, exec_lo, s21
	s_cbranch_vccz .LBB38_544
; %bb.541:
	s_cmp_eq_u32 s0, 29
	s_cbranch_scc0 .LBB38_543
; %bb.542:
	s_wait_loadcnt 0x0
	global_load_b64 v[2:3], v[0:1], off
	s_mov_b32 s1, -1
	s_mov_b32 s20, 0
	s_mov_b32 s21, 0
	s_wait_loadcnt 0x0
	v_cvt_f64_u32_e32 v[4:5], v3
	v_cvt_f64_u32_e32 v[2:3], v2
	s_delay_alu instid0(VALU_DEP_2) | instskip(NEXT) | instid1(VALU_DEP_1)
	v_ldexp_f64 v[4:5], v[4:5], 32
	v_add_f64_e32 v[2:3], v[4:5], v[2:3]
	s_branch .LBB38_545
.LBB38_543:
	s_mov_b32 s20, -1
                                        ; implicit-def: $vgpr2_vgpr3
.LBB38_544:
	s_mov_b32 s21, 0
.LBB38_545:
	s_delay_alu instid0(SALU_CYCLE_1)
	s_and_b32 vcc_lo, exec_lo, s21
	s_cbranch_vccz .LBB38_563
; %bb.546:
	s_cmp_lt_i32 s0, 27
	s_cbranch_scc1 .LBB38_549
; %bb.547:
	s_cmp_gt_i32 s0, 27
	s_cbranch_scc0 .LBB38_550
; %bb.548:
	s_wait_loadcnt 0x0
	global_load_b32 v2, v[0:1], off
	s_mov_b32 s1, 0
	s_wait_loadcnt 0x0
	v_cvt_f64_u32_e32 v[2:3], v2
	s_branch .LBB38_551
.LBB38_549:
	s_mov_b32 s1, -1
                                        ; implicit-def: $vgpr2_vgpr3
	s_branch .LBB38_554
.LBB38_550:
	s_mov_b32 s1, -1
                                        ; implicit-def: $vgpr2_vgpr3
.LBB38_551:
	s_delay_alu instid0(SALU_CYCLE_1)
	s_and_not1_b32 vcc_lo, exec_lo, s1
	s_cbranch_vccnz .LBB38_553
; %bb.552:
	s_wait_loadcnt 0x0
	global_load_u16 v2, v[0:1], off
	s_wait_loadcnt 0x0
	v_cvt_f64_u32_e32 v[2:3], v2
.LBB38_553:
	s_mov_b32 s1, 0
.LBB38_554:
	s_delay_alu instid0(SALU_CYCLE_1)
	s_and_not1_b32 vcc_lo, exec_lo, s1
	s_cbranch_vccnz .LBB38_562
; %bb.555:
	global_load_u8 v4, v[0:1], off
	s_mov_b32 s1, 0
	s_mov_b32 s21, exec_lo
	s_wait_loadcnt 0x0
	v_cmpx_lt_i16_e32 0x7f, v4
	s_xor_b32 s21, exec_lo, s21
	s_cbranch_execz .LBB38_576
; %bb.556:
	s_mov_b32 s1, -1
	s_mov_b32 s22, exec_lo
	v_cmpx_eq_u16_e32 0x80, v4
; %bb.557:
	s_xor_b32 s1, exec_lo, -1
; %bb.558:
	s_or_b32 exec_lo, exec_lo, s22
	s_delay_alu instid0(SALU_CYCLE_1)
	s_and_b32 s1, s1, exec_lo
	s_or_saveexec_b32 s21, s21
	v_mov_b64_e32 v[2:3], 0x7ff8000020000000
	s_xor_b32 exec_lo, exec_lo, s21
	s_cbranch_execnz .LBB38_577
.LBB38_559:
	s_or_b32 exec_lo, exec_lo, s21
	s_and_saveexec_b32 s21, s1
	s_cbranch_execz .LBB38_561
.LBB38_560:
	v_and_b32_e32 v2, 0xffff, v4
	s_delay_alu instid0(VALU_DEP_1) | instskip(SKIP_1) | instid1(VALU_DEP_2)
	v_and_b32_e32 v3, 7, v2
	v_bfe_u32 v7, v2, 3, 4
	v_clz_i32_u32_e32 v5, v3
	s_delay_alu instid0(VALU_DEP_2) | instskip(NEXT) | instid1(VALU_DEP_2)
	v_cmp_eq_u32_e32 vcc_lo, 0, v7
	v_min_u32_e32 v5, 32, v5
	s_delay_alu instid0(VALU_DEP_1) | instskip(NEXT) | instid1(VALU_DEP_1)
	v_subrev_nc_u32_e32 v6, 28, v5
	v_dual_lshlrev_b32 v2, v6, v2 :: v_dual_sub_nc_u32 v5, 29, v5
	s_delay_alu instid0(VALU_DEP_1) | instskip(NEXT) | instid1(VALU_DEP_2)
	v_dual_lshlrev_b32 v4, 24, v4 :: v_dual_bitop2_b32 v2, 7, v2 bitop3:0x40
	v_cndmask_b32_e32 v5, v7, v5, vcc_lo
	s_delay_alu instid0(VALU_DEP_2) | instskip(NEXT) | instid1(VALU_DEP_3)
	v_cndmask_b32_e32 v2, v3, v2, vcc_lo
	v_and_b32_e32 v3, 0x80000000, v4
	s_delay_alu instid0(VALU_DEP_3) | instskip(NEXT) | instid1(VALU_DEP_3)
	v_lshl_add_u32 v4, v5, 23, 0x3b800000
	v_lshlrev_b32_e32 v2, 20, v2
	s_delay_alu instid0(VALU_DEP_1) | instskip(NEXT) | instid1(VALU_DEP_1)
	v_or3_b32 v2, v3, v4, v2
	v_cvt_f64_f32_e32 v[2:3], v2
.LBB38_561:
	s_or_b32 exec_lo, exec_lo, s21
.LBB38_562:
	s_mov_b32 s1, -1
.LBB38_563:
	s_mov_b32 s21, 0
.LBB38_564:
	s_delay_alu instid0(SALU_CYCLE_1)
	s_and_b32 vcc_lo, exec_lo, s21
	s_cbranch_vccz .LBB38_599
; %bb.565:
	s_cmp_gt_i32 s0, 22
	s_cbranch_scc0 .LBB38_575
; %bb.566:
	s_cmp_lt_i32 s0, 24
	s_cbranch_scc1 .LBB38_578
; %bb.567:
	s_cmp_gt_i32 s0, 24
	s_cbranch_scc0 .LBB38_579
; %bb.568:
	global_load_u8 v4, v[0:1], off
	s_mov_b32 s1, 0
	s_mov_b32 s21, exec_lo
	s_wait_loadcnt 0x0
	v_cmpx_lt_i16_e32 0x7f, v4
	s_xor_b32 s21, exec_lo, s21
	s_cbranch_execz .LBB38_591
; %bb.569:
	s_mov_b32 s1, -1
	s_mov_b32 s22, exec_lo
	v_cmpx_eq_u16_e32 0x80, v4
; %bb.570:
	s_xor_b32 s1, exec_lo, -1
; %bb.571:
	s_or_b32 exec_lo, exec_lo, s22
	s_delay_alu instid0(SALU_CYCLE_1)
	s_and_b32 s1, s1, exec_lo
	s_or_saveexec_b32 s21, s21
	v_mov_b64_e32 v[2:3], 0x7ff8000020000000
	s_xor_b32 exec_lo, exec_lo, s21
	s_cbranch_execnz .LBB38_592
.LBB38_572:
	s_or_b32 exec_lo, exec_lo, s21
	s_and_saveexec_b32 s21, s1
	s_cbranch_execz .LBB38_574
.LBB38_573:
	v_and_b32_e32 v2, 0xffff, v4
	s_delay_alu instid0(VALU_DEP_1) | instskip(SKIP_1) | instid1(VALU_DEP_2)
	v_and_b32_e32 v3, 3, v2
	v_bfe_u32 v7, v2, 2, 5
	v_clz_i32_u32_e32 v5, v3
	s_delay_alu instid0(VALU_DEP_2) | instskip(NEXT) | instid1(VALU_DEP_2)
	v_cmp_eq_u32_e32 vcc_lo, 0, v7
	v_min_u32_e32 v5, 32, v5
	s_delay_alu instid0(VALU_DEP_1) | instskip(NEXT) | instid1(VALU_DEP_1)
	v_subrev_nc_u32_e32 v6, 29, v5
	v_dual_lshlrev_b32 v2, v6, v2 :: v_dual_sub_nc_u32 v5, 30, v5
	s_delay_alu instid0(VALU_DEP_1) | instskip(NEXT) | instid1(VALU_DEP_2)
	v_dual_lshlrev_b32 v4, 24, v4 :: v_dual_bitop2_b32 v2, 3, v2 bitop3:0x40
	v_cndmask_b32_e32 v5, v7, v5, vcc_lo
	s_delay_alu instid0(VALU_DEP_2) | instskip(NEXT) | instid1(VALU_DEP_3)
	v_cndmask_b32_e32 v2, v3, v2, vcc_lo
	v_and_b32_e32 v3, 0x80000000, v4
	s_delay_alu instid0(VALU_DEP_3) | instskip(NEXT) | instid1(VALU_DEP_3)
	v_lshl_add_u32 v4, v5, 23, 0x37800000
	v_lshlrev_b32_e32 v2, 21, v2
	s_delay_alu instid0(VALU_DEP_1) | instskip(NEXT) | instid1(VALU_DEP_1)
	v_or3_b32 v2, v3, v4, v2
	v_cvt_f64_f32_e32 v[2:3], v2
.LBB38_574:
	s_or_b32 exec_lo, exec_lo, s21
	s_mov_b32 s1, 0
	s_branch .LBB38_580
.LBB38_575:
	s_mov_b32 s21, -1
                                        ; implicit-def: $vgpr2_vgpr3
	s_branch .LBB38_586
.LBB38_576:
	s_or_saveexec_b32 s21, s21
	v_mov_b64_e32 v[2:3], 0x7ff8000020000000
	s_xor_b32 exec_lo, exec_lo, s21
	s_cbranch_execz .LBB38_559
.LBB38_577:
	v_cmp_ne_u16_e32 vcc_lo, 0, v4
	v_mov_b64_e32 v[2:3], 0
	s_and_not1_b32 s1, s1, exec_lo
	s_and_b32 s22, vcc_lo, exec_lo
	s_delay_alu instid0(SALU_CYCLE_1)
	s_or_b32 s1, s1, s22
	s_or_b32 exec_lo, exec_lo, s21
	s_and_saveexec_b32 s21, s1
	s_cbranch_execnz .LBB38_560
	s_branch .LBB38_561
.LBB38_578:
	s_mov_b32 s1, -1
                                        ; implicit-def: $vgpr2_vgpr3
	s_branch .LBB38_583
.LBB38_579:
	s_mov_b32 s1, -1
                                        ; implicit-def: $vgpr2_vgpr3
.LBB38_580:
	s_delay_alu instid0(SALU_CYCLE_1)
	s_and_b32 vcc_lo, exec_lo, s1
	s_cbranch_vccz .LBB38_582
; %bb.581:
	s_wait_loadcnt 0x0
	global_load_u8 v2, v[0:1], off
	s_wait_loadcnt 0x0
	v_lshlrev_b32_e32 v2, 24, v2
	s_delay_alu instid0(VALU_DEP_1) | instskip(NEXT) | instid1(VALU_DEP_1)
	v_and_b32_e32 v3, 0x7f000000, v2
	v_clz_i32_u32_e32 v4, v3
	v_cmp_ne_u32_e32 vcc_lo, 0, v3
	v_add_nc_u32_e32 v6, 0x1000000, v3
	s_delay_alu instid0(VALU_DEP_3) | instskip(NEXT) | instid1(VALU_DEP_1)
	v_min_u32_e32 v4, 32, v4
	v_sub_nc_u32_e64 v4, v4, 4 clamp
	s_delay_alu instid0(VALU_DEP_1) | instskip(NEXT) | instid1(VALU_DEP_1)
	v_dual_lshlrev_b32 v5, v4, v3 :: v_dual_lshlrev_b32 v4, 23, v4
	v_lshrrev_b32_e32 v5, 4, v5
	s_delay_alu instid0(VALU_DEP_1) | instskip(NEXT) | instid1(VALU_DEP_1)
	v_dual_sub_nc_u32 v4, v5, v4 :: v_dual_ashrrev_i32 v5, 8, v6
	v_add_nc_u32_e32 v4, 0x3c000000, v4
	s_delay_alu instid0(VALU_DEP_1) | instskip(NEXT) | instid1(VALU_DEP_1)
	v_and_or_b32 v4, 0x7f800000, v5, v4
	v_cndmask_b32_e32 v3, 0, v4, vcc_lo
	s_delay_alu instid0(VALU_DEP_1) | instskip(NEXT) | instid1(VALU_DEP_1)
	v_and_or_b32 v2, 0x80000000, v2, v3
	v_cvt_f64_f32_e32 v[2:3], v2
.LBB38_582:
	s_mov_b32 s1, 0
.LBB38_583:
	s_delay_alu instid0(SALU_CYCLE_1)
	s_and_not1_b32 vcc_lo, exec_lo, s1
	s_cbranch_vccnz .LBB38_585
; %bb.584:
	s_wait_loadcnt 0x0
	global_load_u8 v2, v[0:1], off
	s_wait_loadcnt 0x0
	v_lshlrev_b32_e32 v3, 25, v2
	v_lshlrev_b16 v2, 8, v2
	s_delay_alu instid0(VALU_DEP_1) | instskip(SKIP_1) | instid1(VALU_DEP_2)
	v_and_or_b32 v5, 0x7f00, v2, 0.5
	v_bfe_i32 v2, v2, 0, 16
	v_dual_add_f32 v5, -0.5, v5 :: v_dual_lshrrev_b32 v4, 4, v3
	v_cmp_gt_u32_e32 vcc_lo, 0x8000000, v3
	s_delay_alu instid0(VALU_DEP_2) | instskip(NEXT) | instid1(VALU_DEP_1)
	v_or_b32_e32 v4, 0x70000000, v4
	v_mul_f32_e32 v4, 0x7800000, v4
	s_delay_alu instid0(VALU_DEP_1) | instskip(NEXT) | instid1(VALU_DEP_1)
	v_cndmask_b32_e32 v3, v4, v5, vcc_lo
	v_and_or_b32 v2, 0x80000000, v2, v3
	s_delay_alu instid0(VALU_DEP_1)
	v_cvt_f64_f32_e32 v[2:3], v2
.LBB38_585:
	s_mov_b32 s21, 0
	s_mov_b32 s1, -1
.LBB38_586:
	s_and_not1_b32 vcc_lo, exec_lo, s21
	s_cbranch_vccnz .LBB38_599
; %bb.587:
	s_cmp_gt_i32 s0, 14
	s_cbranch_scc0 .LBB38_590
; %bb.588:
	s_cmp_eq_u32 s0, 15
	s_cbranch_scc0 .LBB38_593
; %bb.589:
	s_wait_loadcnt 0x0
	global_load_u16 v2, v[0:1], off
	s_mov_b32 s1, -1
	s_mov_b32 s20, 0
	s_wait_loadcnt 0x0
	v_lshlrev_b32_e32 v2, 16, v2
	s_delay_alu instid0(VALU_DEP_1)
	v_cvt_f64_f32_e32 v[2:3], v2
	s_branch .LBB38_594
.LBB38_590:
	s_mov_b32 s21, -1
                                        ; implicit-def: $vgpr2_vgpr3
	s_branch .LBB38_595
.LBB38_591:
	s_or_saveexec_b32 s21, s21
	v_mov_b64_e32 v[2:3], 0x7ff8000020000000
	s_xor_b32 exec_lo, exec_lo, s21
	s_cbranch_execz .LBB38_572
.LBB38_592:
	v_cmp_ne_u16_e32 vcc_lo, 0, v4
	v_mov_b64_e32 v[2:3], 0
	s_and_not1_b32 s1, s1, exec_lo
	s_and_b32 s22, vcc_lo, exec_lo
	s_delay_alu instid0(SALU_CYCLE_1)
	s_or_b32 s1, s1, s22
	s_or_b32 exec_lo, exec_lo, s21
	s_and_saveexec_b32 s21, s1
	s_cbranch_execnz .LBB38_573
	s_branch .LBB38_574
.LBB38_593:
	s_mov_b32 s20, -1
                                        ; implicit-def: $vgpr2_vgpr3
.LBB38_594:
	s_mov_b32 s21, 0
.LBB38_595:
	s_delay_alu instid0(SALU_CYCLE_1)
	s_and_b32 vcc_lo, exec_lo, s21
	s_cbranch_vccz .LBB38_599
; %bb.596:
	s_cmp_eq_u32 s0, 11
	s_cbranch_scc0 .LBB38_598
; %bb.597:
	s_wait_loadcnt 0x0
	global_load_u8 v2, v[0:1], off
	s_mov_b32 s20, 0
	s_mov_b32 s1, -1
	s_wait_loadcnt 0x0
	v_cmp_ne_u16_e32 vcc_lo, 0, v2
	v_mov_b32_e32 v2, 0
	v_cndmask_b32_e64 v3, 0, 0x3ff00000, vcc_lo
	s_branch .LBB38_599
.LBB38_598:
	s_mov_b32 s20, -1
                                        ; implicit-def: $vgpr2_vgpr3
.LBB38_599:
	s_mov_b32 s21, 0
.LBB38_600:
	s_delay_alu instid0(SALU_CYCLE_1)
	s_and_b32 vcc_lo, exec_lo, s21
	s_cbranch_vccz .LBB38_649
; %bb.601:
	s_cmp_lt_i32 s0, 5
	s_cbranch_scc1 .LBB38_606
; %bb.602:
	s_cmp_lt_i32 s0, 8
	s_cbranch_scc1 .LBB38_607
	;; [unrolled: 3-line block ×3, first 2 shown]
; %bb.604:
	s_cmp_gt_i32 s0, 9
	s_cbranch_scc0 .LBB38_609
; %bb.605:
	s_wait_loadcnt 0x0
	global_load_b64 v[2:3], v[0:1], off
	s_mov_b32 s1, 0
	s_branch .LBB38_610
.LBB38_606:
	s_mov_b32 s1, -1
                                        ; implicit-def: $vgpr2_vgpr3
	s_branch .LBB38_628
.LBB38_607:
	s_mov_b32 s1, -1
                                        ; implicit-def: $vgpr2_vgpr3
	s_branch .LBB38_616
.LBB38_608:
	s_mov_b32 s1, -1
                                        ; implicit-def: $vgpr2_vgpr3
	s_branch .LBB38_613
.LBB38_609:
	s_mov_b32 s1, -1
                                        ; implicit-def: $vgpr2_vgpr3
.LBB38_610:
	s_delay_alu instid0(SALU_CYCLE_1)
	s_and_not1_b32 vcc_lo, exec_lo, s1
	s_cbranch_vccnz .LBB38_612
; %bb.611:
	s_wait_loadcnt 0x0
	global_load_b32 v2, v[0:1], off
	s_wait_loadcnt 0x0
	v_cvt_f64_f32_e32 v[2:3], v2
.LBB38_612:
	s_mov_b32 s1, 0
.LBB38_613:
	s_delay_alu instid0(SALU_CYCLE_1)
	s_and_not1_b32 vcc_lo, exec_lo, s1
	s_cbranch_vccnz .LBB38_615
; %bb.614:
	s_wait_loadcnt 0x0
	global_load_b32 v2, v[0:1], off
	s_wait_loadcnt 0x0
	v_cvt_f32_f16_e32 v2, v2
	s_delay_alu instid0(VALU_DEP_1)
	v_cvt_f64_f32_e32 v[2:3], v2
.LBB38_615:
	s_mov_b32 s1, 0
.LBB38_616:
	s_delay_alu instid0(SALU_CYCLE_1)
	s_and_not1_b32 vcc_lo, exec_lo, s1
	s_cbranch_vccnz .LBB38_627
; %bb.617:
	s_cmp_lt_i32 s0, 6
	s_cbranch_scc1 .LBB38_620
; %bb.618:
	s_cmp_gt_i32 s0, 6
	s_cbranch_scc0 .LBB38_621
; %bb.619:
	s_wait_loadcnt 0x0
	global_load_b64 v[2:3], v[0:1], off
	s_mov_b32 s1, 0
	s_branch .LBB38_622
.LBB38_620:
	s_mov_b32 s1, -1
                                        ; implicit-def: $vgpr2_vgpr3
	s_branch .LBB38_625
.LBB38_621:
	s_mov_b32 s1, -1
                                        ; implicit-def: $vgpr2_vgpr3
.LBB38_622:
	s_delay_alu instid0(SALU_CYCLE_1)
	s_and_not1_b32 vcc_lo, exec_lo, s1
	s_cbranch_vccnz .LBB38_624
; %bb.623:
	s_wait_loadcnt 0x0
	global_load_b32 v2, v[0:1], off
	s_wait_loadcnt 0x0
	v_cvt_f64_f32_e32 v[2:3], v2
.LBB38_624:
	s_mov_b32 s1, 0
.LBB38_625:
	s_delay_alu instid0(SALU_CYCLE_1)
	s_and_not1_b32 vcc_lo, exec_lo, s1
	s_cbranch_vccnz .LBB38_627
; %bb.626:
	s_wait_loadcnt 0x0
	global_load_u16 v2, v[0:1], off
	s_wait_loadcnt 0x0
	v_cvt_f32_f16_e32 v2, v2
	s_delay_alu instid0(VALU_DEP_1)
	v_cvt_f64_f32_e32 v[2:3], v2
.LBB38_627:
	s_mov_b32 s1, 0
.LBB38_628:
	s_delay_alu instid0(SALU_CYCLE_1)
	s_and_not1_b32 vcc_lo, exec_lo, s1
	s_cbranch_vccnz .LBB38_648
; %bb.629:
	s_cmp_lt_i32 s0, 2
	s_cbranch_scc1 .LBB38_633
; %bb.630:
	s_cmp_lt_i32 s0, 3
	s_cbranch_scc1 .LBB38_634
; %bb.631:
	s_cmp_gt_i32 s0, 3
	s_cbranch_scc0 .LBB38_635
; %bb.632:
	s_wait_loadcnt 0x0
	global_load_b64 v[2:3], v[0:1], off
	s_mov_b32 s1, 0
	s_wait_loadcnt 0x0
	v_cvt_f64_i32_e32 v[4:5], v3
	v_cvt_f64_u32_e32 v[2:3], v2
	s_delay_alu instid0(VALU_DEP_2) | instskip(NEXT) | instid1(VALU_DEP_1)
	v_ldexp_f64 v[4:5], v[4:5], 32
	v_add_f64_e32 v[2:3], v[4:5], v[2:3]
	s_branch .LBB38_636
.LBB38_633:
	s_mov_b32 s1, -1
                                        ; implicit-def: $vgpr2_vgpr3
	s_branch .LBB38_642
.LBB38_634:
	s_mov_b32 s1, -1
                                        ; implicit-def: $vgpr2_vgpr3
	s_branch .LBB38_639
.LBB38_635:
	s_mov_b32 s1, -1
                                        ; implicit-def: $vgpr2_vgpr3
.LBB38_636:
	s_delay_alu instid0(SALU_CYCLE_1)
	s_and_not1_b32 vcc_lo, exec_lo, s1
	s_cbranch_vccnz .LBB38_638
; %bb.637:
	s_wait_loadcnt 0x0
	global_load_b32 v2, v[0:1], off
	s_wait_loadcnt 0x0
	v_cvt_f64_i32_e32 v[2:3], v2
.LBB38_638:
	s_mov_b32 s1, 0
.LBB38_639:
	s_delay_alu instid0(SALU_CYCLE_1)
	s_and_not1_b32 vcc_lo, exec_lo, s1
	s_cbranch_vccnz .LBB38_641
; %bb.640:
	s_wait_loadcnt 0x0
	global_load_i16 v2, v[0:1], off
	s_wait_loadcnt 0x0
	v_cvt_f64_i32_e32 v[2:3], v2
.LBB38_641:
	s_mov_b32 s1, 0
.LBB38_642:
	s_delay_alu instid0(SALU_CYCLE_1)
	s_and_not1_b32 vcc_lo, exec_lo, s1
	s_cbranch_vccnz .LBB38_648
; %bb.643:
	s_cmp_gt_i32 s0, 0
	s_mov_b32 s0, 0
	s_cbranch_scc0 .LBB38_645
; %bb.644:
	s_wait_loadcnt 0x0
	global_load_i8 v2, v[0:1], off
	s_wait_loadcnt 0x0
	v_cvt_f64_i32_e32 v[2:3], v2
	s_branch .LBB38_646
.LBB38_645:
	s_mov_b32 s0, -1
                                        ; implicit-def: $vgpr2_vgpr3
.LBB38_646:
	s_delay_alu instid0(SALU_CYCLE_1)
	s_and_not1_b32 vcc_lo, exec_lo, s0
	s_cbranch_vccnz .LBB38_648
; %bb.647:
	global_load_u8 v0, v[0:1], off
	s_wait_loadcnt 0x0
	v_cvt_f64_u32_e32 v[2:3], v0
.LBB38_648:
	s_mov_b32 s1, -1
.LBB38_649:
	s_delay_alu instid0(SALU_CYCLE_1)
	s_and_not1_b32 vcc_lo, exec_lo, s1
	s_cbranch_vccnz .LBB38_657
; %bb.650:
	s_wait_loadcnt 0x0
	s_delay_alu instid0(VALU_DEP_1) | instskip(SKIP_3) | instid1(SALU_CYCLE_1)
	v_cmp_eq_f64_e64 s0, 0x7ff00000, v[2:3]
	s_wait_xcnt 0x0
	v_mul_lo_u32 v0, v10, s2
	s_and_b32 s21, s8, 0xff
	s_cmp_lt_i32 s21, 11
	s_delay_alu instid0(VALU_DEP_1) | instskip(NEXT) | instid1(VALU_DEP_1)
	v_ashrrev_i32_e32 v1, 31, v0
	v_add_nc_u64_e32 v[0:1], s[4:5], v[0:1]
	s_cbranch_scc1 .LBB38_658
; %bb.651:
	s_and_b32 s22, 0xffff, s21
	s_delay_alu instid0(SALU_CYCLE_1)
	s_cmp_gt_i32 s22, 25
	s_cbranch_scc0 .LBB38_659
; %bb.652:
	s_cmp_gt_i32 s22, 28
	s_cbranch_scc0 .LBB38_660
; %bb.653:
	;; [unrolled: 3-line block ×4, first 2 shown]
	s_mov_b32 s24, 0
	s_mov_b32 s1, -1
	s_cmp_eq_u32 s22, 46
	s_mov_b32 s23, 0
	s_cbranch_scc0 .LBB38_663
; %bb.656:
	v_cndmask_b32_e64 v2, 0, 1.0, s0
	s_mov_b32 s23, -1
	s_mov_b32 s1, 0
	s_delay_alu instid0(VALU_DEP_1) | instskip(NEXT) | instid1(VALU_DEP_1)
	v_bfe_u32 v3, v2, 16, 1
	v_add3_u32 v2, v2, v3, 0x7fff
	s_delay_alu instid0(VALU_DEP_1)
	v_lshrrev_b32_e32 v2, 16, v2
	global_store_b32 v[0:1], v2, off
	s_branch .LBB38_663
.LBB38_657:
	s_mov_b32 s21, 0
	s_mov_b32 s1, s17
	s_branch .LBB38_774
.LBB38_658:
	s_mov_b32 s22, -1
	s_mov_b32 s23, 0
	s_mov_b32 s1, s17
	s_branch .LBB38_732
.LBB38_659:
	s_mov_b32 s24, -1
	s_mov_b32 s23, 0
	s_mov_b32 s1, s17
	s_branch .LBB38_690
.LBB38_660:
	s_mov_b32 s24, -1
	s_mov_b32 s23, 0
	s_mov_b32 s1, s17
	s_branch .LBB38_673
.LBB38_661:
	s_mov_b32 s24, -1
	s_mov_b32 s23, 0
	s_mov_b32 s1, s17
	s_branch .LBB38_669
.LBB38_662:
	s_mov_b32 s24, -1
	s_mov_b32 s23, 0
	s_mov_b32 s1, s17
.LBB38_663:
	s_and_b32 vcc_lo, exec_lo, s24
	s_cbranch_vccz .LBB38_668
; %bb.664:
	s_cmp_eq_u32 s22, 44
	s_mov_b32 s1, -1
	s_cbranch_scc0 .LBB38_668
; %bb.665:
	v_cndmask_b32_e64 v4, 0, 1.0, s0
	s_mov_b32 s23, exec_lo
	s_wait_xcnt 0x0
	s_delay_alu instid0(VALU_DEP_1) | instskip(NEXT) | instid1(VALU_DEP_1)
	v_dual_mov_b32 v3, 0xff :: v_dual_lshrrev_b32 v2, 23, v4
	v_cmpx_ne_u32_e32 0xff, v2
; %bb.666:
	v_and_b32_e32 v3, 0x400000, v4
	v_and_or_b32 v4, 0x3fffff, v4, v2
	s_delay_alu instid0(VALU_DEP_2) | instskip(NEXT) | instid1(VALU_DEP_2)
	v_cmp_ne_u32_e32 vcc_lo, 0, v3
	v_cmp_ne_u32_e64 s1, 0, v4
	s_and_b32 s1, vcc_lo, s1
	s_delay_alu instid0(SALU_CYCLE_1) | instskip(NEXT) | instid1(VALU_DEP_1)
	v_cndmask_b32_e64 v3, 0, 1, s1
	v_add_nc_u32_e32 v3, v2, v3
; %bb.667:
	s_or_b32 exec_lo, exec_lo, s23
	s_mov_b32 s23, -1
	s_mov_b32 s1, 0
	global_store_b8 v[0:1], v3, off
.LBB38_668:
	s_mov_b32 s24, 0
.LBB38_669:
	s_delay_alu instid0(SALU_CYCLE_1)
	s_and_b32 vcc_lo, exec_lo, s24
	s_cbranch_vccz .LBB38_672
; %bb.670:
	s_cmp_eq_u32 s22, 29
	s_mov_b32 s1, -1
	s_cbranch_scc0 .LBB38_672
; %bb.671:
	s_mov_b32 s1, 0
	s_wait_xcnt 0x0
	v_cndmask_b32_e64 v2, 0, 1, s0
	v_mov_b32_e32 v3, s1
	s_mov_b32 s23, -1
	s_mov_b32 s24, 0
	global_store_b64 v[0:1], v[2:3], off
	s_branch .LBB38_673
.LBB38_672:
	s_mov_b32 s24, 0
.LBB38_673:
	s_delay_alu instid0(SALU_CYCLE_1)
	s_and_b32 vcc_lo, exec_lo, s24
	s_cbranch_vccz .LBB38_689
; %bb.674:
	s_cmp_lt_i32 s22, 27
	s_mov_b32 s23, -1
	s_cbranch_scc1 .LBB38_680
; %bb.675:
	s_cmp_gt_i32 s22, 27
	s_cbranch_scc0 .LBB38_677
; %bb.676:
	s_wait_xcnt 0x0
	v_cndmask_b32_e64 v2, 0, 1, s0
	s_mov_b32 s23, 0
	global_store_b32 v[0:1], v2, off
.LBB38_677:
	s_and_not1_b32 vcc_lo, exec_lo, s23
	s_cbranch_vccnz .LBB38_679
; %bb.678:
	s_wait_xcnt 0x0
	v_cndmask_b32_e64 v2, 0, 1, s0
	global_store_b16 v[0:1], v2, off
.LBB38_679:
	s_mov_b32 s23, 0
.LBB38_680:
	s_delay_alu instid0(SALU_CYCLE_1)
	s_and_not1_b32 vcc_lo, exec_lo, s23
	s_cbranch_vccnz .LBB38_688
; %bb.681:
	s_wait_xcnt 0x0
	v_cndmask_b32_e64 v3, 0, 1.0, s0
	v_mov_b32_e32 v4, 0x80
	s_mov_b32 s23, exec_lo
	s_delay_alu instid0(VALU_DEP_2)
	v_cmpx_gt_u32_e32 0x43800000, v3
	s_cbranch_execz .LBB38_687
; %bb.682:
	s_mov_b32 s24, 0
	s_mov_b32 s25, exec_lo
                                        ; implicit-def: $vgpr2
	v_cmpx_lt_u32_e32 0x3bffffff, v3
	s_xor_b32 s25, exec_lo, s25
	s_cbranch_execz .LBB38_789
; %bb.683:
	v_bfe_u32 v2, v3, 20, 1
	s_mov_b32 s24, exec_lo
	s_delay_alu instid0(VALU_DEP_1) | instskip(NEXT) | instid1(VALU_DEP_1)
	v_add3_u32 v2, v3, v2, 0x487ffff
                                        ; implicit-def: $vgpr3
	v_lshrrev_b32_e32 v2, 20, v2
	s_and_not1_saveexec_b32 s25, s25
	s_cbranch_execnz .LBB38_790
.LBB38_684:
	s_or_b32 exec_lo, exec_lo, s25
	v_mov_b32_e32 v4, 0
	s_and_saveexec_b32 s25, s24
.LBB38_685:
	v_mov_b32_e32 v4, v2
.LBB38_686:
	s_or_b32 exec_lo, exec_lo, s25
.LBB38_687:
	s_delay_alu instid0(SALU_CYCLE_1)
	s_or_b32 exec_lo, exec_lo, s23
	global_store_b8 v[0:1], v4, off
.LBB38_688:
	s_mov_b32 s23, -1
.LBB38_689:
	s_mov_b32 s24, 0
.LBB38_690:
	s_delay_alu instid0(SALU_CYCLE_1)
	s_and_b32 vcc_lo, exec_lo, s24
	s_cbranch_vccz .LBB38_731
; %bb.691:
	s_cmp_gt_i32 s22, 22
	s_mov_b32 s24, -1
	s_cbranch_scc0 .LBB38_723
; %bb.692:
	s_cmp_lt_i32 s22, 24
	s_mov_b32 s23, -1
	s_cbranch_scc1 .LBB38_712
; %bb.693:
	s_cmp_gt_i32 s22, 24
	s_cbranch_scc0 .LBB38_701
; %bb.694:
	s_wait_xcnt 0x0
	v_cndmask_b32_e64 v3, 0, 1.0, s0
	v_mov_b32_e32 v4, 0x80
	s_mov_b32 s23, exec_lo
	s_delay_alu instid0(VALU_DEP_2)
	v_cmpx_gt_u32_e32 0x47800000, v3
	s_cbranch_execz .LBB38_700
; %bb.695:
	s_mov_b32 s24, 0
	s_mov_b32 s25, exec_lo
                                        ; implicit-def: $vgpr2
	v_cmpx_lt_u32_e32 0x37ffffff, v3
	s_xor_b32 s25, exec_lo, s25
	s_cbranch_execz .LBB38_792
; %bb.696:
	v_bfe_u32 v2, v3, 21, 1
	s_mov_b32 s24, exec_lo
	s_delay_alu instid0(VALU_DEP_1) | instskip(NEXT) | instid1(VALU_DEP_1)
	v_add3_u32 v2, v3, v2, 0x88fffff
                                        ; implicit-def: $vgpr3
	v_lshrrev_b32_e32 v2, 21, v2
	s_and_not1_saveexec_b32 s25, s25
	s_cbranch_execnz .LBB38_793
.LBB38_697:
	s_or_b32 exec_lo, exec_lo, s25
	v_mov_b32_e32 v4, 0
	s_and_saveexec_b32 s25, s24
.LBB38_698:
	v_mov_b32_e32 v4, v2
.LBB38_699:
	s_or_b32 exec_lo, exec_lo, s25
.LBB38_700:
	s_delay_alu instid0(SALU_CYCLE_1)
	s_or_b32 exec_lo, exec_lo, s23
	s_mov_b32 s23, 0
	global_store_b8 v[0:1], v4, off
.LBB38_701:
	s_and_b32 vcc_lo, exec_lo, s23
	s_cbranch_vccz .LBB38_711
; %bb.702:
	s_wait_xcnt 0x0
	v_cndmask_b32_e64 v3, 0, 1.0, s0
	s_mov_b32 s23, exec_lo
                                        ; implicit-def: $vgpr2
	s_delay_alu instid0(VALU_DEP_1)
	v_cmpx_gt_u32_e32 0x43f00000, v3
	s_xor_b32 s23, exec_lo, s23
	s_cbranch_execz .LBB38_708
; %bb.703:
	s_mov_b32 s24, exec_lo
                                        ; implicit-def: $vgpr2
	v_cmpx_lt_u32_e32 0x3c7fffff, v3
	s_xor_b32 s24, exec_lo, s24
; %bb.704:
	v_bfe_u32 v2, v3, 20, 1
	s_delay_alu instid0(VALU_DEP_1) | instskip(NEXT) | instid1(VALU_DEP_1)
	v_add3_u32 v2, v3, v2, 0x407ffff
	v_and_b32_e32 v3, 0xff00000, v2
	v_lshrrev_b32_e32 v2, 20, v2
	s_delay_alu instid0(VALU_DEP_2) | instskip(NEXT) | instid1(VALU_DEP_2)
	v_cmp_ne_u32_e32 vcc_lo, 0x7f00000, v3
                                        ; implicit-def: $vgpr3
	v_cndmask_b32_e32 v2, 0x7e, v2, vcc_lo
; %bb.705:
	s_and_not1_saveexec_b32 s24, s24
; %bb.706:
	v_add_f32_e32 v2, 0x46800000, v3
; %bb.707:
	s_or_b32 exec_lo, exec_lo, s24
                                        ; implicit-def: $vgpr3
.LBB38_708:
	s_and_not1_saveexec_b32 s23, s23
; %bb.709:
	v_mov_b32_e32 v2, 0x7f
	v_cmp_lt_u32_e32 vcc_lo, 0x7f800000, v3
	s_delay_alu instid0(VALU_DEP_2)
	v_cndmask_b32_e32 v2, 0x7e, v2, vcc_lo
; %bb.710:
	s_or_b32 exec_lo, exec_lo, s23
	global_store_b8 v[0:1], v2, off
.LBB38_711:
	s_mov_b32 s23, 0
.LBB38_712:
	s_delay_alu instid0(SALU_CYCLE_1)
	s_and_not1_b32 vcc_lo, exec_lo, s23
	s_cbranch_vccnz .LBB38_722
; %bb.713:
	s_wait_xcnt 0x0
	v_cndmask_b32_e64 v3, 0, 1.0, s0
	s_mov_b32 s23, exec_lo
                                        ; implicit-def: $vgpr2
	s_delay_alu instid0(VALU_DEP_1)
	v_cmpx_gt_u32_e32 0x47800000, v3
	s_xor_b32 s23, exec_lo, s23
	s_cbranch_execz .LBB38_719
; %bb.714:
	s_mov_b32 s24, exec_lo
                                        ; implicit-def: $vgpr2
	v_cmpx_lt_u32_e32 0x387fffff, v3
	s_xor_b32 s24, exec_lo, s24
; %bb.715:
	v_bfe_u32 v2, v3, 21, 1
	s_delay_alu instid0(VALU_DEP_1) | instskip(NEXT) | instid1(VALU_DEP_1)
	v_add3_u32 v2, v3, v2, 0x80fffff
                                        ; implicit-def: $vgpr3
	v_lshrrev_b32_e32 v2, 21, v2
; %bb.716:
	s_and_not1_saveexec_b32 s24, s24
; %bb.717:
	v_add_f32_e32 v2, 0x43000000, v3
; %bb.718:
	s_or_b32 exec_lo, exec_lo, s24
                                        ; implicit-def: $vgpr3
.LBB38_719:
	s_and_not1_saveexec_b32 s23, s23
; %bb.720:
	v_mov_b32_e32 v2, 0x7f
	v_cmp_lt_u32_e32 vcc_lo, 0x7f800000, v3
	s_delay_alu instid0(VALU_DEP_2)
	v_cndmask_b32_e32 v2, 0x7c, v2, vcc_lo
; %bb.721:
	s_or_b32 exec_lo, exec_lo, s23
	global_store_b8 v[0:1], v2, off
.LBB38_722:
	s_mov_b32 s24, 0
	s_mov_b32 s23, -1
.LBB38_723:
	s_and_not1_b32 vcc_lo, exec_lo, s24
	s_cbranch_vccnz .LBB38_731
; %bb.724:
	s_cmp_gt_i32 s22, 14
	s_mov_b32 s24, -1
	s_cbranch_scc0 .LBB38_728
; %bb.725:
	s_cmp_eq_u32 s22, 15
	s_mov_b32 s1, -1
	s_cbranch_scc0 .LBB38_727
; %bb.726:
	s_wait_xcnt 0x0
	v_cndmask_b32_e64 v2, 0, 1.0, s0
	s_mov_b32 s23, -1
	s_mov_b32 s1, 0
	s_delay_alu instid0(VALU_DEP_1) | instskip(NEXT) | instid1(VALU_DEP_1)
	v_bfe_u32 v3, v2, 16, 1
	v_add3_u32 v2, v2, v3, 0x7fff
	global_store_d16_hi_b16 v[0:1], v2, off
.LBB38_727:
	s_mov_b32 s24, 0
.LBB38_728:
	s_delay_alu instid0(SALU_CYCLE_1)
	s_and_b32 vcc_lo, exec_lo, s24
	s_cbranch_vccz .LBB38_731
; %bb.729:
	s_cmp_eq_u32 s22, 11
	s_mov_b32 s1, -1
	s_cbranch_scc0 .LBB38_731
; %bb.730:
	s_wait_xcnt 0x0
	v_cndmask_b32_e64 v2, 0, 1, s0
	s_mov_b32 s23, -1
	s_mov_b32 s1, 0
	global_store_b8 v[0:1], v2, off
.LBB38_731:
	s_mov_b32 s22, 0
.LBB38_732:
	s_delay_alu instid0(SALU_CYCLE_1)
	s_and_b32 vcc_lo, exec_lo, s22
	s_cbranch_vccz .LBB38_771
; %bb.733:
	s_and_b32 s21, 0xffff, s21
	s_mov_b32 s22, -1
	s_cmp_lt_i32 s21, 5
	s_cbranch_scc1 .LBB38_754
; %bb.734:
	s_cmp_lt_i32 s21, 8
	s_cbranch_scc1 .LBB38_744
; %bb.735:
	;; [unrolled: 3-line block ×3, first 2 shown]
	s_cmp_gt_i32 s21, 9
	s_cbranch_scc0 .LBB38_738
; %bb.737:
	s_wait_xcnt 0x0
	v_cndmask_b32_e64 v2, 0, 1, s0
	v_mov_b32_e32 v4, 0
	s_mov_b32 s22, 0
	s_delay_alu instid0(VALU_DEP_2) | instskip(NEXT) | instid1(VALU_DEP_2)
	v_cvt_f64_u32_e32 v[2:3], v2
	v_mov_b32_e32 v5, v4
	global_store_b128 v[0:1], v[2:5], off
.LBB38_738:
	s_and_not1_b32 vcc_lo, exec_lo, s22
	s_cbranch_vccnz .LBB38_740
; %bb.739:
	s_wait_xcnt 0x0
	v_cndmask_b32_e64 v2, 0, 1.0, s0
	v_mov_b32_e32 v3, 0
	global_store_b64 v[0:1], v[2:3], off
.LBB38_740:
	s_mov_b32 s22, 0
.LBB38_741:
	s_delay_alu instid0(SALU_CYCLE_1)
	s_and_not1_b32 vcc_lo, exec_lo, s22
	s_cbranch_vccnz .LBB38_743
; %bb.742:
	s_wait_xcnt 0x0
	v_cndmask_b32_e64 v2, 0, 1.0, s0
	s_delay_alu instid0(VALU_DEP_1) | instskip(NEXT) | instid1(VALU_DEP_1)
	v_cvt_f16_f32_e32 v2, v2
	v_and_b32_e32 v2, 0xffff, v2
	global_store_b32 v[0:1], v2, off
.LBB38_743:
	s_mov_b32 s22, 0
.LBB38_744:
	s_delay_alu instid0(SALU_CYCLE_1)
	s_and_not1_b32 vcc_lo, exec_lo, s22
	s_cbranch_vccnz .LBB38_753
; %bb.745:
	s_cmp_lt_i32 s21, 6
	s_mov_b32 s22, -1
	s_cbranch_scc1 .LBB38_751
; %bb.746:
	s_cmp_gt_i32 s21, 6
	s_cbranch_scc0 .LBB38_748
; %bb.747:
	s_wait_xcnt 0x0
	v_cndmask_b32_e64 v2, 0, 1, s0
	s_mov_b32 s22, 0
	s_delay_alu instid0(VALU_DEP_1)
	v_cvt_f64_u32_e32 v[2:3], v2
	global_store_b64 v[0:1], v[2:3], off
.LBB38_748:
	s_and_not1_b32 vcc_lo, exec_lo, s22
	s_cbranch_vccnz .LBB38_750
; %bb.749:
	s_wait_xcnt 0x0
	v_cndmask_b32_e64 v2, 0, 1.0, s0
	global_store_b32 v[0:1], v2, off
.LBB38_750:
	s_mov_b32 s22, 0
.LBB38_751:
	s_delay_alu instid0(SALU_CYCLE_1)
	s_and_not1_b32 vcc_lo, exec_lo, s22
	s_cbranch_vccnz .LBB38_753
; %bb.752:
	s_wait_xcnt 0x0
	v_cndmask_b32_e64 v2, 0, 1.0, s0
	s_delay_alu instid0(VALU_DEP_1)
	v_cvt_f16_f32_e32 v2, v2
	global_store_b16 v[0:1], v2, off
.LBB38_753:
	s_mov_b32 s22, 0
.LBB38_754:
	s_delay_alu instid0(SALU_CYCLE_1)
	s_and_not1_b32 vcc_lo, exec_lo, s22
	s_cbranch_vccnz .LBB38_770
; %bb.755:
	s_cmp_lt_i32 s21, 2
	s_mov_b32 s22, -1
	s_cbranch_scc1 .LBB38_765
; %bb.756:
	s_cmp_lt_i32 s21, 3
	s_cbranch_scc1 .LBB38_762
; %bb.757:
	s_cmp_gt_i32 s21, 3
	s_cbranch_scc0 .LBB38_759
; %bb.758:
	s_mov_b32 s22, 0
	s_wait_xcnt 0x0
	v_cndmask_b32_e64 v2, 0, 1, s0
	v_mov_b32_e32 v3, s22
	global_store_b64 v[0:1], v[2:3], off
.LBB38_759:
	s_and_not1_b32 vcc_lo, exec_lo, s22
	s_cbranch_vccnz .LBB38_761
; %bb.760:
	s_wait_xcnt 0x0
	v_cndmask_b32_e64 v2, 0, 1, s0
	global_store_b32 v[0:1], v2, off
.LBB38_761:
	s_mov_b32 s22, 0
.LBB38_762:
	s_delay_alu instid0(SALU_CYCLE_1)
	s_and_not1_b32 vcc_lo, exec_lo, s22
	s_cbranch_vccnz .LBB38_764
; %bb.763:
	s_wait_xcnt 0x0
	v_cndmask_b32_e64 v2, 0, 1, s0
	global_store_b16 v[0:1], v2, off
.LBB38_764:
	s_mov_b32 s22, 0
.LBB38_765:
	s_delay_alu instid0(SALU_CYCLE_1)
	s_and_not1_b32 vcc_lo, exec_lo, s22
	s_cbranch_vccnz .LBB38_770
; %bb.766:
	s_wait_xcnt 0x0
	v_cndmask_b32_e64 v2, 0, 1, s0
	s_cmp_gt_i32 s21, 0
	s_mov_b32 s0, -1
	s_cbranch_scc0 .LBB38_768
; %bb.767:
	s_mov_b32 s0, 0
	global_store_b8 v[0:1], v2, off
.LBB38_768:
	s_and_not1_b32 vcc_lo, exec_lo, s0
	s_cbranch_vccnz .LBB38_770
; %bb.769:
	global_store_b8 v[0:1], v2, off
.LBB38_770:
	s_mov_b32 s23, -1
.LBB38_771:
	s_delay_alu instid0(SALU_CYCLE_1)
	s_and_not1_b32 vcc_lo, exec_lo, s23
	s_cbranch_vccnz .LBB38_773
; %bb.772:
	v_add_nc_u32_e32 v10, 0x80, v10
	s_mov_b32 s21, -1
	s_branch .LBB38_775
.LBB38_773:
	s_mov_b32 s21, 0
.LBB38_774:
                                        ; implicit-def: $vgpr10
.LBB38_775:
	s_and_not1_b32 s0, s17, exec_lo
	s_and_b32 s1, s1, exec_lo
	s_and_not1_b32 s22, s16, exec_lo
	s_and_b32 s20, s20, exec_lo
	s_or_b32 s1, s0, s1
	s_or_b32 s0, s22, s20
	s_or_not1_b32 s20, s21, exec_lo
.LBB38_776:
	s_wait_xcnt 0x0
	s_or_b32 exec_lo, exec_lo, s19
	s_mov_b32 s21, 0
	s_mov_b32 s22, 0
	;; [unrolled: 1-line block ×3, first 2 shown]
                                        ; implicit-def: $vgpr0_vgpr1
                                        ; implicit-def: $vgpr2_vgpr3
	s_and_saveexec_b32 s19, s20
	s_cbranch_execz .LBB38_861
; %bb.777:
	v_cmp_gt_i32_e32 vcc_lo, s13, v10
	s_mov_b32 s20, 0
	s_mov_b32 s21, s0
	;; [unrolled: 1-line block ×3, first 2 shown]
                                        ; implicit-def: $vgpr0_vgpr1
                                        ; implicit-def: $vgpr2_vgpr3
	s_and_saveexec_b32 s13, vcc_lo
	s_cbranch_execz .LBB38_860
; %bb.778:
	v_mul_lo_u32 v0, v10, s3
	s_and_b32 s20, 0xffff, s10
	s_delay_alu instid0(SALU_CYCLE_1) | instskip(NEXT) | instid1(VALU_DEP_1)
	s_cmp_lt_i32 s20, 11
	v_ashrrev_i32_e32 v1, 31, v0
	s_delay_alu instid0(VALU_DEP_1)
	v_add_nc_u64_e32 v[0:1], s[6:7], v[0:1]
	s_cbranch_scc1 .LBB38_785
; %bb.779:
	s_cmp_gt_i32 s20, 25
	s_cbranch_scc0 .LBB38_786
; %bb.780:
	s_cmp_gt_i32 s20, 28
	s_cbranch_scc0 .LBB38_787
; %bb.781:
	s_cmp_gt_i32 s20, 43
	s_cbranch_scc0 .LBB38_788
; %bb.782:
	s_cmp_gt_i32 s20, 45
	s_cbranch_scc0 .LBB38_791
; %bb.783:
	s_cmp_eq_u32 s20, 46
	s_cbranch_scc0 .LBB38_794
; %bb.784:
	s_wait_loadcnt 0x0
	global_load_b32 v2, v[0:1], off
	s_mov_b32 s21, 0
	s_mov_b32 s23, -1
	s_wait_loadcnt 0x0
	v_lshlrev_b32_e32 v2, 16, v2
	s_delay_alu instid0(VALU_DEP_1)
	v_cvt_f64_f32_e32 v[2:3], v2
	s_branch .LBB38_796
.LBB38_785:
	s_mov_b32 s20, -1
	s_mov_b32 s21, s0
                                        ; implicit-def: $vgpr2_vgpr3
	s_branch .LBB38_859
.LBB38_786:
	s_mov_b32 s24, -1
	s_mov_b32 s21, s0
                                        ; implicit-def: $vgpr2_vgpr3
	s_branch .LBB38_825
.LBB38_787:
	s_mov_b32 s24, -1
	s_mov_b32 s21, s0
                                        ; implicit-def: $vgpr2_vgpr3
	s_branch .LBB38_806
.LBB38_788:
	s_mov_b32 s24, -1
	s_mov_b32 s21, s0
                                        ; implicit-def: $vgpr2_vgpr3
	s_branch .LBB38_801
.LBB38_789:
	s_and_not1_saveexec_b32 s25, s25
	s_cbranch_execz .LBB38_684
.LBB38_790:
	v_add_f32_e32 v2, 0x46000000, v3
	s_and_not1_b32 s24, s24, exec_lo
	s_delay_alu instid0(VALU_DEP_1) | instskip(NEXT) | instid1(VALU_DEP_1)
	v_and_b32_e32 v2, 0xff, v2
	v_cmp_ne_u32_e32 vcc_lo, 0, v2
	s_and_b32 s26, vcc_lo, exec_lo
	s_delay_alu instid0(SALU_CYCLE_1)
	s_or_b32 s24, s24, s26
	s_or_b32 exec_lo, exec_lo, s25
	v_mov_b32_e32 v4, 0
	s_and_saveexec_b32 s25, s24
	s_cbranch_execnz .LBB38_685
	s_branch .LBB38_686
.LBB38_791:
	s_mov_b32 s24, -1
	s_mov_b32 s21, s0
	s_branch .LBB38_795
.LBB38_792:
	s_and_not1_saveexec_b32 s25, s25
	s_cbranch_execz .LBB38_697
.LBB38_793:
	v_add_f32_e32 v2, 0x42800000, v3
	s_and_not1_b32 s24, s24, exec_lo
	s_delay_alu instid0(VALU_DEP_1) | instskip(NEXT) | instid1(VALU_DEP_1)
	v_and_b32_e32 v2, 0xff, v2
	v_cmp_ne_u32_e32 vcc_lo, 0, v2
	s_and_b32 s26, vcc_lo, exec_lo
	s_delay_alu instid0(SALU_CYCLE_1)
	s_or_b32 s24, s24, s26
	s_or_b32 exec_lo, exec_lo, s25
	v_mov_b32_e32 v4, 0
	s_and_saveexec_b32 s25, s24
	s_cbranch_execnz .LBB38_698
	s_branch .LBB38_699
.LBB38_794:
	s_mov_b32 s21, -1
.LBB38_795:
                                        ; implicit-def: $vgpr2_vgpr3
.LBB38_796:
	s_and_b32 vcc_lo, exec_lo, s24
	s_cbranch_vccz .LBB38_800
; %bb.797:
	s_cmp_eq_u32 s20, 44
	s_cbranch_scc0 .LBB38_799
; %bb.798:
	global_load_u8 v4, v[0:1], off
	s_mov_b32 s21, 0
	s_mov_b32 s23, -1
	s_wait_loadcnt 0x0
	v_cmp_ne_u32_e32 vcc_lo, 0xff, v4
	v_lshlrev_b32_e32 v2, 23, v4
	s_delay_alu instid0(VALU_DEP_1) | instskip(NEXT) | instid1(VALU_DEP_1)
	v_cvt_f64_f32_e32 v[2:3], v2
	v_cndmask_b32_e32 v2, 0x20000000, v2, vcc_lo
	s_delay_alu instid0(VALU_DEP_2) | instskip(SKIP_1) | instid1(VALU_DEP_2)
	v_cndmask_b32_e32 v3, 0x7ff80000, v3, vcc_lo
	v_cmp_ne_u32_e32 vcc_lo, 0, v4
	v_cndmask_b32_e32 v3, 0x38000000, v3, vcc_lo
	s_delay_alu instid0(VALU_DEP_4)
	v_cndmask_b32_e32 v2, 0, v2, vcc_lo
	s_branch .LBB38_800
.LBB38_799:
	s_mov_b32 s21, -1
                                        ; implicit-def: $vgpr2_vgpr3
.LBB38_800:
	s_mov_b32 s24, 0
.LBB38_801:
	s_delay_alu instid0(SALU_CYCLE_1)
	s_and_b32 vcc_lo, exec_lo, s24
	s_cbranch_vccz .LBB38_805
; %bb.802:
	s_cmp_eq_u32 s20, 29
	s_cbranch_scc0 .LBB38_804
; %bb.803:
	s_wait_loadcnt 0x0
	global_load_b64 v[2:3], v[0:1], off
	s_mov_b32 s21, 0
	s_mov_b32 s23, -1
	s_mov_b32 s24, 0
	s_wait_loadcnt 0x0
	v_cvt_f64_u32_e32 v[4:5], v3
	v_cvt_f64_u32_e32 v[2:3], v2
	s_delay_alu instid0(VALU_DEP_2) | instskip(NEXT) | instid1(VALU_DEP_1)
	v_ldexp_f64 v[4:5], v[4:5], 32
	v_add_f64_e32 v[2:3], v[4:5], v[2:3]
	s_branch .LBB38_806
.LBB38_804:
	s_mov_b32 s21, -1
                                        ; implicit-def: $vgpr2_vgpr3
.LBB38_805:
	s_mov_b32 s24, 0
.LBB38_806:
	s_delay_alu instid0(SALU_CYCLE_1)
	s_and_b32 vcc_lo, exec_lo, s24
	s_cbranch_vccz .LBB38_824
; %bb.807:
	s_cmp_lt_i32 s20, 27
	s_cbranch_scc1 .LBB38_810
; %bb.808:
	s_cmp_gt_i32 s20, 27
	s_cbranch_scc0 .LBB38_811
; %bb.809:
	s_wait_loadcnt 0x0
	global_load_b32 v2, v[0:1], off
	s_mov_b32 s23, 0
	s_wait_loadcnt 0x0
	v_cvt_f64_u32_e32 v[2:3], v2
	s_branch .LBB38_812
.LBB38_810:
	s_mov_b32 s23, -1
                                        ; implicit-def: $vgpr2_vgpr3
	s_branch .LBB38_815
.LBB38_811:
	s_mov_b32 s23, -1
                                        ; implicit-def: $vgpr2_vgpr3
.LBB38_812:
	s_delay_alu instid0(SALU_CYCLE_1)
	s_and_not1_b32 vcc_lo, exec_lo, s23
	s_cbranch_vccnz .LBB38_814
; %bb.813:
	s_wait_loadcnt 0x0
	global_load_u16 v2, v[0:1], off
	s_wait_loadcnt 0x0
	v_cvt_f64_u32_e32 v[2:3], v2
.LBB38_814:
	s_mov_b32 s23, 0
.LBB38_815:
	s_delay_alu instid0(SALU_CYCLE_1)
	s_and_not1_b32 vcc_lo, exec_lo, s23
	s_cbranch_vccnz .LBB38_823
; %bb.816:
	global_load_u8 v4, v[0:1], off
	s_mov_b32 s23, 0
	s_mov_b32 s24, exec_lo
	s_wait_loadcnt 0x0
	v_cmpx_lt_i16_e32 0x7f, v4
	s_xor_b32 s24, exec_lo, s24
	s_cbranch_execz .LBB38_837
; %bb.817:
	s_mov_b32 s23, -1
	s_mov_b32 s25, exec_lo
	v_cmpx_eq_u16_e32 0x80, v4
; %bb.818:
	s_xor_b32 s23, exec_lo, -1
; %bb.819:
	s_or_b32 exec_lo, exec_lo, s25
	s_delay_alu instid0(SALU_CYCLE_1)
	s_and_b32 s23, s23, exec_lo
	s_or_saveexec_b32 s24, s24
	v_mov_b64_e32 v[2:3], 0x7ff8000020000000
	s_xor_b32 exec_lo, exec_lo, s24
	s_cbranch_execnz .LBB38_838
.LBB38_820:
	s_or_b32 exec_lo, exec_lo, s24
	s_and_saveexec_b32 s24, s23
	s_cbranch_execz .LBB38_822
.LBB38_821:
	v_and_b32_e32 v2, 0xffff, v4
	s_delay_alu instid0(VALU_DEP_1) | instskip(SKIP_1) | instid1(VALU_DEP_2)
	v_and_b32_e32 v3, 7, v2
	v_bfe_u32 v7, v2, 3, 4
	v_clz_i32_u32_e32 v5, v3
	s_delay_alu instid0(VALU_DEP_2) | instskip(NEXT) | instid1(VALU_DEP_2)
	v_cmp_eq_u32_e32 vcc_lo, 0, v7
	v_min_u32_e32 v5, 32, v5
	s_delay_alu instid0(VALU_DEP_1) | instskip(NEXT) | instid1(VALU_DEP_1)
	v_subrev_nc_u32_e32 v6, 28, v5
	v_dual_lshlrev_b32 v2, v6, v2 :: v_dual_sub_nc_u32 v5, 29, v5
	s_delay_alu instid0(VALU_DEP_1) | instskip(NEXT) | instid1(VALU_DEP_2)
	v_dual_lshlrev_b32 v4, 24, v4 :: v_dual_bitop2_b32 v2, 7, v2 bitop3:0x40
	v_cndmask_b32_e32 v5, v7, v5, vcc_lo
	s_delay_alu instid0(VALU_DEP_2) | instskip(NEXT) | instid1(VALU_DEP_3)
	v_cndmask_b32_e32 v2, v3, v2, vcc_lo
	v_and_b32_e32 v3, 0x80000000, v4
	s_delay_alu instid0(VALU_DEP_3) | instskip(NEXT) | instid1(VALU_DEP_3)
	v_lshl_add_u32 v4, v5, 23, 0x3b800000
	v_lshlrev_b32_e32 v2, 20, v2
	s_delay_alu instid0(VALU_DEP_1) | instskip(NEXT) | instid1(VALU_DEP_1)
	v_or3_b32 v2, v3, v4, v2
	v_cvt_f64_f32_e32 v[2:3], v2
.LBB38_822:
	s_or_b32 exec_lo, exec_lo, s24
.LBB38_823:
	s_mov_b32 s23, -1
.LBB38_824:
	s_mov_b32 s24, 0
.LBB38_825:
	s_delay_alu instid0(SALU_CYCLE_1)
	s_and_b32 vcc_lo, exec_lo, s24
	s_cbranch_vccz .LBB38_858
; %bb.826:
	s_cmp_gt_i32 s20, 22
	s_cbranch_scc0 .LBB38_836
; %bb.827:
	s_cmp_lt_i32 s20, 24
	s_cbranch_scc1 .LBB38_839
; %bb.828:
	s_cmp_gt_i32 s20, 24
	s_cbranch_scc0 .LBB38_840
; %bb.829:
	global_load_u8 v4, v[0:1], off
	s_mov_b32 s23, exec_lo
	s_wait_loadcnt 0x0
	v_cmpx_lt_i16_e32 0x7f, v4
	s_xor_b32 s23, exec_lo, s23
	s_cbranch_execz .LBB38_852
; %bb.830:
	s_mov_b32 s22, -1
	s_mov_b32 s24, exec_lo
	v_cmpx_eq_u16_e32 0x80, v4
; %bb.831:
	s_xor_b32 s22, exec_lo, -1
; %bb.832:
	s_or_b32 exec_lo, exec_lo, s24
	s_delay_alu instid0(SALU_CYCLE_1)
	s_and_b32 s22, s22, exec_lo
	s_or_saveexec_b32 s23, s23
	v_mov_b64_e32 v[2:3], 0x7ff8000020000000
	s_xor_b32 exec_lo, exec_lo, s23
	s_cbranch_execnz .LBB38_853
.LBB38_833:
	s_or_b32 exec_lo, exec_lo, s23
	s_and_saveexec_b32 s23, s22
	s_cbranch_execz .LBB38_835
.LBB38_834:
	v_and_b32_e32 v2, 0xffff, v4
	s_delay_alu instid0(VALU_DEP_1) | instskip(SKIP_1) | instid1(VALU_DEP_2)
	v_and_b32_e32 v3, 3, v2
	v_bfe_u32 v7, v2, 2, 5
	v_clz_i32_u32_e32 v5, v3
	s_delay_alu instid0(VALU_DEP_2) | instskip(NEXT) | instid1(VALU_DEP_2)
	v_cmp_eq_u32_e32 vcc_lo, 0, v7
	v_min_u32_e32 v5, 32, v5
	s_delay_alu instid0(VALU_DEP_1) | instskip(NEXT) | instid1(VALU_DEP_1)
	v_subrev_nc_u32_e32 v6, 29, v5
	v_dual_lshlrev_b32 v2, v6, v2 :: v_dual_sub_nc_u32 v5, 30, v5
	s_delay_alu instid0(VALU_DEP_1) | instskip(NEXT) | instid1(VALU_DEP_2)
	v_dual_lshlrev_b32 v4, 24, v4 :: v_dual_bitop2_b32 v2, 3, v2 bitop3:0x40
	v_cndmask_b32_e32 v5, v7, v5, vcc_lo
	s_delay_alu instid0(VALU_DEP_2) | instskip(NEXT) | instid1(VALU_DEP_3)
	v_cndmask_b32_e32 v2, v3, v2, vcc_lo
	v_and_b32_e32 v3, 0x80000000, v4
	s_delay_alu instid0(VALU_DEP_3) | instskip(NEXT) | instid1(VALU_DEP_3)
	v_lshl_add_u32 v4, v5, 23, 0x37800000
	v_lshlrev_b32_e32 v2, 21, v2
	s_delay_alu instid0(VALU_DEP_1) | instskip(NEXT) | instid1(VALU_DEP_1)
	v_or3_b32 v2, v3, v4, v2
	v_cvt_f64_f32_e32 v[2:3], v2
.LBB38_835:
	s_or_b32 exec_lo, exec_lo, s23
	s_mov_b32 s22, 0
	s_branch .LBB38_841
.LBB38_836:
	s_mov_b32 s22, -1
                                        ; implicit-def: $vgpr2_vgpr3
	s_branch .LBB38_847
.LBB38_837:
	s_or_saveexec_b32 s24, s24
	v_mov_b64_e32 v[2:3], 0x7ff8000020000000
	s_xor_b32 exec_lo, exec_lo, s24
	s_cbranch_execz .LBB38_820
.LBB38_838:
	v_cmp_ne_u16_e32 vcc_lo, 0, v4
	v_mov_b64_e32 v[2:3], 0
	s_and_not1_b32 s23, s23, exec_lo
	s_and_b32 s25, vcc_lo, exec_lo
	s_delay_alu instid0(SALU_CYCLE_1)
	s_or_b32 s23, s23, s25
	s_or_b32 exec_lo, exec_lo, s24
	s_and_saveexec_b32 s24, s23
	s_cbranch_execnz .LBB38_821
	s_branch .LBB38_822
.LBB38_839:
	s_mov_b32 s22, -1
                                        ; implicit-def: $vgpr2_vgpr3
	s_branch .LBB38_844
.LBB38_840:
	s_mov_b32 s22, -1
                                        ; implicit-def: $vgpr2_vgpr3
.LBB38_841:
	s_delay_alu instid0(SALU_CYCLE_1)
	s_and_b32 vcc_lo, exec_lo, s22
	s_cbranch_vccz .LBB38_843
; %bb.842:
	s_wait_loadcnt 0x0
	global_load_u8 v2, v[0:1], off
	s_wait_loadcnt 0x0
	v_lshlrev_b32_e32 v2, 24, v2
	s_delay_alu instid0(VALU_DEP_1) | instskip(NEXT) | instid1(VALU_DEP_1)
	v_and_b32_e32 v3, 0x7f000000, v2
	v_clz_i32_u32_e32 v4, v3
	v_cmp_ne_u32_e32 vcc_lo, 0, v3
	v_add_nc_u32_e32 v6, 0x1000000, v3
	s_delay_alu instid0(VALU_DEP_3) | instskip(NEXT) | instid1(VALU_DEP_1)
	v_min_u32_e32 v4, 32, v4
	v_sub_nc_u32_e64 v4, v4, 4 clamp
	s_delay_alu instid0(VALU_DEP_1) | instskip(NEXT) | instid1(VALU_DEP_1)
	v_dual_lshlrev_b32 v5, v4, v3 :: v_dual_lshlrev_b32 v4, 23, v4
	v_lshrrev_b32_e32 v5, 4, v5
	s_delay_alu instid0(VALU_DEP_1) | instskip(NEXT) | instid1(VALU_DEP_1)
	v_dual_sub_nc_u32 v4, v5, v4 :: v_dual_ashrrev_i32 v5, 8, v6
	v_add_nc_u32_e32 v4, 0x3c000000, v4
	s_delay_alu instid0(VALU_DEP_1) | instskip(NEXT) | instid1(VALU_DEP_1)
	v_and_or_b32 v4, 0x7f800000, v5, v4
	v_cndmask_b32_e32 v3, 0, v4, vcc_lo
	s_delay_alu instid0(VALU_DEP_1) | instskip(NEXT) | instid1(VALU_DEP_1)
	v_and_or_b32 v2, 0x80000000, v2, v3
	v_cvt_f64_f32_e32 v[2:3], v2
.LBB38_843:
	s_mov_b32 s22, 0
.LBB38_844:
	s_delay_alu instid0(SALU_CYCLE_1)
	s_and_not1_b32 vcc_lo, exec_lo, s22
	s_cbranch_vccnz .LBB38_846
; %bb.845:
	s_wait_loadcnt 0x0
	global_load_u8 v2, v[0:1], off
	s_wait_loadcnt 0x0
	v_lshlrev_b32_e32 v3, 25, v2
	v_lshlrev_b16 v2, 8, v2
	s_delay_alu instid0(VALU_DEP_1) | instskip(SKIP_1) | instid1(VALU_DEP_2)
	v_and_or_b32 v5, 0x7f00, v2, 0.5
	v_bfe_i32 v2, v2, 0, 16
	v_dual_add_f32 v5, -0.5, v5 :: v_dual_lshrrev_b32 v4, 4, v3
	v_cmp_gt_u32_e32 vcc_lo, 0x8000000, v3
	s_delay_alu instid0(VALU_DEP_2) | instskip(NEXT) | instid1(VALU_DEP_1)
	v_or_b32_e32 v4, 0x70000000, v4
	v_mul_f32_e32 v4, 0x7800000, v4
	s_delay_alu instid0(VALU_DEP_1) | instskip(NEXT) | instid1(VALU_DEP_1)
	v_cndmask_b32_e32 v3, v4, v5, vcc_lo
	v_and_or_b32 v2, 0x80000000, v2, v3
	s_delay_alu instid0(VALU_DEP_1)
	v_cvt_f64_f32_e32 v[2:3], v2
.LBB38_846:
	s_mov_b32 s22, 0
	s_mov_b32 s23, -1
.LBB38_847:
	s_and_not1_b32 vcc_lo, exec_lo, s22
	s_mov_b32 s22, 0
	s_cbranch_vccnz .LBB38_858
; %bb.848:
	s_cmp_gt_i32 s20, 14
	s_cbranch_scc0 .LBB38_851
; %bb.849:
	s_cmp_eq_u32 s20, 15
	s_cbranch_scc0 .LBB38_854
; %bb.850:
	s_wait_loadcnt 0x0
	global_load_u16 v2, v[0:1], off
	s_mov_b32 s21, 0
	s_mov_b32 s23, -1
	s_wait_loadcnt 0x0
	v_lshlrev_b32_e32 v2, 16, v2
	s_delay_alu instid0(VALU_DEP_1)
	v_cvt_f64_f32_e32 v[2:3], v2
	s_branch .LBB38_856
.LBB38_851:
	s_mov_b32 s22, -1
	s_branch .LBB38_855
.LBB38_852:
	s_or_saveexec_b32 s23, s23
	v_mov_b64_e32 v[2:3], 0x7ff8000020000000
	s_xor_b32 exec_lo, exec_lo, s23
	s_cbranch_execz .LBB38_833
.LBB38_853:
	v_cmp_ne_u16_e32 vcc_lo, 0, v4
	v_mov_b64_e32 v[2:3], 0
	s_and_not1_b32 s22, s22, exec_lo
	s_and_b32 s24, vcc_lo, exec_lo
	s_delay_alu instid0(SALU_CYCLE_1)
	s_or_b32 s22, s22, s24
	s_or_b32 exec_lo, exec_lo, s23
	s_and_saveexec_b32 s23, s22
	s_cbranch_execnz .LBB38_834
	s_branch .LBB38_835
.LBB38_854:
	s_mov_b32 s21, -1
.LBB38_855:
                                        ; implicit-def: $vgpr2_vgpr3
.LBB38_856:
	s_and_b32 vcc_lo, exec_lo, s22
	s_mov_b32 s22, 0
	s_cbranch_vccz .LBB38_858
; %bb.857:
	s_cmp_lg_u32 s20, 11
	s_mov_b32 s22, -1
	s_cselect_b32 s20, -1, 0
	s_and_not1_b32 s21, s21, exec_lo
	s_and_b32 s20, s20, exec_lo
	s_delay_alu instid0(SALU_CYCLE_1)
	s_or_b32 s21, s21, s20
.LBB38_858:
	s_mov_b32 s20, 0
.LBB38_859:
	s_and_not1_b32 s25, s0, exec_lo
	s_and_b32 s21, s21, exec_lo
	s_and_b32 s23, s23, exec_lo
	;; [unrolled: 1-line block ×4, first 2 shown]
	s_or_b32 s21, s25, s21
.LBB38_860:
	s_wait_xcnt 0x0
	s_or_b32 exec_lo, exec_lo, s13
	s_delay_alu instid0(SALU_CYCLE_1)
	s_and_not1_b32 s0, s0, exec_lo
	s_and_b32 s13, s21, exec_lo
	s_and_b32 s23, s23, exec_lo
	;; [unrolled: 1-line block ×4, first 2 shown]
	s_or_b32 s0, s0, s13
.LBB38_861:
	s_or_b32 exec_lo, exec_lo, s19
	s_delay_alu instid0(SALU_CYCLE_1)
	s_and_not1_b32 s13, s17, exec_lo
	s_and_b32 s1, s1, exec_lo
	s_and_b32 s0, s0, exec_lo
	s_or_b32 s17, s13, s1
	s_and_not1_b32 s13, s16, exec_lo
	s_and_b32 s20, s23, exec_lo
	s_and_b32 s19, s22, exec_lo
	;; [unrolled: 1-line block ×3, first 2 shown]
	s_or_b32 s16, s13, s0
.LBB38_862:
	s_or_b32 exec_lo, exec_lo, s18
	s_delay_alu instid0(SALU_CYCLE_1)
	s_and_not1_b32 s0, s12, exec_lo
	s_and_b32 s12, s17, exec_lo
	s_and_not1_b32 s13, s14, exec_lo
	s_and_b32 s14, s16, exec_lo
	s_or_b32 s12, s0, s12
	s_and_b32 s0, s20, exec_lo
	s_and_b32 s17, s19, exec_lo
	;; [unrolled: 1-line block ×3, first 2 shown]
	s_or_b32 s14, s13, s14
	s_or_b32 exec_lo, exec_lo, s15
	s_mov_b32 s1, 0
	s_and_saveexec_b32 s13, s14
	s_cbranch_execz .LBB38_262
.LBB38_863:
	s_mov_b32 s1, exec_lo
	s_and_not1_b32 s16, s16, exec_lo
	s_trap 2
	s_or_b32 exec_lo, exec_lo, s13
	s_and_saveexec_b32 s13, s16
	s_delay_alu instid0(SALU_CYCLE_1)
	s_xor_b32 s13, exec_lo, s13
	s_cbranch_execnz .LBB38_263
.LBB38_864:
	s_or_b32 exec_lo, exec_lo, s13
	s_and_saveexec_b32 s13, s17
	s_cbranch_execz .LBB38_910
.LBB38_865:
	s_sext_i32_i16 s14, s10
	s_delay_alu instid0(SALU_CYCLE_1)
	s_cmp_lt_i32 s14, 5
	s_cbranch_scc1 .LBB38_870
; %bb.866:
	s_cmp_lt_i32 s14, 8
	s_cbranch_scc1 .LBB38_871
; %bb.867:
	;; [unrolled: 3-line block ×3, first 2 shown]
	s_cmp_gt_i32 s14, 9
	s_cbranch_scc0 .LBB38_873
; %bb.869:
	s_wait_loadcnt 0x0
	global_load_b64 v[2:3], v[0:1], off
	s_mov_b32 s14, 0
	s_branch .LBB38_874
.LBB38_870:
                                        ; implicit-def: $vgpr2_vgpr3
	s_branch .LBB38_891
.LBB38_871:
                                        ; implicit-def: $vgpr2_vgpr3
	s_branch .LBB38_880
.LBB38_872:
	s_mov_b32 s14, -1
                                        ; implicit-def: $vgpr2_vgpr3
	s_branch .LBB38_877
.LBB38_873:
	s_mov_b32 s14, -1
                                        ; implicit-def: $vgpr2_vgpr3
.LBB38_874:
	s_delay_alu instid0(SALU_CYCLE_1)
	s_and_not1_b32 vcc_lo, exec_lo, s14
	s_cbranch_vccnz .LBB38_876
; %bb.875:
	s_wait_loadcnt 0x0
	global_load_b32 v2, v[0:1], off
	s_wait_loadcnt 0x0
	v_cvt_f64_f32_e32 v[2:3], v2
.LBB38_876:
	s_mov_b32 s14, 0
.LBB38_877:
	s_delay_alu instid0(SALU_CYCLE_1)
	s_and_not1_b32 vcc_lo, exec_lo, s14
	s_cbranch_vccnz .LBB38_879
; %bb.878:
	s_wait_loadcnt 0x0
	global_load_b32 v2, v[0:1], off
	s_wait_loadcnt 0x0
	v_cvt_f32_f16_e32 v2, v2
	s_delay_alu instid0(VALU_DEP_1)
	v_cvt_f64_f32_e32 v[2:3], v2
.LBB38_879:
	s_cbranch_execnz .LBB38_890
.LBB38_880:
	s_sext_i32_i16 s14, s10
	s_delay_alu instid0(SALU_CYCLE_1)
	s_cmp_lt_i32 s14, 6
	s_cbranch_scc1 .LBB38_883
; %bb.881:
	s_cmp_gt_i32 s14, 6
	s_cbranch_scc0 .LBB38_884
; %bb.882:
	s_wait_loadcnt 0x0
	global_load_b64 v[2:3], v[0:1], off
	s_mov_b32 s14, 0
	s_branch .LBB38_885
.LBB38_883:
	s_mov_b32 s14, -1
                                        ; implicit-def: $vgpr2_vgpr3
	s_branch .LBB38_888
.LBB38_884:
	s_mov_b32 s14, -1
                                        ; implicit-def: $vgpr2_vgpr3
.LBB38_885:
	s_delay_alu instid0(SALU_CYCLE_1)
	s_and_not1_b32 vcc_lo, exec_lo, s14
	s_cbranch_vccnz .LBB38_887
; %bb.886:
	s_wait_loadcnt 0x0
	global_load_b32 v2, v[0:1], off
	s_wait_loadcnt 0x0
	v_cvt_f64_f32_e32 v[2:3], v2
.LBB38_887:
	s_mov_b32 s14, 0
.LBB38_888:
	s_delay_alu instid0(SALU_CYCLE_1)
	s_and_not1_b32 vcc_lo, exec_lo, s14
	s_cbranch_vccnz .LBB38_890
; %bb.889:
	s_wait_loadcnt 0x0
	global_load_u16 v2, v[0:1], off
	s_wait_loadcnt 0x0
	v_cvt_f32_f16_e32 v2, v2
	s_delay_alu instid0(VALU_DEP_1)
	v_cvt_f64_f32_e32 v[2:3], v2
.LBB38_890:
	s_cbranch_execnz .LBB38_909
.LBB38_891:
	s_sext_i32_i16 s14, s10
	s_delay_alu instid0(SALU_CYCLE_1)
	s_cmp_lt_i32 s14, 2
	s_cbranch_scc1 .LBB38_895
; %bb.892:
	s_cmp_lt_i32 s14, 3
	s_cbranch_scc1 .LBB38_896
; %bb.893:
	s_cmp_gt_i32 s14, 3
	s_cbranch_scc0 .LBB38_897
; %bb.894:
	s_wait_loadcnt 0x0
	global_load_b64 v[2:3], v[0:1], off
	s_mov_b32 s14, 0
	s_wait_loadcnt 0x0
	v_cvt_f64_i32_e32 v[4:5], v3
	v_cvt_f64_u32_e32 v[2:3], v2
	s_delay_alu instid0(VALU_DEP_2) | instskip(NEXT) | instid1(VALU_DEP_1)
	v_ldexp_f64 v[4:5], v[4:5], 32
	v_add_f64_e32 v[2:3], v[4:5], v[2:3]
	s_branch .LBB38_898
.LBB38_895:
                                        ; implicit-def: $vgpr2_vgpr3
	s_branch .LBB38_904
.LBB38_896:
	s_mov_b32 s14, -1
                                        ; implicit-def: $vgpr2_vgpr3
	s_branch .LBB38_901
.LBB38_897:
	s_mov_b32 s14, -1
                                        ; implicit-def: $vgpr2_vgpr3
.LBB38_898:
	s_delay_alu instid0(SALU_CYCLE_1)
	s_and_not1_b32 vcc_lo, exec_lo, s14
	s_cbranch_vccnz .LBB38_900
; %bb.899:
	s_wait_loadcnt 0x0
	global_load_b32 v2, v[0:1], off
	s_wait_loadcnt 0x0
	v_cvt_f64_i32_e32 v[2:3], v2
.LBB38_900:
	s_mov_b32 s14, 0
.LBB38_901:
	s_delay_alu instid0(SALU_CYCLE_1)
	s_and_not1_b32 vcc_lo, exec_lo, s14
	s_cbranch_vccnz .LBB38_903
; %bb.902:
	s_wait_loadcnt 0x0
	global_load_i16 v2, v[0:1], off
	s_wait_loadcnt 0x0
	v_cvt_f64_i32_e32 v[2:3], v2
.LBB38_903:
	s_cbranch_execnz .LBB38_909
.LBB38_904:
	s_sext_i32_i16 s14, s10
	s_delay_alu instid0(SALU_CYCLE_1)
	s_cmp_gt_i32 s14, 0
	s_mov_b32 s14, 0
	s_cbranch_scc0 .LBB38_906
; %bb.905:
	s_wait_loadcnt 0x0
	global_load_i8 v2, v[0:1], off
	s_wait_loadcnt 0x0
	v_cvt_f64_i32_e32 v[2:3], v2
	s_branch .LBB38_907
.LBB38_906:
	s_mov_b32 s14, -1
                                        ; implicit-def: $vgpr2_vgpr3
.LBB38_907:
	s_delay_alu instid0(SALU_CYCLE_1)
	s_and_not1_b32 vcc_lo, exec_lo, s14
	s_cbranch_vccnz .LBB38_909
; %bb.908:
	global_load_u8 v0, v[0:1], off
	s_wait_loadcnt 0x0
	v_cvt_f64_u32_e32 v[2:3], v0
.LBB38_909:
	s_or_b32 s0, s0, exec_lo
.LBB38_910:
	s_wait_xcnt 0x0
	s_or_b32 exec_lo, exec_lo, s13
	s_mov_b32 s17, 0
	s_mov_b32 s16, 0
                                        ; implicit-def: $sgpr13
                                        ; implicit-def: $sgpr14
                                        ; implicit-def: $vgpr0_vgpr1
	s_and_saveexec_b32 s15, s0
	s_cbranch_execz .LBB38_918
; %bb.911:
	s_wait_loadcnt 0x0
	s_delay_alu instid0(VALU_DEP_1) | instskip(SKIP_2) | instid1(SALU_CYCLE_1)
	v_cmp_eq_f64_e64 s13, 0x7ff00000, v[2:3]
	v_mul_lo_u32 v0, v10, s2
	s_and_b32 s14, s8, 0xff
	s_cmp_lt_i32 s14, 11
	s_delay_alu instid0(VALU_DEP_1) | instskip(NEXT) | instid1(VALU_DEP_1)
	v_ashrrev_i32_e32 v1, 31, v0
	v_add_nc_u64_e32 v[0:1], s[4:5], v[0:1]
	s_cbranch_scc1 .LBB38_921
; %bb.912:
	s_and_b32 s16, 0xffff, s14
	s_mov_b32 s17, -1
	s_cmp_gt_i32 s16, 25
	s_mov_b32 s0, s12
	s_cbranch_scc0 .LBB38_949
; %bb.913:
	s_cmp_gt_i32 s16, 28
	s_mov_b32 s0, s12
	s_cbranch_scc0 .LBB38_933
; %bb.914:
	;; [unrolled: 4-line block ×4, first 2 shown]
	s_cmp_eq_u32 s16, 46
	s_mov_b32 s0, -1
	s_cbranch_scc0 .LBB38_922
; %bb.917:
	v_cndmask_b32_e64 v2, 0, 1.0, s13
	s_mov_b32 s0, 0
	s_mov_b32 s17, 0
	s_delay_alu instid0(VALU_DEP_1) | instskip(NEXT) | instid1(VALU_DEP_1)
	v_bfe_u32 v3, v2, 16, 1
	v_add3_u32 v2, v2, v3, 0x7fff
	s_delay_alu instid0(VALU_DEP_1)
	v_lshrrev_b32_e32 v2, 16, v2
	global_store_b32 v[0:1], v2, off
	s_branch .LBB38_923
.LBB38_918:
	s_or_b32 exec_lo, exec_lo, s15
	s_and_saveexec_b32 s0, s12
	s_cbranch_execnz .LBB38_991
.LBB38_919:
	s_or_b32 exec_lo, exec_lo, s0
	s_and_saveexec_b32 s0, s17
	s_delay_alu instid0(SALU_CYCLE_1)
	s_xor_b32 s0, exec_lo, s0
	s_cbranch_execz .LBB38_992
.LBB38_920:
	s_wait_loadcnt 0x0
	v_cndmask_b32_e64 v2, 0, 1, s13
	global_store_b8 v[0:1], v2, off
	s_wait_xcnt 0x0
	s_or_b32 exec_lo, exec_lo, s0
	s_and_saveexec_b32 s0, s16
	s_delay_alu instid0(SALU_CYCLE_1)
	s_xor_b32 s0, exec_lo, s0
	s_cbranch_execz .LBB38_1030
	s_branch .LBB38_993
.LBB38_921:
	s_mov_b32 s18, 0
	s_mov_b32 s17, -1
	s_mov_b32 s0, s12
	s_branch .LBB38_990
.LBB38_922:
	s_mov_b32 s17, 0
.LBB38_923:
	s_delay_alu instid0(SALU_CYCLE_1)
	s_and_b32 vcc_lo, exec_lo, s17
	s_cbranch_vccz .LBB38_928
; %bb.924:
	s_cmp_eq_u32 s16, 44
	s_mov_b32 s0, -1
	s_cbranch_scc0 .LBB38_928
; %bb.925:
	v_cndmask_b32_e64 v4, 0, 1.0, s13
	s_mov_b32 s17, exec_lo
	s_wait_xcnt 0x0
	s_delay_alu instid0(VALU_DEP_1) | instskip(NEXT) | instid1(VALU_DEP_1)
	v_dual_mov_b32 v3, 0xff :: v_dual_lshrrev_b32 v2, 23, v4
	v_cmpx_ne_u32_e32 0xff, v2
; %bb.926:
	v_and_b32_e32 v3, 0x400000, v4
	v_and_or_b32 v4, 0x3fffff, v4, v2
	s_delay_alu instid0(VALU_DEP_2) | instskip(NEXT) | instid1(VALU_DEP_2)
	v_cmp_ne_u32_e32 vcc_lo, 0, v3
	v_cmp_ne_u32_e64 s0, 0, v4
	s_and_b32 s0, vcc_lo, s0
	s_delay_alu instid0(SALU_CYCLE_1) | instskip(NEXT) | instid1(VALU_DEP_1)
	v_cndmask_b32_e64 v3, 0, 1, s0
	v_add_nc_u32_e32 v3, v2, v3
; %bb.927:
	s_or_b32 exec_lo, exec_lo, s17
	s_mov_b32 s0, 0
	global_store_b8 v[0:1], v3, off
.LBB38_928:
	s_mov_b32 s17, 0
.LBB38_929:
	s_delay_alu instid0(SALU_CYCLE_1)
	s_and_b32 vcc_lo, exec_lo, s17
	s_cbranch_vccz .LBB38_932
; %bb.930:
	s_cmp_eq_u32 s16, 29
	s_mov_b32 s0, -1
	s_cbranch_scc0 .LBB38_932
; %bb.931:
	s_mov_b32 s0, 0
	s_wait_xcnt 0x0
	v_cndmask_b32_e64 v2, 0, 1, s13
	v_mov_b32_e32 v3, s0
	s_mov_b32 s17, 0
	global_store_b64 v[0:1], v[2:3], off
	s_branch .LBB38_933
.LBB38_932:
	s_mov_b32 s17, 0
.LBB38_933:
	s_delay_alu instid0(SALU_CYCLE_1)
	s_and_b32 vcc_lo, exec_lo, s17
	s_cbranch_vccz .LBB38_948
; %bb.934:
	s_cmp_lt_i32 s16, 27
	s_mov_b32 s17, -1
	s_cbranch_scc1 .LBB38_940
; %bb.935:
	s_wait_xcnt 0x0
	v_cndmask_b32_e64 v2, 0, 1, s13
	s_cmp_gt_i32 s16, 27
	s_cbranch_scc0 .LBB38_937
; %bb.936:
	s_mov_b32 s17, 0
	global_store_b32 v[0:1], v2, off
.LBB38_937:
	s_and_not1_b32 vcc_lo, exec_lo, s17
	s_cbranch_vccnz .LBB38_939
; %bb.938:
	global_store_b16 v[0:1], v2, off
.LBB38_939:
	s_mov_b32 s17, 0
.LBB38_940:
	s_delay_alu instid0(SALU_CYCLE_1)
	s_and_not1_b32 vcc_lo, exec_lo, s17
	s_cbranch_vccnz .LBB38_948
; %bb.941:
	s_wait_xcnt 0x0
	v_cndmask_b32_e64 v3, 0, 1.0, s13
	v_mov_b32_e32 v4, 0x80
	s_mov_b32 s17, exec_lo
	s_delay_alu instid0(VALU_DEP_2)
	v_cmpx_gt_u32_e32 0x43800000, v3
	s_cbranch_execz .LBB38_947
; %bb.942:
	s_mov_b32 s18, 0
	s_mov_b32 s19, exec_lo
                                        ; implicit-def: $vgpr2
	v_cmpx_lt_u32_e32 0x3bffffff, v3
	s_xor_b32 s19, exec_lo, s19
	s_cbranch_execz .LBB38_1045
; %bb.943:
	v_bfe_u32 v2, v3, 20, 1
	s_mov_b32 s18, exec_lo
	s_delay_alu instid0(VALU_DEP_1) | instskip(NEXT) | instid1(VALU_DEP_1)
	v_add3_u32 v2, v3, v2, 0x487ffff
                                        ; implicit-def: $vgpr3
	v_lshrrev_b32_e32 v2, 20, v2
	s_and_not1_saveexec_b32 s19, s19
	s_cbranch_execnz .LBB38_1046
.LBB38_944:
	s_or_b32 exec_lo, exec_lo, s19
	v_mov_b32_e32 v4, 0
	s_and_saveexec_b32 s19, s18
.LBB38_945:
	v_mov_b32_e32 v4, v2
.LBB38_946:
	s_or_b32 exec_lo, exec_lo, s19
.LBB38_947:
	s_delay_alu instid0(SALU_CYCLE_1)
	s_or_b32 exec_lo, exec_lo, s17
	global_store_b8 v[0:1], v4, off
.LBB38_948:
	s_mov_b32 s17, 0
.LBB38_949:
	s_delay_alu instid0(SALU_CYCLE_1)
	s_and_b32 vcc_lo, exec_lo, s17
	s_mov_b32 s17, 0
	s_cbranch_vccz .LBB38_989
; %bb.950:
	s_cmp_gt_i32 s16, 22
	s_mov_b32 s18, -1
	s_cbranch_scc0 .LBB38_982
; %bb.951:
	s_cmp_lt_i32 s16, 24
	s_cbranch_scc1 .LBB38_971
; %bb.952:
	s_cmp_gt_i32 s16, 24
	s_cbranch_scc0 .LBB38_960
; %bb.953:
	s_wait_xcnt 0x0
	v_cndmask_b32_e64 v3, 0, 1.0, s13
	v_mov_b32_e32 v4, 0x80
	s_mov_b32 s18, exec_lo
	s_delay_alu instid0(VALU_DEP_2)
	v_cmpx_gt_u32_e32 0x47800000, v3
	s_cbranch_execz .LBB38_959
; %bb.954:
	s_mov_b32 s19, 0
	s_mov_b32 s20, exec_lo
                                        ; implicit-def: $vgpr2
	v_cmpx_lt_u32_e32 0x37ffffff, v3
	s_xor_b32 s20, exec_lo, s20
	s_cbranch_execz .LBB38_1171
; %bb.955:
	v_bfe_u32 v2, v3, 21, 1
	s_mov_b32 s19, exec_lo
	s_delay_alu instid0(VALU_DEP_1) | instskip(NEXT) | instid1(VALU_DEP_1)
	v_add3_u32 v2, v3, v2, 0x88fffff
                                        ; implicit-def: $vgpr3
	v_lshrrev_b32_e32 v2, 21, v2
	s_and_not1_saveexec_b32 s20, s20
	s_cbranch_execnz .LBB38_1172
.LBB38_956:
	s_or_b32 exec_lo, exec_lo, s20
	v_mov_b32_e32 v4, 0
	s_and_saveexec_b32 s20, s19
.LBB38_957:
	v_mov_b32_e32 v4, v2
.LBB38_958:
	s_or_b32 exec_lo, exec_lo, s20
.LBB38_959:
	s_delay_alu instid0(SALU_CYCLE_1)
	s_or_b32 exec_lo, exec_lo, s18
	s_mov_b32 s18, 0
	global_store_b8 v[0:1], v4, off
.LBB38_960:
	s_and_b32 vcc_lo, exec_lo, s18
	s_cbranch_vccz .LBB38_970
; %bb.961:
	s_wait_xcnt 0x0
	v_cndmask_b32_e64 v3, 0, 1.0, s13
	s_mov_b32 s18, exec_lo
                                        ; implicit-def: $vgpr2
	s_delay_alu instid0(VALU_DEP_1)
	v_cmpx_gt_u32_e32 0x43f00000, v3
	s_xor_b32 s18, exec_lo, s18
	s_cbranch_execz .LBB38_967
; %bb.962:
	s_mov_b32 s19, exec_lo
                                        ; implicit-def: $vgpr2
	v_cmpx_lt_u32_e32 0x3c7fffff, v3
	s_xor_b32 s19, exec_lo, s19
; %bb.963:
	v_bfe_u32 v2, v3, 20, 1
	s_delay_alu instid0(VALU_DEP_1) | instskip(NEXT) | instid1(VALU_DEP_1)
	v_add3_u32 v2, v3, v2, 0x407ffff
	v_and_b32_e32 v3, 0xff00000, v2
	v_lshrrev_b32_e32 v2, 20, v2
	s_delay_alu instid0(VALU_DEP_2) | instskip(NEXT) | instid1(VALU_DEP_2)
	v_cmp_ne_u32_e32 vcc_lo, 0x7f00000, v3
                                        ; implicit-def: $vgpr3
	v_cndmask_b32_e32 v2, 0x7e, v2, vcc_lo
; %bb.964:
	s_and_not1_saveexec_b32 s19, s19
; %bb.965:
	v_add_f32_e32 v2, 0x46800000, v3
; %bb.966:
	s_or_b32 exec_lo, exec_lo, s19
                                        ; implicit-def: $vgpr3
.LBB38_967:
	s_and_not1_saveexec_b32 s18, s18
; %bb.968:
	v_mov_b32_e32 v2, 0x7f
	v_cmp_lt_u32_e32 vcc_lo, 0x7f800000, v3
	s_delay_alu instid0(VALU_DEP_2)
	v_cndmask_b32_e32 v2, 0x7e, v2, vcc_lo
; %bb.969:
	s_or_b32 exec_lo, exec_lo, s18
	global_store_b8 v[0:1], v2, off
.LBB38_970:
	s_mov_b32 s18, 0
.LBB38_971:
	s_delay_alu instid0(SALU_CYCLE_1)
	s_and_not1_b32 vcc_lo, exec_lo, s18
	s_cbranch_vccnz .LBB38_981
; %bb.972:
	s_wait_xcnt 0x0
	v_cndmask_b32_e64 v3, 0, 1.0, s13
	s_mov_b32 s18, exec_lo
                                        ; implicit-def: $vgpr2
	s_delay_alu instid0(VALU_DEP_1)
	v_cmpx_gt_u32_e32 0x47800000, v3
	s_xor_b32 s18, exec_lo, s18
	s_cbranch_execz .LBB38_978
; %bb.973:
	s_mov_b32 s19, exec_lo
                                        ; implicit-def: $vgpr2
	v_cmpx_lt_u32_e32 0x387fffff, v3
	s_xor_b32 s19, exec_lo, s19
; %bb.974:
	v_bfe_u32 v2, v3, 21, 1
	s_delay_alu instid0(VALU_DEP_1) | instskip(NEXT) | instid1(VALU_DEP_1)
	v_add3_u32 v2, v3, v2, 0x80fffff
                                        ; implicit-def: $vgpr3
	v_lshrrev_b32_e32 v2, 21, v2
; %bb.975:
	s_and_not1_saveexec_b32 s19, s19
; %bb.976:
	v_add_f32_e32 v2, 0x43000000, v3
; %bb.977:
	s_or_b32 exec_lo, exec_lo, s19
                                        ; implicit-def: $vgpr3
.LBB38_978:
	s_and_not1_saveexec_b32 s18, s18
; %bb.979:
	v_mov_b32_e32 v2, 0x7f
	v_cmp_lt_u32_e32 vcc_lo, 0x7f800000, v3
	s_delay_alu instid0(VALU_DEP_2)
	v_cndmask_b32_e32 v2, 0x7c, v2, vcc_lo
; %bb.980:
	s_or_b32 exec_lo, exec_lo, s18
	global_store_b8 v[0:1], v2, off
.LBB38_981:
	s_mov_b32 s18, 0
.LBB38_982:
	s_delay_alu instid0(SALU_CYCLE_1)
	s_and_not1_b32 vcc_lo, exec_lo, s18
	s_mov_b32 s18, 0
	s_cbranch_vccnz .LBB38_990
; %bb.983:
	s_cmp_gt_i32 s16, 14
	s_mov_b32 s18, -1
	s_cbranch_scc0 .LBB38_987
; %bb.984:
	s_cmp_eq_u32 s16, 15
	s_mov_b32 s0, -1
	s_cbranch_scc0 .LBB38_986
; %bb.985:
	s_wait_xcnt 0x0
	v_cndmask_b32_e64 v2, 0, 1.0, s13
	s_mov_b32 s0, 0
	s_delay_alu instid0(VALU_DEP_1) | instskip(NEXT) | instid1(VALU_DEP_1)
	v_bfe_u32 v3, v2, 16, 1
	v_add3_u32 v2, v2, v3, 0x7fff
	global_store_d16_hi_b16 v[0:1], v2, off
.LBB38_986:
	s_mov_b32 s18, 0
.LBB38_987:
	s_delay_alu instid0(SALU_CYCLE_1)
	s_and_b32 vcc_lo, exec_lo, s18
	s_mov_b32 s18, 0
	s_cbranch_vccz .LBB38_990
; %bb.988:
	s_cmp_lg_u32 s16, 11
	s_mov_b32 s18, -1
	s_cselect_b32 s16, -1, 0
	s_and_not1_b32 s0, s0, exec_lo
	s_and_b32 s16, s16, exec_lo
	s_delay_alu instid0(SALU_CYCLE_1)
	s_or_b32 s0, s0, s16
	s_branch .LBB38_990
.LBB38_989:
	s_mov_b32 s18, 0
.LBB38_990:
	s_and_not1_b32 s12, s12, exec_lo
	s_and_b32 s0, s0, exec_lo
	s_and_b32 s16, s17, exec_lo
	;; [unrolled: 1-line block ×3, first 2 shown]
	s_or_b32 s12, s12, s0
	s_wait_xcnt 0x0
	s_or_b32 exec_lo, exec_lo, s15
	s_and_saveexec_b32 s0, s12
	s_cbranch_execz .LBB38_919
.LBB38_991:
	s_or_b32 s1, s1, exec_lo
	s_and_not1_b32 s17, s17, exec_lo
	s_trap 2
	s_or_b32 exec_lo, exec_lo, s0
	s_and_saveexec_b32 s0, s17
	s_delay_alu instid0(SALU_CYCLE_1)
	s_xor_b32 s0, exec_lo, s0
	s_cbranch_execnz .LBB38_920
.LBB38_992:
	s_or_b32 exec_lo, exec_lo, s0
	s_and_saveexec_b32 s0, s16
	s_delay_alu instid0(SALU_CYCLE_1)
	s_xor_b32 s0, exec_lo, s0
	s_cbranch_execz .LBB38_1030
.LBB38_993:
	s_sext_i32_i16 s15, s14
	s_mov_b32 s12, -1
	s_cmp_lt_i32 s15, 5
	s_cbranch_scc1 .LBB38_1014
; %bb.994:
	s_cmp_lt_i32 s15, 8
	s_cbranch_scc1 .LBB38_1004
; %bb.995:
	;; [unrolled: 3-line block ×3, first 2 shown]
	s_cmp_gt_i32 s15, 9
	s_cbranch_scc0 .LBB38_998
; %bb.997:
	s_wait_loadcnt 0x0
	v_cndmask_b32_e64 v2, 0, 1, s13
	v_mov_b32_e32 v4, 0
	s_mov_b32 s12, 0
	s_delay_alu instid0(VALU_DEP_2) | instskip(NEXT) | instid1(VALU_DEP_2)
	v_cvt_f64_u32_e32 v[2:3], v2
	v_mov_b32_e32 v5, v4
	global_store_b128 v[0:1], v[2:5], off
.LBB38_998:
	s_and_not1_b32 vcc_lo, exec_lo, s12
	s_cbranch_vccnz .LBB38_1000
; %bb.999:
	s_wait_loadcnt 0x0
	v_cndmask_b32_e64 v2, 0, 1.0, s13
	v_mov_b32_e32 v3, 0
	global_store_b64 v[0:1], v[2:3], off
.LBB38_1000:
	s_mov_b32 s12, 0
.LBB38_1001:
	s_delay_alu instid0(SALU_CYCLE_1)
	s_and_not1_b32 vcc_lo, exec_lo, s12
	s_cbranch_vccnz .LBB38_1003
; %bb.1002:
	s_wait_loadcnt 0x0
	v_cndmask_b32_e64 v2, 0, 1.0, s13
	s_delay_alu instid0(VALU_DEP_1) | instskip(NEXT) | instid1(VALU_DEP_1)
	v_cvt_f16_f32_e32 v2, v2
	v_and_b32_e32 v2, 0xffff, v2
	global_store_b32 v[0:1], v2, off
.LBB38_1003:
	s_mov_b32 s12, 0
.LBB38_1004:
	s_delay_alu instid0(SALU_CYCLE_1)
	s_and_not1_b32 vcc_lo, exec_lo, s12
	s_cbranch_vccnz .LBB38_1013
; %bb.1005:
	s_sext_i32_i16 s15, s14
	s_mov_b32 s12, -1
	s_cmp_lt_i32 s15, 6
	s_cbranch_scc1 .LBB38_1011
; %bb.1006:
	s_cmp_gt_i32 s15, 6
	s_cbranch_scc0 .LBB38_1008
; %bb.1007:
	s_wait_loadcnt 0x0
	v_cndmask_b32_e64 v2, 0, 1, s13
	s_mov_b32 s12, 0
	s_delay_alu instid0(VALU_DEP_1)
	v_cvt_f64_u32_e32 v[2:3], v2
	global_store_b64 v[0:1], v[2:3], off
.LBB38_1008:
	s_and_not1_b32 vcc_lo, exec_lo, s12
	s_cbranch_vccnz .LBB38_1010
; %bb.1009:
	s_wait_loadcnt 0x0
	v_cndmask_b32_e64 v2, 0, 1.0, s13
	global_store_b32 v[0:1], v2, off
.LBB38_1010:
	s_mov_b32 s12, 0
.LBB38_1011:
	s_delay_alu instid0(SALU_CYCLE_1)
	s_and_not1_b32 vcc_lo, exec_lo, s12
	s_cbranch_vccnz .LBB38_1013
; %bb.1012:
	s_wait_loadcnt 0x0
	v_cndmask_b32_e64 v2, 0, 1.0, s13
	s_delay_alu instid0(VALU_DEP_1)
	v_cvt_f16_f32_e32 v2, v2
	global_store_b16 v[0:1], v2, off
.LBB38_1013:
	s_mov_b32 s12, 0
.LBB38_1014:
	s_delay_alu instid0(SALU_CYCLE_1)
	s_and_not1_b32 vcc_lo, exec_lo, s12
	s_cbranch_vccnz .LBB38_1030
; %bb.1015:
	s_sext_i32_i16 s15, s14
	s_mov_b32 s12, -1
	s_cmp_lt_i32 s15, 2
	s_cbranch_scc1 .LBB38_1025
; %bb.1016:
	s_cmp_lt_i32 s15, 3
	s_cbranch_scc1 .LBB38_1022
; %bb.1017:
	s_cmp_gt_i32 s15, 3
	s_cbranch_scc0 .LBB38_1019
; %bb.1018:
	s_mov_b32 s12, 0
	s_wait_loadcnt 0x0
	v_cndmask_b32_e64 v2, 0, 1, s13
	v_mov_b32_e32 v3, s12
	global_store_b64 v[0:1], v[2:3], off
.LBB38_1019:
	s_and_not1_b32 vcc_lo, exec_lo, s12
	s_cbranch_vccnz .LBB38_1021
; %bb.1020:
	s_wait_loadcnt 0x0
	v_cndmask_b32_e64 v2, 0, 1, s13
	global_store_b32 v[0:1], v2, off
.LBB38_1021:
	s_mov_b32 s12, 0
.LBB38_1022:
	s_delay_alu instid0(SALU_CYCLE_1)
	s_and_not1_b32 vcc_lo, exec_lo, s12
	s_cbranch_vccnz .LBB38_1024
; %bb.1023:
	s_wait_loadcnt 0x0
	v_cndmask_b32_e64 v2, 0, 1, s13
	global_store_b16 v[0:1], v2, off
.LBB38_1024:
	s_mov_b32 s12, 0
.LBB38_1025:
	s_delay_alu instid0(SALU_CYCLE_1)
	s_and_not1_b32 vcc_lo, exec_lo, s12
	s_cbranch_vccnz .LBB38_1030
; %bb.1026:
	s_wait_loadcnt 0x0
	v_cndmask_b32_e64 v2, 0, 1, s13
	s_sext_i32_i16 s12, s14
	s_delay_alu instid0(SALU_CYCLE_1)
	s_cmp_gt_i32 s12, 0
	s_mov_b32 s12, -1
	s_cbranch_scc0 .LBB38_1028
; %bb.1027:
	s_mov_b32 s12, 0
	global_store_b8 v[0:1], v2, off
.LBB38_1028:
	s_and_not1_b32 vcc_lo, exec_lo, s12
	s_cbranch_vccnz .LBB38_1030
; %bb.1029:
	global_store_b8 v[0:1], v2, off
.LBB38_1030:
	s_wait_xcnt 0x0
	s_or_b32 exec_lo, exec_lo, s0
	s_delay_alu instid0(SALU_CYCLE_1)
	s_and_b32 s12, s1, exec_lo
                                        ; implicit-def: $vgpr10
.LBB38_1031:
	s_or_saveexec_b32 s11, s11
	s_mov_b32 s0, 0
                                        ; implicit-def: $sgpr1
                                        ; implicit-def: $sgpr13
                                        ; implicit-def: $vgpr0_vgpr1
	s_xor_b32 exec_lo, exec_lo, s11
	s_cbranch_execz .LBB38_1983
; %bb.1032:
	s_wait_loadcnt 0x0
	v_mul_lo_u32 v2, s3, v10
	s_and_b32 s0, 0xffff, s10
	s_delay_alu instid0(SALU_CYCLE_1) | instskip(NEXT) | instid1(VALU_DEP_1)
	s_cmp_lt_i32 s0, 11
	v_ashrrev_i32_e32 v3, 31, v2
	s_delay_alu instid0(VALU_DEP_1)
	v_add_nc_u64_e32 v[4:5], s[6:7], v[2:3]
	s_cbranch_scc1 .LBB38_1039
; %bb.1033:
	s_cmp_gt_i32 s0, 25
	s_mov_b32 s10, 0
	s_cbranch_scc0 .LBB38_1041
; %bb.1034:
	s_cmp_gt_i32 s0, 28
	s_cbranch_scc0 .LBB38_1042
; %bb.1035:
	s_cmp_gt_i32 s0, 43
	;; [unrolled: 3-line block ×3, first 2 shown]
	s_cbranch_scc0 .LBB38_1044
; %bb.1037:
	s_cmp_eq_u32 s0, 46
	s_cbranch_scc0 .LBB38_1047
; %bb.1038:
	global_load_b32 v0, v[4:5], off
	s_mov_b32 s1, 0
	s_mov_b32 s13, -1
	s_wait_loadcnt 0x0
	v_lshlrev_b32_e32 v0, 16, v0
	s_delay_alu instid0(VALU_DEP_1)
	v_cvt_f64_f32_e32 v[0:1], v0
	s_branch .LBB38_1049
.LBB38_1039:
	s_mov_b32 s13, 0
	s_mov_b32 s9, s12
                                        ; implicit-def: $vgpr0_vgpr1
	s_cbranch_execnz .LBB38_1112
.LBB38_1040:
	s_and_not1_b32 vcc_lo, exec_lo, s13
	s_cbranch_vccz .LBB38_1157
	s_branch .LBB38_1981
.LBB38_1041:
	s_mov_b32 s13, 0
	s_mov_b32 s1, 0
                                        ; implicit-def: $vgpr0_vgpr1
	s_cbranch_execnz .LBB38_1077
	s_branch .LBB38_1108
.LBB38_1042:
	s_mov_b32 s9, -1
	s_mov_b32 s13, 0
	s_mov_b32 s1, 0
                                        ; implicit-def: $vgpr0_vgpr1
	s_branch .LBB38_1058
.LBB38_1043:
	s_mov_b32 s13, 0
	s_mov_b32 s1, 0
                                        ; implicit-def: $vgpr0_vgpr1
	s_cbranch_execnz .LBB38_1054
	s_branch .LBB38_1057
.LBB38_1044:
	s_mov_b32 s9, -1
	s_mov_b32 s13, 0
	s_mov_b32 s1, 0
	s_branch .LBB38_1048
.LBB38_1045:
	s_and_not1_saveexec_b32 s19, s19
	s_cbranch_execz .LBB38_944
.LBB38_1046:
	v_add_f32_e32 v2, 0x46000000, v3
	s_and_not1_b32 s18, s18, exec_lo
	s_delay_alu instid0(VALU_DEP_1) | instskip(NEXT) | instid1(VALU_DEP_1)
	v_and_b32_e32 v2, 0xff, v2
	v_cmp_ne_u32_e32 vcc_lo, 0, v2
	s_and_b32 s20, vcc_lo, exec_lo
	s_delay_alu instid0(SALU_CYCLE_1)
	s_or_b32 s18, s18, s20
	s_or_b32 exec_lo, exec_lo, s19
	v_mov_b32_e32 v4, 0
	s_and_saveexec_b32 s19, s18
	s_cbranch_execnz .LBB38_945
	s_branch .LBB38_946
.LBB38_1047:
	s_mov_b32 s1, -1
	s_mov_b32 s13, 0
.LBB38_1048:
                                        ; implicit-def: $vgpr0_vgpr1
.LBB38_1049:
	s_and_b32 vcc_lo, exec_lo, s9
	s_cbranch_vccz .LBB38_1052
; %bb.1050:
	s_cmp_eq_u32 s0, 44
	s_cbranch_scc0 .LBB38_1053
; %bb.1051:
	global_load_u8 v3, v[4:5], off
	s_mov_b32 s1, 0
	s_mov_b32 s13, -1
	s_wait_loadcnt 0x0
	v_cmp_ne_u32_e32 vcc_lo, 0xff, v3
	v_lshlrev_b32_e32 v0, 23, v3
	s_delay_alu instid0(VALU_DEP_1) | instskip(NEXT) | instid1(VALU_DEP_1)
	v_cvt_f64_f32_e32 v[0:1], v0
	v_cndmask_b32_e32 v0, 0x20000000, v0, vcc_lo
	s_delay_alu instid0(VALU_DEP_2) | instskip(SKIP_1) | instid1(VALU_DEP_2)
	v_cndmask_b32_e32 v1, 0x7ff80000, v1, vcc_lo
	v_cmp_ne_u32_e32 vcc_lo, 0, v3
	v_cndmask_b32_e32 v1, 0x38000000, v1, vcc_lo
	s_delay_alu instid0(VALU_DEP_4)
	v_cndmask_b32_e32 v0, 0, v0, vcc_lo
.LBB38_1052:
	s_branch .LBB38_1057
.LBB38_1053:
	s_mov_b32 s1, -1
                                        ; implicit-def: $vgpr0_vgpr1
	s_branch .LBB38_1057
.LBB38_1054:
	s_cmp_eq_u32 s0, 29
	s_cbranch_scc0 .LBB38_1056
; %bb.1055:
	global_load_b64 v[0:1], v[4:5], off
	s_mov_b32 s1, 0
	s_mov_b32 s13, -1
	s_mov_b32 s9, 0
	s_wait_loadcnt 0x0
	v_cvt_f64_u32_e32 v[6:7], v1
	v_cvt_f64_u32_e32 v[0:1], v0
	s_delay_alu instid0(VALU_DEP_2) | instskip(NEXT) | instid1(VALU_DEP_1)
	v_ldexp_f64 v[6:7], v[6:7], 32
	v_add_f64_e32 v[0:1], v[6:7], v[0:1]
	s_branch .LBB38_1058
.LBB38_1056:
	s_mov_b32 s1, -1
                                        ; implicit-def: $vgpr0_vgpr1
.LBB38_1057:
	s_mov_b32 s9, 0
.LBB38_1058:
	s_delay_alu instid0(SALU_CYCLE_1)
	s_and_b32 vcc_lo, exec_lo, s9
	s_cbranch_vccz .LBB38_1076
; %bb.1059:
	s_cmp_lt_i32 s0, 27
	s_cbranch_scc1 .LBB38_1062
; %bb.1060:
	s_cmp_gt_i32 s0, 27
	s_cbranch_scc0 .LBB38_1063
; %bb.1061:
	global_load_b32 v0, v[4:5], off
	s_mov_b32 s9, 0
	s_wait_loadcnt 0x0
	v_cvt_f64_u32_e32 v[0:1], v0
	s_branch .LBB38_1064
.LBB38_1062:
	s_mov_b32 s9, -1
                                        ; implicit-def: $vgpr0_vgpr1
	s_branch .LBB38_1067
.LBB38_1063:
	s_mov_b32 s9, -1
                                        ; implicit-def: $vgpr0_vgpr1
.LBB38_1064:
	s_delay_alu instid0(SALU_CYCLE_1)
	s_and_not1_b32 vcc_lo, exec_lo, s9
	s_cbranch_vccnz .LBB38_1066
; %bb.1065:
	global_load_u16 v0, v[4:5], off
	s_wait_loadcnt 0x0
	v_cvt_f64_u32_e32 v[0:1], v0
.LBB38_1066:
	s_mov_b32 s9, 0
.LBB38_1067:
	s_delay_alu instid0(SALU_CYCLE_1)
	s_and_not1_b32 vcc_lo, exec_lo, s9
	s_cbranch_vccnz .LBB38_1075
; %bb.1068:
	global_load_u8 v3, v[4:5], off
	s_mov_b32 s9, 0
	s_mov_b32 s13, exec_lo
	s_wait_loadcnt 0x0
	v_cmpx_lt_i16_e32 0x7f, v3
	s_xor_b32 s13, exec_lo, s13
	s_cbranch_execz .LBB38_1088
; %bb.1069:
	s_mov_b32 s9, -1
	s_mov_b32 s14, exec_lo
	v_cmpx_eq_u16_e32 0x80, v3
; %bb.1070:
	s_xor_b32 s9, exec_lo, -1
; %bb.1071:
	s_or_b32 exec_lo, exec_lo, s14
	s_delay_alu instid0(SALU_CYCLE_1)
	s_and_b32 s9, s9, exec_lo
	s_or_saveexec_b32 s13, s13
	v_mov_b64_e32 v[0:1], 0x7ff8000020000000
	s_xor_b32 exec_lo, exec_lo, s13
	s_cbranch_execnz .LBB38_1089
.LBB38_1072:
	s_or_b32 exec_lo, exec_lo, s13
	s_and_saveexec_b32 s13, s9
	s_cbranch_execz .LBB38_1074
.LBB38_1073:
	v_and_b32_e32 v0, 0xffff, v3
	s_delay_alu instid0(VALU_DEP_1) | instskip(SKIP_1) | instid1(VALU_DEP_2)
	v_and_b32_e32 v1, 7, v0
	v_bfe_u32 v8, v0, 3, 4
	v_clz_i32_u32_e32 v6, v1
	s_delay_alu instid0(VALU_DEP_2) | instskip(NEXT) | instid1(VALU_DEP_2)
	v_cmp_eq_u32_e32 vcc_lo, 0, v8
	v_min_u32_e32 v6, 32, v6
	s_delay_alu instid0(VALU_DEP_1) | instskip(NEXT) | instid1(VALU_DEP_1)
	v_subrev_nc_u32_e32 v7, 28, v6
	v_dual_lshlrev_b32 v0, v7, v0 :: v_dual_sub_nc_u32 v6, 29, v6
	s_delay_alu instid0(VALU_DEP_1) | instskip(NEXT) | instid1(VALU_DEP_1)
	v_dual_lshlrev_b32 v3, 24, v3 :: v_dual_bitop2_b32 v0, 7, v0 bitop3:0x40
	v_dual_cndmask_b32 v6, v8, v6, vcc_lo :: v_dual_cndmask_b32 v0, v1, v0, vcc_lo
	s_delay_alu instid0(VALU_DEP_2) | instskip(NEXT) | instid1(VALU_DEP_2)
	v_and_b32_e32 v1, 0x80000000, v3
	v_lshl_add_u32 v3, v6, 23, 0x3b800000
	s_delay_alu instid0(VALU_DEP_3) | instskip(NEXT) | instid1(VALU_DEP_1)
	v_lshlrev_b32_e32 v0, 20, v0
	v_or3_b32 v0, v1, v3, v0
	s_delay_alu instid0(VALU_DEP_1)
	v_cvt_f64_f32_e32 v[0:1], v0
.LBB38_1074:
	s_or_b32 exec_lo, exec_lo, s13
.LBB38_1075:
	s_mov_b32 s13, -1
.LBB38_1076:
	s_branch .LBB38_1108
.LBB38_1077:
	s_cmp_gt_i32 s0, 22
	s_cbranch_scc0 .LBB38_1087
; %bb.1078:
	s_cmp_lt_i32 s0, 24
	s_cbranch_scc1 .LBB38_1090
; %bb.1079:
	s_cmp_gt_i32 s0, 24
	s_cbranch_scc0 .LBB38_1091
; %bb.1080:
	global_load_u8 v3, v[4:5], off
	s_mov_b32 s9, 0
	s_mov_b32 s10, exec_lo
	s_wait_loadcnt 0x0
	v_cmpx_lt_i16_e32 0x7f, v3
	s_xor_b32 s10, exec_lo, s10
	s_cbranch_execz .LBB38_1102
; %bb.1081:
	s_mov_b32 s9, -1
	s_mov_b32 s13, exec_lo
	v_cmpx_eq_u16_e32 0x80, v3
; %bb.1082:
	s_xor_b32 s9, exec_lo, -1
; %bb.1083:
	s_or_b32 exec_lo, exec_lo, s13
	s_delay_alu instid0(SALU_CYCLE_1)
	s_and_b32 s9, s9, exec_lo
	s_or_saveexec_b32 s10, s10
	v_mov_b64_e32 v[0:1], 0x7ff8000020000000
	s_xor_b32 exec_lo, exec_lo, s10
	s_cbranch_execnz .LBB38_1103
.LBB38_1084:
	s_or_b32 exec_lo, exec_lo, s10
	s_and_saveexec_b32 s10, s9
	s_cbranch_execz .LBB38_1086
.LBB38_1085:
	v_and_b32_e32 v0, 0xffff, v3
	s_delay_alu instid0(VALU_DEP_1) | instskip(SKIP_1) | instid1(VALU_DEP_2)
	v_and_b32_e32 v1, 3, v0
	v_bfe_u32 v8, v0, 2, 5
	v_clz_i32_u32_e32 v6, v1
	s_delay_alu instid0(VALU_DEP_2) | instskip(NEXT) | instid1(VALU_DEP_2)
	v_cmp_eq_u32_e32 vcc_lo, 0, v8
	v_min_u32_e32 v6, 32, v6
	s_delay_alu instid0(VALU_DEP_1) | instskip(NEXT) | instid1(VALU_DEP_1)
	v_subrev_nc_u32_e32 v7, 29, v6
	v_dual_lshlrev_b32 v0, v7, v0 :: v_dual_sub_nc_u32 v6, 30, v6
	s_delay_alu instid0(VALU_DEP_1) | instskip(NEXT) | instid1(VALU_DEP_1)
	v_dual_lshlrev_b32 v3, 24, v3 :: v_dual_bitop2_b32 v0, 3, v0 bitop3:0x40
	v_dual_cndmask_b32 v6, v8, v6, vcc_lo :: v_dual_cndmask_b32 v0, v1, v0, vcc_lo
	s_delay_alu instid0(VALU_DEP_2) | instskip(NEXT) | instid1(VALU_DEP_2)
	v_and_b32_e32 v1, 0x80000000, v3
	v_lshl_add_u32 v3, v6, 23, 0x37800000
	s_delay_alu instid0(VALU_DEP_3) | instskip(NEXT) | instid1(VALU_DEP_1)
	v_lshlrev_b32_e32 v0, 21, v0
	v_or3_b32 v0, v1, v3, v0
	s_delay_alu instid0(VALU_DEP_1)
	v_cvt_f64_f32_e32 v[0:1], v0
.LBB38_1086:
	s_or_b32 exec_lo, exec_lo, s10
	s_mov_b32 s9, 0
	s_branch .LBB38_1092
.LBB38_1087:
                                        ; implicit-def: $vgpr0_vgpr1
	s_mov_b32 s10, 0
	s_branch .LBB38_1098
.LBB38_1088:
	s_or_saveexec_b32 s13, s13
	v_mov_b64_e32 v[0:1], 0x7ff8000020000000
	s_xor_b32 exec_lo, exec_lo, s13
	s_cbranch_execz .LBB38_1072
.LBB38_1089:
	v_cmp_ne_u16_e32 vcc_lo, 0, v3
	v_mov_b64_e32 v[0:1], 0
	s_and_not1_b32 s9, s9, exec_lo
	s_and_b32 s14, vcc_lo, exec_lo
	s_delay_alu instid0(SALU_CYCLE_1)
	s_or_b32 s9, s9, s14
	s_or_b32 exec_lo, exec_lo, s13
	s_and_saveexec_b32 s13, s9
	s_cbranch_execnz .LBB38_1073
	s_branch .LBB38_1074
.LBB38_1090:
	s_mov_b32 s9, -1
                                        ; implicit-def: $vgpr0_vgpr1
	s_branch .LBB38_1095
.LBB38_1091:
	s_mov_b32 s9, -1
                                        ; implicit-def: $vgpr0_vgpr1
.LBB38_1092:
	s_delay_alu instid0(SALU_CYCLE_1)
	s_and_b32 vcc_lo, exec_lo, s9
	s_cbranch_vccz .LBB38_1094
; %bb.1093:
	global_load_u8 v0, v[4:5], off
	s_wait_loadcnt 0x0
	v_lshlrev_b32_e32 v0, 24, v0
	s_delay_alu instid0(VALU_DEP_1) | instskip(NEXT) | instid1(VALU_DEP_1)
	v_and_b32_e32 v1, 0x7f000000, v0
	v_clz_i32_u32_e32 v3, v1
	v_add_nc_u32_e32 v7, 0x1000000, v1
	v_cmp_ne_u32_e32 vcc_lo, 0, v1
	s_delay_alu instid0(VALU_DEP_3) | instskip(NEXT) | instid1(VALU_DEP_1)
	v_min_u32_e32 v3, 32, v3
	v_sub_nc_u32_e64 v3, v3, 4 clamp
	s_delay_alu instid0(VALU_DEP_1) | instskip(NEXT) | instid1(VALU_DEP_1)
	v_dual_lshlrev_b32 v6, v3, v1 :: v_dual_lshlrev_b32 v3, 23, v3
	v_lshrrev_b32_e32 v6, 4, v6
	s_delay_alu instid0(VALU_DEP_1) | instskip(SKIP_1) | instid1(VALU_DEP_2)
	v_sub_nc_u32_e32 v3, v6, v3
	v_ashrrev_i32_e32 v6, 8, v7
	v_add_nc_u32_e32 v3, 0x3c000000, v3
	s_delay_alu instid0(VALU_DEP_1) | instskip(NEXT) | instid1(VALU_DEP_1)
	v_and_or_b32 v3, 0x7f800000, v6, v3
	v_cndmask_b32_e32 v1, 0, v3, vcc_lo
	s_delay_alu instid0(VALU_DEP_1) | instskip(NEXT) | instid1(VALU_DEP_1)
	v_and_or_b32 v0, 0x80000000, v0, v1
	v_cvt_f64_f32_e32 v[0:1], v0
.LBB38_1094:
	s_mov_b32 s9, 0
.LBB38_1095:
	s_delay_alu instid0(SALU_CYCLE_1)
	s_and_not1_b32 vcc_lo, exec_lo, s9
	s_cbranch_vccnz .LBB38_1097
; %bb.1096:
	global_load_u8 v0, v[4:5], off
	s_wait_loadcnt 0x0
	v_lshlrev_b32_e32 v1, 25, v0
	v_lshlrev_b16 v0, 8, v0
	s_delay_alu instid0(VALU_DEP_1) | instskip(SKIP_1) | instid1(VALU_DEP_2)
	v_and_or_b32 v6, 0x7f00, v0, 0.5
	v_bfe_i32 v0, v0, 0, 16
	v_dual_add_f32 v6, -0.5, v6 :: v_dual_lshrrev_b32 v3, 4, v1
	v_cmp_gt_u32_e32 vcc_lo, 0x8000000, v1
	s_delay_alu instid0(VALU_DEP_2) | instskip(NEXT) | instid1(VALU_DEP_1)
	v_or_b32_e32 v3, 0x70000000, v3
	v_mul_f32_e32 v3, 0x7800000, v3
	s_delay_alu instid0(VALU_DEP_1) | instskip(NEXT) | instid1(VALU_DEP_1)
	v_cndmask_b32_e32 v1, v3, v6, vcc_lo
	v_and_or_b32 v0, 0x80000000, v0, v1
	s_delay_alu instid0(VALU_DEP_1)
	v_cvt_f64_f32_e32 v[0:1], v0
.LBB38_1097:
	s_mov_b32 s13, -1
	s_mov_b32 s10, 0
	s_cbranch_execnz .LBB38_1108
.LBB38_1098:
	s_cmp_gt_i32 s0, 14
	s_cbranch_scc0 .LBB38_1101
; %bb.1099:
	s_cmp_eq_u32 s0, 15
	s_cbranch_scc0 .LBB38_1104
; %bb.1100:
	global_load_u16 v0, v[4:5], off
	s_mov_b32 s1, 0
	s_mov_b32 s13, -1
	s_wait_loadcnt 0x0
	v_lshlrev_b32_e32 v0, 16, v0
	s_delay_alu instid0(VALU_DEP_1)
	v_cvt_f64_f32_e32 v[0:1], v0
	s_branch .LBB38_1105
.LBB38_1101:
	s_mov_b32 s9, -1
                                        ; implicit-def: $vgpr0_vgpr1
	s_branch .LBB38_1106
.LBB38_1102:
	s_or_saveexec_b32 s10, s10
	v_mov_b64_e32 v[0:1], 0x7ff8000020000000
	s_xor_b32 exec_lo, exec_lo, s10
	s_cbranch_execz .LBB38_1084
.LBB38_1103:
	v_cmp_ne_u16_e32 vcc_lo, 0, v3
	v_mov_b64_e32 v[0:1], 0
	s_and_not1_b32 s9, s9, exec_lo
	s_and_b32 s13, vcc_lo, exec_lo
	s_delay_alu instid0(SALU_CYCLE_1)
	s_or_b32 s9, s9, s13
	s_or_b32 exec_lo, exec_lo, s10
	s_and_saveexec_b32 s10, s9
	s_cbranch_execnz .LBB38_1085
	s_branch .LBB38_1086
.LBB38_1104:
	s_mov_b32 s1, -1
                                        ; implicit-def: $vgpr0_vgpr1
.LBB38_1105:
	s_mov_b32 s9, 0
.LBB38_1106:
	s_delay_alu instid0(SALU_CYCLE_1)
	s_and_b32 vcc_lo, exec_lo, s9
	s_cbranch_vccz .LBB38_1108
; %bb.1107:
	s_cmp_lg_u32 s0, 11
	s_mov_b32 s10, -1
	s_cselect_b32 s1, -1, 0
.LBB38_1108:
	s_delay_alu instid0(SALU_CYCLE_1)
	s_and_b32 vcc_lo, exec_lo, s1
	s_mov_b32 s9, s12
	s_cbranch_vccnz .LBB38_1169
; %bb.1109:
	s_and_not1_b32 vcc_lo, exec_lo, s10
	s_cbranch_vccnz .LBB38_1111
.LBB38_1110:
	global_load_u8 v0, v[4:5], off
	s_mov_b32 s13, -1
	s_wait_loadcnt 0x0
	v_cmp_ne_u16_e32 vcc_lo, 0, v0
	v_mov_b32_e32 v0, 0
	v_cndmask_b32_e64 v1, 0, 0x3ff00000, vcc_lo
.LBB38_1111:
	s_branch .LBB38_1040
.LBB38_1112:
	s_cmp_lt_i32 s0, 5
	s_cbranch_scc1 .LBB38_1117
; %bb.1113:
	s_cmp_lt_i32 s0, 8
	s_cbranch_scc1 .LBB38_1118
; %bb.1114:
	;; [unrolled: 3-line block ×3, first 2 shown]
	s_cmp_gt_i32 s0, 9
	s_cbranch_scc0 .LBB38_1120
; %bb.1116:
	global_load_b64 v[0:1], v[4:5], off
	s_mov_b32 s1, 0
	s_branch .LBB38_1121
.LBB38_1117:
                                        ; implicit-def: $vgpr0_vgpr1
	s_branch .LBB38_1138
.LBB38_1118:
                                        ; implicit-def: $vgpr0_vgpr1
	s_branch .LBB38_1127
.LBB38_1119:
	s_mov_b32 s1, -1
                                        ; implicit-def: $vgpr0_vgpr1
	s_branch .LBB38_1124
.LBB38_1120:
	s_mov_b32 s1, -1
                                        ; implicit-def: $vgpr0_vgpr1
.LBB38_1121:
	s_delay_alu instid0(SALU_CYCLE_1)
	s_and_not1_b32 vcc_lo, exec_lo, s1
	s_cbranch_vccnz .LBB38_1123
; %bb.1122:
	s_wait_loadcnt 0x0
	global_load_b32 v0, v[4:5], off
	s_wait_loadcnt 0x0
	v_cvt_f64_f32_e32 v[0:1], v0
.LBB38_1123:
	s_mov_b32 s1, 0
.LBB38_1124:
	s_delay_alu instid0(SALU_CYCLE_1)
	s_and_not1_b32 vcc_lo, exec_lo, s1
	s_cbranch_vccnz .LBB38_1126
; %bb.1125:
	s_wait_loadcnt 0x0
	global_load_b32 v0, v[4:5], off
	s_wait_loadcnt 0x0
	v_cvt_f32_f16_e32 v0, v0
	s_delay_alu instid0(VALU_DEP_1)
	v_cvt_f64_f32_e32 v[0:1], v0
.LBB38_1126:
	s_cbranch_execnz .LBB38_1137
.LBB38_1127:
	s_cmp_lt_i32 s0, 6
	s_cbranch_scc1 .LBB38_1130
; %bb.1128:
	s_cmp_gt_i32 s0, 6
	s_cbranch_scc0 .LBB38_1131
; %bb.1129:
	s_wait_loadcnt 0x0
	global_load_b64 v[0:1], v[4:5], off
	s_mov_b32 s1, 0
	s_branch .LBB38_1132
.LBB38_1130:
	s_mov_b32 s1, -1
                                        ; implicit-def: $vgpr0_vgpr1
	s_branch .LBB38_1135
.LBB38_1131:
	s_mov_b32 s1, -1
                                        ; implicit-def: $vgpr0_vgpr1
.LBB38_1132:
	s_delay_alu instid0(SALU_CYCLE_1)
	s_and_not1_b32 vcc_lo, exec_lo, s1
	s_cbranch_vccnz .LBB38_1134
; %bb.1133:
	s_wait_loadcnt 0x0
	global_load_b32 v0, v[4:5], off
	s_wait_loadcnt 0x0
	v_cvt_f64_f32_e32 v[0:1], v0
.LBB38_1134:
	s_mov_b32 s1, 0
.LBB38_1135:
	s_delay_alu instid0(SALU_CYCLE_1)
	s_and_not1_b32 vcc_lo, exec_lo, s1
	s_cbranch_vccnz .LBB38_1137
; %bb.1136:
	s_wait_loadcnt 0x0
	global_load_u16 v0, v[4:5], off
	s_wait_loadcnt 0x0
	v_cvt_f32_f16_e32 v0, v0
	s_delay_alu instid0(VALU_DEP_1)
	v_cvt_f64_f32_e32 v[0:1], v0
.LBB38_1137:
	s_cbranch_execnz .LBB38_1156
.LBB38_1138:
	s_cmp_lt_i32 s0, 2
	s_cbranch_scc1 .LBB38_1142
; %bb.1139:
	s_cmp_lt_i32 s0, 3
	s_cbranch_scc1 .LBB38_1143
; %bb.1140:
	s_cmp_gt_i32 s0, 3
	s_cbranch_scc0 .LBB38_1144
; %bb.1141:
	s_wait_loadcnt 0x0
	global_load_b64 v[0:1], v[4:5], off
	s_mov_b32 s1, 0
	s_wait_loadcnt 0x0
	v_cvt_f64_i32_e32 v[6:7], v1
	v_cvt_f64_u32_e32 v[0:1], v0
	s_delay_alu instid0(VALU_DEP_2) | instskip(NEXT) | instid1(VALU_DEP_1)
	v_ldexp_f64 v[6:7], v[6:7], 32
	v_add_f64_e32 v[0:1], v[6:7], v[0:1]
	s_branch .LBB38_1145
.LBB38_1142:
                                        ; implicit-def: $vgpr0_vgpr1
	s_branch .LBB38_1151
.LBB38_1143:
	s_mov_b32 s1, -1
                                        ; implicit-def: $vgpr0_vgpr1
	s_branch .LBB38_1148
.LBB38_1144:
	s_mov_b32 s1, -1
                                        ; implicit-def: $vgpr0_vgpr1
.LBB38_1145:
	s_delay_alu instid0(SALU_CYCLE_1)
	s_and_not1_b32 vcc_lo, exec_lo, s1
	s_cbranch_vccnz .LBB38_1147
; %bb.1146:
	s_wait_loadcnt 0x0
	global_load_b32 v0, v[4:5], off
	s_wait_loadcnt 0x0
	v_cvt_f64_i32_e32 v[0:1], v0
.LBB38_1147:
	s_mov_b32 s1, 0
.LBB38_1148:
	s_delay_alu instid0(SALU_CYCLE_1)
	s_and_not1_b32 vcc_lo, exec_lo, s1
	s_cbranch_vccnz .LBB38_1150
; %bb.1149:
	s_wait_loadcnt 0x0
	global_load_i16 v0, v[4:5], off
	s_wait_loadcnt 0x0
	v_cvt_f64_i32_e32 v[0:1], v0
.LBB38_1150:
	s_cbranch_execnz .LBB38_1156
.LBB38_1151:
	s_cmp_gt_i32 s0, 0
	s_mov_b32 s1, 0
	s_cbranch_scc0 .LBB38_1153
; %bb.1152:
	s_wait_loadcnt 0x0
	global_load_i8 v0, v[4:5], off
	s_wait_loadcnt 0x0
	v_cvt_f64_i32_e32 v[0:1], v0
	s_branch .LBB38_1154
.LBB38_1153:
	s_mov_b32 s1, -1
                                        ; implicit-def: $vgpr0_vgpr1
.LBB38_1154:
	s_delay_alu instid0(SALU_CYCLE_1)
	s_and_not1_b32 vcc_lo, exec_lo, s1
	s_cbranch_vccnz .LBB38_1156
; %bb.1155:
	s_wait_loadcnt 0x0
	global_load_u8 v0, v[4:5], off
	s_wait_loadcnt 0x0
	v_cvt_f64_u32_e32 v[0:1], v0
.LBB38_1156:
.LBB38_1157:
	s_lshl_b32 s1, s3, 7
	s_cmp_lt_i32 s0, 11
	s_wait_xcnt 0x0
	v_add_nc_u32_e32 v4, s1, v2
	s_delay_alu instid0(VALU_DEP_1) | instskip(NEXT) | instid1(VALU_DEP_1)
	v_ashrrev_i32_e32 v5, 31, v4
	v_add_nc_u64_e32 v[6:7], s[6:7], v[4:5]
	s_cbranch_scc1 .LBB38_1164
; %bb.1158:
	s_cmp_gt_i32 s0, 25
	s_mov_b32 s10, 0
	s_cbranch_scc0 .LBB38_1166
; %bb.1159:
	s_cmp_gt_i32 s0, 28
	s_cbranch_scc0 .LBB38_1167
; %bb.1160:
	s_cmp_gt_i32 s0, 43
	;; [unrolled: 3-line block ×3, first 2 shown]
	s_cbranch_scc0 .LBB38_1170
; %bb.1162:
	s_cmp_eq_u32 s0, 46
	s_mov_b32 s14, 0
	s_cbranch_scc0 .LBB38_1173
; %bb.1163:
	global_load_b32 v2, v[6:7], off
	s_mov_b32 s3, 0
	s_mov_b32 s13, -1
	s_wait_loadcnt 0x0
	v_lshlrev_b32_e32 v2, 16, v2
	s_delay_alu instid0(VALU_DEP_1)
	v_cvt_f64_f32_e32 v[2:3], v2
	s_branch .LBB38_1175
.LBB38_1164:
	s_mov_b32 s13, 0
                                        ; implicit-def: $vgpr2_vgpr3
	s_cbranch_execnz .LBB38_1240
.LBB38_1165:
	s_and_not1_b32 vcc_lo, exec_lo, s13
	s_cbranch_vccnz .LBB38_1981
	s_branch .LBB38_1287
.LBB38_1166:
	s_mov_b32 s13, 0
	s_mov_b32 s3, 0
                                        ; implicit-def: $vgpr2_vgpr3
	s_cbranch_execnz .LBB38_1204
	s_branch .LBB38_1236
.LBB38_1167:
	s_mov_b32 s14, -1
	s_mov_b32 s13, 0
	s_mov_b32 s3, 0
                                        ; implicit-def: $vgpr2_vgpr3
	s_branch .LBB38_1185
.LBB38_1168:
	s_mov_b32 s14, -1
	s_mov_b32 s13, 0
	s_mov_b32 s3, 0
                                        ; implicit-def: $vgpr2_vgpr3
	s_branch .LBB38_1180
.LBB38_1169:
	s_or_b32 s9, s12, exec_lo
	s_trap 2
	s_cbranch_execz .LBB38_1110
	s_branch .LBB38_1111
.LBB38_1170:
	s_mov_b32 s14, -1
	s_mov_b32 s13, 0
	s_mov_b32 s3, 0
	s_branch .LBB38_1174
.LBB38_1171:
	s_and_not1_saveexec_b32 s20, s20
	s_cbranch_execz .LBB38_956
.LBB38_1172:
	v_add_f32_e32 v2, 0x42800000, v3
	s_and_not1_b32 s19, s19, exec_lo
	s_delay_alu instid0(VALU_DEP_1) | instskip(NEXT) | instid1(VALU_DEP_1)
	v_and_b32_e32 v2, 0xff, v2
	v_cmp_ne_u32_e32 vcc_lo, 0, v2
	s_and_b32 s21, vcc_lo, exec_lo
	s_delay_alu instid0(SALU_CYCLE_1)
	s_or_b32 s19, s19, s21
	s_or_b32 exec_lo, exec_lo, s20
	v_mov_b32_e32 v4, 0
	s_and_saveexec_b32 s20, s19
	s_cbranch_execnz .LBB38_957
	s_branch .LBB38_958
.LBB38_1173:
	s_mov_b32 s3, -1
	s_mov_b32 s13, 0
.LBB38_1174:
                                        ; implicit-def: $vgpr2_vgpr3
.LBB38_1175:
	s_and_b32 vcc_lo, exec_lo, s14
	s_cbranch_vccz .LBB38_1179
; %bb.1176:
	s_cmp_eq_u32 s0, 44
	s_cbranch_scc0 .LBB38_1178
; %bb.1177:
	global_load_u8 v5, v[6:7], off
	s_mov_b32 s3, 0
	s_mov_b32 s13, -1
	s_wait_loadcnt 0x0
	v_cmp_ne_u32_e32 vcc_lo, 0xff, v5
	v_lshlrev_b32_e32 v2, 23, v5
	s_delay_alu instid0(VALU_DEP_1) | instskip(NEXT) | instid1(VALU_DEP_1)
	v_cvt_f64_f32_e32 v[2:3], v2
	v_cndmask_b32_e32 v2, 0x20000000, v2, vcc_lo
	s_delay_alu instid0(VALU_DEP_2) | instskip(SKIP_1) | instid1(VALU_DEP_2)
	v_cndmask_b32_e32 v3, 0x7ff80000, v3, vcc_lo
	v_cmp_ne_u32_e32 vcc_lo, 0, v5
	v_cndmask_b32_e32 v3, 0x38000000, v3, vcc_lo
	s_delay_alu instid0(VALU_DEP_4)
	v_cndmask_b32_e32 v2, 0, v2, vcc_lo
	s_branch .LBB38_1179
.LBB38_1178:
	s_mov_b32 s3, -1
                                        ; implicit-def: $vgpr2_vgpr3
.LBB38_1179:
	s_mov_b32 s14, 0
.LBB38_1180:
	s_delay_alu instid0(SALU_CYCLE_1)
	s_and_b32 vcc_lo, exec_lo, s14
	s_cbranch_vccz .LBB38_1184
; %bb.1181:
	s_cmp_eq_u32 s0, 29
	s_cbranch_scc0 .LBB38_1183
; %bb.1182:
	global_load_b64 v[2:3], v[6:7], off
	s_mov_b32 s3, 0
	s_mov_b32 s13, -1
	s_mov_b32 s14, 0
	s_wait_loadcnt 0x0
	v_cvt_f64_u32_e32 v[8:9], v3
	v_cvt_f64_u32_e32 v[2:3], v2
	s_delay_alu instid0(VALU_DEP_2) | instskip(NEXT) | instid1(VALU_DEP_1)
	v_ldexp_f64 v[8:9], v[8:9], 32
	v_add_f64_e32 v[2:3], v[8:9], v[2:3]
	s_branch .LBB38_1185
.LBB38_1183:
	s_mov_b32 s3, -1
                                        ; implicit-def: $vgpr2_vgpr3
.LBB38_1184:
	s_mov_b32 s14, 0
.LBB38_1185:
	s_delay_alu instid0(SALU_CYCLE_1)
	s_and_b32 vcc_lo, exec_lo, s14
	s_cbranch_vccz .LBB38_1203
; %bb.1186:
	s_cmp_lt_i32 s0, 27
	s_cbranch_scc1 .LBB38_1189
; %bb.1187:
	s_cmp_gt_i32 s0, 27
	s_cbranch_scc0 .LBB38_1190
; %bb.1188:
	global_load_b32 v2, v[6:7], off
	s_mov_b32 s13, 0
	s_wait_loadcnt 0x0
	v_cvt_f64_u32_e32 v[2:3], v2
	s_branch .LBB38_1191
.LBB38_1189:
	s_mov_b32 s13, -1
                                        ; implicit-def: $vgpr2_vgpr3
	s_branch .LBB38_1194
.LBB38_1190:
	s_mov_b32 s13, -1
                                        ; implicit-def: $vgpr2_vgpr3
.LBB38_1191:
	s_delay_alu instid0(SALU_CYCLE_1)
	s_and_not1_b32 vcc_lo, exec_lo, s13
	s_cbranch_vccnz .LBB38_1193
; %bb.1192:
	global_load_u16 v2, v[6:7], off
	s_wait_loadcnt 0x0
	v_cvt_f64_u32_e32 v[2:3], v2
.LBB38_1193:
	s_mov_b32 s13, 0
.LBB38_1194:
	s_delay_alu instid0(SALU_CYCLE_1)
	s_and_not1_b32 vcc_lo, exec_lo, s13
	s_cbranch_vccnz .LBB38_1202
; %bb.1195:
	global_load_u8 v5, v[6:7], off
	s_mov_b32 s13, 0
	s_mov_b32 s14, exec_lo
	s_wait_loadcnt 0x0
	v_cmpx_lt_i16_e32 0x7f, v5
	s_xor_b32 s14, exec_lo, s14
	s_cbranch_execz .LBB38_1215
; %bb.1196:
	s_mov_b32 s13, -1
	s_mov_b32 s15, exec_lo
	v_cmpx_eq_u16_e32 0x80, v5
; %bb.1197:
	s_xor_b32 s13, exec_lo, -1
; %bb.1198:
	s_or_b32 exec_lo, exec_lo, s15
	s_delay_alu instid0(SALU_CYCLE_1)
	s_and_b32 s13, s13, exec_lo
	s_or_saveexec_b32 s14, s14
	v_mov_b64_e32 v[2:3], 0x7ff8000020000000
	s_xor_b32 exec_lo, exec_lo, s14
	s_cbranch_execnz .LBB38_1216
.LBB38_1199:
	s_or_b32 exec_lo, exec_lo, s14
	s_and_saveexec_b32 s14, s13
	s_cbranch_execz .LBB38_1201
.LBB38_1200:
	v_and_b32_e32 v2, 0xffff, v5
	s_delay_alu instid0(VALU_DEP_1) | instskip(SKIP_1) | instid1(VALU_DEP_2)
	v_and_b32_e32 v3, 7, v2
	v_bfe_u32 v11, v2, 3, 4
	v_clz_i32_u32_e32 v8, v3
	s_delay_alu instid0(VALU_DEP_2) | instskip(NEXT) | instid1(VALU_DEP_2)
	v_cmp_eq_u32_e32 vcc_lo, 0, v11
	v_min_u32_e32 v8, 32, v8
	s_delay_alu instid0(VALU_DEP_1) | instskip(NEXT) | instid1(VALU_DEP_1)
	v_subrev_nc_u32_e32 v9, 28, v8
	v_dual_lshlrev_b32 v2, v9, v2 :: v_dual_sub_nc_u32 v8, 29, v8
	s_delay_alu instid0(VALU_DEP_1) | instskip(NEXT) | instid1(VALU_DEP_2)
	v_dual_lshlrev_b32 v5, 24, v5 :: v_dual_bitop2_b32 v2, 7, v2 bitop3:0x40
	v_cndmask_b32_e32 v8, v11, v8, vcc_lo
	s_delay_alu instid0(VALU_DEP_2) | instskip(NEXT) | instid1(VALU_DEP_3)
	v_cndmask_b32_e32 v2, v3, v2, vcc_lo
	v_and_b32_e32 v3, 0x80000000, v5
	s_delay_alu instid0(VALU_DEP_3) | instskip(NEXT) | instid1(VALU_DEP_3)
	v_lshl_add_u32 v5, v8, 23, 0x3b800000
	v_lshlrev_b32_e32 v2, 20, v2
	s_delay_alu instid0(VALU_DEP_1) | instskip(NEXT) | instid1(VALU_DEP_1)
	v_or3_b32 v2, v3, v5, v2
	v_cvt_f64_f32_e32 v[2:3], v2
.LBB38_1201:
	s_or_b32 exec_lo, exec_lo, s14
.LBB38_1202:
	s_mov_b32 s13, -1
.LBB38_1203:
	s_branch .LBB38_1236
.LBB38_1204:
	s_cmp_gt_i32 s0, 22
	s_cbranch_scc0 .LBB38_1214
; %bb.1205:
	s_cmp_lt_i32 s0, 24
	s_cbranch_scc1 .LBB38_1217
; %bb.1206:
	s_cmp_gt_i32 s0, 24
	s_cbranch_scc0 .LBB38_1218
; %bb.1207:
	global_load_u8 v5, v[6:7], off
	s_mov_b32 s13, exec_lo
	s_wait_loadcnt 0x0
	v_cmpx_lt_i16_e32 0x7f, v5
	s_xor_b32 s13, exec_lo, s13
	s_cbranch_execz .LBB38_1230
; %bb.1208:
	s_mov_b32 s10, -1
	s_mov_b32 s14, exec_lo
	v_cmpx_eq_u16_e32 0x80, v5
; %bb.1209:
	s_xor_b32 s10, exec_lo, -1
; %bb.1210:
	s_or_b32 exec_lo, exec_lo, s14
	s_delay_alu instid0(SALU_CYCLE_1)
	s_and_b32 s10, s10, exec_lo
	s_or_saveexec_b32 s13, s13
	v_mov_b64_e32 v[2:3], 0x7ff8000020000000
	s_xor_b32 exec_lo, exec_lo, s13
	s_cbranch_execnz .LBB38_1231
.LBB38_1211:
	s_or_b32 exec_lo, exec_lo, s13
	s_and_saveexec_b32 s13, s10
	s_cbranch_execz .LBB38_1213
.LBB38_1212:
	v_and_b32_e32 v2, 0xffff, v5
	s_delay_alu instid0(VALU_DEP_1) | instskip(SKIP_1) | instid1(VALU_DEP_2)
	v_and_b32_e32 v3, 3, v2
	v_bfe_u32 v11, v2, 2, 5
	v_clz_i32_u32_e32 v8, v3
	s_delay_alu instid0(VALU_DEP_2) | instskip(NEXT) | instid1(VALU_DEP_2)
	v_cmp_eq_u32_e32 vcc_lo, 0, v11
	v_min_u32_e32 v8, 32, v8
	s_delay_alu instid0(VALU_DEP_1) | instskip(NEXT) | instid1(VALU_DEP_1)
	v_subrev_nc_u32_e32 v9, 29, v8
	v_dual_lshlrev_b32 v2, v9, v2 :: v_dual_sub_nc_u32 v8, 30, v8
	s_delay_alu instid0(VALU_DEP_1) | instskip(NEXT) | instid1(VALU_DEP_2)
	v_dual_lshlrev_b32 v5, 24, v5 :: v_dual_bitop2_b32 v2, 3, v2 bitop3:0x40
	v_cndmask_b32_e32 v8, v11, v8, vcc_lo
	s_delay_alu instid0(VALU_DEP_2) | instskip(NEXT) | instid1(VALU_DEP_3)
	v_cndmask_b32_e32 v2, v3, v2, vcc_lo
	v_and_b32_e32 v3, 0x80000000, v5
	s_delay_alu instid0(VALU_DEP_3) | instskip(NEXT) | instid1(VALU_DEP_3)
	v_lshl_add_u32 v5, v8, 23, 0x37800000
	v_lshlrev_b32_e32 v2, 21, v2
	s_delay_alu instid0(VALU_DEP_1) | instskip(NEXT) | instid1(VALU_DEP_1)
	v_or3_b32 v2, v3, v5, v2
	v_cvt_f64_f32_e32 v[2:3], v2
.LBB38_1213:
	s_or_b32 exec_lo, exec_lo, s13
	s_mov_b32 s10, 0
	s_branch .LBB38_1219
.LBB38_1214:
	s_mov_b32 s10, -1
                                        ; implicit-def: $vgpr2_vgpr3
	s_branch .LBB38_1225
.LBB38_1215:
	s_or_saveexec_b32 s14, s14
	v_mov_b64_e32 v[2:3], 0x7ff8000020000000
	s_xor_b32 exec_lo, exec_lo, s14
	s_cbranch_execz .LBB38_1199
.LBB38_1216:
	v_cmp_ne_u16_e32 vcc_lo, 0, v5
	v_mov_b64_e32 v[2:3], 0
	s_and_not1_b32 s13, s13, exec_lo
	s_and_b32 s15, vcc_lo, exec_lo
	s_delay_alu instid0(SALU_CYCLE_1)
	s_or_b32 s13, s13, s15
	s_or_b32 exec_lo, exec_lo, s14
	s_and_saveexec_b32 s14, s13
	s_cbranch_execnz .LBB38_1200
	s_branch .LBB38_1201
.LBB38_1217:
	s_mov_b32 s10, -1
                                        ; implicit-def: $vgpr2_vgpr3
	s_branch .LBB38_1222
.LBB38_1218:
	s_mov_b32 s10, -1
                                        ; implicit-def: $vgpr2_vgpr3
.LBB38_1219:
	s_delay_alu instid0(SALU_CYCLE_1)
	s_and_b32 vcc_lo, exec_lo, s10
	s_cbranch_vccz .LBB38_1221
; %bb.1220:
	global_load_u8 v2, v[6:7], off
	s_wait_loadcnt 0x0
	v_lshlrev_b32_e32 v2, 24, v2
	s_delay_alu instid0(VALU_DEP_1) | instskip(NEXT) | instid1(VALU_DEP_1)
	v_and_b32_e32 v3, 0x7f000000, v2
	v_clz_i32_u32_e32 v5, v3
	v_add_nc_u32_e32 v9, 0x1000000, v3
	v_cmp_ne_u32_e32 vcc_lo, 0, v3
	s_delay_alu instid0(VALU_DEP_3) | instskip(NEXT) | instid1(VALU_DEP_1)
	v_min_u32_e32 v5, 32, v5
	v_sub_nc_u32_e64 v5, v5, 4 clamp
	s_delay_alu instid0(VALU_DEP_1) | instskip(NEXT) | instid1(VALU_DEP_1)
	v_dual_lshlrev_b32 v8, v5, v3 :: v_dual_lshlrev_b32 v5, 23, v5
	v_lshrrev_b32_e32 v8, 4, v8
	s_delay_alu instid0(VALU_DEP_1) | instskip(SKIP_1) | instid1(VALU_DEP_2)
	v_sub_nc_u32_e32 v5, v8, v5
	v_ashrrev_i32_e32 v8, 8, v9
	v_add_nc_u32_e32 v5, 0x3c000000, v5
	s_delay_alu instid0(VALU_DEP_1) | instskip(NEXT) | instid1(VALU_DEP_1)
	v_and_or_b32 v5, 0x7f800000, v8, v5
	v_cndmask_b32_e32 v3, 0, v5, vcc_lo
	s_delay_alu instid0(VALU_DEP_1) | instskip(NEXT) | instid1(VALU_DEP_1)
	v_and_or_b32 v2, 0x80000000, v2, v3
	v_cvt_f64_f32_e32 v[2:3], v2
.LBB38_1221:
	s_mov_b32 s10, 0
.LBB38_1222:
	s_delay_alu instid0(SALU_CYCLE_1)
	s_and_not1_b32 vcc_lo, exec_lo, s10
	s_cbranch_vccnz .LBB38_1224
; %bb.1223:
	global_load_u8 v2, v[6:7], off
	s_wait_loadcnt 0x0
	v_lshlrev_b32_e32 v3, 25, v2
	v_lshlrev_b16 v2, 8, v2
	s_delay_alu instid0(VALU_DEP_1) | instskip(SKIP_1) | instid1(VALU_DEP_2)
	v_and_or_b32 v8, 0x7f00, v2, 0.5
	v_bfe_i32 v2, v2, 0, 16
	v_dual_add_f32 v8, -0.5, v8 :: v_dual_lshrrev_b32 v5, 4, v3
	v_cmp_gt_u32_e32 vcc_lo, 0x8000000, v3
	s_delay_alu instid0(VALU_DEP_2) | instskip(NEXT) | instid1(VALU_DEP_1)
	v_or_b32_e32 v5, 0x70000000, v5
	v_mul_f32_e32 v5, 0x7800000, v5
	s_delay_alu instid0(VALU_DEP_1) | instskip(NEXT) | instid1(VALU_DEP_1)
	v_cndmask_b32_e32 v3, v5, v8, vcc_lo
	v_and_or_b32 v2, 0x80000000, v2, v3
	s_delay_alu instid0(VALU_DEP_1)
	v_cvt_f64_f32_e32 v[2:3], v2
.LBB38_1224:
	s_mov_b32 s10, 0
	s_mov_b32 s13, -1
.LBB38_1225:
	s_and_not1_b32 vcc_lo, exec_lo, s10
	s_mov_b32 s10, 0
	s_cbranch_vccnz .LBB38_1236
; %bb.1226:
	s_cmp_gt_i32 s0, 14
	s_cbranch_scc0 .LBB38_1229
; %bb.1227:
	s_cmp_eq_u32 s0, 15
	s_cbranch_scc0 .LBB38_1232
; %bb.1228:
	global_load_u16 v2, v[6:7], off
	s_mov_b32 s3, 0
	s_mov_b32 s13, -1
	s_wait_loadcnt 0x0
	v_lshlrev_b32_e32 v2, 16, v2
	s_delay_alu instid0(VALU_DEP_1)
	v_cvt_f64_f32_e32 v[2:3], v2
	s_branch .LBB38_1234
.LBB38_1229:
	s_mov_b32 s10, -1
	s_branch .LBB38_1233
.LBB38_1230:
	s_or_saveexec_b32 s13, s13
	v_mov_b64_e32 v[2:3], 0x7ff8000020000000
	s_xor_b32 exec_lo, exec_lo, s13
	s_cbranch_execz .LBB38_1211
.LBB38_1231:
	v_cmp_ne_u16_e32 vcc_lo, 0, v5
	v_mov_b64_e32 v[2:3], 0
	s_and_not1_b32 s10, s10, exec_lo
	s_and_b32 s14, vcc_lo, exec_lo
	s_delay_alu instid0(SALU_CYCLE_1)
	s_or_b32 s10, s10, s14
	s_or_b32 exec_lo, exec_lo, s13
	s_and_saveexec_b32 s13, s10
	s_cbranch_execnz .LBB38_1212
	s_branch .LBB38_1213
.LBB38_1232:
	s_mov_b32 s3, -1
.LBB38_1233:
                                        ; implicit-def: $vgpr2_vgpr3
.LBB38_1234:
	s_and_b32 vcc_lo, exec_lo, s10
	s_mov_b32 s10, 0
	s_cbranch_vccz .LBB38_1236
; %bb.1235:
	s_cmp_lg_u32 s0, 11
	s_mov_b32 s10, -1
	s_cselect_b32 s3, -1, 0
.LBB38_1236:
	s_delay_alu instid0(SALU_CYCLE_1)
	s_and_b32 vcc_lo, exec_lo, s3
	s_cbranch_vccnz .LBB38_1299
; %bb.1237:
	s_and_not1_b32 vcc_lo, exec_lo, s10
	s_cbranch_vccnz .LBB38_1239
.LBB38_1238:
	global_load_u8 v2, v[6:7], off
	s_mov_b32 s13, -1
	s_wait_loadcnt 0x0
	v_cmp_ne_u16_e32 vcc_lo, 0, v2
	v_mov_b32_e32 v2, 0
	v_cndmask_b32_e64 v3, 0, 0x3ff00000, vcc_lo
.LBB38_1239:
	s_branch .LBB38_1165
.LBB38_1240:
	s_cmp_lt_i32 s0, 5
	s_cbranch_scc1 .LBB38_1245
; %bb.1241:
	s_cmp_lt_i32 s0, 8
	s_cbranch_scc1 .LBB38_1246
; %bb.1242:
	;; [unrolled: 3-line block ×3, first 2 shown]
	s_cmp_gt_i32 s0, 9
	s_cbranch_scc0 .LBB38_1248
; %bb.1244:
	global_load_b64 v[2:3], v[6:7], off
	s_mov_b32 s3, 0
	s_branch .LBB38_1249
.LBB38_1245:
                                        ; implicit-def: $vgpr2_vgpr3
	s_branch .LBB38_1267
.LBB38_1246:
	s_mov_b32 s3, -1
                                        ; implicit-def: $vgpr2_vgpr3
	s_branch .LBB38_1255
.LBB38_1247:
	s_mov_b32 s3, -1
                                        ; implicit-def: $vgpr2_vgpr3
	s_branch .LBB38_1252
.LBB38_1248:
	s_mov_b32 s3, -1
                                        ; implicit-def: $vgpr2_vgpr3
.LBB38_1249:
	s_delay_alu instid0(SALU_CYCLE_1)
	s_and_not1_b32 vcc_lo, exec_lo, s3
	s_cbranch_vccnz .LBB38_1251
; %bb.1250:
	s_wait_loadcnt 0x0
	global_load_b32 v2, v[6:7], off
	s_wait_loadcnt 0x0
	v_cvt_f64_f32_e32 v[2:3], v2
.LBB38_1251:
	s_mov_b32 s3, 0
.LBB38_1252:
	s_delay_alu instid0(SALU_CYCLE_1)
	s_and_not1_b32 vcc_lo, exec_lo, s3
	s_cbranch_vccnz .LBB38_1254
; %bb.1253:
	s_wait_loadcnt 0x0
	global_load_b32 v2, v[6:7], off
	s_wait_loadcnt 0x0
	v_cvt_f32_f16_e32 v2, v2
	s_delay_alu instid0(VALU_DEP_1)
	v_cvt_f64_f32_e32 v[2:3], v2
.LBB38_1254:
	s_mov_b32 s3, 0
.LBB38_1255:
	s_delay_alu instid0(SALU_CYCLE_1)
	s_and_not1_b32 vcc_lo, exec_lo, s3
	s_cbranch_vccnz .LBB38_1266
; %bb.1256:
	s_cmp_lt_i32 s0, 6
	s_cbranch_scc1 .LBB38_1259
; %bb.1257:
	s_cmp_gt_i32 s0, 6
	s_cbranch_scc0 .LBB38_1260
; %bb.1258:
	s_wait_loadcnt 0x0
	global_load_b64 v[2:3], v[6:7], off
	s_mov_b32 s3, 0
	s_branch .LBB38_1261
.LBB38_1259:
	s_mov_b32 s3, -1
                                        ; implicit-def: $vgpr2_vgpr3
	s_branch .LBB38_1264
.LBB38_1260:
	s_mov_b32 s3, -1
                                        ; implicit-def: $vgpr2_vgpr3
.LBB38_1261:
	s_delay_alu instid0(SALU_CYCLE_1)
	s_and_not1_b32 vcc_lo, exec_lo, s3
	s_cbranch_vccnz .LBB38_1263
; %bb.1262:
	s_wait_loadcnt 0x0
	global_load_b32 v2, v[6:7], off
	s_wait_loadcnt 0x0
	v_cvt_f64_f32_e32 v[2:3], v2
.LBB38_1263:
	s_mov_b32 s3, 0
.LBB38_1264:
	s_delay_alu instid0(SALU_CYCLE_1)
	s_and_not1_b32 vcc_lo, exec_lo, s3
	s_cbranch_vccnz .LBB38_1266
; %bb.1265:
	s_wait_loadcnt 0x0
	global_load_u16 v2, v[6:7], off
	s_wait_loadcnt 0x0
	v_cvt_f32_f16_e32 v2, v2
	s_delay_alu instid0(VALU_DEP_1)
	v_cvt_f64_f32_e32 v[2:3], v2
.LBB38_1266:
	s_cbranch_execnz .LBB38_1286
.LBB38_1267:
	s_cmp_lt_i32 s0, 2
	s_cbranch_scc1 .LBB38_1271
; %bb.1268:
	s_cmp_lt_i32 s0, 3
	s_cbranch_scc1 .LBB38_1272
; %bb.1269:
	s_cmp_gt_i32 s0, 3
	s_cbranch_scc0 .LBB38_1273
; %bb.1270:
	s_wait_loadcnt 0x0
	global_load_b64 v[2:3], v[6:7], off
	s_mov_b32 s3, 0
	s_wait_loadcnt 0x0
	v_cvt_f64_i32_e32 v[8:9], v3
	v_cvt_f64_u32_e32 v[2:3], v2
	s_delay_alu instid0(VALU_DEP_2) | instskip(NEXT) | instid1(VALU_DEP_1)
	v_ldexp_f64 v[8:9], v[8:9], 32
	v_add_f64_e32 v[2:3], v[8:9], v[2:3]
	s_branch .LBB38_1274
.LBB38_1271:
	s_mov_b32 s3, -1
                                        ; implicit-def: $vgpr2_vgpr3
	s_branch .LBB38_1280
.LBB38_1272:
	s_mov_b32 s3, -1
                                        ; implicit-def: $vgpr2_vgpr3
	s_branch .LBB38_1277
.LBB38_1273:
	s_mov_b32 s3, -1
                                        ; implicit-def: $vgpr2_vgpr3
.LBB38_1274:
	s_delay_alu instid0(SALU_CYCLE_1)
	s_and_not1_b32 vcc_lo, exec_lo, s3
	s_cbranch_vccnz .LBB38_1276
; %bb.1275:
	s_wait_loadcnt 0x0
	global_load_b32 v2, v[6:7], off
	s_wait_loadcnt 0x0
	v_cvt_f64_i32_e32 v[2:3], v2
.LBB38_1276:
	s_mov_b32 s3, 0
.LBB38_1277:
	s_delay_alu instid0(SALU_CYCLE_1)
	s_and_not1_b32 vcc_lo, exec_lo, s3
	s_cbranch_vccnz .LBB38_1279
; %bb.1278:
	s_wait_loadcnt 0x0
	global_load_i16 v2, v[6:7], off
	s_wait_loadcnt 0x0
	v_cvt_f64_i32_e32 v[2:3], v2
.LBB38_1279:
	s_mov_b32 s3, 0
.LBB38_1280:
	s_delay_alu instid0(SALU_CYCLE_1)
	s_and_not1_b32 vcc_lo, exec_lo, s3
	s_cbranch_vccnz .LBB38_1286
; %bb.1281:
	s_cmp_gt_i32 s0, 0
	s_mov_b32 s3, 0
	s_cbranch_scc0 .LBB38_1283
; %bb.1282:
	s_wait_loadcnt 0x0
	global_load_i8 v2, v[6:7], off
	s_wait_loadcnt 0x0
	v_cvt_f64_i32_e32 v[2:3], v2
	s_branch .LBB38_1284
.LBB38_1283:
	s_mov_b32 s3, -1
                                        ; implicit-def: $vgpr2_vgpr3
.LBB38_1284:
	s_delay_alu instid0(SALU_CYCLE_1)
	s_and_not1_b32 vcc_lo, exec_lo, s3
	s_cbranch_vccnz .LBB38_1286
; %bb.1285:
	s_wait_loadcnt 0x0
	global_load_u8 v2, v[6:7], off
	s_wait_loadcnt 0x0
	v_cvt_f64_u32_e32 v[2:3], v2
.LBB38_1286:
.LBB38_1287:
	s_wait_xcnt 0x0
	v_add_nc_u32_e32 v6, s1, v4
	s_cmp_lt_i32 s0, 11
	s_delay_alu instid0(VALU_DEP_1) | instskip(NEXT) | instid1(VALU_DEP_1)
	v_ashrrev_i32_e32 v7, 31, v6
	v_add_nc_u64_e32 v[8:9], s[6:7], v[6:7]
	s_cbranch_scc1 .LBB38_1294
; %bb.1288:
	s_cmp_gt_i32 s0, 25
	s_mov_b32 s10, 0
	s_cbranch_scc0 .LBB38_1296
; %bb.1289:
	s_cmp_gt_i32 s0, 28
	s_cbranch_scc0 .LBB38_1297
; %bb.1290:
	s_cmp_gt_i32 s0, 43
	;; [unrolled: 3-line block ×3, first 2 shown]
	s_cbranch_scc0 .LBB38_1300
; %bb.1292:
	s_cmp_eq_u32 s0, 46
	s_mov_b32 s14, 0
	s_cbranch_scc0 .LBB38_1301
; %bb.1293:
	global_load_b32 v4, v[8:9], off
	s_mov_b32 s3, 0
	s_mov_b32 s13, -1
	s_wait_loadcnt 0x0
	v_lshlrev_b32_e32 v4, 16, v4
	s_delay_alu instid0(VALU_DEP_1)
	v_cvt_f64_f32_e32 v[4:5], v4
	s_branch .LBB38_1303
.LBB38_1294:
	s_mov_b32 s13, 0
                                        ; implicit-def: $vgpr4_vgpr5
	s_cbranch_execnz .LBB38_1369
.LBB38_1295:
	s_and_not1_b32 vcc_lo, exec_lo, s13
	s_cbranch_vccnz .LBB38_1981
	s_branch .LBB38_1417
.LBB38_1296:
	s_mov_b32 s14, -1
	s_mov_b32 s13, 0
	s_mov_b32 s3, 0
                                        ; implicit-def: $vgpr4_vgpr5
	s_branch .LBB38_1332
.LBB38_1297:
	s_mov_b32 s14, -1
	s_mov_b32 s13, 0
	s_mov_b32 s3, 0
                                        ; implicit-def: $vgpr4_vgpr5
	s_branch .LBB38_1313
.LBB38_1298:
	s_mov_b32 s14, -1
	s_mov_b32 s13, 0
	s_mov_b32 s3, 0
                                        ; implicit-def: $vgpr4_vgpr5
	s_branch .LBB38_1308
.LBB38_1299:
	s_or_b32 s9, s9, exec_lo
	s_trap 2
	s_cbranch_execz .LBB38_1238
	s_branch .LBB38_1239
.LBB38_1300:
	s_mov_b32 s14, -1
	s_mov_b32 s13, 0
	s_mov_b32 s3, 0
	s_branch .LBB38_1302
.LBB38_1301:
	s_mov_b32 s3, -1
	s_mov_b32 s13, 0
.LBB38_1302:
                                        ; implicit-def: $vgpr4_vgpr5
.LBB38_1303:
	s_and_b32 vcc_lo, exec_lo, s14
	s_cbranch_vccz .LBB38_1307
; %bb.1304:
	s_cmp_eq_u32 s0, 44
	s_cbranch_scc0 .LBB38_1306
; %bb.1305:
	global_load_u8 v7, v[8:9], off
	s_mov_b32 s3, 0
	s_mov_b32 s13, -1
	s_wait_loadcnt 0x0
	v_cmp_ne_u32_e32 vcc_lo, 0xff, v7
	v_lshlrev_b32_e32 v4, 23, v7
	s_delay_alu instid0(VALU_DEP_1) | instskip(NEXT) | instid1(VALU_DEP_1)
	v_cvt_f64_f32_e32 v[4:5], v4
	v_cndmask_b32_e32 v4, 0x20000000, v4, vcc_lo
	s_delay_alu instid0(VALU_DEP_2) | instskip(SKIP_1) | instid1(VALU_DEP_2)
	v_cndmask_b32_e32 v5, 0x7ff80000, v5, vcc_lo
	v_cmp_ne_u32_e32 vcc_lo, 0, v7
	v_cndmask_b32_e32 v5, 0x38000000, v5, vcc_lo
	s_delay_alu instid0(VALU_DEP_4)
	v_cndmask_b32_e32 v4, 0, v4, vcc_lo
	s_branch .LBB38_1307
.LBB38_1306:
	s_mov_b32 s3, -1
                                        ; implicit-def: $vgpr4_vgpr5
.LBB38_1307:
	s_mov_b32 s14, 0
.LBB38_1308:
	s_delay_alu instid0(SALU_CYCLE_1)
	s_and_b32 vcc_lo, exec_lo, s14
	s_cbranch_vccz .LBB38_1312
; %bb.1309:
	s_cmp_eq_u32 s0, 29
	s_cbranch_scc0 .LBB38_1311
; %bb.1310:
	global_load_b64 v[4:5], v[8:9], off
	s_mov_b32 s3, 0
	s_mov_b32 s13, -1
	s_mov_b32 s14, 0
	s_wait_loadcnt 0x0
	v_cvt_f64_u32_e32 v[12:13], v5
	v_cvt_f64_u32_e32 v[4:5], v4
	s_delay_alu instid0(VALU_DEP_2) | instskip(NEXT) | instid1(VALU_DEP_1)
	v_ldexp_f64 v[12:13], v[12:13], 32
	v_add_f64_e32 v[4:5], v[12:13], v[4:5]
	s_branch .LBB38_1313
.LBB38_1311:
	s_mov_b32 s3, -1
                                        ; implicit-def: $vgpr4_vgpr5
.LBB38_1312:
	s_mov_b32 s14, 0
.LBB38_1313:
	s_delay_alu instid0(SALU_CYCLE_1)
	s_and_b32 vcc_lo, exec_lo, s14
	s_cbranch_vccz .LBB38_1331
; %bb.1314:
	s_cmp_lt_i32 s0, 27
	s_cbranch_scc1 .LBB38_1317
; %bb.1315:
	s_cmp_gt_i32 s0, 27
	s_cbranch_scc0 .LBB38_1318
; %bb.1316:
	global_load_b32 v4, v[8:9], off
	s_mov_b32 s13, 0
	s_wait_loadcnt 0x0
	v_cvt_f64_u32_e32 v[4:5], v4
	s_branch .LBB38_1319
.LBB38_1317:
	s_mov_b32 s13, -1
                                        ; implicit-def: $vgpr4_vgpr5
	s_branch .LBB38_1322
.LBB38_1318:
	s_mov_b32 s13, -1
                                        ; implicit-def: $vgpr4_vgpr5
.LBB38_1319:
	s_delay_alu instid0(SALU_CYCLE_1)
	s_and_not1_b32 vcc_lo, exec_lo, s13
	s_cbranch_vccnz .LBB38_1321
; %bb.1320:
	global_load_u16 v4, v[8:9], off
	s_wait_loadcnt 0x0
	v_cvt_f64_u32_e32 v[4:5], v4
.LBB38_1321:
	s_mov_b32 s13, 0
.LBB38_1322:
	s_delay_alu instid0(SALU_CYCLE_1)
	s_and_not1_b32 vcc_lo, exec_lo, s13
	s_cbranch_vccnz .LBB38_1330
; %bb.1323:
	global_load_u8 v7, v[8:9], off
	s_mov_b32 s13, 0
	s_mov_b32 s14, exec_lo
	s_wait_loadcnt 0x0
	v_cmpx_lt_i16_e32 0x7f, v7
	s_xor_b32 s14, exec_lo, s14
	s_cbranch_execz .LBB38_1344
; %bb.1324:
	s_mov_b32 s13, -1
	s_mov_b32 s15, exec_lo
	v_cmpx_eq_u16_e32 0x80, v7
; %bb.1325:
	s_xor_b32 s13, exec_lo, -1
; %bb.1326:
	s_or_b32 exec_lo, exec_lo, s15
	s_delay_alu instid0(SALU_CYCLE_1)
	s_and_b32 s13, s13, exec_lo
	s_or_saveexec_b32 s14, s14
	v_mov_b64_e32 v[4:5], 0x7ff8000020000000
	s_xor_b32 exec_lo, exec_lo, s14
	s_cbranch_execnz .LBB38_1345
.LBB38_1327:
	s_or_b32 exec_lo, exec_lo, s14
	s_and_saveexec_b32 s14, s13
	s_cbranch_execz .LBB38_1329
.LBB38_1328:
	v_and_b32_e32 v4, 0xffff, v7
	s_delay_alu instid0(VALU_DEP_1) | instskip(SKIP_1) | instid1(VALU_DEP_2)
	v_and_b32_e32 v5, 7, v4
	v_bfe_u32 v13, v4, 3, 4
	v_clz_i32_u32_e32 v11, v5
	s_delay_alu instid0(VALU_DEP_2) | instskip(NEXT) | instid1(VALU_DEP_2)
	v_cmp_eq_u32_e32 vcc_lo, 0, v13
	v_min_u32_e32 v11, 32, v11
	s_delay_alu instid0(VALU_DEP_1) | instskip(NEXT) | instid1(VALU_DEP_1)
	v_subrev_nc_u32_e32 v12, 28, v11
	v_dual_lshlrev_b32 v4, v12, v4 :: v_dual_sub_nc_u32 v11, 29, v11
	s_delay_alu instid0(VALU_DEP_1) | instskip(NEXT) | instid1(VALU_DEP_1)
	v_dual_lshlrev_b32 v7, 24, v7 :: v_dual_bitop2_b32 v4, 7, v4 bitop3:0x40
	v_cndmask_b32_e32 v4, v5, v4, vcc_lo
	s_delay_alu instid0(VALU_DEP_3) | instskip(NEXT) | instid1(VALU_DEP_3)
	v_cndmask_b32_e32 v11, v13, v11, vcc_lo
	v_and_b32_e32 v5, 0x80000000, v7
	s_delay_alu instid0(VALU_DEP_3) | instskip(NEXT) | instid1(VALU_DEP_3)
	v_lshlrev_b32_e32 v4, 20, v4
	v_lshl_add_u32 v7, v11, 23, 0x3b800000
	s_delay_alu instid0(VALU_DEP_1) | instskip(NEXT) | instid1(VALU_DEP_1)
	v_or3_b32 v4, v5, v7, v4
	v_cvt_f64_f32_e32 v[4:5], v4
.LBB38_1329:
	s_or_b32 exec_lo, exec_lo, s14
.LBB38_1330:
	s_mov_b32 s13, -1
.LBB38_1331:
	s_mov_b32 s14, 0
.LBB38_1332:
	s_delay_alu instid0(SALU_CYCLE_1)
	s_and_b32 vcc_lo, exec_lo, s14
	s_cbranch_vccz .LBB38_1365
; %bb.1333:
	s_cmp_gt_i32 s0, 22
	s_cbranch_scc0 .LBB38_1343
; %bb.1334:
	s_cmp_lt_i32 s0, 24
	s_cbranch_scc1 .LBB38_1346
; %bb.1335:
	s_cmp_gt_i32 s0, 24
	s_cbranch_scc0 .LBB38_1347
; %bb.1336:
	global_load_u8 v7, v[8:9], off
	s_mov_b32 s13, exec_lo
	s_wait_loadcnt 0x0
	v_cmpx_lt_i16_e32 0x7f, v7
	s_xor_b32 s13, exec_lo, s13
	s_cbranch_execz .LBB38_1359
; %bb.1337:
	s_mov_b32 s10, -1
	s_mov_b32 s14, exec_lo
	v_cmpx_eq_u16_e32 0x80, v7
; %bb.1338:
	s_xor_b32 s10, exec_lo, -1
; %bb.1339:
	s_or_b32 exec_lo, exec_lo, s14
	s_delay_alu instid0(SALU_CYCLE_1)
	s_and_b32 s10, s10, exec_lo
	s_or_saveexec_b32 s13, s13
	v_mov_b64_e32 v[4:5], 0x7ff8000020000000
	s_xor_b32 exec_lo, exec_lo, s13
	s_cbranch_execnz .LBB38_1360
.LBB38_1340:
	s_or_b32 exec_lo, exec_lo, s13
	s_and_saveexec_b32 s13, s10
	s_cbranch_execz .LBB38_1342
.LBB38_1341:
	v_and_b32_e32 v4, 0xffff, v7
	s_delay_alu instid0(VALU_DEP_1) | instskip(SKIP_1) | instid1(VALU_DEP_2)
	v_and_b32_e32 v5, 3, v4
	v_bfe_u32 v13, v4, 2, 5
	v_clz_i32_u32_e32 v11, v5
	s_delay_alu instid0(VALU_DEP_2) | instskip(NEXT) | instid1(VALU_DEP_2)
	v_cmp_eq_u32_e32 vcc_lo, 0, v13
	v_min_u32_e32 v11, 32, v11
	s_delay_alu instid0(VALU_DEP_1) | instskip(NEXT) | instid1(VALU_DEP_1)
	v_subrev_nc_u32_e32 v12, 29, v11
	v_dual_lshlrev_b32 v4, v12, v4 :: v_dual_sub_nc_u32 v11, 30, v11
	s_delay_alu instid0(VALU_DEP_1) | instskip(NEXT) | instid1(VALU_DEP_1)
	v_dual_lshlrev_b32 v7, 24, v7 :: v_dual_bitop2_b32 v4, 3, v4 bitop3:0x40
	v_cndmask_b32_e32 v4, v5, v4, vcc_lo
	s_delay_alu instid0(VALU_DEP_3) | instskip(NEXT) | instid1(VALU_DEP_3)
	v_cndmask_b32_e32 v11, v13, v11, vcc_lo
	v_and_b32_e32 v5, 0x80000000, v7
	s_delay_alu instid0(VALU_DEP_3) | instskip(NEXT) | instid1(VALU_DEP_3)
	v_lshlrev_b32_e32 v4, 21, v4
	v_lshl_add_u32 v7, v11, 23, 0x37800000
	s_delay_alu instid0(VALU_DEP_1) | instskip(NEXT) | instid1(VALU_DEP_1)
	v_or3_b32 v4, v5, v7, v4
	v_cvt_f64_f32_e32 v[4:5], v4
.LBB38_1342:
	s_or_b32 exec_lo, exec_lo, s13
	s_mov_b32 s10, 0
	s_branch .LBB38_1348
.LBB38_1343:
	s_mov_b32 s10, -1
                                        ; implicit-def: $vgpr4_vgpr5
	s_branch .LBB38_1354
.LBB38_1344:
	s_or_saveexec_b32 s14, s14
	v_mov_b64_e32 v[4:5], 0x7ff8000020000000
	s_xor_b32 exec_lo, exec_lo, s14
	s_cbranch_execz .LBB38_1327
.LBB38_1345:
	v_cmp_ne_u16_e32 vcc_lo, 0, v7
	v_mov_b64_e32 v[4:5], 0
	s_and_not1_b32 s13, s13, exec_lo
	s_and_b32 s15, vcc_lo, exec_lo
	s_delay_alu instid0(SALU_CYCLE_1)
	s_or_b32 s13, s13, s15
	s_or_b32 exec_lo, exec_lo, s14
	s_and_saveexec_b32 s14, s13
	s_cbranch_execnz .LBB38_1328
	s_branch .LBB38_1329
.LBB38_1346:
	s_mov_b32 s10, -1
                                        ; implicit-def: $vgpr4_vgpr5
	s_branch .LBB38_1351
.LBB38_1347:
	s_mov_b32 s10, -1
                                        ; implicit-def: $vgpr4_vgpr5
.LBB38_1348:
	s_delay_alu instid0(SALU_CYCLE_1)
	s_and_b32 vcc_lo, exec_lo, s10
	s_cbranch_vccz .LBB38_1350
; %bb.1349:
	global_load_u8 v4, v[8:9], off
	s_wait_loadcnt 0x0
	v_lshlrev_b32_e32 v4, 24, v4
	s_delay_alu instid0(VALU_DEP_1) | instskip(NEXT) | instid1(VALU_DEP_1)
	v_and_b32_e32 v5, 0x7f000000, v4
	v_clz_i32_u32_e32 v7, v5
	v_cmp_ne_u32_e32 vcc_lo, 0, v5
	v_add_nc_u32_e32 v12, 0x1000000, v5
	s_delay_alu instid0(VALU_DEP_3) | instskip(NEXT) | instid1(VALU_DEP_1)
	v_min_u32_e32 v7, 32, v7
	v_sub_nc_u32_e64 v7, v7, 4 clamp
	s_delay_alu instid0(VALU_DEP_1) | instskip(NEXT) | instid1(VALU_DEP_1)
	v_dual_lshlrev_b32 v11, v7, v5 :: v_dual_lshlrev_b32 v7, 23, v7
	v_lshrrev_b32_e32 v11, 4, v11
	s_delay_alu instid0(VALU_DEP_1) | instskip(NEXT) | instid1(VALU_DEP_1)
	v_dual_sub_nc_u32 v7, v11, v7 :: v_dual_ashrrev_i32 v11, 8, v12
	v_add_nc_u32_e32 v7, 0x3c000000, v7
	s_delay_alu instid0(VALU_DEP_1) | instskip(NEXT) | instid1(VALU_DEP_1)
	v_and_or_b32 v7, 0x7f800000, v11, v7
	v_cndmask_b32_e32 v5, 0, v7, vcc_lo
	s_delay_alu instid0(VALU_DEP_1) | instskip(NEXT) | instid1(VALU_DEP_1)
	v_and_or_b32 v4, 0x80000000, v4, v5
	v_cvt_f64_f32_e32 v[4:5], v4
.LBB38_1350:
	s_mov_b32 s10, 0
.LBB38_1351:
	s_delay_alu instid0(SALU_CYCLE_1)
	s_and_not1_b32 vcc_lo, exec_lo, s10
	s_cbranch_vccnz .LBB38_1353
; %bb.1352:
	global_load_u8 v4, v[8:9], off
	s_wait_loadcnt 0x0
	v_lshlrev_b32_e32 v5, 25, v4
	v_lshlrev_b16 v4, 8, v4
	s_delay_alu instid0(VALU_DEP_1) | instskip(SKIP_1) | instid1(VALU_DEP_2)
	v_and_or_b32 v11, 0x7f00, v4, 0.5
	v_bfe_i32 v4, v4, 0, 16
	v_dual_add_f32 v11, -0.5, v11 :: v_dual_lshrrev_b32 v7, 4, v5
	v_cmp_gt_u32_e32 vcc_lo, 0x8000000, v5
	s_delay_alu instid0(VALU_DEP_2) | instskip(NEXT) | instid1(VALU_DEP_1)
	v_or_b32_e32 v7, 0x70000000, v7
	v_mul_f32_e32 v7, 0x7800000, v7
	s_delay_alu instid0(VALU_DEP_1) | instskip(NEXT) | instid1(VALU_DEP_1)
	v_cndmask_b32_e32 v5, v7, v11, vcc_lo
	v_and_or_b32 v4, 0x80000000, v4, v5
	s_delay_alu instid0(VALU_DEP_1)
	v_cvt_f64_f32_e32 v[4:5], v4
.LBB38_1353:
	s_mov_b32 s10, 0
	s_mov_b32 s13, -1
.LBB38_1354:
	s_and_not1_b32 vcc_lo, exec_lo, s10
	s_mov_b32 s10, 0
	s_cbranch_vccnz .LBB38_1365
; %bb.1355:
	s_cmp_gt_i32 s0, 14
	s_cbranch_scc0 .LBB38_1358
; %bb.1356:
	s_cmp_eq_u32 s0, 15
	s_cbranch_scc0 .LBB38_1361
; %bb.1357:
	global_load_u16 v4, v[8:9], off
	s_mov_b32 s3, 0
	s_mov_b32 s13, -1
	s_wait_loadcnt 0x0
	v_lshlrev_b32_e32 v4, 16, v4
	s_delay_alu instid0(VALU_DEP_1)
	v_cvt_f64_f32_e32 v[4:5], v4
	s_branch .LBB38_1363
.LBB38_1358:
	s_mov_b32 s10, -1
	s_branch .LBB38_1362
.LBB38_1359:
	s_or_saveexec_b32 s13, s13
	v_mov_b64_e32 v[4:5], 0x7ff8000020000000
	s_xor_b32 exec_lo, exec_lo, s13
	s_cbranch_execz .LBB38_1340
.LBB38_1360:
	v_cmp_ne_u16_e32 vcc_lo, 0, v7
	v_mov_b64_e32 v[4:5], 0
	s_and_not1_b32 s10, s10, exec_lo
	s_and_b32 s14, vcc_lo, exec_lo
	s_delay_alu instid0(SALU_CYCLE_1)
	s_or_b32 s10, s10, s14
	s_or_b32 exec_lo, exec_lo, s13
	s_and_saveexec_b32 s13, s10
	s_cbranch_execnz .LBB38_1341
	s_branch .LBB38_1342
.LBB38_1361:
	s_mov_b32 s3, -1
.LBB38_1362:
                                        ; implicit-def: $vgpr4_vgpr5
.LBB38_1363:
	s_and_b32 vcc_lo, exec_lo, s10
	s_mov_b32 s10, 0
	s_cbranch_vccz .LBB38_1365
; %bb.1364:
	s_cmp_lg_u32 s0, 11
	s_mov_b32 s10, -1
	s_cselect_b32 s3, -1, 0
.LBB38_1365:
	s_delay_alu instid0(SALU_CYCLE_1)
	s_and_b32 vcc_lo, exec_lo, s3
	s_cbranch_vccnz .LBB38_1428
; %bb.1366:
	s_and_not1_b32 vcc_lo, exec_lo, s10
	s_cbranch_vccnz .LBB38_1368
.LBB38_1367:
	global_load_u8 v4, v[8:9], off
	s_mov_b32 s13, -1
	s_wait_loadcnt 0x0
	v_cmp_ne_u16_e32 vcc_lo, 0, v4
	v_mov_b32_e32 v4, 0
	v_cndmask_b32_e64 v5, 0, 0x3ff00000, vcc_lo
.LBB38_1368:
	s_branch .LBB38_1295
.LBB38_1369:
	s_cmp_lt_i32 s0, 5
	s_cbranch_scc1 .LBB38_1374
; %bb.1370:
	s_cmp_lt_i32 s0, 8
	s_cbranch_scc1 .LBB38_1375
; %bb.1371:
	;; [unrolled: 3-line block ×3, first 2 shown]
	s_cmp_gt_i32 s0, 9
	s_cbranch_scc0 .LBB38_1377
; %bb.1373:
	global_load_b64 v[4:5], v[8:9], off
	s_mov_b32 s3, 0
	s_branch .LBB38_1378
.LBB38_1374:
	s_mov_b32 s3, -1
                                        ; implicit-def: $vgpr4_vgpr5
	s_branch .LBB38_1396
.LBB38_1375:
	s_mov_b32 s3, -1
                                        ; implicit-def: $vgpr4_vgpr5
	s_branch .LBB38_1384
.LBB38_1376:
	s_mov_b32 s3, -1
                                        ; implicit-def: $vgpr4_vgpr5
	s_branch .LBB38_1381
.LBB38_1377:
	s_mov_b32 s3, -1
                                        ; implicit-def: $vgpr4_vgpr5
.LBB38_1378:
	s_delay_alu instid0(SALU_CYCLE_1)
	s_and_not1_b32 vcc_lo, exec_lo, s3
	s_cbranch_vccnz .LBB38_1380
; %bb.1379:
	s_wait_loadcnt 0x0
	global_load_b32 v4, v[8:9], off
	s_wait_loadcnt 0x0
	v_cvt_f64_f32_e32 v[4:5], v4
.LBB38_1380:
	s_mov_b32 s3, 0
.LBB38_1381:
	s_delay_alu instid0(SALU_CYCLE_1)
	s_and_not1_b32 vcc_lo, exec_lo, s3
	s_cbranch_vccnz .LBB38_1383
; %bb.1382:
	s_wait_loadcnt 0x0
	global_load_b32 v4, v[8:9], off
	s_wait_loadcnt 0x0
	v_cvt_f32_f16_e32 v4, v4
	s_delay_alu instid0(VALU_DEP_1)
	v_cvt_f64_f32_e32 v[4:5], v4
.LBB38_1383:
	s_mov_b32 s3, 0
.LBB38_1384:
	s_delay_alu instid0(SALU_CYCLE_1)
	s_and_not1_b32 vcc_lo, exec_lo, s3
	s_cbranch_vccnz .LBB38_1395
; %bb.1385:
	s_cmp_lt_i32 s0, 6
	s_cbranch_scc1 .LBB38_1388
; %bb.1386:
	s_cmp_gt_i32 s0, 6
	s_cbranch_scc0 .LBB38_1389
; %bb.1387:
	s_wait_loadcnt 0x0
	global_load_b64 v[4:5], v[8:9], off
	s_mov_b32 s3, 0
	s_branch .LBB38_1390
.LBB38_1388:
	s_mov_b32 s3, -1
                                        ; implicit-def: $vgpr4_vgpr5
	s_branch .LBB38_1393
.LBB38_1389:
	s_mov_b32 s3, -1
                                        ; implicit-def: $vgpr4_vgpr5
.LBB38_1390:
	s_delay_alu instid0(SALU_CYCLE_1)
	s_and_not1_b32 vcc_lo, exec_lo, s3
	s_cbranch_vccnz .LBB38_1392
; %bb.1391:
	s_wait_loadcnt 0x0
	global_load_b32 v4, v[8:9], off
	s_wait_loadcnt 0x0
	v_cvt_f64_f32_e32 v[4:5], v4
.LBB38_1392:
	s_mov_b32 s3, 0
.LBB38_1393:
	s_delay_alu instid0(SALU_CYCLE_1)
	s_and_not1_b32 vcc_lo, exec_lo, s3
	s_cbranch_vccnz .LBB38_1395
; %bb.1394:
	s_wait_loadcnt 0x0
	global_load_u16 v4, v[8:9], off
	s_wait_loadcnt 0x0
	v_cvt_f32_f16_e32 v4, v4
	s_delay_alu instid0(VALU_DEP_1)
	v_cvt_f64_f32_e32 v[4:5], v4
.LBB38_1395:
	s_mov_b32 s3, 0
.LBB38_1396:
	s_delay_alu instid0(SALU_CYCLE_1)
	s_and_not1_b32 vcc_lo, exec_lo, s3
	s_cbranch_vccnz .LBB38_1416
; %bb.1397:
	s_cmp_lt_i32 s0, 2
	s_cbranch_scc1 .LBB38_1401
; %bb.1398:
	s_cmp_lt_i32 s0, 3
	s_cbranch_scc1 .LBB38_1402
; %bb.1399:
	s_cmp_gt_i32 s0, 3
	s_cbranch_scc0 .LBB38_1403
; %bb.1400:
	s_wait_loadcnt 0x0
	global_load_b64 v[4:5], v[8:9], off
	s_mov_b32 s3, 0
	s_wait_loadcnt 0x0
	v_cvt_f64_i32_e32 v[12:13], v5
	v_cvt_f64_u32_e32 v[4:5], v4
	s_delay_alu instid0(VALU_DEP_2) | instskip(NEXT) | instid1(VALU_DEP_1)
	v_ldexp_f64 v[12:13], v[12:13], 32
	v_add_f64_e32 v[4:5], v[12:13], v[4:5]
	s_branch .LBB38_1404
.LBB38_1401:
	s_mov_b32 s3, -1
                                        ; implicit-def: $vgpr4_vgpr5
	s_branch .LBB38_1410
.LBB38_1402:
	s_mov_b32 s3, -1
                                        ; implicit-def: $vgpr4_vgpr5
	s_branch .LBB38_1407
.LBB38_1403:
	s_mov_b32 s3, -1
                                        ; implicit-def: $vgpr4_vgpr5
.LBB38_1404:
	s_delay_alu instid0(SALU_CYCLE_1)
	s_and_not1_b32 vcc_lo, exec_lo, s3
	s_cbranch_vccnz .LBB38_1406
; %bb.1405:
	s_wait_loadcnt 0x0
	global_load_b32 v4, v[8:9], off
	s_wait_loadcnt 0x0
	v_cvt_f64_i32_e32 v[4:5], v4
.LBB38_1406:
	s_mov_b32 s3, 0
.LBB38_1407:
	s_delay_alu instid0(SALU_CYCLE_1)
	s_and_not1_b32 vcc_lo, exec_lo, s3
	s_cbranch_vccnz .LBB38_1409
; %bb.1408:
	s_wait_loadcnt 0x0
	global_load_i16 v4, v[8:9], off
	s_wait_loadcnt 0x0
	v_cvt_f64_i32_e32 v[4:5], v4
.LBB38_1409:
	s_mov_b32 s3, 0
.LBB38_1410:
	s_delay_alu instid0(SALU_CYCLE_1)
	s_and_not1_b32 vcc_lo, exec_lo, s3
	s_cbranch_vccnz .LBB38_1416
; %bb.1411:
	s_cmp_gt_i32 s0, 0
	s_mov_b32 s3, 0
	s_cbranch_scc0 .LBB38_1413
; %bb.1412:
	s_wait_loadcnt 0x0
	global_load_i8 v4, v[8:9], off
	s_wait_loadcnt 0x0
	v_cvt_f64_i32_e32 v[4:5], v4
	s_branch .LBB38_1414
.LBB38_1413:
	s_mov_b32 s3, -1
                                        ; implicit-def: $vgpr4_vgpr5
.LBB38_1414:
	s_delay_alu instid0(SALU_CYCLE_1)
	s_and_not1_b32 vcc_lo, exec_lo, s3
	s_cbranch_vccnz .LBB38_1416
; %bb.1415:
	s_wait_loadcnt 0x0
	global_load_u8 v4, v[8:9], off
	s_wait_loadcnt 0x0
	v_cvt_f64_u32_e32 v[4:5], v4
.LBB38_1416:
.LBB38_1417:
	v_add_nc_u32_e32 v6, s1, v6
	s_cmp_lt_i32 s0, 11
	s_delay_alu instid0(VALU_DEP_1) | instskip(SKIP_1) | instid1(VALU_DEP_1)
	v_ashrrev_i32_e32 v7, 31, v6
	s_wait_xcnt 0x0
	v_add_nc_u64_e32 v[8:9], s[6:7], v[6:7]
	s_cbranch_scc1 .LBB38_1424
; %bb.1418:
	s_cmp_gt_i32 s0, 25
	s_mov_b32 s3, 0
	s_cbranch_scc0 .LBB38_1425
; %bb.1419:
	s_cmp_gt_i32 s0, 28
	s_cbranch_scc0 .LBB38_1426
; %bb.1420:
	s_cmp_gt_i32 s0, 43
	;; [unrolled: 3-line block ×3, first 2 shown]
	s_cbranch_scc0 .LBB38_1429
; %bb.1422:
	s_cmp_eq_u32 s0, 46
	s_mov_b32 s7, 0
	s_cbranch_scc0 .LBB38_1430
; %bb.1423:
	global_load_b32 v6, v[8:9], off
	s_mov_b32 s1, 0
	s_mov_b32 s6, -1
	s_wait_loadcnt 0x0
	v_lshlrev_b32_e32 v6, 16, v6
	s_delay_alu instid0(VALU_DEP_1)
	v_cvt_f64_f32_e32 v[6:7], v6
	s_branch .LBB38_1432
.LBB38_1424:
	s_mov_b32 s1, -1
	s_mov_b32 s6, 0
                                        ; implicit-def: $vgpr6_vgpr7
	s_branch .LBB38_1498
.LBB38_1425:
	s_mov_b32 s7, -1
	s_mov_b32 s6, 0
	s_mov_b32 s1, 0
                                        ; implicit-def: $vgpr6_vgpr7
	s_branch .LBB38_1461
.LBB38_1426:
	s_mov_b32 s7, -1
	s_mov_b32 s6, 0
	s_mov_b32 s1, 0
                                        ; implicit-def: $vgpr6_vgpr7
	s_branch .LBB38_1442
.LBB38_1427:
	s_mov_b32 s7, -1
	s_mov_b32 s6, 0
	s_mov_b32 s1, 0
                                        ; implicit-def: $vgpr6_vgpr7
	s_branch .LBB38_1437
.LBB38_1428:
	s_or_b32 s9, s9, exec_lo
	s_trap 2
	s_cbranch_execz .LBB38_1367
	s_branch .LBB38_1368
.LBB38_1429:
	s_mov_b32 s7, -1
	s_mov_b32 s6, 0
	s_mov_b32 s1, 0
	s_branch .LBB38_1431
.LBB38_1430:
	s_mov_b32 s1, -1
	s_mov_b32 s6, 0
.LBB38_1431:
                                        ; implicit-def: $vgpr6_vgpr7
.LBB38_1432:
	s_and_b32 vcc_lo, exec_lo, s7
	s_cbranch_vccz .LBB38_1436
; %bb.1433:
	s_cmp_eq_u32 s0, 44
	s_cbranch_scc0 .LBB38_1435
; %bb.1434:
	global_load_u8 v11, v[8:9], off
	s_mov_b32 s1, 0
	s_mov_b32 s6, -1
	s_wait_loadcnt 0x0
	v_lshlrev_b32_e32 v6, 23, v11
	v_cmp_ne_u32_e32 vcc_lo, 0xff, v11
	s_delay_alu instid0(VALU_DEP_2) | instskip(NEXT) | instid1(VALU_DEP_1)
	v_cvt_f64_f32_e32 v[6:7], v6
	v_cndmask_b32_e32 v6, 0x20000000, v6, vcc_lo
	s_delay_alu instid0(VALU_DEP_2) | instskip(SKIP_1) | instid1(VALU_DEP_2)
	v_cndmask_b32_e32 v7, 0x7ff80000, v7, vcc_lo
	v_cmp_ne_u32_e32 vcc_lo, 0, v11
	v_cndmask_b32_e32 v7, 0x38000000, v7, vcc_lo
	s_delay_alu instid0(VALU_DEP_4)
	v_cndmask_b32_e32 v6, 0, v6, vcc_lo
	s_branch .LBB38_1436
.LBB38_1435:
	s_mov_b32 s1, -1
                                        ; implicit-def: $vgpr6_vgpr7
.LBB38_1436:
	s_mov_b32 s7, 0
.LBB38_1437:
	s_delay_alu instid0(SALU_CYCLE_1)
	s_and_b32 vcc_lo, exec_lo, s7
	s_cbranch_vccz .LBB38_1441
; %bb.1438:
	s_cmp_eq_u32 s0, 29
	s_cbranch_scc0 .LBB38_1440
; %bb.1439:
	global_load_b64 v[6:7], v[8:9], off
	s_mov_b32 s1, 0
	s_mov_b32 s6, -1
	s_mov_b32 s7, 0
	s_wait_loadcnt 0x0
	v_cvt_f64_u32_e32 v[12:13], v7
	v_cvt_f64_u32_e32 v[6:7], v6
	s_delay_alu instid0(VALU_DEP_2) | instskip(NEXT) | instid1(VALU_DEP_1)
	v_ldexp_f64 v[12:13], v[12:13], 32
	v_add_f64_e32 v[6:7], v[12:13], v[6:7]
	s_branch .LBB38_1442
.LBB38_1440:
	s_mov_b32 s1, -1
                                        ; implicit-def: $vgpr6_vgpr7
.LBB38_1441:
	s_mov_b32 s7, 0
.LBB38_1442:
	s_delay_alu instid0(SALU_CYCLE_1)
	s_and_b32 vcc_lo, exec_lo, s7
	s_cbranch_vccz .LBB38_1460
; %bb.1443:
	s_cmp_lt_i32 s0, 27
	s_cbranch_scc1 .LBB38_1446
; %bb.1444:
	s_cmp_gt_i32 s0, 27
	s_cbranch_scc0 .LBB38_1447
; %bb.1445:
	global_load_b32 v6, v[8:9], off
	s_mov_b32 s6, 0
	s_wait_loadcnt 0x0
	v_cvt_f64_u32_e32 v[6:7], v6
	s_branch .LBB38_1448
.LBB38_1446:
	s_mov_b32 s6, -1
                                        ; implicit-def: $vgpr6_vgpr7
	s_branch .LBB38_1451
.LBB38_1447:
	s_mov_b32 s6, -1
                                        ; implicit-def: $vgpr6_vgpr7
.LBB38_1448:
	s_delay_alu instid0(SALU_CYCLE_1)
	s_and_not1_b32 vcc_lo, exec_lo, s6
	s_cbranch_vccnz .LBB38_1450
; %bb.1449:
	global_load_u16 v6, v[8:9], off
	s_wait_loadcnt 0x0
	v_cvt_f64_u32_e32 v[6:7], v6
.LBB38_1450:
	s_mov_b32 s6, 0
.LBB38_1451:
	s_delay_alu instid0(SALU_CYCLE_1)
	s_and_not1_b32 vcc_lo, exec_lo, s6
	s_cbranch_vccnz .LBB38_1459
; %bb.1452:
	global_load_u8 v11, v[8:9], off
	s_mov_b32 s6, 0
	s_mov_b32 s7, exec_lo
	s_wait_loadcnt 0x0
	v_cmpx_lt_i16_e32 0x7f, v11
	s_xor_b32 s7, exec_lo, s7
	s_cbranch_execz .LBB38_1473
; %bb.1453:
	s_mov_b32 s6, -1
	s_mov_b32 s10, exec_lo
	v_cmpx_eq_u16_e32 0x80, v11
; %bb.1454:
	s_xor_b32 s6, exec_lo, -1
; %bb.1455:
	s_or_b32 exec_lo, exec_lo, s10
	s_delay_alu instid0(SALU_CYCLE_1)
	s_and_b32 s6, s6, exec_lo
	s_or_saveexec_b32 s7, s7
	v_mov_b64_e32 v[6:7], 0x7ff8000020000000
	s_xor_b32 exec_lo, exec_lo, s7
	s_cbranch_execnz .LBB38_1474
.LBB38_1456:
	s_or_b32 exec_lo, exec_lo, s7
	s_and_saveexec_b32 s7, s6
	s_cbranch_execz .LBB38_1458
.LBB38_1457:
	v_and_b32_e32 v6, 0xffff, v11
	s_delay_alu instid0(VALU_DEP_1) | instskip(SKIP_1) | instid1(VALU_DEP_2)
	v_and_b32_e32 v7, 7, v6
	v_bfe_u32 v14, v6, 3, 4
	v_clz_i32_u32_e32 v12, v7
	s_delay_alu instid0(VALU_DEP_2) | instskip(NEXT) | instid1(VALU_DEP_2)
	v_cmp_eq_u32_e32 vcc_lo, 0, v14
	v_min_u32_e32 v12, 32, v12
	s_delay_alu instid0(VALU_DEP_1) | instskip(NEXT) | instid1(VALU_DEP_1)
	v_subrev_nc_u32_e32 v13, 28, v12
	v_dual_lshlrev_b32 v6, v13, v6 :: v_dual_sub_nc_u32 v12, 29, v12
	s_delay_alu instid0(VALU_DEP_1) | instskip(NEXT) | instid1(VALU_DEP_1)
	v_dual_lshlrev_b32 v11, 24, v11 :: v_dual_bitop2_b32 v6, 7, v6 bitop3:0x40
	v_dual_cndmask_b32 v12, v14, v12, vcc_lo :: v_dual_cndmask_b32 v6, v7, v6, vcc_lo
	s_delay_alu instid0(VALU_DEP_2) | instskip(NEXT) | instid1(VALU_DEP_2)
	v_and_b32_e32 v7, 0x80000000, v11
	v_lshl_add_u32 v11, v12, 23, 0x3b800000
	s_delay_alu instid0(VALU_DEP_3) | instskip(NEXT) | instid1(VALU_DEP_1)
	v_lshlrev_b32_e32 v6, 20, v6
	v_or3_b32 v6, v7, v11, v6
	s_delay_alu instid0(VALU_DEP_1)
	v_cvt_f64_f32_e32 v[6:7], v6
.LBB38_1458:
	s_or_b32 exec_lo, exec_lo, s7
.LBB38_1459:
	s_mov_b32 s6, -1
.LBB38_1460:
	s_mov_b32 s7, 0
.LBB38_1461:
	s_delay_alu instid0(SALU_CYCLE_1)
	s_and_b32 vcc_lo, exec_lo, s7
	s_cbranch_vccz .LBB38_1494
; %bb.1462:
	s_cmp_gt_i32 s0, 22
	s_cbranch_scc0 .LBB38_1472
; %bb.1463:
	s_cmp_lt_i32 s0, 24
	s_cbranch_scc1 .LBB38_1475
; %bb.1464:
	s_cmp_gt_i32 s0, 24
	s_cbranch_scc0 .LBB38_1476
; %bb.1465:
	global_load_u8 v11, v[8:9], off
	s_mov_b32 s6, exec_lo
	s_wait_loadcnt 0x0
	v_cmpx_lt_i16_e32 0x7f, v11
	s_xor_b32 s6, exec_lo, s6
	s_cbranch_execz .LBB38_1488
; %bb.1466:
	s_mov_b32 s3, -1
	s_mov_b32 s7, exec_lo
	v_cmpx_eq_u16_e32 0x80, v11
; %bb.1467:
	s_xor_b32 s3, exec_lo, -1
; %bb.1468:
	s_or_b32 exec_lo, exec_lo, s7
	s_delay_alu instid0(SALU_CYCLE_1)
	s_and_b32 s3, s3, exec_lo
	s_or_saveexec_b32 s6, s6
	v_mov_b64_e32 v[6:7], 0x7ff8000020000000
	s_xor_b32 exec_lo, exec_lo, s6
	s_cbranch_execnz .LBB38_1489
.LBB38_1469:
	s_or_b32 exec_lo, exec_lo, s6
	s_and_saveexec_b32 s6, s3
	s_cbranch_execz .LBB38_1471
.LBB38_1470:
	v_and_b32_e32 v6, 0xffff, v11
	s_delay_alu instid0(VALU_DEP_1) | instskip(SKIP_1) | instid1(VALU_DEP_2)
	v_and_b32_e32 v7, 3, v6
	v_bfe_u32 v14, v6, 2, 5
	v_clz_i32_u32_e32 v12, v7
	s_delay_alu instid0(VALU_DEP_2) | instskip(NEXT) | instid1(VALU_DEP_2)
	v_cmp_eq_u32_e32 vcc_lo, 0, v14
	v_min_u32_e32 v12, 32, v12
	s_delay_alu instid0(VALU_DEP_1) | instskip(NEXT) | instid1(VALU_DEP_1)
	v_subrev_nc_u32_e32 v13, 29, v12
	v_dual_lshlrev_b32 v6, v13, v6 :: v_dual_sub_nc_u32 v12, 30, v12
	s_delay_alu instid0(VALU_DEP_1) | instskip(NEXT) | instid1(VALU_DEP_1)
	v_dual_lshlrev_b32 v11, 24, v11 :: v_dual_bitop2_b32 v6, 3, v6 bitop3:0x40
	v_dual_cndmask_b32 v12, v14, v12, vcc_lo :: v_dual_cndmask_b32 v6, v7, v6, vcc_lo
	s_delay_alu instid0(VALU_DEP_2) | instskip(NEXT) | instid1(VALU_DEP_2)
	v_and_b32_e32 v7, 0x80000000, v11
	v_lshl_add_u32 v11, v12, 23, 0x37800000
	s_delay_alu instid0(VALU_DEP_3) | instskip(NEXT) | instid1(VALU_DEP_1)
	v_lshlrev_b32_e32 v6, 21, v6
	v_or3_b32 v6, v7, v11, v6
	s_delay_alu instid0(VALU_DEP_1)
	v_cvt_f64_f32_e32 v[6:7], v6
.LBB38_1471:
	s_or_b32 exec_lo, exec_lo, s6
	s_mov_b32 s3, 0
	s_branch .LBB38_1477
.LBB38_1472:
	s_mov_b32 s3, -1
                                        ; implicit-def: $vgpr6_vgpr7
	s_branch .LBB38_1483
.LBB38_1473:
	s_or_saveexec_b32 s7, s7
	v_mov_b64_e32 v[6:7], 0x7ff8000020000000
	s_xor_b32 exec_lo, exec_lo, s7
	s_cbranch_execz .LBB38_1456
.LBB38_1474:
	v_cmp_ne_u16_e32 vcc_lo, 0, v11
	v_mov_b64_e32 v[6:7], 0
	s_and_not1_b32 s6, s6, exec_lo
	s_and_b32 s10, vcc_lo, exec_lo
	s_delay_alu instid0(SALU_CYCLE_1)
	s_or_b32 s6, s6, s10
	s_or_b32 exec_lo, exec_lo, s7
	s_and_saveexec_b32 s7, s6
	s_cbranch_execnz .LBB38_1457
	s_branch .LBB38_1458
.LBB38_1475:
	s_mov_b32 s3, -1
                                        ; implicit-def: $vgpr6_vgpr7
	s_branch .LBB38_1480
.LBB38_1476:
	s_mov_b32 s3, -1
                                        ; implicit-def: $vgpr6_vgpr7
.LBB38_1477:
	s_delay_alu instid0(SALU_CYCLE_1)
	s_and_b32 vcc_lo, exec_lo, s3
	s_cbranch_vccz .LBB38_1479
; %bb.1478:
	global_load_u8 v6, v[8:9], off
	s_wait_loadcnt 0x0
	v_lshlrev_b32_e32 v6, 24, v6
	s_delay_alu instid0(VALU_DEP_1) | instskip(NEXT) | instid1(VALU_DEP_1)
	v_and_b32_e32 v7, 0x7f000000, v6
	v_clz_i32_u32_e32 v11, v7
	v_add_nc_u32_e32 v13, 0x1000000, v7
	v_cmp_ne_u32_e32 vcc_lo, 0, v7
	s_delay_alu instid0(VALU_DEP_3) | instskip(NEXT) | instid1(VALU_DEP_1)
	v_min_u32_e32 v11, 32, v11
	v_sub_nc_u32_e64 v11, v11, 4 clamp
	s_delay_alu instid0(VALU_DEP_1) | instskip(NEXT) | instid1(VALU_DEP_1)
	v_lshlrev_b32_e32 v12, v11, v7
	v_dual_lshlrev_b32 v11, 23, v11 :: v_dual_lshrrev_b32 v12, 4, v12
	s_delay_alu instid0(VALU_DEP_1) | instskip(NEXT) | instid1(VALU_DEP_1)
	v_dual_sub_nc_u32 v11, v12, v11 :: v_dual_ashrrev_i32 v12, 8, v13
	v_add_nc_u32_e32 v11, 0x3c000000, v11
	s_delay_alu instid0(VALU_DEP_1) | instskip(NEXT) | instid1(VALU_DEP_1)
	v_and_or_b32 v11, 0x7f800000, v12, v11
	v_cndmask_b32_e32 v7, 0, v11, vcc_lo
	s_delay_alu instid0(VALU_DEP_1) | instskip(NEXT) | instid1(VALU_DEP_1)
	v_and_or_b32 v6, 0x80000000, v6, v7
	v_cvt_f64_f32_e32 v[6:7], v6
.LBB38_1479:
	s_mov_b32 s3, 0
.LBB38_1480:
	s_delay_alu instid0(SALU_CYCLE_1)
	s_and_not1_b32 vcc_lo, exec_lo, s3
	s_cbranch_vccnz .LBB38_1482
; %bb.1481:
	global_load_u8 v6, v[8:9], off
	s_wait_loadcnt 0x0
	v_lshlrev_b32_e32 v7, 25, v6
	v_lshlrev_b16 v6, 8, v6
	s_delay_alu instid0(VALU_DEP_1) | instskip(SKIP_1) | instid1(VALU_DEP_2)
	v_and_or_b32 v12, 0x7f00, v6, 0.5
	v_bfe_i32 v6, v6, 0, 16
	v_dual_add_f32 v12, -0.5, v12 :: v_dual_lshrrev_b32 v11, 4, v7
	v_cmp_gt_u32_e32 vcc_lo, 0x8000000, v7
	s_delay_alu instid0(VALU_DEP_2) | instskip(NEXT) | instid1(VALU_DEP_1)
	v_or_b32_e32 v11, 0x70000000, v11
	v_mul_f32_e32 v11, 0x7800000, v11
	s_delay_alu instid0(VALU_DEP_1) | instskip(NEXT) | instid1(VALU_DEP_1)
	v_cndmask_b32_e32 v7, v11, v12, vcc_lo
	v_and_or_b32 v6, 0x80000000, v6, v7
	s_delay_alu instid0(VALU_DEP_1)
	v_cvt_f64_f32_e32 v[6:7], v6
.LBB38_1482:
	s_mov_b32 s3, 0
	s_mov_b32 s6, -1
.LBB38_1483:
	s_and_not1_b32 vcc_lo, exec_lo, s3
	s_mov_b32 s3, 0
	s_cbranch_vccnz .LBB38_1494
; %bb.1484:
	s_cmp_gt_i32 s0, 14
	s_cbranch_scc0 .LBB38_1487
; %bb.1485:
	s_cmp_eq_u32 s0, 15
	s_cbranch_scc0 .LBB38_1490
; %bb.1486:
	global_load_u16 v6, v[8:9], off
	s_mov_b32 s1, 0
	s_mov_b32 s6, -1
	s_wait_loadcnt 0x0
	v_lshlrev_b32_e32 v6, 16, v6
	s_delay_alu instid0(VALU_DEP_1)
	v_cvt_f64_f32_e32 v[6:7], v6
	s_branch .LBB38_1492
.LBB38_1487:
	s_mov_b32 s3, -1
	s_branch .LBB38_1491
.LBB38_1488:
	s_or_saveexec_b32 s6, s6
	v_mov_b64_e32 v[6:7], 0x7ff8000020000000
	s_xor_b32 exec_lo, exec_lo, s6
	s_cbranch_execz .LBB38_1469
.LBB38_1489:
	v_cmp_ne_u16_e32 vcc_lo, 0, v11
	v_mov_b64_e32 v[6:7], 0
	s_and_not1_b32 s3, s3, exec_lo
	s_and_b32 s7, vcc_lo, exec_lo
	s_delay_alu instid0(SALU_CYCLE_1)
	s_or_b32 s3, s3, s7
	s_or_b32 exec_lo, exec_lo, s6
	s_and_saveexec_b32 s6, s3
	s_cbranch_execnz .LBB38_1470
	s_branch .LBB38_1471
.LBB38_1490:
	s_mov_b32 s1, -1
.LBB38_1491:
                                        ; implicit-def: $vgpr6_vgpr7
.LBB38_1492:
	s_and_b32 vcc_lo, exec_lo, s3
	s_mov_b32 s3, 0
	s_cbranch_vccz .LBB38_1494
; %bb.1493:
	s_cmp_lg_u32 s0, 11
	s_mov_b32 s3, -1
	s_cselect_b32 s1, -1, 0
.LBB38_1494:
	s_delay_alu instid0(SALU_CYCLE_1)
	s_and_b32 vcc_lo, exec_lo, s1
	s_cbranch_vccnz .LBB38_2027
; %bb.1495:
	s_and_not1_b32 vcc_lo, exec_lo, s3
	s_cbranch_vccnz .LBB38_1497
.LBB38_1496:
	global_load_u8 v6, v[8:9], off
	s_mov_b32 s6, -1
	s_wait_loadcnt 0x0
	v_cmp_ne_u16_e32 vcc_lo, 0, v6
	v_mov_b32_e32 v6, 0
	v_cndmask_b32_e64 v7, 0, 0x3ff00000, vcc_lo
.LBB38_1497:
	s_mov_b32 s1, 0
.LBB38_1498:
	s_delay_alu instid0(SALU_CYCLE_1)
	s_and_b32 vcc_lo, exec_lo, s1
	s_cbranch_vccz .LBB38_1547
; %bb.1499:
	s_cmp_lt_i32 s0, 5
	s_cbranch_scc1 .LBB38_1504
; %bb.1500:
	s_cmp_lt_i32 s0, 8
	s_cbranch_scc1 .LBB38_1505
	;; [unrolled: 3-line block ×3, first 2 shown]
; %bb.1502:
	s_cmp_gt_i32 s0, 9
	s_cbranch_scc0 .LBB38_1507
; %bb.1503:
	global_load_b64 v[6:7], v[8:9], off
	s_mov_b32 s1, 0
	s_branch .LBB38_1508
.LBB38_1504:
	s_mov_b32 s1, -1
                                        ; implicit-def: $vgpr6_vgpr7
	s_branch .LBB38_1526
.LBB38_1505:
	s_mov_b32 s1, -1
                                        ; implicit-def: $vgpr6_vgpr7
	s_branch .LBB38_1514
.LBB38_1506:
	s_mov_b32 s1, -1
                                        ; implicit-def: $vgpr6_vgpr7
	s_branch .LBB38_1511
.LBB38_1507:
	s_mov_b32 s1, -1
                                        ; implicit-def: $vgpr6_vgpr7
.LBB38_1508:
	s_delay_alu instid0(SALU_CYCLE_1)
	s_and_not1_b32 vcc_lo, exec_lo, s1
	s_cbranch_vccnz .LBB38_1510
; %bb.1509:
	s_wait_loadcnt 0x0
	global_load_b32 v6, v[8:9], off
	s_wait_loadcnt 0x0
	v_cvt_f64_f32_e32 v[6:7], v6
.LBB38_1510:
	s_mov_b32 s1, 0
.LBB38_1511:
	s_delay_alu instid0(SALU_CYCLE_1)
	s_and_not1_b32 vcc_lo, exec_lo, s1
	s_cbranch_vccnz .LBB38_1513
; %bb.1512:
	s_wait_loadcnt 0x0
	global_load_b32 v6, v[8:9], off
	s_wait_loadcnt 0x0
	v_cvt_f32_f16_e32 v6, v6
	s_delay_alu instid0(VALU_DEP_1)
	v_cvt_f64_f32_e32 v[6:7], v6
.LBB38_1513:
	s_mov_b32 s1, 0
.LBB38_1514:
	s_delay_alu instid0(SALU_CYCLE_1)
	s_and_not1_b32 vcc_lo, exec_lo, s1
	s_cbranch_vccnz .LBB38_1525
; %bb.1515:
	s_cmp_lt_i32 s0, 6
	s_cbranch_scc1 .LBB38_1518
; %bb.1516:
	s_cmp_gt_i32 s0, 6
	s_cbranch_scc0 .LBB38_1519
; %bb.1517:
	s_wait_loadcnt 0x0
	global_load_b64 v[6:7], v[8:9], off
	s_mov_b32 s1, 0
	s_branch .LBB38_1520
.LBB38_1518:
	s_mov_b32 s1, -1
                                        ; implicit-def: $vgpr6_vgpr7
	s_branch .LBB38_1523
.LBB38_1519:
	s_mov_b32 s1, -1
                                        ; implicit-def: $vgpr6_vgpr7
.LBB38_1520:
	s_delay_alu instid0(SALU_CYCLE_1)
	s_and_not1_b32 vcc_lo, exec_lo, s1
	s_cbranch_vccnz .LBB38_1522
; %bb.1521:
	s_wait_loadcnt 0x0
	global_load_b32 v6, v[8:9], off
	s_wait_loadcnt 0x0
	v_cvt_f64_f32_e32 v[6:7], v6
.LBB38_1522:
	s_mov_b32 s1, 0
.LBB38_1523:
	s_delay_alu instid0(SALU_CYCLE_1)
	s_and_not1_b32 vcc_lo, exec_lo, s1
	s_cbranch_vccnz .LBB38_1525
; %bb.1524:
	s_wait_loadcnt 0x0
	global_load_u16 v6, v[8:9], off
	s_wait_loadcnt 0x0
	v_cvt_f32_f16_e32 v6, v6
	s_delay_alu instid0(VALU_DEP_1)
	v_cvt_f64_f32_e32 v[6:7], v6
.LBB38_1525:
	s_mov_b32 s1, 0
.LBB38_1526:
	s_delay_alu instid0(SALU_CYCLE_1)
	s_and_not1_b32 vcc_lo, exec_lo, s1
	s_cbranch_vccnz .LBB38_1546
; %bb.1527:
	s_cmp_lt_i32 s0, 2
	s_cbranch_scc1 .LBB38_1531
; %bb.1528:
	s_cmp_lt_i32 s0, 3
	s_cbranch_scc1 .LBB38_1532
; %bb.1529:
	s_cmp_gt_i32 s0, 3
	s_cbranch_scc0 .LBB38_1533
; %bb.1530:
	s_wait_loadcnt 0x0
	global_load_b64 v[6:7], v[8:9], off
	s_mov_b32 s1, 0
	s_wait_loadcnt 0x0
	v_cvt_f64_i32_e32 v[12:13], v7
	v_cvt_f64_u32_e32 v[6:7], v6
	s_delay_alu instid0(VALU_DEP_2) | instskip(NEXT) | instid1(VALU_DEP_1)
	v_ldexp_f64 v[12:13], v[12:13], 32
	v_add_f64_e32 v[6:7], v[12:13], v[6:7]
	s_branch .LBB38_1534
.LBB38_1531:
	s_mov_b32 s1, -1
                                        ; implicit-def: $vgpr6_vgpr7
	s_branch .LBB38_1540
.LBB38_1532:
	s_mov_b32 s1, -1
                                        ; implicit-def: $vgpr6_vgpr7
	s_branch .LBB38_1537
.LBB38_1533:
	s_mov_b32 s1, -1
                                        ; implicit-def: $vgpr6_vgpr7
.LBB38_1534:
	s_delay_alu instid0(SALU_CYCLE_1)
	s_and_not1_b32 vcc_lo, exec_lo, s1
	s_cbranch_vccnz .LBB38_1536
; %bb.1535:
	s_wait_loadcnt 0x0
	global_load_b32 v6, v[8:9], off
	s_wait_loadcnt 0x0
	v_cvt_f64_i32_e32 v[6:7], v6
.LBB38_1536:
	s_mov_b32 s1, 0
.LBB38_1537:
	s_delay_alu instid0(SALU_CYCLE_1)
	s_and_not1_b32 vcc_lo, exec_lo, s1
	s_cbranch_vccnz .LBB38_1539
; %bb.1538:
	s_wait_loadcnt 0x0
	global_load_i16 v6, v[8:9], off
	s_wait_loadcnt 0x0
	v_cvt_f64_i32_e32 v[6:7], v6
.LBB38_1539:
	s_mov_b32 s1, 0
.LBB38_1540:
	s_delay_alu instid0(SALU_CYCLE_1)
	s_and_not1_b32 vcc_lo, exec_lo, s1
	s_cbranch_vccnz .LBB38_1546
; %bb.1541:
	s_cmp_gt_i32 s0, 0
	s_mov_b32 s0, 0
	s_cbranch_scc0 .LBB38_1543
; %bb.1542:
	s_wait_loadcnt 0x0
	global_load_i8 v6, v[8:9], off
	s_wait_loadcnt 0x0
	v_cvt_f64_i32_e32 v[6:7], v6
	s_branch .LBB38_1544
.LBB38_1543:
	s_mov_b32 s0, -1
                                        ; implicit-def: $vgpr6_vgpr7
.LBB38_1544:
	s_delay_alu instid0(SALU_CYCLE_1)
	s_and_not1_b32 vcc_lo, exec_lo, s0
	s_cbranch_vccnz .LBB38_1546
; %bb.1545:
	s_wait_loadcnt 0x0
	global_load_u8 v6, v[8:9], off
	s_wait_loadcnt 0x0
	v_cvt_f64_u32_e32 v[6:7], v6
.LBB38_1546:
	s_mov_b32 s6, -1
.LBB38_1547:
	s_delay_alu instid0(SALU_CYCLE_1)
	s_and_not1_b32 vcc_lo, exec_lo, s6
	s_cbranch_vccnz .LBB38_1981
; %bb.1548:
	s_wait_loadcnt 0x0
	v_cmp_eq_f64_e64 s0, 0x7ff00000, v[0:1]
	v_mul_lo_u32 v0, s2, v10
	s_and_b32 s13, s8, 0xff
	s_delay_alu instid0(SALU_CYCLE_1) | instskip(NEXT) | instid1(VALU_DEP_1)
	s_cmp_lt_i32 s13, 11
	v_ashrrev_i32_e32 v1, 31, v0
	s_wait_xcnt 0x0
	s_delay_alu instid0(VALU_DEP_1)
	v_add_nc_u64_e32 v[8:9], s[4:5], v[0:1]
	s_cbranch_scc1 .LBB38_1626
; %bb.1549:
	s_and_b32 s3, 0xffff, s13
	s_mov_b32 s8, -1
	s_mov_b32 s6, 0
	s_cmp_gt_i32 s3, 25
	s_mov_b32 s7, 0
	s_mov_b32 s1, 0
	s_cbranch_scc0 .LBB38_1582
; %bb.1550:
	s_cmp_gt_i32 s3, 28
	s_cbranch_scc0 .LBB38_1565
; %bb.1551:
	s_cmp_gt_i32 s3, 43
	;; [unrolled: 3-line block ×3, first 2 shown]
	s_cbranch_scc0 .LBB38_1555
; %bb.1553:
	s_mov_b32 s1, -1
	s_mov_b32 s8, 0
	s_cmp_eq_u32 s3, 46
	s_cbranch_scc0 .LBB38_1555
; %bb.1554:
	v_cndmask_b32_e64 v1, 0, 1.0, s0
	s_mov_b32 s1, 0
	s_mov_b32 s7, -1
	s_delay_alu instid0(VALU_DEP_1) | instskip(NEXT) | instid1(VALU_DEP_1)
	v_bfe_u32 v10, v1, 16, 1
	v_add3_u32 v1, v1, v10, 0x7fff
	s_delay_alu instid0(VALU_DEP_1)
	v_lshrrev_b32_e32 v1, 16, v1
	global_store_b32 v[8:9], v1, off
.LBB38_1555:
	s_and_b32 vcc_lo, exec_lo, s8
	s_cbranch_vccz .LBB38_1560
; %bb.1556:
	s_cmp_eq_u32 s3, 44
	s_mov_b32 s1, -1
	s_cbranch_scc0 .LBB38_1560
; %bb.1557:
	v_cndmask_b32_e64 v11, 0, 1.0, s0
	s_mov_b32 s7, exec_lo
	s_wait_xcnt 0x0
	s_delay_alu instid0(VALU_DEP_1) | instskip(NEXT) | instid1(VALU_DEP_1)
	v_dual_mov_b32 v10, 0xff :: v_dual_lshrrev_b32 v1, 23, v11
	v_cmpx_ne_u32_e32 0xff, v1
; %bb.1558:
	v_and_b32_e32 v10, 0x400000, v11
	v_and_or_b32 v11, 0x3fffff, v11, v1
	s_delay_alu instid0(VALU_DEP_2) | instskip(NEXT) | instid1(VALU_DEP_2)
	v_cmp_ne_u32_e32 vcc_lo, 0, v10
	v_cmp_ne_u32_e64 s1, 0, v11
	s_and_b32 s1, vcc_lo, s1
	s_delay_alu instid0(SALU_CYCLE_1) | instskip(NEXT) | instid1(VALU_DEP_1)
	v_cndmask_b32_e64 v10, 0, 1, s1
	v_add_nc_u32_e32 v10, v1, v10
; %bb.1559:
	s_or_b32 exec_lo, exec_lo, s7
	s_mov_b32 s1, 0
	s_mov_b32 s7, -1
	global_store_b8 v[8:9], v10, off
.LBB38_1560:
	s_mov_b32 s8, 0
.LBB38_1561:
	s_delay_alu instid0(SALU_CYCLE_1)
	s_and_b32 vcc_lo, exec_lo, s8
	s_cbranch_vccz .LBB38_1564
; %bb.1562:
	s_cmp_eq_u32 s3, 29
	s_mov_b32 s1, -1
	s_cbranch_scc0 .LBB38_1564
; %bb.1563:
	s_mov_b32 s1, 0
	s_wait_xcnt 0x0
	v_cndmask_b32_e64 v10, 0, 1, s0
	v_mov_b32_e32 v11, s1
	s_mov_b32 s7, -1
	global_store_b64 v[8:9], v[10:11], off
.LBB38_1564:
	s_mov_b32 s8, 0
.LBB38_1565:
	s_delay_alu instid0(SALU_CYCLE_1)
	s_and_b32 vcc_lo, exec_lo, s8
	s_cbranch_vccz .LBB38_1581
; %bb.1566:
	s_cmp_lt_i32 s3, 27
	s_mov_b32 s7, -1
	s_cbranch_scc1 .LBB38_1572
; %bb.1567:
	s_cmp_gt_i32 s3, 27
	s_cbranch_scc0 .LBB38_1569
; %bb.1568:
	s_wait_xcnt 0x0
	v_cndmask_b32_e64 v1, 0, 1, s0
	s_mov_b32 s7, 0
	global_store_b32 v[8:9], v1, off
.LBB38_1569:
	s_and_not1_b32 vcc_lo, exec_lo, s7
	s_cbranch_vccnz .LBB38_1571
; %bb.1570:
	s_wait_xcnt 0x0
	v_cndmask_b32_e64 v1, 0, 1, s0
	global_store_b16 v[8:9], v1, off
.LBB38_1571:
	s_mov_b32 s7, 0
.LBB38_1572:
	s_delay_alu instid0(SALU_CYCLE_1)
	s_and_not1_b32 vcc_lo, exec_lo, s7
	s_cbranch_vccnz .LBB38_1580
; %bb.1573:
	s_wait_xcnt 0x0
	v_cndmask_b32_e64 v10, 0, 1.0, s0
	v_mov_b32_e32 v11, 0x80
	s_mov_b32 s7, exec_lo
	s_delay_alu instid0(VALU_DEP_2)
	v_cmpx_gt_u32_e32 0x43800000, v10
	s_cbranch_execz .LBB38_1579
; %bb.1574:
	s_mov_b32 s8, 0
	s_mov_b32 s10, exec_lo
                                        ; implicit-def: $vgpr1
	v_cmpx_lt_u32_e32 0x3bffffff, v10
	s_xor_b32 s10, exec_lo, s10
	s_cbranch_execz .LBB38_2028
; %bb.1575:
	v_bfe_u32 v1, v10, 20, 1
	s_mov_b32 s8, exec_lo
	s_delay_alu instid0(VALU_DEP_1) | instskip(NEXT) | instid1(VALU_DEP_1)
	v_add3_u32 v1, v10, v1, 0x487ffff
                                        ; implicit-def: $vgpr10
	v_lshrrev_b32_e32 v1, 20, v1
	s_and_not1_saveexec_b32 s10, s10
	s_cbranch_execnz .LBB38_2029
.LBB38_1576:
	s_or_b32 exec_lo, exec_lo, s10
	v_mov_b32_e32 v11, 0
	s_and_saveexec_b32 s10, s8
.LBB38_1577:
	v_mov_b32_e32 v11, v1
.LBB38_1578:
	s_or_b32 exec_lo, exec_lo, s10
.LBB38_1579:
	s_delay_alu instid0(SALU_CYCLE_1)
	s_or_b32 exec_lo, exec_lo, s7
	global_store_b8 v[8:9], v11, off
.LBB38_1580:
	s_mov_b32 s7, -1
.LBB38_1581:
	s_mov_b32 s8, 0
.LBB38_1582:
	s_delay_alu instid0(SALU_CYCLE_1)
	s_and_b32 vcc_lo, exec_lo, s8
	s_cbranch_vccz .LBB38_1622
; %bb.1583:
	s_cmp_gt_i32 s3, 22
	s_mov_b32 s6, -1
	s_cbranch_scc0 .LBB38_1615
; %bb.1584:
	s_cmp_lt_i32 s3, 24
	s_cbranch_scc1 .LBB38_1604
; %bb.1585:
	s_cmp_gt_i32 s3, 24
	s_cbranch_scc0 .LBB38_1593
; %bb.1586:
	s_wait_xcnt 0x0
	v_cndmask_b32_e64 v10, 0, 1.0, s0
	v_mov_b32_e32 v11, 0x80
	s_mov_b32 s6, exec_lo
	s_delay_alu instid0(VALU_DEP_2)
	v_cmpx_gt_u32_e32 0x47800000, v10
	s_cbranch_execz .LBB38_1592
; %bb.1587:
	s_mov_b32 s7, 0
	s_mov_b32 s8, exec_lo
                                        ; implicit-def: $vgpr1
	v_cmpx_lt_u32_e32 0x37ffffff, v10
	s_xor_b32 s8, exec_lo, s8
	s_cbranch_execz .LBB38_2031
; %bb.1588:
	v_bfe_u32 v1, v10, 21, 1
	s_mov_b32 s7, exec_lo
	s_delay_alu instid0(VALU_DEP_1) | instskip(NEXT) | instid1(VALU_DEP_1)
	v_add3_u32 v1, v10, v1, 0x88fffff
                                        ; implicit-def: $vgpr10
	v_lshrrev_b32_e32 v1, 21, v1
	s_and_not1_saveexec_b32 s8, s8
	s_cbranch_execnz .LBB38_2032
.LBB38_1589:
	s_or_b32 exec_lo, exec_lo, s8
	v_mov_b32_e32 v11, 0
	s_and_saveexec_b32 s8, s7
.LBB38_1590:
	v_mov_b32_e32 v11, v1
.LBB38_1591:
	s_or_b32 exec_lo, exec_lo, s8
.LBB38_1592:
	s_delay_alu instid0(SALU_CYCLE_1)
	s_or_b32 exec_lo, exec_lo, s6
	s_mov_b32 s6, 0
	global_store_b8 v[8:9], v11, off
.LBB38_1593:
	s_and_b32 vcc_lo, exec_lo, s6
	s_cbranch_vccz .LBB38_1603
; %bb.1594:
	s_wait_xcnt 0x0
	v_cndmask_b32_e64 v10, 0, 1.0, s0
	s_mov_b32 s6, exec_lo
                                        ; implicit-def: $vgpr1
	s_delay_alu instid0(VALU_DEP_1)
	v_cmpx_gt_u32_e32 0x43f00000, v10
	s_xor_b32 s6, exec_lo, s6
	s_cbranch_execz .LBB38_1600
; %bb.1595:
	s_mov_b32 s7, exec_lo
                                        ; implicit-def: $vgpr1
	v_cmpx_lt_u32_e32 0x3c7fffff, v10
	s_xor_b32 s7, exec_lo, s7
; %bb.1596:
	v_bfe_u32 v1, v10, 20, 1
	s_delay_alu instid0(VALU_DEP_1) | instskip(NEXT) | instid1(VALU_DEP_1)
	v_add3_u32 v1, v10, v1, 0x407ffff
	v_and_b32_e32 v10, 0xff00000, v1
	v_lshrrev_b32_e32 v1, 20, v1
	s_delay_alu instid0(VALU_DEP_2) | instskip(NEXT) | instid1(VALU_DEP_2)
	v_cmp_ne_u32_e32 vcc_lo, 0x7f00000, v10
                                        ; implicit-def: $vgpr10
	v_cndmask_b32_e32 v1, 0x7e, v1, vcc_lo
; %bb.1597:
	s_and_not1_saveexec_b32 s7, s7
; %bb.1598:
	v_add_f32_e32 v1, 0x46800000, v10
; %bb.1599:
	s_or_b32 exec_lo, exec_lo, s7
                                        ; implicit-def: $vgpr10
.LBB38_1600:
	s_and_not1_saveexec_b32 s6, s6
; %bb.1601:
	v_mov_b32_e32 v1, 0x7f
	v_cmp_lt_u32_e32 vcc_lo, 0x7f800000, v10
	s_delay_alu instid0(VALU_DEP_2)
	v_cndmask_b32_e32 v1, 0x7e, v1, vcc_lo
; %bb.1602:
	s_or_b32 exec_lo, exec_lo, s6
	global_store_b8 v[8:9], v1, off
.LBB38_1603:
	s_mov_b32 s6, 0
.LBB38_1604:
	s_delay_alu instid0(SALU_CYCLE_1)
	s_and_not1_b32 vcc_lo, exec_lo, s6
	s_cbranch_vccnz .LBB38_1614
; %bb.1605:
	s_wait_xcnt 0x0
	v_cndmask_b32_e64 v10, 0, 1.0, s0
	s_mov_b32 s6, exec_lo
                                        ; implicit-def: $vgpr1
	s_delay_alu instid0(VALU_DEP_1)
	v_cmpx_gt_u32_e32 0x47800000, v10
	s_xor_b32 s6, exec_lo, s6
	s_cbranch_execz .LBB38_1611
; %bb.1606:
	s_mov_b32 s7, exec_lo
                                        ; implicit-def: $vgpr1
	v_cmpx_lt_u32_e32 0x387fffff, v10
	s_xor_b32 s7, exec_lo, s7
; %bb.1607:
	v_bfe_u32 v1, v10, 21, 1
	s_delay_alu instid0(VALU_DEP_1) | instskip(NEXT) | instid1(VALU_DEP_1)
	v_add3_u32 v1, v10, v1, 0x80fffff
                                        ; implicit-def: $vgpr10
	v_lshrrev_b32_e32 v1, 21, v1
; %bb.1608:
	s_and_not1_saveexec_b32 s7, s7
; %bb.1609:
	v_add_f32_e32 v1, 0x43000000, v10
; %bb.1610:
	s_or_b32 exec_lo, exec_lo, s7
                                        ; implicit-def: $vgpr10
.LBB38_1611:
	s_and_not1_saveexec_b32 s6, s6
; %bb.1612:
	v_mov_b32_e32 v1, 0x7f
	v_cmp_lt_u32_e32 vcc_lo, 0x7f800000, v10
	s_delay_alu instid0(VALU_DEP_2)
	v_cndmask_b32_e32 v1, 0x7c, v1, vcc_lo
; %bb.1613:
	s_or_b32 exec_lo, exec_lo, s6
	global_store_b8 v[8:9], v1, off
.LBB38_1614:
	s_mov_b32 s6, 0
	s_mov_b32 s7, -1
.LBB38_1615:
	s_and_not1_b32 vcc_lo, exec_lo, s6
	s_mov_b32 s6, 0
	s_cbranch_vccnz .LBB38_1622
; %bb.1616:
	s_cmp_gt_i32 s3, 14
	s_mov_b32 s6, -1
	s_cbranch_scc0 .LBB38_1620
; %bb.1617:
	s_cmp_eq_u32 s3, 15
	s_mov_b32 s1, -1
	s_cbranch_scc0 .LBB38_1619
; %bb.1618:
	s_wait_xcnt 0x0
	v_cndmask_b32_e64 v1, 0, 1.0, s0
	s_mov_b32 s1, 0
	s_mov_b32 s7, -1
	s_delay_alu instid0(VALU_DEP_1) | instskip(NEXT) | instid1(VALU_DEP_1)
	v_bfe_u32 v10, v1, 16, 1
	v_add3_u32 v1, v1, v10, 0x7fff
	global_store_d16_hi_b16 v[8:9], v1, off
.LBB38_1619:
	s_mov_b32 s6, 0
.LBB38_1620:
	s_delay_alu instid0(SALU_CYCLE_1)
	s_and_b32 vcc_lo, exec_lo, s6
	s_mov_b32 s6, 0
	s_cbranch_vccz .LBB38_1622
; %bb.1621:
	s_cmp_lg_u32 s3, 11
	s_mov_b32 s6, -1
	s_cselect_b32 s1, -1, 0
.LBB38_1622:
	s_delay_alu instid0(SALU_CYCLE_1)
	s_and_b32 vcc_lo, exec_lo, s1
	s_cbranch_vccnz .LBB38_2030
; %bb.1623:
	s_and_not1_b32 vcc_lo, exec_lo, s6
	s_cbranch_vccnz .LBB38_1625
.LBB38_1624:
	s_wait_xcnt 0x0
	v_cndmask_b32_e64 v1, 0, 1, s0
	s_mov_b32 s7, -1
	global_store_b8 v[8:9], v1, off
.LBB38_1625:
	s_mov_b32 s1, 0
	s_branch .LBB38_1627
.LBB38_1626:
	s_mov_b32 s1, -1
	s_mov_b32 s7, 0
.LBB38_1627:
	s_and_b32 vcc_lo, exec_lo, s1
	s_cbranch_vccz .LBB38_1666
; %bb.1628:
	s_and_b32 s1, 0xffff, s13
	s_mov_b32 s3, -1
	s_cmp_lt_i32 s1, 5
	s_cbranch_scc1 .LBB38_1649
; %bb.1629:
	s_cmp_lt_i32 s1, 8
	s_cbranch_scc1 .LBB38_1639
; %bb.1630:
	;; [unrolled: 3-line block ×3, first 2 shown]
	s_cmp_gt_i32 s1, 9
	s_cbranch_scc0 .LBB38_1633
; %bb.1632:
	s_wait_xcnt 0x0
	v_cndmask_b32_e64 v1, 0, 1, s0
	v_mov_b32_e32 v12, 0
	s_mov_b32 s3, 0
	s_delay_alu instid0(VALU_DEP_2) | instskip(NEXT) | instid1(VALU_DEP_2)
	v_cvt_f64_u32_e32 v[10:11], v1
	v_mov_b32_e32 v13, v12
	global_store_b128 v[8:9], v[10:13], off
.LBB38_1633:
	s_and_not1_b32 vcc_lo, exec_lo, s3
	s_cbranch_vccnz .LBB38_1635
; %bb.1634:
	s_wait_xcnt 0x0
	v_cndmask_b32_e64 v10, 0, 1.0, s0
	v_mov_b32_e32 v11, 0
	global_store_b64 v[8:9], v[10:11], off
.LBB38_1635:
	s_mov_b32 s3, 0
.LBB38_1636:
	s_delay_alu instid0(SALU_CYCLE_1)
	s_and_not1_b32 vcc_lo, exec_lo, s3
	s_cbranch_vccnz .LBB38_1638
; %bb.1637:
	s_wait_xcnt 0x0
	v_cndmask_b32_e64 v1, 0, 1.0, s0
	s_delay_alu instid0(VALU_DEP_1) | instskip(NEXT) | instid1(VALU_DEP_1)
	v_cvt_f16_f32_e32 v1, v1
	v_and_b32_e32 v1, 0xffff, v1
	global_store_b32 v[8:9], v1, off
.LBB38_1638:
	s_mov_b32 s3, 0
.LBB38_1639:
	s_delay_alu instid0(SALU_CYCLE_1)
	s_and_not1_b32 vcc_lo, exec_lo, s3
	s_cbranch_vccnz .LBB38_1648
; %bb.1640:
	s_cmp_lt_i32 s1, 6
	s_mov_b32 s3, -1
	s_cbranch_scc1 .LBB38_1646
; %bb.1641:
	s_cmp_gt_i32 s1, 6
	s_cbranch_scc0 .LBB38_1643
; %bb.1642:
	s_wait_xcnt 0x0
	v_cndmask_b32_e64 v1, 0, 1, s0
	s_mov_b32 s3, 0
	s_delay_alu instid0(VALU_DEP_1)
	v_cvt_f64_u32_e32 v[10:11], v1
	global_store_b64 v[8:9], v[10:11], off
.LBB38_1643:
	s_and_not1_b32 vcc_lo, exec_lo, s3
	s_cbranch_vccnz .LBB38_1645
; %bb.1644:
	s_wait_xcnt 0x0
	v_cndmask_b32_e64 v1, 0, 1.0, s0
	global_store_b32 v[8:9], v1, off
.LBB38_1645:
	s_mov_b32 s3, 0
.LBB38_1646:
	s_delay_alu instid0(SALU_CYCLE_1)
	s_and_not1_b32 vcc_lo, exec_lo, s3
	s_cbranch_vccnz .LBB38_1648
; %bb.1647:
	s_wait_xcnt 0x0
	v_cndmask_b32_e64 v1, 0, 1.0, s0
	s_delay_alu instid0(VALU_DEP_1)
	v_cvt_f16_f32_e32 v1, v1
	global_store_b16 v[8:9], v1, off
.LBB38_1648:
	s_mov_b32 s3, 0
.LBB38_1649:
	s_delay_alu instid0(SALU_CYCLE_1)
	s_and_not1_b32 vcc_lo, exec_lo, s3
	s_cbranch_vccnz .LBB38_1665
; %bb.1650:
	s_cmp_lt_i32 s1, 2
	s_mov_b32 s3, -1
	s_cbranch_scc1 .LBB38_1660
; %bb.1651:
	s_cmp_lt_i32 s1, 3
	s_cbranch_scc1 .LBB38_1657
; %bb.1652:
	s_cmp_gt_i32 s1, 3
	s_cbranch_scc0 .LBB38_1654
; %bb.1653:
	s_mov_b32 s3, 0
	s_wait_xcnt 0x0
	v_cndmask_b32_e64 v10, 0, 1, s0
	v_mov_b32_e32 v11, s3
	global_store_b64 v[8:9], v[10:11], off
.LBB38_1654:
	s_and_not1_b32 vcc_lo, exec_lo, s3
	s_cbranch_vccnz .LBB38_1656
; %bb.1655:
	s_wait_xcnt 0x0
	v_cndmask_b32_e64 v1, 0, 1, s0
	global_store_b32 v[8:9], v1, off
.LBB38_1656:
	s_mov_b32 s3, 0
.LBB38_1657:
	s_delay_alu instid0(SALU_CYCLE_1)
	s_and_not1_b32 vcc_lo, exec_lo, s3
	s_cbranch_vccnz .LBB38_1659
; %bb.1658:
	s_wait_xcnt 0x0
	v_cndmask_b32_e64 v1, 0, 1, s0
	global_store_b16 v[8:9], v1, off
.LBB38_1659:
	s_mov_b32 s3, 0
.LBB38_1660:
	s_delay_alu instid0(SALU_CYCLE_1)
	s_and_not1_b32 vcc_lo, exec_lo, s3
	s_cbranch_vccnz .LBB38_1665
; %bb.1661:
	s_wait_xcnt 0x0
	v_cndmask_b32_e64 v1, 0, 1, s0
	s_cmp_gt_i32 s1, 0
	s_mov_b32 s0, -1
	s_cbranch_scc0 .LBB38_1663
; %bb.1662:
	s_mov_b32 s0, 0
	global_store_b8 v[8:9], v1, off
.LBB38_1663:
	s_and_not1_b32 vcc_lo, exec_lo, s0
	s_cbranch_vccnz .LBB38_1665
; %bb.1664:
	global_store_b8 v[8:9], v1, off
.LBB38_1665:
	s_mov_b32 s7, -1
.LBB38_1666:
	s_delay_alu instid0(SALU_CYCLE_1)
	s_and_not1_b32 vcc_lo, exec_lo, s7
	s_cbranch_vccnz .LBB38_1981
; %bb.1667:
	v_cmp_eq_f64_e64 s0, 0x7ff00000, v[2:3]
	s_lshl_b32 s2, s2, 7
	s_cmp_lt_i32 s13, 11
	v_add_nc_u32_e32 v0, s2, v0
	s_wait_xcnt 0x0
	s_delay_alu instid0(VALU_DEP_1) | instskip(NEXT) | instid1(VALU_DEP_1)
	v_ashrrev_i32_e32 v1, 31, v0
	v_add_nc_u64_e32 v[2:3], s[4:5], v[0:1]
	s_cbranch_scc1 .LBB38_1745
; %bb.1668:
	s_and_b32 s3, 0xffff, s13
	s_mov_b32 s8, -1
	s_mov_b32 s6, 0
	s_cmp_gt_i32 s3, 25
	s_mov_b32 s7, 0
	s_mov_b32 s1, 0
	s_cbranch_scc0 .LBB38_1701
; %bb.1669:
	s_cmp_gt_i32 s3, 28
	s_cbranch_scc0 .LBB38_1684
; %bb.1670:
	s_cmp_gt_i32 s3, 43
	;; [unrolled: 3-line block ×3, first 2 shown]
	s_cbranch_scc0 .LBB38_1674
; %bb.1672:
	s_mov_b32 s1, -1
	s_mov_b32 s8, 0
	s_cmp_eq_u32 s3, 46
	s_cbranch_scc0 .LBB38_1674
; %bb.1673:
	v_cndmask_b32_e64 v1, 0, 1.0, s0
	s_mov_b32 s1, 0
	s_mov_b32 s7, -1
	s_delay_alu instid0(VALU_DEP_1) | instskip(NEXT) | instid1(VALU_DEP_1)
	v_bfe_u32 v8, v1, 16, 1
	v_add3_u32 v1, v1, v8, 0x7fff
	s_delay_alu instid0(VALU_DEP_1)
	v_lshrrev_b32_e32 v1, 16, v1
	global_store_b32 v[2:3], v1, off
.LBB38_1674:
	s_and_b32 vcc_lo, exec_lo, s8
	s_cbranch_vccz .LBB38_1679
; %bb.1675:
	s_cmp_eq_u32 s3, 44
	s_mov_b32 s1, -1
	s_cbranch_scc0 .LBB38_1679
; %bb.1676:
	v_cndmask_b32_e64 v9, 0, 1.0, s0
	s_mov_b32 s7, exec_lo
	s_wait_xcnt 0x0
	s_delay_alu instid0(VALU_DEP_1) | instskip(NEXT) | instid1(VALU_DEP_1)
	v_dual_mov_b32 v8, 0xff :: v_dual_lshrrev_b32 v1, 23, v9
	v_cmpx_ne_u32_e32 0xff, v1
; %bb.1677:
	v_and_b32_e32 v8, 0x400000, v9
	v_and_or_b32 v9, 0x3fffff, v9, v1
	s_delay_alu instid0(VALU_DEP_2) | instskip(NEXT) | instid1(VALU_DEP_2)
	v_cmp_ne_u32_e32 vcc_lo, 0, v8
	v_cmp_ne_u32_e64 s1, 0, v9
	s_and_b32 s1, vcc_lo, s1
	s_delay_alu instid0(SALU_CYCLE_1) | instskip(NEXT) | instid1(VALU_DEP_1)
	v_cndmask_b32_e64 v8, 0, 1, s1
	v_add_nc_u32_e32 v8, v1, v8
; %bb.1678:
	s_or_b32 exec_lo, exec_lo, s7
	s_mov_b32 s1, 0
	s_mov_b32 s7, -1
	global_store_b8 v[2:3], v8, off
.LBB38_1679:
	s_mov_b32 s8, 0
.LBB38_1680:
	s_delay_alu instid0(SALU_CYCLE_1)
	s_and_b32 vcc_lo, exec_lo, s8
	s_cbranch_vccz .LBB38_1683
; %bb.1681:
	s_cmp_eq_u32 s3, 29
	s_mov_b32 s1, -1
	s_cbranch_scc0 .LBB38_1683
; %bb.1682:
	s_mov_b32 s1, 0
	s_wait_xcnt 0x0
	v_cndmask_b32_e64 v8, 0, 1, s0
	v_mov_b32_e32 v9, s1
	s_mov_b32 s7, -1
	global_store_b64 v[2:3], v[8:9], off
.LBB38_1683:
	s_mov_b32 s8, 0
.LBB38_1684:
	s_delay_alu instid0(SALU_CYCLE_1)
	s_and_b32 vcc_lo, exec_lo, s8
	s_cbranch_vccz .LBB38_1700
; %bb.1685:
	s_cmp_lt_i32 s3, 27
	s_mov_b32 s7, -1
	s_cbranch_scc1 .LBB38_1691
; %bb.1686:
	s_cmp_gt_i32 s3, 27
	s_cbranch_scc0 .LBB38_1688
; %bb.1687:
	s_wait_xcnt 0x0
	v_cndmask_b32_e64 v1, 0, 1, s0
	s_mov_b32 s7, 0
	global_store_b32 v[2:3], v1, off
.LBB38_1688:
	s_and_not1_b32 vcc_lo, exec_lo, s7
	s_cbranch_vccnz .LBB38_1690
; %bb.1689:
	s_wait_xcnt 0x0
	v_cndmask_b32_e64 v1, 0, 1, s0
	global_store_b16 v[2:3], v1, off
.LBB38_1690:
	s_mov_b32 s7, 0
.LBB38_1691:
	s_delay_alu instid0(SALU_CYCLE_1)
	s_and_not1_b32 vcc_lo, exec_lo, s7
	s_cbranch_vccnz .LBB38_1699
; %bb.1692:
	s_wait_xcnt 0x0
	v_cndmask_b32_e64 v8, 0, 1.0, s0
	v_mov_b32_e32 v9, 0x80
	s_mov_b32 s7, exec_lo
	s_delay_alu instid0(VALU_DEP_2)
	v_cmpx_gt_u32_e32 0x43800000, v8
	s_cbranch_execz .LBB38_1698
; %bb.1693:
	s_mov_b32 s8, 0
	s_mov_b32 s10, exec_lo
                                        ; implicit-def: $vgpr1
	v_cmpx_lt_u32_e32 0x3bffffff, v8
	s_xor_b32 s10, exec_lo, s10
	s_cbranch_execz .LBB38_2033
; %bb.1694:
	v_bfe_u32 v1, v8, 20, 1
	s_mov_b32 s8, exec_lo
	s_delay_alu instid0(VALU_DEP_1) | instskip(NEXT) | instid1(VALU_DEP_1)
	v_add3_u32 v1, v8, v1, 0x487ffff
                                        ; implicit-def: $vgpr8
	v_lshrrev_b32_e32 v1, 20, v1
	s_and_not1_saveexec_b32 s10, s10
	s_cbranch_execnz .LBB38_2034
.LBB38_1695:
	s_or_b32 exec_lo, exec_lo, s10
	v_mov_b32_e32 v9, 0
	s_and_saveexec_b32 s10, s8
.LBB38_1696:
	v_mov_b32_e32 v9, v1
.LBB38_1697:
	s_or_b32 exec_lo, exec_lo, s10
.LBB38_1698:
	s_delay_alu instid0(SALU_CYCLE_1)
	s_or_b32 exec_lo, exec_lo, s7
	global_store_b8 v[2:3], v9, off
.LBB38_1699:
	s_mov_b32 s7, -1
.LBB38_1700:
	s_mov_b32 s8, 0
.LBB38_1701:
	s_delay_alu instid0(SALU_CYCLE_1)
	s_and_b32 vcc_lo, exec_lo, s8
	s_cbranch_vccz .LBB38_1741
; %bb.1702:
	s_cmp_gt_i32 s3, 22
	s_mov_b32 s6, -1
	s_cbranch_scc0 .LBB38_1734
; %bb.1703:
	s_cmp_lt_i32 s3, 24
	s_cbranch_scc1 .LBB38_1723
; %bb.1704:
	s_cmp_gt_i32 s3, 24
	s_cbranch_scc0 .LBB38_1712
; %bb.1705:
	s_wait_xcnt 0x0
	v_cndmask_b32_e64 v8, 0, 1.0, s0
	v_mov_b32_e32 v9, 0x80
	s_mov_b32 s6, exec_lo
	s_delay_alu instid0(VALU_DEP_2)
	v_cmpx_gt_u32_e32 0x47800000, v8
	s_cbranch_execz .LBB38_1711
; %bb.1706:
	s_mov_b32 s7, 0
	s_mov_b32 s8, exec_lo
                                        ; implicit-def: $vgpr1
	v_cmpx_lt_u32_e32 0x37ffffff, v8
	s_xor_b32 s8, exec_lo, s8
	s_cbranch_execz .LBB38_2036
; %bb.1707:
	v_bfe_u32 v1, v8, 21, 1
	s_mov_b32 s7, exec_lo
	s_delay_alu instid0(VALU_DEP_1) | instskip(NEXT) | instid1(VALU_DEP_1)
	v_add3_u32 v1, v8, v1, 0x88fffff
                                        ; implicit-def: $vgpr8
	v_lshrrev_b32_e32 v1, 21, v1
	s_and_not1_saveexec_b32 s8, s8
	s_cbranch_execnz .LBB38_2037
.LBB38_1708:
	s_or_b32 exec_lo, exec_lo, s8
	v_mov_b32_e32 v9, 0
	s_and_saveexec_b32 s8, s7
.LBB38_1709:
	v_mov_b32_e32 v9, v1
.LBB38_1710:
	s_or_b32 exec_lo, exec_lo, s8
.LBB38_1711:
	s_delay_alu instid0(SALU_CYCLE_1)
	s_or_b32 exec_lo, exec_lo, s6
	s_mov_b32 s6, 0
	global_store_b8 v[2:3], v9, off
.LBB38_1712:
	s_and_b32 vcc_lo, exec_lo, s6
	s_cbranch_vccz .LBB38_1722
; %bb.1713:
	s_wait_xcnt 0x0
	v_cndmask_b32_e64 v8, 0, 1.0, s0
	s_mov_b32 s6, exec_lo
                                        ; implicit-def: $vgpr1
	s_delay_alu instid0(VALU_DEP_1)
	v_cmpx_gt_u32_e32 0x43f00000, v8
	s_xor_b32 s6, exec_lo, s6
	s_cbranch_execz .LBB38_1719
; %bb.1714:
	s_mov_b32 s7, exec_lo
                                        ; implicit-def: $vgpr1
	v_cmpx_lt_u32_e32 0x3c7fffff, v8
	s_xor_b32 s7, exec_lo, s7
; %bb.1715:
	v_bfe_u32 v1, v8, 20, 1
	s_delay_alu instid0(VALU_DEP_1) | instskip(NEXT) | instid1(VALU_DEP_1)
	v_add3_u32 v1, v8, v1, 0x407ffff
	v_and_b32_e32 v8, 0xff00000, v1
	v_lshrrev_b32_e32 v1, 20, v1
	s_delay_alu instid0(VALU_DEP_2) | instskip(NEXT) | instid1(VALU_DEP_2)
	v_cmp_ne_u32_e32 vcc_lo, 0x7f00000, v8
                                        ; implicit-def: $vgpr8
	v_cndmask_b32_e32 v1, 0x7e, v1, vcc_lo
; %bb.1716:
	s_and_not1_saveexec_b32 s7, s7
; %bb.1717:
	v_add_f32_e32 v1, 0x46800000, v8
; %bb.1718:
	s_or_b32 exec_lo, exec_lo, s7
                                        ; implicit-def: $vgpr8
.LBB38_1719:
	s_and_not1_saveexec_b32 s6, s6
; %bb.1720:
	v_mov_b32_e32 v1, 0x7f
	v_cmp_lt_u32_e32 vcc_lo, 0x7f800000, v8
	s_delay_alu instid0(VALU_DEP_2)
	v_cndmask_b32_e32 v1, 0x7e, v1, vcc_lo
; %bb.1721:
	s_or_b32 exec_lo, exec_lo, s6
	global_store_b8 v[2:3], v1, off
.LBB38_1722:
	s_mov_b32 s6, 0
.LBB38_1723:
	s_delay_alu instid0(SALU_CYCLE_1)
	s_and_not1_b32 vcc_lo, exec_lo, s6
	s_cbranch_vccnz .LBB38_1733
; %bb.1724:
	s_wait_xcnt 0x0
	v_cndmask_b32_e64 v8, 0, 1.0, s0
	s_mov_b32 s6, exec_lo
                                        ; implicit-def: $vgpr1
	s_delay_alu instid0(VALU_DEP_1)
	v_cmpx_gt_u32_e32 0x47800000, v8
	s_xor_b32 s6, exec_lo, s6
	s_cbranch_execz .LBB38_1730
; %bb.1725:
	s_mov_b32 s7, exec_lo
                                        ; implicit-def: $vgpr1
	v_cmpx_lt_u32_e32 0x387fffff, v8
	s_xor_b32 s7, exec_lo, s7
; %bb.1726:
	v_bfe_u32 v1, v8, 21, 1
	s_delay_alu instid0(VALU_DEP_1) | instskip(NEXT) | instid1(VALU_DEP_1)
	v_add3_u32 v1, v8, v1, 0x80fffff
                                        ; implicit-def: $vgpr8
	v_lshrrev_b32_e32 v1, 21, v1
; %bb.1727:
	s_and_not1_saveexec_b32 s7, s7
; %bb.1728:
	v_add_f32_e32 v1, 0x43000000, v8
; %bb.1729:
	s_or_b32 exec_lo, exec_lo, s7
                                        ; implicit-def: $vgpr8
.LBB38_1730:
	s_and_not1_saveexec_b32 s6, s6
; %bb.1731:
	v_mov_b32_e32 v1, 0x7f
	v_cmp_lt_u32_e32 vcc_lo, 0x7f800000, v8
	s_delay_alu instid0(VALU_DEP_2)
	v_cndmask_b32_e32 v1, 0x7c, v1, vcc_lo
; %bb.1732:
	s_or_b32 exec_lo, exec_lo, s6
	global_store_b8 v[2:3], v1, off
.LBB38_1733:
	s_mov_b32 s6, 0
	s_mov_b32 s7, -1
.LBB38_1734:
	s_and_not1_b32 vcc_lo, exec_lo, s6
	s_mov_b32 s6, 0
	s_cbranch_vccnz .LBB38_1741
; %bb.1735:
	s_cmp_gt_i32 s3, 14
	s_mov_b32 s6, -1
	s_cbranch_scc0 .LBB38_1739
; %bb.1736:
	s_cmp_eq_u32 s3, 15
	s_mov_b32 s1, -1
	s_cbranch_scc0 .LBB38_1738
; %bb.1737:
	s_wait_xcnt 0x0
	v_cndmask_b32_e64 v1, 0, 1.0, s0
	s_mov_b32 s1, 0
	s_mov_b32 s7, -1
	s_delay_alu instid0(VALU_DEP_1) | instskip(NEXT) | instid1(VALU_DEP_1)
	v_bfe_u32 v8, v1, 16, 1
	v_add3_u32 v1, v1, v8, 0x7fff
	global_store_d16_hi_b16 v[2:3], v1, off
.LBB38_1738:
	s_mov_b32 s6, 0
.LBB38_1739:
	s_delay_alu instid0(SALU_CYCLE_1)
	s_and_b32 vcc_lo, exec_lo, s6
	s_mov_b32 s6, 0
	s_cbranch_vccz .LBB38_1741
; %bb.1740:
	s_cmp_lg_u32 s3, 11
	s_mov_b32 s6, -1
	s_cselect_b32 s1, -1, 0
.LBB38_1741:
	s_delay_alu instid0(SALU_CYCLE_1)
	s_and_b32 vcc_lo, exec_lo, s1
	s_cbranch_vccnz .LBB38_2035
; %bb.1742:
	s_and_not1_b32 vcc_lo, exec_lo, s6
	s_cbranch_vccnz .LBB38_1744
.LBB38_1743:
	s_wait_xcnt 0x0
	v_cndmask_b32_e64 v1, 0, 1, s0
	s_mov_b32 s7, -1
	global_store_b8 v[2:3], v1, off
.LBB38_1744:
	s_mov_b32 s1, 0
	s_branch .LBB38_1746
.LBB38_1745:
	s_mov_b32 s1, -1
	s_mov_b32 s7, 0
.LBB38_1746:
	s_and_b32 vcc_lo, exec_lo, s1
	s_cbranch_vccz .LBB38_1785
; %bb.1747:
	s_and_b32 s1, 0xffff, s13
	s_mov_b32 s3, -1
	s_cmp_lt_i32 s1, 5
	s_cbranch_scc1 .LBB38_1768
; %bb.1748:
	s_cmp_lt_i32 s1, 8
	s_cbranch_scc1 .LBB38_1758
; %bb.1749:
	;; [unrolled: 3-line block ×3, first 2 shown]
	s_cmp_gt_i32 s1, 9
	s_cbranch_scc0 .LBB38_1752
; %bb.1751:
	s_wait_xcnt 0x0
	v_cndmask_b32_e64 v1, 0, 1, s0
	v_mov_b32_e32 v10, 0
	s_mov_b32 s3, 0
	s_delay_alu instid0(VALU_DEP_2) | instskip(NEXT) | instid1(VALU_DEP_2)
	v_cvt_f64_u32_e32 v[8:9], v1
	v_mov_b32_e32 v11, v10
	global_store_b128 v[2:3], v[8:11], off
.LBB38_1752:
	s_and_not1_b32 vcc_lo, exec_lo, s3
	s_cbranch_vccnz .LBB38_1754
; %bb.1753:
	s_wait_xcnt 0x0
	v_cndmask_b32_e64 v8, 0, 1.0, s0
	v_mov_b32_e32 v9, 0
	global_store_b64 v[2:3], v[8:9], off
.LBB38_1754:
	s_mov_b32 s3, 0
.LBB38_1755:
	s_delay_alu instid0(SALU_CYCLE_1)
	s_and_not1_b32 vcc_lo, exec_lo, s3
	s_cbranch_vccnz .LBB38_1757
; %bb.1756:
	s_wait_xcnt 0x0
	v_cndmask_b32_e64 v1, 0, 1.0, s0
	s_delay_alu instid0(VALU_DEP_1) | instskip(NEXT) | instid1(VALU_DEP_1)
	v_cvt_f16_f32_e32 v1, v1
	v_and_b32_e32 v1, 0xffff, v1
	global_store_b32 v[2:3], v1, off
.LBB38_1757:
	s_mov_b32 s3, 0
.LBB38_1758:
	s_delay_alu instid0(SALU_CYCLE_1)
	s_and_not1_b32 vcc_lo, exec_lo, s3
	s_cbranch_vccnz .LBB38_1767
; %bb.1759:
	s_cmp_lt_i32 s1, 6
	s_mov_b32 s3, -1
	s_cbranch_scc1 .LBB38_1765
; %bb.1760:
	s_cmp_gt_i32 s1, 6
	s_cbranch_scc0 .LBB38_1762
; %bb.1761:
	s_wait_xcnt 0x0
	v_cndmask_b32_e64 v1, 0, 1, s0
	s_mov_b32 s3, 0
	s_delay_alu instid0(VALU_DEP_1)
	v_cvt_f64_u32_e32 v[8:9], v1
	global_store_b64 v[2:3], v[8:9], off
.LBB38_1762:
	s_and_not1_b32 vcc_lo, exec_lo, s3
	s_cbranch_vccnz .LBB38_1764
; %bb.1763:
	s_wait_xcnt 0x0
	v_cndmask_b32_e64 v1, 0, 1.0, s0
	global_store_b32 v[2:3], v1, off
.LBB38_1764:
	s_mov_b32 s3, 0
.LBB38_1765:
	s_delay_alu instid0(SALU_CYCLE_1)
	s_and_not1_b32 vcc_lo, exec_lo, s3
	s_cbranch_vccnz .LBB38_1767
; %bb.1766:
	s_wait_xcnt 0x0
	v_cndmask_b32_e64 v1, 0, 1.0, s0
	s_delay_alu instid0(VALU_DEP_1)
	v_cvt_f16_f32_e32 v1, v1
	global_store_b16 v[2:3], v1, off
.LBB38_1767:
	s_mov_b32 s3, 0
.LBB38_1768:
	s_delay_alu instid0(SALU_CYCLE_1)
	s_and_not1_b32 vcc_lo, exec_lo, s3
	s_cbranch_vccnz .LBB38_1784
; %bb.1769:
	s_cmp_lt_i32 s1, 2
	s_mov_b32 s3, -1
	s_cbranch_scc1 .LBB38_1779
; %bb.1770:
	s_cmp_lt_i32 s1, 3
	s_cbranch_scc1 .LBB38_1776
; %bb.1771:
	s_cmp_gt_i32 s1, 3
	s_cbranch_scc0 .LBB38_1773
; %bb.1772:
	s_mov_b32 s3, 0
	s_wait_xcnt 0x0
	v_cndmask_b32_e64 v8, 0, 1, s0
	v_mov_b32_e32 v9, s3
	global_store_b64 v[2:3], v[8:9], off
.LBB38_1773:
	s_and_not1_b32 vcc_lo, exec_lo, s3
	s_cbranch_vccnz .LBB38_1775
; %bb.1774:
	s_wait_xcnt 0x0
	v_cndmask_b32_e64 v1, 0, 1, s0
	global_store_b32 v[2:3], v1, off
.LBB38_1775:
	s_mov_b32 s3, 0
.LBB38_1776:
	s_delay_alu instid0(SALU_CYCLE_1)
	s_and_not1_b32 vcc_lo, exec_lo, s3
	s_cbranch_vccnz .LBB38_1778
; %bb.1777:
	s_wait_xcnt 0x0
	v_cndmask_b32_e64 v1, 0, 1, s0
	global_store_b16 v[2:3], v1, off
.LBB38_1778:
	s_mov_b32 s3, 0
.LBB38_1779:
	s_delay_alu instid0(SALU_CYCLE_1)
	s_and_not1_b32 vcc_lo, exec_lo, s3
	s_cbranch_vccnz .LBB38_1784
; %bb.1780:
	s_wait_xcnt 0x0
	v_cndmask_b32_e64 v1, 0, 1, s0
	s_cmp_gt_i32 s1, 0
	s_mov_b32 s0, -1
	s_cbranch_scc0 .LBB38_1782
; %bb.1781:
	s_mov_b32 s0, 0
	global_store_b8 v[2:3], v1, off
.LBB38_1782:
	s_and_not1_b32 vcc_lo, exec_lo, s0
	s_cbranch_vccnz .LBB38_1784
; %bb.1783:
	global_store_b8 v[2:3], v1, off
.LBB38_1784:
	s_mov_b32 s7, -1
.LBB38_1785:
	s_delay_alu instid0(SALU_CYCLE_1)
	s_and_not1_b32 vcc_lo, exec_lo, s7
	s_cbranch_vccnz .LBB38_1981
; %bb.1786:
	v_cmp_eq_f64_e64 s0, 0x7ff00000, v[4:5]
	v_add_nc_u32_e32 v0, s2, v0
	s_cmp_lt_i32 s13, 11
	s_wait_xcnt 0x0
	s_delay_alu instid0(VALU_DEP_1) | instskip(NEXT) | instid1(VALU_DEP_1)
	v_ashrrev_i32_e32 v1, 31, v0
	v_add_nc_u64_e32 v[2:3], s[4:5], v[0:1]
	s_cbranch_scc1 .LBB38_1864
; %bb.1787:
	s_and_b32 s3, 0xffff, s13
	s_mov_b32 s8, -1
	s_mov_b32 s6, 0
	s_cmp_gt_i32 s3, 25
	s_mov_b32 s7, 0
	s_mov_b32 s1, 0
	s_cbranch_scc0 .LBB38_1820
; %bb.1788:
	s_cmp_gt_i32 s3, 28
	s_cbranch_scc0 .LBB38_1803
; %bb.1789:
	s_cmp_gt_i32 s3, 43
	;; [unrolled: 3-line block ×3, first 2 shown]
	s_cbranch_scc0 .LBB38_1793
; %bb.1791:
	s_mov_b32 s1, -1
	s_mov_b32 s8, 0
	s_cmp_eq_u32 s3, 46
	s_cbranch_scc0 .LBB38_1793
; %bb.1792:
	v_cndmask_b32_e64 v1, 0, 1.0, s0
	s_mov_b32 s1, 0
	s_mov_b32 s7, -1
	s_delay_alu instid0(VALU_DEP_1) | instskip(NEXT) | instid1(VALU_DEP_1)
	v_bfe_u32 v4, v1, 16, 1
	v_add3_u32 v1, v1, v4, 0x7fff
	s_delay_alu instid0(VALU_DEP_1)
	v_lshrrev_b32_e32 v1, 16, v1
	global_store_b32 v[2:3], v1, off
.LBB38_1793:
	s_and_b32 vcc_lo, exec_lo, s8
	s_cbranch_vccz .LBB38_1798
; %bb.1794:
	s_cmp_eq_u32 s3, 44
	s_mov_b32 s1, -1
	s_cbranch_scc0 .LBB38_1798
; %bb.1795:
	v_cndmask_b32_e64 v5, 0, 1.0, s0
	s_mov_b32 s7, exec_lo
	s_wait_xcnt 0x0
	s_delay_alu instid0(VALU_DEP_1) | instskip(NEXT) | instid1(VALU_DEP_1)
	v_dual_mov_b32 v4, 0xff :: v_dual_lshrrev_b32 v1, 23, v5
	v_cmpx_ne_u32_e32 0xff, v1
; %bb.1796:
	v_and_b32_e32 v4, 0x400000, v5
	v_and_or_b32 v5, 0x3fffff, v5, v1
	s_delay_alu instid0(VALU_DEP_2) | instskip(NEXT) | instid1(VALU_DEP_2)
	v_cmp_ne_u32_e32 vcc_lo, 0, v4
	v_cmp_ne_u32_e64 s1, 0, v5
	s_and_b32 s1, vcc_lo, s1
	s_delay_alu instid0(SALU_CYCLE_1) | instskip(NEXT) | instid1(VALU_DEP_1)
	v_cndmask_b32_e64 v4, 0, 1, s1
	v_add_nc_u32_e32 v4, v1, v4
; %bb.1797:
	s_or_b32 exec_lo, exec_lo, s7
	s_mov_b32 s1, 0
	s_mov_b32 s7, -1
	global_store_b8 v[2:3], v4, off
.LBB38_1798:
	s_mov_b32 s8, 0
.LBB38_1799:
	s_delay_alu instid0(SALU_CYCLE_1)
	s_and_b32 vcc_lo, exec_lo, s8
	s_cbranch_vccz .LBB38_1802
; %bb.1800:
	s_cmp_eq_u32 s3, 29
	s_mov_b32 s1, -1
	s_cbranch_scc0 .LBB38_1802
; %bb.1801:
	s_mov_b32 s1, 0
	s_wait_xcnt 0x0
	v_cndmask_b32_e64 v4, 0, 1, s0
	v_mov_b32_e32 v5, s1
	s_mov_b32 s7, -1
	global_store_b64 v[2:3], v[4:5], off
.LBB38_1802:
	s_mov_b32 s8, 0
.LBB38_1803:
	s_delay_alu instid0(SALU_CYCLE_1)
	s_and_b32 vcc_lo, exec_lo, s8
	s_cbranch_vccz .LBB38_1819
; %bb.1804:
	s_cmp_lt_i32 s3, 27
	s_mov_b32 s7, -1
	s_cbranch_scc1 .LBB38_1810
; %bb.1805:
	s_cmp_gt_i32 s3, 27
	s_cbranch_scc0 .LBB38_1807
; %bb.1806:
	s_wait_xcnt 0x0
	v_cndmask_b32_e64 v1, 0, 1, s0
	s_mov_b32 s7, 0
	global_store_b32 v[2:3], v1, off
.LBB38_1807:
	s_and_not1_b32 vcc_lo, exec_lo, s7
	s_cbranch_vccnz .LBB38_1809
; %bb.1808:
	s_wait_xcnt 0x0
	v_cndmask_b32_e64 v1, 0, 1, s0
	global_store_b16 v[2:3], v1, off
.LBB38_1809:
	s_mov_b32 s7, 0
.LBB38_1810:
	s_delay_alu instid0(SALU_CYCLE_1)
	s_and_not1_b32 vcc_lo, exec_lo, s7
	s_cbranch_vccnz .LBB38_1818
; %bb.1811:
	s_wait_xcnt 0x0
	v_cndmask_b32_e64 v4, 0, 1.0, s0
	v_mov_b32_e32 v5, 0x80
	s_mov_b32 s7, exec_lo
	s_delay_alu instid0(VALU_DEP_2)
	v_cmpx_gt_u32_e32 0x43800000, v4
	s_cbranch_execz .LBB38_1817
; %bb.1812:
	s_mov_b32 s8, 0
	s_mov_b32 s10, exec_lo
                                        ; implicit-def: $vgpr1
	v_cmpx_lt_u32_e32 0x3bffffff, v4
	s_xor_b32 s10, exec_lo, s10
	s_cbranch_execz .LBB38_2038
; %bb.1813:
	v_bfe_u32 v1, v4, 20, 1
	s_mov_b32 s8, exec_lo
	s_delay_alu instid0(VALU_DEP_1) | instskip(NEXT) | instid1(VALU_DEP_1)
	v_add3_u32 v1, v4, v1, 0x487ffff
                                        ; implicit-def: $vgpr4
	v_lshrrev_b32_e32 v1, 20, v1
	s_and_not1_saveexec_b32 s10, s10
	s_cbranch_execnz .LBB38_2039
.LBB38_1814:
	s_or_b32 exec_lo, exec_lo, s10
	v_mov_b32_e32 v5, 0
	s_and_saveexec_b32 s10, s8
.LBB38_1815:
	v_mov_b32_e32 v5, v1
.LBB38_1816:
	s_or_b32 exec_lo, exec_lo, s10
.LBB38_1817:
	s_delay_alu instid0(SALU_CYCLE_1)
	s_or_b32 exec_lo, exec_lo, s7
	global_store_b8 v[2:3], v5, off
.LBB38_1818:
	s_mov_b32 s7, -1
.LBB38_1819:
	s_mov_b32 s8, 0
.LBB38_1820:
	s_delay_alu instid0(SALU_CYCLE_1)
	s_and_b32 vcc_lo, exec_lo, s8
	s_cbranch_vccz .LBB38_1860
; %bb.1821:
	s_cmp_gt_i32 s3, 22
	s_mov_b32 s6, -1
	s_cbranch_scc0 .LBB38_1853
; %bb.1822:
	s_cmp_lt_i32 s3, 24
	s_cbranch_scc1 .LBB38_1842
; %bb.1823:
	s_cmp_gt_i32 s3, 24
	s_cbranch_scc0 .LBB38_1831
; %bb.1824:
	s_wait_xcnt 0x0
	v_cndmask_b32_e64 v4, 0, 1.0, s0
	v_mov_b32_e32 v5, 0x80
	s_mov_b32 s6, exec_lo
	s_delay_alu instid0(VALU_DEP_2)
	v_cmpx_gt_u32_e32 0x47800000, v4
	s_cbranch_execz .LBB38_1830
; %bb.1825:
	s_mov_b32 s7, 0
	s_mov_b32 s8, exec_lo
                                        ; implicit-def: $vgpr1
	v_cmpx_lt_u32_e32 0x37ffffff, v4
	s_xor_b32 s8, exec_lo, s8
	s_cbranch_execz .LBB38_2041
; %bb.1826:
	v_bfe_u32 v1, v4, 21, 1
	s_mov_b32 s7, exec_lo
	s_delay_alu instid0(VALU_DEP_1) | instskip(NEXT) | instid1(VALU_DEP_1)
	v_add3_u32 v1, v4, v1, 0x88fffff
                                        ; implicit-def: $vgpr4
	v_lshrrev_b32_e32 v1, 21, v1
	s_and_not1_saveexec_b32 s8, s8
	s_cbranch_execnz .LBB38_2042
.LBB38_1827:
	s_or_b32 exec_lo, exec_lo, s8
	v_mov_b32_e32 v5, 0
	s_and_saveexec_b32 s8, s7
.LBB38_1828:
	v_mov_b32_e32 v5, v1
.LBB38_1829:
	s_or_b32 exec_lo, exec_lo, s8
.LBB38_1830:
	s_delay_alu instid0(SALU_CYCLE_1)
	s_or_b32 exec_lo, exec_lo, s6
	s_mov_b32 s6, 0
	global_store_b8 v[2:3], v5, off
.LBB38_1831:
	s_and_b32 vcc_lo, exec_lo, s6
	s_cbranch_vccz .LBB38_1841
; %bb.1832:
	s_wait_xcnt 0x0
	v_cndmask_b32_e64 v4, 0, 1.0, s0
	s_mov_b32 s6, exec_lo
                                        ; implicit-def: $vgpr1
	s_delay_alu instid0(VALU_DEP_1)
	v_cmpx_gt_u32_e32 0x43f00000, v4
	s_xor_b32 s6, exec_lo, s6
	s_cbranch_execz .LBB38_1838
; %bb.1833:
	s_mov_b32 s7, exec_lo
                                        ; implicit-def: $vgpr1
	v_cmpx_lt_u32_e32 0x3c7fffff, v4
	s_xor_b32 s7, exec_lo, s7
; %bb.1834:
	v_bfe_u32 v1, v4, 20, 1
	s_delay_alu instid0(VALU_DEP_1) | instskip(NEXT) | instid1(VALU_DEP_1)
	v_add3_u32 v1, v4, v1, 0x407ffff
	v_and_b32_e32 v4, 0xff00000, v1
	v_lshrrev_b32_e32 v1, 20, v1
	s_delay_alu instid0(VALU_DEP_2) | instskip(NEXT) | instid1(VALU_DEP_2)
	v_cmp_ne_u32_e32 vcc_lo, 0x7f00000, v4
                                        ; implicit-def: $vgpr4
	v_cndmask_b32_e32 v1, 0x7e, v1, vcc_lo
; %bb.1835:
	s_and_not1_saveexec_b32 s7, s7
; %bb.1836:
	v_add_f32_e32 v1, 0x46800000, v4
; %bb.1837:
	s_or_b32 exec_lo, exec_lo, s7
                                        ; implicit-def: $vgpr4
.LBB38_1838:
	s_and_not1_saveexec_b32 s6, s6
; %bb.1839:
	v_mov_b32_e32 v1, 0x7f
	v_cmp_lt_u32_e32 vcc_lo, 0x7f800000, v4
	s_delay_alu instid0(VALU_DEP_2)
	v_cndmask_b32_e32 v1, 0x7e, v1, vcc_lo
; %bb.1840:
	s_or_b32 exec_lo, exec_lo, s6
	global_store_b8 v[2:3], v1, off
.LBB38_1841:
	s_mov_b32 s6, 0
.LBB38_1842:
	s_delay_alu instid0(SALU_CYCLE_1)
	s_and_not1_b32 vcc_lo, exec_lo, s6
	s_cbranch_vccnz .LBB38_1852
; %bb.1843:
	s_wait_xcnt 0x0
	v_cndmask_b32_e64 v4, 0, 1.0, s0
	s_mov_b32 s6, exec_lo
                                        ; implicit-def: $vgpr1
	s_delay_alu instid0(VALU_DEP_1)
	v_cmpx_gt_u32_e32 0x47800000, v4
	s_xor_b32 s6, exec_lo, s6
	s_cbranch_execz .LBB38_1849
; %bb.1844:
	s_mov_b32 s7, exec_lo
                                        ; implicit-def: $vgpr1
	v_cmpx_lt_u32_e32 0x387fffff, v4
	s_xor_b32 s7, exec_lo, s7
; %bb.1845:
	v_bfe_u32 v1, v4, 21, 1
	s_delay_alu instid0(VALU_DEP_1) | instskip(NEXT) | instid1(VALU_DEP_1)
	v_add3_u32 v1, v4, v1, 0x80fffff
                                        ; implicit-def: $vgpr4
	v_lshrrev_b32_e32 v1, 21, v1
; %bb.1846:
	s_and_not1_saveexec_b32 s7, s7
; %bb.1847:
	v_add_f32_e32 v1, 0x43000000, v4
; %bb.1848:
	s_or_b32 exec_lo, exec_lo, s7
                                        ; implicit-def: $vgpr4
.LBB38_1849:
	s_and_not1_saveexec_b32 s6, s6
; %bb.1850:
	v_mov_b32_e32 v1, 0x7f
	v_cmp_lt_u32_e32 vcc_lo, 0x7f800000, v4
	s_delay_alu instid0(VALU_DEP_2)
	v_cndmask_b32_e32 v1, 0x7c, v1, vcc_lo
; %bb.1851:
	s_or_b32 exec_lo, exec_lo, s6
	global_store_b8 v[2:3], v1, off
.LBB38_1852:
	s_mov_b32 s6, 0
	s_mov_b32 s7, -1
.LBB38_1853:
	s_and_not1_b32 vcc_lo, exec_lo, s6
	s_mov_b32 s6, 0
	s_cbranch_vccnz .LBB38_1860
; %bb.1854:
	s_cmp_gt_i32 s3, 14
	s_mov_b32 s6, -1
	s_cbranch_scc0 .LBB38_1858
; %bb.1855:
	s_cmp_eq_u32 s3, 15
	s_mov_b32 s1, -1
	s_cbranch_scc0 .LBB38_1857
; %bb.1856:
	s_wait_xcnt 0x0
	v_cndmask_b32_e64 v1, 0, 1.0, s0
	s_mov_b32 s1, 0
	s_mov_b32 s7, -1
	s_delay_alu instid0(VALU_DEP_1) | instskip(NEXT) | instid1(VALU_DEP_1)
	v_bfe_u32 v4, v1, 16, 1
	v_add3_u32 v1, v1, v4, 0x7fff
	global_store_d16_hi_b16 v[2:3], v1, off
.LBB38_1857:
	s_mov_b32 s6, 0
.LBB38_1858:
	s_delay_alu instid0(SALU_CYCLE_1)
	s_and_b32 vcc_lo, exec_lo, s6
	s_mov_b32 s6, 0
	s_cbranch_vccz .LBB38_1860
; %bb.1859:
	s_cmp_lg_u32 s3, 11
	s_mov_b32 s6, -1
	s_cselect_b32 s1, -1, 0
.LBB38_1860:
	s_delay_alu instid0(SALU_CYCLE_1)
	s_and_b32 vcc_lo, exec_lo, s1
	s_cbranch_vccnz .LBB38_2040
; %bb.1861:
	s_and_not1_b32 vcc_lo, exec_lo, s6
	s_cbranch_vccnz .LBB38_1863
.LBB38_1862:
	s_wait_xcnt 0x0
	v_cndmask_b32_e64 v1, 0, 1, s0
	s_mov_b32 s7, -1
	global_store_b8 v[2:3], v1, off
.LBB38_1863:
	s_mov_b32 s1, 0
	s_branch .LBB38_1865
.LBB38_1864:
	s_mov_b32 s1, -1
	s_mov_b32 s7, 0
.LBB38_1865:
	s_and_b32 vcc_lo, exec_lo, s1
	s_cbranch_vccz .LBB38_1904
; %bb.1866:
	s_and_b32 s1, 0xffff, s13
	s_mov_b32 s3, -1
	s_cmp_lt_i32 s1, 5
	s_cbranch_scc1 .LBB38_1887
; %bb.1867:
	s_cmp_lt_i32 s1, 8
	s_cbranch_scc1 .LBB38_1877
; %bb.1868:
	s_cmp_lt_i32 s1, 9
	s_cbranch_scc1 .LBB38_1874
; %bb.1869:
	s_cmp_gt_i32 s1, 9
	s_cbranch_scc0 .LBB38_1871
; %bb.1870:
	s_wait_xcnt 0x0
	v_cndmask_b32_e64 v1, 0, 1, s0
	v_mov_b32_e32 v10, 0
	s_mov_b32 s3, 0
	s_delay_alu instid0(VALU_DEP_2) | instskip(NEXT) | instid1(VALU_DEP_2)
	v_cvt_f64_u32_e32 v[8:9], v1
	v_mov_b32_e32 v11, v10
	global_store_b128 v[2:3], v[8:11], off
.LBB38_1871:
	s_and_not1_b32 vcc_lo, exec_lo, s3
	s_cbranch_vccnz .LBB38_1873
; %bb.1872:
	s_wait_xcnt 0x0
	v_cndmask_b32_e64 v4, 0, 1.0, s0
	v_mov_b32_e32 v5, 0
	global_store_b64 v[2:3], v[4:5], off
.LBB38_1873:
	s_mov_b32 s3, 0
.LBB38_1874:
	s_delay_alu instid0(SALU_CYCLE_1)
	s_and_not1_b32 vcc_lo, exec_lo, s3
	s_cbranch_vccnz .LBB38_1876
; %bb.1875:
	s_wait_xcnt 0x0
	v_cndmask_b32_e64 v1, 0, 1.0, s0
	s_delay_alu instid0(VALU_DEP_1) | instskip(NEXT) | instid1(VALU_DEP_1)
	v_cvt_f16_f32_e32 v1, v1
	v_and_b32_e32 v1, 0xffff, v1
	global_store_b32 v[2:3], v1, off
.LBB38_1876:
	s_mov_b32 s3, 0
.LBB38_1877:
	s_delay_alu instid0(SALU_CYCLE_1)
	s_and_not1_b32 vcc_lo, exec_lo, s3
	s_cbranch_vccnz .LBB38_1886
; %bb.1878:
	s_cmp_lt_i32 s1, 6
	s_mov_b32 s3, -1
	s_cbranch_scc1 .LBB38_1884
; %bb.1879:
	s_cmp_gt_i32 s1, 6
	s_cbranch_scc0 .LBB38_1881
; %bb.1880:
	s_wait_xcnt 0x0
	v_cndmask_b32_e64 v1, 0, 1, s0
	s_mov_b32 s3, 0
	s_delay_alu instid0(VALU_DEP_1)
	v_cvt_f64_u32_e32 v[4:5], v1
	global_store_b64 v[2:3], v[4:5], off
.LBB38_1881:
	s_and_not1_b32 vcc_lo, exec_lo, s3
	s_cbranch_vccnz .LBB38_1883
; %bb.1882:
	s_wait_xcnt 0x0
	v_cndmask_b32_e64 v1, 0, 1.0, s0
	global_store_b32 v[2:3], v1, off
.LBB38_1883:
	s_mov_b32 s3, 0
.LBB38_1884:
	s_delay_alu instid0(SALU_CYCLE_1)
	s_and_not1_b32 vcc_lo, exec_lo, s3
	s_cbranch_vccnz .LBB38_1886
; %bb.1885:
	s_wait_xcnt 0x0
	v_cndmask_b32_e64 v1, 0, 1.0, s0
	s_delay_alu instid0(VALU_DEP_1)
	v_cvt_f16_f32_e32 v1, v1
	global_store_b16 v[2:3], v1, off
.LBB38_1886:
	s_mov_b32 s3, 0
.LBB38_1887:
	s_delay_alu instid0(SALU_CYCLE_1)
	s_and_not1_b32 vcc_lo, exec_lo, s3
	s_cbranch_vccnz .LBB38_1903
; %bb.1888:
	s_cmp_lt_i32 s1, 2
	s_mov_b32 s3, -1
	s_cbranch_scc1 .LBB38_1898
; %bb.1889:
	s_cmp_lt_i32 s1, 3
	s_cbranch_scc1 .LBB38_1895
; %bb.1890:
	s_cmp_gt_i32 s1, 3
	s_cbranch_scc0 .LBB38_1892
; %bb.1891:
	s_mov_b32 s3, 0
	s_wait_xcnt 0x0
	v_cndmask_b32_e64 v4, 0, 1, s0
	v_mov_b32_e32 v5, s3
	global_store_b64 v[2:3], v[4:5], off
.LBB38_1892:
	s_and_not1_b32 vcc_lo, exec_lo, s3
	s_cbranch_vccnz .LBB38_1894
; %bb.1893:
	s_wait_xcnt 0x0
	v_cndmask_b32_e64 v1, 0, 1, s0
	global_store_b32 v[2:3], v1, off
.LBB38_1894:
	s_mov_b32 s3, 0
.LBB38_1895:
	s_delay_alu instid0(SALU_CYCLE_1)
	s_and_not1_b32 vcc_lo, exec_lo, s3
	s_cbranch_vccnz .LBB38_1897
; %bb.1896:
	s_wait_xcnt 0x0
	v_cndmask_b32_e64 v1, 0, 1, s0
	global_store_b16 v[2:3], v1, off
.LBB38_1897:
	s_mov_b32 s3, 0
.LBB38_1898:
	s_delay_alu instid0(SALU_CYCLE_1)
	s_and_not1_b32 vcc_lo, exec_lo, s3
	s_cbranch_vccnz .LBB38_1903
; %bb.1899:
	s_wait_xcnt 0x0
	v_cndmask_b32_e64 v1, 0, 1, s0
	s_cmp_gt_i32 s1, 0
	s_mov_b32 s0, -1
	s_cbranch_scc0 .LBB38_1901
; %bb.1900:
	s_mov_b32 s0, 0
	global_store_b8 v[2:3], v1, off
.LBB38_1901:
	s_and_not1_b32 vcc_lo, exec_lo, s0
	s_cbranch_vccnz .LBB38_1903
; %bb.1902:
	global_store_b8 v[2:3], v1, off
.LBB38_1903:
	s_mov_b32 s7, -1
.LBB38_1904:
	s_delay_alu instid0(SALU_CYCLE_1)
	s_and_not1_b32 vcc_lo, exec_lo, s7
	s_cbranch_vccnz .LBB38_1981
; %bb.1905:
	v_cmp_eq_f64_e64 s1, 0x7ff00000, v[6:7]
	v_add_nc_u32_e32 v0, s2, v0
	s_cmp_lt_i32 s13, 11
	s_wait_xcnt 0x0
	s_delay_alu instid0(VALU_DEP_1) | instskip(NEXT) | instid1(VALU_DEP_1)
	v_ashrrev_i32_e32 v1, 31, v0
	v_add_nc_u64_e32 v[0:1], s[4:5], v[0:1]
	s_cbranch_scc1 .LBB38_2026
; %bb.1906:
	s_and_b32 s2, 0xffff, s13
	s_mov_b32 s4, -1
	s_mov_b32 s3, 0
	s_cmp_gt_i32 s2, 25
	s_mov_b32 s0, 0
	s_cbranch_scc0 .LBB38_1939
; %bb.1907:
	s_cmp_gt_i32 s2, 28
	s_cbranch_scc0 .LBB38_1923
; %bb.1908:
	s_cmp_gt_i32 s2, 43
	;; [unrolled: 3-line block ×3, first 2 shown]
	s_cbranch_scc0 .LBB38_1913
; %bb.1910:
	s_cmp_eq_u32 s2, 46
	s_mov_b32 s0, -1
	s_cbranch_scc0 .LBB38_1912
; %bb.1911:
	v_cndmask_b32_e64 v2, 0, 1.0, s1
	s_mov_b32 s0, 0
	s_delay_alu instid0(VALU_DEP_1) | instskip(NEXT) | instid1(VALU_DEP_1)
	v_bfe_u32 v3, v2, 16, 1
	v_add3_u32 v2, v2, v3, 0x7fff
	s_delay_alu instid0(VALU_DEP_1)
	v_lshrrev_b32_e32 v2, 16, v2
	global_store_b32 v[0:1], v2, off
.LBB38_1912:
	s_mov_b32 s4, 0
.LBB38_1913:
	s_delay_alu instid0(SALU_CYCLE_1)
	s_and_b32 vcc_lo, exec_lo, s4
	s_cbranch_vccz .LBB38_1918
; %bb.1914:
	s_cmp_eq_u32 s2, 44
	s_mov_b32 s0, -1
	s_cbranch_scc0 .LBB38_1918
; %bb.1915:
	v_cndmask_b32_e64 v4, 0, 1.0, s1
	s_mov_b32 s4, exec_lo
	s_wait_xcnt 0x0
	s_delay_alu instid0(VALU_DEP_1) | instskip(NEXT) | instid1(VALU_DEP_1)
	v_dual_mov_b32 v3, 0xff :: v_dual_lshrrev_b32 v2, 23, v4
	v_cmpx_ne_u32_e32 0xff, v2
; %bb.1916:
	v_and_b32_e32 v3, 0x400000, v4
	v_and_or_b32 v4, 0x3fffff, v4, v2
	s_delay_alu instid0(VALU_DEP_2) | instskip(NEXT) | instid1(VALU_DEP_2)
	v_cmp_ne_u32_e32 vcc_lo, 0, v3
	v_cmp_ne_u32_e64 s0, 0, v4
	s_and_b32 s0, vcc_lo, s0
	s_delay_alu instid0(SALU_CYCLE_1) | instskip(NEXT) | instid1(VALU_DEP_1)
	v_cndmask_b32_e64 v3, 0, 1, s0
	v_add_nc_u32_e32 v3, v2, v3
; %bb.1917:
	s_or_b32 exec_lo, exec_lo, s4
	s_mov_b32 s0, 0
	global_store_b8 v[0:1], v3, off
.LBB38_1918:
	s_mov_b32 s4, 0
.LBB38_1919:
	s_delay_alu instid0(SALU_CYCLE_1)
	s_and_b32 vcc_lo, exec_lo, s4
	s_cbranch_vccz .LBB38_1922
; %bb.1920:
	s_cmp_eq_u32 s2, 29
	s_mov_b32 s0, -1
	s_cbranch_scc0 .LBB38_1922
; %bb.1921:
	s_mov_b32 s0, 0
	s_wait_xcnt 0x0
	v_cndmask_b32_e64 v2, 0, 1, s1
	v_mov_b32_e32 v3, s0
	global_store_b64 v[0:1], v[2:3], off
.LBB38_1922:
	s_mov_b32 s4, 0
.LBB38_1923:
	s_delay_alu instid0(SALU_CYCLE_1)
	s_and_b32 vcc_lo, exec_lo, s4
	s_cbranch_vccz .LBB38_1938
; %bb.1924:
	s_cmp_lt_i32 s2, 27
	s_mov_b32 s4, -1
	s_cbranch_scc1 .LBB38_1930
; %bb.1925:
	s_wait_xcnt 0x0
	v_cndmask_b32_e64 v2, 0, 1, s1
	s_cmp_gt_i32 s2, 27
	s_cbranch_scc0 .LBB38_1927
; %bb.1926:
	s_mov_b32 s4, 0
	global_store_b32 v[0:1], v2, off
.LBB38_1927:
	s_and_not1_b32 vcc_lo, exec_lo, s4
	s_cbranch_vccnz .LBB38_1929
; %bb.1928:
	global_store_b16 v[0:1], v2, off
.LBB38_1929:
	s_mov_b32 s4, 0
.LBB38_1930:
	s_delay_alu instid0(SALU_CYCLE_1)
	s_and_not1_b32 vcc_lo, exec_lo, s4
	s_cbranch_vccnz .LBB38_1938
; %bb.1931:
	s_wait_xcnt 0x0
	v_cndmask_b32_e64 v3, 0, 1.0, s1
	v_mov_b32_e32 v4, 0x80
	s_mov_b32 s4, exec_lo
	s_delay_alu instid0(VALU_DEP_2)
	v_cmpx_gt_u32_e32 0x43800000, v3
	s_cbranch_execz .LBB38_1937
; %bb.1932:
	s_mov_b32 s5, 0
	s_mov_b32 s6, exec_lo
                                        ; implicit-def: $vgpr2
	v_cmpx_lt_u32_e32 0x3bffffff, v3
	s_xor_b32 s6, exec_lo, s6
	s_cbranch_execz .LBB38_2043
; %bb.1933:
	v_bfe_u32 v2, v3, 20, 1
	s_mov_b32 s5, exec_lo
	s_delay_alu instid0(VALU_DEP_1) | instskip(NEXT) | instid1(VALU_DEP_1)
	v_add3_u32 v2, v3, v2, 0x487ffff
                                        ; implicit-def: $vgpr3
	v_lshrrev_b32_e32 v2, 20, v2
	s_and_not1_saveexec_b32 s6, s6
	s_cbranch_execnz .LBB38_2044
.LBB38_1934:
	s_or_b32 exec_lo, exec_lo, s6
	v_mov_b32_e32 v4, 0
	s_and_saveexec_b32 s6, s5
.LBB38_1935:
	v_mov_b32_e32 v4, v2
.LBB38_1936:
	s_or_b32 exec_lo, exec_lo, s6
.LBB38_1937:
	s_delay_alu instid0(SALU_CYCLE_1)
	s_or_b32 exec_lo, exec_lo, s4
	global_store_b8 v[0:1], v4, off
.LBB38_1938:
	s_mov_b32 s4, 0
.LBB38_1939:
	s_delay_alu instid0(SALU_CYCLE_1)
	s_and_b32 vcc_lo, exec_lo, s4
	s_cbranch_vccz .LBB38_1979
; %bb.1940:
	s_cmp_gt_i32 s2, 22
	s_mov_b32 s3, -1
	s_cbranch_scc0 .LBB38_1972
; %bb.1941:
	s_cmp_lt_i32 s2, 24
	s_cbranch_scc1 .LBB38_1961
; %bb.1942:
	s_cmp_gt_i32 s2, 24
	s_cbranch_scc0 .LBB38_1950
; %bb.1943:
	s_wait_xcnt 0x0
	v_cndmask_b32_e64 v3, 0, 1.0, s1
	v_mov_b32_e32 v4, 0x80
	s_mov_b32 s3, exec_lo
	s_delay_alu instid0(VALU_DEP_2)
	v_cmpx_gt_u32_e32 0x47800000, v3
	s_cbranch_execz .LBB38_1949
; %bb.1944:
	s_mov_b32 s4, 0
	s_mov_b32 s5, exec_lo
                                        ; implicit-def: $vgpr2
	v_cmpx_lt_u32_e32 0x37ffffff, v3
	s_xor_b32 s5, exec_lo, s5
	s_cbranch_execz .LBB38_2046
; %bb.1945:
	v_bfe_u32 v2, v3, 21, 1
	s_mov_b32 s4, exec_lo
	s_delay_alu instid0(VALU_DEP_1) | instskip(NEXT) | instid1(VALU_DEP_1)
	v_add3_u32 v2, v3, v2, 0x88fffff
                                        ; implicit-def: $vgpr3
	v_lshrrev_b32_e32 v2, 21, v2
	s_and_not1_saveexec_b32 s5, s5
	s_cbranch_execnz .LBB38_2047
.LBB38_1946:
	s_or_b32 exec_lo, exec_lo, s5
	v_mov_b32_e32 v4, 0
	s_and_saveexec_b32 s5, s4
.LBB38_1947:
	v_mov_b32_e32 v4, v2
.LBB38_1948:
	s_or_b32 exec_lo, exec_lo, s5
.LBB38_1949:
	s_delay_alu instid0(SALU_CYCLE_1)
	s_or_b32 exec_lo, exec_lo, s3
	s_mov_b32 s3, 0
	global_store_b8 v[0:1], v4, off
.LBB38_1950:
	s_and_b32 vcc_lo, exec_lo, s3
	s_cbranch_vccz .LBB38_1960
; %bb.1951:
	s_wait_xcnt 0x0
	v_cndmask_b32_e64 v3, 0, 1.0, s1
	s_mov_b32 s3, exec_lo
                                        ; implicit-def: $vgpr2
	s_delay_alu instid0(VALU_DEP_1)
	v_cmpx_gt_u32_e32 0x43f00000, v3
	s_xor_b32 s3, exec_lo, s3
	s_cbranch_execz .LBB38_1957
; %bb.1952:
	s_mov_b32 s4, exec_lo
                                        ; implicit-def: $vgpr2
	v_cmpx_lt_u32_e32 0x3c7fffff, v3
	s_xor_b32 s4, exec_lo, s4
; %bb.1953:
	v_bfe_u32 v2, v3, 20, 1
	s_delay_alu instid0(VALU_DEP_1) | instskip(NEXT) | instid1(VALU_DEP_1)
	v_add3_u32 v2, v3, v2, 0x407ffff
	v_and_b32_e32 v3, 0xff00000, v2
	v_lshrrev_b32_e32 v2, 20, v2
	s_delay_alu instid0(VALU_DEP_2) | instskip(NEXT) | instid1(VALU_DEP_2)
	v_cmp_ne_u32_e32 vcc_lo, 0x7f00000, v3
                                        ; implicit-def: $vgpr3
	v_cndmask_b32_e32 v2, 0x7e, v2, vcc_lo
; %bb.1954:
	s_and_not1_saveexec_b32 s4, s4
; %bb.1955:
	v_add_f32_e32 v2, 0x46800000, v3
; %bb.1956:
	s_or_b32 exec_lo, exec_lo, s4
                                        ; implicit-def: $vgpr3
.LBB38_1957:
	s_and_not1_saveexec_b32 s3, s3
; %bb.1958:
	v_mov_b32_e32 v2, 0x7f
	v_cmp_lt_u32_e32 vcc_lo, 0x7f800000, v3
	s_delay_alu instid0(VALU_DEP_2)
	v_cndmask_b32_e32 v2, 0x7e, v2, vcc_lo
; %bb.1959:
	s_or_b32 exec_lo, exec_lo, s3
	global_store_b8 v[0:1], v2, off
.LBB38_1960:
	s_mov_b32 s3, 0
.LBB38_1961:
	s_delay_alu instid0(SALU_CYCLE_1)
	s_and_not1_b32 vcc_lo, exec_lo, s3
	s_cbranch_vccnz .LBB38_1971
; %bb.1962:
	s_wait_xcnt 0x0
	v_cndmask_b32_e64 v3, 0, 1.0, s1
	s_mov_b32 s3, exec_lo
                                        ; implicit-def: $vgpr2
	s_delay_alu instid0(VALU_DEP_1)
	v_cmpx_gt_u32_e32 0x47800000, v3
	s_xor_b32 s3, exec_lo, s3
	s_cbranch_execz .LBB38_1968
; %bb.1963:
	s_mov_b32 s4, exec_lo
                                        ; implicit-def: $vgpr2
	v_cmpx_lt_u32_e32 0x387fffff, v3
	s_xor_b32 s4, exec_lo, s4
; %bb.1964:
	v_bfe_u32 v2, v3, 21, 1
	s_delay_alu instid0(VALU_DEP_1) | instskip(NEXT) | instid1(VALU_DEP_1)
	v_add3_u32 v2, v3, v2, 0x80fffff
                                        ; implicit-def: $vgpr3
	v_lshrrev_b32_e32 v2, 21, v2
; %bb.1965:
	s_and_not1_saveexec_b32 s4, s4
; %bb.1966:
	v_add_f32_e32 v2, 0x43000000, v3
; %bb.1967:
	s_or_b32 exec_lo, exec_lo, s4
                                        ; implicit-def: $vgpr3
.LBB38_1968:
	s_and_not1_saveexec_b32 s3, s3
; %bb.1969:
	v_mov_b32_e32 v2, 0x7f
	v_cmp_lt_u32_e32 vcc_lo, 0x7f800000, v3
	s_delay_alu instid0(VALU_DEP_2)
	v_cndmask_b32_e32 v2, 0x7c, v2, vcc_lo
; %bb.1970:
	s_or_b32 exec_lo, exec_lo, s3
	global_store_b8 v[0:1], v2, off
.LBB38_1971:
	s_mov_b32 s3, 0
.LBB38_1972:
	s_delay_alu instid0(SALU_CYCLE_1)
	s_and_not1_b32 vcc_lo, exec_lo, s3
	s_mov_b32 s3, 0
	s_cbranch_vccnz .LBB38_1979
; %bb.1973:
	s_cmp_gt_i32 s2, 14
	s_mov_b32 s3, -1
	s_cbranch_scc0 .LBB38_1977
; %bb.1974:
	s_cmp_eq_u32 s2, 15
	s_mov_b32 s0, -1
	s_cbranch_scc0 .LBB38_1976
; %bb.1975:
	s_wait_xcnt 0x0
	v_cndmask_b32_e64 v2, 0, 1.0, s1
	s_mov_b32 s0, 0
	s_delay_alu instid0(VALU_DEP_1) | instskip(NEXT) | instid1(VALU_DEP_1)
	v_bfe_u32 v3, v2, 16, 1
	v_add3_u32 v2, v2, v3, 0x7fff
	global_store_d16_hi_b16 v[0:1], v2, off
.LBB38_1976:
	s_mov_b32 s3, 0
.LBB38_1977:
	s_delay_alu instid0(SALU_CYCLE_1)
	s_and_b32 vcc_lo, exec_lo, s3
	s_mov_b32 s3, 0
	s_cbranch_vccz .LBB38_1979
; %bb.1978:
	s_cmp_lg_u32 s2, 11
	s_mov_b32 s3, -1
	s_cselect_b32 s0, -1, 0
.LBB38_1979:
	s_delay_alu instid0(SALU_CYCLE_1)
	s_and_b32 vcc_lo, exec_lo, s0
	s_cbranch_vccnz .LBB38_2045
.LBB38_1980:
	s_mov_b32 s0, 0
	s_branch .LBB38_1982
.LBB38_1981:
	s_mov_b32 s0, 0
	s_mov_b32 s3, 0
                                        ; implicit-def: $sgpr1
                                        ; implicit-def: $sgpr13
                                        ; implicit-def: $vgpr0_vgpr1
.LBB38_1982:
	s_and_not1_b32 s2, s12, exec_lo
	s_and_b32 s4, s9, exec_lo
	s_and_b32 s0, s0, exec_lo
	;; [unrolled: 1-line block ×3, first 2 shown]
	s_or_b32 s12, s2, s4
.LBB38_1983:
	s_wait_xcnt 0x0
	s_or_b32 exec_lo, exec_lo, s11
	s_and_saveexec_b32 s2, s12
	s_cbranch_execz .LBB38_1986
; %bb.1984:
	; divergent unreachable
	s_or_b32 exec_lo, exec_lo, s2
	s_and_saveexec_b32 s2, s9
	s_delay_alu instid0(SALU_CYCLE_1)
	s_xor_b32 s2, exec_lo, s2
	s_cbranch_execnz .LBB38_1987
.LBB38_1985:
	s_or_b32 exec_lo, exec_lo, s2
	s_and_saveexec_b32 s2, s0
	s_cbranch_execnz .LBB38_1988
	s_branch .LBB38_2025
.LBB38_1986:
	s_or_b32 exec_lo, exec_lo, s2
	s_and_saveexec_b32 s2, s9
	s_delay_alu instid0(SALU_CYCLE_1)
	s_xor_b32 s2, exec_lo, s2
	s_cbranch_execz .LBB38_1985
.LBB38_1987:
	s_wait_loadcnt 0x0
	v_cndmask_b32_e64 v2, 0, 1, s1
	global_store_b8 v[0:1], v2, off
	s_wait_xcnt 0x0
	s_or_b32 exec_lo, exec_lo, s2
	s_and_saveexec_b32 s2, s0
	s_cbranch_execz .LBB38_2025
.LBB38_1988:
	s_sext_i32_i16 s2, s13
	s_mov_b32 s0, -1
	s_cmp_lt_i32 s2, 5
	s_cbranch_scc1 .LBB38_2009
; %bb.1989:
	s_cmp_lt_i32 s2, 8
	s_cbranch_scc1 .LBB38_1999
; %bb.1990:
	;; [unrolled: 3-line block ×3, first 2 shown]
	s_cmp_gt_i32 s2, 9
	s_cbranch_scc0 .LBB38_1993
; %bb.1992:
	s_wait_loadcnt 0x0
	v_cndmask_b32_e64 v2, 0, 1, s1
	v_mov_b32_e32 v4, 0
	s_mov_b32 s0, 0
	s_delay_alu instid0(VALU_DEP_2) | instskip(NEXT) | instid1(VALU_DEP_2)
	v_cvt_f64_u32_e32 v[2:3], v2
	v_mov_b32_e32 v5, v4
	global_store_b128 v[0:1], v[2:5], off
.LBB38_1993:
	s_and_not1_b32 vcc_lo, exec_lo, s0
	s_cbranch_vccnz .LBB38_1995
; %bb.1994:
	s_wait_loadcnt 0x0
	v_cndmask_b32_e64 v2, 0, 1.0, s1
	v_mov_b32_e32 v3, 0
	global_store_b64 v[0:1], v[2:3], off
.LBB38_1995:
	s_mov_b32 s0, 0
.LBB38_1996:
	s_delay_alu instid0(SALU_CYCLE_1)
	s_and_not1_b32 vcc_lo, exec_lo, s0
	s_cbranch_vccnz .LBB38_1998
; %bb.1997:
	s_wait_loadcnt 0x0
	v_cndmask_b32_e64 v2, 0, 1.0, s1
	s_delay_alu instid0(VALU_DEP_1) | instskip(NEXT) | instid1(VALU_DEP_1)
	v_cvt_f16_f32_e32 v2, v2
	v_and_b32_e32 v2, 0xffff, v2
	global_store_b32 v[0:1], v2, off
.LBB38_1998:
	s_mov_b32 s0, 0
.LBB38_1999:
	s_delay_alu instid0(SALU_CYCLE_1)
	s_and_not1_b32 vcc_lo, exec_lo, s0
	s_cbranch_vccnz .LBB38_2008
; %bb.2000:
	s_sext_i32_i16 s2, s13
	s_mov_b32 s0, -1
	s_cmp_lt_i32 s2, 6
	s_cbranch_scc1 .LBB38_2006
; %bb.2001:
	s_cmp_gt_i32 s2, 6
	s_cbranch_scc0 .LBB38_2003
; %bb.2002:
	s_wait_loadcnt 0x0
	v_cndmask_b32_e64 v2, 0, 1, s1
	s_mov_b32 s0, 0
	s_delay_alu instid0(VALU_DEP_1)
	v_cvt_f64_u32_e32 v[2:3], v2
	global_store_b64 v[0:1], v[2:3], off
.LBB38_2003:
	s_and_not1_b32 vcc_lo, exec_lo, s0
	s_cbranch_vccnz .LBB38_2005
; %bb.2004:
	s_wait_loadcnt 0x0
	v_cndmask_b32_e64 v2, 0, 1.0, s1
	global_store_b32 v[0:1], v2, off
.LBB38_2005:
	s_mov_b32 s0, 0
.LBB38_2006:
	s_delay_alu instid0(SALU_CYCLE_1)
	s_and_not1_b32 vcc_lo, exec_lo, s0
	s_cbranch_vccnz .LBB38_2008
; %bb.2007:
	s_wait_loadcnt 0x0
	v_cndmask_b32_e64 v2, 0, 1.0, s1
	s_delay_alu instid0(VALU_DEP_1)
	v_cvt_f16_f32_e32 v2, v2
	global_store_b16 v[0:1], v2, off
.LBB38_2008:
	s_mov_b32 s0, 0
.LBB38_2009:
	s_delay_alu instid0(SALU_CYCLE_1)
	s_and_not1_b32 vcc_lo, exec_lo, s0
	s_cbranch_vccnz .LBB38_2025
; %bb.2010:
	s_sext_i32_i16 s2, s13
	s_mov_b32 s0, -1
	s_cmp_lt_i32 s2, 2
	s_cbranch_scc1 .LBB38_2020
; %bb.2011:
	s_cmp_lt_i32 s2, 3
	s_cbranch_scc1 .LBB38_2017
; %bb.2012:
	s_cmp_gt_i32 s2, 3
	s_cbranch_scc0 .LBB38_2014
; %bb.2013:
	s_mov_b32 s0, 0
	s_wait_loadcnt 0x0
	v_cndmask_b32_e64 v2, 0, 1, s1
	v_mov_b32_e32 v3, s0
	global_store_b64 v[0:1], v[2:3], off
.LBB38_2014:
	s_and_not1_b32 vcc_lo, exec_lo, s0
	s_cbranch_vccnz .LBB38_2016
; %bb.2015:
	s_wait_loadcnt 0x0
	v_cndmask_b32_e64 v2, 0, 1, s1
	global_store_b32 v[0:1], v2, off
.LBB38_2016:
	s_mov_b32 s0, 0
.LBB38_2017:
	s_delay_alu instid0(SALU_CYCLE_1)
	s_and_not1_b32 vcc_lo, exec_lo, s0
	s_cbranch_vccnz .LBB38_2019
; %bb.2018:
	s_wait_loadcnt 0x0
	v_cndmask_b32_e64 v2, 0, 1, s1
	global_store_b16 v[0:1], v2, off
.LBB38_2019:
	s_mov_b32 s0, 0
.LBB38_2020:
	s_delay_alu instid0(SALU_CYCLE_1)
	s_and_not1_b32 vcc_lo, exec_lo, s0
	s_cbranch_vccnz .LBB38_2025
; %bb.2021:
	s_wait_loadcnt 0x0
	v_cndmask_b32_e64 v2, 0, 1, s1
	s_sext_i32_i16 s0, s13
	s_delay_alu instid0(SALU_CYCLE_1)
	s_cmp_gt_i32 s0, 0
	s_mov_b32 s0, -1
	s_cbranch_scc0 .LBB38_2023
; %bb.2022:
	s_mov_b32 s0, 0
	global_store_b8 v[0:1], v2, off
.LBB38_2023:
	s_and_not1_b32 vcc_lo, exec_lo, s0
	s_cbranch_vccnz .LBB38_2025
; %bb.2024:
	global_store_b8 v[0:1], v2, off
	s_endpgm
.LBB38_2025:
	s_endpgm
.LBB38_2026:
	s_mov_b32 s3, 0
	s_mov_b32 s0, -1
	s_branch .LBB38_1982
.LBB38_2027:
	s_or_b32 s9, s9, exec_lo
	s_trap 2
	s_cbranch_execz .LBB38_1496
	s_branch .LBB38_1497
.LBB38_2028:
	s_and_not1_saveexec_b32 s10, s10
	s_cbranch_execz .LBB38_1576
.LBB38_2029:
	v_add_f32_e32 v1, 0x46000000, v10
	s_and_not1_b32 s8, s8, exec_lo
	s_delay_alu instid0(VALU_DEP_1) | instskip(NEXT) | instid1(VALU_DEP_1)
	v_and_b32_e32 v1, 0xff, v1
	v_cmp_ne_u32_e32 vcc_lo, 0, v1
	s_and_b32 s14, vcc_lo, exec_lo
	s_delay_alu instid0(SALU_CYCLE_1)
	s_or_b32 s8, s8, s14
	s_or_b32 exec_lo, exec_lo, s10
	v_mov_b32_e32 v11, 0
	s_and_saveexec_b32 s10, s8
	s_cbranch_execnz .LBB38_1577
	s_branch .LBB38_1578
.LBB38_2030:
	s_or_b32 s9, s9, exec_lo
	s_trap 2
	s_cbranch_execz .LBB38_1624
	s_branch .LBB38_1625
.LBB38_2031:
	s_and_not1_saveexec_b32 s8, s8
	s_cbranch_execz .LBB38_1589
.LBB38_2032:
	v_add_f32_e32 v1, 0x42800000, v10
	s_and_not1_b32 s7, s7, exec_lo
	s_delay_alu instid0(VALU_DEP_1) | instskip(NEXT) | instid1(VALU_DEP_1)
	v_and_b32_e32 v1, 0xff, v1
	v_cmp_ne_u32_e32 vcc_lo, 0, v1
	s_and_b32 s10, vcc_lo, exec_lo
	s_delay_alu instid0(SALU_CYCLE_1)
	s_or_b32 s7, s7, s10
	s_or_b32 exec_lo, exec_lo, s8
	v_mov_b32_e32 v11, 0
	s_and_saveexec_b32 s8, s7
	s_cbranch_execnz .LBB38_1590
	s_branch .LBB38_1591
.LBB38_2033:
	s_and_not1_saveexec_b32 s10, s10
	s_cbranch_execz .LBB38_1695
.LBB38_2034:
	v_add_f32_e32 v1, 0x46000000, v8
	s_and_not1_b32 s8, s8, exec_lo
	s_delay_alu instid0(VALU_DEP_1) | instskip(NEXT) | instid1(VALU_DEP_1)
	v_and_b32_e32 v1, 0xff, v1
	v_cmp_ne_u32_e32 vcc_lo, 0, v1
	s_and_b32 s14, vcc_lo, exec_lo
	s_delay_alu instid0(SALU_CYCLE_1)
	s_or_b32 s8, s8, s14
	s_or_b32 exec_lo, exec_lo, s10
	v_mov_b32_e32 v9, 0
	s_and_saveexec_b32 s10, s8
	s_cbranch_execnz .LBB38_1696
	s_branch .LBB38_1697
.LBB38_2035:
	s_or_b32 s9, s9, exec_lo
	s_trap 2
	s_cbranch_execz .LBB38_1743
	s_branch .LBB38_1744
.LBB38_2036:
	s_and_not1_saveexec_b32 s8, s8
	s_cbranch_execz .LBB38_1708
.LBB38_2037:
	v_add_f32_e32 v1, 0x42800000, v8
	s_and_not1_b32 s7, s7, exec_lo
	s_delay_alu instid0(VALU_DEP_1) | instskip(NEXT) | instid1(VALU_DEP_1)
	v_and_b32_e32 v1, 0xff, v1
	v_cmp_ne_u32_e32 vcc_lo, 0, v1
	s_and_b32 s10, vcc_lo, exec_lo
	s_delay_alu instid0(SALU_CYCLE_1)
	s_or_b32 s7, s7, s10
	s_or_b32 exec_lo, exec_lo, s8
	v_mov_b32_e32 v9, 0
	s_and_saveexec_b32 s8, s7
	s_cbranch_execnz .LBB38_1709
	s_branch .LBB38_1710
.LBB38_2038:
	s_and_not1_saveexec_b32 s10, s10
	s_cbranch_execz .LBB38_1814
.LBB38_2039:
	v_add_f32_e32 v1, 0x46000000, v4
	s_and_not1_b32 s8, s8, exec_lo
	s_delay_alu instid0(VALU_DEP_1) | instskip(NEXT) | instid1(VALU_DEP_1)
	v_and_b32_e32 v1, 0xff, v1
	v_cmp_ne_u32_e32 vcc_lo, 0, v1
	s_and_b32 s14, vcc_lo, exec_lo
	s_delay_alu instid0(SALU_CYCLE_1)
	s_or_b32 s8, s8, s14
	s_or_b32 exec_lo, exec_lo, s10
	v_mov_b32_e32 v5, 0
	s_and_saveexec_b32 s10, s8
	s_cbranch_execnz .LBB38_1815
	s_branch .LBB38_1816
.LBB38_2040:
	s_or_b32 s9, s9, exec_lo
	s_trap 2
	s_cbranch_execz .LBB38_1862
	s_branch .LBB38_1863
.LBB38_2041:
	s_and_not1_saveexec_b32 s8, s8
	s_cbranch_execz .LBB38_1827
.LBB38_2042:
	v_add_f32_e32 v1, 0x42800000, v4
	s_and_not1_b32 s7, s7, exec_lo
	s_delay_alu instid0(VALU_DEP_1) | instskip(NEXT) | instid1(VALU_DEP_1)
	v_and_b32_e32 v1, 0xff, v1
	v_cmp_ne_u32_e32 vcc_lo, 0, v1
	s_and_b32 s10, vcc_lo, exec_lo
	s_delay_alu instid0(SALU_CYCLE_1)
	s_or_b32 s7, s7, s10
	s_or_b32 exec_lo, exec_lo, s8
	v_mov_b32_e32 v5, 0
	s_and_saveexec_b32 s8, s7
	s_cbranch_execnz .LBB38_1828
	s_branch .LBB38_1829
.LBB38_2043:
	s_and_not1_saveexec_b32 s6, s6
	s_cbranch_execz .LBB38_1934
.LBB38_2044:
	v_add_f32_e32 v2, 0x46000000, v3
	s_and_not1_b32 s5, s5, exec_lo
	s_delay_alu instid0(VALU_DEP_1) | instskip(NEXT) | instid1(VALU_DEP_1)
	v_and_b32_e32 v2, 0xff, v2
	v_cmp_ne_u32_e32 vcc_lo, 0, v2
	s_and_b32 s7, vcc_lo, exec_lo
	s_delay_alu instid0(SALU_CYCLE_1)
	s_or_b32 s5, s5, s7
	s_or_b32 exec_lo, exec_lo, s6
	v_mov_b32_e32 v4, 0
	s_and_saveexec_b32 s6, s5
	s_cbranch_execnz .LBB38_1935
	s_branch .LBB38_1936
.LBB38_2045:
	s_mov_b32 s3, 0
	s_or_b32 s9, s9, exec_lo
	s_trap 2
	s_branch .LBB38_1980
.LBB38_2046:
	s_and_not1_saveexec_b32 s5, s5
	s_cbranch_execz .LBB38_1946
.LBB38_2047:
	v_add_f32_e32 v2, 0x42800000, v3
	s_and_not1_b32 s4, s4, exec_lo
	s_delay_alu instid0(VALU_DEP_1) | instskip(NEXT) | instid1(VALU_DEP_1)
	v_and_b32_e32 v2, 0xff, v2
	v_cmp_ne_u32_e32 vcc_lo, 0, v2
	s_and_b32 s6, vcc_lo, exec_lo
	s_delay_alu instid0(SALU_CYCLE_1)
	s_or_b32 s4, s4, s6
	s_or_b32 exec_lo, exec_lo, s5
	v_mov_b32_e32 v4, 0
	s_and_saveexec_b32 s5, s4
	s_cbranch_execnz .LBB38_1947
	s_branch .LBB38_1948
	.section	.rodata,"a",@progbits
	.p2align	6, 0x0
	.amdhsa_kernel _ZN2at6native32elementwise_kernel_manual_unrollILi128ELi4EZNS0_15gpu_kernel_implIZZZNS0_12_GLOBAL__N_120isposinf_kernel_implERNS_18TensorIteratorBaseEENKUlvE_clEvENKUlvE_clEvEUldE_EEvS5_RKT_EUlibE_EEviT1_
		.amdhsa_group_segment_fixed_size 0
		.amdhsa_private_segment_fixed_size 0
		.amdhsa_kernarg_size 40
		.amdhsa_user_sgpr_count 2
		.amdhsa_user_sgpr_dispatch_ptr 0
		.amdhsa_user_sgpr_queue_ptr 0
		.amdhsa_user_sgpr_kernarg_segment_ptr 1
		.amdhsa_user_sgpr_dispatch_id 0
		.amdhsa_user_sgpr_kernarg_preload_length 0
		.amdhsa_user_sgpr_kernarg_preload_offset 0
		.amdhsa_user_sgpr_private_segment_size 0
		.amdhsa_wavefront_size32 1
		.amdhsa_uses_dynamic_stack 0
		.amdhsa_enable_private_segment 0
		.amdhsa_system_sgpr_workgroup_id_x 1
		.amdhsa_system_sgpr_workgroup_id_y 0
		.amdhsa_system_sgpr_workgroup_id_z 0
		.amdhsa_system_sgpr_workgroup_info 0
		.amdhsa_system_vgpr_workitem_id 0
		.amdhsa_next_free_vgpr 15
		.amdhsa_next_free_sgpr 27
		.amdhsa_named_barrier_count 0
		.amdhsa_reserve_vcc 1
		.amdhsa_float_round_mode_32 0
		.amdhsa_float_round_mode_16_64 0
		.amdhsa_float_denorm_mode_32 3
		.amdhsa_float_denorm_mode_16_64 3
		.amdhsa_fp16_overflow 0
		.amdhsa_memory_ordered 1
		.amdhsa_forward_progress 1
		.amdhsa_inst_pref_size 255
		.amdhsa_round_robin_scheduling 0
		.amdhsa_exception_fp_ieee_invalid_op 0
		.amdhsa_exception_fp_denorm_src 0
		.amdhsa_exception_fp_ieee_div_zero 0
		.amdhsa_exception_fp_ieee_overflow 0
		.amdhsa_exception_fp_ieee_underflow 0
		.amdhsa_exception_fp_ieee_inexact 0
		.amdhsa_exception_int_div_zero 0
	.end_amdhsa_kernel
	.section	.text._ZN2at6native32elementwise_kernel_manual_unrollILi128ELi4EZNS0_15gpu_kernel_implIZZZNS0_12_GLOBAL__N_120isposinf_kernel_implERNS_18TensorIteratorBaseEENKUlvE_clEvENKUlvE_clEvEUldE_EEvS5_RKT_EUlibE_EEviT1_,"axG",@progbits,_ZN2at6native32elementwise_kernel_manual_unrollILi128ELi4EZNS0_15gpu_kernel_implIZZZNS0_12_GLOBAL__N_120isposinf_kernel_implERNS_18TensorIteratorBaseEENKUlvE_clEvENKUlvE_clEvEUldE_EEvS5_RKT_EUlibE_EEviT1_,comdat
.Lfunc_end38:
	.size	_ZN2at6native32elementwise_kernel_manual_unrollILi128ELi4EZNS0_15gpu_kernel_implIZZZNS0_12_GLOBAL__N_120isposinf_kernel_implERNS_18TensorIteratorBaseEENKUlvE_clEvENKUlvE_clEvEUldE_EEvS5_RKT_EUlibE_EEviT1_, .Lfunc_end38-_ZN2at6native32elementwise_kernel_manual_unrollILi128ELi4EZNS0_15gpu_kernel_implIZZZNS0_12_GLOBAL__N_120isposinf_kernel_implERNS_18TensorIteratorBaseEENKUlvE_clEvENKUlvE_clEvEUldE_EEvS5_RKT_EUlibE_EEviT1_
                                        ; -- End function
	.set _ZN2at6native32elementwise_kernel_manual_unrollILi128ELi4EZNS0_15gpu_kernel_implIZZZNS0_12_GLOBAL__N_120isposinf_kernel_implERNS_18TensorIteratorBaseEENKUlvE_clEvENKUlvE_clEvEUldE_EEvS5_RKT_EUlibE_EEviT1_.num_vgpr, 15
	.set _ZN2at6native32elementwise_kernel_manual_unrollILi128ELi4EZNS0_15gpu_kernel_implIZZZNS0_12_GLOBAL__N_120isposinf_kernel_implERNS_18TensorIteratorBaseEENKUlvE_clEvENKUlvE_clEvEUldE_EEvS5_RKT_EUlibE_EEviT1_.num_agpr, 0
	.set _ZN2at6native32elementwise_kernel_manual_unrollILi128ELi4EZNS0_15gpu_kernel_implIZZZNS0_12_GLOBAL__N_120isposinf_kernel_implERNS_18TensorIteratorBaseEENKUlvE_clEvENKUlvE_clEvEUldE_EEvS5_RKT_EUlibE_EEviT1_.numbered_sgpr, 27
	.set _ZN2at6native32elementwise_kernel_manual_unrollILi128ELi4EZNS0_15gpu_kernel_implIZZZNS0_12_GLOBAL__N_120isposinf_kernel_implERNS_18TensorIteratorBaseEENKUlvE_clEvENKUlvE_clEvEUldE_EEvS5_RKT_EUlibE_EEviT1_.num_named_barrier, 0
	.set _ZN2at6native32elementwise_kernel_manual_unrollILi128ELi4EZNS0_15gpu_kernel_implIZZZNS0_12_GLOBAL__N_120isposinf_kernel_implERNS_18TensorIteratorBaseEENKUlvE_clEvENKUlvE_clEvEUldE_EEvS5_RKT_EUlibE_EEviT1_.private_seg_size, 0
	.set _ZN2at6native32elementwise_kernel_manual_unrollILi128ELi4EZNS0_15gpu_kernel_implIZZZNS0_12_GLOBAL__N_120isposinf_kernel_implERNS_18TensorIteratorBaseEENKUlvE_clEvENKUlvE_clEvEUldE_EEvS5_RKT_EUlibE_EEviT1_.uses_vcc, 1
	.set _ZN2at6native32elementwise_kernel_manual_unrollILi128ELi4EZNS0_15gpu_kernel_implIZZZNS0_12_GLOBAL__N_120isposinf_kernel_implERNS_18TensorIteratorBaseEENKUlvE_clEvENKUlvE_clEvEUldE_EEvS5_RKT_EUlibE_EEviT1_.uses_flat_scratch, 0
	.set _ZN2at6native32elementwise_kernel_manual_unrollILi128ELi4EZNS0_15gpu_kernel_implIZZZNS0_12_GLOBAL__N_120isposinf_kernel_implERNS_18TensorIteratorBaseEENKUlvE_clEvENKUlvE_clEvEUldE_EEvS5_RKT_EUlibE_EEviT1_.has_dyn_sized_stack, 0
	.set _ZN2at6native32elementwise_kernel_manual_unrollILi128ELi4EZNS0_15gpu_kernel_implIZZZNS0_12_GLOBAL__N_120isposinf_kernel_implERNS_18TensorIteratorBaseEENKUlvE_clEvENKUlvE_clEvEUldE_EEvS5_RKT_EUlibE_EEviT1_.has_recursion, 0
	.set _ZN2at6native32elementwise_kernel_manual_unrollILi128ELi4EZNS0_15gpu_kernel_implIZZZNS0_12_GLOBAL__N_120isposinf_kernel_implERNS_18TensorIteratorBaseEENKUlvE_clEvENKUlvE_clEvEUldE_EEvS5_RKT_EUlibE_EEviT1_.has_indirect_call, 0
	.section	.AMDGPU.csdata,"",@progbits
; Kernel info:
; codeLenInByte = 36176
; TotalNumSgprs: 29
; NumVgprs: 15
; ScratchSize: 0
; MemoryBound: 1
; FloatMode: 240
; IeeeMode: 1
; LDSByteSize: 0 bytes/workgroup (compile time only)
; SGPRBlocks: 0
; VGPRBlocks: 0
; NumSGPRsForWavesPerEU: 29
; NumVGPRsForWavesPerEU: 15
; NamedBarCnt: 0
; Occupancy: 16
; WaveLimiterHint : 0
; COMPUTE_PGM_RSRC2:SCRATCH_EN: 0
; COMPUTE_PGM_RSRC2:USER_SGPR: 2
; COMPUTE_PGM_RSRC2:TRAP_HANDLER: 0
; COMPUTE_PGM_RSRC2:TGID_X_EN: 1
; COMPUTE_PGM_RSRC2:TGID_Y_EN: 0
; COMPUTE_PGM_RSRC2:TGID_Z_EN: 0
; COMPUTE_PGM_RSRC2:TIDIG_COMP_CNT: 0
	.section	.text._ZN2at6native32elementwise_kernel_manual_unrollILi128ELi4EZNS0_15gpu_kernel_implIZZZNS0_12_GLOBAL__N_120isposinf_kernel_implERNS_18TensorIteratorBaseEENKUlvE_clEvENKUlvE_clEvEUldE_EEvS5_RKT_EUlibE0_EEviT1_,"axG",@progbits,_ZN2at6native32elementwise_kernel_manual_unrollILi128ELi4EZNS0_15gpu_kernel_implIZZZNS0_12_GLOBAL__N_120isposinf_kernel_implERNS_18TensorIteratorBaseEENKUlvE_clEvENKUlvE_clEvEUldE_EEvS5_RKT_EUlibE0_EEviT1_,comdat
	.globl	_ZN2at6native32elementwise_kernel_manual_unrollILi128ELi4EZNS0_15gpu_kernel_implIZZZNS0_12_GLOBAL__N_120isposinf_kernel_implERNS_18TensorIteratorBaseEENKUlvE_clEvENKUlvE_clEvEUldE_EEvS5_RKT_EUlibE0_EEviT1_ ; -- Begin function _ZN2at6native32elementwise_kernel_manual_unrollILi128ELi4EZNS0_15gpu_kernel_implIZZZNS0_12_GLOBAL__N_120isposinf_kernel_implERNS_18TensorIteratorBaseEENKUlvE_clEvENKUlvE_clEvEUldE_EEvS5_RKT_EUlibE0_EEviT1_
	.p2align	8
	.type	_ZN2at6native32elementwise_kernel_manual_unrollILi128ELi4EZNS0_15gpu_kernel_implIZZZNS0_12_GLOBAL__N_120isposinf_kernel_implERNS_18TensorIteratorBaseEENKUlvE_clEvENKUlvE_clEvEUldE_EEvS5_RKT_EUlibE0_EEviT1_,@function
_ZN2at6native32elementwise_kernel_manual_unrollILi128ELi4EZNS0_15gpu_kernel_implIZZZNS0_12_GLOBAL__N_120isposinf_kernel_implERNS_18TensorIteratorBaseEENKUlvE_clEvENKUlvE_clEvEUldE_EEvS5_RKT_EUlibE0_EEviT1_: ; @_ZN2at6native32elementwise_kernel_manual_unrollILi128ELi4EZNS0_15gpu_kernel_implIZZZNS0_12_GLOBAL__N_120isposinf_kernel_implERNS_18TensorIteratorBaseEENKUlvE_clEvENKUlvE_clEvEUldE_EEvS5_RKT_EUlibE0_EEviT1_
; %bb.0:
	s_clause 0x1
	s_load_b32 s28, s[0:1], 0x8
	s_load_b32 s36, s[0:1], 0x0
	s_bfe_u32 s2, ttmp6, 0x4000c
	s_and_b32 s3, ttmp6, 15
	s_add_co_i32 s2, s2, 1
	s_getreg_b32 s4, hwreg(HW_REG_IB_STS2, 6, 4)
	s_mul_i32 s2, ttmp9, s2
	s_mov_b32 s30, 0
	s_add_co_i32 s3, s3, s2
	s_cmp_eq_u32 s4, 0
	s_mov_b32 s25, -1
	s_cselect_b32 s2, ttmp9, s3
	s_mov_b32 s8, 0
	v_lshl_or_b32 v0, s2, 9, v0
	s_add_nc_u64 s[2:3], s[0:1], 8
	s_wait_xcnt 0x0
	s_mov_b32 s0, exec_lo
	s_delay_alu instid0(VALU_DEP_1) | instskip(SKIP_2) | instid1(SALU_CYCLE_1)
	v_or_b32_e32 v9, 0x180, v0
	s_wait_kmcnt 0x0
	s_add_co_i32 s29, s28, -1
	s_cmp_gt_u32 s29, 1
	s_cselect_b32 s31, -1, 0
	v_cmpx_le_i32_e64 s36, v9
	s_xor_b32 s33, exec_lo, s0
	s_cbranch_execz .LBB39_1096
; %bb.1:
	v_mov_b32_e32 v1, 0
	s_clause 0x3
	s_load_b128 s[12:15], s[2:3], 0x4
	s_load_b64 s[18:19], s[2:3], 0x14
	s_load_b128 s[8:11], s[2:3], 0xc4
	s_load_b128 s[4:7], s[2:3], 0x148
	s_cmp_lg_u32 s28, 0
	s_mov_b32 s17, 0
	s_cselect_b32 s38, -1, 0
	global_load_u16 v1, v1, s[2:3] offset:345
	s_min_u32 s37, s29, 15
	s_cmp_gt_u32 s28, 1
	s_add_nc_u64 s[22:23], s[2:3], 0xc4
	s_cselect_b32 s35, -1, 0
	s_mov_b32 s21, s17
	s_mov_b32 s39, s17
	s_mov_b32 s40, exec_lo
	s_wait_kmcnt 0x0
	s_mov_b32 s16, s13
	s_mov_b32 s20, s18
	;; [unrolled: 1-line block ×3, first 2 shown]
	s_wait_loadcnt 0x0
	v_readfirstlane_b32 s34, v1
	s_and_b32 s0, 0xffff, s34
	s_delay_alu instid0(SALU_CYCLE_1)
	s_lshr_b32 s13, s0, 8
	v_cmpx_gt_i32_e64 s36, v0
	s_cbranch_execz .LBB39_267
; %bb.2:
	s_and_not1_b32 vcc_lo, exec_lo, s31
	s_cbranch_vccnz .LBB39_8
; %bb.3:
	s_and_not1_b32 vcc_lo, exec_lo, s38
	s_cbranch_vccnz .LBB39_9
; %bb.4:
	s_add_co_i32 s1, s37, 1
	s_cmp_eq_u32 s29, 2
	s_cbranch_scc1 .LBB39_10
; %bb.5:
	v_dual_mov_b32 v2, 0 :: v_dual_mov_b32 v4, 0
	v_mov_b32_e32 v1, v0
	s_and_b32 s0, s1, 28
	s_mov_b32 s18, 0
	s_mov_b64 s[24:25], s[2:3]
	s_mov_b64 s[26:27], s[22:23]
.LBB39_6:                               ; =>This Inner Loop Header: Depth=1
	s_clause 0x1
	s_load_b256 s[44:51], s[24:25], 0x4
	s_load_b128 s[60:63], s[24:25], 0x24
	s_load_b256 s[52:59], s[26:27], 0x0
	s_add_co_i32 s18, s18, 4
	s_wait_xcnt 0x0
	s_add_nc_u64 s[24:25], s[24:25], 48
	s_cmp_lg_u32 s0, s18
	s_add_nc_u64 s[26:27], s[26:27], 32
	s_wait_kmcnt 0x0
	v_mul_hi_u32 v3, s45, v1
	s_delay_alu instid0(VALU_DEP_1) | instskip(NEXT) | instid1(VALU_DEP_1)
	v_add_nc_u32_e32 v3, v1, v3
	v_lshrrev_b32_e32 v3, s46, v3
	s_delay_alu instid0(VALU_DEP_1) | instskip(NEXT) | instid1(VALU_DEP_1)
	v_mul_hi_u32 v5, s48, v3
	v_add_nc_u32_e32 v5, v3, v5
	s_delay_alu instid0(VALU_DEP_1) | instskip(NEXT) | instid1(VALU_DEP_1)
	v_lshrrev_b32_e32 v5, s49, v5
	v_mul_hi_u32 v6, s51, v5
	s_delay_alu instid0(VALU_DEP_1) | instskip(SKIP_1) | instid1(VALU_DEP_1)
	v_add_nc_u32_e32 v6, v5, v6
	v_mul_lo_u32 v7, v3, s44
	v_sub_nc_u32_e32 v1, v1, v7
	v_mul_lo_u32 v7, v5, s47
	s_delay_alu instid0(VALU_DEP_4) | instskip(NEXT) | instid1(VALU_DEP_3)
	v_lshrrev_b32_e32 v6, s60, v6
	v_mad_u32 v4, v1, s53, v4
	v_mad_u32 v1, v1, s52, v2
	s_delay_alu instid0(VALU_DEP_4) | instskip(NEXT) | instid1(VALU_DEP_4)
	v_sub_nc_u32_e32 v2, v3, v7
	v_mul_hi_u32 v8, s62, v6
	v_mul_lo_u32 v3, v6, s50
	s_delay_alu instid0(VALU_DEP_3) | instskip(SKIP_1) | instid1(VALU_DEP_3)
	v_mad_u32 v4, v2, s55, v4
	v_mad_u32 v2, v2, s54, v1
	v_dual_add_nc_u32 v7, v6, v8 :: v_dual_sub_nc_u32 v3, v5, v3
	s_delay_alu instid0(VALU_DEP_1) | instskip(NEXT) | instid1(VALU_DEP_2)
	v_lshrrev_b32_e32 v1, s63, v7
	v_mad_u32 v4, v3, s57, v4
	s_delay_alu instid0(VALU_DEP_4) | instskip(NEXT) | instid1(VALU_DEP_3)
	v_mad_u32 v2, v3, s56, v2
	v_mul_lo_u32 v5, v1, s61
	s_delay_alu instid0(VALU_DEP_1) | instskip(NEXT) | instid1(VALU_DEP_1)
	v_sub_nc_u32_e32 v3, v6, v5
	v_mad_u32 v4, v3, s59, v4
	s_delay_alu instid0(VALU_DEP_4)
	v_mad_u32 v2, v3, s58, v2
	s_cbranch_scc1 .LBB39_6
; %bb.7:
	s_delay_alu instid0(VALU_DEP_2)
	v_mov_b32_e32 v3, v4
	s_and_b32 s18, s1, 3
	s_mov_b32 s1, 0
	s_cmp_eq_u32 s18, 0
	s_cbranch_scc0 .LBB39_11
	s_branch .LBB39_14
.LBB39_8:
                                        ; implicit-def: $vgpr4
                                        ; implicit-def: $vgpr2
	s_branch .LBB39_15
.LBB39_9:
	v_dual_mov_b32 v4, 0 :: v_dual_mov_b32 v2, 0
	s_branch .LBB39_14
.LBB39_10:
	v_mov_b64_e32 v[2:3], 0
	v_mov_b32_e32 v1, v0
	s_mov_b32 s0, 0
                                        ; implicit-def: $vgpr4
	s_and_b32 s18, s1, 3
	s_mov_b32 s1, 0
	s_cmp_eq_u32 s18, 0
	s_cbranch_scc1 .LBB39_14
.LBB39_11:
	s_lshl_b32 s24, s0, 3
	s_mov_b32 s25, s1
	s_mul_u64 s[26:27], s[0:1], 12
	s_add_nc_u64 s[24:25], s[2:3], s[24:25]
	s_delay_alu instid0(SALU_CYCLE_1)
	s_add_nc_u64 s[0:1], s[24:25], 0xc4
	s_add_nc_u64 s[24:25], s[2:3], s[26:27]
.LBB39_12:                              ; =>This Inner Loop Header: Depth=1
	s_load_b96 s[44:46], s[24:25], 0x4
	s_load_b64 s[26:27], s[0:1], 0x0
	s_add_co_i32 s18, s18, -1
	s_wait_xcnt 0x0
	s_add_nc_u64 s[24:25], s[24:25], 12
	s_cmp_lg_u32 s18, 0
	s_add_nc_u64 s[0:1], s[0:1], 8
	s_wait_kmcnt 0x0
	v_mul_hi_u32 v4, s45, v1
	s_delay_alu instid0(VALU_DEP_1) | instskip(NEXT) | instid1(VALU_DEP_1)
	v_add_nc_u32_e32 v4, v1, v4
	v_lshrrev_b32_e32 v4, s46, v4
	s_delay_alu instid0(VALU_DEP_1) | instskip(NEXT) | instid1(VALU_DEP_1)
	v_mul_lo_u32 v5, v4, s44
	v_sub_nc_u32_e32 v1, v1, v5
	s_delay_alu instid0(VALU_DEP_1)
	v_mad_u32 v3, v1, s27, v3
	v_mad_u32 v2, v1, s26, v2
	v_mov_b32_e32 v1, v4
	s_cbranch_scc1 .LBB39_12
; %bb.13:
	s_delay_alu instid0(VALU_DEP_3)
	v_mov_b32_e32 v4, v3
.LBB39_14:
	s_cbranch_execnz .LBB39_17
.LBB39_15:
	v_mov_b32_e32 v1, 0
	s_and_not1_b32 vcc_lo, exec_lo, s35
	s_delay_alu instid0(VALU_DEP_1) | instskip(NEXT) | instid1(VALU_DEP_1)
	v_mul_u64_e32 v[2:3], s[16:17], v[0:1]
	v_add_nc_u32_e32 v2, v0, v3
	s_delay_alu instid0(VALU_DEP_1) | instskip(NEXT) | instid1(VALU_DEP_1)
	v_lshrrev_b32_e32 v6, s14, v2
	v_mul_lo_u32 v2, v6, s12
	s_delay_alu instid0(VALU_DEP_1) | instskip(NEXT) | instid1(VALU_DEP_1)
	v_sub_nc_u32_e32 v2, v0, v2
	v_mul_lo_u32 v4, v2, s9
	v_mul_lo_u32 v2, v2, s8
	s_cbranch_vccnz .LBB39_17
; %bb.16:
	v_mov_b32_e32 v7, v1
	s_delay_alu instid0(VALU_DEP_1) | instskip(NEXT) | instid1(VALU_DEP_1)
	v_mul_u64_e32 v[8:9], s[20:21], v[6:7]
	v_add_nc_u32_e32 v1, v6, v9
	s_delay_alu instid0(VALU_DEP_1) | instskip(NEXT) | instid1(VALU_DEP_1)
	v_lshrrev_b32_e32 v1, s19, v1
	v_mul_lo_u32 v1, v1, s15
	s_delay_alu instid0(VALU_DEP_1) | instskip(NEXT) | instid1(VALU_DEP_1)
	v_sub_nc_u32_e32 v1, v6, v1
	v_mad_u32 v2, v1, s10, v2
	v_mad_u32 v4, v1, s11, v4
.LBB39_17:
	v_mov_b32_e32 v5, 0
	s_and_b32 s0, 0xffff, s13
	s_delay_alu instid0(SALU_CYCLE_1) | instskip(NEXT) | instid1(VALU_DEP_1)
	s_cmp_lt_i32 s0, 11
	v_add_nc_u64_e32 v[4:5], s[6:7], v[4:5]
	s_cbranch_scc1 .LBB39_24
; %bb.18:
	s_cmp_gt_i32 s0, 25
	s_cbranch_scc0 .LBB39_33
; %bb.19:
	s_cmp_gt_i32 s0, 28
	s_cbranch_scc0 .LBB39_36
	;; [unrolled: 3-line block ×4, first 2 shown]
; %bb.22:
	s_cmp_eq_u32 s0, 46
	s_mov_b32 s18, 0
	s_cbranch_scc0 .LBB39_42
; %bb.23:
	global_load_b32 v1, v[4:5], off
	s_mov_b32 s1, -1
	s_mov_b32 s24, 0
	s_wait_loadcnt 0x0
	v_lshlrev_b32_e32 v1, 16, v1
	s_delay_alu instid0(VALU_DEP_1)
	v_cvt_f64_f32_e32 v[6:7], v1
	s_branch .LBB39_44
.LBB39_24:
	s_mov_b32 s24, 0
	s_mov_b32 s1, 0
                                        ; implicit-def: $vgpr6_vgpr7
	s_cbranch_execnz .LBB39_217
.LBB39_25:
	s_and_not1_b32 vcc_lo, exec_lo, s1
	s_cbranch_vccnz .LBB39_264
.LBB39_26:
	s_wait_loadcnt 0x0
	s_delay_alu instid0(VALU_DEP_1) | instskip(SKIP_2) | instid1(SALU_CYCLE_1)
	v_cmp_eq_f64_e64 s0, 0x7ff00000, v[6:7]
	v_mov_b32_e32 v3, 0
	s_and_b32 s18, s34, 0xff
	s_cmp_lt_i32 s18, 11
	s_delay_alu instid0(VALU_DEP_1)
	v_add_nc_u64_e32 v[2:3], s[4:5], v[2:3]
	s_cbranch_scc1 .LBB39_34
; %bb.27:
	s_and_b32 s25, 0xffff, s18
	s_delay_alu instid0(SALU_CYCLE_1)
	s_cmp_gt_i32 s25, 25
	s_cbranch_scc0 .LBB39_37
; %bb.28:
	s_cmp_gt_i32 s25, 28
	s_cbranch_scc0 .LBB39_39
; %bb.29:
	;; [unrolled: 3-line block ×4, first 2 shown]
	s_mov_b32 s27, 0
	s_mov_b32 s1, -1
	s_cmp_eq_u32 s25, 46
	s_mov_b32 s26, 0
	s_cbranch_scc0 .LBB39_48
; %bb.32:
	v_cndmask_b32_e64 v1, 0, 1.0, s0
	s_mov_b32 s26, -1
	s_mov_b32 s1, 0
	s_delay_alu instid0(VALU_DEP_1) | instskip(NEXT) | instid1(VALU_DEP_1)
	v_bfe_u32 v4, v1, 16, 1
	v_add3_u32 v1, v1, v4, 0x7fff
	s_delay_alu instid0(VALU_DEP_1)
	v_lshrrev_b32_e32 v1, 16, v1
	global_store_b32 v[2:3], v1, off
	s_branch .LBB39_48
.LBB39_33:
	s_mov_b32 s24, 0
	s_mov_b32 s1, 0
                                        ; implicit-def: $vgpr6_vgpr7
	s_cbranch_execnz .LBB39_182
	s_branch .LBB39_216
.LBB39_34:
	s_mov_b32 s1, 0
	s_mov_b32 s26, 0
	s_cbranch_execnz .LBB39_117
.LBB39_35:
	s_and_not1_b32 vcc_lo, exec_lo, s26
	s_cbranch_vccz .LBB39_155
	s_branch .LBB39_265
.LBB39_36:
	s_mov_b32 s18, -1
	s_mov_b32 s24, 0
	s_mov_b32 s1, 0
                                        ; implicit-def: $vgpr6_vgpr7
	s_branch .LBB39_163
.LBB39_37:
	s_mov_b32 s27, -1
	s_mov_b32 s1, 0
	s_mov_b32 s26, 0
	s_branch .LBB39_75
.LBB39_38:
	s_mov_b32 s18, -1
	s_mov_b32 s24, 0
	s_mov_b32 s1, 0
                                        ; implicit-def: $vgpr6_vgpr7
	s_branch .LBB39_158
.LBB39_39:
	s_mov_b32 s27, -1
	s_mov_b32 s1, 0
	s_mov_b32 s26, 0
	s_branch .LBB39_58
.LBB39_40:
	s_mov_b32 s18, -1
	s_mov_b32 s24, 0
	s_branch .LBB39_43
.LBB39_41:
	s_mov_b32 s27, -1
	s_mov_b32 s1, 0
	s_mov_b32 s26, 0
	s_branch .LBB39_54
.LBB39_42:
	s_mov_b32 s24, -1
.LBB39_43:
	s_mov_b32 s1, 0
                                        ; implicit-def: $vgpr6_vgpr7
.LBB39_44:
	s_and_b32 vcc_lo, exec_lo, s18
	s_cbranch_vccz .LBB39_157
; %bb.45:
	s_cmp_eq_u32 s0, 44
	s_cbranch_scc0 .LBB39_156
; %bb.46:
	global_load_u8 v1, v[4:5], off
	s_mov_b32 s24, 0
	s_mov_b32 s1, -1
	s_wait_loadcnt 0x0
	v_cmp_ne_u32_e32 vcc_lo, 0xff, v1
	v_lshlrev_b32_e32 v3, 23, v1
	s_delay_alu instid0(VALU_DEP_1) | instskip(NEXT) | instid1(VALU_DEP_1)
	v_cvt_f64_f32_e32 v[6:7], v3
	v_cndmask_b32_e32 v3, 0x20000000, v6, vcc_lo
	s_delay_alu instid0(VALU_DEP_2) | instskip(SKIP_1) | instid1(VALU_DEP_2)
	v_cndmask_b32_e32 v6, 0x7ff80000, v7, vcc_lo
	v_cmp_ne_u32_e32 vcc_lo, 0, v1
	v_cndmask_b32_e32 v7, 0x38000000, v6, vcc_lo
	s_delay_alu instid0(VALU_DEP_4)
	v_cndmask_b32_e32 v6, 0, v3, vcc_lo
	s_branch .LBB39_157
.LBB39_47:
	s_mov_b32 s27, -1
	s_mov_b32 s1, 0
	s_mov_b32 s26, 0
.LBB39_48:
	s_and_b32 vcc_lo, exec_lo, s27
	s_cbranch_vccz .LBB39_53
; %bb.49:
	s_cmp_eq_u32 s25, 44
	s_mov_b32 s1, -1
	s_cbranch_scc0 .LBB39_53
; %bb.50:
	v_cndmask_b32_e64 v5, 0, 1.0, s0
	s_mov_b32 s26, exec_lo
	s_wait_xcnt 0x0
	s_delay_alu instid0(VALU_DEP_1) | instskip(NEXT) | instid1(VALU_DEP_1)
	v_dual_mov_b32 v4, 0xff :: v_dual_lshrrev_b32 v1, 23, v5
	v_cmpx_ne_u32_e32 0xff, v1
; %bb.51:
	v_and_b32_e32 v4, 0x400000, v5
	v_and_or_b32 v5, 0x3fffff, v5, v1
	s_delay_alu instid0(VALU_DEP_2) | instskip(NEXT) | instid1(VALU_DEP_2)
	v_cmp_ne_u32_e32 vcc_lo, 0, v4
	v_cmp_ne_u32_e64 s1, 0, v5
	s_and_b32 s1, vcc_lo, s1
	s_delay_alu instid0(SALU_CYCLE_1) | instskip(NEXT) | instid1(VALU_DEP_1)
	v_cndmask_b32_e64 v4, 0, 1, s1
	v_add_nc_u32_e32 v4, v1, v4
; %bb.52:
	s_or_b32 exec_lo, exec_lo, s26
	s_mov_b32 s26, -1
	s_mov_b32 s1, 0
	global_store_b8 v[2:3], v4, off
.LBB39_53:
	s_mov_b32 s27, 0
.LBB39_54:
	s_delay_alu instid0(SALU_CYCLE_1)
	s_and_b32 vcc_lo, exec_lo, s27
	s_cbranch_vccz .LBB39_57
; %bb.55:
	s_cmp_eq_u32 s25, 29
	s_mov_b32 s1, -1
	s_cbranch_scc0 .LBB39_57
; %bb.56:
	s_mov_b32 s1, 0
	s_wait_xcnt 0x0
	v_cndmask_b32_e64 v4, 0, 1, s0
	v_mov_b32_e32 v5, s1
	s_mov_b32 s26, -1
	s_mov_b32 s27, 0
	global_store_b64 v[2:3], v[4:5], off
	s_branch .LBB39_58
.LBB39_57:
	s_mov_b32 s27, 0
.LBB39_58:
	s_delay_alu instid0(SALU_CYCLE_1)
	s_and_b32 vcc_lo, exec_lo, s27
	s_cbranch_vccz .LBB39_74
; %bb.59:
	s_cmp_lt_i32 s25, 27
	s_mov_b32 s26, -1
	s_cbranch_scc1 .LBB39_65
; %bb.60:
	s_cmp_gt_i32 s25, 27
	s_cbranch_scc0 .LBB39_62
; %bb.61:
	s_wait_xcnt 0x0
	v_cndmask_b32_e64 v1, 0, 1, s0
	s_mov_b32 s26, 0
	global_store_b32 v[2:3], v1, off
.LBB39_62:
	s_and_not1_b32 vcc_lo, exec_lo, s26
	s_cbranch_vccnz .LBB39_64
; %bb.63:
	s_wait_xcnt 0x0
	v_cndmask_b32_e64 v1, 0, 1, s0
	global_store_b16 v[2:3], v1, off
.LBB39_64:
	s_mov_b32 s26, 0
.LBB39_65:
	s_delay_alu instid0(SALU_CYCLE_1)
	s_and_not1_b32 vcc_lo, exec_lo, s26
	s_cbranch_vccnz .LBB39_73
; %bb.66:
	s_wait_xcnt 0x0
	v_cndmask_b32_e64 v4, 0, 1.0, s0
	v_mov_b32_e32 v5, 0x80
	s_mov_b32 s26, exec_lo
	s_delay_alu instid0(VALU_DEP_2)
	v_cmpx_gt_u32_e32 0x43800000, v4
	s_cbranch_execz .LBB39_72
; %bb.67:
	s_mov_b32 s27, 0
	s_mov_b32 s39, exec_lo
                                        ; implicit-def: $vgpr1
	v_cmpx_lt_u32_e32 0x3bffffff, v4
	s_xor_b32 s39, exec_lo, s39
	s_cbranch_execz .LBB39_310
; %bb.68:
	v_bfe_u32 v1, v4, 20, 1
	s_mov_b32 s27, exec_lo
	s_delay_alu instid0(VALU_DEP_1) | instskip(NEXT) | instid1(VALU_DEP_1)
	v_add3_u32 v1, v4, v1, 0x487ffff
                                        ; implicit-def: $vgpr4
	v_lshrrev_b32_e32 v1, 20, v1
	s_and_not1_saveexec_b32 s39, s39
	s_cbranch_execnz .LBB39_311
.LBB39_69:
	s_or_b32 exec_lo, exec_lo, s39
	v_mov_b32_e32 v5, 0
	s_and_saveexec_b32 s39, s27
.LBB39_70:
	v_mov_b32_e32 v5, v1
.LBB39_71:
	s_or_b32 exec_lo, exec_lo, s39
.LBB39_72:
	s_delay_alu instid0(SALU_CYCLE_1)
	s_or_b32 exec_lo, exec_lo, s26
	global_store_b8 v[2:3], v5, off
.LBB39_73:
	s_mov_b32 s26, -1
.LBB39_74:
	s_mov_b32 s27, 0
.LBB39_75:
	s_delay_alu instid0(SALU_CYCLE_1)
	s_and_b32 vcc_lo, exec_lo, s27
	s_cbranch_vccz .LBB39_116
; %bb.76:
	s_cmp_gt_i32 s25, 22
	s_mov_b32 s27, -1
	s_cbranch_scc0 .LBB39_108
; %bb.77:
	s_cmp_lt_i32 s25, 24
	s_mov_b32 s26, -1
	s_cbranch_scc1 .LBB39_97
; %bb.78:
	s_cmp_gt_i32 s25, 24
	s_cbranch_scc0 .LBB39_86
; %bb.79:
	s_wait_xcnt 0x0
	v_cndmask_b32_e64 v4, 0, 1.0, s0
	v_mov_b32_e32 v5, 0x80
	s_mov_b32 s26, exec_lo
	s_delay_alu instid0(VALU_DEP_2)
	v_cmpx_gt_u32_e32 0x47800000, v4
	s_cbranch_execz .LBB39_85
; %bb.80:
	s_mov_b32 s27, 0
	s_mov_b32 s39, exec_lo
                                        ; implicit-def: $vgpr1
	v_cmpx_lt_u32_e32 0x37ffffff, v4
	s_xor_b32 s39, exec_lo, s39
	s_cbranch_execz .LBB39_314
; %bb.81:
	v_bfe_u32 v1, v4, 21, 1
	s_mov_b32 s27, exec_lo
	s_delay_alu instid0(VALU_DEP_1) | instskip(NEXT) | instid1(VALU_DEP_1)
	v_add3_u32 v1, v4, v1, 0x88fffff
                                        ; implicit-def: $vgpr4
	v_lshrrev_b32_e32 v1, 21, v1
	s_and_not1_saveexec_b32 s39, s39
	s_cbranch_execnz .LBB39_315
.LBB39_82:
	s_or_b32 exec_lo, exec_lo, s39
	v_mov_b32_e32 v5, 0
	s_and_saveexec_b32 s39, s27
.LBB39_83:
	v_mov_b32_e32 v5, v1
.LBB39_84:
	s_or_b32 exec_lo, exec_lo, s39
.LBB39_85:
	s_delay_alu instid0(SALU_CYCLE_1)
	s_or_b32 exec_lo, exec_lo, s26
	s_mov_b32 s26, 0
	global_store_b8 v[2:3], v5, off
.LBB39_86:
	s_and_b32 vcc_lo, exec_lo, s26
	s_cbranch_vccz .LBB39_96
; %bb.87:
	s_wait_xcnt 0x0
	v_cndmask_b32_e64 v4, 0, 1.0, s0
	s_mov_b32 s26, exec_lo
                                        ; implicit-def: $vgpr1
	s_delay_alu instid0(VALU_DEP_1)
	v_cmpx_gt_u32_e32 0x43f00000, v4
	s_xor_b32 s26, exec_lo, s26
	s_cbranch_execz .LBB39_93
; %bb.88:
	s_mov_b32 s27, exec_lo
                                        ; implicit-def: $vgpr1
	v_cmpx_lt_u32_e32 0x3c7fffff, v4
	s_xor_b32 s27, exec_lo, s27
; %bb.89:
	v_bfe_u32 v1, v4, 20, 1
	s_delay_alu instid0(VALU_DEP_1) | instskip(NEXT) | instid1(VALU_DEP_1)
	v_add3_u32 v1, v4, v1, 0x407ffff
	v_and_b32_e32 v4, 0xff00000, v1
	v_lshrrev_b32_e32 v1, 20, v1
	s_delay_alu instid0(VALU_DEP_2) | instskip(NEXT) | instid1(VALU_DEP_2)
	v_cmp_ne_u32_e32 vcc_lo, 0x7f00000, v4
                                        ; implicit-def: $vgpr4
	v_cndmask_b32_e32 v1, 0x7e, v1, vcc_lo
; %bb.90:
	s_and_not1_saveexec_b32 s27, s27
; %bb.91:
	v_add_f32_e32 v1, 0x46800000, v4
; %bb.92:
	s_or_b32 exec_lo, exec_lo, s27
                                        ; implicit-def: $vgpr4
.LBB39_93:
	s_and_not1_saveexec_b32 s26, s26
; %bb.94:
	v_mov_b32_e32 v1, 0x7f
	v_cmp_lt_u32_e32 vcc_lo, 0x7f800000, v4
	s_delay_alu instid0(VALU_DEP_2)
	v_cndmask_b32_e32 v1, 0x7e, v1, vcc_lo
; %bb.95:
	s_or_b32 exec_lo, exec_lo, s26
	global_store_b8 v[2:3], v1, off
.LBB39_96:
	s_mov_b32 s26, 0
.LBB39_97:
	s_delay_alu instid0(SALU_CYCLE_1)
	s_and_not1_b32 vcc_lo, exec_lo, s26
	s_cbranch_vccnz .LBB39_107
; %bb.98:
	s_wait_xcnt 0x0
	v_cndmask_b32_e64 v4, 0, 1.0, s0
	s_mov_b32 s26, exec_lo
                                        ; implicit-def: $vgpr1
	s_delay_alu instid0(VALU_DEP_1)
	v_cmpx_gt_u32_e32 0x47800000, v4
	s_xor_b32 s26, exec_lo, s26
	s_cbranch_execz .LBB39_104
; %bb.99:
	s_mov_b32 s27, exec_lo
                                        ; implicit-def: $vgpr1
	v_cmpx_lt_u32_e32 0x387fffff, v4
	s_xor_b32 s27, exec_lo, s27
; %bb.100:
	v_bfe_u32 v1, v4, 21, 1
	s_delay_alu instid0(VALU_DEP_1) | instskip(NEXT) | instid1(VALU_DEP_1)
	v_add3_u32 v1, v4, v1, 0x80fffff
                                        ; implicit-def: $vgpr4
	v_lshrrev_b32_e32 v1, 21, v1
; %bb.101:
	s_and_not1_saveexec_b32 s27, s27
; %bb.102:
	v_add_f32_e32 v1, 0x43000000, v4
; %bb.103:
	s_or_b32 exec_lo, exec_lo, s27
                                        ; implicit-def: $vgpr4
.LBB39_104:
	s_and_not1_saveexec_b32 s26, s26
; %bb.105:
	v_mov_b32_e32 v1, 0x7f
	v_cmp_lt_u32_e32 vcc_lo, 0x7f800000, v4
	s_delay_alu instid0(VALU_DEP_2)
	v_cndmask_b32_e32 v1, 0x7c, v1, vcc_lo
; %bb.106:
	s_or_b32 exec_lo, exec_lo, s26
	global_store_b8 v[2:3], v1, off
.LBB39_107:
	s_mov_b32 s27, 0
	s_mov_b32 s26, -1
.LBB39_108:
	s_and_not1_b32 vcc_lo, exec_lo, s27
	s_cbranch_vccnz .LBB39_116
; %bb.109:
	s_cmp_gt_i32 s25, 14
	s_mov_b32 s27, -1
	s_cbranch_scc0 .LBB39_113
; %bb.110:
	s_cmp_eq_u32 s25, 15
	s_mov_b32 s1, -1
	s_cbranch_scc0 .LBB39_112
; %bb.111:
	s_wait_xcnt 0x0
	v_cndmask_b32_e64 v1, 0, 1.0, s0
	s_mov_b32 s26, -1
	s_mov_b32 s1, 0
	s_delay_alu instid0(VALU_DEP_1) | instskip(NEXT) | instid1(VALU_DEP_1)
	v_bfe_u32 v4, v1, 16, 1
	v_add3_u32 v1, v1, v4, 0x7fff
	global_store_d16_hi_b16 v[2:3], v1, off
.LBB39_112:
	s_mov_b32 s27, 0
.LBB39_113:
	s_delay_alu instid0(SALU_CYCLE_1)
	s_and_b32 vcc_lo, exec_lo, s27
	s_cbranch_vccz .LBB39_116
; %bb.114:
	s_cmp_eq_u32 s25, 11
	s_mov_b32 s1, -1
	s_cbranch_scc0 .LBB39_116
; %bb.115:
	s_wait_xcnt 0x0
	v_cndmask_b32_e64 v1, 0, 1, s0
	s_mov_b32 s26, -1
	s_mov_b32 s1, 0
	global_store_b8 v[2:3], v1, off
.LBB39_116:
	s_branch .LBB39_35
.LBB39_117:
	s_and_b32 s18, 0xffff, s18
	s_mov_b32 s25, -1
	s_cmp_lt_i32 s18, 5
	s_cbranch_scc1 .LBB39_138
; %bb.118:
	s_cmp_lt_i32 s18, 8
	s_cbranch_scc1 .LBB39_128
; %bb.119:
	;; [unrolled: 3-line block ×3, first 2 shown]
	s_cmp_gt_i32 s18, 9
	s_cbranch_scc0 .LBB39_122
; %bb.121:
	s_wait_xcnt 0x0
	v_cndmask_b32_e64 v1, 0, 1, s0
	v_mov_b32_e32 v6, 0
	s_mov_b32 s25, 0
	s_delay_alu instid0(VALU_DEP_2) | instskip(NEXT) | instid1(VALU_DEP_2)
	v_cvt_f64_u32_e32 v[4:5], v1
	v_mov_b32_e32 v7, v6
	global_store_b128 v[2:3], v[4:7], off
.LBB39_122:
	s_and_not1_b32 vcc_lo, exec_lo, s25
	s_cbranch_vccnz .LBB39_124
; %bb.123:
	s_wait_xcnt 0x0
	v_cndmask_b32_e64 v4, 0, 1.0, s0
	v_mov_b32_e32 v5, 0
	global_store_b64 v[2:3], v[4:5], off
.LBB39_124:
	s_mov_b32 s25, 0
.LBB39_125:
	s_delay_alu instid0(SALU_CYCLE_1)
	s_and_not1_b32 vcc_lo, exec_lo, s25
	s_cbranch_vccnz .LBB39_127
; %bb.126:
	s_wait_xcnt 0x0
	v_cndmask_b32_e64 v1, 0, 1.0, s0
	s_delay_alu instid0(VALU_DEP_1) | instskip(NEXT) | instid1(VALU_DEP_1)
	v_cvt_f16_f32_e32 v1, v1
	v_and_b32_e32 v1, 0xffff, v1
	global_store_b32 v[2:3], v1, off
.LBB39_127:
	s_mov_b32 s25, 0
.LBB39_128:
	s_delay_alu instid0(SALU_CYCLE_1)
	s_and_not1_b32 vcc_lo, exec_lo, s25
	s_cbranch_vccnz .LBB39_137
; %bb.129:
	s_cmp_lt_i32 s18, 6
	s_mov_b32 s25, -1
	s_cbranch_scc1 .LBB39_135
; %bb.130:
	s_cmp_gt_i32 s18, 6
	s_cbranch_scc0 .LBB39_132
; %bb.131:
	s_wait_xcnt 0x0
	v_cndmask_b32_e64 v1, 0, 1, s0
	s_mov_b32 s25, 0
	s_delay_alu instid0(VALU_DEP_1)
	v_cvt_f64_u32_e32 v[4:5], v1
	global_store_b64 v[2:3], v[4:5], off
.LBB39_132:
	s_and_not1_b32 vcc_lo, exec_lo, s25
	s_cbranch_vccnz .LBB39_134
; %bb.133:
	s_wait_xcnt 0x0
	v_cndmask_b32_e64 v1, 0, 1.0, s0
	global_store_b32 v[2:3], v1, off
.LBB39_134:
	s_mov_b32 s25, 0
.LBB39_135:
	s_delay_alu instid0(SALU_CYCLE_1)
	s_and_not1_b32 vcc_lo, exec_lo, s25
	s_cbranch_vccnz .LBB39_137
; %bb.136:
	s_wait_xcnt 0x0
	v_cndmask_b32_e64 v1, 0, 1.0, s0
	s_delay_alu instid0(VALU_DEP_1)
	v_cvt_f16_f32_e32 v1, v1
	global_store_b16 v[2:3], v1, off
.LBB39_137:
	s_mov_b32 s25, 0
.LBB39_138:
	s_delay_alu instid0(SALU_CYCLE_1)
	s_and_not1_b32 vcc_lo, exec_lo, s25
	s_cbranch_vccnz .LBB39_154
; %bb.139:
	s_cmp_lt_i32 s18, 2
	s_mov_b32 s25, -1
	s_cbranch_scc1 .LBB39_149
; %bb.140:
	s_cmp_lt_i32 s18, 3
	s_cbranch_scc1 .LBB39_146
; %bb.141:
	s_cmp_gt_i32 s18, 3
	s_cbranch_scc0 .LBB39_143
; %bb.142:
	s_mov_b32 s25, 0
	s_wait_xcnt 0x0
	v_cndmask_b32_e64 v4, 0, 1, s0
	v_mov_b32_e32 v5, s25
	global_store_b64 v[2:3], v[4:5], off
.LBB39_143:
	s_and_not1_b32 vcc_lo, exec_lo, s25
	s_cbranch_vccnz .LBB39_145
; %bb.144:
	s_wait_xcnt 0x0
	v_cndmask_b32_e64 v1, 0, 1, s0
	global_store_b32 v[2:3], v1, off
.LBB39_145:
	s_mov_b32 s25, 0
.LBB39_146:
	s_delay_alu instid0(SALU_CYCLE_1)
	s_and_not1_b32 vcc_lo, exec_lo, s25
	s_cbranch_vccnz .LBB39_148
; %bb.147:
	s_wait_xcnt 0x0
	v_cndmask_b32_e64 v1, 0, 1, s0
	global_store_b16 v[2:3], v1, off
.LBB39_148:
	s_mov_b32 s25, 0
.LBB39_149:
	s_delay_alu instid0(SALU_CYCLE_1)
	s_and_not1_b32 vcc_lo, exec_lo, s25
	s_cbranch_vccnz .LBB39_154
; %bb.150:
	s_cmp_gt_i32 s18, 0
	s_mov_b32 s18, -1
	s_cbranch_scc0 .LBB39_152
; %bb.151:
	s_wait_xcnt 0x0
	v_cndmask_b32_e64 v1, 0, 1, s0
	s_mov_b32 s18, 0
	global_store_b8 v[2:3], v1, off
.LBB39_152:
	s_and_not1_b32 vcc_lo, exec_lo, s18
	s_cbranch_vccnz .LBB39_154
; %bb.153:
	s_wait_xcnt 0x0
	v_cndmask_b32_e64 v1, 0, 1, s0
	global_store_b8 v[2:3], v1, off
.LBB39_154:
.LBB39_155:
	v_add_nc_u32_e32 v0, 0x80, v0
	s_mov_b32 s0, -1
	s_branch .LBB39_266
.LBB39_156:
	s_mov_b32 s24, -1
                                        ; implicit-def: $vgpr6_vgpr7
.LBB39_157:
	s_mov_b32 s18, 0
.LBB39_158:
	s_delay_alu instid0(SALU_CYCLE_1)
	s_and_b32 vcc_lo, exec_lo, s18
	s_cbranch_vccz .LBB39_162
; %bb.159:
	s_cmp_eq_u32 s0, 29
	s_cbranch_scc0 .LBB39_161
; %bb.160:
	global_load_b64 v[6:7], v[4:5], off
	s_mov_b32 s1, -1
	s_mov_b32 s24, 0
	s_mov_b32 s18, 0
	s_wait_loadcnt 0x0
	v_cvt_f64_u32_e32 v[8:9], v7
	v_cvt_f64_u32_e32 v[6:7], v6
	s_delay_alu instid0(VALU_DEP_2) | instskip(NEXT) | instid1(VALU_DEP_1)
	v_ldexp_f64 v[8:9], v[8:9], 32
	v_add_f64_e32 v[6:7], v[8:9], v[6:7]
	s_branch .LBB39_163
.LBB39_161:
	s_mov_b32 s24, -1
                                        ; implicit-def: $vgpr6_vgpr7
.LBB39_162:
	s_mov_b32 s18, 0
.LBB39_163:
	s_delay_alu instid0(SALU_CYCLE_1)
	s_and_b32 vcc_lo, exec_lo, s18
	s_cbranch_vccz .LBB39_181
; %bb.164:
	s_cmp_lt_i32 s0, 27
	s_cbranch_scc1 .LBB39_167
; %bb.165:
	s_cmp_gt_i32 s0, 27
	s_cbranch_scc0 .LBB39_168
; %bb.166:
	global_load_b32 v1, v[4:5], off
	s_mov_b32 s1, 0
	s_wait_loadcnt 0x0
	v_cvt_f64_u32_e32 v[6:7], v1
	s_branch .LBB39_169
.LBB39_167:
	s_mov_b32 s1, -1
                                        ; implicit-def: $vgpr6_vgpr7
	s_branch .LBB39_172
.LBB39_168:
	s_mov_b32 s1, -1
                                        ; implicit-def: $vgpr6_vgpr7
.LBB39_169:
	s_delay_alu instid0(SALU_CYCLE_1)
	s_and_not1_b32 vcc_lo, exec_lo, s1
	s_cbranch_vccnz .LBB39_171
; %bb.170:
	global_load_u16 v1, v[4:5], off
	s_wait_loadcnt 0x0
	v_cvt_f64_u32_e32 v[6:7], v1
.LBB39_171:
	s_mov_b32 s1, 0
.LBB39_172:
	s_delay_alu instid0(SALU_CYCLE_1)
	s_and_not1_b32 vcc_lo, exec_lo, s1
	s_cbranch_vccnz .LBB39_180
; %bb.173:
	global_load_u8 v1, v[4:5], off
	s_mov_b32 s1, 0
	s_mov_b32 s18, exec_lo
	s_wait_loadcnt 0x0
	v_cmpx_lt_i16_e32 0x7f, v1
	s_xor_b32 s18, exec_lo, s18
	s_cbranch_execz .LBB39_193
; %bb.174:
	s_mov_b32 s1, -1
	s_mov_b32 s25, exec_lo
	v_cmpx_eq_u16_e32 0x80, v1
; %bb.175:
	s_xor_b32 s1, exec_lo, -1
; %bb.176:
	s_or_b32 exec_lo, exec_lo, s25
	s_delay_alu instid0(SALU_CYCLE_1)
	s_and_b32 s1, s1, exec_lo
	s_or_saveexec_b32 s18, s18
	v_mov_b64_e32 v[6:7], 0x7ff8000020000000
	s_xor_b32 exec_lo, exec_lo, s18
	s_cbranch_execnz .LBB39_194
.LBB39_177:
	s_or_b32 exec_lo, exec_lo, s18
	s_and_saveexec_b32 s18, s1
	s_cbranch_execz .LBB39_179
.LBB39_178:
	v_and_b32_e32 v3, 0xffff, v1
	s_delay_alu instid0(VALU_DEP_1) | instskip(SKIP_1) | instid1(VALU_DEP_2)
	v_dual_lshlrev_b32 v1, 24, v1 :: v_dual_bitop2_b32 v6, 7, v3 bitop3:0x40
	v_bfe_u32 v9, v3, 3, 4
	v_and_b32_e32 v1, 0x80000000, v1
	s_delay_alu instid0(VALU_DEP_3) | instskip(NEXT) | instid1(VALU_DEP_3)
	v_clz_i32_u32_e32 v7, v6
	v_cmp_eq_u32_e32 vcc_lo, 0, v9
	s_delay_alu instid0(VALU_DEP_2) | instskip(NEXT) | instid1(VALU_DEP_1)
	v_min_u32_e32 v7, 32, v7
	v_subrev_nc_u32_e32 v8, 28, v7
	v_sub_nc_u32_e32 v7, 29, v7
	s_delay_alu instid0(VALU_DEP_2) | instskip(NEXT) | instid1(VALU_DEP_2)
	v_lshlrev_b32_e32 v3, v8, v3
	v_cndmask_b32_e32 v7, v9, v7, vcc_lo
	s_delay_alu instid0(VALU_DEP_2) | instskip(NEXT) | instid1(VALU_DEP_1)
	v_and_b32_e32 v3, 7, v3
	v_cndmask_b32_e32 v3, v6, v3, vcc_lo
	s_delay_alu instid0(VALU_DEP_3) | instskip(NEXT) | instid1(VALU_DEP_2)
	v_lshl_add_u32 v6, v7, 23, 0x3b800000
	v_lshlrev_b32_e32 v3, 20, v3
	s_delay_alu instid0(VALU_DEP_1) | instskip(NEXT) | instid1(VALU_DEP_1)
	v_or3_b32 v1, v1, v6, v3
	v_cvt_f64_f32_e32 v[6:7], v1
.LBB39_179:
	s_or_b32 exec_lo, exec_lo, s18
.LBB39_180:
	s_mov_b32 s1, -1
.LBB39_181:
	s_branch .LBB39_216
.LBB39_182:
	s_cmp_gt_i32 s0, 22
	s_cbranch_scc0 .LBB39_192
; %bb.183:
	s_cmp_lt_i32 s0, 24
	s_cbranch_scc1 .LBB39_195
; %bb.184:
	s_cmp_gt_i32 s0, 24
	s_cbranch_scc0 .LBB39_196
; %bb.185:
	global_load_u8 v1, v[4:5], off
	s_mov_b32 s1, 0
	s_mov_b32 s18, exec_lo
	s_wait_loadcnt 0x0
	v_cmpx_lt_i16_e32 0x7f, v1
	s_xor_b32 s18, exec_lo, s18
	s_cbranch_execz .LBB39_208
; %bb.186:
	s_mov_b32 s1, -1
	s_mov_b32 s25, exec_lo
	v_cmpx_eq_u16_e32 0x80, v1
; %bb.187:
	s_xor_b32 s1, exec_lo, -1
; %bb.188:
	s_or_b32 exec_lo, exec_lo, s25
	s_delay_alu instid0(SALU_CYCLE_1)
	s_and_b32 s1, s1, exec_lo
	s_or_saveexec_b32 s18, s18
	v_mov_b64_e32 v[6:7], 0x7ff8000020000000
	s_xor_b32 exec_lo, exec_lo, s18
	s_cbranch_execnz .LBB39_209
.LBB39_189:
	s_or_b32 exec_lo, exec_lo, s18
	s_and_saveexec_b32 s18, s1
	s_cbranch_execz .LBB39_191
.LBB39_190:
	v_and_b32_e32 v3, 0xffff, v1
	s_delay_alu instid0(VALU_DEP_1) | instskip(SKIP_1) | instid1(VALU_DEP_2)
	v_dual_lshlrev_b32 v1, 24, v1 :: v_dual_bitop2_b32 v6, 3, v3 bitop3:0x40
	v_bfe_u32 v9, v3, 2, 5
	v_and_b32_e32 v1, 0x80000000, v1
	s_delay_alu instid0(VALU_DEP_3) | instskip(NEXT) | instid1(VALU_DEP_3)
	v_clz_i32_u32_e32 v7, v6
	v_cmp_eq_u32_e32 vcc_lo, 0, v9
	s_delay_alu instid0(VALU_DEP_2) | instskip(NEXT) | instid1(VALU_DEP_1)
	v_min_u32_e32 v7, 32, v7
	v_subrev_nc_u32_e32 v8, 29, v7
	v_sub_nc_u32_e32 v7, 30, v7
	s_delay_alu instid0(VALU_DEP_2) | instskip(NEXT) | instid1(VALU_DEP_2)
	v_lshlrev_b32_e32 v3, v8, v3
	v_cndmask_b32_e32 v7, v9, v7, vcc_lo
	s_delay_alu instid0(VALU_DEP_2) | instskip(NEXT) | instid1(VALU_DEP_1)
	v_and_b32_e32 v3, 3, v3
	v_cndmask_b32_e32 v3, v6, v3, vcc_lo
	s_delay_alu instid0(VALU_DEP_3) | instskip(NEXT) | instid1(VALU_DEP_2)
	v_lshl_add_u32 v6, v7, 23, 0x37800000
	v_lshlrev_b32_e32 v3, 21, v3
	s_delay_alu instid0(VALU_DEP_1) | instskip(NEXT) | instid1(VALU_DEP_1)
	v_or3_b32 v1, v1, v6, v3
	v_cvt_f64_f32_e32 v[6:7], v1
.LBB39_191:
	s_or_b32 exec_lo, exec_lo, s18
	s_mov_b32 s1, 0
	s_branch .LBB39_197
.LBB39_192:
	s_mov_b32 s18, -1
                                        ; implicit-def: $vgpr6_vgpr7
	s_branch .LBB39_203
.LBB39_193:
	s_or_saveexec_b32 s18, s18
	v_mov_b64_e32 v[6:7], 0x7ff8000020000000
	s_xor_b32 exec_lo, exec_lo, s18
	s_cbranch_execz .LBB39_177
.LBB39_194:
	v_cmp_ne_u16_e32 vcc_lo, 0, v1
	v_mov_b64_e32 v[6:7], 0
	s_and_not1_b32 s1, s1, exec_lo
	s_and_b32 s25, vcc_lo, exec_lo
	s_delay_alu instid0(SALU_CYCLE_1)
	s_or_b32 s1, s1, s25
	s_or_b32 exec_lo, exec_lo, s18
	s_and_saveexec_b32 s18, s1
	s_cbranch_execnz .LBB39_178
	s_branch .LBB39_179
.LBB39_195:
	s_mov_b32 s1, -1
                                        ; implicit-def: $vgpr6_vgpr7
	s_branch .LBB39_200
.LBB39_196:
	s_mov_b32 s1, -1
                                        ; implicit-def: $vgpr6_vgpr7
.LBB39_197:
	s_delay_alu instid0(SALU_CYCLE_1)
	s_and_b32 vcc_lo, exec_lo, s1
	s_cbranch_vccz .LBB39_199
; %bb.198:
	global_load_u8 v1, v[4:5], off
	s_wait_loadcnt 0x0
	v_lshlrev_b32_e32 v1, 24, v1
	s_delay_alu instid0(VALU_DEP_1) | instskip(NEXT) | instid1(VALU_DEP_1)
	v_and_b32_e32 v3, 0x7f000000, v1
	v_clz_i32_u32_e32 v6, v3
	v_cmp_ne_u32_e32 vcc_lo, 0, v3
	v_add_nc_u32_e32 v8, 0x1000000, v3
	s_delay_alu instid0(VALU_DEP_3) | instskip(NEXT) | instid1(VALU_DEP_1)
	v_min_u32_e32 v6, 32, v6
	v_sub_nc_u32_e64 v6, v6, 4 clamp
	s_delay_alu instid0(VALU_DEP_1) | instskip(NEXT) | instid1(VALU_DEP_1)
	v_dual_lshlrev_b32 v7, v6, v3 :: v_dual_lshlrev_b32 v6, 23, v6
	v_lshrrev_b32_e32 v7, 4, v7
	s_delay_alu instid0(VALU_DEP_1) | instskip(NEXT) | instid1(VALU_DEP_1)
	v_dual_sub_nc_u32 v6, v7, v6 :: v_dual_ashrrev_i32 v7, 8, v8
	v_add_nc_u32_e32 v6, 0x3c000000, v6
	s_delay_alu instid0(VALU_DEP_1) | instskip(NEXT) | instid1(VALU_DEP_1)
	v_and_or_b32 v6, 0x7f800000, v7, v6
	v_cndmask_b32_e32 v3, 0, v6, vcc_lo
	s_delay_alu instid0(VALU_DEP_1) | instskip(NEXT) | instid1(VALU_DEP_1)
	v_and_or_b32 v1, 0x80000000, v1, v3
	v_cvt_f64_f32_e32 v[6:7], v1
.LBB39_199:
	s_mov_b32 s1, 0
.LBB39_200:
	s_delay_alu instid0(SALU_CYCLE_1)
	s_and_not1_b32 vcc_lo, exec_lo, s1
	s_cbranch_vccnz .LBB39_202
; %bb.201:
	global_load_u8 v1, v[4:5], off
	s_wait_loadcnt 0x0
	v_lshlrev_b32_e32 v3, 25, v1
	v_lshlrev_b16 v1, 8, v1
	s_delay_alu instid0(VALU_DEP_1) | instskip(SKIP_1) | instid1(VALU_DEP_2)
	v_and_or_b32 v7, 0x7f00, v1, 0.5
	v_bfe_i32 v1, v1, 0, 16
	v_add_f32_e32 v7, -0.5, v7
	v_lshrrev_b32_e32 v6, 4, v3
	v_cmp_gt_u32_e32 vcc_lo, 0x8000000, v3
	s_delay_alu instid0(VALU_DEP_2) | instskip(NEXT) | instid1(VALU_DEP_1)
	v_or_b32_e32 v6, 0x70000000, v6
	v_mul_f32_e32 v6, 0x7800000, v6
	s_delay_alu instid0(VALU_DEP_1) | instskip(NEXT) | instid1(VALU_DEP_1)
	v_cndmask_b32_e32 v3, v6, v7, vcc_lo
	v_and_or_b32 v1, 0x80000000, v1, v3
	s_delay_alu instid0(VALU_DEP_1)
	v_cvt_f64_f32_e32 v[6:7], v1
.LBB39_202:
	s_mov_b32 s18, 0
	s_mov_b32 s1, -1
.LBB39_203:
	s_and_not1_b32 vcc_lo, exec_lo, s18
	s_cbranch_vccnz .LBB39_216
; %bb.204:
	s_cmp_gt_i32 s0, 14
	s_cbranch_scc0 .LBB39_207
; %bb.205:
	s_cmp_eq_u32 s0, 15
	s_cbranch_scc0 .LBB39_210
; %bb.206:
	global_load_u16 v1, v[4:5], off
	s_mov_b32 s1, -1
	s_mov_b32 s24, 0
	s_wait_loadcnt 0x0
	v_lshlrev_b32_e32 v1, 16, v1
	s_delay_alu instid0(VALU_DEP_1)
	v_cvt_f64_f32_e32 v[6:7], v1
	s_branch .LBB39_211
.LBB39_207:
	s_mov_b32 s18, -1
                                        ; implicit-def: $vgpr6_vgpr7
	s_branch .LBB39_212
.LBB39_208:
	s_or_saveexec_b32 s18, s18
	v_mov_b64_e32 v[6:7], 0x7ff8000020000000
	s_xor_b32 exec_lo, exec_lo, s18
	s_cbranch_execz .LBB39_189
.LBB39_209:
	v_cmp_ne_u16_e32 vcc_lo, 0, v1
	v_mov_b64_e32 v[6:7], 0
	s_and_not1_b32 s1, s1, exec_lo
	s_and_b32 s25, vcc_lo, exec_lo
	s_delay_alu instid0(SALU_CYCLE_1)
	s_or_b32 s1, s1, s25
	s_or_b32 exec_lo, exec_lo, s18
	s_and_saveexec_b32 s18, s1
	s_cbranch_execnz .LBB39_190
	s_branch .LBB39_191
.LBB39_210:
	s_mov_b32 s24, -1
                                        ; implicit-def: $vgpr6_vgpr7
.LBB39_211:
	s_mov_b32 s18, 0
.LBB39_212:
	s_delay_alu instid0(SALU_CYCLE_1)
	s_and_b32 vcc_lo, exec_lo, s18
	s_cbranch_vccz .LBB39_216
; %bb.213:
	s_cmp_eq_u32 s0, 11
	s_cbranch_scc0 .LBB39_215
; %bb.214:
	global_load_u8 v1, v[4:5], off
	v_mov_b32_e32 v6, 0
	s_mov_b32 s24, 0
	s_mov_b32 s1, -1
	s_wait_loadcnt 0x0
	v_cmp_ne_u16_e32 vcc_lo, 0, v1
	v_cndmask_b32_e64 v7, 0, 0x3ff00000, vcc_lo
	s_branch .LBB39_216
.LBB39_215:
	s_mov_b32 s24, -1
                                        ; implicit-def: $vgpr6_vgpr7
.LBB39_216:
	s_branch .LBB39_25
.LBB39_217:
	s_cmp_lt_i32 s0, 5
	s_cbranch_scc1 .LBB39_222
; %bb.218:
	s_cmp_lt_i32 s0, 8
	s_cbranch_scc1 .LBB39_223
; %bb.219:
	;; [unrolled: 3-line block ×3, first 2 shown]
	s_cmp_gt_i32 s0, 9
	s_cbranch_scc0 .LBB39_225
; %bb.221:
	global_load_b64 v[6:7], v[4:5], off
	s_mov_b32 s1, 0
	s_branch .LBB39_226
.LBB39_222:
                                        ; implicit-def: $vgpr6_vgpr7
	s_branch .LBB39_244
.LBB39_223:
	s_mov_b32 s1, -1
                                        ; implicit-def: $vgpr6_vgpr7
	s_branch .LBB39_232
.LBB39_224:
	s_mov_b32 s1, -1
                                        ; implicit-def: $vgpr6_vgpr7
	s_branch .LBB39_229
.LBB39_225:
	s_mov_b32 s1, -1
                                        ; implicit-def: $vgpr6_vgpr7
.LBB39_226:
	s_delay_alu instid0(SALU_CYCLE_1)
	s_and_not1_b32 vcc_lo, exec_lo, s1
	s_cbranch_vccnz .LBB39_228
; %bb.227:
	global_load_b32 v1, v[4:5], off
	s_wait_loadcnt 0x0
	v_cvt_f64_f32_e32 v[6:7], v1
.LBB39_228:
	s_mov_b32 s1, 0
.LBB39_229:
	s_delay_alu instid0(SALU_CYCLE_1)
	s_and_not1_b32 vcc_lo, exec_lo, s1
	s_cbranch_vccnz .LBB39_231
; %bb.230:
	global_load_b32 v1, v[4:5], off
	s_wait_loadcnt 0x0
	v_cvt_f32_f16_e32 v1, v1
	s_delay_alu instid0(VALU_DEP_1)
	v_cvt_f64_f32_e32 v[6:7], v1
.LBB39_231:
	s_mov_b32 s1, 0
.LBB39_232:
	s_delay_alu instid0(SALU_CYCLE_1)
	s_and_not1_b32 vcc_lo, exec_lo, s1
	s_cbranch_vccnz .LBB39_243
; %bb.233:
	s_cmp_lt_i32 s0, 6
	s_cbranch_scc1 .LBB39_236
; %bb.234:
	s_cmp_gt_i32 s0, 6
	s_cbranch_scc0 .LBB39_237
; %bb.235:
	s_wait_loadcnt 0x0
	global_load_b64 v[6:7], v[4:5], off
	s_mov_b32 s1, 0
	s_branch .LBB39_238
.LBB39_236:
	s_mov_b32 s1, -1
                                        ; implicit-def: $vgpr6_vgpr7
	s_branch .LBB39_241
.LBB39_237:
	s_mov_b32 s1, -1
                                        ; implicit-def: $vgpr6_vgpr7
.LBB39_238:
	s_delay_alu instid0(SALU_CYCLE_1)
	s_and_not1_b32 vcc_lo, exec_lo, s1
	s_cbranch_vccnz .LBB39_240
; %bb.239:
	global_load_b32 v1, v[4:5], off
	s_wait_loadcnt 0x0
	v_cvt_f64_f32_e32 v[6:7], v1
.LBB39_240:
	s_mov_b32 s1, 0
.LBB39_241:
	s_delay_alu instid0(SALU_CYCLE_1)
	s_and_not1_b32 vcc_lo, exec_lo, s1
	s_cbranch_vccnz .LBB39_243
; %bb.242:
	global_load_u16 v1, v[4:5], off
	s_wait_loadcnt 0x0
	v_cvt_f32_f16_e32 v1, v1
	s_delay_alu instid0(VALU_DEP_1)
	v_cvt_f64_f32_e32 v[6:7], v1
.LBB39_243:
	s_cbranch_execnz .LBB39_263
.LBB39_244:
	s_cmp_lt_i32 s0, 2
	s_cbranch_scc1 .LBB39_248
; %bb.245:
	s_cmp_lt_i32 s0, 3
	s_cbranch_scc1 .LBB39_249
; %bb.246:
	s_cmp_gt_i32 s0, 3
	s_cbranch_scc0 .LBB39_250
; %bb.247:
	s_wait_loadcnt 0x0
	global_load_b64 v[6:7], v[4:5], off
	s_mov_b32 s1, 0
	s_wait_loadcnt 0x0
	v_cvt_f64_i32_e32 v[8:9], v7
	v_cvt_f64_u32_e32 v[6:7], v6
	s_delay_alu instid0(VALU_DEP_2) | instskip(NEXT) | instid1(VALU_DEP_1)
	v_ldexp_f64 v[8:9], v[8:9], 32
	v_add_f64_e32 v[6:7], v[8:9], v[6:7]
	s_branch .LBB39_251
.LBB39_248:
	s_mov_b32 s1, -1
                                        ; implicit-def: $vgpr6_vgpr7
	s_branch .LBB39_257
.LBB39_249:
	s_mov_b32 s1, -1
                                        ; implicit-def: $vgpr6_vgpr7
	s_branch .LBB39_254
.LBB39_250:
	s_mov_b32 s1, -1
                                        ; implicit-def: $vgpr6_vgpr7
.LBB39_251:
	s_delay_alu instid0(SALU_CYCLE_1)
	s_and_not1_b32 vcc_lo, exec_lo, s1
	s_cbranch_vccnz .LBB39_253
; %bb.252:
	global_load_b32 v1, v[4:5], off
	s_wait_loadcnt 0x0
	v_cvt_f64_i32_e32 v[6:7], v1
.LBB39_253:
	s_mov_b32 s1, 0
.LBB39_254:
	s_delay_alu instid0(SALU_CYCLE_1)
	s_and_not1_b32 vcc_lo, exec_lo, s1
	s_cbranch_vccnz .LBB39_256
; %bb.255:
	global_load_i16 v1, v[4:5], off
	s_wait_loadcnt 0x0
	v_cvt_f64_i32_e32 v[6:7], v1
.LBB39_256:
	s_mov_b32 s1, 0
.LBB39_257:
	s_delay_alu instid0(SALU_CYCLE_1)
	s_and_not1_b32 vcc_lo, exec_lo, s1
	s_cbranch_vccnz .LBB39_263
; %bb.258:
	s_cmp_gt_i32 s0, 0
	s_mov_b32 s0, 0
	s_cbranch_scc0 .LBB39_260
; %bb.259:
	global_load_i8 v1, v[4:5], off
	s_wait_loadcnt 0x0
	v_cvt_f64_i32_e32 v[6:7], v1
	s_branch .LBB39_261
.LBB39_260:
	s_mov_b32 s0, -1
                                        ; implicit-def: $vgpr6_vgpr7
.LBB39_261:
	s_delay_alu instid0(SALU_CYCLE_1)
	s_and_not1_b32 vcc_lo, exec_lo, s0
	s_cbranch_vccnz .LBB39_263
; %bb.262:
	global_load_u8 v1, v[4:5], off
	s_wait_loadcnt 0x0
	v_cvt_f64_u32_e32 v[6:7], v1
.LBB39_263:
	s_branch .LBB39_26
.LBB39_264:
	s_mov_b32 s1, 0
.LBB39_265:
	s_mov_b32 s0, 0
                                        ; implicit-def: $vgpr0
.LBB39_266:
	s_and_b32 s18, s1, exec_lo
	s_and_b32 s39, s24, exec_lo
	s_or_not1_b32 s25, s0, exec_lo
.LBB39_267:
	s_wait_xcnt 0x0
	s_or_b32 exec_lo, exec_lo, s40
	s_mov_b32 s24, 0
	s_mov_b32 s0, 0
                                        ; implicit-def: $vgpr4_vgpr5
                                        ; implicit-def: $vgpr2
                                        ; implicit-def: $vgpr6_vgpr7
	s_and_saveexec_b32 s40, s25
	s_cbranch_execz .LBB39_275
; %bb.268:
	s_mov_b32 s0, -1
	s_mov_b32 s41, s39
	s_mov_b32 s42, s18
	s_mov_b32 s43, exec_lo
	v_cmpx_gt_i32_e64 s36, v0
	s_cbranch_execz .LBB39_546
; %bb.269:
	s_and_not1_b32 vcc_lo, exec_lo, s31
	s_cbranch_vccnz .LBB39_278
; %bb.270:
	s_and_not1_b32 vcc_lo, exec_lo, s38
	s_cbranch_vccnz .LBB39_279
; %bb.271:
	s_add_co_i32 s1, s37, 1
	s_cmp_eq_u32 s29, 2
	s_cbranch_scc1 .LBB39_280
; %bb.272:
	v_dual_mov_b32 v2, 0 :: v_dual_mov_b32 v4, 0
	v_mov_b32_e32 v1, v0
	s_and_b32 s0, s1, 28
	s_mov_b32 s41, 0
	s_mov_b64 s[24:25], s[2:3]
	s_mov_b64 s[26:27], s[22:23]
.LBB39_273:                             ; =>This Inner Loop Header: Depth=1
	s_clause 0x1
	s_load_b256 s[44:51], s[24:25], 0x4
	s_load_b128 s[60:63], s[24:25], 0x24
	s_load_b256 s[52:59], s[26:27], 0x0
	s_add_co_i32 s41, s41, 4
	s_wait_xcnt 0x0
	s_add_nc_u64 s[24:25], s[24:25], 48
	s_cmp_eq_u32 s0, s41
	s_add_nc_u64 s[26:27], s[26:27], 32
	s_wait_kmcnt 0x0
	v_mul_hi_u32 v3, s45, v1
	s_delay_alu instid0(VALU_DEP_1) | instskip(NEXT) | instid1(VALU_DEP_1)
	v_add_nc_u32_e32 v3, v1, v3
	v_lshrrev_b32_e32 v3, s46, v3
	s_delay_alu instid0(VALU_DEP_1) | instskip(NEXT) | instid1(VALU_DEP_1)
	v_mul_hi_u32 v5, s48, v3
	v_add_nc_u32_e32 v5, v3, v5
	s_delay_alu instid0(VALU_DEP_1) | instskip(SKIP_1) | instid1(VALU_DEP_1)
	v_lshrrev_b32_e32 v5, s49, v5
	s_wait_loadcnt 0x0
	v_mul_hi_u32 v6, s51, v5
	s_delay_alu instid0(VALU_DEP_1) | instskip(SKIP_1) | instid1(VALU_DEP_1)
	v_add_nc_u32_e32 v6, v5, v6
	v_mul_lo_u32 v7, v3, s44
	v_sub_nc_u32_e32 v1, v1, v7
	v_mul_lo_u32 v7, v5, s47
	s_delay_alu instid0(VALU_DEP_4) | instskip(NEXT) | instid1(VALU_DEP_3)
	v_lshrrev_b32_e32 v6, s60, v6
	v_mad_u32 v4, v1, s53, v4
	v_mad_u32 v1, v1, s52, v2
	s_delay_alu instid0(VALU_DEP_4) | instskip(NEXT) | instid1(VALU_DEP_4)
	v_sub_nc_u32_e32 v2, v3, v7
	v_mul_hi_u32 v8, s62, v6
	v_mul_lo_u32 v3, v6, s50
	s_delay_alu instid0(VALU_DEP_3) | instskip(SKIP_1) | instid1(VALU_DEP_3)
	v_mad_u32 v4, v2, s55, v4
	v_mad_u32 v2, v2, s54, v1
	v_dual_add_nc_u32 v7, v6, v8 :: v_dual_sub_nc_u32 v3, v5, v3
	s_delay_alu instid0(VALU_DEP_1) | instskip(NEXT) | instid1(VALU_DEP_2)
	v_lshrrev_b32_e32 v1, s63, v7
	v_mad_u32 v4, v3, s57, v4
	s_delay_alu instid0(VALU_DEP_4) | instskip(NEXT) | instid1(VALU_DEP_3)
	v_mad_u32 v2, v3, s56, v2
	v_mul_lo_u32 v5, v1, s61
	s_delay_alu instid0(VALU_DEP_1) | instskip(NEXT) | instid1(VALU_DEP_1)
	v_sub_nc_u32_e32 v3, v6, v5
	v_mad_u32 v4, v3, s59, v4
	s_delay_alu instid0(VALU_DEP_4)
	v_mad_u32 v2, v3, s58, v2
	s_cbranch_scc0 .LBB39_273
; %bb.274:
	s_delay_alu instid0(VALU_DEP_2)
	v_mov_b32_e32 v3, v4
	s_branch .LBB39_281
.LBB39_275:
	s_or_b32 exec_lo, exec_lo, s40
	s_mov_b32 s1, 0
	s_and_saveexec_b32 s6, s39
	s_cbranch_execnz .LBB39_928
.LBB39_276:
	s_or_b32 exec_lo, exec_lo, s6
	s_and_saveexec_b32 s6, s17
	s_delay_alu instid0(SALU_CYCLE_1)
	s_xor_b32 s6, exec_lo, s6
	s_cbranch_execz .LBB39_929
.LBB39_277:
	global_load_u8 v0, v[4:5], off
	s_wait_loadcnt 0x1
	v_mov_b32_e32 v6, 0
	s_or_b32 s0, s0, exec_lo
	s_wait_loadcnt 0x0
	v_cmp_ne_u16_e32 vcc_lo, 0, v0
	v_cndmask_b32_e64 v7, 0, 0x3ff00000, vcc_lo
	s_wait_xcnt 0x0
	s_or_b32 exec_lo, exec_lo, s6
	s_and_saveexec_b32 s6, s24
	s_cbranch_execz .LBB39_975
	s_branch .LBB39_930
.LBB39_278:
                                        ; implicit-def: $vgpr4
                                        ; implicit-def: $vgpr2
	s_and_not1_b32 vcc_lo, exec_lo, s0
	s_cbranch_vccnz .LBB39_288
	s_branch .LBB39_286
.LBB39_279:
	v_dual_mov_b32 v4, 0 :: v_dual_mov_b32 v2, 0
	s_branch .LBB39_285
.LBB39_280:
	v_mov_b64_e32 v[2:3], 0
	v_mov_b32_e32 v1, v0
	s_mov_b32 s0, 0
                                        ; implicit-def: $vgpr4
.LBB39_281:
	s_and_b32 s26, s1, 3
	s_mov_b32 s1, 0
	s_cmp_eq_u32 s26, 0
	s_cbranch_scc1 .LBB39_285
; %bb.282:
	s_lshl_b32 s24, s0, 3
	s_mov_b32 s25, s1
	s_mul_u64 s[44:45], s[0:1], 12
	s_add_nc_u64 s[24:25], s[2:3], s[24:25]
	s_delay_alu instid0(SALU_CYCLE_1)
	s_add_nc_u64 s[0:1], s[24:25], 0xc4
	s_add_nc_u64 s[24:25], s[2:3], s[44:45]
.LBB39_283:                             ; =>This Inner Loop Header: Depth=1
	s_load_b96 s[44:46], s[24:25], 0x4
	s_add_co_i32 s26, s26, -1
	s_wait_xcnt 0x0
	s_add_nc_u64 s[24:25], s[24:25], 12
	s_cmp_lg_u32 s26, 0
	s_wait_kmcnt 0x0
	v_mul_hi_u32 v4, s45, v1
	s_delay_alu instid0(VALU_DEP_1) | instskip(NEXT) | instid1(VALU_DEP_1)
	v_add_nc_u32_e32 v4, v1, v4
	v_lshrrev_b32_e32 v4, s46, v4
	s_load_b64 s[46:47], s[0:1], 0x0
	s_wait_xcnt 0x0
	s_add_nc_u64 s[0:1], s[0:1], 8
	s_delay_alu instid0(VALU_DEP_1) | instskip(NEXT) | instid1(VALU_DEP_1)
	v_mul_lo_u32 v5, v4, s44
	v_sub_nc_u32_e32 v1, v1, v5
	s_wait_kmcnt 0x0
	s_delay_alu instid0(VALU_DEP_1)
	v_mad_u32 v3, v1, s47, v3
	v_mad_u32 v2, v1, s46, v2
	v_mov_b32_e32 v1, v4
	s_cbranch_scc1 .LBB39_283
; %bb.284:
	s_delay_alu instid0(VALU_DEP_3)
	v_mov_b32_e32 v4, v3
.LBB39_285:
	s_cbranch_execnz .LBB39_288
.LBB39_286:
	v_mov_b32_e32 v1, 0
	s_and_not1_b32 vcc_lo, exec_lo, s35
	s_delay_alu instid0(VALU_DEP_1) | instskip(NEXT) | instid1(VALU_DEP_1)
	v_mul_u64_e32 v[2:3], s[16:17], v[0:1]
	v_add_nc_u32_e32 v2, v0, v3
	s_wait_loadcnt 0x0
	s_delay_alu instid0(VALU_DEP_1) | instskip(NEXT) | instid1(VALU_DEP_1)
	v_lshrrev_b32_e32 v6, s14, v2
	v_mul_lo_u32 v2, v6, s12
	s_delay_alu instid0(VALU_DEP_1) | instskip(NEXT) | instid1(VALU_DEP_1)
	v_sub_nc_u32_e32 v2, v0, v2
	v_mul_lo_u32 v4, v2, s9
	v_mul_lo_u32 v2, v2, s8
	s_cbranch_vccnz .LBB39_288
; %bb.287:
	v_mov_b32_e32 v7, v1
	s_delay_alu instid0(VALU_DEP_1) | instskip(NEXT) | instid1(VALU_DEP_1)
	v_mul_u64_e32 v[8:9], s[20:21], v[6:7]
	v_add_nc_u32_e32 v1, v6, v9
	s_delay_alu instid0(VALU_DEP_1) | instskip(NEXT) | instid1(VALU_DEP_1)
	v_lshrrev_b32_e32 v1, s19, v1
	v_mul_lo_u32 v1, v1, s15
	s_delay_alu instid0(VALU_DEP_1) | instskip(NEXT) | instid1(VALU_DEP_1)
	v_sub_nc_u32_e32 v1, v6, v1
	v_mad_u32 v2, v1, s10, v2
	v_mad_u32 v4, v1, s11, v4
.LBB39_288:
	v_mov_b32_e32 v5, 0
	s_and_b32 s0, 0xffff, s13
	s_delay_alu instid0(SALU_CYCLE_1) | instskip(NEXT) | instid1(VALU_DEP_1)
	s_cmp_lt_i32 s0, 11
	v_add_nc_u64_e32 v[4:5], s[6:7], v[4:5]
	s_cbranch_scc1 .LBB39_295
; %bb.289:
	s_cmp_gt_i32 s0, 25
	s_cbranch_scc0 .LBB39_304
; %bb.290:
	s_cmp_gt_i32 s0, 28
	s_cbranch_scc0 .LBB39_306
	;; [unrolled: 3-line block ×4, first 2 shown]
; %bb.293:
	s_cmp_eq_u32 s0, 46
	s_mov_b32 s25, 0
	s_cbranch_scc0 .LBB39_316
; %bb.294:
	global_load_b32 v1, v[4:5], off
	s_mov_b32 s1, -1
	s_mov_b32 s24, 0
	s_wait_loadcnt 0x0
	v_lshlrev_b32_e32 v1, 16, v1
	s_delay_alu instid0(VALU_DEP_1)
	v_cvt_f64_f32_e32 v[6:7], v1
	s_branch .LBB39_318
.LBB39_295:
	s_mov_b32 s1, 0
	s_mov_b32 s24, s39
                                        ; implicit-def: $vgpr6_vgpr7
	s_cbranch_execnz .LBB39_495
.LBB39_296:
	s_and_not1_b32 vcc_lo, exec_lo, s1
	s_cbranch_vccnz .LBB39_543
.LBB39_297:
	s_wait_loadcnt 0x0
	s_delay_alu instid0(VALU_DEP_1) | instskip(SKIP_2) | instid1(SALU_CYCLE_1)
	v_cmp_eq_f64_e64 s0, 0x7ff00000, v[6:7]
	v_mov_b32_e32 v3, 0
	s_and_b32 s25, s34, 0xff
	s_cmp_lt_i32 s25, 11
	s_delay_alu instid0(VALU_DEP_1)
	v_add_nc_u64_e32 v[2:3], s[4:5], v[2:3]
	s_cbranch_scc1 .LBB39_305
; %bb.298:
	s_and_b32 s26, 0xffff, s25
	s_delay_alu instid0(SALU_CYCLE_1)
	s_cmp_gt_i32 s26, 25
	s_cbranch_scc0 .LBB39_307
; %bb.299:
	s_cmp_gt_i32 s26, 28
	s_cbranch_scc0 .LBB39_309
; %bb.300:
	s_cmp_gt_i32 s26, 43
	s_cbranch_scc0 .LBB39_313
; %bb.301:
	s_cmp_gt_i32 s26, 45
	s_cbranch_scc0 .LBB39_321
; %bb.302:
	s_mov_b32 s41, 0
	s_mov_b32 s1, -1
	s_cmp_eq_u32 s26, 46
	s_mov_b32 s27, 0
	s_cbranch_scc0 .LBB39_322
; %bb.303:
	v_cndmask_b32_e64 v1, 0, 1.0, s0
	s_mov_b32 s27, -1
	s_mov_b32 s1, 0
	s_wait_xcnt 0x0
	s_delay_alu instid0(VALU_DEP_1) | instskip(NEXT) | instid1(VALU_DEP_1)
	v_bfe_u32 v4, v1, 16, 1
	v_add3_u32 v1, v1, v4, 0x7fff
	s_delay_alu instid0(VALU_DEP_1)
	v_lshrrev_b32_e32 v1, 16, v1
	global_store_b32 v[2:3], v1, off
	s_branch .LBB39_322
.LBB39_304:
	s_mov_b32 s25, -1
	s_mov_b32 s1, 0
	s_mov_b32 s24, s39
                                        ; implicit-def: $vgpr6_vgpr7
	s_branch .LBB39_459
.LBB39_305:
	s_mov_b32 s26, -1
	s_mov_b32 s27, 0
	s_mov_b32 s1, s18
	s_branch .LBB39_391
.LBB39_306:
	s_mov_b32 s25, -1
	s_mov_b32 s1, 0
	s_mov_b32 s24, s39
                                        ; implicit-def: $vgpr6_vgpr7
	s_branch .LBB39_440
.LBB39_307:
	s_mov_b32 s41, -1
	s_mov_b32 s27, 0
	s_mov_b32 s1, s18
	s_branch .LBB39_349
.LBB39_308:
	s_mov_b32 s25, -1
	s_mov_b32 s1, 0
	s_mov_b32 s24, s39
                                        ; implicit-def: $vgpr6_vgpr7
	s_branch .LBB39_435
.LBB39_309:
	s_mov_b32 s41, -1
	s_mov_b32 s27, 0
	s_mov_b32 s1, s18
	s_branch .LBB39_332
.LBB39_310:
	s_and_not1_saveexec_b32 s39, s39
	s_cbranch_execz .LBB39_69
.LBB39_311:
	v_add_f32_e32 v1, 0x46000000, v4
	s_and_not1_b32 s27, s27, exec_lo
	s_delay_alu instid0(VALU_DEP_1) | instskip(NEXT) | instid1(VALU_DEP_1)
	v_and_b32_e32 v1, 0xff, v1
	v_cmp_ne_u32_e32 vcc_lo, 0, v1
	s_and_b32 s41, vcc_lo, exec_lo
	s_delay_alu instid0(SALU_CYCLE_1)
	s_or_b32 s27, s27, s41
	s_or_b32 exec_lo, exec_lo, s39
	v_mov_b32_e32 v5, 0
	s_and_saveexec_b32 s39, s27
	s_cbranch_execnz .LBB39_70
	s_branch .LBB39_71
.LBB39_312:
	s_mov_b32 s25, -1
	s_mov_b32 s1, 0
	s_mov_b32 s24, s39
	s_branch .LBB39_317
.LBB39_313:
	s_mov_b32 s41, -1
	s_mov_b32 s27, 0
	s_mov_b32 s1, s18
	s_branch .LBB39_328
.LBB39_314:
	s_and_not1_saveexec_b32 s39, s39
	s_cbranch_execz .LBB39_82
.LBB39_315:
	v_add_f32_e32 v1, 0x42800000, v4
	s_and_not1_b32 s27, s27, exec_lo
	s_delay_alu instid0(VALU_DEP_1) | instskip(NEXT) | instid1(VALU_DEP_1)
	v_and_b32_e32 v1, 0xff, v1
	v_cmp_ne_u32_e32 vcc_lo, 0, v1
	s_and_b32 s41, vcc_lo, exec_lo
	s_delay_alu instid0(SALU_CYCLE_1)
	s_or_b32 s27, s27, s41
	s_or_b32 exec_lo, exec_lo, s39
	v_mov_b32_e32 v5, 0
	s_and_saveexec_b32 s39, s27
	s_cbranch_execnz .LBB39_83
	s_branch .LBB39_84
.LBB39_316:
	s_mov_b32 s24, -1
	s_mov_b32 s1, 0
.LBB39_317:
                                        ; implicit-def: $vgpr6_vgpr7
.LBB39_318:
	s_and_b32 vcc_lo, exec_lo, s25
	s_cbranch_vccz .LBB39_434
; %bb.319:
	s_cmp_eq_u32 s0, 44
	s_cbranch_scc0 .LBB39_433
; %bb.320:
	global_load_u8 v1, v[4:5], off
	s_mov_b32 s24, 0
	s_mov_b32 s1, -1
	s_wait_loadcnt 0x0
	v_cmp_ne_u32_e32 vcc_lo, 0xff, v1
	v_lshlrev_b32_e32 v3, 23, v1
	s_delay_alu instid0(VALU_DEP_1) | instskip(NEXT) | instid1(VALU_DEP_1)
	v_cvt_f64_f32_e32 v[6:7], v3
	v_cndmask_b32_e32 v3, 0x20000000, v6, vcc_lo
	s_delay_alu instid0(VALU_DEP_2) | instskip(SKIP_1) | instid1(VALU_DEP_2)
	v_cndmask_b32_e32 v6, 0x7ff80000, v7, vcc_lo
	v_cmp_ne_u32_e32 vcc_lo, 0, v1
	v_cndmask_b32_e32 v7, 0x38000000, v6, vcc_lo
	s_delay_alu instid0(VALU_DEP_4)
	v_cndmask_b32_e32 v6, 0, v3, vcc_lo
	s_branch .LBB39_434
.LBB39_321:
	s_mov_b32 s41, -1
	s_mov_b32 s27, 0
	s_mov_b32 s1, s18
.LBB39_322:
	s_and_b32 vcc_lo, exec_lo, s41
	s_cbranch_vccz .LBB39_327
; %bb.323:
	s_cmp_eq_u32 s26, 44
	s_mov_b32 s1, -1
	s_cbranch_scc0 .LBB39_327
; %bb.324:
	s_wait_xcnt 0x0
	v_cndmask_b32_e64 v5, 0, 1.0, s0
	s_mov_b32 s27, exec_lo
	s_delay_alu instid0(VALU_DEP_1) | instskip(NEXT) | instid1(VALU_DEP_1)
	v_dual_mov_b32 v4, 0xff :: v_dual_lshrrev_b32 v1, 23, v5
	v_cmpx_ne_u32_e32 0xff, v1
; %bb.325:
	v_and_b32_e32 v4, 0x400000, v5
	v_and_or_b32 v5, 0x3fffff, v5, v1
	s_delay_alu instid0(VALU_DEP_2) | instskip(NEXT) | instid1(VALU_DEP_2)
	v_cmp_ne_u32_e32 vcc_lo, 0, v4
	v_cmp_ne_u32_e64 s1, 0, v5
	s_and_b32 s1, vcc_lo, s1
	s_delay_alu instid0(SALU_CYCLE_1) | instskip(NEXT) | instid1(VALU_DEP_1)
	v_cndmask_b32_e64 v4, 0, 1, s1
	v_add_nc_u32_e32 v4, v1, v4
; %bb.326:
	s_or_b32 exec_lo, exec_lo, s27
	s_mov_b32 s27, -1
	s_mov_b32 s1, 0
	global_store_b8 v[2:3], v4, off
.LBB39_327:
	s_mov_b32 s41, 0
.LBB39_328:
	s_delay_alu instid0(SALU_CYCLE_1)
	s_and_b32 vcc_lo, exec_lo, s41
	s_cbranch_vccz .LBB39_331
; %bb.329:
	s_cmp_eq_u32 s26, 29
	s_mov_b32 s1, -1
	s_cbranch_scc0 .LBB39_331
; %bb.330:
	s_mov_b32 s1, 0
	s_wait_xcnt 0x0
	v_cndmask_b32_e64 v4, 0, 1, s0
	v_mov_b32_e32 v5, s1
	s_mov_b32 s27, -1
	s_mov_b32 s41, 0
	global_store_b64 v[2:3], v[4:5], off
	s_branch .LBB39_332
.LBB39_331:
	s_mov_b32 s41, 0
.LBB39_332:
	s_delay_alu instid0(SALU_CYCLE_1)
	s_and_b32 vcc_lo, exec_lo, s41
	s_cbranch_vccz .LBB39_348
; %bb.333:
	s_cmp_lt_i32 s26, 27
	s_mov_b32 s27, -1
	s_cbranch_scc1 .LBB39_339
; %bb.334:
	s_cmp_gt_i32 s26, 27
	s_cbranch_scc0 .LBB39_336
; %bb.335:
	s_wait_xcnt 0x0
	v_cndmask_b32_e64 v1, 0, 1, s0
	s_mov_b32 s27, 0
	global_store_b32 v[2:3], v1, off
.LBB39_336:
	s_and_not1_b32 vcc_lo, exec_lo, s27
	s_cbranch_vccnz .LBB39_338
; %bb.337:
	s_wait_xcnt 0x0
	v_cndmask_b32_e64 v1, 0, 1, s0
	global_store_b16 v[2:3], v1, off
.LBB39_338:
	s_mov_b32 s27, 0
.LBB39_339:
	s_delay_alu instid0(SALU_CYCLE_1)
	s_and_not1_b32 vcc_lo, exec_lo, s27
	s_cbranch_vccnz .LBB39_347
; %bb.340:
	s_wait_xcnt 0x0
	v_cndmask_b32_e64 v4, 0, 1.0, s0
	v_mov_b32_e32 v5, 0x80
	s_mov_b32 s27, exec_lo
	s_delay_alu instid0(VALU_DEP_2)
	v_cmpx_gt_u32_e32 0x43800000, v4
	s_cbranch_execz .LBB39_346
; %bb.341:
	s_mov_b32 s41, 0
	s_mov_b32 s42, exec_lo
                                        ; implicit-def: $vgpr1
	v_cmpx_lt_u32_e32 0x3bffffff, v4
	s_xor_b32 s42, exec_lo, s42
	s_cbranch_execz .LBB39_576
; %bb.342:
	v_bfe_u32 v1, v4, 20, 1
	s_mov_b32 s41, exec_lo
	s_delay_alu instid0(VALU_DEP_1) | instskip(NEXT) | instid1(VALU_DEP_1)
	v_add3_u32 v1, v4, v1, 0x487ffff
                                        ; implicit-def: $vgpr4
	v_lshrrev_b32_e32 v1, 20, v1
	s_and_not1_saveexec_b32 s42, s42
	s_cbranch_execnz .LBB39_577
.LBB39_343:
	s_or_b32 exec_lo, exec_lo, s42
	v_mov_b32_e32 v5, 0
	s_and_saveexec_b32 s42, s41
.LBB39_344:
	v_mov_b32_e32 v5, v1
.LBB39_345:
	s_or_b32 exec_lo, exec_lo, s42
.LBB39_346:
	s_delay_alu instid0(SALU_CYCLE_1)
	s_or_b32 exec_lo, exec_lo, s27
	global_store_b8 v[2:3], v5, off
.LBB39_347:
	s_mov_b32 s27, -1
.LBB39_348:
	s_mov_b32 s41, 0
.LBB39_349:
	s_delay_alu instid0(SALU_CYCLE_1)
	s_and_b32 vcc_lo, exec_lo, s41
	s_cbranch_vccz .LBB39_390
; %bb.350:
	s_cmp_gt_i32 s26, 22
	s_mov_b32 s41, -1
	s_cbranch_scc0 .LBB39_382
; %bb.351:
	s_cmp_lt_i32 s26, 24
	s_mov_b32 s27, -1
	s_cbranch_scc1 .LBB39_371
; %bb.352:
	s_cmp_gt_i32 s26, 24
	s_cbranch_scc0 .LBB39_360
; %bb.353:
	s_wait_xcnt 0x0
	v_cndmask_b32_e64 v4, 0, 1.0, s0
	v_mov_b32_e32 v5, 0x80
	s_mov_b32 s27, exec_lo
	s_delay_alu instid0(VALU_DEP_2)
	v_cmpx_gt_u32_e32 0x47800000, v4
	s_cbranch_execz .LBB39_359
; %bb.354:
	s_mov_b32 s41, 0
	s_mov_b32 s42, exec_lo
                                        ; implicit-def: $vgpr1
	v_cmpx_lt_u32_e32 0x37ffffff, v4
	s_xor_b32 s42, exec_lo, s42
	s_cbranch_execz .LBB39_579
; %bb.355:
	v_bfe_u32 v1, v4, 21, 1
	s_mov_b32 s41, exec_lo
	s_delay_alu instid0(VALU_DEP_1) | instskip(NEXT) | instid1(VALU_DEP_1)
	v_add3_u32 v1, v4, v1, 0x88fffff
                                        ; implicit-def: $vgpr4
	v_lshrrev_b32_e32 v1, 21, v1
	s_and_not1_saveexec_b32 s42, s42
	s_cbranch_execnz .LBB39_580
.LBB39_356:
	s_or_b32 exec_lo, exec_lo, s42
	v_mov_b32_e32 v5, 0
	s_and_saveexec_b32 s42, s41
.LBB39_357:
	v_mov_b32_e32 v5, v1
.LBB39_358:
	s_or_b32 exec_lo, exec_lo, s42
.LBB39_359:
	s_delay_alu instid0(SALU_CYCLE_1)
	s_or_b32 exec_lo, exec_lo, s27
	s_mov_b32 s27, 0
	global_store_b8 v[2:3], v5, off
.LBB39_360:
	s_and_b32 vcc_lo, exec_lo, s27
	s_cbranch_vccz .LBB39_370
; %bb.361:
	s_wait_xcnt 0x0
	v_cndmask_b32_e64 v4, 0, 1.0, s0
	s_mov_b32 s27, exec_lo
                                        ; implicit-def: $vgpr1
	s_delay_alu instid0(VALU_DEP_1)
	v_cmpx_gt_u32_e32 0x43f00000, v4
	s_xor_b32 s27, exec_lo, s27
	s_cbranch_execz .LBB39_367
; %bb.362:
	s_mov_b32 s41, exec_lo
                                        ; implicit-def: $vgpr1
	v_cmpx_lt_u32_e32 0x3c7fffff, v4
	s_xor_b32 s41, exec_lo, s41
; %bb.363:
	v_bfe_u32 v1, v4, 20, 1
	s_delay_alu instid0(VALU_DEP_1) | instskip(NEXT) | instid1(VALU_DEP_1)
	v_add3_u32 v1, v4, v1, 0x407ffff
	v_and_b32_e32 v4, 0xff00000, v1
	v_lshrrev_b32_e32 v1, 20, v1
	s_delay_alu instid0(VALU_DEP_2) | instskip(NEXT) | instid1(VALU_DEP_2)
	v_cmp_ne_u32_e32 vcc_lo, 0x7f00000, v4
                                        ; implicit-def: $vgpr4
	v_cndmask_b32_e32 v1, 0x7e, v1, vcc_lo
; %bb.364:
	s_and_not1_saveexec_b32 s41, s41
; %bb.365:
	v_add_f32_e32 v1, 0x46800000, v4
; %bb.366:
	s_or_b32 exec_lo, exec_lo, s41
                                        ; implicit-def: $vgpr4
.LBB39_367:
	s_and_not1_saveexec_b32 s27, s27
; %bb.368:
	v_mov_b32_e32 v1, 0x7f
	v_cmp_lt_u32_e32 vcc_lo, 0x7f800000, v4
	s_delay_alu instid0(VALU_DEP_2)
	v_cndmask_b32_e32 v1, 0x7e, v1, vcc_lo
; %bb.369:
	s_or_b32 exec_lo, exec_lo, s27
	global_store_b8 v[2:3], v1, off
.LBB39_370:
	s_mov_b32 s27, 0
.LBB39_371:
	s_delay_alu instid0(SALU_CYCLE_1)
	s_and_not1_b32 vcc_lo, exec_lo, s27
	s_cbranch_vccnz .LBB39_381
; %bb.372:
	s_wait_xcnt 0x0
	v_cndmask_b32_e64 v4, 0, 1.0, s0
	s_mov_b32 s27, exec_lo
                                        ; implicit-def: $vgpr1
	s_delay_alu instid0(VALU_DEP_1)
	v_cmpx_gt_u32_e32 0x47800000, v4
	s_xor_b32 s27, exec_lo, s27
	s_cbranch_execz .LBB39_378
; %bb.373:
	s_mov_b32 s41, exec_lo
                                        ; implicit-def: $vgpr1
	v_cmpx_lt_u32_e32 0x387fffff, v4
	s_xor_b32 s41, exec_lo, s41
; %bb.374:
	v_bfe_u32 v1, v4, 21, 1
	s_delay_alu instid0(VALU_DEP_1) | instskip(NEXT) | instid1(VALU_DEP_1)
	v_add3_u32 v1, v4, v1, 0x80fffff
                                        ; implicit-def: $vgpr4
	v_lshrrev_b32_e32 v1, 21, v1
; %bb.375:
	s_and_not1_saveexec_b32 s41, s41
; %bb.376:
	v_add_f32_e32 v1, 0x43000000, v4
; %bb.377:
	s_or_b32 exec_lo, exec_lo, s41
                                        ; implicit-def: $vgpr4
.LBB39_378:
	s_and_not1_saveexec_b32 s27, s27
; %bb.379:
	v_mov_b32_e32 v1, 0x7f
	v_cmp_lt_u32_e32 vcc_lo, 0x7f800000, v4
	s_delay_alu instid0(VALU_DEP_2)
	v_cndmask_b32_e32 v1, 0x7c, v1, vcc_lo
; %bb.380:
	s_or_b32 exec_lo, exec_lo, s27
	global_store_b8 v[2:3], v1, off
.LBB39_381:
	s_mov_b32 s41, 0
	s_mov_b32 s27, -1
.LBB39_382:
	s_and_not1_b32 vcc_lo, exec_lo, s41
	s_cbranch_vccnz .LBB39_390
; %bb.383:
	s_cmp_gt_i32 s26, 14
	s_mov_b32 s41, -1
	s_cbranch_scc0 .LBB39_387
; %bb.384:
	s_cmp_eq_u32 s26, 15
	s_mov_b32 s1, -1
	s_cbranch_scc0 .LBB39_386
; %bb.385:
	s_wait_xcnt 0x0
	v_cndmask_b32_e64 v1, 0, 1.0, s0
	s_mov_b32 s27, -1
	s_mov_b32 s1, 0
	s_delay_alu instid0(VALU_DEP_1) | instskip(NEXT) | instid1(VALU_DEP_1)
	v_bfe_u32 v4, v1, 16, 1
	v_add3_u32 v1, v1, v4, 0x7fff
	global_store_d16_hi_b16 v[2:3], v1, off
.LBB39_386:
	s_mov_b32 s41, 0
.LBB39_387:
	s_delay_alu instid0(SALU_CYCLE_1)
	s_and_b32 vcc_lo, exec_lo, s41
	s_cbranch_vccz .LBB39_390
; %bb.388:
	s_cmp_eq_u32 s26, 11
	s_mov_b32 s1, -1
	s_cbranch_scc0 .LBB39_390
; %bb.389:
	s_wait_xcnt 0x0
	v_cndmask_b32_e64 v1, 0, 1, s0
	s_mov_b32 s27, -1
	s_mov_b32 s1, 0
	global_store_b8 v[2:3], v1, off
.LBB39_390:
	s_mov_b32 s26, 0
.LBB39_391:
	s_delay_alu instid0(SALU_CYCLE_1)
	s_and_b32 vcc_lo, exec_lo, s26
	s_cbranch_vccz .LBB39_430
; %bb.392:
	s_and_b32 s25, 0xffff, s25
	s_mov_b32 s26, -1
	s_cmp_lt_i32 s25, 5
	s_cbranch_scc1 .LBB39_413
; %bb.393:
	s_cmp_lt_i32 s25, 8
	s_cbranch_scc1 .LBB39_403
; %bb.394:
	;; [unrolled: 3-line block ×3, first 2 shown]
	s_cmp_gt_i32 s25, 9
	s_cbranch_scc0 .LBB39_397
; %bb.396:
	s_wait_xcnt 0x0
	v_cndmask_b32_e64 v1, 0, 1, s0
	v_mov_b32_e32 v6, 0
	s_mov_b32 s26, 0
	s_delay_alu instid0(VALU_DEP_2) | instskip(NEXT) | instid1(VALU_DEP_2)
	v_cvt_f64_u32_e32 v[4:5], v1
	v_mov_b32_e32 v7, v6
	global_store_b128 v[2:3], v[4:7], off
.LBB39_397:
	s_and_not1_b32 vcc_lo, exec_lo, s26
	s_cbranch_vccnz .LBB39_399
; %bb.398:
	s_wait_xcnt 0x0
	v_cndmask_b32_e64 v4, 0, 1.0, s0
	v_mov_b32_e32 v5, 0
	global_store_b64 v[2:3], v[4:5], off
.LBB39_399:
	s_mov_b32 s26, 0
.LBB39_400:
	s_delay_alu instid0(SALU_CYCLE_1)
	s_and_not1_b32 vcc_lo, exec_lo, s26
	s_cbranch_vccnz .LBB39_402
; %bb.401:
	s_wait_xcnt 0x0
	v_cndmask_b32_e64 v1, 0, 1.0, s0
	s_delay_alu instid0(VALU_DEP_1) | instskip(NEXT) | instid1(VALU_DEP_1)
	v_cvt_f16_f32_e32 v1, v1
	v_and_b32_e32 v1, 0xffff, v1
	global_store_b32 v[2:3], v1, off
.LBB39_402:
	s_mov_b32 s26, 0
.LBB39_403:
	s_delay_alu instid0(SALU_CYCLE_1)
	s_and_not1_b32 vcc_lo, exec_lo, s26
	s_cbranch_vccnz .LBB39_412
; %bb.404:
	s_cmp_lt_i32 s25, 6
	s_mov_b32 s26, -1
	s_cbranch_scc1 .LBB39_410
; %bb.405:
	s_cmp_gt_i32 s25, 6
	s_cbranch_scc0 .LBB39_407
; %bb.406:
	s_wait_xcnt 0x0
	v_cndmask_b32_e64 v1, 0, 1, s0
	s_mov_b32 s26, 0
	s_delay_alu instid0(VALU_DEP_1)
	v_cvt_f64_u32_e32 v[4:5], v1
	global_store_b64 v[2:3], v[4:5], off
.LBB39_407:
	s_and_not1_b32 vcc_lo, exec_lo, s26
	s_cbranch_vccnz .LBB39_409
; %bb.408:
	s_wait_xcnt 0x0
	v_cndmask_b32_e64 v1, 0, 1.0, s0
	global_store_b32 v[2:3], v1, off
.LBB39_409:
	s_mov_b32 s26, 0
.LBB39_410:
	s_delay_alu instid0(SALU_CYCLE_1)
	s_and_not1_b32 vcc_lo, exec_lo, s26
	s_cbranch_vccnz .LBB39_412
; %bb.411:
	s_wait_xcnt 0x0
	v_cndmask_b32_e64 v1, 0, 1.0, s0
	s_delay_alu instid0(VALU_DEP_1)
	v_cvt_f16_f32_e32 v1, v1
	global_store_b16 v[2:3], v1, off
.LBB39_412:
	s_mov_b32 s26, 0
.LBB39_413:
	s_delay_alu instid0(SALU_CYCLE_1)
	s_and_not1_b32 vcc_lo, exec_lo, s26
	s_cbranch_vccnz .LBB39_429
; %bb.414:
	s_cmp_lt_i32 s25, 2
	s_mov_b32 s26, -1
	s_cbranch_scc1 .LBB39_424
; %bb.415:
	s_cmp_lt_i32 s25, 3
	s_cbranch_scc1 .LBB39_421
; %bb.416:
	s_cmp_gt_i32 s25, 3
	s_cbranch_scc0 .LBB39_418
; %bb.417:
	s_mov_b32 s26, 0
	s_wait_xcnt 0x0
	v_cndmask_b32_e64 v4, 0, 1, s0
	v_mov_b32_e32 v5, s26
	global_store_b64 v[2:3], v[4:5], off
.LBB39_418:
	s_and_not1_b32 vcc_lo, exec_lo, s26
	s_cbranch_vccnz .LBB39_420
; %bb.419:
	s_wait_xcnt 0x0
	v_cndmask_b32_e64 v1, 0, 1, s0
	global_store_b32 v[2:3], v1, off
.LBB39_420:
	s_mov_b32 s26, 0
.LBB39_421:
	s_delay_alu instid0(SALU_CYCLE_1)
	s_and_not1_b32 vcc_lo, exec_lo, s26
	s_cbranch_vccnz .LBB39_423
; %bb.422:
	s_wait_xcnt 0x0
	v_cndmask_b32_e64 v1, 0, 1, s0
	global_store_b16 v[2:3], v1, off
.LBB39_423:
	s_mov_b32 s26, 0
.LBB39_424:
	s_delay_alu instid0(SALU_CYCLE_1)
	s_and_not1_b32 vcc_lo, exec_lo, s26
	s_cbranch_vccnz .LBB39_429
; %bb.425:
	s_wait_xcnt 0x0
	v_cndmask_b32_e64 v1, 0, 1, s0
	s_cmp_gt_i32 s25, 0
	s_mov_b32 s0, -1
	s_cbranch_scc0 .LBB39_427
; %bb.426:
	s_mov_b32 s0, 0
	global_store_b8 v[2:3], v1, off
.LBB39_427:
	s_and_not1_b32 vcc_lo, exec_lo, s0
	s_cbranch_vccnz .LBB39_429
; %bb.428:
	global_store_b8 v[2:3], v1, off
.LBB39_429:
	s_mov_b32 s27, -1
.LBB39_430:
	s_delay_alu instid0(SALU_CYCLE_1)
	s_and_not1_b32 vcc_lo, exec_lo, s27
	s_cbranch_vccnz .LBB39_432
; %bb.431:
	v_add_nc_u32_e32 v0, 0x80, v0
	s_mov_b32 s0, -1
	s_branch .LBB39_545
.LBB39_432:
	s_mov_b32 s0, 0
	s_branch .LBB39_544
.LBB39_433:
	s_mov_b32 s24, -1
                                        ; implicit-def: $vgpr6_vgpr7
.LBB39_434:
	s_mov_b32 s25, 0
.LBB39_435:
	s_delay_alu instid0(SALU_CYCLE_1)
	s_and_b32 vcc_lo, exec_lo, s25
	s_cbranch_vccz .LBB39_439
; %bb.436:
	s_cmp_eq_u32 s0, 29
	s_cbranch_scc0 .LBB39_438
; %bb.437:
	s_wait_loadcnt 0x0
	global_load_b64 v[6:7], v[4:5], off
	s_mov_b32 s1, -1
	s_mov_b32 s24, 0
	s_mov_b32 s25, 0
	s_wait_loadcnt 0x0
	v_cvt_f64_u32_e32 v[8:9], v7
	v_cvt_f64_u32_e32 v[6:7], v6
	s_delay_alu instid0(VALU_DEP_2) | instskip(NEXT) | instid1(VALU_DEP_1)
	v_ldexp_f64 v[8:9], v[8:9], 32
	v_add_f64_e32 v[6:7], v[8:9], v[6:7]
	s_branch .LBB39_440
.LBB39_438:
	s_mov_b32 s24, -1
                                        ; implicit-def: $vgpr6_vgpr7
.LBB39_439:
	s_mov_b32 s25, 0
.LBB39_440:
	s_delay_alu instid0(SALU_CYCLE_1)
	s_and_b32 vcc_lo, exec_lo, s25
	s_cbranch_vccz .LBB39_458
; %bb.441:
	s_cmp_lt_i32 s0, 27
	s_cbranch_scc1 .LBB39_444
; %bb.442:
	s_cmp_gt_i32 s0, 27
	s_cbranch_scc0 .LBB39_445
; %bb.443:
	global_load_b32 v1, v[4:5], off
	s_mov_b32 s1, 0
	s_wait_loadcnt 0x0
	v_cvt_f64_u32_e32 v[6:7], v1
	s_branch .LBB39_446
.LBB39_444:
	s_mov_b32 s1, -1
                                        ; implicit-def: $vgpr6_vgpr7
	s_branch .LBB39_449
.LBB39_445:
	s_mov_b32 s1, -1
                                        ; implicit-def: $vgpr6_vgpr7
.LBB39_446:
	s_delay_alu instid0(SALU_CYCLE_1)
	s_and_not1_b32 vcc_lo, exec_lo, s1
	s_cbranch_vccnz .LBB39_448
; %bb.447:
	global_load_u16 v1, v[4:5], off
	s_wait_loadcnt 0x0
	v_cvt_f64_u32_e32 v[6:7], v1
.LBB39_448:
	s_mov_b32 s1, 0
.LBB39_449:
	s_delay_alu instid0(SALU_CYCLE_1)
	s_and_not1_b32 vcc_lo, exec_lo, s1
	s_cbranch_vccnz .LBB39_457
; %bb.450:
	global_load_u8 v1, v[4:5], off
	s_mov_b32 s1, 0
	s_mov_b32 s25, exec_lo
	s_wait_loadcnt 0x0
	v_cmpx_lt_i16_e32 0x7f, v1
	s_xor_b32 s25, exec_lo, s25
	s_cbranch_execz .LBB39_471
; %bb.451:
	s_mov_b32 s1, -1
	s_mov_b32 s26, exec_lo
	v_cmpx_eq_u16_e32 0x80, v1
; %bb.452:
	s_xor_b32 s1, exec_lo, -1
; %bb.453:
	s_or_b32 exec_lo, exec_lo, s26
	s_delay_alu instid0(SALU_CYCLE_1)
	s_and_b32 s1, s1, exec_lo
	s_or_saveexec_b32 s25, s25
	v_mov_b64_e32 v[6:7], 0x7ff8000020000000
	s_xor_b32 exec_lo, exec_lo, s25
	s_cbranch_execnz .LBB39_472
.LBB39_454:
	s_or_b32 exec_lo, exec_lo, s25
	s_and_saveexec_b32 s25, s1
	s_cbranch_execz .LBB39_456
.LBB39_455:
	v_and_b32_e32 v3, 0xffff, v1
	s_delay_alu instid0(VALU_DEP_1) | instskip(SKIP_1) | instid1(VALU_DEP_2)
	v_dual_lshlrev_b32 v1, 24, v1 :: v_dual_bitop2_b32 v6, 7, v3 bitop3:0x40
	v_bfe_u32 v9, v3, 3, 4
	v_and_b32_e32 v1, 0x80000000, v1
	s_delay_alu instid0(VALU_DEP_3) | instskip(NEXT) | instid1(VALU_DEP_3)
	v_clz_i32_u32_e32 v7, v6
	v_cmp_eq_u32_e32 vcc_lo, 0, v9
	s_delay_alu instid0(VALU_DEP_2) | instskip(NEXT) | instid1(VALU_DEP_1)
	v_min_u32_e32 v7, 32, v7
	v_subrev_nc_u32_e32 v8, 28, v7
	v_sub_nc_u32_e32 v7, 29, v7
	s_delay_alu instid0(VALU_DEP_2) | instskip(NEXT) | instid1(VALU_DEP_2)
	v_lshlrev_b32_e32 v3, v8, v3
	v_cndmask_b32_e32 v7, v9, v7, vcc_lo
	s_delay_alu instid0(VALU_DEP_2) | instskip(NEXT) | instid1(VALU_DEP_1)
	v_and_b32_e32 v3, 7, v3
	v_cndmask_b32_e32 v3, v6, v3, vcc_lo
	s_delay_alu instid0(VALU_DEP_3) | instskip(NEXT) | instid1(VALU_DEP_2)
	v_lshl_add_u32 v6, v7, 23, 0x3b800000
	v_lshlrev_b32_e32 v3, 20, v3
	s_delay_alu instid0(VALU_DEP_1) | instskip(NEXT) | instid1(VALU_DEP_1)
	v_or3_b32 v1, v1, v6, v3
	v_cvt_f64_f32_e32 v[6:7], v1
.LBB39_456:
	s_or_b32 exec_lo, exec_lo, s25
.LBB39_457:
	s_mov_b32 s1, -1
.LBB39_458:
	s_mov_b32 s25, 0
.LBB39_459:
	s_delay_alu instid0(SALU_CYCLE_1)
	s_and_b32 vcc_lo, exec_lo, s25
	s_cbranch_vccz .LBB39_494
; %bb.460:
	s_cmp_gt_i32 s0, 22
	s_cbranch_scc0 .LBB39_470
; %bb.461:
	s_cmp_lt_i32 s0, 24
	s_cbranch_scc1 .LBB39_473
; %bb.462:
	s_cmp_gt_i32 s0, 24
	s_cbranch_scc0 .LBB39_474
; %bb.463:
	global_load_u8 v1, v[4:5], off
	s_mov_b32 s1, 0
	s_mov_b32 s25, exec_lo
	s_wait_loadcnt 0x0
	v_cmpx_lt_i16_e32 0x7f, v1
	s_xor_b32 s25, exec_lo, s25
	s_cbranch_execz .LBB39_486
; %bb.464:
	s_mov_b32 s1, -1
	s_mov_b32 s26, exec_lo
	v_cmpx_eq_u16_e32 0x80, v1
; %bb.465:
	s_xor_b32 s1, exec_lo, -1
; %bb.466:
	s_or_b32 exec_lo, exec_lo, s26
	s_delay_alu instid0(SALU_CYCLE_1)
	s_and_b32 s1, s1, exec_lo
	s_or_saveexec_b32 s25, s25
	v_mov_b64_e32 v[6:7], 0x7ff8000020000000
	s_xor_b32 exec_lo, exec_lo, s25
	s_cbranch_execnz .LBB39_487
.LBB39_467:
	s_or_b32 exec_lo, exec_lo, s25
	s_and_saveexec_b32 s25, s1
	s_cbranch_execz .LBB39_469
.LBB39_468:
	v_and_b32_e32 v3, 0xffff, v1
	s_delay_alu instid0(VALU_DEP_1) | instskip(SKIP_1) | instid1(VALU_DEP_2)
	v_dual_lshlrev_b32 v1, 24, v1 :: v_dual_bitop2_b32 v6, 3, v3 bitop3:0x40
	v_bfe_u32 v9, v3, 2, 5
	v_and_b32_e32 v1, 0x80000000, v1
	s_delay_alu instid0(VALU_DEP_3) | instskip(NEXT) | instid1(VALU_DEP_3)
	v_clz_i32_u32_e32 v7, v6
	v_cmp_eq_u32_e32 vcc_lo, 0, v9
	s_delay_alu instid0(VALU_DEP_2) | instskip(NEXT) | instid1(VALU_DEP_1)
	v_min_u32_e32 v7, 32, v7
	v_subrev_nc_u32_e32 v8, 29, v7
	v_sub_nc_u32_e32 v7, 30, v7
	s_delay_alu instid0(VALU_DEP_2) | instskip(NEXT) | instid1(VALU_DEP_2)
	v_lshlrev_b32_e32 v3, v8, v3
	v_cndmask_b32_e32 v7, v9, v7, vcc_lo
	s_delay_alu instid0(VALU_DEP_2) | instskip(NEXT) | instid1(VALU_DEP_1)
	v_and_b32_e32 v3, 3, v3
	v_cndmask_b32_e32 v3, v6, v3, vcc_lo
	s_delay_alu instid0(VALU_DEP_3) | instskip(NEXT) | instid1(VALU_DEP_2)
	v_lshl_add_u32 v6, v7, 23, 0x37800000
	v_lshlrev_b32_e32 v3, 21, v3
	s_delay_alu instid0(VALU_DEP_1) | instskip(NEXT) | instid1(VALU_DEP_1)
	v_or3_b32 v1, v1, v6, v3
	v_cvt_f64_f32_e32 v[6:7], v1
.LBB39_469:
	s_or_b32 exec_lo, exec_lo, s25
	s_mov_b32 s1, 0
	s_branch .LBB39_475
.LBB39_470:
	s_mov_b32 s25, -1
                                        ; implicit-def: $vgpr6_vgpr7
	s_branch .LBB39_481
.LBB39_471:
	s_or_saveexec_b32 s25, s25
	v_mov_b64_e32 v[6:7], 0x7ff8000020000000
	s_xor_b32 exec_lo, exec_lo, s25
	s_cbranch_execz .LBB39_454
.LBB39_472:
	v_cmp_ne_u16_e32 vcc_lo, 0, v1
	v_mov_b64_e32 v[6:7], 0
	s_and_not1_b32 s1, s1, exec_lo
	s_and_b32 s26, vcc_lo, exec_lo
	s_delay_alu instid0(SALU_CYCLE_1)
	s_or_b32 s1, s1, s26
	s_or_b32 exec_lo, exec_lo, s25
	s_and_saveexec_b32 s25, s1
	s_cbranch_execnz .LBB39_455
	s_branch .LBB39_456
.LBB39_473:
	s_mov_b32 s1, -1
                                        ; implicit-def: $vgpr6_vgpr7
	s_branch .LBB39_478
.LBB39_474:
	s_mov_b32 s1, -1
                                        ; implicit-def: $vgpr6_vgpr7
.LBB39_475:
	s_delay_alu instid0(SALU_CYCLE_1)
	s_and_b32 vcc_lo, exec_lo, s1
	s_cbranch_vccz .LBB39_477
; %bb.476:
	global_load_u8 v1, v[4:5], off
	s_wait_loadcnt 0x0
	v_lshlrev_b32_e32 v1, 24, v1
	s_delay_alu instid0(VALU_DEP_1) | instskip(NEXT) | instid1(VALU_DEP_1)
	v_and_b32_e32 v3, 0x7f000000, v1
	v_clz_i32_u32_e32 v6, v3
	v_cmp_ne_u32_e32 vcc_lo, 0, v3
	v_add_nc_u32_e32 v8, 0x1000000, v3
	s_delay_alu instid0(VALU_DEP_3) | instskip(NEXT) | instid1(VALU_DEP_1)
	v_min_u32_e32 v6, 32, v6
	v_sub_nc_u32_e64 v6, v6, 4 clamp
	s_delay_alu instid0(VALU_DEP_1) | instskip(NEXT) | instid1(VALU_DEP_1)
	v_dual_lshlrev_b32 v7, v6, v3 :: v_dual_lshlrev_b32 v6, 23, v6
	v_lshrrev_b32_e32 v7, 4, v7
	s_delay_alu instid0(VALU_DEP_1) | instskip(NEXT) | instid1(VALU_DEP_1)
	v_dual_sub_nc_u32 v6, v7, v6 :: v_dual_ashrrev_i32 v7, 8, v8
	v_add_nc_u32_e32 v6, 0x3c000000, v6
	s_delay_alu instid0(VALU_DEP_1) | instskip(NEXT) | instid1(VALU_DEP_1)
	v_and_or_b32 v6, 0x7f800000, v7, v6
	v_cndmask_b32_e32 v3, 0, v6, vcc_lo
	s_delay_alu instid0(VALU_DEP_1) | instskip(NEXT) | instid1(VALU_DEP_1)
	v_and_or_b32 v1, 0x80000000, v1, v3
	v_cvt_f64_f32_e32 v[6:7], v1
.LBB39_477:
	s_mov_b32 s1, 0
.LBB39_478:
	s_delay_alu instid0(SALU_CYCLE_1)
	s_and_not1_b32 vcc_lo, exec_lo, s1
	s_cbranch_vccnz .LBB39_480
; %bb.479:
	global_load_u8 v1, v[4:5], off
	s_wait_loadcnt 0x0
	v_lshlrev_b32_e32 v3, 25, v1
	v_lshlrev_b16 v1, 8, v1
	s_delay_alu instid0(VALU_DEP_1) | instskip(SKIP_1) | instid1(VALU_DEP_2)
	v_and_or_b32 v7, 0x7f00, v1, 0.5
	v_bfe_i32 v1, v1, 0, 16
	v_add_f32_e32 v7, -0.5, v7
	v_lshrrev_b32_e32 v6, 4, v3
	v_cmp_gt_u32_e32 vcc_lo, 0x8000000, v3
	s_delay_alu instid0(VALU_DEP_2) | instskip(NEXT) | instid1(VALU_DEP_1)
	v_or_b32_e32 v6, 0x70000000, v6
	v_mul_f32_e32 v6, 0x7800000, v6
	s_delay_alu instid0(VALU_DEP_1) | instskip(NEXT) | instid1(VALU_DEP_1)
	v_cndmask_b32_e32 v3, v6, v7, vcc_lo
	v_and_or_b32 v1, 0x80000000, v1, v3
	s_delay_alu instid0(VALU_DEP_1)
	v_cvt_f64_f32_e32 v[6:7], v1
.LBB39_480:
	s_mov_b32 s25, 0
	s_mov_b32 s1, -1
.LBB39_481:
	s_and_not1_b32 vcc_lo, exec_lo, s25
	s_cbranch_vccnz .LBB39_494
; %bb.482:
	s_cmp_gt_i32 s0, 14
	s_cbranch_scc0 .LBB39_485
; %bb.483:
	s_cmp_eq_u32 s0, 15
	s_cbranch_scc0 .LBB39_488
; %bb.484:
	global_load_u16 v1, v[4:5], off
	s_mov_b32 s1, -1
	s_mov_b32 s24, 0
	s_wait_loadcnt 0x0
	v_lshlrev_b32_e32 v1, 16, v1
	s_delay_alu instid0(VALU_DEP_1)
	v_cvt_f64_f32_e32 v[6:7], v1
	s_branch .LBB39_489
.LBB39_485:
	s_mov_b32 s25, -1
                                        ; implicit-def: $vgpr6_vgpr7
	s_branch .LBB39_490
.LBB39_486:
	s_or_saveexec_b32 s25, s25
	v_mov_b64_e32 v[6:7], 0x7ff8000020000000
	s_xor_b32 exec_lo, exec_lo, s25
	s_cbranch_execz .LBB39_467
.LBB39_487:
	v_cmp_ne_u16_e32 vcc_lo, 0, v1
	v_mov_b64_e32 v[6:7], 0
	s_and_not1_b32 s1, s1, exec_lo
	s_and_b32 s26, vcc_lo, exec_lo
	s_delay_alu instid0(SALU_CYCLE_1)
	s_or_b32 s1, s1, s26
	s_or_b32 exec_lo, exec_lo, s25
	s_and_saveexec_b32 s25, s1
	s_cbranch_execnz .LBB39_468
	s_branch .LBB39_469
.LBB39_488:
	s_mov_b32 s24, -1
                                        ; implicit-def: $vgpr6_vgpr7
.LBB39_489:
	s_mov_b32 s25, 0
.LBB39_490:
	s_delay_alu instid0(SALU_CYCLE_1)
	s_and_b32 vcc_lo, exec_lo, s25
	s_cbranch_vccz .LBB39_494
; %bb.491:
	s_cmp_eq_u32 s0, 11
	s_cbranch_scc0 .LBB39_493
; %bb.492:
	global_load_u8 v1, v[4:5], off
	s_wait_loadcnt 0x1
	v_mov_b32_e32 v6, 0
	s_mov_b32 s24, 0
	s_mov_b32 s1, -1
	s_wait_loadcnt 0x0
	v_cmp_ne_u16_e32 vcc_lo, 0, v1
	v_cndmask_b32_e64 v7, 0, 0x3ff00000, vcc_lo
	s_branch .LBB39_494
.LBB39_493:
	s_mov_b32 s24, -1
                                        ; implicit-def: $vgpr6_vgpr7
.LBB39_494:
	s_branch .LBB39_296
.LBB39_495:
	s_cmp_lt_i32 s0, 5
	s_cbranch_scc1 .LBB39_500
; %bb.496:
	s_cmp_lt_i32 s0, 8
	s_cbranch_scc1 .LBB39_501
; %bb.497:
	;; [unrolled: 3-line block ×3, first 2 shown]
	s_cmp_gt_i32 s0, 9
	s_cbranch_scc0 .LBB39_503
; %bb.499:
	s_wait_loadcnt 0x0
	global_load_b64 v[6:7], v[4:5], off
	s_mov_b32 s1, 0
	s_branch .LBB39_504
.LBB39_500:
	s_mov_b32 s1, -1
                                        ; implicit-def: $vgpr6_vgpr7
	s_branch .LBB39_522
.LBB39_501:
	s_mov_b32 s1, -1
                                        ; implicit-def: $vgpr6_vgpr7
	s_branch .LBB39_510
.LBB39_502:
	s_mov_b32 s1, -1
                                        ; implicit-def: $vgpr6_vgpr7
	s_branch .LBB39_507
.LBB39_503:
	s_mov_b32 s1, -1
                                        ; implicit-def: $vgpr6_vgpr7
.LBB39_504:
	s_delay_alu instid0(SALU_CYCLE_1)
	s_and_not1_b32 vcc_lo, exec_lo, s1
	s_cbranch_vccnz .LBB39_506
; %bb.505:
	global_load_b32 v1, v[4:5], off
	s_wait_loadcnt 0x0
	v_cvt_f64_f32_e32 v[6:7], v1
.LBB39_506:
	s_mov_b32 s1, 0
.LBB39_507:
	s_delay_alu instid0(SALU_CYCLE_1)
	s_and_not1_b32 vcc_lo, exec_lo, s1
	s_cbranch_vccnz .LBB39_509
; %bb.508:
	global_load_b32 v1, v[4:5], off
	s_wait_loadcnt 0x0
	v_cvt_f32_f16_e32 v1, v1
	s_delay_alu instid0(VALU_DEP_1)
	v_cvt_f64_f32_e32 v[6:7], v1
.LBB39_509:
	s_mov_b32 s1, 0
.LBB39_510:
	s_delay_alu instid0(SALU_CYCLE_1)
	s_and_not1_b32 vcc_lo, exec_lo, s1
	s_cbranch_vccnz .LBB39_521
; %bb.511:
	s_cmp_lt_i32 s0, 6
	s_cbranch_scc1 .LBB39_514
; %bb.512:
	s_cmp_gt_i32 s0, 6
	s_cbranch_scc0 .LBB39_515
; %bb.513:
	s_wait_loadcnt 0x0
	global_load_b64 v[6:7], v[4:5], off
	s_mov_b32 s1, 0
	s_branch .LBB39_516
.LBB39_514:
	s_mov_b32 s1, -1
                                        ; implicit-def: $vgpr6_vgpr7
	s_branch .LBB39_519
.LBB39_515:
	s_mov_b32 s1, -1
                                        ; implicit-def: $vgpr6_vgpr7
.LBB39_516:
	s_delay_alu instid0(SALU_CYCLE_1)
	s_and_not1_b32 vcc_lo, exec_lo, s1
	s_cbranch_vccnz .LBB39_518
; %bb.517:
	global_load_b32 v1, v[4:5], off
	s_wait_loadcnt 0x0
	v_cvt_f64_f32_e32 v[6:7], v1
.LBB39_518:
	s_mov_b32 s1, 0
.LBB39_519:
	s_delay_alu instid0(SALU_CYCLE_1)
	s_and_not1_b32 vcc_lo, exec_lo, s1
	s_cbranch_vccnz .LBB39_521
; %bb.520:
	global_load_u16 v1, v[4:5], off
	s_wait_loadcnt 0x0
	v_cvt_f32_f16_e32 v1, v1
	s_delay_alu instid0(VALU_DEP_1)
	v_cvt_f64_f32_e32 v[6:7], v1
.LBB39_521:
	s_mov_b32 s1, 0
.LBB39_522:
	s_delay_alu instid0(SALU_CYCLE_1)
	s_and_not1_b32 vcc_lo, exec_lo, s1
	s_cbranch_vccnz .LBB39_542
; %bb.523:
	s_cmp_lt_i32 s0, 2
	s_cbranch_scc1 .LBB39_527
; %bb.524:
	s_cmp_lt_i32 s0, 3
	s_cbranch_scc1 .LBB39_528
; %bb.525:
	s_cmp_gt_i32 s0, 3
	s_cbranch_scc0 .LBB39_529
; %bb.526:
	s_wait_loadcnt 0x0
	global_load_b64 v[6:7], v[4:5], off
	s_mov_b32 s1, 0
	s_wait_loadcnt 0x0
	v_cvt_f64_i32_e32 v[8:9], v7
	v_cvt_f64_u32_e32 v[6:7], v6
	s_delay_alu instid0(VALU_DEP_2) | instskip(NEXT) | instid1(VALU_DEP_1)
	v_ldexp_f64 v[8:9], v[8:9], 32
	v_add_f64_e32 v[6:7], v[8:9], v[6:7]
	s_branch .LBB39_530
.LBB39_527:
	s_mov_b32 s1, -1
                                        ; implicit-def: $vgpr6_vgpr7
	s_branch .LBB39_536
.LBB39_528:
	s_mov_b32 s1, -1
                                        ; implicit-def: $vgpr6_vgpr7
	s_branch .LBB39_533
.LBB39_529:
	s_mov_b32 s1, -1
                                        ; implicit-def: $vgpr6_vgpr7
.LBB39_530:
	s_delay_alu instid0(SALU_CYCLE_1)
	s_and_not1_b32 vcc_lo, exec_lo, s1
	s_cbranch_vccnz .LBB39_532
; %bb.531:
	global_load_b32 v1, v[4:5], off
	s_wait_loadcnt 0x0
	v_cvt_f64_i32_e32 v[6:7], v1
.LBB39_532:
	s_mov_b32 s1, 0
.LBB39_533:
	s_delay_alu instid0(SALU_CYCLE_1)
	s_and_not1_b32 vcc_lo, exec_lo, s1
	s_cbranch_vccnz .LBB39_535
; %bb.534:
	global_load_i16 v1, v[4:5], off
	s_wait_loadcnt 0x0
	v_cvt_f64_i32_e32 v[6:7], v1
.LBB39_535:
	s_mov_b32 s1, 0
.LBB39_536:
	s_delay_alu instid0(SALU_CYCLE_1)
	s_and_not1_b32 vcc_lo, exec_lo, s1
	s_cbranch_vccnz .LBB39_542
; %bb.537:
	s_cmp_gt_i32 s0, 0
	s_mov_b32 s0, 0
	s_cbranch_scc0 .LBB39_539
; %bb.538:
	global_load_i8 v1, v[4:5], off
	s_wait_loadcnt 0x0
	v_cvt_f64_i32_e32 v[6:7], v1
	s_branch .LBB39_540
.LBB39_539:
	s_mov_b32 s0, -1
                                        ; implicit-def: $vgpr6_vgpr7
.LBB39_540:
	s_delay_alu instid0(SALU_CYCLE_1)
	s_and_not1_b32 vcc_lo, exec_lo, s0
	s_cbranch_vccnz .LBB39_542
; %bb.541:
	global_load_u8 v1, v[4:5], off
	s_wait_loadcnt 0x0
	v_cvt_f64_u32_e32 v[6:7], v1
.LBB39_542:
	s_branch .LBB39_297
.LBB39_543:
	s_mov_b32 s0, 0
	s_mov_b32 s1, s18
.LBB39_544:
                                        ; implicit-def: $vgpr0
.LBB39_545:
	s_and_not1_b32 s25, s18, exec_lo
	s_and_b32 s1, s1, exec_lo
	s_and_not1_b32 s26, s39, exec_lo
	s_and_b32 s24, s24, exec_lo
	s_or_b32 s42, s25, s1
	s_or_b32 s41, s26, s24
	s_or_not1_b32 s0, s0, exec_lo
.LBB39_546:
	s_wait_xcnt 0x0
	s_or_b32 exec_lo, exec_lo, s43
	s_mov_b32 s1, 0
	s_mov_b32 s24, 0
	;; [unrolled: 1-line block ×3, first 2 shown]
                                        ; implicit-def: $vgpr4_vgpr5
                                        ; implicit-def: $vgpr2
                                        ; implicit-def: $vgpr6_vgpr7
	s_and_saveexec_b32 s43, s0
	s_cbranch_execz .LBB39_927
; %bb.547:
	s_mov_b32 s25, -1
	s_mov_b32 s26, s41
	s_mov_b32 s27, s42
	s_mov_b32 s44, exec_lo
	v_cmpx_gt_i32_e64 s36, v0
	s_cbranch_execz .LBB39_824
; %bb.548:
	s_and_not1_b32 vcc_lo, exec_lo, s31
	s_cbranch_vccnz .LBB39_554
; %bb.549:
	s_and_not1_b32 vcc_lo, exec_lo, s38
	s_cbranch_vccnz .LBB39_555
; %bb.550:
	s_add_co_i32 s1, s37, 1
	s_cmp_eq_u32 s29, 2
	s_cbranch_scc1 .LBB39_556
; %bb.551:
	v_dual_mov_b32 v2, 0 :: v_dual_mov_b32 v4, 0
	v_mov_b32_e32 v1, v0
	s_and_b32 s0, s1, 28
	s_mov_b32 s45, 0
	s_mov_b64 s[24:25], s[2:3]
	s_mov_b64 s[26:27], s[22:23]
.LBB39_552:                             ; =>This Inner Loop Header: Depth=1
	s_clause 0x1
	s_load_b256 s[48:55], s[24:25], 0x4
	s_load_b128 s[64:67], s[24:25], 0x24
	s_load_b256 s[56:63], s[26:27], 0x0
	s_add_co_i32 s45, s45, 4
	s_wait_xcnt 0x0
	s_add_nc_u64 s[24:25], s[24:25], 48
	s_cmp_eq_u32 s0, s45
	s_add_nc_u64 s[26:27], s[26:27], 32
	s_wait_kmcnt 0x0
	v_mul_hi_u32 v3, s49, v1
	s_delay_alu instid0(VALU_DEP_1) | instskip(NEXT) | instid1(VALU_DEP_1)
	v_add_nc_u32_e32 v3, v1, v3
	v_lshrrev_b32_e32 v3, s50, v3
	s_delay_alu instid0(VALU_DEP_1) | instskip(NEXT) | instid1(VALU_DEP_1)
	v_mul_hi_u32 v5, s52, v3
	v_add_nc_u32_e32 v5, v3, v5
	s_delay_alu instid0(VALU_DEP_1) | instskip(SKIP_1) | instid1(VALU_DEP_1)
	v_lshrrev_b32_e32 v5, s53, v5
	s_wait_loadcnt 0x0
	v_mul_hi_u32 v6, s55, v5
	s_delay_alu instid0(VALU_DEP_1) | instskip(SKIP_1) | instid1(VALU_DEP_1)
	v_add_nc_u32_e32 v6, v5, v6
	v_mul_lo_u32 v7, v3, s48
	v_sub_nc_u32_e32 v1, v1, v7
	v_mul_lo_u32 v7, v5, s51
	s_delay_alu instid0(VALU_DEP_4) | instskip(NEXT) | instid1(VALU_DEP_3)
	v_lshrrev_b32_e32 v6, s64, v6
	v_mad_u32 v4, v1, s57, v4
	v_mad_u32 v1, v1, s56, v2
	s_delay_alu instid0(VALU_DEP_4) | instskip(NEXT) | instid1(VALU_DEP_4)
	v_sub_nc_u32_e32 v2, v3, v7
	v_mul_hi_u32 v8, s66, v6
	v_mul_lo_u32 v3, v6, s54
	s_delay_alu instid0(VALU_DEP_3) | instskip(SKIP_1) | instid1(VALU_DEP_3)
	v_mad_u32 v4, v2, s59, v4
	v_mad_u32 v2, v2, s58, v1
	v_dual_add_nc_u32 v7, v6, v8 :: v_dual_sub_nc_u32 v3, v5, v3
	s_delay_alu instid0(VALU_DEP_1) | instskip(NEXT) | instid1(VALU_DEP_2)
	v_lshrrev_b32_e32 v1, s67, v7
	v_mad_u32 v4, v3, s61, v4
	s_delay_alu instid0(VALU_DEP_4) | instskip(NEXT) | instid1(VALU_DEP_3)
	v_mad_u32 v2, v3, s60, v2
	v_mul_lo_u32 v5, v1, s65
	s_delay_alu instid0(VALU_DEP_1) | instskip(NEXT) | instid1(VALU_DEP_1)
	v_sub_nc_u32_e32 v3, v6, v5
	v_mad_u32 v4, v3, s63, v4
	s_delay_alu instid0(VALU_DEP_4)
	v_mad_u32 v2, v3, s62, v2
	s_cbranch_scc0 .LBB39_552
; %bb.553:
	s_delay_alu instid0(VALU_DEP_2)
	v_mov_b32_e32 v3, v4
	s_branch .LBB39_557
.LBB39_554:
	s_mov_b32 s0, -1
                                        ; implicit-def: $vgpr4
                                        ; implicit-def: $vgpr2
	s_branch .LBB39_562
.LBB39_555:
	v_dual_mov_b32 v4, 0 :: v_dual_mov_b32 v2, 0
	s_branch .LBB39_561
.LBB39_556:
	v_mov_b64_e32 v[2:3], 0
	v_mov_b32_e32 v1, v0
	s_mov_b32 s0, 0
                                        ; implicit-def: $vgpr4
.LBB39_557:
	s_and_b32 s26, s1, 3
	s_mov_b32 s1, 0
	s_cmp_eq_u32 s26, 0
	s_cbranch_scc1 .LBB39_561
; %bb.558:
	s_lshl_b32 s24, s0, 3
	s_mov_b32 s25, s1
	s_mul_u64 s[46:47], s[0:1], 12
	s_add_nc_u64 s[24:25], s[2:3], s[24:25]
	s_delay_alu instid0(SALU_CYCLE_1)
	s_add_nc_u64 s[0:1], s[24:25], 0xc4
	s_add_nc_u64 s[24:25], s[2:3], s[46:47]
.LBB39_559:                             ; =>This Inner Loop Header: Depth=1
	s_load_b96 s[48:50], s[24:25], 0x4
	s_load_b64 s[46:47], s[0:1], 0x0
	s_add_co_i32 s26, s26, -1
	s_wait_xcnt 0x0
	s_add_nc_u64 s[24:25], s[24:25], 12
	s_cmp_lg_u32 s26, 0
	s_add_nc_u64 s[0:1], s[0:1], 8
	s_wait_kmcnt 0x0
	v_mul_hi_u32 v4, s49, v1
	s_delay_alu instid0(VALU_DEP_1) | instskip(NEXT) | instid1(VALU_DEP_1)
	v_add_nc_u32_e32 v4, v1, v4
	v_lshrrev_b32_e32 v4, s50, v4
	s_delay_alu instid0(VALU_DEP_1) | instskip(NEXT) | instid1(VALU_DEP_1)
	v_mul_lo_u32 v5, v4, s48
	v_sub_nc_u32_e32 v1, v1, v5
	s_delay_alu instid0(VALU_DEP_1)
	v_mad_u32 v3, v1, s47, v3
	v_mad_u32 v2, v1, s46, v2
	v_mov_b32_e32 v1, v4
	s_cbranch_scc1 .LBB39_559
; %bb.560:
	s_delay_alu instid0(VALU_DEP_3)
	v_mov_b32_e32 v4, v3
.LBB39_561:
	s_mov_b32 s0, 0
.LBB39_562:
	s_delay_alu instid0(SALU_CYCLE_1)
	s_and_not1_b32 vcc_lo, exec_lo, s0
	s_cbranch_vccnz .LBB39_565
; %bb.563:
	v_mov_b32_e32 v1, 0
	s_and_not1_b32 vcc_lo, exec_lo, s35
	s_delay_alu instid0(VALU_DEP_1) | instskip(NEXT) | instid1(VALU_DEP_1)
	v_mul_u64_e32 v[2:3], s[16:17], v[0:1]
	v_add_nc_u32_e32 v2, v0, v3
	s_wait_loadcnt 0x0
	s_delay_alu instid0(VALU_DEP_1) | instskip(NEXT) | instid1(VALU_DEP_1)
	v_lshrrev_b32_e32 v6, s14, v2
	v_mul_lo_u32 v2, v6, s12
	s_delay_alu instid0(VALU_DEP_1) | instskip(NEXT) | instid1(VALU_DEP_1)
	v_sub_nc_u32_e32 v2, v0, v2
	v_mul_lo_u32 v4, v2, s9
	v_mul_lo_u32 v2, v2, s8
	s_cbranch_vccnz .LBB39_565
; %bb.564:
	v_mov_b32_e32 v7, v1
	s_delay_alu instid0(VALU_DEP_1) | instskip(NEXT) | instid1(VALU_DEP_1)
	v_mul_u64_e32 v[8:9], s[20:21], v[6:7]
	v_add_nc_u32_e32 v1, v6, v9
	s_delay_alu instid0(VALU_DEP_1) | instskip(NEXT) | instid1(VALU_DEP_1)
	v_lshrrev_b32_e32 v1, s19, v1
	v_mul_lo_u32 v1, v1, s15
	s_delay_alu instid0(VALU_DEP_1) | instskip(NEXT) | instid1(VALU_DEP_1)
	v_sub_nc_u32_e32 v1, v6, v1
	v_mad_u32 v2, v1, s10, v2
	v_mad_u32 v4, v1, s11, v4
.LBB39_565:
	v_mov_b32_e32 v5, 0
	s_and_b32 s0, 0xffff, s13
	s_delay_alu instid0(SALU_CYCLE_1) | instskip(NEXT) | instid1(VALU_DEP_1)
	s_cmp_lt_i32 s0, 11
	v_add_nc_u64_e32 v[4:5], s[6:7], v[4:5]
	s_cbranch_scc1 .LBB39_572
; %bb.566:
	s_cmp_gt_i32 s0, 25
	s_cbranch_scc0 .LBB39_573
; %bb.567:
	s_cmp_gt_i32 s0, 28
	s_cbranch_scc0 .LBB39_574
	;; [unrolled: 3-line block ×4, first 2 shown]
; %bb.570:
	s_cmp_eq_u32 s0, 46
	s_mov_b32 s25, 0
	s_cbranch_scc0 .LBB39_581
; %bb.571:
	global_load_b32 v1, v[4:5], off
	s_mov_b32 s1, -1
	s_mov_b32 s24, 0
	s_wait_loadcnt 0x0
	v_lshlrev_b32_e32 v1, 16, v1
	s_delay_alu instid0(VALU_DEP_1)
	v_cvt_f64_f32_e32 v[6:7], v1
	s_branch .LBB39_583
.LBB39_572:
	s_mov_b32 s25, -1
	s_mov_b32 s1, 0
	s_mov_b32 s24, s41
                                        ; implicit-def: $vgpr6_vgpr7
	s_branch .LBB39_648
.LBB39_573:
	s_mov_b32 s25, -1
	s_mov_b32 s1, 0
	s_mov_b32 s24, s41
                                        ; implicit-def: $vgpr6_vgpr7
	s_branch .LBB39_612
.LBB39_574:
	s_mov_b32 s25, -1
	s_mov_b32 s1, 0
	s_mov_b32 s24, s41
                                        ; implicit-def: $vgpr6_vgpr7
	s_branch .LBB39_593
.LBB39_575:
	s_mov_b32 s25, -1
	s_mov_b32 s1, 0
	s_mov_b32 s24, s41
                                        ; implicit-def: $vgpr6_vgpr7
	s_branch .LBB39_588
.LBB39_576:
	s_and_not1_saveexec_b32 s42, s42
	s_cbranch_execz .LBB39_343
.LBB39_577:
	v_add_f32_e32 v1, 0x46000000, v4
	s_and_not1_b32 s41, s41, exec_lo
	s_delay_alu instid0(VALU_DEP_1) | instskip(NEXT) | instid1(VALU_DEP_1)
	v_and_b32_e32 v1, 0xff, v1
	v_cmp_ne_u32_e32 vcc_lo, 0, v1
	s_and_b32 s44, vcc_lo, exec_lo
	s_delay_alu instid0(SALU_CYCLE_1)
	s_or_b32 s41, s41, s44
	s_or_b32 exec_lo, exec_lo, s42
	v_mov_b32_e32 v5, 0
	s_and_saveexec_b32 s42, s41
	s_cbranch_execnz .LBB39_344
	s_branch .LBB39_345
.LBB39_578:
	s_mov_b32 s25, -1
	s_mov_b32 s1, 0
	s_mov_b32 s24, s41
	s_branch .LBB39_582
.LBB39_579:
	s_and_not1_saveexec_b32 s42, s42
	s_cbranch_execz .LBB39_356
.LBB39_580:
	v_add_f32_e32 v1, 0x42800000, v4
	s_and_not1_b32 s41, s41, exec_lo
	s_delay_alu instid0(VALU_DEP_1) | instskip(NEXT) | instid1(VALU_DEP_1)
	v_and_b32_e32 v1, 0xff, v1
	v_cmp_ne_u32_e32 vcc_lo, 0, v1
	s_and_b32 s44, vcc_lo, exec_lo
	s_delay_alu instid0(SALU_CYCLE_1)
	s_or_b32 s41, s41, s44
	s_or_b32 exec_lo, exec_lo, s42
	v_mov_b32_e32 v5, 0
	s_and_saveexec_b32 s42, s41
	s_cbranch_execnz .LBB39_357
	s_branch .LBB39_358
.LBB39_581:
	s_mov_b32 s24, -1
	s_mov_b32 s1, 0
.LBB39_582:
                                        ; implicit-def: $vgpr6_vgpr7
.LBB39_583:
	s_and_b32 vcc_lo, exec_lo, s25
	s_cbranch_vccz .LBB39_587
; %bb.584:
	s_cmp_eq_u32 s0, 44
	s_cbranch_scc0 .LBB39_586
; %bb.585:
	global_load_u8 v1, v[4:5], off
	s_mov_b32 s24, 0
	s_mov_b32 s1, -1
	s_wait_loadcnt 0x0
	v_cmp_ne_u32_e32 vcc_lo, 0xff, v1
	v_lshlrev_b32_e32 v3, 23, v1
	s_delay_alu instid0(VALU_DEP_1) | instskip(NEXT) | instid1(VALU_DEP_1)
	v_cvt_f64_f32_e32 v[6:7], v3
	v_cndmask_b32_e32 v3, 0x20000000, v6, vcc_lo
	s_delay_alu instid0(VALU_DEP_2) | instskip(SKIP_1) | instid1(VALU_DEP_2)
	v_cndmask_b32_e32 v6, 0x7ff80000, v7, vcc_lo
	v_cmp_ne_u32_e32 vcc_lo, 0, v1
	v_cndmask_b32_e32 v7, 0x38000000, v6, vcc_lo
	s_delay_alu instid0(VALU_DEP_4)
	v_cndmask_b32_e32 v6, 0, v3, vcc_lo
	s_branch .LBB39_587
.LBB39_586:
	s_mov_b32 s24, -1
                                        ; implicit-def: $vgpr6_vgpr7
.LBB39_587:
	s_mov_b32 s25, 0
.LBB39_588:
	s_delay_alu instid0(SALU_CYCLE_1)
	s_and_b32 vcc_lo, exec_lo, s25
	s_cbranch_vccz .LBB39_592
; %bb.589:
	s_cmp_eq_u32 s0, 29
	s_cbranch_scc0 .LBB39_591
; %bb.590:
	s_wait_loadcnt 0x0
	global_load_b64 v[6:7], v[4:5], off
	s_mov_b32 s1, -1
	s_mov_b32 s24, 0
	s_mov_b32 s25, 0
	s_wait_loadcnt 0x0
	v_cvt_f64_u32_e32 v[8:9], v7
	v_cvt_f64_u32_e32 v[6:7], v6
	s_delay_alu instid0(VALU_DEP_2) | instskip(NEXT) | instid1(VALU_DEP_1)
	v_ldexp_f64 v[8:9], v[8:9], 32
	v_add_f64_e32 v[6:7], v[8:9], v[6:7]
	s_branch .LBB39_593
.LBB39_591:
	s_mov_b32 s24, -1
                                        ; implicit-def: $vgpr6_vgpr7
.LBB39_592:
	s_mov_b32 s25, 0
.LBB39_593:
	s_delay_alu instid0(SALU_CYCLE_1)
	s_and_b32 vcc_lo, exec_lo, s25
	s_cbranch_vccz .LBB39_611
; %bb.594:
	s_cmp_lt_i32 s0, 27
	s_cbranch_scc1 .LBB39_597
; %bb.595:
	s_cmp_gt_i32 s0, 27
	s_cbranch_scc0 .LBB39_598
; %bb.596:
	global_load_b32 v1, v[4:5], off
	s_mov_b32 s1, 0
	s_wait_loadcnt 0x0
	v_cvt_f64_u32_e32 v[6:7], v1
	s_branch .LBB39_599
.LBB39_597:
	s_mov_b32 s1, -1
                                        ; implicit-def: $vgpr6_vgpr7
	s_branch .LBB39_602
.LBB39_598:
	s_mov_b32 s1, -1
                                        ; implicit-def: $vgpr6_vgpr7
.LBB39_599:
	s_delay_alu instid0(SALU_CYCLE_1)
	s_and_not1_b32 vcc_lo, exec_lo, s1
	s_cbranch_vccnz .LBB39_601
; %bb.600:
	global_load_u16 v1, v[4:5], off
	s_wait_loadcnt 0x0
	v_cvt_f64_u32_e32 v[6:7], v1
.LBB39_601:
	s_mov_b32 s1, 0
.LBB39_602:
	s_delay_alu instid0(SALU_CYCLE_1)
	s_and_not1_b32 vcc_lo, exec_lo, s1
	s_cbranch_vccnz .LBB39_610
; %bb.603:
	global_load_u8 v1, v[4:5], off
	s_mov_b32 s1, 0
	s_mov_b32 s25, exec_lo
	s_wait_loadcnt 0x0
	v_cmpx_lt_i16_e32 0x7f, v1
	s_xor_b32 s25, exec_lo, s25
	s_cbranch_execz .LBB39_624
; %bb.604:
	s_mov_b32 s1, -1
	s_mov_b32 s26, exec_lo
	v_cmpx_eq_u16_e32 0x80, v1
; %bb.605:
	s_xor_b32 s1, exec_lo, -1
; %bb.606:
	s_or_b32 exec_lo, exec_lo, s26
	s_delay_alu instid0(SALU_CYCLE_1)
	s_and_b32 s1, s1, exec_lo
	s_or_saveexec_b32 s25, s25
	v_mov_b64_e32 v[6:7], 0x7ff8000020000000
	s_xor_b32 exec_lo, exec_lo, s25
	s_cbranch_execnz .LBB39_625
.LBB39_607:
	s_or_b32 exec_lo, exec_lo, s25
	s_and_saveexec_b32 s25, s1
	s_cbranch_execz .LBB39_609
.LBB39_608:
	v_and_b32_e32 v3, 0xffff, v1
	s_delay_alu instid0(VALU_DEP_1) | instskip(SKIP_1) | instid1(VALU_DEP_2)
	v_dual_lshlrev_b32 v1, 24, v1 :: v_dual_bitop2_b32 v6, 7, v3 bitop3:0x40
	v_bfe_u32 v9, v3, 3, 4
	v_and_b32_e32 v1, 0x80000000, v1
	s_delay_alu instid0(VALU_DEP_3) | instskip(NEXT) | instid1(VALU_DEP_3)
	v_clz_i32_u32_e32 v7, v6
	v_cmp_eq_u32_e32 vcc_lo, 0, v9
	s_delay_alu instid0(VALU_DEP_2) | instskip(NEXT) | instid1(VALU_DEP_1)
	v_min_u32_e32 v7, 32, v7
	v_subrev_nc_u32_e32 v8, 28, v7
	v_sub_nc_u32_e32 v7, 29, v7
	s_delay_alu instid0(VALU_DEP_2) | instskip(NEXT) | instid1(VALU_DEP_2)
	v_lshlrev_b32_e32 v3, v8, v3
	v_cndmask_b32_e32 v7, v9, v7, vcc_lo
	s_delay_alu instid0(VALU_DEP_2) | instskip(NEXT) | instid1(VALU_DEP_1)
	v_and_b32_e32 v3, 7, v3
	v_cndmask_b32_e32 v3, v6, v3, vcc_lo
	s_delay_alu instid0(VALU_DEP_3) | instskip(NEXT) | instid1(VALU_DEP_2)
	v_lshl_add_u32 v6, v7, 23, 0x3b800000
	v_lshlrev_b32_e32 v3, 20, v3
	s_delay_alu instid0(VALU_DEP_1) | instskip(NEXT) | instid1(VALU_DEP_1)
	v_or3_b32 v1, v1, v6, v3
	v_cvt_f64_f32_e32 v[6:7], v1
.LBB39_609:
	s_or_b32 exec_lo, exec_lo, s25
.LBB39_610:
	s_mov_b32 s1, -1
.LBB39_611:
	s_mov_b32 s25, 0
.LBB39_612:
	s_delay_alu instid0(SALU_CYCLE_1)
	s_and_b32 vcc_lo, exec_lo, s25
	s_cbranch_vccz .LBB39_647
; %bb.613:
	s_cmp_gt_i32 s0, 22
	s_cbranch_scc0 .LBB39_623
; %bb.614:
	s_cmp_lt_i32 s0, 24
	s_cbranch_scc1 .LBB39_626
; %bb.615:
	s_cmp_gt_i32 s0, 24
	s_cbranch_scc0 .LBB39_627
; %bb.616:
	global_load_u8 v1, v[4:5], off
	s_mov_b32 s1, 0
	s_mov_b32 s25, exec_lo
	s_wait_loadcnt 0x0
	v_cmpx_lt_i16_e32 0x7f, v1
	s_xor_b32 s25, exec_lo, s25
	s_cbranch_execz .LBB39_639
; %bb.617:
	s_mov_b32 s1, -1
	s_mov_b32 s26, exec_lo
	v_cmpx_eq_u16_e32 0x80, v1
; %bb.618:
	s_xor_b32 s1, exec_lo, -1
; %bb.619:
	s_or_b32 exec_lo, exec_lo, s26
	s_delay_alu instid0(SALU_CYCLE_1)
	s_and_b32 s1, s1, exec_lo
	s_or_saveexec_b32 s25, s25
	v_mov_b64_e32 v[6:7], 0x7ff8000020000000
	s_xor_b32 exec_lo, exec_lo, s25
	s_cbranch_execnz .LBB39_640
.LBB39_620:
	s_or_b32 exec_lo, exec_lo, s25
	s_and_saveexec_b32 s25, s1
	s_cbranch_execz .LBB39_622
.LBB39_621:
	v_and_b32_e32 v3, 0xffff, v1
	s_delay_alu instid0(VALU_DEP_1) | instskip(SKIP_1) | instid1(VALU_DEP_2)
	v_dual_lshlrev_b32 v1, 24, v1 :: v_dual_bitop2_b32 v6, 3, v3 bitop3:0x40
	v_bfe_u32 v9, v3, 2, 5
	v_and_b32_e32 v1, 0x80000000, v1
	s_delay_alu instid0(VALU_DEP_3) | instskip(NEXT) | instid1(VALU_DEP_3)
	v_clz_i32_u32_e32 v7, v6
	v_cmp_eq_u32_e32 vcc_lo, 0, v9
	s_delay_alu instid0(VALU_DEP_2) | instskip(NEXT) | instid1(VALU_DEP_1)
	v_min_u32_e32 v7, 32, v7
	v_subrev_nc_u32_e32 v8, 29, v7
	v_sub_nc_u32_e32 v7, 30, v7
	s_delay_alu instid0(VALU_DEP_2) | instskip(NEXT) | instid1(VALU_DEP_2)
	v_lshlrev_b32_e32 v3, v8, v3
	v_cndmask_b32_e32 v7, v9, v7, vcc_lo
	s_delay_alu instid0(VALU_DEP_2) | instskip(NEXT) | instid1(VALU_DEP_1)
	v_and_b32_e32 v3, 3, v3
	v_cndmask_b32_e32 v3, v6, v3, vcc_lo
	s_delay_alu instid0(VALU_DEP_3) | instskip(NEXT) | instid1(VALU_DEP_2)
	v_lshl_add_u32 v6, v7, 23, 0x37800000
	v_lshlrev_b32_e32 v3, 21, v3
	s_delay_alu instid0(VALU_DEP_1) | instskip(NEXT) | instid1(VALU_DEP_1)
	v_or3_b32 v1, v1, v6, v3
	v_cvt_f64_f32_e32 v[6:7], v1
.LBB39_622:
	s_or_b32 exec_lo, exec_lo, s25
	s_mov_b32 s1, 0
	s_branch .LBB39_628
.LBB39_623:
	s_mov_b32 s25, -1
                                        ; implicit-def: $vgpr6_vgpr7
	s_branch .LBB39_634
.LBB39_624:
	s_or_saveexec_b32 s25, s25
	v_mov_b64_e32 v[6:7], 0x7ff8000020000000
	s_xor_b32 exec_lo, exec_lo, s25
	s_cbranch_execz .LBB39_607
.LBB39_625:
	v_cmp_ne_u16_e32 vcc_lo, 0, v1
	v_mov_b64_e32 v[6:7], 0
	s_and_not1_b32 s1, s1, exec_lo
	s_and_b32 s26, vcc_lo, exec_lo
	s_delay_alu instid0(SALU_CYCLE_1)
	s_or_b32 s1, s1, s26
	s_or_b32 exec_lo, exec_lo, s25
	s_and_saveexec_b32 s25, s1
	s_cbranch_execnz .LBB39_608
	s_branch .LBB39_609
.LBB39_626:
	s_mov_b32 s1, -1
                                        ; implicit-def: $vgpr6_vgpr7
	s_branch .LBB39_631
.LBB39_627:
	s_mov_b32 s1, -1
                                        ; implicit-def: $vgpr6_vgpr7
.LBB39_628:
	s_delay_alu instid0(SALU_CYCLE_1)
	s_and_b32 vcc_lo, exec_lo, s1
	s_cbranch_vccz .LBB39_630
; %bb.629:
	global_load_u8 v1, v[4:5], off
	s_wait_loadcnt 0x0
	v_lshlrev_b32_e32 v1, 24, v1
	s_delay_alu instid0(VALU_DEP_1) | instskip(NEXT) | instid1(VALU_DEP_1)
	v_and_b32_e32 v3, 0x7f000000, v1
	v_clz_i32_u32_e32 v6, v3
	v_cmp_ne_u32_e32 vcc_lo, 0, v3
	v_add_nc_u32_e32 v8, 0x1000000, v3
	s_delay_alu instid0(VALU_DEP_3) | instskip(NEXT) | instid1(VALU_DEP_1)
	v_min_u32_e32 v6, 32, v6
	v_sub_nc_u32_e64 v6, v6, 4 clamp
	s_delay_alu instid0(VALU_DEP_1) | instskip(NEXT) | instid1(VALU_DEP_1)
	v_dual_lshlrev_b32 v7, v6, v3 :: v_dual_lshlrev_b32 v6, 23, v6
	v_lshrrev_b32_e32 v7, 4, v7
	s_delay_alu instid0(VALU_DEP_1) | instskip(NEXT) | instid1(VALU_DEP_1)
	v_dual_sub_nc_u32 v6, v7, v6 :: v_dual_ashrrev_i32 v7, 8, v8
	v_add_nc_u32_e32 v6, 0x3c000000, v6
	s_delay_alu instid0(VALU_DEP_1) | instskip(NEXT) | instid1(VALU_DEP_1)
	v_and_or_b32 v6, 0x7f800000, v7, v6
	v_cndmask_b32_e32 v3, 0, v6, vcc_lo
	s_delay_alu instid0(VALU_DEP_1) | instskip(NEXT) | instid1(VALU_DEP_1)
	v_and_or_b32 v1, 0x80000000, v1, v3
	v_cvt_f64_f32_e32 v[6:7], v1
.LBB39_630:
	s_mov_b32 s1, 0
.LBB39_631:
	s_delay_alu instid0(SALU_CYCLE_1)
	s_and_not1_b32 vcc_lo, exec_lo, s1
	s_cbranch_vccnz .LBB39_633
; %bb.632:
	global_load_u8 v1, v[4:5], off
	s_wait_loadcnt 0x0
	v_lshlrev_b32_e32 v3, 25, v1
	v_lshlrev_b16 v1, 8, v1
	s_delay_alu instid0(VALU_DEP_1) | instskip(SKIP_1) | instid1(VALU_DEP_2)
	v_and_or_b32 v7, 0x7f00, v1, 0.5
	v_bfe_i32 v1, v1, 0, 16
	v_add_f32_e32 v7, -0.5, v7
	v_lshrrev_b32_e32 v6, 4, v3
	v_cmp_gt_u32_e32 vcc_lo, 0x8000000, v3
	s_delay_alu instid0(VALU_DEP_2) | instskip(NEXT) | instid1(VALU_DEP_1)
	v_or_b32_e32 v6, 0x70000000, v6
	v_mul_f32_e32 v6, 0x7800000, v6
	s_delay_alu instid0(VALU_DEP_1) | instskip(NEXT) | instid1(VALU_DEP_1)
	v_cndmask_b32_e32 v3, v6, v7, vcc_lo
	v_and_or_b32 v1, 0x80000000, v1, v3
	s_delay_alu instid0(VALU_DEP_1)
	v_cvt_f64_f32_e32 v[6:7], v1
.LBB39_633:
	s_mov_b32 s25, 0
	s_mov_b32 s1, -1
.LBB39_634:
	s_and_not1_b32 vcc_lo, exec_lo, s25
	s_cbranch_vccnz .LBB39_647
; %bb.635:
	s_cmp_gt_i32 s0, 14
	s_cbranch_scc0 .LBB39_638
; %bb.636:
	s_cmp_eq_u32 s0, 15
	s_cbranch_scc0 .LBB39_641
; %bb.637:
	global_load_u16 v1, v[4:5], off
	s_mov_b32 s1, -1
	s_mov_b32 s24, 0
	s_wait_loadcnt 0x0
	v_lshlrev_b32_e32 v1, 16, v1
	s_delay_alu instid0(VALU_DEP_1)
	v_cvt_f64_f32_e32 v[6:7], v1
	s_branch .LBB39_642
.LBB39_638:
	s_mov_b32 s25, -1
                                        ; implicit-def: $vgpr6_vgpr7
	s_branch .LBB39_643
.LBB39_639:
	s_or_saveexec_b32 s25, s25
	v_mov_b64_e32 v[6:7], 0x7ff8000020000000
	s_xor_b32 exec_lo, exec_lo, s25
	s_cbranch_execz .LBB39_620
.LBB39_640:
	v_cmp_ne_u16_e32 vcc_lo, 0, v1
	v_mov_b64_e32 v[6:7], 0
	s_and_not1_b32 s1, s1, exec_lo
	s_and_b32 s26, vcc_lo, exec_lo
	s_delay_alu instid0(SALU_CYCLE_1)
	s_or_b32 s1, s1, s26
	s_or_b32 exec_lo, exec_lo, s25
	s_and_saveexec_b32 s25, s1
	s_cbranch_execnz .LBB39_621
	s_branch .LBB39_622
.LBB39_641:
	s_mov_b32 s24, -1
                                        ; implicit-def: $vgpr6_vgpr7
.LBB39_642:
	s_mov_b32 s25, 0
.LBB39_643:
	s_delay_alu instid0(SALU_CYCLE_1)
	s_and_b32 vcc_lo, exec_lo, s25
	s_cbranch_vccz .LBB39_647
; %bb.644:
	s_cmp_eq_u32 s0, 11
	s_cbranch_scc0 .LBB39_646
; %bb.645:
	global_load_u8 v1, v[4:5], off
	s_wait_loadcnt 0x1
	v_mov_b32_e32 v6, 0
	s_mov_b32 s24, 0
	s_mov_b32 s1, -1
	s_wait_loadcnt 0x0
	v_cmp_ne_u16_e32 vcc_lo, 0, v1
	v_cndmask_b32_e64 v7, 0, 0x3ff00000, vcc_lo
	s_branch .LBB39_647
.LBB39_646:
	s_mov_b32 s24, -1
                                        ; implicit-def: $vgpr6_vgpr7
.LBB39_647:
	s_mov_b32 s25, 0
.LBB39_648:
	s_delay_alu instid0(SALU_CYCLE_1)
	s_and_b32 vcc_lo, exec_lo, s25
	s_cbranch_vccz .LBB39_697
; %bb.649:
	s_cmp_lt_i32 s0, 5
	s_cbranch_scc1 .LBB39_654
; %bb.650:
	s_cmp_lt_i32 s0, 8
	s_cbranch_scc1 .LBB39_655
	;; [unrolled: 3-line block ×3, first 2 shown]
; %bb.652:
	s_cmp_gt_i32 s0, 9
	s_cbranch_scc0 .LBB39_657
; %bb.653:
	s_wait_loadcnt 0x0
	global_load_b64 v[6:7], v[4:5], off
	s_mov_b32 s1, 0
	s_branch .LBB39_658
.LBB39_654:
	s_mov_b32 s1, -1
                                        ; implicit-def: $vgpr6_vgpr7
	s_branch .LBB39_676
.LBB39_655:
	s_mov_b32 s1, -1
                                        ; implicit-def: $vgpr6_vgpr7
	s_branch .LBB39_664
.LBB39_656:
	s_mov_b32 s1, -1
                                        ; implicit-def: $vgpr6_vgpr7
	s_branch .LBB39_661
.LBB39_657:
	s_mov_b32 s1, -1
                                        ; implicit-def: $vgpr6_vgpr7
.LBB39_658:
	s_delay_alu instid0(SALU_CYCLE_1)
	s_and_not1_b32 vcc_lo, exec_lo, s1
	s_cbranch_vccnz .LBB39_660
; %bb.659:
	global_load_b32 v1, v[4:5], off
	s_wait_loadcnt 0x0
	v_cvt_f64_f32_e32 v[6:7], v1
.LBB39_660:
	s_mov_b32 s1, 0
.LBB39_661:
	s_delay_alu instid0(SALU_CYCLE_1)
	s_and_not1_b32 vcc_lo, exec_lo, s1
	s_cbranch_vccnz .LBB39_663
; %bb.662:
	global_load_b32 v1, v[4:5], off
	s_wait_loadcnt 0x0
	v_cvt_f32_f16_e32 v1, v1
	s_delay_alu instid0(VALU_DEP_1)
	v_cvt_f64_f32_e32 v[6:7], v1
.LBB39_663:
	s_mov_b32 s1, 0
.LBB39_664:
	s_delay_alu instid0(SALU_CYCLE_1)
	s_and_not1_b32 vcc_lo, exec_lo, s1
	s_cbranch_vccnz .LBB39_675
; %bb.665:
	s_cmp_lt_i32 s0, 6
	s_cbranch_scc1 .LBB39_668
; %bb.666:
	s_cmp_gt_i32 s0, 6
	s_cbranch_scc0 .LBB39_669
; %bb.667:
	s_wait_loadcnt 0x0
	global_load_b64 v[6:7], v[4:5], off
	s_mov_b32 s1, 0
	s_branch .LBB39_670
.LBB39_668:
	s_mov_b32 s1, -1
                                        ; implicit-def: $vgpr6_vgpr7
	s_branch .LBB39_673
.LBB39_669:
	s_mov_b32 s1, -1
                                        ; implicit-def: $vgpr6_vgpr7
.LBB39_670:
	s_delay_alu instid0(SALU_CYCLE_1)
	s_and_not1_b32 vcc_lo, exec_lo, s1
	s_cbranch_vccnz .LBB39_672
; %bb.671:
	global_load_b32 v1, v[4:5], off
	s_wait_loadcnt 0x0
	v_cvt_f64_f32_e32 v[6:7], v1
.LBB39_672:
	s_mov_b32 s1, 0
.LBB39_673:
	s_delay_alu instid0(SALU_CYCLE_1)
	s_and_not1_b32 vcc_lo, exec_lo, s1
	s_cbranch_vccnz .LBB39_675
; %bb.674:
	global_load_u16 v1, v[4:5], off
	s_wait_loadcnt 0x0
	v_cvt_f32_f16_e32 v1, v1
	s_delay_alu instid0(VALU_DEP_1)
	v_cvt_f64_f32_e32 v[6:7], v1
.LBB39_675:
	s_mov_b32 s1, 0
.LBB39_676:
	s_delay_alu instid0(SALU_CYCLE_1)
	s_and_not1_b32 vcc_lo, exec_lo, s1
	s_cbranch_vccnz .LBB39_696
; %bb.677:
	s_cmp_lt_i32 s0, 2
	s_cbranch_scc1 .LBB39_681
; %bb.678:
	s_cmp_lt_i32 s0, 3
	s_cbranch_scc1 .LBB39_682
; %bb.679:
	s_cmp_gt_i32 s0, 3
	s_cbranch_scc0 .LBB39_683
; %bb.680:
	s_wait_loadcnt 0x0
	global_load_b64 v[6:7], v[4:5], off
	s_mov_b32 s1, 0
	s_wait_loadcnt 0x0
	v_cvt_f64_i32_e32 v[8:9], v7
	v_cvt_f64_u32_e32 v[6:7], v6
	s_delay_alu instid0(VALU_DEP_2) | instskip(NEXT) | instid1(VALU_DEP_1)
	v_ldexp_f64 v[8:9], v[8:9], 32
	v_add_f64_e32 v[6:7], v[8:9], v[6:7]
	s_branch .LBB39_684
.LBB39_681:
	s_mov_b32 s1, -1
                                        ; implicit-def: $vgpr6_vgpr7
	s_branch .LBB39_690
.LBB39_682:
	s_mov_b32 s1, -1
                                        ; implicit-def: $vgpr6_vgpr7
	s_branch .LBB39_687
.LBB39_683:
	s_mov_b32 s1, -1
                                        ; implicit-def: $vgpr6_vgpr7
.LBB39_684:
	s_delay_alu instid0(SALU_CYCLE_1)
	s_and_not1_b32 vcc_lo, exec_lo, s1
	s_cbranch_vccnz .LBB39_686
; %bb.685:
	global_load_b32 v1, v[4:5], off
	s_wait_loadcnt 0x0
	v_cvt_f64_i32_e32 v[6:7], v1
.LBB39_686:
	s_mov_b32 s1, 0
.LBB39_687:
	s_delay_alu instid0(SALU_CYCLE_1)
	s_and_not1_b32 vcc_lo, exec_lo, s1
	s_cbranch_vccnz .LBB39_689
; %bb.688:
	global_load_i16 v1, v[4:5], off
	s_wait_loadcnt 0x0
	v_cvt_f64_i32_e32 v[6:7], v1
.LBB39_689:
	s_mov_b32 s1, 0
.LBB39_690:
	s_delay_alu instid0(SALU_CYCLE_1)
	s_and_not1_b32 vcc_lo, exec_lo, s1
	s_cbranch_vccnz .LBB39_696
; %bb.691:
	s_cmp_gt_i32 s0, 0
	s_mov_b32 s0, 0
	s_cbranch_scc0 .LBB39_693
; %bb.692:
	global_load_i8 v1, v[4:5], off
	s_wait_loadcnt 0x0
	v_cvt_f64_i32_e32 v[6:7], v1
	s_branch .LBB39_694
.LBB39_693:
	s_mov_b32 s0, -1
                                        ; implicit-def: $vgpr6_vgpr7
.LBB39_694:
	s_delay_alu instid0(SALU_CYCLE_1)
	s_and_not1_b32 vcc_lo, exec_lo, s0
	s_cbranch_vccnz .LBB39_696
; %bb.695:
	global_load_u8 v1, v[4:5], off
	s_wait_loadcnt 0x0
	v_cvt_f64_u32_e32 v[6:7], v1
.LBB39_696:
	s_mov_b32 s1, -1
.LBB39_697:
	s_delay_alu instid0(SALU_CYCLE_1)
	s_and_not1_b32 vcc_lo, exec_lo, s1
	s_cbranch_vccnz .LBB39_705
; %bb.698:
	s_wait_loadcnt 0x0
	s_delay_alu instid0(VALU_DEP_1) | instskip(SKIP_2) | instid1(SALU_CYCLE_1)
	v_cmp_eq_f64_e64 s0, 0x7ff00000, v[6:7]
	v_mov_b32_e32 v3, 0
	s_and_b32 s25, s34, 0xff
	s_cmp_lt_i32 s25, 11
	s_delay_alu instid0(VALU_DEP_1)
	v_add_nc_u64_e32 v[2:3], s[4:5], v[2:3]
	s_cbranch_scc1 .LBB39_706
; %bb.699:
	s_and_b32 s26, 0xffff, s25
	s_delay_alu instid0(SALU_CYCLE_1)
	s_cmp_gt_i32 s26, 25
	s_cbranch_scc0 .LBB39_707
; %bb.700:
	s_cmp_gt_i32 s26, 28
	s_cbranch_scc0 .LBB39_708
; %bb.701:
	;; [unrolled: 3-line block ×4, first 2 shown]
	s_mov_b32 s45, 0
	s_mov_b32 s1, -1
	s_cmp_eq_u32 s26, 46
	s_mov_b32 s27, 0
	s_cbranch_scc0 .LBB39_711
; %bb.704:
	v_cndmask_b32_e64 v1, 0, 1.0, s0
	s_mov_b32 s27, -1
	s_mov_b32 s1, 0
	s_wait_xcnt 0x0
	s_delay_alu instid0(VALU_DEP_1) | instskip(NEXT) | instid1(VALU_DEP_1)
	v_bfe_u32 v4, v1, 16, 1
	v_add3_u32 v1, v1, v4, 0x7fff
	s_delay_alu instid0(VALU_DEP_1)
	v_lshrrev_b32_e32 v1, 16, v1
	global_store_b32 v[2:3], v1, off
	s_branch .LBB39_711
.LBB39_705:
	s_mov_b32 s0, 0
	s_mov_b32 s1, s42
	s_branch .LBB39_822
.LBB39_706:
	s_mov_b32 s26, -1
	s_mov_b32 s27, 0
	s_mov_b32 s1, s42
	s_branch .LBB39_780
.LBB39_707:
	s_mov_b32 s45, -1
	s_mov_b32 s27, 0
	s_mov_b32 s1, s42
	s_branch .LBB39_738
.LBB39_708:
	s_mov_b32 s45, -1
	s_mov_b32 s27, 0
	s_mov_b32 s1, s42
	s_branch .LBB39_721
.LBB39_709:
	s_mov_b32 s45, -1
	s_mov_b32 s27, 0
	s_mov_b32 s1, s42
	s_branch .LBB39_717
.LBB39_710:
	s_mov_b32 s45, -1
	s_mov_b32 s27, 0
	s_mov_b32 s1, s42
.LBB39_711:
	s_and_b32 vcc_lo, exec_lo, s45
	s_cbranch_vccz .LBB39_716
; %bb.712:
	s_cmp_eq_u32 s26, 44
	s_mov_b32 s1, -1
	s_cbranch_scc0 .LBB39_716
; %bb.713:
	s_wait_xcnt 0x0
	v_cndmask_b32_e64 v5, 0, 1.0, s0
	s_mov_b32 s27, exec_lo
	s_delay_alu instid0(VALU_DEP_1) | instskip(NEXT) | instid1(VALU_DEP_1)
	v_dual_mov_b32 v4, 0xff :: v_dual_lshrrev_b32 v1, 23, v5
	v_cmpx_ne_u32_e32 0xff, v1
; %bb.714:
	v_and_b32_e32 v4, 0x400000, v5
	v_and_or_b32 v5, 0x3fffff, v5, v1
	s_delay_alu instid0(VALU_DEP_2) | instskip(NEXT) | instid1(VALU_DEP_2)
	v_cmp_ne_u32_e32 vcc_lo, 0, v4
	v_cmp_ne_u32_e64 s1, 0, v5
	s_and_b32 s1, vcc_lo, s1
	s_delay_alu instid0(SALU_CYCLE_1) | instskip(NEXT) | instid1(VALU_DEP_1)
	v_cndmask_b32_e64 v4, 0, 1, s1
	v_add_nc_u32_e32 v4, v1, v4
; %bb.715:
	s_or_b32 exec_lo, exec_lo, s27
	s_mov_b32 s27, -1
	s_mov_b32 s1, 0
	global_store_b8 v[2:3], v4, off
.LBB39_716:
	s_mov_b32 s45, 0
.LBB39_717:
	s_delay_alu instid0(SALU_CYCLE_1)
	s_and_b32 vcc_lo, exec_lo, s45
	s_cbranch_vccz .LBB39_720
; %bb.718:
	s_cmp_eq_u32 s26, 29
	s_mov_b32 s1, -1
	s_cbranch_scc0 .LBB39_720
; %bb.719:
	s_mov_b32 s1, 0
	s_wait_xcnt 0x0
	v_cndmask_b32_e64 v4, 0, 1, s0
	v_mov_b32_e32 v5, s1
	s_mov_b32 s27, -1
	s_mov_b32 s45, 0
	global_store_b64 v[2:3], v[4:5], off
	s_branch .LBB39_721
.LBB39_720:
	s_mov_b32 s45, 0
.LBB39_721:
	s_delay_alu instid0(SALU_CYCLE_1)
	s_and_b32 vcc_lo, exec_lo, s45
	s_cbranch_vccz .LBB39_737
; %bb.722:
	s_cmp_lt_i32 s26, 27
	s_mov_b32 s27, -1
	s_cbranch_scc1 .LBB39_728
; %bb.723:
	s_cmp_gt_i32 s26, 27
	s_cbranch_scc0 .LBB39_725
; %bb.724:
	s_wait_xcnt 0x0
	v_cndmask_b32_e64 v1, 0, 1, s0
	s_mov_b32 s27, 0
	global_store_b32 v[2:3], v1, off
.LBB39_725:
	s_and_not1_b32 vcc_lo, exec_lo, s27
	s_cbranch_vccnz .LBB39_727
; %bb.726:
	s_wait_xcnt 0x0
	v_cndmask_b32_e64 v1, 0, 1, s0
	global_store_b16 v[2:3], v1, off
.LBB39_727:
	s_mov_b32 s27, 0
.LBB39_728:
	s_delay_alu instid0(SALU_CYCLE_1)
	s_and_not1_b32 vcc_lo, exec_lo, s27
	s_cbranch_vccnz .LBB39_736
; %bb.729:
	s_wait_xcnt 0x0
	v_cndmask_b32_e64 v4, 0, 1.0, s0
	v_mov_b32_e32 v5, 0x80
	s_mov_b32 s27, exec_lo
	s_delay_alu instid0(VALU_DEP_2)
	v_cmpx_gt_u32_e32 0x43800000, v4
	s_cbranch_execz .LBB39_735
; %bb.730:
	s_mov_b32 s45, 0
	s_mov_b32 s46, exec_lo
                                        ; implicit-def: $vgpr1
	v_cmpx_lt_u32_e32 0x3bffffff, v4
	s_xor_b32 s46, exec_lo, s46
	s_cbranch_execz .LBB39_854
; %bb.731:
	v_bfe_u32 v1, v4, 20, 1
	s_mov_b32 s45, exec_lo
	s_delay_alu instid0(VALU_DEP_1) | instskip(NEXT) | instid1(VALU_DEP_1)
	v_add3_u32 v1, v4, v1, 0x487ffff
                                        ; implicit-def: $vgpr4
	v_lshrrev_b32_e32 v1, 20, v1
	s_and_not1_saveexec_b32 s46, s46
	s_cbranch_execnz .LBB39_855
.LBB39_732:
	s_or_b32 exec_lo, exec_lo, s46
	v_mov_b32_e32 v5, 0
	s_and_saveexec_b32 s46, s45
.LBB39_733:
	v_mov_b32_e32 v5, v1
.LBB39_734:
	s_or_b32 exec_lo, exec_lo, s46
.LBB39_735:
	s_delay_alu instid0(SALU_CYCLE_1)
	s_or_b32 exec_lo, exec_lo, s27
	global_store_b8 v[2:3], v5, off
.LBB39_736:
	s_mov_b32 s27, -1
.LBB39_737:
	s_mov_b32 s45, 0
.LBB39_738:
	s_delay_alu instid0(SALU_CYCLE_1)
	s_and_b32 vcc_lo, exec_lo, s45
	s_cbranch_vccz .LBB39_779
; %bb.739:
	s_cmp_gt_i32 s26, 22
	s_mov_b32 s45, -1
	s_cbranch_scc0 .LBB39_771
; %bb.740:
	s_cmp_lt_i32 s26, 24
	s_mov_b32 s27, -1
	s_cbranch_scc1 .LBB39_760
; %bb.741:
	s_cmp_gt_i32 s26, 24
	s_cbranch_scc0 .LBB39_749
; %bb.742:
	s_wait_xcnt 0x0
	v_cndmask_b32_e64 v4, 0, 1.0, s0
	v_mov_b32_e32 v5, 0x80
	s_mov_b32 s27, exec_lo
	s_delay_alu instid0(VALU_DEP_2)
	v_cmpx_gt_u32_e32 0x47800000, v4
	s_cbranch_execz .LBB39_748
; %bb.743:
	s_mov_b32 s45, 0
	s_mov_b32 s46, exec_lo
                                        ; implicit-def: $vgpr1
	v_cmpx_lt_u32_e32 0x37ffffff, v4
	s_xor_b32 s46, exec_lo, s46
	s_cbranch_execz .LBB39_857
; %bb.744:
	v_bfe_u32 v1, v4, 21, 1
	s_mov_b32 s45, exec_lo
	s_delay_alu instid0(VALU_DEP_1) | instskip(NEXT) | instid1(VALU_DEP_1)
	v_add3_u32 v1, v4, v1, 0x88fffff
                                        ; implicit-def: $vgpr4
	v_lshrrev_b32_e32 v1, 21, v1
	s_and_not1_saveexec_b32 s46, s46
	s_cbranch_execnz .LBB39_858
.LBB39_745:
	s_or_b32 exec_lo, exec_lo, s46
	v_mov_b32_e32 v5, 0
	s_and_saveexec_b32 s46, s45
.LBB39_746:
	v_mov_b32_e32 v5, v1
.LBB39_747:
	s_or_b32 exec_lo, exec_lo, s46
.LBB39_748:
	s_delay_alu instid0(SALU_CYCLE_1)
	s_or_b32 exec_lo, exec_lo, s27
	s_mov_b32 s27, 0
	global_store_b8 v[2:3], v5, off
.LBB39_749:
	s_and_b32 vcc_lo, exec_lo, s27
	s_cbranch_vccz .LBB39_759
; %bb.750:
	s_wait_xcnt 0x0
	v_cndmask_b32_e64 v4, 0, 1.0, s0
	s_mov_b32 s27, exec_lo
                                        ; implicit-def: $vgpr1
	s_delay_alu instid0(VALU_DEP_1)
	v_cmpx_gt_u32_e32 0x43f00000, v4
	s_xor_b32 s27, exec_lo, s27
	s_cbranch_execz .LBB39_756
; %bb.751:
	s_mov_b32 s45, exec_lo
                                        ; implicit-def: $vgpr1
	v_cmpx_lt_u32_e32 0x3c7fffff, v4
	s_xor_b32 s45, exec_lo, s45
; %bb.752:
	v_bfe_u32 v1, v4, 20, 1
	s_delay_alu instid0(VALU_DEP_1) | instskip(NEXT) | instid1(VALU_DEP_1)
	v_add3_u32 v1, v4, v1, 0x407ffff
	v_and_b32_e32 v4, 0xff00000, v1
	v_lshrrev_b32_e32 v1, 20, v1
	s_delay_alu instid0(VALU_DEP_2) | instskip(NEXT) | instid1(VALU_DEP_2)
	v_cmp_ne_u32_e32 vcc_lo, 0x7f00000, v4
                                        ; implicit-def: $vgpr4
	v_cndmask_b32_e32 v1, 0x7e, v1, vcc_lo
; %bb.753:
	s_and_not1_saveexec_b32 s45, s45
; %bb.754:
	v_add_f32_e32 v1, 0x46800000, v4
; %bb.755:
	s_or_b32 exec_lo, exec_lo, s45
                                        ; implicit-def: $vgpr4
.LBB39_756:
	s_and_not1_saveexec_b32 s27, s27
; %bb.757:
	v_mov_b32_e32 v1, 0x7f
	v_cmp_lt_u32_e32 vcc_lo, 0x7f800000, v4
	s_delay_alu instid0(VALU_DEP_2)
	v_cndmask_b32_e32 v1, 0x7e, v1, vcc_lo
; %bb.758:
	s_or_b32 exec_lo, exec_lo, s27
	global_store_b8 v[2:3], v1, off
.LBB39_759:
	s_mov_b32 s27, 0
.LBB39_760:
	s_delay_alu instid0(SALU_CYCLE_1)
	s_and_not1_b32 vcc_lo, exec_lo, s27
	s_cbranch_vccnz .LBB39_770
; %bb.761:
	s_wait_xcnt 0x0
	v_cndmask_b32_e64 v4, 0, 1.0, s0
	s_mov_b32 s27, exec_lo
                                        ; implicit-def: $vgpr1
	s_delay_alu instid0(VALU_DEP_1)
	v_cmpx_gt_u32_e32 0x47800000, v4
	s_xor_b32 s27, exec_lo, s27
	s_cbranch_execz .LBB39_767
; %bb.762:
	s_mov_b32 s45, exec_lo
                                        ; implicit-def: $vgpr1
	v_cmpx_lt_u32_e32 0x387fffff, v4
	s_xor_b32 s45, exec_lo, s45
; %bb.763:
	v_bfe_u32 v1, v4, 21, 1
	s_delay_alu instid0(VALU_DEP_1) | instskip(NEXT) | instid1(VALU_DEP_1)
	v_add3_u32 v1, v4, v1, 0x80fffff
                                        ; implicit-def: $vgpr4
	v_lshrrev_b32_e32 v1, 21, v1
; %bb.764:
	s_and_not1_saveexec_b32 s45, s45
; %bb.765:
	v_add_f32_e32 v1, 0x43000000, v4
; %bb.766:
	s_or_b32 exec_lo, exec_lo, s45
                                        ; implicit-def: $vgpr4
.LBB39_767:
	s_and_not1_saveexec_b32 s27, s27
; %bb.768:
	v_mov_b32_e32 v1, 0x7f
	v_cmp_lt_u32_e32 vcc_lo, 0x7f800000, v4
	s_delay_alu instid0(VALU_DEP_2)
	v_cndmask_b32_e32 v1, 0x7c, v1, vcc_lo
; %bb.769:
	s_or_b32 exec_lo, exec_lo, s27
	global_store_b8 v[2:3], v1, off
.LBB39_770:
	s_mov_b32 s45, 0
	s_mov_b32 s27, -1
.LBB39_771:
	s_and_not1_b32 vcc_lo, exec_lo, s45
	s_cbranch_vccnz .LBB39_779
; %bb.772:
	s_cmp_gt_i32 s26, 14
	s_mov_b32 s45, -1
	s_cbranch_scc0 .LBB39_776
; %bb.773:
	s_cmp_eq_u32 s26, 15
	s_mov_b32 s1, -1
	s_cbranch_scc0 .LBB39_775
; %bb.774:
	s_wait_xcnt 0x0
	v_cndmask_b32_e64 v1, 0, 1.0, s0
	s_mov_b32 s27, -1
	s_mov_b32 s1, 0
	s_delay_alu instid0(VALU_DEP_1) | instskip(NEXT) | instid1(VALU_DEP_1)
	v_bfe_u32 v4, v1, 16, 1
	v_add3_u32 v1, v1, v4, 0x7fff
	global_store_d16_hi_b16 v[2:3], v1, off
.LBB39_775:
	s_mov_b32 s45, 0
.LBB39_776:
	s_delay_alu instid0(SALU_CYCLE_1)
	s_and_b32 vcc_lo, exec_lo, s45
	s_cbranch_vccz .LBB39_779
; %bb.777:
	s_cmp_eq_u32 s26, 11
	s_mov_b32 s1, -1
	s_cbranch_scc0 .LBB39_779
; %bb.778:
	s_wait_xcnt 0x0
	v_cndmask_b32_e64 v1, 0, 1, s0
	s_mov_b32 s27, -1
	s_mov_b32 s1, 0
	global_store_b8 v[2:3], v1, off
.LBB39_779:
	s_mov_b32 s26, 0
.LBB39_780:
	s_delay_alu instid0(SALU_CYCLE_1)
	s_and_b32 vcc_lo, exec_lo, s26
	s_cbranch_vccz .LBB39_819
; %bb.781:
	s_and_b32 s25, 0xffff, s25
	s_mov_b32 s26, -1
	s_cmp_lt_i32 s25, 5
	s_cbranch_scc1 .LBB39_802
; %bb.782:
	s_cmp_lt_i32 s25, 8
	s_cbranch_scc1 .LBB39_792
; %bb.783:
	;; [unrolled: 3-line block ×3, first 2 shown]
	s_cmp_gt_i32 s25, 9
	s_cbranch_scc0 .LBB39_786
; %bb.785:
	s_wait_xcnt 0x0
	v_cndmask_b32_e64 v1, 0, 1, s0
	v_mov_b32_e32 v6, 0
	s_mov_b32 s26, 0
	s_delay_alu instid0(VALU_DEP_2) | instskip(NEXT) | instid1(VALU_DEP_2)
	v_cvt_f64_u32_e32 v[4:5], v1
	v_mov_b32_e32 v7, v6
	global_store_b128 v[2:3], v[4:7], off
.LBB39_786:
	s_and_not1_b32 vcc_lo, exec_lo, s26
	s_cbranch_vccnz .LBB39_788
; %bb.787:
	s_wait_xcnt 0x0
	v_cndmask_b32_e64 v4, 0, 1.0, s0
	v_mov_b32_e32 v5, 0
	global_store_b64 v[2:3], v[4:5], off
.LBB39_788:
	s_mov_b32 s26, 0
.LBB39_789:
	s_delay_alu instid0(SALU_CYCLE_1)
	s_and_not1_b32 vcc_lo, exec_lo, s26
	s_cbranch_vccnz .LBB39_791
; %bb.790:
	s_wait_xcnt 0x0
	v_cndmask_b32_e64 v1, 0, 1.0, s0
	s_delay_alu instid0(VALU_DEP_1) | instskip(NEXT) | instid1(VALU_DEP_1)
	v_cvt_f16_f32_e32 v1, v1
	v_and_b32_e32 v1, 0xffff, v1
	global_store_b32 v[2:3], v1, off
.LBB39_791:
	s_mov_b32 s26, 0
.LBB39_792:
	s_delay_alu instid0(SALU_CYCLE_1)
	s_and_not1_b32 vcc_lo, exec_lo, s26
	s_cbranch_vccnz .LBB39_801
; %bb.793:
	s_cmp_lt_i32 s25, 6
	s_mov_b32 s26, -1
	s_cbranch_scc1 .LBB39_799
; %bb.794:
	s_cmp_gt_i32 s25, 6
	s_cbranch_scc0 .LBB39_796
; %bb.795:
	s_wait_xcnt 0x0
	v_cndmask_b32_e64 v1, 0, 1, s0
	s_mov_b32 s26, 0
	s_delay_alu instid0(VALU_DEP_1)
	v_cvt_f64_u32_e32 v[4:5], v1
	global_store_b64 v[2:3], v[4:5], off
.LBB39_796:
	s_and_not1_b32 vcc_lo, exec_lo, s26
	s_cbranch_vccnz .LBB39_798
; %bb.797:
	s_wait_xcnt 0x0
	v_cndmask_b32_e64 v1, 0, 1.0, s0
	global_store_b32 v[2:3], v1, off
.LBB39_798:
	s_mov_b32 s26, 0
.LBB39_799:
	s_delay_alu instid0(SALU_CYCLE_1)
	s_and_not1_b32 vcc_lo, exec_lo, s26
	s_cbranch_vccnz .LBB39_801
; %bb.800:
	s_wait_xcnt 0x0
	v_cndmask_b32_e64 v1, 0, 1.0, s0
	s_delay_alu instid0(VALU_DEP_1)
	v_cvt_f16_f32_e32 v1, v1
	global_store_b16 v[2:3], v1, off
.LBB39_801:
	s_mov_b32 s26, 0
.LBB39_802:
	s_delay_alu instid0(SALU_CYCLE_1)
	s_and_not1_b32 vcc_lo, exec_lo, s26
	s_cbranch_vccnz .LBB39_818
; %bb.803:
	s_cmp_lt_i32 s25, 2
	s_mov_b32 s26, -1
	s_cbranch_scc1 .LBB39_813
; %bb.804:
	s_cmp_lt_i32 s25, 3
	s_cbranch_scc1 .LBB39_810
; %bb.805:
	s_cmp_gt_i32 s25, 3
	s_cbranch_scc0 .LBB39_807
; %bb.806:
	s_mov_b32 s26, 0
	s_wait_xcnt 0x0
	v_cndmask_b32_e64 v4, 0, 1, s0
	v_mov_b32_e32 v5, s26
	global_store_b64 v[2:3], v[4:5], off
.LBB39_807:
	s_and_not1_b32 vcc_lo, exec_lo, s26
	s_cbranch_vccnz .LBB39_809
; %bb.808:
	s_wait_xcnt 0x0
	v_cndmask_b32_e64 v1, 0, 1, s0
	global_store_b32 v[2:3], v1, off
.LBB39_809:
	s_mov_b32 s26, 0
.LBB39_810:
	s_delay_alu instid0(SALU_CYCLE_1)
	s_and_not1_b32 vcc_lo, exec_lo, s26
	s_cbranch_vccnz .LBB39_812
; %bb.811:
	s_wait_xcnt 0x0
	v_cndmask_b32_e64 v1, 0, 1, s0
	global_store_b16 v[2:3], v1, off
.LBB39_812:
	s_mov_b32 s26, 0
.LBB39_813:
	s_delay_alu instid0(SALU_CYCLE_1)
	s_and_not1_b32 vcc_lo, exec_lo, s26
	s_cbranch_vccnz .LBB39_818
; %bb.814:
	s_wait_xcnt 0x0
	v_cndmask_b32_e64 v1, 0, 1, s0
	s_cmp_gt_i32 s25, 0
	s_mov_b32 s0, -1
	s_cbranch_scc0 .LBB39_816
; %bb.815:
	s_mov_b32 s0, 0
	global_store_b8 v[2:3], v1, off
.LBB39_816:
	s_and_not1_b32 vcc_lo, exec_lo, s0
	s_cbranch_vccnz .LBB39_818
; %bb.817:
	global_store_b8 v[2:3], v1, off
.LBB39_818:
	s_mov_b32 s27, -1
.LBB39_819:
	s_delay_alu instid0(SALU_CYCLE_1)
	s_and_not1_b32 vcc_lo, exec_lo, s27
	s_cbranch_vccnz .LBB39_821
; %bb.820:
	v_add_nc_u32_e32 v0, 0x80, v0
	s_mov_b32 s0, -1
	s_branch .LBB39_823
.LBB39_821:
	s_mov_b32 s0, 0
.LBB39_822:
                                        ; implicit-def: $vgpr0
.LBB39_823:
	s_and_not1_b32 s25, s42, exec_lo
	s_and_b32 s1, s1, exec_lo
	s_and_not1_b32 s26, s41, exec_lo
	s_and_b32 s24, s24, exec_lo
	s_or_b32 s27, s25, s1
	s_or_b32 s26, s26, s24
	s_or_not1_b32 s25, s0, exec_lo
.LBB39_824:
	s_wait_xcnt 0x0
	s_or_b32 exec_lo, exec_lo, s44
	s_mov_b32 s0, 0
	s_mov_b32 s1, 0
	;; [unrolled: 1-line block ×3, first 2 shown]
                                        ; implicit-def: $vgpr4_vgpr5
                                        ; implicit-def: $vgpr2
                                        ; implicit-def: $vgpr6_vgpr7
	s_and_saveexec_b32 s44, s25
	s_cbranch_execz .LBB39_926
; %bb.825:
	v_cmp_gt_i32_e32 vcc_lo, s36, v0
	s_mov_b32 s45, s26
	s_mov_b32 s25, 0
                                        ; implicit-def: $vgpr4_vgpr5
                                        ; implicit-def: $vgpr2
                                        ; implicit-def: $vgpr6_vgpr7
	s_and_saveexec_b32 s36, vcc_lo
	s_cbranch_execz .LBB39_925
; %bb.826:
	s_and_not1_b32 vcc_lo, exec_lo, s31
	s_cbranch_vccnz .LBB39_832
; %bb.827:
	s_and_not1_b32 vcc_lo, exec_lo, s38
	s_cbranch_vccnz .LBB39_833
; %bb.828:
	s_add_co_i32 s37, s37, 1
	s_cmp_eq_u32 s29, 2
	s_cbranch_scc1 .LBB39_834
; %bb.829:
	v_dual_mov_b32 v2, 0 :: v_dual_mov_b32 v4, 0
	v_mov_b32_e32 v1, v0
	s_and_b32 s0, s37, 28
	s_mov_b64 s[24:25], s[2:3]
.LBB39_830:                             ; =>This Inner Loop Header: Depth=1
	s_clause 0x1
	s_load_b256 s[48:55], s[24:25], 0x4
	s_load_b128 s[64:67], s[24:25], 0x24
	s_load_b256 s[56:63], s[22:23], 0x0
	s_add_co_i32 s1, s1, 4
	s_wait_xcnt 0x0
	s_add_nc_u64 s[24:25], s[24:25], 48
	s_cmp_eq_u32 s0, s1
	s_add_nc_u64 s[22:23], s[22:23], 32
	s_wait_kmcnt 0x0
	v_mul_hi_u32 v3, s49, v1
	s_delay_alu instid0(VALU_DEP_1) | instskip(NEXT) | instid1(VALU_DEP_1)
	v_add_nc_u32_e32 v3, v1, v3
	v_lshrrev_b32_e32 v3, s50, v3
	s_delay_alu instid0(VALU_DEP_1) | instskip(NEXT) | instid1(VALU_DEP_1)
	v_mul_hi_u32 v5, s52, v3
	v_add_nc_u32_e32 v5, v3, v5
	s_delay_alu instid0(VALU_DEP_1) | instskip(SKIP_1) | instid1(VALU_DEP_1)
	v_lshrrev_b32_e32 v5, s53, v5
	s_wait_loadcnt 0x0
	v_mul_hi_u32 v6, s55, v5
	s_delay_alu instid0(VALU_DEP_1) | instskip(SKIP_1) | instid1(VALU_DEP_1)
	v_add_nc_u32_e32 v6, v5, v6
	v_mul_lo_u32 v7, v3, s48
	v_sub_nc_u32_e32 v1, v1, v7
	v_mul_lo_u32 v7, v5, s51
	s_delay_alu instid0(VALU_DEP_4) | instskip(NEXT) | instid1(VALU_DEP_3)
	v_lshrrev_b32_e32 v6, s64, v6
	v_mad_u32 v4, v1, s57, v4
	v_mad_u32 v1, v1, s56, v2
	s_delay_alu instid0(VALU_DEP_4) | instskip(NEXT) | instid1(VALU_DEP_4)
	v_sub_nc_u32_e32 v2, v3, v7
	v_mul_hi_u32 v8, s66, v6
	v_mul_lo_u32 v3, v6, s54
	s_delay_alu instid0(VALU_DEP_3) | instskip(SKIP_1) | instid1(VALU_DEP_3)
	v_mad_u32 v4, v2, s59, v4
	v_mad_u32 v2, v2, s58, v1
	v_dual_add_nc_u32 v7, v6, v8 :: v_dual_sub_nc_u32 v3, v5, v3
	s_delay_alu instid0(VALU_DEP_1) | instskip(NEXT) | instid1(VALU_DEP_2)
	v_lshrrev_b32_e32 v1, s67, v7
	v_mad_u32 v4, v3, s61, v4
	s_delay_alu instid0(VALU_DEP_4) | instskip(NEXT) | instid1(VALU_DEP_3)
	v_mad_u32 v2, v3, s60, v2
	v_mul_lo_u32 v5, v1, s65
	s_delay_alu instid0(VALU_DEP_1) | instskip(NEXT) | instid1(VALU_DEP_1)
	v_sub_nc_u32_e32 v3, v6, v5
	v_mad_u32 v4, v3, s63, v4
	s_delay_alu instid0(VALU_DEP_4)
	v_mad_u32 v2, v3, s62, v2
	s_cbranch_scc0 .LBB39_830
; %bb.831:
	s_delay_alu instid0(VALU_DEP_2)
	v_mov_b32_e32 v3, v4
	s_branch .LBB39_835
.LBB39_832:
	s_mov_b32 s0, -1
                                        ; implicit-def: $vgpr4
                                        ; implicit-def: $vgpr2
	s_branch .LBB39_840
.LBB39_833:
	v_dual_mov_b32 v4, 0 :: v_dual_mov_b32 v2, 0
	s_branch .LBB39_839
.LBB39_834:
	v_mov_b64_e32 v[2:3], 0
	v_mov_b32_e32 v1, v0
                                        ; implicit-def: $vgpr4
.LBB39_835:
	s_and_b32 s24, s37, 3
	s_mov_b32 s1, 0
	s_cmp_eq_u32 s24, 0
	s_cbranch_scc1 .LBB39_839
; %bb.836:
	s_lshl_b32 s22, s0, 3
	s_mov_b32 s23, s1
	s_mul_u64 s[46:47], s[0:1], 12
	s_add_nc_u64 s[22:23], s[2:3], s[22:23]
	s_delay_alu instid0(SALU_CYCLE_1)
	s_add_nc_u64 s[0:1], s[22:23], 0xc4
	s_add_nc_u64 s[22:23], s[2:3], s[46:47]
.LBB39_837:                             ; =>This Inner Loop Header: Depth=1
	s_load_b96 s[48:50], s[22:23], 0x4
	s_load_b64 s[46:47], s[0:1], 0x0
	s_add_co_i32 s24, s24, -1
	s_wait_xcnt 0x0
	s_add_nc_u64 s[22:23], s[22:23], 12
	s_cmp_lg_u32 s24, 0
	s_add_nc_u64 s[0:1], s[0:1], 8
	s_wait_kmcnt 0x0
	v_mul_hi_u32 v4, s49, v1
	s_delay_alu instid0(VALU_DEP_1) | instskip(NEXT) | instid1(VALU_DEP_1)
	v_add_nc_u32_e32 v4, v1, v4
	v_lshrrev_b32_e32 v4, s50, v4
	s_delay_alu instid0(VALU_DEP_1) | instskip(NEXT) | instid1(VALU_DEP_1)
	v_mul_lo_u32 v5, v4, s48
	v_sub_nc_u32_e32 v1, v1, v5
	s_delay_alu instid0(VALU_DEP_1)
	v_mad_u32 v3, v1, s47, v3
	v_mad_u32 v2, v1, s46, v2
	v_mov_b32_e32 v1, v4
	s_cbranch_scc1 .LBB39_837
; %bb.838:
	s_delay_alu instid0(VALU_DEP_3)
	v_mov_b32_e32 v4, v3
.LBB39_839:
	s_mov_b32 s0, 0
.LBB39_840:
	s_delay_alu instid0(SALU_CYCLE_1)
	s_and_not1_b32 vcc_lo, exec_lo, s0
	s_cbranch_vccnz .LBB39_843
; %bb.841:
	v_mov_b32_e32 v1, 0
	s_and_not1_b32 vcc_lo, exec_lo, s35
	s_delay_alu instid0(VALU_DEP_1) | instskip(NEXT) | instid1(VALU_DEP_1)
	v_mul_u64_e32 v[2:3], s[16:17], v[0:1]
	v_add_nc_u32_e32 v2, v0, v3
	s_wait_loadcnt 0x0
	s_delay_alu instid0(VALU_DEP_1) | instskip(NEXT) | instid1(VALU_DEP_1)
	v_lshrrev_b32_e32 v6, s14, v2
	v_mul_lo_u32 v2, v6, s12
	s_delay_alu instid0(VALU_DEP_1) | instskip(NEXT) | instid1(VALU_DEP_1)
	v_sub_nc_u32_e32 v0, v0, v2
	v_mul_lo_u32 v4, v0, s9
	v_mul_lo_u32 v2, v0, s8
	s_cbranch_vccnz .LBB39_843
; %bb.842:
	v_mov_b32_e32 v7, v1
	s_delay_alu instid0(VALU_DEP_1) | instskip(NEXT) | instid1(VALU_DEP_1)
	v_mul_u64_e32 v[0:1], s[20:21], v[6:7]
	v_add_nc_u32_e32 v0, v6, v1
	s_delay_alu instid0(VALU_DEP_1) | instskip(NEXT) | instid1(VALU_DEP_1)
	v_lshrrev_b32_e32 v0, s19, v0
	v_mul_lo_u32 v0, v0, s15
	s_delay_alu instid0(VALU_DEP_1) | instskip(NEXT) | instid1(VALU_DEP_1)
	v_sub_nc_u32_e32 v0, v6, v0
	v_mad_u32 v2, v0, s10, v2
	v_mad_u32 v4, v0, s11, v4
.LBB39_843:
	v_mov_b32_e32 v5, 0
	s_and_b32 s0, 0xffff, s13
	s_delay_alu instid0(SALU_CYCLE_1) | instskip(NEXT) | instid1(VALU_DEP_1)
	s_cmp_lt_i32 s0, 11
	v_add_nc_u64_e32 v[4:5], s[6:7], v[4:5]
	s_cbranch_scc1 .LBB39_850
; %bb.844:
	s_cmp_gt_i32 s0, 25
	s_mov_b32 s6, 0
	s_cbranch_scc0 .LBB39_851
; %bb.845:
	s_cmp_gt_i32 s0, 28
	s_cbranch_scc0 .LBB39_852
; %bb.846:
	s_cmp_gt_i32 s0, 43
	;; [unrolled: 3-line block ×3, first 2 shown]
	s_cbranch_scc0 .LBB39_856
; %bb.848:
	s_cmp_eq_u32 s0, 46
	s_mov_b32 s8, 0
	s_cbranch_scc0 .LBB39_859
; %bb.849:
	global_load_b32 v0, v[4:5], off
	s_mov_b32 s1, 0
	s_mov_b32 s7, -1
	s_wait_loadcnt 0x0
	v_lshlrev_b32_e32 v0, 16, v0
	s_delay_alu instid0(VALU_DEP_1)
	v_cvt_f64_f32_e32 v[6:7], v0
	s_branch .LBB39_861
.LBB39_850:
	s_mov_b32 s0, -1
	s_mov_b32 s7, 0
	s_mov_b32 s6, 0
	;; [unrolled: 1-line block ×3, first 2 shown]
                                        ; implicit-def: $vgpr6_vgpr7
	s_branch .LBB39_924
.LBB39_851:
	s_mov_b32 s8, -1
	s_mov_b32 s7, 0
	s_mov_b32 s1, s26
                                        ; implicit-def: $vgpr6_vgpr7
	s_branch .LBB39_890
.LBB39_852:
	s_mov_b32 s8, -1
	s_mov_b32 s7, 0
	s_mov_b32 s1, s26
                                        ; implicit-def: $vgpr6_vgpr7
	s_branch .LBB39_871
.LBB39_853:
	s_mov_b32 s8, -1
	s_mov_b32 s7, 0
	s_mov_b32 s1, s26
                                        ; implicit-def: $vgpr6_vgpr7
	s_branch .LBB39_866
.LBB39_854:
	s_and_not1_saveexec_b32 s46, s46
	s_cbranch_execz .LBB39_732
.LBB39_855:
	v_add_f32_e32 v1, 0x46000000, v4
	s_and_not1_b32 s45, s45, exec_lo
	s_delay_alu instid0(VALU_DEP_1) | instskip(NEXT) | instid1(VALU_DEP_1)
	v_and_b32_e32 v1, 0xff, v1
	v_cmp_ne_u32_e32 vcc_lo, 0, v1
	s_and_b32 s47, vcc_lo, exec_lo
	s_delay_alu instid0(SALU_CYCLE_1)
	s_or_b32 s45, s45, s47
	s_or_b32 exec_lo, exec_lo, s46
	v_mov_b32_e32 v5, 0
	s_and_saveexec_b32 s46, s45
	s_cbranch_execnz .LBB39_733
	s_branch .LBB39_734
.LBB39_856:
	s_mov_b32 s8, -1
	s_mov_b32 s7, 0
	s_mov_b32 s1, s26
	s_branch .LBB39_860
.LBB39_857:
	s_and_not1_saveexec_b32 s46, s46
	s_cbranch_execz .LBB39_745
.LBB39_858:
	v_add_f32_e32 v1, 0x42800000, v4
	s_and_not1_b32 s45, s45, exec_lo
	s_delay_alu instid0(VALU_DEP_1) | instskip(NEXT) | instid1(VALU_DEP_1)
	v_and_b32_e32 v1, 0xff, v1
	v_cmp_ne_u32_e32 vcc_lo, 0, v1
	s_and_b32 s47, vcc_lo, exec_lo
	s_delay_alu instid0(SALU_CYCLE_1)
	s_or_b32 s45, s45, s47
	s_or_b32 exec_lo, exec_lo, s46
	v_mov_b32_e32 v5, 0
	s_and_saveexec_b32 s46, s45
	s_cbranch_execnz .LBB39_746
	s_branch .LBB39_747
.LBB39_859:
	s_mov_b32 s1, -1
	s_mov_b32 s7, 0
.LBB39_860:
                                        ; implicit-def: $vgpr6_vgpr7
.LBB39_861:
	s_and_b32 vcc_lo, exec_lo, s8
	s_cbranch_vccz .LBB39_865
; %bb.862:
	s_cmp_eq_u32 s0, 44
	s_cbranch_scc0 .LBB39_864
; %bb.863:
	global_load_u8 v3, v[4:5], off
	s_mov_b32 s1, 0
	s_mov_b32 s7, -1
	s_wait_loadcnt 0x0
	v_cmp_ne_u32_e32 vcc_lo, 0xff, v3
	v_lshlrev_b32_e32 v0, 23, v3
	s_delay_alu instid0(VALU_DEP_1) | instskip(NEXT) | instid1(VALU_DEP_1)
	v_cvt_f64_f32_e32 v[0:1], v0
	v_cndmask_b32_e32 v0, 0x20000000, v0, vcc_lo
	s_delay_alu instid0(VALU_DEP_2) | instskip(SKIP_1) | instid1(VALU_DEP_2)
	v_cndmask_b32_e32 v1, 0x7ff80000, v1, vcc_lo
	v_cmp_ne_u32_e32 vcc_lo, 0, v3
	v_cndmask_b32_e32 v7, 0x38000000, v1, vcc_lo
	s_delay_alu instid0(VALU_DEP_4)
	v_cndmask_b32_e32 v6, 0, v0, vcc_lo
	s_branch .LBB39_865
.LBB39_864:
	s_mov_b32 s1, -1
                                        ; implicit-def: $vgpr6_vgpr7
.LBB39_865:
	s_mov_b32 s8, 0
.LBB39_866:
	s_delay_alu instid0(SALU_CYCLE_1)
	s_and_b32 vcc_lo, exec_lo, s8
	s_cbranch_vccz .LBB39_870
; %bb.867:
	s_cmp_eq_u32 s0, 29
	s_cbranch_scc0 .LBB39_869
; %bb.868:
	global_load_b64 v[0:1], v[4:5], off
	s_mov_b32 s1, 0
	s_mov_b32 s7, -1
	s_mov_b32 s8, 0
	s_wait_loadcnt 0x0
	v_cvt_f64_u32_e32 v[6:7], v1
	v_cvt_f64_u32_e32 v[0:1], v0
	s_delay_alu instid0(VALU_DEP_2) | instskip(NEXT) | instid1(VALU_DEP_1)
	v_ldexp_f64 v[6:7], v[6:7], 32
	v_add_f64_e32 v[6:7], v[6:7], v[0:1]
	s_branch .LBB39_871
.LBB39_869:
	s_mov_b32 s1, -1
                                        ; implicit-def: $vgpr6_vgpr7
.LBB39_870:
	s_mov_b32 s8, 0
.LBB39_871:
	s_delay_alu instid0(SALU_CYCLE_1)
	s_and_b32 vcc_lo, exec_lo, s8
	s_cbranch_vccz .LBB39_889
; %bb.872:
	s_cmp_lt_i32 s0, 27
	s_cbranch_scc1 .LBB39_875
; %bb.873:
	s_cmp_gt_i32 s0, 27
	s_cbranch_scc0 .LBB39_876
; %bb.874:
	global_load_b32 v0, v[4:5], off
	s_mov_b32 s7, 0
	s_wait_loadcnt 0x0
	v_cvt_f64_u32_e32 v[6:7], v0
	s_branch .LBB39_877
.LBB39_875:
	s_mov_b32 s7, -1
                                        ; implicit-def: $vgpr6_vgpr7
	s_branch .LBB39_880
.LBB39_876:
	s_mov_b32 s7, -1
                                        ; implicit-def: $vgpr6_vgpr7
.LBB39_877:
	s_delay_alu instid0(SALU_CYCLE_1)
	s_and_not1_b32 vcc_lo, exec_lo, s7
	s_cbranch_vccnz .LBB39_879
; %bb.878:
	global_load_u16 v0, v[4:5], off
	s_wait_loadcnt 0x0
	v_cvt_f64_u32_e32 v[6:7], v0
.LBB39_879:
	s_mov_b32 s7, 0
.LBB39_880:
	s_delay_alu instid0(SALU_CYCLE_1)
	s_and_not1_b32 vcc_lo, exec_lo, s7
	s_cbranch_vccnz .LBB39_888
; %bb.881:
	global_load_u8 v0, v[4:5], off
	s_mov_b32 s7, 0
	s_mov_b32 s8, exec_lo
	s_wait_loadcnt 0x0
	v_cmpx_lt_i16_e32 0x7f, v0
	s_xor_b32 s8, exec_lo, s8
	s_cbranch_execz .LBB39_902
; %bb.882:
	s_mov_b32 s7, -1
	s_mov_b32 s9, exec_lo
	v_cmpx_eq_u16_e32 0x80, v0
; %bb.883:
	s_xor_b32 s7, exec_lo, -1
; %bb.884:
	s_or_b32 exec_lo, exec_lo, s9
	s_delay_alu instid0(SALU_CYCLE_1)
	s_and_b32 s7, s7, exec_lo
	s_or_saveexec_b32 s8, s8
	v_mov_b64_e32 v[6:7], 0x7ff8000020000000
	s_xor_b32 exec_lo, exec_lo, s8
	s_cbranch_execnz .LBB39_903
.LBB39_885:
	s_or_b32 exec_lo, exec_lo, s8
	s_and_saveexec_b32 s8, s7
	s_cbranch_execz .LBB39_887
.LBB39_886:
	v_and_b32_e32 v1, 0xffff, v0
	s_delay_alu instid0(VALU_DEP_1) | instskip(SKIP_1) | instid1(VALU_DEP_2)
	v_and_b32_e32 v3, 7, v1
	v_bfe_u32 v8, v1, 3, 4
	v_clz_i32_u32_e32 v6, v3
	s_delay_alu instid0(VALU_DEP_2) | instskip(NEXT) | instid1(VALU_DEP_2)
	v_cmp_eq_u32_e32 vcc_lo, 0, v8
	v_min_u32_e32 v6, 32, v6
	s_delay_alu instid0(VALU_DEP_1) | instskip(NEXT) | instid1(VALU_DEP_1)
	v_subrev_nc_u32_e32 v7, 28, v6
	v_dual_lshlrev_b32 v1, v7, v1 :: v_dual_sub_nc_u32 v6, 29, v6
	s_delay_alu instid0(VALU_DEP_1) | instskip(NEXT) | instid1(VALU_DEP_1)
	v_dual_lshlrev_b32 v0, 24, v0 :: v_dual_bitop2_b32 v1, 7, v1 bitop3:0x40
	v_dual_cndmask_b32 v6, v8, v6 :: v_dual_cndmask_b32 v1, v3, v1
	s_delay_alu instid0(VALU_DEP_2) | instskip(NEXT) | instid1(VALU_DEP_2)
	v_and_b32_e32 v0, 0x80000000, v0
	v_lshl_add_u32 v3, v6, 23, 0x3b800000
	s_delay_alu instid0(VALU_DEP_3) | instskip(NEXT) | instid1(VALU_DEP_1)
	v_lshlrev_b32_e32 v1, 20, v1
	v_or3_b32 v0, v0, v3, v1
	s_delay_alu instid0(VALU_DEP_1)
	v_cvt_f64_f32_e32 v[6:7], v0
.LBB39_887:
	s_or_b32 exec_lo, exec_lo, s8
.LBB39_888:
	s_mov_b32 s7, -1
.LBB39_889:
	s_mov_b32 s8, 0
.LBB39_890:
	s_delay_alu instid0(SALU_CYCLE_1)
	s_and_b32 vcc_lo, exec_lo, s8
	s_cbranch_vccz .LBB39_923
; %bb.891:
	s_cmp_gt_i32 s0, 22
	s_cbranch_scc0 .LBB39_901
; %bb.892:
	s_cmp_lt_i32 s0, 24
	s_cbranch_scc1 .LBB39_904
; %bb.893:
	s_cmp_gt_i32 s0, 24
	s_cbranch_scc0 .LBB39_905
; %bb.894:
	global_load_u8 v0, v[4:5], off
	s_mov_b32 s7, exec_lo
	s_wait_loadcnt 0x0
	v_cmpx_lt_i16_e32 0x7f, v0
	s_xor_b32 s7, exec_lo, s7
	s_cbranch_execz .LBB39_917
; %bb.895:
	s_mov_b32 s6, -1
	s_mov_b32 s8, exec_lo
	v_cmpx_eq_u16_e32 0x80, v0
; %bb.896:
	s_xor_b32 s6, exec_lo, -1
; %bb.897:
	s_or_b32 exec_lo, exec_lo, s8
	s_delay_alu instid0(SALU_CYCLE_1)
	s_and_b32 s6, s6, exec_lo
	s_or_saveexec_b32 s7, s7
	v_mov_b64_e32 v[6:7], 0x7ff8000020000000
	s_xor_b32 exec_lo, exec_lo, s7
	s_cbranch_execnz .LBB39_918
.LBB39_898:
	s_or_b32 exec_lo, exec_lo, s7
	s_and_saveexec_b32 s7, s6
	s_cbranch_execz .LBB39_900
.LBB39_899:
	v_and_b32_e32 v1, 0xffff, v0
	s_delay_alu instid0(VALU_DEP_1) | instskip(SKIP_1) | instid1(VALU_DEP_2)
	v_and_b32_e32 v3, 3, v1
	v_bfe_u32 v8, v1, 2, 5
	v_clz_i32_u32_e32 v6, v3
	s_delay_alu instid0(VALU_DEP_2) | instskip(NEXT) | instid1(VALU_DEP_2)
	v_cmp_eq_u32_e32 vcc_lo, 0, v8
	v_min_u32_e32 v6, 32, v6
	s_delay_alu instid0(VALU_DEP_1) | instskip(NEXT) | instid1(VALU_DEP_1)
	v_subrev_nc_u32_e32 v7, 29, v6
	v_dual_lshlrev_b32 v1, v7, v1 :: v_dual_sub_nc_u32 v6, 30, v6
	s_delay_alu instid0(VALU_DEP_1) | instskip(NEXT) | instid1(VALU_DEP_1)
	v_dual_lshlrev_b32 v0, 24, v0 :: v_dual_bitop2_b32 v1, 3, v1 bitop3:0x40
	v_dual_cndmask_b32 v6, v8, v6 :: v_dual_cndmask_b32 v1, v3, v1
	s_delay_alu instid0(VALU_DEP_2) | instskip(NEXT) | instid1(VALU_DEP_2)
	v_and_b32_e32 v0, 0x80000000, v0
	v_lshl_add_u32 v3, v6, 23, 0x37800000
	s_delay_alu instid0(VALU_DEP_3) | instskip(NEXT) | instid1(VALU_DEP_1)
	v_lshlrev_b32_e32 v1, 21, v1
	v_or3_b32 v0, v0, v3, v1
	s_delay_alu instid0(VALU_DEP_1)
	v_cvt_f64_f32_e32 v[6:7], v0
.LBB39_900:
	s_or_b32 exec_lo, exec_lo, s7
	s_mov_b32 s6, 0
	s_branch .LBB39_906
.LBB39_901:
	s_mov_b32 s6, -1
                                        ; implicit-def: $vgpr6_vgpr7
	s_branch .LBB39_912
.LBB39_902:
	s_or_saveexec_b32 s8, s8
	v_mov_b64_e32 v[6:7], 0x7ff8000020000000
	s_xor_b32 exec_lo, exec_lo, s8
	s_cbranch_execz .LBB39_885
.LBB39_903:
	v_cmp_ne_u16_e32 vcc_lo, 0, v0
	v_mov_b64_e32 v[6:7], 0
	s_and_not1_b32 s7, s7, exec_lo
	s_and_b32 s9, vcc_lo, exec_lo
	s_delay_alu instid0(SALU_CYCLE_1)
	s_or_b32 s7, s7, s9
	s_or_b32 exec_lo, exec_lo, s8
	s_and_saveexec_b32 s8, s7
	s_cbranch_execnz .LBB39_886
	s_branch .LBB39_887
.LBB39_904:
	s_mov_b32 s6, -1
                                        ; implicit-def: $vgpr6_vgpr7
	s_branch .LBB39_909
.LBB39_905:
	s_mov_b32 s6, -1
                                        ; implicit-def: $vgpr6_vgpr7
.LBB39_906:
	s_delay_alu instid0(SALU_CYCLE_1)
	s_and_b32 vcc_lo, exec_lo, s6
	s_cbranch_vccz .LBB39_908
; %bb.907:
	global_load_u8 v0, v[4:5], off
	s_wait_loadcnt 0x0
	v_lshlrev_b32_e32 v0, 24, v0
	s_delay_alu instid0(VALU_DEP_1) | instskip(NEXT) | instid1(VALU_DEP_1)
	v_and_b32_e32 v1, 0x7f000000, v0
	v_clz_i32_u32_e32 v3, v1
	v_add_nc_u32_e32 v7, 0x1000000, v1
	v_cmp_ne_u32_e32 vcc_lo, 0, v1
	s_delay_alu instid0(VALU_DEP_3) | instskip(NEXT) | instid1(VALU_DEP_1)
	v_min_u32_e32 v3, 32, v3
	v_sub_nc_u32_e64 v3, v3, 4 clamp
	s_delay_alu instid0(VALU_DEP_1) | instskip(NEXT) | instid1(VALU_DEP_1)
	v_dual_lshlrev_b32 v6, v3, v1 :: v_dual_lshlrev_b32 v3, 23, v3
	v_lshrrev_b32_e32 v6, 4, v6
	s_delay_alu instid0(VALU_DEP_1) | instskip(SKIP_1) | instid1(VALU_DEP_2)
	v_sub_nc_u32_e32 v3, v6, v3
	v_ashrrev_i32_e32 v6, 8, v7
	v_add_nc_u32_e32 v3, 0x3c000000, v3
	s_delay_alu instid0(VALU_DEP_1) | instskip(NEXT) | instid1(VALU_DEP_1)
	v_and_or_b32 v3, 0x7f800000, v6, v3
	v_cndmask_b32_e32 v1, 0, v3, vcc_lo
	s_delay_alu instid0(VALU_DEP_1) | instskip(NEXT) | instid1(VALU_DEP_1)
	v_and_or_b32 v0, 0x80000000, v0, v1
	v_cvt_f64_f32_e32 v[6:7], v0
.LBB39_908:
	s_mov_b32 s6, 0
.LBB39_909:
	s_delay_alu instid0(SALU_CYCLE_1)
	s_and_not1_b32 vcc_lo, exec_lo, s6
	s_cbranch_vccnz .LBB39_911
; %bb.910:
	global_load_u8 v0, v[4:5], off
	s_wait_loadcnt 0x0
	v_lshlrev_b32_e32 v1, 25, v0
	v_lshlrev_b16 v0, 8, v0
	s_delay_alu instid0(VALU_DEP_1) | instskip(SKIP_1) | instid1(VALU_DEP_2)
	v_and_or_b32 v6, 0x7f00, v0, 0.5
	v_bfe_i32 v0, v0, 0, 16
	v_dual_add_f32 v6, -0.5, v6 :: v_dual_lshrrev_b32 v3, 4, v1
	v_cmp_gt_u32_e32 vcc_lo, 0x8000000, v1
	s_delay_alu instid0(VALU_DEP_2) | instskip(NEXT) | instid1(VALU_DEP_1)
	v_or_b32_e32 v3, 0x70000000, v3
	v_mul_f32_e32 v3, 0x7800000, v3
	s_delay_alu instid0(VALU_DEP_1) | instskip(NEXT) | instid1(VALU_DEP_1)
	v_cndmask_b32_e32 v1, v3, v6, vcc_lo
	v_and_or_b32 v0, 0x80000000, v0, v1
	s_delay_alu instid0(VALU_DEP_1)
	v_cvt_f64_f32_e32 v[6:7], v0
.LBB39_911:
	s_mov_b32 s6, 0
	s_mov_b32 s7, -1
.LBB39_912:
	s_and_not1_b32 vcc_lo, exec_lo, s6
	s_mov_b32 s6, 0
	s_cbranch_vccnz .LBB39_923
; %bb.913:
	s_cmp_gt_i32 s0, 14
	s_cbranch_scc0 .LBB39_916
; %bb.914:
	s_cmp_eq_u32 s0, 15
	s_cbranch_scc0 .LBB39_919
; %bb.915:
	global_load_u16 v0, v[4:5], off
	s_mov_b32 s1, 0
	s_mov_b32 s7, -1
	s_wait_loadcnt 0x0
	v_lshlrev_b32_e32 v0, 16, v0
	s_delay_alu instid0(VALU_DEP_1)
	v_cvt_f64_f32_e32 v[6:7], v0
	s_branch .LBB39_921
.LBB39_916:
	s_mov_b32 s6, -1
	s_branch .LBB39_920
.LBB39_917:
	s_or_saveexec_b32 s7, s7
	v_mov_b64_e32 v[6:7], 0x7ff8000020000000
	s_xor_b32 exec_lo, exec_lo, s7
	s_cbranch_execz .LBB39_898
.LBB39_918:
	v_cmp_ne_u16_e32 vcc_lo, 0, v0
	v_mov_b64_e32 v[6:7], 0
	s_and_not1_b32 s6, s6, exec_lo
	s_and_b32 s8, vcc_lo, exec_lo
	s_delay_alu instid0(SALU_CYCLE_1)
	s_or_b32 s6, s6, s8
	s_or_b32 exec_lo, exec_lo, s7
	s_and_saveexec_b32 s7, s6
	s_cbranch_execnz .LBB39_899
	s_branch .LBB39_900
.LBB39_919:
	s_mov_b32 s1, -1
.LBB39_920:
                                        ; implicit-def: $vgpr6_vgpr7
.LBB39_921:
	s_and_b32 vcc_lo, exec_lo, s6
	s_mov_b32 s6, 0
	s_cbranch_vccz .LBB39_923
; %bb.922:
	s_cmp_lg_u32 s0, 11
	s_mov_b32 s6, -1
	s_cselect_b32 s0, -1, 0
	s_and_not1_b32 s1, s1, exec_lo
	s_and_b32 s0, s0, exec_lo
	s_delay_alu instid0(SALU_CYCLE_1)
	s_or_b32 s1, s1, s0
.LBB39_923:
	s_mov_b32 s0, 0
.LBB39_924:
	s_and_b32 s24, s7, exec_lo
	s_and_not1_b32 s7, s26, exec_lo
	s_and_b32 s1, s1, exec_lo
	s_and_b32 s25, s0, exec_lo
	;; [unrolled: 1-line block ×3, first 2 shown]
	s_or_b32 s45, s7, s1
.LBB39_925:
	s_wait_xcnt 0x0
	s_or_b32 exec_lo, exec_lo, s36
	s_delay_alu instid0(SALU_CYCLE_1)
	s_and_not1_b32 s6, s26, exec_lo
	s_and_b32 s7, s45, exec_lo
	s_and_b32 s24, s24, exec_lo
	s_and_b32 s1, s25, exec_lo
	s_and_b32 s0, s0, exec_lo
	s_or_b32 s26, s6, s7
.LBB39_926:
	s_or_b32 exec_lo, exec_lo, s44
	s_delay_alu instid0(SALU_CYCLE_1)
	s_and_not1_b32 s6, s42, exec_lo
	s_and_b32 s7, s27, exec_lo
	s_and_b32 s25, s24, exec_lo
	s_or_b32 s42, s6, s7
	s_and_not1_b32 s6, s41, exec_lo
	s_and_b32 s7, s26, exec_lo
	s_and_b32 s24, s1, exec_lo
	;; [unrolled: 1-line block ×3, first 2 shown]
	s_or_b32 s41, s6, s7
.LBB39_927:
	s_or_b32 exec_lo, exec_lo, s43
	s_delay_alu instid0(SALU_CYCLE_1)
	s_and_not1_b32 s0, s18, exec_lo
	s_and_b32 s6, s42, exec_lo
	s_and_b32 s7, s41, exec_lo
	s_or_b32 s18, s0, s6
	s_and_not1_b32 s6, s39, exec_lo
	s_and_b32 s0, s25, exec_lo
	s_and_b32 s24, s24, exec_lo
	;; [unrolled: 1-line block ×3, first 2 shown]
	s_or_b32 s39, s6, s7
	s_or_b32 exec_lo, exec_lo, s40
	s_mov_b32 s1, 0
	s_and_saveexec_b32 s6, s39
	s_cbranch_execz .LBB39_276
.LBB39_928:
	s_mov_b32 s1, exec_lo
	s_and_not1_b32 s17, s17, exec_lo
	s_trap 2
	s_or_b32 exec_lo, exec_lo, s6
	s_and_saveexec_b32 s6, s17
	s_delay_alu instid0(SALU_CYCLE_1)
	s_xor_b32 s6, exec_lo, s6
	s_cbranch_execnz .LBB39_277
.LBB39_929:
	s_or_b32 exec_lo, exec_lo, s6
	s_and_saveexec_b32 s6, s24
	s_cbranch_execz .LBB39_975
.LBB39_930:
	s_sext_i32_i16 s7, s13
	s_delay_alu instid0(SALU_CYCLE_1)
	s_cmp_lt_i32 s7, 5
	s_cbranch_scc1 .LBB39_935
; %bb.931:
	s_cmp_lt_i32 s7, 8
	s_cbranch_scc1 .LBB39_936
; %bb.932:
	;; [unrolled: 3-line block ×3, first 2 shown]
	s_cmp_gt_i32 s7, 9
	s_cbranch_scc0 .LBB39_938
; %bb.934:
	s_wait_loadcnt 0x0
	global_load_b64 v[6:7], v[4:5], off
	s_mov_b32 s7, 0
	s_branch .LBB39_939
.LBB39_935:
                                        ; implicit-def: $vgpr6_vgpr7
	s_branch .LBB39_956
.LBB39_936:
                                        ; implicit-def: $vgpr6_vgpr7
	s_branch .LBB39_945
.LBB39_937:
	s_mov_b32 s7, -1
                                        ; implicit-def: $vgpr6_vgpr7
	s_branch .LBB39_942
.LBB39_938:
	s_mov_b32 s7, -1
                                        ; implicit-def: $vgpr6_vgpr7
.LBB39_939:
	s_delay_alu instid0(SALU_CYCLE_1)
	s_and_not1_b32 vcc_lo, exec_lo, s7
	s_cbranch_vccnz .LBB39_941
; %bb.940:
	global_load_b32 v0, v[4:5], off
	s_wait_loadcnt 0x0
	v_cvt_f64_f32_e32 v[6:7], v0
.LBB39_941:
	s_mov_b32 s7, 0
.LBB39_942:
	s_delay_alu instid0(SALU_CYCLE_1)
	s_and_not1_b32 vcc_lo, exec_lo, s7
	s_cbranch_vccnz .LBB39_944
; %bb.943:
	global_load_b32 v0, v[4:5], off
	s_wait_loadcnt 0x0
	v_cvt_f32_f16_e32 v0, v0
	s_delay_alu instid0(VALU_DEP_1)
	v_cvt_f64_f32_e32 v[6:7], v0
.LBB39_944:
	s_cbranch_execnz .LBB39_955
.LBB39_945:
	s_sext_i32_i16 s7, s13
	s_delay_alu instid0(SALU_CYCLE_1)
	s_cmp_lt_i32 s7, 6
	s_cbranch_scc1 .LBB39_948
; %bb.946:
	s_cmp_gt_i32 s7, 6
	s_cbranch_scc0 .LBB39_949
; %bb.947:
	s_wait_loadcnt 0x0
	global_load_b64 v[6:7], v[4:5], off
	s_mov_b32 s7, 0
	s_branch .LBB39_950
.LBB39_948:
	s_mov_b32 s7, -1
                                        ; implicit-def: $vgpr6_vgpr7
	s_branch .LBB39_953
.LBB39_949:
	s_mov_b32 s7, -1
                                        ; implicit-def: $vgpr6_vgpr7
.LBB39_950:
	s_delay_alu instid0(SALU_CYCLE_1)
	s_and_not1_b32 vcc_lo, exec_lo, s7
	s_cbranch_vccnz .LBB39_952
; %bb.951:
	global_load_b32 v0, v[4:5], off
	s_wait_loadcnt 0x0
	v_cvt_f64_f32_e32 v[6:7], v0
.LBB39_952:
	s_mov_b32 s7, 0
.LBB39_953:
	s_delay_alu instid0(SALU_CYCLE_1)
	s_and_not1_b32 vcc_lo, exec_lo, s7
	s_cbranch_vccnz .LBB39_955
; %bb.954:
	global_load_u16 v0, v[4:5], off
	s_wait_loadcnt 0x0
	v_cvt_f32_f16_e32 v0, v0
	s_delay_alu instid0(VALU_DEP_1)
	v_cvt_f64_f32_e32 v[6:7], v0
.LBB39_955:
	s_cbranch_execnz .LBB39_974
.LBB39_956:
	s_sext_i32_i16 s7, s13
	s_delay_alu instid0(SALU_CYCLE_1)
	s_cmp_lt_i32 s7, 2
	s_cbranch_scc1 .LBB39_960
; %bb.957:
	s_cmp_lt_i32 s7, 3
	s_cbranch_scc1 .LBB39_961
; %bb.958:
	s_cmp_gt_i32 s7, 3
	s_cbranch_scc0 .LBB39_962
; %bb.959:
	global_load_b64 v[0:1], v[4:5], off
	s_mov_b32 s7, 0
	s_wait_loadcnt 0x0
	v_cvt_f64_i32_e32 v[6:7], v1
	v_cvt_f64_u32_e32 v[0:1], v0
	s_delay_alu instid0(VALU_DEP_2) | instskip(NEXT) | instid1(VALU_DEP_1)
	v_ldexp_f64 v[6:7], v[6:7], 32
	v_add_f64_e32 v[6:7], v[6:7], v[0:1]
	s_branch .LBB39_963
.LBB39_960:
                                        ; implicit-def: $vgpr6_vgpr7
	s_branch .LBB39_969
.LBB39_961:
	s_mov_b32 s7, -1
                                        ; implicit-def: $vgpr6_vgpr7
	s_branch .LBB39_966
.LBB39_962:
	s_mov_b32 s7, -1
                                        ; implicit-def: $vgpr6_vgpr7
.LBB39_963:
	s_delay_alu instid0(SALU_CYCLE_1)
	s_and_not1_b32 vcc_lo, exec_lo, s7
	s_cbranch_vccnz .LBB39_965
; %bb.964:
	global_load_b32 v0, v[4:5], off
	s_wait_loadcnt 0x0
	v_cvt_f64_i32_e32 v[6:7], v0
.LBB39_965:
	s_mov_b32 s7, 0
.LBB39_966:
	s_delay_alu instid0(SALU_CYCLE_1)
	s_and_not1_b32 vcc_lo, exec_lo, s7
	s_cbranch_vccnz .LBB39_968
; %bb.967:
	global_load_i16 v0, v[4:5], off
	s_wait_loadcnt 0x0
	v_cvt_f64_i32_e32 v[6:7], v0
.LBB39_968:
	s_cbranch_execnz .LBB39_974
.LBB39_969:
	s_sext_i32_i16 s7, s13
	s_delay_alu instid0(SALU_CYCLE_1)
	s_cmp_gt_i32 s7, 0
	s_mov_b32 s7, 0
	s_cbranch_scc0 .LBB39_971
; %bb.970:
	global_load_i8 v0, v[4:5], off
	s_wait_loadcnt 0x0
	v_cvt_f64_i32_e32 v[6:7], v0
	s_branch .LBB39_972
.LBB39_971:
	s_mov_b32 s7, -1
                                        ; implicit-def: $vgpr6_vgpr7
.LBB39_972:
	s_delay_alu instid0(SALU_CYCLE_1)
	s_and_not1_b32 vcc_lo, exec_lo, s7
	s_cbranch_vccnz .LBB39_974
; %bb.973:
	global_load_u8 v0, v[4:5], off
	s_wait_loadcnt 0x0
	v_cvt_f64_u32_e32 v[6:7], v0
.LBB39_974:
	s_or_b32 s0, s0, exec_lo
.LBB39_975:
	s_wait_xcnt 0x0
	s_or_b32 exec_lo, exec_lo, s6
	s_mov_b32 s10, 0
	s_mov_b32 s9, 0
                                        ; implicit-def: $sgpr6
                                        ; implicit-def: $sgpr7
                                        ; implicit-def: $vgpr0_vgpr1
	s_and_saveexec_b32 s8, s0
	s_cbranch_execz .LBB39_983
; %bb.976:
	s_wait_loadcnt 0x0
	s_delay_alu instid0(VALU_DEP_1) | instskip(SKIP_2) | instid1(SALU_CYCLE_1)
	v_cmp_eq_f64_e64 s6, 0x7ff00000, v[6:7]
	v_mov_b32_e32 v3, 0
	s_and_b32 s7, s34, 0xff
	s_cmp_lt_i32 s7, 11
	s_delay_alu instid0(VALU_DEP_1)
	v_add_nc_u64_e32 v[0:1], s[4:5], v[2:3]
	s_cbranch_scc1 .LBB39_986
; %bb.977:
	s_and_b32 s4, 0xffff, s7
	s_mov_b32 s5, -1
	s_cmp_gt_i32 s4, 25
	s_mov_b32 s0, s18
	s_cbranch_scc0 .LBB39_1014
; %bb.978:
	s_cmp_gt_i32 s4, 28
	s_mov_b32 s0, s18
	s_cbranch_scc0 .LBB39_998
; %bb.979:
	;; [unrolled: 4-line block ×4, first 2 shown]
	s_cmp_eq_u32 s4, 46
	s_mov_b32 s0, -1
	s_cbranch_scc0 .LBB39_987
; %bb.982:
	v_cndmask_b32_e64 v2, 0, 1.0, s6
	s_mov_b32 s0, 0
	s_mov_b32 s5, 0
	s_delay_alu instid0(VALU_DEP_1) | instskip(NEXT) | instid1(VALU_DEP_1)
	v_bfe_u32 v3, v2, 16, 1
	v_add3_u32 v2, v2, v3, 0x7fff
	s_delay_alu instid0(VALU_DEP_1)
	v_lshrrev_b32_e32 v2, 16, v2
	global_store_b32 v[0:1], v2, off
	s_branch .LBB39_988
.LBB39_983:
	s_or_b32 exec_lo, exec_lo, s8
	s_and_saveexec_b32 s0, s18
	s_cbranch_execnz .LBB39_1056
.LBB39_984:
	s_or_b32 exec_lo, exec_lo, s0
	s_and_saveexec_b32 s0, s10
	s_delay_alu instid0(SALU_CYCLE_1)
	s_xor_b32 s0, exec_lo, s0
	s_cbranch_execz .LBB39_1057
.LBB39_985:
	v_cndmask_b32_e64 v2, 0, 1, s6
	global_store_b8 v[0:1], v2, off
	s_wait_xcnt 0x0
	s_or_b32 exec_lo, exec_lo, s0
	s_and_saveexec_b32 s0, s9
	s_delay_alu instid0(SALU_CYCLE_1)
	s_xor_b32 s0, exec_lo, s0
	s_cbranch_execz .LBB39_1095
	s_branch .LBB39_1058
.LBB39_986:
	s_mov_b32 s5, -1
	s_mov_b32 s0, s18
	s_branch .LBB39_1055
.LBB39_987:
	s_mov_b32 s5, 0
.LBB39_988:
	s_delay_alu instid0(SALU_CYCLE_1)
	s_and_b32 vcc_lo, exec_lo, s5
	s_cbranch_vccz .LBB39_993
; %bb.989:
	s_cmp_eq_u32 s4, 44
	s_mov_b32 s0, -1
	s_cbranch_scc0 .LBB39_993
; %bb.990:
	v_cndmask_b32_e64 v4, 0, 1.0, s6
	s_mov_b32 s5, exec_lo
	s_wait_xcnt 0x0
	s_delay_alu instid0(VALU_DEP_1) | instskip(NEXT) | instid1(VALU_DEP_1)
	v_dual_mov_b32 v3, 0xff :: v_dual_lshrrev_b32 v2, 23, v4
	v_cmpx_ne_u32_e32 0xff, v2
; %bb.991:
	v_and_b32_e32 v3, 0x400000, v4
	v_and_or_b32 v4, 0x3fffff, v4, v2
	s_delay_alu instid0(VALU_DEP_2) | instskip(NEXT) | instid1(VALU_DEP_2)
	v_cmp_ne_u32_e32 vcc_lo, 0, v3
	v_cmp_ne_u32_e64 s0, 0, v4
	s_and_b32 s0, vcc_lo, s0
	s_delay_alu instid0(SALU_CYCLE_1) | instskip(NEXT) | instid1(VALU_DEP_1)
	v_cndmask_b32_e64 v3, 0, 1, s0
	v_add_nc_u32_e32 v3, v2, v3
; %bb.992:
	s_or_b32 exec_lo, exec_lo, s5
	s_mov_b32 s0, 0
	global_store_b8 v[0:1], v3, off
.LBB39_993:
	s_mov_b32 s5, 0
.LBB39_994:
	s_delay_alu instid0(SALU_CYCLE_1)
	s_and_b32 vcc_lo, exec_lo, s5
	s_cbranch_vccz .LBB39_997
; %bb.995:
	s_cmp_eq_u32 s4, 29
	s_mov_b32 s0, -1
	s_cbranch_scc0 .LBB39_997
; %bb.996:
	s_mov_b32 s0, 0
	s_wait_xcnt 0x0
	v_cndmask_b32_e64 v2, 0, 1, s6
	v_mov_b32_e32 v3, s0
	s_mov_b32 s5, 0
	global_store_b64 v[0:1], v[2:3], off
	s_branch .LBB39_998
.LBB39_997:
	s_mov_b32 s5, 0
.LBB39_998:
	s_delay_alu instid0(SALU_CYCLE_1)
	s_and_b32 vcc_lo, exec_lo, s5
	s_cbranch_vccz .LBB39_1013
; %bb.999:
	s_cmp_lt_i32 s4, 27
	s_mov_b32 s5, -1
	s_cbranch_scc1 .LBB39_1005
; %bb.1000:
	s_cmp_gt_i32 s4, 27
	s_cbranch_scc0 .LBB39_1002
; %bb.1001:
	s_wait_xcnt 0x0
	v_cndmask_b32_e64 v2, 0, 1, s6
	s_mov_b32 s5, 0
	global_store_b32 v[0:1], v2, off
.LBB39_1002:
	s_and_not1_b32 vcc_lo, exec_lo, s5
	s_cbranch_vccnz .LBB39_1004
; %bb.1003:
	s_wait_xcnt 0x0
	v_cndmask_b32_e64 v2, 0, 1, s6
	global_store_b16 v[0:1], v2, off
.LBB39_1004:
	s_mov_b32 s5, 0
.LBB39_1005:
	s_delay_alu instid0(SALU_CYCLE_1)
	s_and_not1_b32 vcc_lo, exec_lo, s5
	s_cbranch_vccnz .LBB39_1013
; %bb.1006:
	s_wait_xcnt 0x0
	v_cndmask_b32_e64 v3, 0, 1.0, s6
	v_mov_b32_e32 v4, 0x80
	s_mov_b32 s5, exec_lo
	s_delay_alu instid0(VALU_DEP_2)
	v_cmpx_gt_u32_e32 0x43800000, v3
	s_cbranch_execz .LBB39_1012
; %bb.1007:
	s_mov_b32 s10, exec_lo
                                        ; implicit-def: $vgpr2
	v_cmpx_lt_u32_e32 0x3bffffff, v3
	s_xor_b32 s10, exec_lo, s10
	s_cbranch_execz .LBB39_1170
; %bb.1008:
	v_bfe_u32 v2, v3, 20, 1
	s_mov_b32 s9, exec_lo
	s_delay_alu instid0(VALU_DEP_1) | instskip(NEXT) | instid1(VALU_DEP_1)
	v_add3_u32 v2, v3, v2, 0x487ffff
                                        ; implicit-def: $vgpr3
	v_lshrrev_b32_e32 v2, 20, v2
	s_and_not1_saveexec_b32 s10, s10
	s_cbranch_execnz .LBB39_1171
.LBB39_1009:
	s_or_b32 exec_lo, exec_lo, s10
	v_mov_b32_e32 v4, 0
	s_and_saveexec_b32 s10, s9
.LBB39_1010:
	v_mov_b32_e32 v4, v2
.LBB39_1011:
	s_or_b32 exec_lo, exec_lo, s10
.LBB39_1012:
	s_delay_alu instid0(SALU_CYCLE_1)
	s_or_b32 exec_lo, exec_lo, s5
	global_store_b8 v[0:1], v4, off
.LBB39_1013:
	s_mov_b32 s5, 0
.LBB39_1014:
	s_delay_alu instid0(SALU_CYCLE_1)
	s_and_b32 vcc_lo, exec_lo, s5
	s_mov_b32 s5, 0
	s_cbranch_vccz .LBB39_1054
; %bb.1015:
	s_cmp_gt_i32 s4, 22
	s_mov_b32 s9, -1
	s_cbranch_scc0 .LBB39_1047
; %bb.1016:
	s_cmp_lt_i32 s4, 24
	s_cbranch_scc1 .LBB39_1036
; %bb.1017:
	s_cmp_gt_i32 s4, 24
	s_cbranch_scc0 .LBB39_1025
; %bb.1018:
	s_wait_xcnt 0x0
	v_cndmask_b32_e64 v3, 0, 1.0, s6
	v_mov_b32_e32 v4, 0x80
	s_mov_b32 s9, exec_lo
	s_delay_alu instid0(VALU_DEP_2)
	v_cmpx_gt_u32_e32 0x47800000, v3
	s_cbranch_execz .LBB39_1024
; %bb.1019:
	s_mov_b32 s10, 0
	s_mov_b32 s11, exec_lo
                                        ; implicit-def: $vgpr2
	v_cmpx_lt_u32_e32 0x37ffffff, v3
	s_xor_b32 s11, exec_lo, s11
	s_cbranch_execz .LBB39_1296
; %bb.1020:
	v_bfe_u32 v2, v3, 21, 1
	s_mov_b32 s10, exec_lo
	s_delay_alu instid0(VALU_DEP_1) | instskip(NEXT) | instid1(VALU_DEP_1)
	v_add3_u32 v2, v3, v2, 0x88fffff
                                        ; implicit-def: $vgpr3
	v_lshrrev_b32_e32 v2, 21, v2
	s_and_not1_saveexec_b32 s11, s11
	s_cbranch_execnz .LBB39_1297
.LBB39_1021:
	s_or_b32 exec_lo, exec_lo, s11
	v_mov_b32_e32 v4, 0
	s_and_saveexec_b32 s11, s10
.LBB39_1022:
	v_mov_b32_e32 v4, v2
.LBB39_1023:
	s_or_b32 exec_lo, exec_lo, s11
.LBB39_1024:
	s_delay_alu instid0(SALU_CYCLE_1)
	s_or_b32 exec_lo, exec_lo, s9
	s_mov_b32 s9, 0
	global_store_b8 v[0:1], v4, off
.LBB39_1025:
	s_and_b32 vcc_lo, exec_lo, s9
	s_cbranch_vccz .LBB39_1035
; %bb.1026:
	s_wait_xcnt 0x0
	v_cndmask_b32_e64 v3, 0, 1.0, s6
	s_mov_b32 s9, exec_lo
                                        ; implicit-def: $vgpr2
	s_delay_alu instid0(VALU_DEP_1)
	v_cmpx_gt_u32_e32 0x43f00000, v3
	s_xor_b32 s9, exec_lo, s9
	s_cbranch_execz .LBB39_1032
; %bb.1027:
	s_mov_b32 s10, exec_lo
                                        ; implicit-def: $vgpr2
	v_cmpx_lt_u32_e32 0x3c7fffff, v3
	s_xor_b32 s10, exec_lo, s10
; %bb.1028:
	v_bfe_u32 v2, v3, 20, 1
	s_delay_alu instid0(VALU_DEP_1) | instskip(NEXT) | instid1(VALU_DEP_1)
	v_add3_u32 v2, v3, v2, 0x407ffff
	v_and_b32_e32 v3, 0xff00000, v2
	v_lshrrev_b32_e32 v2, 20, v2
	s_delay_alu instid0(VALU_DEP_2) | instskip(NEXT) | instid1(VALU_DEP_2)
	v_cmp_ne_u32_e32 vcc_lo, 0x7f00000, v3
                                        ; implicit-def: $vgpr3
	v_cndmask_b32_e32 v2, 0x7e, v2, vcc_lo
; %bb.1029:
	s_and_not1_saveexec_b32 s10, s10
; %bb.1030:
	v_add_f32_e32 v2, 0x46800000, v3
; %bb.1031:
	s_or_b32 exec_lo, exec_lo, s10
                                        ; implicit-def: $vgpr3
.LBB39_1032:
	s_and_not1_saveexec_b32 s9, s9
; %bb.1033:
	v_mov_b32_e32 v2, 0x7f
	v_cmp_lt_u32_e32 vcc_lo, 0x7f800000, v3
	s_delay_alu instid0(VALU_DEP_2)
	v_cndmask_b32_e32 v2, 0x7e, v2, vcc_lo
; %bb.1034:
	s_or_b32 exec_lo, exec_lo, s9
	global_store_b8 v[0:1], v2, off
.LBB39_1035:
	s_mov_b32 s9, 0
.LBB39_1036:
	s_delay_alu instid0(SALU_CYCLE_1)
	s_and_not1_b32 vcc_lo, exec_lo, s9
	s_cbranch_vccnz .LBB39_1046
; %bb.1037:
	s_wait_xcnt 0x0
	v_cndmask_b32_e64 v3, 0, 1.0, s6
	s_mov_b32 s9, exec_lo
                                        ; implicit-def: $vgpr2
	s_delay_alu instid0(VALU_DEP_1)
	v_cmpx_gt_u32_e32 0x47800000, v3
	s_xor_b32 s9, exec_lo, s9
	s_cbranch_execz .LBB39_1043
; %bb.1038:
	s_mov_b32 s10, exec_lo
                                        ; implicit-def: $vgpr2
	v_cmpx_lt_u32_e32 0x387fffff, v3
	s_xor_b32 s10, exec_lo, s10
; %bb.1039:
	v_bfe_u32 v2, v3, 21, 1
	s_delay_alu instid0(VALU_DEP_1) | instskip(NEXT) | instid1(VALU_DEP_1)
	v_add3_u32 v2, v3, v2, 0x80fffff
                                        ; implicit-def: $vgpr3
	v_lshrrev_b32_e32 v2, 21, v2
; %bb.1040:
	s_and_not1_saveexec_b32 s10, s10
; %bb.1041:
	v_add_f32_e32 v2, 0x43000000, v3
; %bb.1042:
	s_or_b32 exec_lo, exec_lo, s10
                                        ; implicit-def: $vgpr3
.LBB39_1043:
	s_and_not1_saveexec_b32 s9, s9
; %bb.1044:
	v_mov_b32_e32 v2, 0x7f
	v_cmp_lt_u32_e32 vcc_lo, 0x7f800000, v3
	s_delay_alu instid0(VALU_DEP_2)
	v_cndmask_b32_e32 v2, 0x7c, v2, vcc_lo
; %bb.1045:
	s_or_b32 exec_lo, exec_lo, s9
	global_store_b8 v[0:1], v2, off
.LBB39_1046:
	s_mov_b32 s9, 0
.LBB39_1047:
	s_delay_alu instid0(SALU_CYCLE_1)
	s_and_not1_b32 vcc_lo, exec_lo, s9
	s_mov_b32 s10, 0
	s_cbranch_vccnz .LBB39_1055
; %bb.1048:
	s_cmp_gt_i32 s4, 14
	s_mov_b32 s9, -1
	s_cbranch_scc0 .LBB39_1052
; %bb.1049:
	s_cmp_eq_u32 s4, 15
	s_mov_b32 s0, -1
	s_cbranch_scc0 .LBB39_1051
; %bb.1050:
	s_wait_xcnt 0x0
	v_cndmask_b32_e64 v2, 0, 1.0, s6
	s_mov_b32 s0, 0
	s_delay_alu instid0(VALU_DEP_1) | instskip(NEXT) | instid1(VALU_DEP_1)
	v_bfe_u32 v3, v2, 16, 1
	v_add3_u32 v2, v2, v3, 0x7fff
	global_store_d16_hi_b16 v[0:1], v2, off
.LBB39_1051:
	s_mov_b32 s9, 0
.LBB39_1052:
	s_delay_alu instid0(SALU_CYCLE_1)
	s_and_b32 vcc_lo, exec_lo, s9
	s_cbranch_vccz .LBB39_1055
; %bb.1053:
	s_cmp_lg_u32 s4, 11
	s_mov_b32 s10, -1
	s_cselect_b32 s4, -1, 0
	s_and_not1_b32 s0, s0, exec_lo
	s_and_b32 s4, s4, exec_lo
	s_delay_alu instid0(SALU_CYCLE_1)
	s_or_b32 s0, s0, s4
	s_branch .LBB39_1055
.LBB39_1054:
	s_mov_b32 s10, 0
.LBB39_1055:
	s_and_not1_b32 s4, s18, exec_lo
	s_and_b32 s0, s0, exec_lo
	s_and_b32 s9, s5, exec_lo
	;; [unrolled: 1-line block ×3, first 2 shown]
	s_or_b32 s18, s4, s0
	s_wait_xcnt 0x0
	s_or_b32 exec_lo, exec_lo, s8
	s_and_saveexec_b32 s0, s18
	s_cbranch_execz .LBB39_984
.LBB39_1056:
	s_or_b32 s1, s1, exec_lo
	s_and_not1_b32 s10, s10, exec_lo
	s_trap 2
	s_or_b32 exec_lo, exec_lo, s0
	s_and_saveexec_b32 s0, s10
	s_delay_alu instid0(SALU_CYCLE_1)
	s_xor_b32 s0, exec_lo, s0
	s_cbranch_execnz .LBB39_985
.LBB39_1057:
	s_or_b32 exec_lo, exec_lo, s0
	s_and_saveexec_b32 s0, s9
	s_delay_alu instid0(SALU_CYCLE_1)
	s_xor_b32 s0, exec_lo, s0
	s_cbranch_execz .LBB39_1095
.LBB39_1058:
	s_sext_i32_i16 s5, s7
	s_mov_b32 s4, -1
	s_cmp_lt_i32 s5, 5
	s_cbranch_scc1 .LBB39_1079
; %bb.1059:
	s_cmp_lt_i32 s5, 8
	s_cbranch_scc1 .LBB39_1069
; %bb.1060:
	;; [unrolled: 3-line block ×3, first 2 shown]
	s_cmp_gt_i32 s5, 9
	s_cbranch_scc0 .LBB39_1063
; %bb.1062:
	v_cndmask_b32_e64 v2, 0, 1, s6
	v_mov_b32_e32 v4, 0
	s_mov_b32 s4, 0
	s_delay_alu instid0(VALU_DEP_2) | instskip(NEXT) | instid1(VALU_DEP_2)
	v_cvt_f64_u32_e32 v[2:3], v2
	v_mov_b32_e32 v5, v4
	global_store_b128 v[0:1], v[2:5], off
.LBB39_1063:
	s_and_not1_b32 vcc_lo, exec_lo, s4
	s_cbranch_vccnz .LBB39_1065
; %bb.1064:
	s_wait_xcnt 0x0
	v_cndmask_b32_e64 v2, 0, 1.0, s6
	v_mov_b32_e32 v3, 0
	global_store_b64 v[0:1], v[2:3], off
.LBB39_1065:
	s_mov_b32 s4, 0
.LBB39_1066:
	s_delay_alu instid0(SALU_CYCLE_1)
	s_and_not1_b32 vcc_lo, exec_lo, s4
	s_cbranch_vccnz .LBB39_1068
; %bb.1067:
	s_wait_xcnt 0x0
	v_cndmask_b32_e64 v2, 0, 1.0, s6
	s_delay_alu instid0(VALU_DEP_1) | instskip(NEXT) | instid1(VALU_DEP_1)
	v_cvt_f16_f32_e32 v2, v2
	v_and_b32_e32 v2, 0xffff, v2
	global_store_b32 v[0:1], v2, off
.LBB39_1068:
	s_mov_b32 s4, 0
.LBB39_1069:
	s_delay_alu instid0(SALU_CYCLE_1)
	s_and_not1_b32 vcc_lo, exec_lo, s4
	s_cbranch_vccnz .LBB39_1078
; %bb.1070:
	s_sext_i32_i16 s5, s7
	s_mov_b32 s4, -1
	s_cmp_lt_i32 s5, 6
	s_cbranch_scc1 .LBB39_1076
; %bb.1071:
	s_cmp_gt_i32 s5, 6
	s_cbranch_scc0 .LBB39_1073
; %bb.1072:
	s_wait_xcnt 0x0
	v_cndmask_b32_e64 v2, 0, 1, s6
	s_mov_b32 s4, 0
	s_delay_alu instid0(VALU_DEP_1)
	v_cvt_f64_u32_e32 v[2:3], v2
	global_store_b64 v[0:1], v[2:3], off
.LBB39_1073:
	s_and_not1_b32 vcc_lo, exec_lo, s4
	s_cbranch_vccnz .LBB39_1075
; %bb.1074:
	s_wait_xcnt 0x0
	v_cndmask_b32_e64 v2, 0, 1.0, s6
	global_store_b32 v[0:1], v2, off
.LBB39_1075:
	s_mov_b32 s4, 0
.LBB39_1076:
	s_delay_alu instid0(SALU_CYCLE_1)
	s_and_not1_b32 vcc_lo, exec_lo, s4
	s_cbranch_vccnz .LBB39_1078
; %bb.1077:
	s_wait_xcnt 0x0
	v_cndmask_b32_e64 v2, 0, 1.0, s6
	s_delay_alu instid0(VALU_DEP_1)
	v_cvt_f16_f32_e32 v2, v2
	global_store_b16 v[0:1], v2, off
.LBB39_1078:
	s_mov_b32 s4, 0
.LBB39_1079:
	s_delay_alu instid0(SALU_CYCLE_1)
	s_and_not1_b32 vcc_lo, exec_lo, s4
	s_cbranch_vccnz .LBB39_1095
; %bb.1080:
	s_sext_i32_i16 s5, s7
	s_mov_b32 s4, -1
	s_cmp_lt_i32 s5, 2
	s_cbranch_scc1 .LBB39_1090
; %bb.1081:
	s_cmp_lt_i32 s5, 3
	s_cbranch_scc1 .LBB39_1087
; %bb.1082:
	s_cmp_gt_i32 s5, 3
	s_cbranch_scc0 .LBB39_1084
; %bb.1083:
	s_mov_b32 s4, 0
	s_wait_xcnt 0x0
	v_cndmask_b32_e64 v2, 0, 1, s6
	v_mov_b32_e32 v3, s4
	global_store_b64 v[0:1], v[2:3], off
.LBB39_1084:
	s_and_not1_b32 vcc_lo, exec_lo, s4
	s_cbranch_vccnz .LBB39_1086
; %bb.1085:
	s_wait_xcnt 0x0
	v_cndmask_b32_e64 v2, 0, 1, s6
	global_store_b32 v[0:1], v2, off
.LBB39_1086:
	s_mov_b32 s4, 0
.LBB39_1087:
	s_delay_alu instid0(SALU_CYCLE_1)
	s_and_not1_b32 vcc_lo, exec_lo, s4
	s_cbranch_vccnz .LBB39_1089
; %bb.1088:
	s_wait_xcnt 0x0
	v_cndmask_b32_e64 v2, 0, 1, s6
	global_store_b16 v[0:1], v2, off
.LBB39_1089:
	s_mov_b32 s4, 0
.LBB39_1090:
	s_delay_alu instid0(SALU_CYCLE_1)
	s_and_not1_b32 vcc_lo, exec_lo, s4
	s_cbranch_vccnz .LBB39_1095
; %bb.1091:
	s_sext_i32_i16 s4, s7
	s_delay_alu instid0(SALU_CYCLE_1)
	s_cmp_gt_i32 s4, 0
	s_mov_b32 s4, -1
	s_cbranch_scc0 .LBB39_1093
; %bb.1092:
	s_wait_xcnt 0x0
	v_cndmask_b32_e64 v2, 0, 1, s6
	s_mov_b32 s4, 0
	global_store_b8 v[0:1], v2, off
.LBB39_1093:
	s_and_not1_b32 vcc_lo, exec_lo, s4
	s_cbranch_vccnz .LBB39_1095
; %bb.1094:
	s_wait_xcnt 0x0
	v_cndmask_b32_e64 v2, 0, 1, s6
	global_store_b8 v[0:1], v2, off
.LBB39_1095:
	s_wait_xcnt 0x0
	s_or_b32 exec_lo, exec_lo, s0
	s_delay_alu instid0(SALU_CYCLE_1)
	s_and_b32 s8, s1, exec_lo
                                        ; implicit-def: $vgpr9
                                        ; implicit-def: $vgpr0
.LBB39_1096:
	s_or_saveexec_b32 s9, s33
	s_mov_b32 s0, 0
                                        ; implicit-def: $sgpr1
                                        ; implicit-def: $vgpr2_vgpr3
                                        ; implicit-def: $sgpr6
	s_xor_b32 exec_lo, exec_lo, s9
	s_cbranch_execz .LBB39_2108
; %bb.1097:
	v_cndmask_b32_e64 v1, 0, 1, s31
	s_and_not1_b32 vcc_lo, exec_lo, s31
	s_cbranch_vccnz .LBB39_1103
; %bb.1098:
	s_cmp_lg_u32 s28, 0
	s_mov_b32 s10, 0
	s_cbranch_scc0 .LBB39_1104
; %bb.1099:
	s_min_u32 s1, s29, 15
	s_delay_alu instid0(SALU_CYCLE_1)
	s_add_co_i32 s1, s1, 1
	s_cmp_eq_u32 s29, 2
	s_cbranch_scc1 .LBB39_1105
; %bb.1100:
	s_wait_loadcnt 0x0
	v_dual_mov_b32 v6, 0 :: v_dual_mov_b32 v8, 0
	v_mov_b32_e32 v2, v0
	s_and_b32 s0, s1, 28
	s_add_nc_u64 s[4:5], s[2:3], 0xc4
	s_mov_b32 s11, 0
	s_mov_b64 s[6:7], s[2:3]
.LBB39_1101:                            ; =>This Inner Loop Header: Depth=1
	s_clause 0x1
	s_load_b256 s[12:19], s[6:7], 0x4
	s_load_b128 s[36:39], s[6:7], 0x24
	s_load_b256 s[20:27], s[4:5], 0x0
	s_add_co_i32 s11, s11, 4
	s_wait_xcnt 0x0
	s_add_nc_u64 s[6:7], s[6:7], 48
	s_cmp_lg_u32 s0, s11
	s_add_nc_u64 s[4:5], s[4:5], 32
	s_wait_kmcnt 0x0
	v_mul_hi_u32 v3, s13, v2
	s_delay_alu instid0(VALU_DEP_1) | instskip(NEXT) | instid1(VALU_DEP_1)
	v_add_nc_u32_e32 v3, v2, v3
	v_lshrrev_b32_e32 v3, s14, v3
	s_delay_alu instid0(VALU_DEP_1) | instskip(NEXT) | instid1(VALU_DEP_1)
	v_mul_hi_u32 v4, s16, v3
	v_add_nc_u32_e32 v4, v3, v4
	s_delay_alu instid0(VALU_DEP_1) | instskip(NEXT) | instid1(VALU_DEP_1)
	v_lshrrev_b32_e32 v4, s17, v4
	v_mul_hi_u32 v5, s19, v4
	s_delay_alu instid0(VALU_DEP_1) | instskip(SKIP_1) | instid1(VALU_DEP_1)
	v_add_nc_u32_e32 v5, v4, v5
	v_mul_lo_u32 v7, v3, s12
	v_sub_nc_u32_e32 v2, v2, v7
	v_mul_lo_u32 v7, v4, s15
	s_delay_alu instid0(VALU_DEP_4) | instskip(NEXT) | instid1(VALU_DEP_3)
	v_lshrrev_b32_e32 v5, s36, v5
	v_mad_u32 v8, v2, s21, v8
	v_mad_u32 v2, v2, s20, v6
	s_delay_alu instid0(VALU_DEP_4) | instskip(NEXT) | instid1(VALU_DEP_4)
	v_sub_nc_u32_e32 v3, v3, v7
	v_mul_hi_u32 v10, s38, v5
	v_mul_lo_u32 v6, v5, s18
	s_delay_alu instid0(VALU_DEP_3) | instskip(SKIP_1) | instid1(VALU_DEP_4)
	v_mad_u32 v8, v3, s23, v8
	v_mad_u32 v3, v3, s22, v2
	v_add_nc_u32_e32 v7, v5, v10
	s_delay_alu instid0(VALU_DEP_1) | instskip(NEXT) | instid1(VALU_DEP_1)
	v_dual_sub_nc_u32 v4, v4, v6 :: v_dual_lshrrev_b32 v2, s39, v7
	v_mad_u32 v7, v4, s25, v8
	s_delay_alu instid0(VALU_DEP_4) | instskip(NEXT) | instid1(VALU_DEP_3)
	v_mad_u32 v3, v4, s24, v3
	v_mul_lo_u32 v6, v2, s37
	s_delay_alu instid0(VALU_DEP_1) | instskip(NEXT) | instid1(VALU_DEP_1)
	v_sub_nc_u32_e32 v4, v5, v6
	v_mad_u32 v8, v4, s27, v7
	s_delay_alu instid0(VALU_DEP_4)
	v_mad_u32 v6, v4, s26, v3
	s_cbranch_scc1 .LBB39_1101
; %bb.1102:
	s_delay_alu instid0(VALU_DEP_2)
	v_mov_b32_e32 v7, v8
	s_and_b32 s6, s1, 3
	s_mov_b32 s1, 0
	s_cmp_eq_u32 s6, 0
	s_cbranch_scc0 .LBB39_1106
	s_branch .LBB39_1109
.LBB39_1103:
	s_mov_b32 s10, -1
                                        ; implicit-def: $vgpr8
                                        ; implicit-def: $vgpr6
	s_branch .LBB39_1109
.LBB39_1104:
	s_wait_loadcnt 0x0
	v_dual_mov_b32 v8, 0 :: v_dual_mov_b32 v6, 0
	s_branch .LBB39_1109
.LBB39_1105:
	s_wait_loadcnt 0x0
	v_mov_b64_e32 v[6:7], 0
	v_mov_b32_e32 v2, v0
                                        ; implicit-def: $vgpr8
	s_and_b32 s6, s1, 3
	s_mov_b32 s1, 0
	s_cmp_eq_u32 s6, 0
	s_cbranch_scc1 .LBB39_1109
.LBB39_1106:
	s_lshl_b32 s4, s0, 3
	s_mov_b32 s5, s1
	s_mul_u64 s[12:13], s[0:1], 12
	s_add_nc_u64 s[4:5], s[2:3], s[4:5]
	s_delay_alu instid0(SALU_CYCLE_1)
	s_add_nc_u64 s[0:1], s[4:5], 0xc4
	s_add_nc_u64 s[4:5], s[2:3], s[12:13]
.LBB39_1107:                            ; =>This Inner Loop Header: Depth=1
	s_load_b96 s[12:14], s[4:5], 0x4
	s_add_co_i32 s6, s6, -1
	s_wait_xcnt 0x0
	s_add_nc_u64 s[4:5], s[4:5], 12
	s_cmp_lg_u32 s6, 0
	s_wait_kmcnt 0x0
	v_mul_hi_u32 v3, s13, v2
	s_delay_alu instid0(VALU_DEP_1) | instskip(NEXT) | instid1(VALU_DEP_1)
	v_add_nc_u32_e32 v3, v2, v3
	v_lshrrev_b32_e32 v3, s14, v3
	s_load_b64 s[14:15], s[0:1], 0x0
	s_wait_xcnt 0x0
	s_add_nc_u64 s[0:1], s[0:1], 8
	s_delay_alu instid0(VALU_DEP_1) | instskip(NEXT) | instid1(VALU_DEP_1)
	v_mul_lo_u32 v4, v3, s12
	v_sub_nc_u32_e32 v2, v2, v4
	s_wait_kmcnt 0x0
	s_delay_alu instid0(VALU_DEP_1)
	v_mad_u32 v7, v2, s15, v7
	v_mad_u32 v6, v2, s14, v6
	v_mov_b32_e32 v2, v3
	s_cbranch_scc1 .LBB39_1107
; %bb.1108:
	s_delay_alu instid0(VALU_DEP_3)
	v_mov_b32_e32 v8, v7
.LBB39_1109:
	s_and_not1_b32 vcc_lo, exec_lo, s10
	s_cbranch_vccnz .LBB39_1112
; %bb.1110:
	s_clause 0x1
	s_load_b96 s[4:6], s[2:3], 0x4
	s_load_b64 s[0:1], s[2:3], 0xc4
	s_cmp_lt_u32 s28, 2
	s_wait_kmcnt 0x0
	v_mul_hi_u32 v2, s5, v0
	s_delay_alu instid0(VALU_DEP_1) | instskip(NEXT) | instid1(VALU_DEP_1)
	v_add_nc_u32_e32 v2, v0, v2
	v_lshrrev_b32_e32 v2, s6, v2
	s_delay_alu instid0(VALU_DEP_1) | instskip(NEXT) | instid1(VALU_DEP_1)
	v_mul_lo_u32 v3, v2, s4
	v_sub_nc_u32_e32 v3, v0, v3
	s_delay_alu instid0(VALU_DEP_1)
	v_mul_lo_u32 v8, v3, s1
	s_wait_loadcnt 0x0
	v_mul_lo_u32 v6, v3, s0
	s_cbranch_scc1 .LBB39_1112
; %bb.1111:
	s_clause 0x1
	s_load_b96 s[4:6], s[2:3], 0x10
	s_load_b64 s[0:1], s[2:3], 0xcc
	s_wait_kmcnt 0x0
	v_mul_hi_u32 v3, s5, v2
	s_delay_alu instid0(VALU_DEP_1) | instskip(NEXT) | instid1(VALU_DEP_1)
	v_add_nc_u32_e32 v3, v2, v3
	v_lshrrev_b32_e32 v3, s6, v3
	s_delay_alu instid0(VALU_DEP_1) | instskip(NEXT) | instid1(VALU_DEP_1)
	v_mul_lo_u32 v3, v3, s4
	v_sub_nc_u32_e32 v2, v2, v3
	s_delay_alu instid0(VALU_DEP_1)
	v_mad_u32 v6, v2, s0, v6
	v_mad_u32 v8, v2, s1, v8
.LBB39_1112:
	v_cmp_ne_u32_e32 vcc_lo, 1, v1
	v_add_nc_u32_e32 v2, 0x80, v0
	s_cbranch_vccnz .LBB39_1118
; %bb.1113:
	s_cmp_lg_u32 s28, 0
	s_mov_b32 s10, 0
	s_cbranch_scc0 .LBB39_1119
; %bb.1114:
	s_min_u32 s1, s29, 15
	s_delay_alu instid0(SALU_CYCLE_1)
	s_add_co_i32 s1, s1, 1
	s_cmp_eq_u32 s29, 2
	s_cbranch_scc1 .LBB39_1120
; %bb.1115:
	v_dual_mov_b32 v4, 0 :: v_dual_mov_b32 v10, 0
	v_mov_b32_e32 v3, v2
	s_and_b32 s0, s1, 28
	s_add_nc_u64 s[4:5], s[2:3], 0xc4
	s_mov_b32 s11, 0
	s_mov_b64 s[6:7], s[2:3]
.LBB39_1116:                            ; =>This Inner Loop Header: Depth=1
	s_clause 0x1
	s_load_b256 s[12:19], s[6:7], 0x4
	s_load_b128 s[36:39], s[6:7], 0x24
	s_load_b256 s[20:27], s[4:5], 0x0
	s_add_co_i32 s11, s11, 4
	s_wait_xcnt 0x0
	s_add_nc_u64 s[6:7], s[6:7], 48
	s_cmp_lg_u32 s0, s11
	s_add_nc_u64 s[4:5], s[4:5], 32
	s_wait_kmcnt 0x0
	v_mul_hi_u32 v5, s13, v3
	s_delay_alu instid0(VALU_DEP_1) | instskip(NEXT) | instid1(VALU_DEP_1)
	v_add_nc_u32_e32 v5, v3, v5
	v_lshrrev_b32_e32 v5, s14, v5
	s_wait_loadcnt 0x0
	s_delay_alu instid0(VALU_DEP_1) | instskip(NEXT) | instid1(VALU_DEP_1)
	v_mul_hi_u32 v7, s16, v5
	v_add_nc_u32_e32 v7, v5, v7
	s_delay_alu instid0(VALU_DEP_1) | instskip(NEXT) | instid1(VALU_DEP_1)
	v_lshrrev_b32_e32 v7, s17, v7
	v_mul_hi_u32 v11, s19, v7
	s_delay_alu instid0(VALU_DEP_1) | instskip(SKIP_1) | instid1(VALU_DEP_1)
	v_add_nc_u32_e32 v11, v7, v11
	v_mul_lo_u32 v12, v5, s12
	v_sub_nc_u32_e32 v3, v3, v12
	v_mul_lo_u32 v12, v7, s15
	s_delay_alu instid0(VALU_DEP_4) | instskip(NEXT) | instid1(VALU_DEP_3)
	v_lshrrev_b32_e32 v11, s36, v11
	v_mad_u32 v10, v3, s21, v10
	v_mad_u32 v3, v3, s20, v4
	s_delay_alu instid0(VALU_DEP_4) | instskip(NEXT) | instid1(VALU_DEP_4)
	v_sub_nc_u32_e32 v4, v5, v12
	v_mul_hi_u32 v13, s38, v11
	v_mul_lo_u32 v5, v11, s18
	s_delay_alu instid0(VALU_DEP_3) | instskip(SKIP_1) | instid1(VALU_DEP_4)
	v_mad_u32 v10, v4, s23, v10
	v_mad_u32 v4, v4, s22, v3
	v_add_nc_u32_e32 v12, v11, v13
	s_delay_alu instid0(VALU_DEP_1) | instskip(NEXT) | instid1(VALU_DEP_1)
	v_dual_sub_nc_u32 v5, v7, v5 :: v_dual_lshrrev_b32 v3, s39, v12
	v_mad_u32 v10, v5, s25, v10
	s_delay_alu instid0(VALU_DEP_4) | instskip(NEXT) | instid1(VALU_DEP_3)
	v_mad_u32 v4, v5, s24, v4
	v_mul_lo_u32 v7, v3, s37
	s_delay_alu instid0(VALU_DEP_1) | instskip(NEXT) | instid1(VALU_DEP_1)
	v_sub_nc_u32_e32 v5, v11, v7
	v_mad_u32 v10, v5, s27, v10
	s_delay_alu instid0(VALU_DEP_4)
	v_mad_u32 v4, v5, s26, v4
	s_cbranch_scc1 .LBB39_1116
; %bb.1117:
	s_delay_alu instid0(VALU_DEP_2)
	v_mov_b32_e32 v5, v10
	s_and_b32 s6, s1, 3
	s_mov_b32 s1, 0
	s_cmp_eq_u32 s6, 0
	s_cbranch_scc0 .LBB39_1121
	s_branch .LBB39_1124
.LBB39_1118:
	s_mov_b32 s10, -1
                                        ; implicit-def: $vgpr10
                                        ; implicit-def: $vgpr4
	s_branch .LBB39_1124
.LBB39_1119:
	v_dual_mov_b32 v10, 0 :: v_dual_mov_b32 v4, 0
	s_branch .LBB39_1124
.LBB39_1120:
	v_mov_b64_e32 v[4:5], 0
	v_mov_b32_e32 v3, v2
	s_mov_b32 s0, 0
                                        ; implicit-def: $vgpr10
	s_and_b32 s6, s1, 3
	s_mov_b32 s1, 0
	s_cmp_eq_u32 s6, 0
	s_cbranch_scc1 .LBB39_1124
.LBB39_1121:
	s_lshl_b32 s4, s0, 3
	s_mov_b32 s5, s1
	s_mul_u64 s[12:13], s[0:1], 12
	s_add_nc_u64 s[4:5], s[2:3], s[4:5]
	s_delay_alu instid0(SALU_CYCLE_1)
	s_add_nc_u64 s[0:1], s[4:5], 0xc4
	s_add_nc_u64 s[4:5], s[2:3], s[12:13]
.LBB39_1122:                            ; =>This Inner Loop Header: Depth=1
	s_load_b96 s[12:14], s[4:5], 0x4
	s_add_co_i32 s6, s6, -1
	s_wait_xcnt 0x0
	s_add_nc_u64 s[4:5], s[4:5], 12
	s_cmp_lg_u32 s6, 0
	s_wait_loadcnt 0x0
	s_wait_kmcnt 0x0
	v_mul_hi_u32 v7, s13, v3
	s_delay_alu instid0(VALU_DEP_1) | instskip(NEXT) | instid1(VALU_DEP_1)
	v_add_nc_u32_e32 v7, v3, v7
	v_lshrrev_b32_e32 v7, s14, v7
	s_load_b64 s[14:15], s[0:1], 0x0
	s_wait_xcnt 0x0
	s_add_nc_u64 s[0:1], s[0:1], 8
	s_delay_alu instid0(VALU_DEP_1) | instskip(NEXT) | instid1(VALU_DEP_1)
	v_mul_lo_u32 v10, v7, s12
	v_sub_nc_u32_e32 v3, v3, v10
	s_wait_kmcnt 0x0
	s_delay_alu instid0(VALU_DEP_1)
	v_mad_u32 v5, v3, s15, v5
	v_mad_u32 v4, v3, s14, v4
	v_mov_b32_e32 v3, v7
	s_cbranch_scc1 .LBB39_1122
; %bb.1123:
	s_delay_alu instid0(VALU_DEP_3)
	v_mov_b32_e32 v10, v5
.LBB39_1124:
	s_and_not1_b32 vcc_lo, exec_lo, s10
	s_cbranch_vccnz .LBB39_1127
; %bb.1125:
	s_clause 0x1
	s_load_b96 s[4:6], s[2:3], 0x4
	s_load_b64 s[0:1], s[2:3], 0xc4
	s_cmp_lt_u32 s28, 2
	s_wait_kmcnt 0x0
	v_mul_hi_u32 v3, s5, v2
	s_delay_alu instid0(VALU_DEP_1) | instskip(NEXT) | instid1(VALU_DEP_1)
	v_add_nc_u32_e32 v3, v2, v3
	v_lshrrev_b32_e32 v3, s6, v3
	s_delay_alu instid0(VALU_DEP_1) | instskip(NEXT) | instid1(VALU_DEP_1)
	v_mul_lo_u32 v4, v3, s4
	v_sub_nc_u32_e32 v2, v2, v4
	s_delay_alu instid0(VALU_DEP_1)
	v_mul_lo_u32 v10, v2, s1
	v_mul_lo_u32 v4, v2, s0
	s_cbranch_scc1 .LBB39_1127
; %bb.1126:
	s_clause 0x1
	s_load_b96 s[4:6], s[2:3], 0x10
	s_load_b64 s[0:1], s[2:3], 0xcc
	s_wait_kmcnt 0x0
	v_mul_hi_u32 v2, s5, v3
	s_delay_alu instid0(VALU_DEP_1) | instskip(NEXT) | instid1(VALU_DEP_1)
	v_add_nc_u32_e32 v2, v3, v2
	v_lshrrev_b32_e32 v2, s6, v2
	s_delay_alu instid0(VALU_DEP_1) | instskip(NEXT) | instid1(VALU_DEP_1)
	v_mul_lo_u32 v2, v2, s4
	v_sub_nc_u32_e32 v2, v3, v2
	s_delay_alu instid0(VALU_DEP_1)
	v_mad_u32 v4, v2, s0, v4
	v_mad_u32 v10, v2, s1, v10
.LBB39_1127:
	v_cmp_ne_u32_e32 vcc_lo, 1, v1
	v_add_nc_u32_e32 v0, 0x100, v0
	s_cbranch_vccnz .LBB39_1133
; %bb.1128:
	s_cmp_lg_u32 s28, 0
	s_mov_b32 s10, 0
	s_cbranch_scc0 .LBB39_1134
; %bb.1129:
	s_min_u32 s1, s29, 15
	s_delay_alu instid0(SALU_CYCLE_1)
	s_add_co_i32 s1, s1, 1
	s_cmp_eq_u32 s29, 2
	s_cbranch_scc1 .LBB39_1135
; %bb.1130:
	v_dual_mov_b32 v2, 0 :: v_dual_mov_b32 v12, 0
	v_mov_b32_e32 v5, v0
	s_and_b32 s0, s1, 28
	s_add_nc_u64 s[4:5], s[2:3], 0xc4
	s_mov_b32 s11, 0
	s_mov_b64 s[6:7], s[2:3]
.LBB39_1131:                            ; =>This Inner Loop Header: Depth=1
	s_clause 0x1
	s_load_b256 s[12:19], s[6:7], 0x4
	s_load_b128 s[36:39], s[6:7], 0x24
	s_load_b256 s[20:27], s[4:5], 0x0
	s_add_co_i32 s11, s11, 4
	s_wait_xcnt 0x0
	s_add_nc_u64 s[6:7], s[6:7], 48
	s_cmp_lg_u32 s0, s11
	s_add_nc_u64 s[4:5], s[4:5], 32
	s_wait_kmcnt 0x0
	v_mul_hi_u32 v3, s13, v5
	s_delay_alu instid0(VALU_DEP_1) | instskip(NEXT) | instid1(VALU_DEP_1)
	v_add_nc_u32_e32 v3, v5, v3
	v_lshrrev_b32_e32 v3, s14, v3
	s_wait_loadcnt 0x0
	s_delay_alu instid0(VALU_DEP_1) | instskip(SKIP_1) | instid1(VALU_DEP_1)
	v_mul_hi_u32 v7, s16, v3
	v_mul_lo_u32 v13, v3, s12
	v_dual_add_nc_u32 v7, v3, v7 :: v_dual_sub_nc_u32 v5, v5, v13
	s_delay_alu instid0(VALU_DEP_1) | instskip(NEXT) | instid1(VALU_DEP_2)
	v_lshrrev_b32_e32 v7, s17, v7
	v_mad_u32 v12, v5, s21, v12
	v_mad_u32 v2, v5, s20, v2
	s_delay_alu instid0(VALU_DEP_3) | instskip(NEXT) | instid1(VALU_DEP_1)
	v_mul_hi_u32 v11, s19, v7
	v_add_nc_u32_e32 v11, v7, v11
	s_delay_alu instid0(VALU_DEP_1) | instskip(NEXT) | instid1(VALU_DEP_1)
	v_lshrrev_b32_e32 v11, s36, v11
	v_mul_hi_u32 v14, s38, v11
	s_delay_alu instid0(VALU_DEP_1) | instskip(NEXT) | instid1(VALU_DEP_1)
	v_add_nc_u32_e32 v5, v11, v14
	v_lshrrev_b32_e32 v5, s39, v5
	v_mul_lo_u32 v13, v7, s15
	s_delay_alu instid0(VALU_DEP_1) | instskip(SKIP_1) | instid1(VALU_DEP_2)
	v_sub_nc_u32_e32 v3, v3, v13
	v_mul_lo_u32 v13, v11, s18
	v_mad_u32 v12, v3, s23, v12
	v_mad_u32 v2, v3, s22, v2
	s_delay_alu instid0(VALU_DEP_3) | instskip(SKIP_1) | instid1(VALU_DEP_2)
	v_sub_nc_u32_e32 v3, v7, v13
	v_mul_lo_u32 v7, v5, s37
	v_mad_u32 v12, v3, s25, v12
	s_delay_alu instid0(VALU_DEP_4) | instskip(NEXT) | instid1(VALU_DEP_3)
	v_mad_u32 v2, v3, s24, v2
	v_sub_nc_u32_e32 v3, v11, v7
	s_delay_alu instid0(VALU_DEP_1) | instskip(NEXT) | instid1(VALU_DEP_3)
	v_mad_u32 v12, v3, s27, v12
	v_mad_u32 v2, v3, s26, v2
	s_cbranch_scc1 .LBB39_1131
; %bb.1132:
	s_delay_alu instid0(VALU_DEP_2)
	v_mov_b32_e32 v3, v12
	s_and_b32 s6, s1, 3
	s_mov_b32 s1, 0
	s_cmp_eq_u32 s6, 0
	s_cbranch_scc0 .LBB39_1136
	s_branch .LBB39_1139
.LBB39_1133:
	s_mov_b32 s10, -1
                                        ; implicit-def: $vgpr12
                                        ; implicit-def: $vgpr2
	s_branch .LBB39_1139
.LBB39_1134:
	v_dual_mov_b32 v12, 0 :: v_dual_mov_b32 v2, 0
	s_branch .LBB39_1139
.LBB39_1135:
	v_mov_b64_e32 v[2:3], 0
	v_mov_b32_e32 v5, v0
	s_mov_b32 s0, 0
                                        ; implicit-def: $vgpr12
	s_and_b32 s6, s1, 3
	s_mov_b32 s1, 0
	s_cmp_eq_u32 s6, 0
	s_cbranch_scc1 .LBB39_1139
.LBB39_1136:
	s_lshl_b32 s4, s0, 3
	s_mov_b32 s5, s1
	s_mul_u64 s[12:13], s[0:1], 12
	s_add_nc_u64 s[4:5], s[2:3], s[4:5]
	s_delay_alu instid0(SALU_CYCLE_1)
	s_add_nc_u64 s[0:1], s[4:5], 0xc4
	s_add_nc_u64 s[4:5], s[2:3], s[12:13]
.LBB39_1137:                            ; =>This Inner Loop Header: Depth=1
	s_load_b96 s[12:14], s[4:5], 0x4
	s_add_co_i32 s6, s6, -1
	s_wait_xcnt 0x0
	s_add_nc_u64 s[4:5], s[4:5], 12
	s_cmp_lg_u32 s6, 0
	s_wait_loadcnt 0x0
	s_wait_kmcnt 0x0
	v_mul_hi_u32 v7, s13, v5
	s_delay_alu instid0(VALU_DEP_1) | instskip(NEXT) | instid1(VALU_DEP_1)
	v_add_nc_u32_e32 v7, v5, v7
	v_lshrrev_b32_e32 v7, s14, v7
	s_load_b64 s[14:15], s[0:1], 0x0
	s_wait_xcnt 0x0
	s_add_nc_u64 s[0:1], s[0:1], 8
	s_delay_alu instid0(VALU_DEP_1) | instskip(NEXT) | instid1(VALU_DEP_1)
	v_mul_lo_u32 v11, v7, s12
	v_sub_nc_u32_e32 v5, v5, v11
	s_wait_kmcnt 0x0
	s_delay_alu instid0(VALU_DEP_1)
	v_mad_u32 v3, v5, s15, v3
	v_mad_u32 v2, v5, s14, v2
	v_mov_b32_e32 v5, v7
	s_cbranch_scc1 .LBB39_1137
; %bb.1138:
	s_delay_alu instid0(VALU_DEP_3)
	v_mov_b32_e32 v12, v3
.LBB39_1139:
	s_and_not1_b32 vcc_lo, exec_lo, s10
	s_cbranch_vccnz .LBB39_1142
; %bb.1140:
	s_clause 0x1
	s_load_b96 s[4:6], s[2:3], 0x4
	s_load_b64 s[0:1], s[2:3], 0xc4
	s_cmp_lt_u32 s28, 2
	s_wait_kmcnt 0x0
	v_mul_hi_u32 v2, s5, v0
	s_delay_alu instid0(VALU_DEP_1) | instskip(NEXT) | instid1(VALU_DEP_1)
	v_add_nc_u32_e32 v2, v0, v2
	v_lshrrev_b32_e32 v3, s6, v2
	s_delay_alu instid0(VALU_DEP_1) | instskip(NEXT) | instid1(VALU_DEP_1)
	v_mul_lo_u32 v2, v3, s4
	v_sub_nc_u32_e32 v0, v0, v2
	s_delay_alu instid0(VALU_DEP_1)
	v_mul_lo_u32 v12, v0, s1
	v_mul_lo_u32 v2, v0, s0
	s_cbranch_scc1 .LBB39_1142
; %bb.1141:
	s_clause 0x1
	s_load_b96 s[4:6], s[2:3], 0x10
	s_load_b64 s[0:1], s[2:3], 0xcc
	s_wait_kmcnt 0x0
	v_mul_hi_u32 v0, s5, v3
	s_delay_alu instid0(VALU_DEP_1) | instskip(NEXT) | instid1(VALU_DEP_1)
	v_add_nc_u32_e32 v0, v3, v0
	v_lshrrev_b32_e32 v0, s6, v0
	s_delay_alu instid0(VALU_DEP_1) | instskip(NEXT) | instid1(VALU_DEP_1)
	v_mul_lo_u32 v0, v0, s4
	v_sub_nc_u32_e32 v0, v3, v0
	s_delay_alu instid0(VALU_DEP_1)
	v_mad_u32 v2, v0, s0, v2
	v_mad_u32 v12, v0, s1, v12
.LBB39_1142:
	v_cmp_ne_u32_e32 vcc_lo, 1, v1
	s_cbranch_vccnz .LBB39_1148
; %bb.1143:
	s_cmp_lg_u32 s28, 0
	s_mov_b32 s10, 0
	s_cbranch_scc0 .LBB39_1149
; %bb.1144:
	s_min_u32 s1, s29, 15
	s_delay_alu instid0(SALU_CYCLE_1)
	s_add_co_i32 s1, s1, 1
	s_cmp_eq_u32 s29, 2
	s_cbranch_scc1 .LBB39_1150
; %bb.1145:
	v_dual_mov_b32 v0, 0 :: v_dual_mov_b32 v14, 0
	v_mov_b32_e32 v3, v9
	s_and_b32 s0, s1, 28
	s_add_nc_u64 s[4:5], s[2:3], 0xc4
	s_mov_b32 s11, 0
	s_mov_b64 s[6:7], s[2:3]
.LBB39_1146:                            ; =>This Inner Loop Header: Depth=1
	s_clause 0x1
	s_load_b256 s[12:19], s[6:7], 0x4
	s_load_b128 s[36:39], s[6:7], 0x24
	s_load_b256 s[20:27], s[4:5], 0x0
	s_add_co_i32 s11, s11, 4
	s_wait_xcnt 0x0
	s_add_nc_u64 s[6:7], s[6:7], 48
	s_cmp_lg_u32 s0, s11
	s_add_nc_u64 s[4:5], s[4:5], 32
	s_wait_kmcnt 0x0
	v_mul_hi_u32 v1, s13, v3
	s_delay_alu instid0(VALU_DEP_1) | instskip(NEXT) | instid1(VALU_DEP_1)
	v_add_nc_u32_e32 v1, v3, v1
	v_lshrrev_b32_e32 v1, s14, v1
	s_delay_alu instid0(VALU_DEP_1) | instskip(NEXT) | instid1(VALU_DEP_1)
	v_mul_lo_u32 v11, v1, s12
	v_sub_nc_u32_e32 v3, v3, v11
	v_mul_hi_u32 v5, s16, v1
	s_delay_alu instid0(VALU_DEP_2) | instskip(SKIP_1) | instid1(VALU_DEP_3)
	v_mad_u32 v14, v3, s21, v14
	v_mad_u32 v0, v3, s20, v0
	v_add_nc_u32_e32 v5, v1, v5
	s_delay_alu instid0(VALU_DEP_1) | instskip(NEXT) | instid1(VALU_DEP_1)
	v_lshrrev_b32_e32 v5, s17, v5
	v_mul_lo_u32 v11, v5, s15
	s_delay_alu instid0(VALU_DEP_1) | instskip(SKIP_2) | instid1(VALU_DEP_2)
	v_sub_nc_u32_e32 v1, v1, v11
	s_wait_loadcnt 0x0
	v_mul_hi_u32 v7, s19, v5
	v_mad_u32 v0, v1, s22, v0
	s_delay_alu instid0(VALU_DEP_2) | instskip(NEXT) | instid1(VALU_DEP_1)
	v_add_nc_u32_e32 v7, v5, v7
	v_lshrrev_b32_e32 v7, s36, v7
	s_delay_alu instid0(VALU_DEP_1) | instskip(SKIP_1) | instid1(VALU_DEP_2)
	v_mul_hi_u32 v13, s38, v7
	v_mul_lo_u32 v11, v7, s18
	v_add_nc_u32_e32 v3, v7, v13
	v_mad_u32 v13, v1, s23, v14
	s_delay_alu instid0(VALU_DEP_3) | instskip(NEXT) | instid1(VALU_DEP_3)
	v_sub_nc_u32_e32 v1, v5, v11
	v_lshrrev_b32_e32 v3, s39, v3
	s_delay_alu instid0(VALU_DEP_2) | instskip(NEXT) | instid1(VALU_DEP_2)
	v_mad_u32 v0, v1, s24, v0
	v_mul_lo_u32 v5, v3, s37
	v_mad_u32 v11, v1, s25, v13
	s_delay_alu instid0(VALU_DEP_2) | instskip(NEXT) | instid1(VALU_DEP_1)
	v_sub_nc_u32_e32 v1, v7, v5
	v_mad_u32 v14, v1, s27, v11
	v_mad_u32 v0, v1, s26, v0
	s_cbranch_scc1 .LBB39_1146
; %bb.1147:
	s_delay_alu instid0(VALU_DEP_2)
	v_mov_b32_e32 v1, v14
	s_and_b32 s6, s1, 3
	s_mov_b32 s1, 0
	s_cmp_eq_u32 s6, 0
	s_cbranch_scc0 .LBB39_1151
	s_branch .LBB39_1154
.LBB39_1148:
	s_mov_b32 s10, -1
                                        ; implicit-def: $vgpr14
                                        ; implicit-def: $vgpr0
	s_branch .LBB39_1154
.LBB39_1149:
	v_dual_mov_b32 v14, 0 :: v_dual_mov_b32 v0, 0
	s_branch .LBB39_1154
.LBB39_1150:
	v_mov_b64_e32 v[0:1], 0
	v_mov_b32_e32 v3, v9
	s_mov_b32 s0, 0
                                        ; implicit-def: $vgpr14
	s_and_b32 s6, s1, 3
	s_mov_b32 s1, 0
	s_cmp_eq_u32 s6, 0
	s_cbranch_scc1 .LBB39_1154
.LBB39_1151:
	s_lshl_b32 s4, s0, 3
	s_mov_b32 s5, s1
	s_mul_u64 s[12:13], s[0:1], 12
	s_add_nc_u64 s[4:5], s[2:3], s[4:5]
	s_delay_alu instid0(SALU_CYCLE_1)
	s_add_nc_u64 s[0:1], s[4:5], 0xc4
	s_add_nc_u64 s[4:5], s[2:3], s[12:13]
.LBB39_1152:                            ; =>This Inner Loop Header: Depth=1
	s_load_b96 s[12:14], s[4:5], 0x4
	s_add_co_i32 s6, s6, -1
	s_wait_xcnt 0x0
	s_add_nc_u64 s[4:5], s[4:5], 12
	s_cmp_lg_u32 s6, 0
	s_wait_kmcnt 0x0
	v_mul_hi_u32 v5, s13, v3
	s_delay_alu instid0(VALU_DEP_1) | instskip(NEXT) | instid1(VALU_DEP_1)
	v_add_nc_u32_e32 v5, v3, v5
	v_lshrrev_b32_e32 v5, s14, v5
	s_load_b64 s[14:15], s[0:1], 0x0
	s_wait_xcnt 0x0
	s_add_nc_u64 s[0:1], s[0:1], 8
	s_wait_loadcnt 0x0
	v_mul_lo_u32 v7, v5, s12
	s_delay_alu instid0(VALU_DEP_1) | instskip(SKIP_1) | instid1(VALU_DEP_1)
	v_sub_nc_u32_e32 v3, v3, v7
	s_wait_kmcnt 0x0
	v_mad_u32 v1, v3, s15, v1
	v_mad_u32 v0, v3, s14, v0
	v_mov_b32_e32 v3, v5
	s_cbranch_scc1 .LBB39_1152
; %bb.1153:
	s_delay_alu instid0(VALU_DEP_3)
	v_mov_b32_e32 v14, v1
.LBB39_1154:
	s_and_not1_b32 vcc_lo, exec_lo, s10
	s_cbranch_vccnz .LBB39_1157
; %bb.1155:
	s_clause 0x1
	s_load_b96 s[4:6], s[2:3], 0x4
	s_load_b64 s[0:1], s[2:3], 0xc4
	s_cmp_lt_u32 s28, 2
	s_wait_kmcnt 0x0
	v_mul_hi_u32 v0, s5, v9
	s_delay_alu instid0(VALU_DEP_1) | instskip(NEXT) | instid1(VALU_DEP_1)
	v_add_nc_u32_e32 v0, v9, v0
	v_lshrrev_b32_e32 v1, s6, v0
	s_delay_alu instid0(VALU_DEP_1) | instskip(NEXT) | instid1(VALU_DEP_1)
	v_mul_lo_u32 v0, v1, s4
	v_sub_nc_u32_e32 v0, v9, v0
	s_delay_alu instid0(VALU_DEP_1)
	v_mul_lo_u32 v14, v0, s1
	v_mul_lo_u32 v0, v0, s0
	s_cbranch_scc1 .LBB39_1157
; %bb.1156:
	s_clause 0x1
	s_load_b96 s[4:6], s[2:3], 0x10
	s_load_b64 s[0:1], s[2:3], 0xcc
	s_wait_kmcnt 0x0
	v_mul_hi_u32 v3, s5, v1
	s_delay_alu instid0(VALU_DEP_1) | instskip(NEXT) | instid1(VALU_DEP_1)
	v_add_nc_u32_e32 v3, v1, v3
	v_lshrrev_b32_e32 v3, s6, v3
	s_delay_alu instid0(VALU_DEP_1) | instskip(NEXT) | instid1(VALU_DEP_1)
	v_mul_lo_u32 v3, v3, s4
	v_sub_nc_u32_e32 v1, v1, v3
	s_delay_alu instid0(VALU_DEP_1)
	v_mad_u32 v0, v1, s0, v0
	v_mad_u32 v14, v1, s1, v14
.LBB39_1157:
	v_mov_b32_e32 v9, 0
	s_load_b128 s[4:7], s[2:3], 0x148
	global_load_u8 v1, v9, s[2:3] offset:346
	s_wait_kmcnt 0x0
	v_add_nc_u64_e32 v[16:17], s[6:7], v[8:9]
	s_wait_loadcnt 0x0
	v_and_b32_e32 v3, 0xffff, v1
	v_readfirstlane_b32 s0, v1
	s_delay_alu instid0(VALU_DEP_2)
	v_cmp_gt_i32_e32 vcc_lo, 11, v3
	s_cbranch_vccnz .LBB39_1164
; %bb.1158:
	s_and_b32 s1, 0xffff, s0
	s_mov_b32 s11, 0
	s_cmp_gt_i32 s1, 25
	s_cbranch_scc0 .LBB39_1166
; %bb.1159:
	s_cmp_gt_i32 s1, 28
	s_cbranch_scc0 .LBB39_1167
; %bb.1160:
	;; [unrolled: 3-line block ×4, first 2 shown]
	s_cmp_eq_u32 s1, 46
	s_mov_b32 s13, 0
	s_cbranch_scc0 .LBB39_1172
; %bb.1163:
	global_load_b32 v1, v[16:17], off
	s_mov_b32 s10, 0
	s_mov_b32 s12, -1
	s_wait_loadcnt 0x0
	v_lshlrev_b32_e32 v1, 16, v1
	s_wait_xcnt 0x1
	s_delay_alu instid0(VALU_DEP_1)
	v_cvt_f64_f32_e32 v[8:9], v1
	s_branch .LBB39_1174
.LBB39_1164:
	s_mov_b32 s12, 0
	s_mov_b32 s10, s8
                                        ; implicit-def: $vgpr8_vgpr9
	s_cbranch_execnz .LBB39_1237
.LBB39_1165:
	s_and_not1_b32 vcc_lo, exec_lo, s12
	s_cbranch_vccz .LBB39_1282
	s_branch .LBB39_2106
.LBB39_1166:
	s_mov_b32 s12, 0
	s_mov_b32 s10, 0
                                        ; implicit-def: $vgpr8_vgpr9
	s_cbranch_execnz .LBB39_1202
	s_branch .LBB39_1233
.LBB39_1167:
	s_mov_b32 s13, -1
	s_mov_b32 s12, 0
	s_mov_b32 s10, 0
                                        ; implicit-def: $vgpr8_vgpr9
	s_branch .LBB39_1183
.LBB39_1168:
	s_mov_b32 s12, 0
	s_mov_b32 s10, 0
                                        ; implicit-def: $vgpr8_vgpr9
	s_cbranch_execnz .LBB39_1179
	s_branch .LBB39_1182
.LBB39_1169:
	s_mov_b32 s13, -1
	s_mov_b32 s12, 0
	s_mov_b32 s10, 0
	s_branch .LBB39_1173
.LBB39_1170:
	s_and_not1_saveexec_b32 s10, s10
	s_cbranch_execz .LBB39_1009
.LBB39_1171:
	v_add_f32_e32 v2, 0x46000000, v3
	s_and_not1_b32 s9, s9, exec_lo
	s_delay_alu instid0(VALU_DEP_1) | instskip(NEXT) | instid1(VALU_DEP_1)
	v_and_b32_e32 v2, 0xff, v2
	v_cmp_ne_u32_e32 vcc_lo, 0, v2
	s_and_b32 s11, vcc_lo, exec_lo
	s_delay_alu instid0(SALU_CYCLE_1)
	s_or_b32 s9, s9, s11
	s_or_b32 exec_lo, exec_lo, s10
	v_mov_b32_e32 v4, 0
	s_and_saveexec_b32 s10, s9
	s_cbranch_execnz .LBB39_1010
	s_branch .LBB39_1011
.LBB39_1172:
	s_mov_b32 s10, -1
	s_mov_b32 s12, 0
.LBB39_1173:
                                        ; implicit-def: $vgpr8_vgpr9
.LBB39_1174:
	s_and_b32 vcc_lo, exec_lo, s13
	s_cbranch_vccz .LBB39_1177
; %bb.1175:
	s_cmp_eq_u32 s1, 44
	s_cbranch_scc0 .LBB39_1178
; %bb.1176:
	global_load_u8 v1, v[16:17], off
	s_mov_b32 s10, 0
	s_mov_b32 s12, -1
	s_wait_loadcnt 0x0
	v_lshlrev_b32_e32 v3, 23, v1
	v_cmp_ne_u32_e32 vcc_lo, 0xff, v1
	s_wait_xcnt 0x1
	s_delay_alu instid0(VALU_DEP_2) | instskip(NEXT) | instid1(VALU_DEP_1)
	v_cvt_f64_f32_e32 v[8:9], v3
	v_cndmask_b32_e32 v3, 0x20000000, v8, vcc_lo
	s_delay_alu instid0(VALU_DEP_2) | instskip(SKIP_1) | instid1(VALU_DEP_2)
	v_cndmask_b32_e32 v5, 0x7ff80000, v9, vcc_lo
	v_cmp_ne_u32_e32 vcc_lo, 0, v1
	v_cndmask_b32_e32 v9, 0x38000000, v5, vcc_lo
	s_delay_alu instid0(VALU_DEP_4)
	v_cndmask_b32_e32 v8, 0, v3, vcc_lo
.LBB39_1177:
	s_branch .LBB39_1182
.LBB39_1178:
	s_mov_b32 s10, -1
                                        ; implicit-def: $vgpr8_vgpr9
	s_branch .LBB39_1182
.LBB39_1179:
	s_cmp_eq_u32 s1, 29
	s_cbranch_scc0 .LBB39_1181
; %bb.1180:
	global_load_b64 v[8:9], v[16:17], off
	s_mov_b32 s10, 0
	s_mov_b32 s12, -1
	s_mov_b32 s13, 0
	s_wait_loadcnt 0x0
	v_cvt_f64_u32_e32 v[18:19], v9
	v_cvt_f64_u32_e32 v[8:9], v8
	s_delay_alu instid0(VALU_DEP_2) | instskip(NEXT) | instid1(VALU_DEP_1)
	v_ldexp_f64 v[18:19], v[18:19], 32
	v_add_f64_e32 v[8:9], v[18:19], v[8:9]
	s_branch .LBB39_1183
.LBB39_1181:
	s_mov_b32 s10, -1
                                        ; implicit-def: $vgpr8_vgpr9
.LBB39_1182:
	s_mov_b32 s13, 0
.LBB39_1183:
	s_delay_alu instid0(SALU_CYCLE_1)
	s_and_b32 vcc_lo, exec_lo, s13
	s_cbranch_vccz .LBB39_1201
; %bb.1184:
	s_cmp_lt_i32 s1, 27
	s_cbranch_scc1 .LBB39_1187
; %bb.1185:
	s_cmp_gt_i32 s1, 27
	s_cbranch_scc0 .LBB39_1188
; %bb.1186:
	global_load_b32 v1, v[16:17], off
	s_mov_b32 s12, 0
	s_wait_loadcnt 0x0
	s_wait_xcnt 0x1
	v_cvt_f64_u32_e32 v[8:9], v1
	s_branch .LBB39_1189
.LBB39_1187:
	s_mov_b32 s12, -1
                                        ; implicit-def: $vgpr8_vgpr9
	s_branch .LBB39_1192
.LBB39_1188:
	s_mov_b32 s12, -1
                                        ; implicit-def: $vgpr8_vgpr9
.LBB39_1189:
	s_delay_alu instid0(SALU_CYCLE_1)
	s_and_not1_b32 vcc_lo, exec_lo, s12
	s_cbranch_vccnz .LBB39_1191
; %bb.1190:
	global_load_u16 v1, v[16:17], off
	s_wait_loadcnt 0x0
	s_wait_xcnt 0x1
	v_cvt_f64_u32_e32 v[8:9], v1
.LBB39_1191:
	s_mov_b32 s12, 0
.LBB39_1192:
	s_delay_alu instid0(SALU_CYCLE_1)
	s_and_not1_b32 vcc_lo, exec_lo, s12
	s_cbranch_vccnz .LBB39_1200
; %bb.1193:
	global_load_u8 v1, v[16:17], off
	s_mov_b32 s12, 0
	s_mov_b32 s13, exec_lo
	s_wait_loadcnt 0x0
	v_cmpx_lt_i16_e32 0x7f, v1
	s_xor_b32 s13, exec_lo, s13
	s_cbranch_execz .LBB39_1213
; %bb.1194:
	s_mov_b32 s12, -1
	s_mov_b32 s14, exec_lo
	v_cmpx_eq_u16_e32 0x80, v1
; %bb.1195:
	s_xor_b32 s12, exec_lo, -1
; %bb.1196:
	s_or_b32 exec_lo, exec_lo, s14
	s_delay_alu instid0(SALU_CYCLE_1)
	s_and_b32 s12, s12, exec_lo
	s_or_saveexec_b32 s13, s13
	v_mov_b64_e32 v[8:9], 0x7ff8000020000000
	s_xor_b32 exec_lo, exec_lo, s13
	s_cbranch_execnz .LBB39_1214
.LBB39_1197:
	s_or_b32 exec_lo, exec_lo, s13
	s_and_saveexec_b32 s13, s12
	s_cbranch_execz .LBB39_1199
.LBB39_1198:
	v_and_b32_e32 v3, 0xffff, v1
	s_delay_alu instid0(VALU_DEP_1) | instskip(SKIP_1) | instid1(VALU_DEP_2)
	v_dual_lshlrev_b32 v1, 24, v1 :: v_dual_bitop2_b32 v5, 7, v3 bitop3:0x40
	v_bfe_u32 v9, v3, 3, 4
	v_and_b32_e32 v1, 0x80000000, v1
	s_delay_alu instid0(VALU_DEP_3) | instskip(NEXT) | instid1(VALU_DEP_3)
	v_clz_i32_u32_e32 v7, v5
	v_cmp_eq_u32_e32 vcc_lo, 0, v9
	s_delay_alu instid0(VALU_DEP_2) | instskip(NEXT) | instid1(VALU_DEP_1)
	v_min_u32_e32 v7, 32, v7
	v_subrev_nc_u32_e32 v8, 28, v7
	v_sub_nc_u32_e32 v7, 29, v7
	s_delay_alu instid0(VALU_DEP_2) | instskip(NEXT) | instid1(VALU_DEP_2)
	v_lshlrev_b32_e32 v3, v8, v3
	v_cndmask_b32_e32 v7, v9, v7, vcc_lo
	s_delay_alu instid0(VALU_DEP_2) | instskip(NEXT) | instid1(VALU_DEP_1)
	v_and_b32_e32 v3, 7, v3
	v_cndmask_b32_e32 v3, v5, v3, vcc_lo
	s_delay_alu instid0(VALU_DEP_3) | instskip(NEXT) | instid1(VALU_DEP_2)
	v_lshl_add_u32 v5, v7, 23, 0x3b800000
	v_lshlrev_b32_e32 v3, 20, v3
	s_delay_alu instid0(VALU_DEP_1) | instskip(NEXT) | instid1(VALU_DEP_1)
	v_or3_b32 v1, v1, v5, v3
	v_cvt_f64_f32_e32 v[8:9], v1
.LBB39_1199:
	s_or_b32 exec_lo, exec_lo, s13
.LBB39_1200:
	s_mov_b32 s12, -1
.LBB39_1201:
	s_branch .LBB39_1233
.LBB39_1202:
	s_cmp_gt_i32 s1, 22
	s_cbranch_scc0 .LBB39_1212
; %bb.1203:
	s_cmp_lt_i32 s1, 24
	s_cbranch_scc1 .LBB39_1215
; %bb.1204:
	s_cmp_gt_i32 s1, 24
	s_cbranch_scc0 .LBB39_1216
; %bb.1205:
	global_load_u8 v1, v[16:17], off
	s_mov_b32 s12, exec_lo
	s_wait_loadcnt 0x0
	v_cmpx_lt_i16_e32 0x7f, v1
	s_xor_b32 s12, exec_lo, s12
	s_cbranch_execz .LBB39_1227
; %bb.1206:
	s_mov_b32 s11, -1
	s_mov_b32 s13, exec_lo
	v_cmpx_eq_u16_e32 0x80, v1
; %bb.1207:
	s_xor_b32 s11, exec_lo, -1
; %bb.1208:
	s_or_b32 exec_lo, exec_lo, s13
	s_delay_alu instid0(SALU_CYCLE_1)
	s_and_b32 s11, s11, exec_lo
	s_or_saveexec_b32 s12, s12
	v_mov_b64_e32 v[8:9], 0x7ff8000020000000
	s_xor_b32 exec_lo, exec_lo, s12
	s_cbranch_execnz .LBB39_1228
.LBB39_1209:
	s_or_b32 exec_lo, exec_lo, s12
	s_and_saveexec_b32 s12, s11
	s_cbranch_execz .LBB39_1211
.LBB39_1210:
	v_and_b32_e32 v3, 0xffff, v1
	s_delay_alu instid0(VALU_DEP_1) | instskip(SKIP_1) | instid1(VALU_DEP_2)
	v_dual_lshlrev_b32 v1, 24, v1 :: v_dual_bitop2_b32 v5, 3, v3 bitop3:0x40
	v_bfe_u32 v9, v3, 2, 5
	v_and_b32_e32 v1, 0x80000000, v1
	s_delay_alu instid0(VALU_DEP_3) | instskip(NEXT) | instid1(VALU_DEP_3)
	v_clz_i32_u32_e32 v7, v5
	v_cmp_eq_u32_e32 vcc_lo, 0, v9
	s_delay_alu instid0(VALU_DEP_2) | instskip(NEXT) | instid1(VALU_DEP_1)
	v_min_u32_e32 v7, 32, v7
	v_subrev_nc_u32_e32 v8, 29, v7
	v_sub_nc_u32_e32 v7, 30, v7
	s_delay_alu instid0(VALU_DEP_2) | instskip(NEXT) | instid1(VALU_DEP_2)
	v_lshlrev_b32_e32 v3, v8, v3
	v_cndmask_b32_e32 v7, v9, v7, vcc_lo
	s_delay_alu instid0(VALU_DEP_2) | instskip(NEXT) | instid1(VALU_DEP_1)
	v_and_b32_e32 v3, 3, v3
	v_cndmask_b32_e32 v3, v5, v3, vcc_lo
	s_delay_alu instid0(VALU_DEP_3) | instskip(NEXT) | instid1(VALU_DEP_2)
	v_lshl_add_u32 v5, v7, 23, 0x37800000
	v_lshlrev_b32_e32 v3, 21, v3
	s_delay_alu instid0(VALU_DEP_1) | instskip(NEXT) | instid1(VALU_DEP_1)
	v_or3_b32 v1, v1, v5, v3
	v_cvt_f64_f32_e32 v[8:9], v1
.LBB39_1211:
	s_or_b32 exec_lo, exec_lo, s12
	s_mov_b32 s11, 0
	s_branch .LBB39_1217
.LBB39_1212:
                                        ; implicit-def: $vgpr8_vgpr9
	s_mov_b32 s11, 0
	s_branch .LBB39_1223
.LBB39_1213:
	s_or_saveexec_b32 s13, s13
	v_mov_b64_e32 v[8:9], 0x7ff8000020000000
	s_xor_b32 exec_lo, exec_lo, s13
	s_cbranch_execz .LBB39_1197
.LBB39_1214:
	v_cmp_ne_u16_e32 vcc_lo, 0, v1
	v_mov_b64_e32 v[8:9], 0
	s_and_not1_b32 s12, s12, exec_lo
	s_and_b32 s14, vcc_lo, exec_lo
	s_delay_alu instid0(SALU_CYCLE_1)
	s_or_b32 s12, s12, s14
	s_or_b32 exec_lo, exec_lo, s13
	s_and_saveexec_b32 s13, s12
	s_cbranch_execnz .LBB39_1198
	s_branch .LBB39_1199
.LBB39_1215:
	s_mov_b32 s11, -1
                                        ; implicit-def: $vgpr8_vgpr9
	s_branch .LBB39_1220
.LBB39_1216:
	s_mov_b32 s11, -1
                                        ; implicit-def: $vgpr8_vgpr9
.LBB39_1217:
	s_delay_alu instid0(SALU_CYCLE_1)
	s_and_b32 vcc_lo, exec_lo, s11
	s_cbranch_vccz .LBB39_1219
; %bb.1218:
	global_load_u8 v1, v[16:17], off
	s_wait_loadcnt 0x0
	v_lshlrev_b32_e32 v1, 24, v1
	s_delay_alu instid0(VALU_DEP_1) | instskip(NEXT) | instid1(VALU_DEP_1)
	v_and_b32_e32 v3, 0x7f000000, v1
	v_clz_i32_u32_e32 v5, v3
	v_cmp_ne_u32_e32 vcc_lo, 0, v3
	v_add_nc_u32_e32 v8, 0x1000000, v3
	s_delay_alu instid0(VALU_DEP_3) | instskip(NEXT) | instid1(VALU_DEP_1)
	v_min_u32_e32 v5, 32, v5
	v_sub_nc_u32_e64 v5, v5, 4 clamp
	s_delay_alu instid0(VALU_DEP_1) | instskip(NEXT) | instid1(VALU_DEP_1)
	v_dual_lshlrev_b32 v7, v5, v3 :: v_dual_lshlrev_b32 v5, 23, v5
	v_lshrrev_b32_e32 v7, 4, v7
	s_delay_alu instid0(VALU_DEP_1) | instskip(NEXT) | instid1(VALU_DEP_1)
	v_dual_sub_nc_u32 v5, v7, v5 :: v_dual_ashrrev_i32 v7, 8, v8
	v_add_nc_u32_e32 v5, 0x3c000000, v5
	s_delay_alu instid0(VALU_DEP_1) | instskip(NEXT) | instid1(VALU_DEP_1)
	v_and_or_b32 v5, 0x7f800000, v7, v5
	v_cndmask_b32_e32 v3, 0, v5, vcc_lo
	s_delay_alu instid0(VALU_DEP_1) | instskip(SKIP_1) | instid1(VALU_DEP_1)
	v_and_or_b32 v1, 0x80000000, v1, v3
	s_wait_xcnt 0x1
	v_cvt_f64_f32_e32 v[8:9], v1
.LBB39_1219:
	s_mov_b32 s11, 0
.LBB39_1220:
	s_delay_alu instid0(SALU_CYCLE_1)
	s_and_not1_b32 vcc_lo, exec_lo, s11
	s_cbranch_vccnz .LBB39_1222
; %bb.1221:
	global_load_u8 v1, v[16:17], off
	s_wait_loadcnt 0x0
	v_lshlrev_b32_e32 v3, 25, v1
	v_lshlrev_b16 v1, 8, v1
	s_delay_alu instid0(VALU_DEP_1) | instskip(SKIP_1) | instid1(VALU_DEP_2)
	v_and_or_b32 v7, 0x7f00, v1, 0.5
	v_bfe_i32 v1, v1, 0, 16
	v_add_f32_e32 v7, -0.5, v7
	v_lshrrev_b32_e32 v5, 4, v3
	v_cmp_gt_u32_e32 vcc_lo, 0x8000000, v3
	s_delay_alu instid0(VALU_DEP_2) | instskip(NEXT) | instid1(VALU_DEP_1)
	v_or_b32_e32 v5, 0x70000000, v5
	v_mul_f32_e32 v5, 0x7800000, v5
	s_delay_alu instid0(VALU_DEP_1) | instskip(NEXT) | instid1(VALU_DEP_1)
	v_cndmask_b32_e32 v3, v5, v7, vcc_lo
	v_and_or_b32 v1, 0x80000000, v1, v3
	s_wait_xcnt 0x1
	s_delay_alu instid0(VALU_DEP_1)
	v_cvt_f64_f32_e32 v[8:9], v1
.LBB39_1222:
	s_mov_b32 s12, -1
	s_mov_b32 s11, 0
	s_cbranch_execnz .LBB39_1233
.LBB39_1223:
	s_cmp_gt_i32 s1, 14
	s_cbranch_scc0 .LBB39_1226
; %bb.1224:
	s_cmp_eq_u32 s1, 15
	s_cbranch_scc0 .LBB39_1229
; %bb.1225:
	global_load_u16 v1, v[16:17], off
	s_mov_b32 s10, 0
	s_mov_b32 s12, -1
	s_wait_loadcnt 0x0
	v_lshlrev_b32_e32 v1, 16, v1
	s_wait_xcnt 0x1
	s_delay_alu instid0(VALU_DEP_1)
	v_cvt_f64_f32_e32 v[8:9], v1
	s_branch .LBB39_1231
.LBB39_1226:
	s_mov_b32 s11, -1
	s_branch .LBB39_1230
.LBB39_1227:
	s_or_saveexec_b32 s12, s12
	v_mov_b64_e32 v[8:9], 0x7ff8000020000000
	s_xor_b32 exec_lo, exec_lo, s12
	s_cbranch_execz .LBB39_1209
.LBB39_1228:
	v_cmp_ne_u16_e32 vcc_lo, 0, v1
	v_mov_b64_e32 v[8:9], 0
	s_and_not1_b32 s11, s11, exec_lo
	s_and_b32 s13, vcc_lo, exec_lo
	s_delay_alu instid0(SALU_CYCLE_1)
	s_or_b32 s11, s11, s13
	s_or_b32 exec_lo, exec_lo, s12
	s_and_saveexec_b32 s12, s11
	s_cbranch_execnz .LBB39_1210
	s_branch .LBB39_1211
.LBB39_1229:
	s_mov_b32 s10, -1
.LBB39_1230:
                                        ; implicit-def: $vgpr8_vgpr9
.LBB39_1231:
	s_and_b32 vcc_lo, exec_lo, s11
	s_mov_b32 s11, 0
	s_cbranch_vccz .LBB39_1233
; %bb.1232:
	s_cmp_lg_u32 s1, 11
	s_mov_b32 s11, -1
	s_cselect_b32 s10, -1, 0
.LBB39_1233:
	s_delay_alu instid0(SALU_CYCLE_1)
	s_and_b32 vcc_lo, exec_lo, s10
	s_mov_b32 s10, s8
	s_cbranch_vccnz .LBB39_1294
; %bb.1234:
	s_and_not1_b32 vcc_lo, exec_lo, s11
	s_cbranch_vccnz .LBB39_1236
.LBB39_1235:
	global_load_u8 v1, v[16:17], off
	v_mov_b32_e32 v8, 0
	s_mov_b32 s12, -1
	s_wait_loadcnt 0x0
	v_cmp_ne_u16_e32 vcc_lo, 0, v1
	s_wait_xcnt 0x1
	v_cndmask_b32_e64 v9, 0, 0x3ff00000, vcc_lo
.LBB39_1236:
	s_branch .LBB39_1165
.LBB39_1237:
	s_and_b32 s1, 0xffff, s0
	s_delay_alu instid0(SALU_CYCLE_1)
	s_cmp_lt_i32 s1, 5
	s_cbranch_scc1 .LBB39_1242
; %bb.1238:
	s_cmp_lt_i32 s1, 8
	s_cbranch_scc1 .LBB39_1243
; %bb.1239:
	;; [unrolled: 3-line block ×3, first 2 shown]
	s_cmp_gt_i32 s1, 9
	s_cbranch_scc0 .LBB39_1245
; %bb.1241:
	global_load_b64 v[8:9], v[16:17], off
	s_mov_b32 s11, 0
	s_branch .LBB39_1246
.LBB39_1242:
                                        ; implicit-def: $vgpr8_vgpr9
	s_branch .LBB39_1263
.LBB39_1243:
                                        ; implicit-def: $vgpr8_vgpr9
	s_branch .LBB39_1252
.LBB39_1244:
	s_mov_b32 s11, -1
                                        ; implicit-def: $vgpr8_vgpr9
	s_branch .LBB39_1249
.LBB39_1245:
	s_mov_b32 s11, -1
                                        ; implicit-def: $vgpr8_vgpr9
.LBB39_1246:
	s_delay_alu instid0(SALU_CYCLE_1)
	s_and_not1_b32 vcc_lo, exec_lo, s11
	s_cbranch_vccnz .LBB39_1248
; %bb.1247:
	global_load_b32 v1, v[16:17], off
	s_wait_loadcnt 0x0
	s_wait_xcnt 0x1
	v_cvt_f64_f32_e32 v[8:9], v1
.LBB39_1248:
	s_mov_b32 s11, 0
.LBB39_1249:
	s_delay_alu instid0(SALU_CYCLE_1)
	s_and_not1_b32 vcc_lo, exec_lo, s11
	s_cbranch_vccnz .LBB39_1251
; %bb.1250:
	global_load_b32 v1, v[16:17], off
	s_wait_loadcnt 0x0
	v_cvt_f32_f16_e32 v1, v1
	s_wait_xcnt 0x1
	s_delay_alu instid0(VALU_DEP_1)
	v_cvt_f64_f32_e32 v[8:9], v1
.LBB39_1251:
	s_cbranch_execnz .LBB39_1262
.LBB39_1252:
	s_cmp_lt_i32 s1, 6
	s_cbranch_scc1 .LBB39_1255
; %bb.1253:
	s_cmp_gt_i32 s1, 6
	s_cbranch_scc0 .LBB39_1256
; %bb.1254:
	s_wait_loadcnt 0x0
	global_load_b64 v[8:9], v[16:17], off
	s_mov_b32 s11, 0
	s_branch .LBB39_1257
.LBB39_1255:
	s_mov_b32 s11, -1
                                        ; implicit-def: $vgpr8_vgpr9
	s_branch .LBB39_1260
.LBB39_1256:
	s_mov_b32 s11, -1
                                        ; implicit-def: $vgpr8_vgpr9
.LBB39_1257:
	s_delay_alu instid0(SALU_CYCLE_1)
	s_and_not1_b32 vcc_lo, exec_lo, s11
	s_cbranch_vccnz .LBB39_1259
; %bb.1258:
	global_load_b32 v1, v[16:17], off
	s_wait_loadcnt 0x0
	s_wait_xcnt 0x1
	v_cvt_f64_f32_e32 v[8:9], v1
.LBB39_1259:
	s_mov_b32 s11, 0
.LBB39_1260:
	s_delay_alu instid0(SALU_CYCLE_1)
	s_and_not1_b32 vcc_lo, exec_lo, s11
	s_cbranch_vccnz .LBB39_1262
; %bb.1261:
	global_load_u16 v1, v[16:17], off
	s_wait_loadcnt 0x0
	v_cvt_f32_f16_e32 v1, v1
	s_wait_xcnt 0x1
	s_delay_alu instid0(VALU_DEP_1)
	v_cvt_f64_f32_e32 v[8:9], v1
.LBB39_1262:
	s_cbranch_execnz .LBB39_1281
.LBB39_1263:
	s_cmp_lt_i32 s1, 2
	s_cbranch_scc1 .LBB39_1267
; %bb.1264:
	s_cmp_lt_i32 s1, 3
	s_cbranch_scc1 .LBB39_1268
; %bb.1265:
	s_cmp_gt_i32 s1, 3
	s_cbranch_scc0 .LBB39_1269
; %bb.1266:
	s_wait_loadcnt 0x0
	global_load_b64 v[8:9], v[16:17], off
	s_mov_b32 s11, 0
	s_wait_loadcnt 0x0
	v_cvt_f64_i32_e32 v[18:19], v9
	v_cvt_f64_u32_e32 v[8:9], v8
	s_delay_alu instid0(VALU_DEP_2) | instskip(NEXT) | instid1(VALU_DEP_1)
	v_ldexp_f64 v[18:19], v[18:19], 32
	v_add_f64_e32 v[8:9], v[18:19], v[8:9]
	s_branch .LBB39_1270
.LBB39_1267:
                                        ; implicit-def: $vgpr8_vgpr9
	s_branch .LBB39_1276
.LBB39_1268:
	s_mov_b32 s11, -1
                                        ; implicit-def: $vgpr8_vgpr9
	s_branch .LBB39_1273
.LBB39_1269:
	s_mov_b32 s11, -1
                                        ; implicit-def: $vgpr8_vgpr9
.LBB39_1270:
	s_delay_alu instid0(SALU_CYCLE_1)
	s_and_not1_b32 vcc_lo, exec_lo, s11
	s_cbranch_vccnz .LBB39_1272
; %bb.1271:
	global_load_b32 v1, v[16:17], off
	s_wait_loadcnt 0x0
	s_wait_xcnt 0x1
	v_cvt_f64_i32_e32 v[8:9], v1
.LBB39_1272:
	s_mov_b32 s11, 0
.LBB39_1273:
	s_delay_alu instid0(SALU_CYCLE_1)
	s_and_not1_b32 vcc_lo, exec_lo, s11
	s_cbranch_vccnz .LBB39_1275
; %bb.1274:
	global_load_i16 v1, v[16:17], off
	s_wait_loadcnt 0x0
	s_wait_xcnt 0x1
	v_cvt_f64_i32_e32 v[8:9], v1
.LBB39_1275:
	s_cbranch_execnz .LBB39_1281
.LBB39_1276:
	s_cmp_gt_i32 s1, 0
	s_mov_b32 s1, 0
	s_cbranch_scc0 .LBB39_1278
; %bb.1277:
	global_load_i8 v1, v[16:17], off
	s_wait_loadcnt 0x0
	s_wait_xcnt 0x1
	v_cvt_f64_i32_e32 v[8:9], v1
	s_branch .LBB39_1279
.LBB39_1278:
	s_mov_b32 s1, -1
                                        ; implicit-def: $vgpr8_vgpr9
.LBB39_1279:
	s_delay_alu instid0(SALU_CYCLE_1)
	s_and_not1_b32 vcc_lo, exec_lo, s1
	s_cbranch_vccnz .LBB39_1281
; %bb.1280:
	global_load_u8 v1, v[16:17], off
	s_wait_loadcnt 0x0
	s_wait_xcnt 0x1
	v_cvt_f64_u32_e32 v[8:9], v1
.LBB39_1281:
.LBB39_1282:
	v_mov_b32_e32 v11, 0
	s_and_b32 s0, 0xffff, s0
	s_delay_alu instid0(SALU_CYCLE_1) | instskip(SKIP_1) | instid1(VALU_DEP_1)
	s_cmp_lt_i32 s0, 11
	s_wait_xcnt 0x0
	v_add_nc_u64_e32 v[16:17], s[6:7], v[10:11]
	s_cbranch_scc1 .LBB39_1289
; %bb.1283:
	s_cmp_gt_i32 s0, 25
	s_mov_b32 s11, 0
	s_cbranch_scc0 .LBB39_1291
; %bb.1284:
	s_cmp_gt_i32 s0, 28
	s_cbranch_scc0 .LBB39_1292
; %bb.1285:
	s_cmp_gt_i32 s0, 43
	;; [unrolled: 3-line block ×3, first 2 shown]
	s_cbranch_scc0 .LBB39_1295
; %bb.1287:
	s_cmp_eq_u32 s0, 46
	s_mov_b32 s13, 0
	s_cbranch_scc0 .LBB39_1298
; %bb.1288:
	global_load_b32 v1, v[16:17], off
	s_mov_b32 s1, 0
	s_mov_b32 s12, -1
	s_wait_loadcnt 0x0
	v_lshlrev_b32_e32 v1, 16, v1
	s_delay_alu instid0(VALU_DEP_1)
	v_cvt_f64_f32_e32 v[10:11], v1
	s_branch .LBB39_1300
.LBB39_1289:
	s_mov_b32 s12, 0
                                        ; implicit-def: $vgpr10_vgpr11
	s_cbranch_execnz .LBB39_1365
.LBB39_1290:
	s_and_not1_b32 vcc_lo, exec_lo, s12
	s_cbranch_vccnz .LBB39_2106
	s_branch .LBB39_1412
.LBB39_1291:
	s_mov_b32 s12, 0
	s_mov_b32 s1, 0
                                        ; implicit-def: $vgpr10_vgpr11
	s_cbranch_execnz .LBB39_1329
	s_branch .LBB39_1361
.LBB39_1292:
	s_mov_b32 s13, -1
	s_mov_b32 s12, 0
	s_mov_b32 s1, 0
                                        ; implicit-def: $vgpr10_vgpr11
	s_branch .LBB39_1310
.LBB39_1293:
	s_mov_b32 s13, -1
	s_mov_b32 s12, 0
	s_mov_b32 s1, 0
                                        ; implicit-def: $vgpr10_vgpr11
	s_branch .LBB39_1305
.LBB39_1294:
	s_or_b32 s10, s8, exec_lo
	s_trap 2
	s_cbranch_execz .LBB39_1235
	s_branch .LBB39_1236
.LBB39_1295:
	s_mov_b32 s13, -1
	s_mov_b32 s12, 0
	s_mov_b32 s1, 0
	s_branch .LBB39_1299
.LBB39_1296:
	s_and_not1_saveexec_b32 s11, s11
	s_cbranch_execz .LBB39_1021
.LBB39_1297:
	v_add_f32_e32 v2, 0x42800000, v3
	s_and_not1_b32 s10, s10, exec_lo
	s_delay_alu instid0(VALU_DEP_1) | instskip(NEXT) | instid1(VALU_DEP_1)
	v_and_b32_e32 v2, 0xff, v2
	v_cmp_ne_u32_e32 vcc_lo, 0, v2
	s_and_b32 s12, vcc_lo, exec_lo
	s_delay_alu instid0(SALU_CYCLE_1)
	s_or_b32 s10, s10, s12
	s_or_b32 exec_lo, exec_lo, s11
	v_mov_b32_e32 v4, 0
	s_and_saveexec_b32 s11, s10
	s_cbranch_execnz .LBB39_1022
	s_branch .LBB39_1023
.LBB39_1298:
	s_mov_b32 s1, -1
	s_mov_b32 s12, 0
.LBB39_1299:
                                        ; implicit-def: $vgpr10_vgpr11
.LBB39_1300:
	s_and_b32 vcc_lo, exec_lo, s13
	s_cbranch_vccz .LBB39_1304
; %bb.1301:
	s_cmp_eq_u32 s0, 44
	s_cbranch_scc0 .LBB39_1303
; %bb.1302:
	global_load_u8 v1, v[16:17], off
	s_mov_b32 s1, 0
	s_mov_b32 s12, -1
	s_wait_loadcnt 0x0
	v_lshlrev_b32_e32 v3, 23, v1
	v_cmp_ne_u32_e32 vcc_lo, 0xff, v1
	s_delay_alu instid0(VALU_DEP_2) | instskip(NEXT) | instid1(VALU_DEP_1)
	v_cvt_f64_f32_e32 v[10:11], v3
	v_cndmask_b32_e32 v3, 0x20000000, v10, vcc_lo
	s_delay_alu instid0(VALU_DEP_2) | instskip(SKIP_1) | instid1(VALU_DEP_2)
	v_cndmask_b32_e32 v5, 0x7ff80000, v11, vcc_lo
	v_cmp_ne_u32_e32 vcc_lo, 0, v1
	v_cndmask_b32_e32 v11, 0x38000000, v5, vcc_lo
	s_delay_alu instid0(VALU_DEP_4)
	v_cndmask_b32_e32 v10, 0, v3, vcc_lo
	s_branch .LBB39_1304
.LBB39_1303:
	s_mov_b32 s1, -1
                                        ; implicit-def: $vgpr10_vgpr11
.LBB39_1304:
	s_mov_b32 s13, 0
.LBB39_1305:
	s_delay_alu instid0(SALU_CYCLE_1)
	s_and_b32 vcc_lo, exec_lo, s13
	s_cbranch_vccz .LBB39_1309
; %bb.1306:
	s_cmp_eq_u32 s0, 29
	s_cbranch_scc0 .LBB39_1308
; %bb.1307:
	global_load_b64 v[10:11], v[16:17], off
	s_mov_b32 s1, 0
	s_mov_b32 s12, -1
	s_mov_b32 s13, 0
	s_wait_loadcnt 0x0
	v_cvt_f64_u32_e32 v[18:19], v11
	v_cvt_f64_u32_e32 v[10:11], v10
	s_delay_alu instid0(VALU_DEP_2) | instskip(NEXT) | instid1(VALU_DEP_1)
	v_ldexp_f64 v[18:19], v[18:19], 32
	v_add_f64_e32 v[10:11], v[18:19], v[10:11]
	s_branch .LBB39_1310
.LBB39_1308:
	s_mov_b32 s1, -1
                                        ; implicit-def: $vgpr10_vgpr11
.LBB39_1309:
	s_mov_b32 s13, 0
.LBB39_1310:
	s_delay_alu instid0(SALU_CYCLE_1)
	s_and_b32 vcc_lo, exec_lo, s13
	s_cbranch_vccz .LBB39_1328
; %bb.1311:
	s_cmp_lt_i32 s0, 27
	s_cbranch_scc1 .LBB39_1314
; %bb.1312:
	s_cmp_gt_i32 s0, 27
	s_cbranch_scc0 .LBB39_1315
; %bb.1313:
	global_load_b32 v1, v[16:17], off
	s_mov_b32 s12, 0
	s_wait_loadcnt 0x0
	v_cvt_f64_u32_e32 v[10:11], v1
	s_branch .LBB39_1316
.LBB39_1314:
	s_mov_b32 s12, -1
                                        ; implicit-def: $vgpr10_vgpr11
	s_branch .LBB39_1319
.LBB39_1315:
	s_mov_b32 s12, -1
                                        ; implicit-def: $vgpr10_vgpr11
.LBB39_1316:
	s_delay_alu instid0(SALU_CYCLE_1)
	s_and_not1_b32 vcc_lo, exec_lo, s12
	s_cbranch_vccnz .LBB39_1318
; %bb.1317:
	global_load_u16 v1, v[16:17], off
	s_wait_loadcnt 0x0
	v_cvt_f64_u32_e32 v[10:11], v1
.LBB39_1318:
	s_mov_b32 s12, 0
.LBB39_1319:
	s_delay_alu instid0(SALU_CYCLE_1)
	s_and_not1_b32 vcc_lo, exec_lo, s12
	s_cbranch_vccnz .LBB39_1327
; %bb.1320:
	global_load_u8 v1, v[16:17], off
	s_mov_b32 s12, 0
	s_mov_b32 s13, exec_lo
	s_wait_loadcnt 0x0
	v_cmpx_lt_i16_e32 0x7f, v1
	s_xor_b32 s13, exec_lo, s13
	s_cbranch_execz .LBB39_1340
; %bb.1321:
	s_mov_b32 s12, -1
	s_mov_b32 s14, exec_lo
	v_cmpx_eq_u16_e32 0x80, v1
; %bb.1322:
	s_xor_b32 s12, exec_lo, -1
; %bb.1323:
	s_or_b32 exec_lo, exec_lo, s14
	s_delay_alu instid0(SALU_CYCLE_1)
	s_and_b32 s12, s12, exec_lo
	s_or_saveexec_b32 s13, s13
	v_mov_b64_e32 v[10:11], 0x7ff8000020000000
	s_xor_b32 exec_lo, exec_lo, s13
	s_cbranch_execnz .LBB39_1341
.LBB39_1324:
	s_or_b32 exec_lo, exec_lo, s13
	s_and_saveexec_b32 s13, s12
	s_cbranch_execz .LBB39_1326
.LBB39_1325:
	v_and_b32_e32 v3, 0xffff, v1
	s_delay_alu instid0(VALU_DEP_1) | instskip(SKIP_1) | instid1(VALU_DEP_2)
	v_dual_lshlrev_b32 v1, 24, v1 :: v_dual_bitop2_b32 v5, 7, v3 bitop3:0x40
	v_bfe_u32 v11, v3, 3, 4
	v_and_b32_e32 v1, 0x80000000, v1
	s_delay_alu instid0(VALU_DEP_3) | instskip(NEXT) | instid1(VALU_DEP_3)
	v_clz_i32_u32_e32 v7, v5
	v_cmp_eq_u32_e32 vcc_lo, 0, v11
	s_delay_alu instid0(VALU_DEP_2) | instskip(NEXT) | instid1(VALU_DEP_1)
	v_min_u32_e32 v7, 32, v7
	v_subrev_nc_u32_e32 v10, 28, v7
	v_sub_nc_u32_e32 v7, 29, v7
	s_delay_alu instid0(VALU_DEP_2) | instskip(NEXT) | instid1(VALU_DEP_2)
	v_lshlrev_b32_e32 v3, v10, v3
	v_cndmask_b32_e32 v7, v11, v7, vcc_lo
	s_delay_alu instid0(VALU_DEP_2) | instskip(NEXT) | instid1(VALU_DEP_1)
	v_and_b32_e32 v3, 7, v3
	v_cndmask_b32_e32 v3, v5, v3, vcc_lo
	s_delay_alu instid0(VALU_DEP_3) | instskip(NEXT) | instid1(VALU_DEP_2)
	v_lshl_add_u32 v5, v7, 23, 0x3b800000
	v_lshlrev_b32_e32 v3, 20, v3
	s_delay_alu instid0(VALU_DEP_1) | instskip(NEXT) | instid1(VALU_DEP_1)
	v_or3_b32 v1, v1, v5, v3
	v_cvt_f64_f32_e32 v[10:11], v1
.LBB39_1326:
	s_or_b32 exec_lo, exec_lo, s13
.LBB39_1327:
	s_mov_b32 s12, -1
.LBB39_1328:
	s_branch .LBB39_1361
.LBB39_1329:
	s_cmp_gt_i32 s0, 22
	s_cbranch_scc0 .LBB39_1339
; %bb.1330:
	s_cmp_lt_i32 s0, 24
	s_cbranch_scc1 .LBB39_1342
; %bb.1331:
	s_cmp_gt_i32 s0, 24
	s_cbranch_scc0 .LBB39_1343
; %bb.1332:
	global_load_u8 v1, v[16:17], off
	s_mov_b32 s12, exec_lo
	s_wait_loadcnt 0x0
	v_cmpx_lt_i16_e32 0x7f, v1
	s_xor_b32 s12, exec_lo, s12
	s_cbranch_execz .LBB39_1355
; %bb.1333:
	s_mov_b32 s11, -1
	s_mov_b32 s13, exec_lo
	v_cmpx_eq_u16_e32 0x80, v1
; %bb.1334:
	s_xor_b32 s11, exec_lo, -1
; %bb.1335:
	s_or_b32 exec_lo, exec_lo, s13
	s_delay_alu instid0(SALU_CYCLE_1)
	s_and_b32 s11, s11, exec_lo
	s_or_saveexec_b32 s12, s12
	v_mov_b64_e32 v[10:11], 0x7ff8000020000000
	s_xor_b32 exec_lo, exec_lo, s12
	s_cbranch_execnz .LBB39_1356
.LBB39_1336:
	s_or_b32 exec_lo, exec_lo, s12
	s_and_saveexec_b32 s12, s11
	s_cbranch_execz .LBB39_1338
.LBB39_1337:
	v_and_b32_e32 v3, 0xffff, v1
	s_delay_alu instid0(VALU_DEP_1) | instskip(SKIP_1) | instid1(VALU_DEP_2)
	v_dual_lshlrev_b32 v1, 24, v1 :: v_dual_bitop2_b32 v5, 3, v3 bitop3:0x40
	v_bfe_u32 v11, v3, 2, 5
	v_and_b32_e32 v1, 0x80000000, v1
	s_delay_alu instid0(VALU_DEP_3) | instskip(NEXT) | instid1(VALU_DEP_3)
	v_clz_i32_u32_e32 v7, v5
	v_cmp_eq_u32_e32 vcc_lo, 0, v11
	s_delay_alu instid0(VALU_DEP_2) | instskip(NEXT) | instid1(VALU_DEP_1)
	v_min_u32_e32 v7, 32, v7
	v_subrev_nc_u32_e32 v10, 29, v7
	v_sub_nc_u32_e32 v7, 30, v7
	s_delay_alu instid0(VALU_DEP_2) | instskip(NEXT) | instid1(VALU_DEP_2)
	v_lshlrev_b32_e32 v3, v10, v3
	v_cndmask_b32_e32 v7, v11, v7, vcc_lo
	s_delay_alu instid0(VALU_DEP_2) | instskip(NEXT) | instid1(VALU_DEP_1)
	v_and_b32_e32 v3, 3, v3
	v_cndmask_b32_e32 v3, v5, v3, vcc_lo
	s_delay_alu instid0(VALU_DEP_3) | instskip(NEXT) | instid1(VALU_DEP_2)
	v_lshl_add_u32 v5, v7, 23, 0x37800000
	v_lshlrev_b32_e32 v3, 21, v3
	s_delay_alu instid0(VALU_DEP_1) | instskip(NEXT) | instid1(VALU_DEP_1)
	v_or3_b32 v1, v1, v5, v3
	v_cvt_f64_f32_e32 v[10:11], v1
.LBB39_1338:
	s_or_b32 exec_lo, exec_lo, s12
	s_mov_b32 s11, 0
	s_branch .LBB39_1344
.LBB39_1339:
	s_mov_b32 s11, -1
                                        ; implicit-def: $vgpr10_vgpr11
	s_branch .LBB39_1350
.LBB39_1340:
	s_or_saveexec_b32 s13, s13
	v_mov_b64_e32 v[10:11], 0x7ff8000020000000
	s_xor_b32 exec_lo, exec_lo, s13
	s_cbranch_execz .LBB39_1324
.LBB39_1341:
	v_cmp_ne_u16_e32 vcc_lo, 0, v1
	v_mov_b64_e32 v[10:11], 0
	s_and_not1_b32 s12, s12, exec_lo
	s_and_b32 s14, vcc_lo, exec_lo
	s_delay_alu instid0(SALU_CYCLE_1)
	s_or_b32 s12, s12, s14
	s_or_b32 exec_lo, exec_lo, s13
	s_and_saveexec_b32 s13, s12
	s_cbranch_execnz .LBB39_1325
	s_branch .LBB39_1326
.LBB39_1342:
	s_mov_b32 s11, -1
                                        ; implicit-def: $vgpr10_vgpr11
	s_branch .LBB39_1347
.LBB39_1343:
	s_mov_b32 s11, -1
                                        ; implicit-def: $vgpr10_vgpr11
.LBB39_1344:
	s_delay_alu instid0(SALU_CYCLE_1)
	s_and_b32 vcc_lo, exec_lo, s11
	s_cbranch_vccz .LBB39_1346
; %bb.1345:
	global_load_u8 v1, v[16:17], off
	s_wait_loadcnt 0x0
	v_lshlrev_b32_e32 v1, 24, v1
	s_delay_alu instid0(VALU_DEP_1) | instskip(NEXT) | instid1(VALU_DEP_1)
	v_and_b32_e32 v3, 0x7f000000, v1
	v_clz_i32_u32_e32 v5, v3
	v_cmp_ne_u32_e32 vcc_lo, 0, v3
	v_add_nc_u32_e32 v10, 0x1000000, v3
	s_delay_alu instid0(VALU_DEP_3) | instskip(NEXT) | instid1(VALU_DEP_1)
	v_min_u32_e32 v5, 32, v5
	v_sub_nc_u32_e64 v5, v5, 4 clamp
	s_delay_alu instid0(VALU_DEP_1) | instskip(NEXT) | instid1(VALU_DEP_1)
	v_dual_lshlrev_b32 v7, v5, v3 :: v_dual_lshlrev_b32 v5, 23, v5
	v_lshrrev_b32_e32 v7, 4, v7
	s_delay_alu instid0(VALU_DEP_1) | instskip(NEXT) | instid1(VALU_DEP_1)
	v_dual_sub_nc_u32 v5, v7, v5 :: v_dual_ashrrev_i32 v7, 8, v10
	v_add_nc_u32_e32 v5, 0x3c000000, v5
	s_delay_alu instid0(VALU_DEP_1) | instskip(NEXT) | instid1(VALU_DEP_1)
	v_and_or_b32 v5, 0x7f800000, v7, v5
	v_cndmask_b32_e32 v3, 0, v5, vcc_lo
	s_delay_alu instid0(VALU_DEP_1) | instskip(NEXT) | instid1(VALU_DEP_1)
	v_and_or_b32 v1, 0x80000000, v1, v3
	v_cvt_f64_f32_e32 v[10:11], v1
.LBB39_1346:
	s_mov_b32 s11, 0
.LBB39_1347:
	s_delay_alu instid0(SALU_CYCLE_1)
	s_and_not1_b32 vcc_lo, exec_lo, s11
	s_cbranch_vccnz .LBB39_1349
; %bb.1348:
	global_load_u8 v1, v[16:17], off
	s_wait_loadcnt 0x0
	v_lshlrev_b32_e32 v3, 25, v1
	v_lshlrev_b16 v1, 8, v1
	s_delay_alu instid0(VALU_DEP_1) | instskip(SKIP_1) | instid1(VALU_DEP_2)
	v_and_or_b32 v7, 0x7f00, v1, 0.5
	v_bfe_i32 v1, v1, 0, 16
	v_add_f32_e32 v7, -0.5, v7
	v_lshrrev_b32_e32 v5, 4, v3
	v_cmp_gt_u32_e32 vcc_lo, 0x8000000, v3
	s_delay_alu instid0(VALU_DEP_2) | instskip(NEXT) | instid1(VALU_DEP_1)
	v_or_b32_e32 v5, 0x70000000, v5
	v_mul_f32_e32 v5, 0x7800000, v5
	s_delay_alu instid0(VALU_DEP_1) | instskip(NEXT) | instid1(VALU_DEP_1)
	v_cndmask_b32_e32 v3, v5, v7, vcc_lo
	v_and_or_b32 v1, 0x80000000, v1, v3
	s_delay_alu instid0(VALU_DEP_1)
	v_cvt_f64_f32_e32 v[10:11], v1
.LBB39_1349:
	s_mov_b32 s11, 0
	s_mov_b32 s12, -1
.LBB39_1350:
	s_and_not1_b32 vcc_lo, exec_lo, s11
	s_mov_b32 s11, 0
	s_cbranch_vccnz .LBB39_1361
; %bb.1351:
	s_cmp_gt_i32 s0, 14
	s_cbranch_scc0 .LBB39_1354
; %bb.1352:
	s_cmp_eq_u32 s0, 15
	s_cbranch_scc0 .LBB39_1357
; %bb.1353:
	global_load_u16 v1, v[16:17], off
	s_mov_b32 s1, 0
	s_mov_b32 s12, -1
	s_wait_loadcnt 0x0
	v_lshlrev_b32_e32 v1, 16, v1
	s_delay_alu instid0(VALU_DEP_1)
	v_cvt_f64_f32_e32 v[10:11], v1
	s_branch .LBB39_1359
.LBB39_1354:
	s_mov_b32 s11, -1
	s_branch .LBB39_1358
.LBB39_1355:
	s_or_saveexec_b32 s12, s12
	v_mov_b64_e32 v[10:11], 0x7ff8000020000000
	s_xor_b32 exec_lo, exec_lo, s12
	s_cbranch_execz .LBB39_1336
.LBB39_1356:
	v_cmp_ne_u16_e32 vcc_lo, 0, v1
	v_mov_b64_e32 v[10:11], 0
	s_and_not1_b32 s11, s11, exec_lo
	s_and_b32 s13, vcc_lo, exec_lo
	s_delay_alu instid0(SALU_CYCLE_1)
	s_or_b32 s11, s11, s13
	s_or_b32 exec_lo, exec_lo, s12
	s_and_saveexec_b32 s12, s11
	s_cbranch_execnz .LBB39_1337
	s_branch .LBB39_1338
.LBB39_1357:
	s_mov_b32 s1, -1
.LBB39_1358:
                                        ; implicit-def: $vgpr10_vgpr11
.LBB39_1359:
	s_and_b32 vcc_lo, exec_lo, s11
	s_mov_b32 s11, 0
	s_cbranch_vccz .LBB39_1361
; %bb.1360:
	s_cmp_lg_u32 s0, 11
	s_mov_b32 s11, -1
	s_cselect_b32 s1, -1, 0
.LBB39_1361:
	s_delay_alu instid0(SALU_CYCLE_1)
	s_and_b32 vcc_lo, exec_lo, s1
	s_cbranch_vccnz .LBB39_1424
; %bb.1362:
	s_and_not1_b32 vcc_lo, exec_lo, s11
	s_cbranch_vccnz .LBB39_1364
.LBB39_1363:
	global_load_u8 v1, v[16:17], off
	v_mov_b32_e32 v10, 0
	s_mov_b32 s12, -1
	s_wait_loadcnt 0x0
	v_cmp_ne_u16_e32 vcc_lo, 0, v1
	v_cndmask_b32_e64 v11, 0, 0x3ff00000, vcc_lo
.LBB39_1364:
	s_branch .LBB39_1290
.LBB39_1365:
	s_cmp_lt_i32 s0, 5
	s_cbranch_scc1 .LBB39_1370
; %bb.1366:
	s_cmp_lt_i32 s0, 8
	s_cbranch_scc1 .LBB39_1371
; %bb.1367:
	;; [unrolled: 3-line block ×3, first 2 shown]
	s_cmp_gt_i32 s0, 9
	s_cbranch_scc0 .LBB39_1373
; %bb.1369:
	global_load_b64 v[10:11], v[16:17], off
	s_mov_b32 s1, 0
	s_branch .LBB39_1374
.LBB39_1370:
                                        ; implicit-def: $vgpr10_vgpr11
	s_branch .LBB39_1392
.LBB39_1371:
	s_mov_b32 s1, -1
                                        ; implicit-def: $vgpr10_vgpr11
	s_branch .LBB39_1380
.LBB39_1372:
	s_mov_b32 s1, -1
                                        ; implicit-def: $vgpr10_vgpr11
	s_branch .LBB39_1377
.LBB39_1373:
	s_mov_b32 s1, -1
                                        ; implicit-def: $vgpr10_vgpr11
.LBB39_1374:
	s_delay_alu instid0(SALU_CYCLE_1)
	s_and_not1_b32 vcc_lo, exec_lo, s1
	s_cbranch_vccnz .LBB39_1376
; %bb.1375:
	global_load_b32 v1, v[16:17], off
	s_wait_loadcnt 0x0
	v_cvt_f64_f32_e32 v[10:11], v1
.LBB39_1376:
	s_mov_b32 s1, 0
.LBB39_1377:
	s_delay_alu instid0(SALU_CYCLE_1)
	s_and_not1_b32 vcc_lo, exec_lo, s1
	s_cbranch_vccnz .LBB39_1379
; %bb.1378:
	global_load_b32 v1, v[16:17], off
	s_wait_loadcnt 0x0
	v_cvt_f32_f16_e32 v1, v1
	s_delay_alu instid0(VALU_DEP_1)
	v_cvt_f64_f32_e32 v[10:11], v1
.LBB39_1379:
	s_mov_b32 s1, 0
.LBB39_1380:
	s_delay_alu instid0(SALU_CYCLE_1)
	s_and_not1_b32 vcc_lo, exec_lo, s1
	s_cbranch_vccnz .LBB39_1391
; %bb.1381:
	s_cmp_lt_i32 s0, 6
	s_cbranch_scc1 .LBB39_1384
; %bb.1382:
	s_cmp_gt_i32 s0, 6
	s_cbranch_scc0 .LBB39_1385
; %bb.1383:
	s_wait_loadcnt 0x0
	global_load_b64 v[10:11], v[16:17], off
	s_mov_b32 s1, 0
	s_branch .LBB39_1386
.LBB39_1384:
	s_mov_b32 s1, -1
                                        ; implicit-def: $vgpr10_vgpr11
	s_branch .LBB39_1389
.LBB39_1385:
	s_mov_b32 s1, -1
                                        ; implicit-def: $vgpr10_vgpr11
.LBB39_1386:
	s_delay_alu instid0(SALU_CYCLE_1)
	s_and_not1_b32 vcc_lo, exec_lo, s1
	s_cbranch_vccnz .LBB39_1388
; %bb.1387:
	global_load_b32 v1, v[16:17], off
	s_wait_loadcnt 0x0
	v_cvt_f64_f32_e32 v[10:11], v1
.LBB39_1388:
	s_mov_b32 s1, 0
.LBB39_1389:
	s_delay_alu instid0(SALU_CYCLE_1)
	s_and_not1_b32 vcc_lo, exec_lo, s1
	s_cbranch_vccnz .LBB39_1391
; %bb.1390:
	global_load_u16 v1, v[16:17], off
	s_wait_loadcnt 0x0
	v_cvt_f32_f16_e32 v1, v1
	s_delay_alu instid0(VALU_DEP_1)
	v_cvt_f64_f32_e32 v[10:11], v1
.LBB39_1391:
	s_cbranch_execnz .LBB39_1411
.LBB39_1392:
	s_cmp_lt_i32 s0, 2
	s_cbranch_scc1 .LBB39_1396
; %bb.1393:
	s_cmp_lt_i32 s0, 3
	s_cbranch_scc1 .LBB39_1397
; %bb.1394:
	s_cmp_gt_i32 s0, 3
	s_cbranch_scc0 .LBB39_1398
; %bb.1395:
	s_wait_loadcnt 0x0
	global_load_b64 v[10:11], v[16:17], off
	s_mov_b32 s1, 0
	s_wait_loadcnt 0x0
	v_cvt_f64_i32_e32 v[18:19], v11
	v_cvt_f64_u32_e32 v[10:11], v10
	s_delay_alu instid0(VALU_DEP_2) | instskip(NEXT) | instid1(VALU_DEP_1)
	v_ldexp_f64 v[18:19], v[18:19], 32
	v_add_f64_e32 v[10:11], v[18:19], v[10:11]
	s_branch .LBB39_1399
.LBB39_1396:
	s_mov_b32 s1, -1
                                        ; implicit-def: $vgpr10_vgpr11
	s_branch .LBB39_1405
.LBB39_1397:
	s_mov_b32 s1, -1
                                        ; implicit-def: $vgpr10_vgpr11
	s_branch .LBB39_1402
.LBB39_1398:
	s_mov_b32 s1, -1
                                        ; implicit-def: $vgpr10_vgpr11
.LBB39_1399:
	s_delay_alu instid0(SALU_CYCLE_1)
	s_and_not1_b32 vcc_lo, exec_lo, s1
	s_cbranch_vccnz .LBB39_1401
; %bb.1400:
	global_load_b32 v1, v[16:17], off
	s_wait_loadcnt 0x0
	v_cvt_f64_i32_e32 v[10:11], v1
.LBB39_1401:
	s_mov_b32 s1, 0
.LBB39_1402:
	s_delay_alu instid0(SALU_CYCLE_1)
	s_and_not1_b32 vcc_lo, exec_lo, s1
	s_cbranch_vccnz .LBB39_1404
; %bb.1403:
	global_load_i16 v1, v[16:17], off
	s_wait_loadcnt 0x0
	v_cvt_f64_i32_e32 v[10:11], v1
.LBB39_1404:
	s_mov_b32 s1, 0
.LBB39_1405:
	s_delay_alu instid0(SALU_CYCLE_1)
	s_and_not1_b32 vcc_lo, exec_lo, s1
	s_cbranch_vccnz .LBB39_1411
; %bb.1406:
	s_cmp_gt_i32 s0, 0
	s_mov_b32 s1, 0
	s_cbranch_scc0 .LBB39_1408
; %bb.1407:
	global_load_i8 v1, v[16:17], off
	s_wait_loadcnt 0x0
	v_cvt_f64_i32_e32 v[10:11], v1
	s_branch .LBB39_1409
.LBB39_1408:
	s_mov_b32 s1, -1
                                        ; implicit-def: $vgpr10_vgpr11
.LBB39_1409:
	s_delay_alu instid0(SALU_CYCLE_1)
	s_and_not1_b32 vcc_lo, exec_lo, s1
	s_cbranch_vccnz .LBB39_1411
; %bb.1410:
	global_load_u8 v1, v[16:17], off
	s_wait_loadcnt 0x0
	v_cvt_f64_u32_e32 v[10:11], v1
.LBB39_1411:
.LBB39_1412:
	v_mov_b32_e32 v13, 0
	s_cmp_lt_i32 s0, 11
	s_wait_xcnt 0x0
	s_delay_alu instid0(VALU_DEP_1)
	v_add_nc_u64_e32 v[16:17], s[6:7], v[12:13]
	s_cbranch_scc1 .LBB39_1419
; %bb.1413:
	s_cmp_gt_i32 s0, 25
	s_mov_b32 s11, 0
	s_cbranch_scc0 .LBB39_1421
; %bb.1414:
	s_cmp_gt_i32 s0, 28
	s_cbranch_scc0 .LBB39_1422
; %bb.1415:
	s_cmp_gt_i32 s0, 43
	;; [unrolled: 3-line block ×3, first 2 shown]
	s_cbranch_scc0 .LBB39_1425
; %bb.1417:
	s_cmp_eq_u32 s0, 46
	s_mov_b32 s13, 0
	s_cbranch_scc0 .LBB39_1426
; %bb.1418:
	global_load_b32 v1, v[16:17], off
	s_mov_b32 s1, 0
	s_mov_b32 s12, -1
	s_wait_loadcnt 0x0
	v_lshlrev_b32_e32 v1, 16, v1
	s_delay_alu instid0(VALU_DEP_1)
	v_cvt_f64_f32_e32 v[12:13], v1
	s_branch .LBB39_1428
.LBB39_1419:
	s_mov_b32 s12, 0
                                        ; implicit-def: $vgpr12_vgpr13
	s_cbranch_execnz .LBB39_1494
.LBB39_1420:
	s_and_not1_b32 vcc_lo, exec_lo, s12
	s_cbranch_vccnz .LBB39_2106
	s_branch .LBB39_1542
.LBB39_1421:
	s_mov_b32 s13, -1
	s_mov_b32 s12, 0
	s_mov_b32 s1, 0
                                        ; implicit-def: $vgpr12_vgpr13
	s_branch .LBB39_1457
.LBB39_1422:
	s_mov_b32 s13, -1
	s_mov_b32 s12, 0
	s_mov_b32 s1, 0
                                        ; implicit-def: $vgpr12_vgpr13
	s_branch .LBB39_1438
.LBB39_1423:
	s_mov_b32 s13, -1
	s_mov_b32 s12, 0
	s_mov_b32 s1, 0
                                        ; implicit-def: $vgpr12_vgpr13
	s_branch .LBB39_1433
.LBB39_1424:
	s_or_b32 s10, s10, exec_lo
	s_trap 2
	s_cbranch_execz .LBB39_1363
	s_branch .LBB39_1364
.LBB39_1425:
	s_mov_b32 s13, -1
	s_mov_b32 s12, 0
	s_mov_b32 s1, 0
	s_branch .LBB39_1427
.LBB39_1426:
	s_mov_b32 s1, -1
	s_mov_b32 s12, 0
.LBB39_1427:
                                        ; implicit-def: $vgpr12_vgpr13
.LBB39_1428:
	s_and_b32 vcc_lo, exec_lo, s13
	s_cbranch_vccz .LBB39_1432
; %bb.1429:
	s_cmp_eq_u32 s0, 44
	s_cbranch_scc0 .LBB39_1431
; %bb.1430:
	global_load_u8 v1, v[16:17], off
	s_mov_b32 s1, 0
	s_mov_b32 s12, -1
	s_wait_loadcnt 0x0
	v_lshlrev_b32_e32 v3, 23, v1
	v_cmp_ne_u32_e32 vcc_lo, 0xff, v1
	s_delay_alu instid0(VALU_DEP_2) | instskip(NEXT) | instid1(VALU_DEP_1)
	v_cvt_f64_f32_e32 v[12:13], v3
	v_cndmask_b32_e32 v3, 0x20000000, v12, vcc_lo
	s_delay_alu instid0(VALU_DEP_2) | instskip(SKIP_1) | instid1(VALU_DEP_2)
	v_cndmask_b32_e32 v5, 0x7ff80000, v13, vcc_lo
	v_cmp_ne_u32_e32 vcc_lo, 0, v1
	v_cndmask_b32_e32 v13, 0x38000000, v5, vcc_lo
	s_delay_alu instid0(VALU_DEP_4)
	v_cndmask_b32_e32 v12, 0, v3, vcc_lo
	s_branch .LBB39_1432
.LBB39_1431:
	s_mov_b32 s1, -1
                                        ; implicit-def: $vgpr12_vgpr13
.LBB39_1432:
	s_mov_b32 s13, 0
.LBB39_1433:
	s_delay_alu instid0(SALU_CYCLE_1)
	s_and_b32 vcc_lo, exec_lo, s13
	s_cbranch_vccz .LBB39_1437
; %bb.1434:
	s_cmp_eq_u32 s0, 29
	s_cbranch_scc0 .LBB39_1436
; %bb.1435:
	global_load_b64 v[12:13], v[16:17], off
	s_mov_b32 s1, 0
	s_mov_b32 s12, -1
	s_mov_b32 s13, 0
	s_wait_loadcnt 0x0
	v_cvt_f64_u32_e32 v[18:19], v13
	v_cvt_f64_u32_e32 v[12:13], v12
	s_delay_alu instid0(VALU_DEP_2) | instskip(NEXT) | instid1(VALU_DEP_1)
	v_ldexp_f64 v[18:19], v[18:19], 32
	v_add_f64_e32 v[12:13], v[18:19], v[12:13]
	s_branch .LBB39_1438
.LBB39_1436:
	s_mov_b32 s1, -1
                                        ; implicit-def: $vgpr12_vgpr13
.LBB39_1437:
	s_mov_b32 s13, 0
.LBB39_1438:
	s_delay_alu instid0(SALU_CYCLE_1)
	s_and_b32 vcc_lo, exec_lo, s13
	s_cbranch_vccz .LBB39_1456
; %bb.1439:
	s_cmp_lt_i32 s0, 27
	s_cbranch_scc1 .LBB39_1442
; %bb.1440:
	s_cmp_gt_i32 s0, 27
	s_cbranch_scc0 .LBB39_1443
; %bb.1441:
	global_load_b32 v1, v[16:17], off
	s_mov_b32 s12, 0
	s_wait_loadcnt 0x0
	v_cvt_f64_u32_e32 v[12:13], v1
	s_branch .LBB39_1444
.LBB39_1442:
	s_mov_b32 s12, -1
                                        ; implicit-def: $vgpr12_vgpr13
	s_branch .LBB39_1447
.LBB39_1443:
	s_mov_b32 s12, -1
                                        ; implicit-def: $vgpr12_vgpr13
.LBB39_1444:
	s_delay_alu instid0(SALU_CYCLE_1)
	s_and_not1_b32 vcc_lo, exec_lo, s12
	s_cbranch_vccnz .LBB39_1446
; %bb.1445:
	global_load_u16 v1, v[16:17], off
	s_wait_loadcnt 0x0
	v_cvt_f64_u32_e32 v[12:13], v1
.LBB39_1446:
	s_mov_b32 s12, 0
.LBB39_1447:
	s_delay_alu instid0(SALU_CYCLE_1)
	s_and_not1_b32 vcc_lo, exec_lo, s12
	s_cbranch_vccnz .LBB39_1455
; %bb.1448:
	global_load_u8 v1, v[16:17], off
	s_mov_b32 s12, 0
	s_mov_b32 s13, exec_lo
	s_wait_loadcnt 0x0
	v_cmpx_lt_i16_e32 0x7f, v1
	s_xor_b32 s13, exec_lo, s13
	s_cbranch_execz .LBB39_1469
; %bb.1449:
	s_mov_b32 s12, -1
	s_mov_b32 s14, exec_lo
	v_cmpx_eq_u16_e32 0x80, v1
; %bb.1450:
	s_xor_b32 s12, exec_lo, -1
; %bb.1451:
	s_or_b32 exec_lo, exec_lo, s14
	s_delay_alu instid0(SALU_CYCLE_1)
	s_and_b32 s12, s12, exec_lo
	s_or_saveexec_b32 s13, s13
	v_mov_b64_e32 v[12:13], 0x7ff8000020000000
	s_xor_b32 exec_lo, exec_lo, s13
	s_cbranch_execnz .LBB39_1470
.LBB39_1452:
	s_or_b32 exec_lo, exec_lo, s13
	s_and_saveexec_b32 s13, s12
	s_cbranch_execz .LBB39_1454
.LBB39_1453:
	v_and_b32_e32 v3, 0xffff, v1
	s_delay_alu instid0(VALU_DEP_1) | instskip(SKIP_1) | instid1(VALU_DEP_2)
	v_dual_lshlrev_b32 v1, 24, v1 :: v_dual_bitop2_b32 v5, 7, v3 bitop3:0x40
	v_bfe_u32 v13, v3, 3, 4
	v_and_b32_e32 v1, 0x80000000, v1
	s_delay_alu instid0(VALU_DEP_3) | instskip(NEXT) | instid1(VALU_DEP_3)
	v_clz_i32_u32_e32 v7, v5
	v_cmp_eq_u32_e32 vcc_lo, 0, v13
	s_delay_alu instid0(VALU_DEP_2) | instskip(NEXT) | instid1(VALU_DEP_1)
	v_min_u32_e32 v7, 32, v7
	v_subrev_nc_u32_e32 v12, 28, v7
	v_sub_nc_u32_e32 v7, 29, v7
	s_delay_alu instid0(VALU_DEP_2) | instskip(NEXT) | instid1(VALU_DEP_2)
	v_lshlrev_b32_e32 v3, v12, v3
	v_cndmask_b32_e32 v7, v13, v7, vcc_lo
	s_delay_alu instid0(VALU_DEP_2) | instskip(NEXT) | instid1(VALU_DEP_1)
	v_and_b32_e32 v3, 7, v3
	v_cndmask_b32_e32 v3, v5, v3, vcc_lo
	s_delay_alu instid0(VALU_DEP_3) | instskip(NEXT) | instid1(VALU_DEP_2)
	v_lshl_add_u32 v5, v7, 23, 0x3b800000
	v_lshlrev_b32_e32 v3, 20, v3
	s_delay_alu instid0(VALU_DEP_1) | instskip(NEXT) | instid1(VALU_DEP_1)
	v_or3_b32 v1, v1, v5, v3
	v_cvt_f64_f32_e32 v[12:13], v1
.LBB39_1454:
	s_or_b32 exec_lo, exec_lo, s13
.LBB39_1455:
	s_mov_b32 s12, -1
.LBB39_1456:
	s_mov_b32 s13, 0
.LBB39_1457:
	s_delay_alu instid0(SALU_CYCLE_1)
	s_and_b32 vcc_lo, exec_lo, s13
	s_cbranch_vccz .LBB39_1490
; %bb.1458:
	s_cmp_gt_i32 s0, 22
	s_cbranch_scc0 .LBB39_1468
; %bb.1459:
	s_cmp_lt_i32 s0, 24
	s_cbranch_scc1 .LBB39_1471
; %bb.1460:
	s_cmp_gt_i32 s0, 24
	s_cbranch_scc0 .LBB39_1472
; %bb.1461:
	global_load_u8 v1, v[16:17], off
	s_mov_b32 s12, exec_lo
	s_wait_loadcnt 0x0
	v_cmpx_lt_i16_e32 0x7f, v1
	s_xor_b32 s12, exec_lo, s12
	s_cbranch_execz .LBB39_1484
; %bb.1462:
	s_mov_b32 s11, -1
	s_mov_b32 s13, exec_lo
	v_cmpx_eq_u16_e32 0x80, v1
; %bb.1463:
	s_xor_b32 s11, exec_lo, -1
; %bb.1464:
	s_or_b32 exec_lo, exec_lo, s13
	s_delay_alu instid0(SALU_CYCLE_1)
	s_and_b32 s11, s11, exec_lo
	s_or_saveexec_b32 s12, s12
	v_mov_b64_e32 v[12:13], 0x7ff8000020000000
	s_xor_b32 exec_lo, exec_lo, s12
	s_cbranch_execnz .LBB39_1485
.LBB39_1465:
	s_or_b32 exec_lo, exec_lo, s12
	s_and_saveexec_b32 s12, s11
	s_cbranch_execz .LBB39_1467
.LBB39_1466:
	v_and_b32_e32 v3, 0xffff, v1
	s_delay_alu instid0(VALU_DEP_1) | instskip(SKIP_1) | instid1(VALU_DEP_2)
	v_dual_lshlrev_b32 v1, 24, v1 :: v_dual_bitop2_b32 v5, 3, v3 bitop3:0x40
	v_bfe_u32 v13, v3, 2, 5
	v_and_b32_e32 v1, 0x80000000, v1
	s_delay_alu instid0(VALU_DEP_3) | instskip(NEXT) | instid1(VALU_DEP_3)
	v_clz_i32_u32_e32 v7, v5
	v_cmp_eq_u32_e32 vcc_lo, 0, v13
	s_delay_alu instid0(VALU_DEP_2) | instskip(NEXT) | instid1(VALU_DEP_1)
	v_min_u32_e32 v7, 32, v7
	v_subrev_nc_u32_e32 v12, 29, v7
	v_sub_nc_u32_e32 v7, 30, v7
	s_delay_alu instid0(VALU_DEP_2) | instskip(NEXT) | instid1(VALU_DEP_2)
	v_lshlrev_b32_e32 v3, v12, v3
	v_cndmask_b32_e32 v7, v13, v7, vcc_lo
	s_delay_alu instid0(VALU_DEP_2) | instskip(NEXT) | instid1(VALU_DEP_1)
	v_and_b32_e32 v3, 3, v3
	v_cndmask_b32_e32 v3, v5, v3, vcc_lo
	s_delay_alu instid0(VALU_DEP_3) | instskip(NEXT) | instid1(VALU_DEP_2)
	v_lshl_add_u32 v5, v7, 23, 0x37800000
	v_lshlrev_b32_e32 v3, 21, v3
	s_delay_alu instid0(VALU_DEP_1) | instskip(NEXT) | instid1(VALU_DEP_1)
	v_or3_b32 v1, v1, v5, v3
	v_cvt_f64_f32_e32 v[12:13], v1
.LBB39_1467:
	s_or_b32 exec_lo, exec_lo, s12
	s_mov_b32 s11, 0
	s_branch .LBB39_1473
.LBB39_1468:
	s_mov_b32 s11, -1
                                        ; implicit-def: $vgpr12_vgpr13
	s_branch .LBB39_1479
.LBB39_1469:
	s_or_saveexec_b32 s13, s13
	v_mov_b64_e32 v[12:13], 0x7ff8000020000000
	s_xor_b32 exec_lo, exec_lo, s13
	s_cbranch_execz .LBB39_1452
.LBB39_1470:
	v_cmp_ne_u16_e32 vcc_lo, 0, v1
	v_mov_b64_e32 v[12:13], 0
	s_and_not1_b32 s12, s12, exec_lo
	s_and_b32 s14, vcc_lo, exec_lo
	s_delay_alu instid0(SALU_CYCLE_1)
	s_or_b32 s12, s12, s14
	s_or_b32 exec_lo, exec_lo, s13
	s_and_saveexec_b32 s13, s12
	s_cbranch_execnz .LBB39_1453
	s_branch .LBB39_1454
.LBB39_1471:
	s_mov_b32 s11, -1
                                        ; implicit-def: $vgpr12_vgpr13
	s_branch .LBB39_1476
.LBB39_1472:
	s_mov_b32 s11, -1
                                        ; implicit-def: $vgpr12_vgpr13
.LBB39_1473:
	s_delay_alu instid0(SALU_CYCLE_1)
	s_and_b32 vcc_lo, exec_lo, s11
	s_cbranch_vccz .LBB39_1475
; %bb.1474:
	global_load_u8 v1, v[16:17], off
	s_wait_loadcnt 0x0
	v_lshlrev_b32_e32 v1, 24, v1
	s_delay_alu instid0(VALU_DEP_1) | instskip(NEXT) | instid1(VALU_DEP_1)
	v_and_b32_e32 v3, 0x7f000000, v1
	v_clz_i32_u32_e32 v5, v3
	v_cmp_ne_u32_e32 vcc_lo, 0, v3
	v_add_nc_u32_e32 v12, 0x1000000, v3
	s_delay_alu instid0(VALU_DEP_3) | instskip(NEXT) | instid1(VALU_DEP_1)
	v_min_u32_e32 v5, 32, v5
	v_sub_nc_u32_e64 v5, v5, 4 clamp
	s_delay_alu instid0(VALU_DEP_1) | instskip(NEXT) | instid1(VALU_DEP_1)
	v_dual_lshlrev_b32 v7, v5, v3 :: v_dual_lshlrev_b32 v5, 23, v5
	v_lshrrev_b32_e32 v7, 4, v7
	s_delay_alu instid0(VALU_DEP_1) | instskip(NEXT) | instid1(VALU_DEP_1)
	v_dual_sub_nc_u32 v5, v7, v5 :: v_dual_ashrrev_i32 v7, 8, v12
	v_add_nc_u32_e32 v5, 0x3c000000, v5
	s_delay_alu instid0(VALU_DEP_1) | instskip(NEXT) | instid1(VALU_DEP_1)
	v_and_or_b32 v5, 0x7f800000, v7, v5
	v_cndmask_b32_e32 v3, 0, v5, vcc_lo
	s_delay_alu instid0(VALU_DEP_1) | instskip(NEXT) | instid1(VALU_DEP_1)
	v_and_or_b32 v1, 0x80000000, v1, v3
	v_cvt_f64_f32_e32 v[12:13], v1
.LBB39_1475:
	s_mov_b32 s11, 0
.LBB39_1476:
	s_delay_alu instid0(SALU_CYCLE_1)
	s_and_not1_b32 vcc_lo, exec_lo, s11
	s_cbranch_vccnz .LBB39_1478
; %bb.1477:
	global_load_u8 v1, v[16:17], off
	s_wait_loadcnt 0x0
	v_lshlrev_b32_e32 v3, 25, v1
	v_lshlrev_b16 v1, 8, v1
	s_delay_alu instid0(VALU_DEP_1) | instskip(SKIP_1) | instid1(VALU_DEP_2)
	v_and_or_b32 v7, 0x7f00, v1, 0.5
	v_bfe_i32 v1, v1, 0, 16
	v_add_f32_e32 v7, -0.5, v7
	v_lshrrev_b32_e32 v5, 4, v3
	v_cmp_gt_u32_e32 vcc_lo, 0x8000000, v3
	s_delay_alu instid0(VALU_DEP_2) | instskip(NEXT) | instid1(VALU_DEP_1)
	v_or_b32_e32 v5, 0x70000000, v5
	v_mul_f32_e32 v5, 0x7800000, v5
	s_delay_alu instid0(VALU_DEP_1) | instskip(NEXT) | instid1(VALU_DEP_1)
	v_cndmask_b32_e32 v3, v5, v7, vcc_lo
	v_and_or_b32 v1, 0x80000000, v1, v3
	s_delay_alu instid0(VALU_DEP_1)
	v_cvt_f64_f32_e32 v[12:13], v1
.LBB39_1478:
	s_mov_b32 s11, 0
	s_mov_b32 s12, -1
.LBB39_1479:
	s_and_not1_b32 vcc_lo, exec_lo, s11
	s_mov_b32 s11, 0
	s_cbranch_vccnz .LBB39_1490
; %bb.1480:
	s_cmp_gt_i32 s0, 14
	s_cbranch_scc0 .LBB39_1483
; %bb.1481:
	s_cmp_eq_u32 s0, 15
	s_cbranch_scc0 .LBB39_1486
; %bb.1482:
	global_load_u16 v1, v[16:17], off
	s_mov_b32 s1, 0
	s_mov_b32 s12, -1
	s_wait_loadcnt 0x0
	v_lshlrev_b32_e32 v1, 16, v1
	s_delay_alu instid0(VALU_DEP_1)
	v_cvt_f64_f32_e32 v[12:13], v1
	s_branch .LBB39_1488
.LBB39_1483:
	s_mov_b32 s11, -1
	s_branch .LBB39_1487
.LBB39_1484:
	s_or_saveexec_b32 s12, s12
	v_mov_b64_e32 v[12:13], 0x7ff8000020000000
	s_xor_b32 exec_lo, exec_lo, s12
	s_cbranch_execz .LBB39_1465
.LBB39_1485:
	v_cmp_ne_u16_e32 vcc_lo, 0, v1
	v_mov_b64_e32 v[12:13], 0
	s_and_not1_b32 s11, s11, exec_lo
	s_and_b32 s13, vcc_lo, exec_lo
	s_delay_alu instid0(SALU_CYCLE_1)
	s_or_b32 s11, s11, s13
	s_or_b32 exec_lo, exec_lo, s12
	s_and_saveexec_b32 s12, s11
	s_cbranch_execnz .LBB39_1466
	s_branch .LBB39_1467
.LBB39_1486:
	s_mov_b32 s1, -1
.LBB39_1487:
                                        ; implicit-def: $vgpr12_vgpr13
.LBB39_1488:
	s_and_b32 vcc_lo, exec_lo, s11
	s_mov_b32 s11, 0
	s_cbranch_vccz .LBB39_1490
; %bb.1489:
	s_cmp_lg_u32 s0, 11
	s_mov_b32 s11, -1
	s_cselect_b32 s1, -1, 0
.LBB39_1490:
	s_delay_alu instid0(SALU_CYCLE_1)
	s_and_b32 vcc_lo, exec_lo, s1
	s_cbranch_vccnz .LBB39_1553
; %bb.1491:
	s_and_not1_b32 vcc_lo, exec_lo, s11
	s_cbranch_vccnz .LBB39_1493
.LBB39_1492:
	global_load_u8 v1, v[16:17], off
	v_mov_b32_e32 v12, 0
	s_mov_b32 s12, -1
	s_wait_loadcnt 0x0
	v_cmp_ne_u16_e32 vcc_lo, 0, v1
	v_cndmask_b32_e64 v13, 0, 0x3ff00000, vcc_lo
.LBB39_1493:
	s_branch .LBB39_1420
.LBB39_1494:
	s_cmp_lt_i32 s0, 5
	s_cbranch_scc1 .LBB39_1499
; %bb.1495:
	s_cmp_lt_i32 s0, 8
	s_cbranch_scc1 .LBB39_1500
; %bb.1496:
	;; [unrolled: 3-line block ×3, first 2 shown]
	s_cmp_gt_i32 s0, 9
	s_cbranch_scc0 .LBB39_1502
; %bb.1498:
	global_load_b64 v[12:13], v[16:17], off
	s_mov_b32 s1, 0
	s_branch .LBB39_1503
.LBB39_1499:
	s_mov_b32 s1, -1
                                        ; implicit-def: $vgpr12_vgpr13
	s_branch .LBB39_1521
.LBB39_1500:
	s_mov_b32 s1, -1
                                        ; implicit-def: $vgpr12_vgpr13
	s_branch .LBB39_1509
.LBB39_1501:
	s_mov_b32 s1, -1
                                        ; implicit-def: $vgpr12_vgpr13
	s_branch .LBB39_1506
.LBB39_1502:
	s_mov_b32 s1, -1
                                        ; implicit-def: $vgpr12_vgpr13
.LBB39_1503:
	s_delay_alu instid0(SALU_CYCLE_1)
	s_and_not1_b32 vcc_lo, exec_lo, s1
	s_cbranch_vccnz .LBB39_1505
; %bb.1504:
	global_load_b32 v1, v[16:17], off
	s_wait_loadcnt 0x0
	v_cvt_f64_f32_e32 v[12:13], v1
.LBB39_1505:
	s_mov_b32 s1, 0
.LBB39_1506:
	s_delay_alu instid0(SALU_CYCLE_1)
	s_and_not1_b32 vcc_lo, exec_lo, s1
	s_cbranch_vccnz .LBB39_1508
; %bb.1507:
	global_load_b32 v1, v[16:17], off
	s_wait_loadcnt 0x0
	v_cvt_f32_f16_e32 v1, v1
	s_delay_alu instid0(VALU_DEP_1)
	v_cvt_f64_f32_e32 v[12:13], v1
.LBB39_1508:
	s_mov_b32 s1, 0
.LBB39_1509:
	s_delay_alu instid0(SALU_CYCLE_1)
	s_and_not1_b32 vcc_lo, exec_lo, s1
	s_cbranch_vccnz .LBB39_1520
; %bb.1510:
	s_cmp_lt_i32 s0, 6
	s_cbranch_scc1 .LBB39_1513
; %bb.1511:
	s_cmp_gt_i32 s0, 6
	s_cbranch_scc0 .LBB39_1514
; %bb.1512:
	s_wait_loadcnt 0x0
	global_load_b64 v[12:13], v[16:17], off
	s_mov_b32 s1, 0
	s_branch .LBB39_1515
.LBB39_1513:
	s_mov_b32 s1, -1
                                        ; implicit-def: $vgpr12_vgpr13
	s_branch .LBB39_1518
.LBB39_1514:
	s_mov_b32 s1, -1
                                        ; implicit-def: $vgpr12_vgpr13
.LBB39_1515:
	s_delay_alu instid0(SALU_CYCLE_1)
	s_and_not1_b32 vcc_lo, exec_lo, s1
	s_cbranch_vccnz .LBB39_1517
; %bb.1516:
	global_load_b32 v1, v[16:17], off
	s_wait_loadcnt 0x0
	v_cvt_f64_f32_e32 v[12:13], v1
.LBB39_1517:
	s_mov_b32 s1, 0
.LBB39_1518:
	s_delay_alu instid0(SALU_CYCLE_1)
	s_and_not1_b32 vcc_lo, exec_lo, s1
	s_cbranch_vccnz .LBB39_1520
; %bb.1519:
	global_load_u16 v1, v[16:17], off
	s_wait_loadcnt 0x0
	v_cvt_f32_f16_e32 v1, v1
	s_delay_alu instid0(VALU_DEP_1)
	v_cvt_f64_f32_e32 v[12:13], v1
.LBB39_1520:
	s_mov_b32 s1, 0
.LBB39_1521:
	s_delay_alu instid0(SALU_CYCLE_1)
	s_and_not1_b32 vcc_lo, exec_lo, s1
	s_cbranch_vccnz .LBB39_1541
; %bb.1522:
	s_cmp_lt_i32 s0, 2
	s_cbranch_scc1 .LBB39_1526
; %bb.1523:
	s_cmp_lt_i32 s0, 3
	s_cbranch_scc1 .LBB39_1527
; %bb.1524:
	s_cmp_gt_i32 s0, 3
	s_cbranch_scc0 .LBB39_1528
; %bb.1525:
	s_wait_loadcnt 0x0
	global_load_b64 v[12:13], v[16:17], off
	s_mov_b32 s1, 0
	s_wait_loadcnt 0x0
	v_cvt_f64_i32_e32 v[18:19], v13
	v_cvt_f64_u32_e32 v[12:13], v12
	s_delay_alu instid0(VALU_DEP_2) | instskip(NEXT) | instid1(VALU_DEP_1)
	v_ldexp_f64 v[18:19], v[18:19], 32
	v_add_f64_e32 v[12:13], v[18:19], v[12:13]
	s_branch .LBB39_1529
.LBB39_1526:
	s_mov_b32 s1, -1
                                        ; implicit-def: $vgpr12_vgpr13
	s_branch .LBB39_1535
.LBB39_1527:
	s_mov_b32 s1, -1
                                        ; implicit-def: $vgpr12_vgpr13
	s_branch .LBB39_1532
.LBB39_1528:
	s_mov_b32 s1, -1
                                        ; implicit-def: $vgpr12_vgpr13
.LBB39_1529:
	s_delay_alu instid0(SALU_CYCLE_1)
	s_and_not1_b32 vcc_lo, exec_lo, s1
	s_cbranch_vccnz .LBB39_1531
; %bb.1530:
	global_load_b32 v1, v[16:17], off
	s_wait_loadcnt 0x0
	v_cvt_f64_i32_e32 v[12:13], v1
.LBB39_1531:
	s_mov_b32 s1, 0
.LBB39_1532:
	s_delay_alu instid0(SALU_CYCLE_1)
	s_and_not1_b32 vcc_lo, exec_lo, s1
	s_cbranch_vccnz .LBB39_1534
; %bb.1533:
	global_load_i16 v1, v[16:17], off
	s_wait_loadcnt 0x0
	v_cvt_f64_i32_e32 v[12:13], v1
.LBB39_1534:
	s_mov_b32 s1, 0
.LBB39_1535:
	s_delay_alu instid0(SALU_CYCLE_1)
	s_and_not1_b32 vcc_lo, exec_lo, s1
	s_cbranch_vccnz .LBB39_1541
; %bb.1536:
	s_cmp_gt_i32 s0, 0
	s_mov_b32 s1, 0
	s_cbranch_scc0 .LBB39_1538
; %bb.1537:
	global_load_i8 v1, v[16:17], off
	s_wait_loadcnt 0x0
	v_cvt_f64_i32_e32 v[12:13], v1
	s_branch .LBB39_1539
.LBB39_1538:
	s_mov_b32 s1, -1
                                        ; implicit-def: $vgpr12_vgpr13
.LBB39_1539:
	s_delay_alu instid0(SALU_CYCLE_1)
	s_and_not1_b32 vcc_lo, exec_lo, s1
	s_cbranch_vccnz .LBB39_1541
; %bb.1540:
	global_load_u8 v1, v[16:17], off
	s_wait_loadcnt 0x0
	v_cvt_f64_u32_e32 v[12:13], v1
.LBB39_1541:
.LBB39_1542:
	v_mov_b32_e32 v15, 0
	s_cmp_lt_i32 s0, 11
	s_wait_xcnt 0x0
	s_delay_alu instid0(VALU_DEP_1)
	v_add_nc_u64_e32 v[16:17], s[6:7], v[14:15]
	s_cbranch_scc1 .LBB39_1549
; %bb.1543:
	s_cmp_gt_i32 s0, 25
	s_mov_b32 s6, 0
	s_cbranch_scc0 .LBB39_1550
; %bb.1544:
	s_cmp_gt_i32 s0, 28
	s_cbranch_scc0 .LBB39_1551
; %bb.1545:
	s_cmp_gt_i32 s0, 43
	;; [unrolled: 3-line block ×3, first 2 shown]
	s_cbranch_scc0 .LBB39_1554
; %bb.1547:
	s_cmp_eq_u32 s0, 46
	s_mov_b32 s11, 0
	s_cbranch_scc0 .LBB39_1555
; %bb.1548:
	global_load_b32 v1, v[16:17], off
	s_mov_b32 s1, 0
	s_mov_b32 s7, -1
	s_wait_loadcnt 0x0
	v_lshlrev_b32_e32 v1, 16, v1
	s_delay_alu instid0(VALU_DEP_1)
	v_cvt_f64_f32_e32 v[14:15], v1
	s_branch .LBB39_1557
.LBB39_1549:
	s_mov_b32 s1, -1
	s_mov_b32 s7, 0
                                        ; implicit-def: $vgpr14_vgpr15
	s_branch .LBB39_1623
.LBB39_1550:
	s_mov_b32 s11, -1
	s_mov_b32 s7, 0
	s_mov_b32 s1, 0
                                        ; implicit-def: $vgpr14_vgpr15
	s_branch .LBB39_1586
.LBB39_1551:
	s_mov_b32 s11, -1
	s_mov_b32 s7, 0
	s_mov_b32 s1, 0
                                        ; implicit-def: $vgpr14_vgpr15
	s_branch .LBB39_1567
.LBB39_1552:
	s_mov_b32 s11, -1
	s_mov_b32 s7, 0
	s_mov_b32 s1, 0
                                        ; implicit-def: $vgpr14_vgpr15
	s_branch .LBB39_1562
.LBB39_1553:
	s_or_b32 s10, s10, exec_lo
	s_trap 2
	s_cbranch_execz .LBB39_1492
	s_branch .LBB39_1493
.LBB39_1554:
	s_mov_b32 s11, -1
	s_mov_b32 s7, 0
	s_mov_b32 s1, 0
	s_branch .LBB39_1556
.LBB39_1555:
	s_mov_b32 s1, -1
	s_mov_b32 s7, 0
.LBB39_1556:
                                        ; implicit-def: $vgpr14_vgpr15
.LBB39_1557:
	s_and_b32 vcc_lo, exec_lo, s11
	s_cbranch_vccz .LBB39_1561
; %bb.1558:
	s_cmp_eq_u32 s0, 44
	s_cbranch_scc0 .LBB39_1560
; %bb.1559:
	global_load_u8 v1, v[16:17], off
	s_mov_b32 s1, 0
	s_mov_b32 s7, -1
	s_wait_loadcnt 0x0
	v_lshlrev_b32_e32 v3, 23, v1
	v_cmp_ne_u32_e32 vcc_lo, 0xff, v1
	s_delay_alu instid0(VALU_DEP_2) | instskip(NEXT) | instid1(VALU_DEP_1)
	v_cvt_f64_f32_e32 v[14:15], v3
	v_cndmask_b32_e32 v3, 0x20000000, v14, vcc_lo
	s_delay_alu instid0(VALU_DEP_2) | instskip(SKIP_1) | instid1(VALU_DEP_2)
	v_cndmask_b32_e32 v5, 0x7ff80000, v15, vcc_lo
	v_cmp_ne_u32_e32 vcc_lo, 0, v1
	v_cndmask_b32_e32 v15, 0x38000000, v5, vcc_lo
	s_delay_alu instid0(VALU_DEP_4)
	v_cndmask_b32_e32 v14, 0, v3, vcc_lo
	s_branch .LBB39_1561
.LBB39_1560:
	s_mov_b32 s1, -1
                                        ; implicit-def: $vgpr14_vgpr15
.LBB39_1561:
	s_mov_b32 s11, 0
.LBB39_1562:
	s_delay_alu instid0(SALU_CYCLE_1)
	s_and_b32 vcc_lo, exec_lo, s11
	s_cbranch_vccz .LBB39_1566
; %bb.1563:
	s_cmp_eq_u32 s0, 29
	s_cbranch_scc0 .LBB39_1565
; %bb.1564:
	global_load_b64 v[14:15], v[16:17], off
	s_mov_b32 s1, 0
	s_mov_b32 s7, -1
	s_mov_b32 s11, 0
	s_wait_loadcnt 0x0
	v_cvt_f64_u32_e32 v[18:19], v15
	v_cvt_f64_u32_e32 v[14:15], v14
	s_delay_alu instid0(VALU_DEP_2) | instskip(NEXT) | instid1(VALU_DEP_1)
	v_ldexp_f64 v[18:19], v[18:19], 32
	v_add_f64_e32 v[14:15], v[18:19], v[14:15]
	s_branch .LBB39_1567
.LBB39_1565:
	s_mov_b32 s1, -1
                                        ; implicit-def: $vgpr14_vgpr15
.LBB39_1566:
	s_mov_b32 s11, 0
.LBB39_1567:
	s_delay_alu instid0(SALU_CYCLE_1)
	s_and_b32 vcc_lo, exec_lo, s11
	s_cbranch_vccz .LBB39_1585
; %bb.1568:
	s_cmp_lt_i32 s0, 27
	s_cbranch_scc1 .LBB39_1571
; %bb.1569:
	s_cmp_gt_i32 s0, 27
	s_cbranch_scc0 .LBB39_1572
; %bb.1570:
	global_load_b32 v1, v[16:17], off
	s_mov_b32 s7, 0
	s_wait_loadcnt 0x0
	v_cvt_f64_u32_e32 v[14:15], v1
	s_branch .LBB39_1573
.LBB39_1571:
	s_mov_b32 s7, -1
                                        ; implicit-def: $vgpr14_vgpr15
	s_branch .LBB39_1576
.LBB39_1572:
	s_mov_b32 s7, -1
                                        ; implicit-def: $vgpr14_vgpr15
.LBB39_1573:
	s_delay_alu instid0(SALU_CYCLE_1)
	s_and_not1_b32 vcc_lo, exec_lo, s7
	s_cbranch_vccnz .LBB39_1575
; %bb.1574:
	global_load_u16 v1, v[16:17], off
	s_wait_loadcnt 0x0
	v_cvt_f64_u32_e32 v[14:15], v1
.LBB39_1575:
	s_mov_b32 s7, 0
.LBB39_1576:
	s_delay_alu instid0(SALU_CYCLE_1)
	s_and_not1_b32 vcc_lo, exec_lo, s7
	s_cbranch_vccnz .LBB39_1584
; %bb.1577:
	global_load_u8 v1, v[16:17], off
	s_mov_b32 s7, 0
	s_mov_b32 s11, exec_lo
	s_wait_loadcnt 0x0
	v_cmpx_lt_i16_e32 0x7f, v1
	s_xor_b32 s11, exec_lo, s11
	s_cbranch_execz .LBB39_1598
; %bb.1578:
	s_mov_b32 s7, -1
	s_mov_b32 s12, exec_lo
	v_cmpx_eq_u16_e32 0x80, v1
; %bb.1579:
	s_xor_b32 s7, exec_lo, -1
; %bb.1580:
	s_or_b32 exec_lo, exec_lo, s12
	s_delay_alu instid0(SALU_CYCLE_1)
	s_and_b32 s7, s7, exec_lo
	s_or_saveexec_b32 s11, s11
	v_mov_b64_e32 v[14:15], 0x7ff8000020000000
	s_xor_b32 exec_lo, exec_lo, s11
	s_cbranch_execnz .LBB39_1599
.LBB39_1581:
	s_or_b32 exec_lo, exec_lo, s11
	s_and_saveexec_b32 s11, s7
	s_cbranch_execz .LBB39_1583
.LBB39_1582:
	v_and_b32_e32 v3, 0xffff, v1
	s_delay_alu instid0(VALU_DEP_1) | instskip(SKIP_1) | instid1(VALU_DEP_2)
	v_dual_lshlrev_b32 v1, 24, v1 :: v_dual_bitop2_b32 v5, 7, v3 bitop3:0x40
	v_bfe_u32 v15, v3, 3, 4
	v_and_b32_e32 v1, 0x80000000, v1
	s_delay_alu instid0(VALU_DEP_3) | instskip(NEXT) | instid1(VALU_DEP_3)
	v_clz_i32_u32_e32 v7, v5
	v_cmp_eq_u32_e32 vcc_lo, 0, v15
	s_delay_alu instid0(VALU_DEP_2) | instskip(NEXT) | instid1(VALU_DEP_1)
	v_min_u32_e32 v7, 32, v7
	v_subrev_nc_u32_e32 v14, 28, v7
	v_sub_nc_u32_e32 v7, 29, v7
	s_delay_alu instid0(VALU_DEP_2) | instskip(NEXT) | instid1(VALU_DEP_2)
	v_lshlrev_b32_e32 v3, v14, v3
	v_cndmask_b32_e32 v7, v15, v7, vcc_lo
	s_delay_alu instid0(VALU_DEP_2) | instskip(NEXT) | instid1(VALU_DEP_1)
	v_and_b32_e32 v3, 7, v3
	v_cndmask_b32_e32 v3, v5, v3, vcc_lo
	s_delay_alu instid0(VALU_DEP_3) | instskip(NEXT) | instid1(VALU_DEP_2)
	v_lshl_add_u32 v5, v7, 23, 0x3b800000
	v_lshlrev_b32_e32 v3, 20, v3
	s_delay_alu instid0(VALU_DEP_1) | instskip(NEXT) | instid1(VALU_DEP_1)
	v_or3_b32 v1, v1, v5, v3
	v_cvt_f64_f32_e32 v[14:15], v1
.LBB39_1583:
	s_or_b32 exec_lo, exec_lo, s11
.LBB39_1584:
	s_mov_b32 s7, -1
.LBB39_1585:
	s_mov_b32 s11, 0
.LBB39_1586:
	s_delay_alu instid0(SALU_CYCLE_1)
	s_and_b32 vcc_lo, exec_lo, s11
	s_cbranch_vccz .LBB39_1619
; %bb.1587:
	s_cmp_gt_i32 s0, 22
	s_cbranch_scc0 .LBB39_1597
; %bb.1588:
	s_cmp_lt_i32 s0, 24
	s_cbranch_scc1 .LBB39_1600
; %bb.1589:
	s_cmp_gt_i32 s0, 24
	s_cbranch_scc0 .LBB39_1601
; %bb.1590:
	global_load_u8 v1, v[16:17], off
	s_mov_b32 s7, exec_lo
	s_wait_loadcnt 0x0
	v_cmpx_lt_i16_e32 0x7f, v1
	s_xor_b32 s7, exec_lo, s7
	s_cbranch_execz .LBB39_1613
; %bb.1591:
	s_mov_b32 s6, -1
	s_mov_b32 s11, exec_lo
	v_cmpx_eq_u16_e32 0x80, v1
; %bb.1592:
	s_xor_b32 s6, exec_lo, -1
; %bb.1593:
	s_or_b32 exec_lo, exec_lo, s11
	s_delay_alu instid0(SALU_CYCLE_1)
	s_and_b32 s6, s6, exec_lo
	s_or_saveexec_b32 s7, s7
	v_mov_b64_e32 v[14:15], 0x7ff8000020000000
	s_xor_b32 exec_lo, exec_lo, s7
	s_cbranch_execnz .LBB39_1614
.LBB39_1594:
	s_or_b32 exec_lo, exec_lo, s7
	s_and_saveexec_b32 s7, s6
	s_cbranch_execz .LBB39_1596
.LBB39_1595:
	v_and_b32_e32 v3, 0xffff, v1
	s_delay_alu instid0(VALU_DEP_1) | instskip(SKIP_1) | instid1(VALU_DEP_2)
	v_dual_lshlrev_b32 v1, 24, v1 :: v_dual_bitop2_b32 v5, 3, v3 bitop3:0x40
	v_bfe_u32 v15, v3, 2, 5
	v_and_b32_e32 v1, 0x80000000, v1
	s_delay_alu instid0(VALU_DEP_3) | instskip(NEXT) | instid1(VALU_DEP_3)
	v_clz_i32_u32_e32 v7, v5
	v_cmp_eq_u32_e32 vcc_lo, 0, v15
	s_delay_alu instid0(VALU_DEP_2) | instskip(NEXT) | instid1(VALU_DEP_1)
	v_min_u32_e32 v7, 32, v7
	v_subrev_nc_u32_e32 v14, 29, v7
	v_sub_nc_u32_e32 v7, 30, v7
	s_delay_alu instid0(VALU_DEP_2) | instskip(NEXT) | instid1(VALU_DEP_2)
	v_lshlrev_b32_e32 v3, v14, v3
	v_cndmask_b32_e32 v7, v15, v7, vcc_lo
	s_delay_alu instid0(VALU_DEP_2) | instskip(NEXT) | instid1(VALU_DEP_1)
	v_and_b32_e32 v3, 3, v3
	v_cndmask_b32_e32 v3, v5, v3, vcc_lo
	s_delay_alu instid0(VALU_DEP_3) | instskip(NEXT) | instid1(VALU_DEP_2)
	v_lshl_add_u32 v5, v7, 23, 0x37800000
	v_lshlrev_b32_e32 v3, 21, v3
	s_delay_alu instid0(VALU_DEP_1) | instskip(NEXT) | instid1(VALU_DEP_1)
	v_or3_b32 v1, v1, v5, v3
	v_cvt_f64_f32_e32 v[14:15], v1
.LBB39_1596:
	s_or_b32 exec_lo, exec_lo, s7
	s_mov_b32 s6, 0
	s_branch .LBB39_1602
.LBB39_1597:
	s_mov_b32 s6, -1
                                        ; implicit-def: $vgpr14_vgpr15
	s_branch .LBB39_1608
.LBB39_1598:
	s_or_saveexec_b32 s11, s11
	v_mov_b64_e32 v[14:15], 0x7ff8000020000000
	s_xor_b32 exec_lo, exec_lo, s11
	s_cbranch_execz .LBB39_1581
.LBB39_1599:
	v_cmp_ne_u16_e32 vcc_lo, 0, v1
	v_mov_b64_e32 v[14:15], 0
	s_and_not1_b32 s7, s7, exec_lo
	s_and_b32 s12, vcc_lo, exec_lo
	s_delay_alu instid0(SALU_CYCLE_1)
	s_or_b32 s7, s7, s12
	s_or_b32 exec_lo, exec_lo, s11
	s_and_saveexec_b32 s11, s7
	s_cbranch_execnz .LBB39_1582
	s_branch .LBB39_1583
.LBB39_1600:
	s_mov_b32 s6, -1
                                        ; implicit-def: $vgpr14_vgpr15
	s_branch .LBB39_1605
.LBB39_1601:
	s_mov_b32 s6, -1
                                        ; implicit-def: $vgpr14_vgpr15
.LBB39_1602:
	s_delay_alu instid0(SALU_CYCLE_1)
	s_and_b32 vcc_lo, exec_lo, s6
	s_cbranch_vccz .LBB39_1604
; %bb.1603:
	global_load_u8 v1, v[16:17], off
	s_wait_loadcnt 0x0
	v_lshlrev_b32_e32 v1, 24, v1
	s_delay_alu instid0(VALU_DEP_1) | instskip(NEXT) | instid1(VALU_DEP_1)
	v_and_b32_e32 v3, 0x7f000000, v1
	v_clz_i32_u32_e32 v5, v3
	v_cmp_ne_u32_e32 vcc_lo, 0, v3
	v_add_nc_u32_e32 v14, 0x1000000, v3
	s_delay_alu instid0(VALU_DEP_3) | instskip(NEXT) | instid1(VALU_DEP_1)
	v_min_u32_e32 v5, 32, v5
	v_sub_nc_u32_e64 v5, v5, 4 clamp
	s_delay_alu instid0(VALU_DEP_1) | instskip(NEXT) | instid1(VALU_DEP_1)
	v_dual_lshlrev_b32 v7, v5, v3 :: v_dual_lshlrev_b32 v5, 23, v5
	v_lshrrev_b32_e32 v7, 4, v7
	s_delay_alu instid0(VALU_DEP_1) | instskip(NEXT) | instid1(VALU_DEP_1)
	v_dual_sub_nc_u32 v5, v7, v5 :: v_dual_ashrrev_i32 v7, 8, v14
	v_add_nc_u32_e32 v5, 0x3c000000, v5
	s_delay_alu instid0(VALU_DEP_1) | instskip(NEXT) | instid1(VALU_DEP_1)
	v_and_or_b32 v5, 0x7f800000, v7, v5
	v_cndmask_b32_e32 v3, 0, v5, vcc_lo
	s_delay_alu instid0(VALU_DEP_1) | instskip(NEXT) | instid1(VALU_DEP_1)
	v_and_or_b32 v1, 0x80000000, v1, v3
	v_cvt_f64_f32_e32 v[14:15], v1
.LBB39_1604:
	s_mov_b32 s6, 0
.LBB39_1605:
	s_delay_alu instid0(SALU_CYCLE_1)
	s_and_not1_b32 vcc_lo, exec_lo, s6
	s_cbranch_vccnz .LBB39_1607
; %bb.1606:
	global_load_u8 v1, v[16:17], off
	s_wait_loadcnt 0x0
	v_lshlrev_b32_e32 v3, 25, v1
	v_lshlrev_b16 v1, 8, v1
	s_delay_alu instid0(VALU_DEP_1) | instskip(SKIP_1) | instid1(VALU_DEP_2)
	v_and_or_b32 v7, 0x7f00, v1, 0.5
	v_bfe_i32 v1, v1, 0, 16
	v_add_f32_e32 v7, -0.5, v7
	v_lshrrev_b32_e32 v5, 4, v3
	v_cmp_gt_u32_e32 vcc_lo, 0x8000000, v3
	s_delay_alu instid0(VALU_DEP_2) | instskip(NEXT) | instid1(VALU_DEP_1)
	v_or_b32_e32 v5, 0x70000000, v5
	v_mul_f32_e32 v5, 0x7800000, v5
	s_delay_alu instid0(VALU_DEP_1) | instskip(NEXT) | instid1(VALU_DEP_1)
	v_cndmask_b32_e32 v3, v5, v7, vcc_lo
	v_and_or_b32 v1, 0x80000000, v1, v3
	s_delay_alu instid0(VALU_DEP_1)
	v_cvt_f64_f32_e32 v[14:15], v1
.LBB39_1607:
	s_mov_b32 s6, 0
	s_mov_b32 s7, -1
.LBB39_1608:
	s_and_not1_b32 vcc_lo, exec_lo, s6
	s_mov_b32 s6, 0
	s_cbranch_vccnz .LBB39_1619
; %bb.1609:
	s_cmp_gt_i32 s0, 14
	s_cbranch_scc0 .LBB39_1612
; %bb.1610:
	s_cmp_eq_u32 s0, 15
	s_cbranch_scc0 .LBB39_1615
; %bb.1611:
	global_load_u16 v1, v[16:17], off
	s_mov_b32 s1, 0
	s_mov_b32 s7, -1
	s_wait_loadcnt 0x0
	v_lshlrev_b32_e32 v1, 16, v1
	s_delay_alu instid0(VALU_DEP_1)
	v_cvt_f64_f32_e32 v[14:15], v1
	s_branch .LBB39_1617
.LBB39_1612:
	s_mov_b32 s6, -1
	s_branch .LBB39_1616
.LBB39_1613:
	s_or_saveexec_b32 s7, s7
	v_mov_b64_e32 v[14:15], 0x7ff8000020000000
	s_xor_b32 exec_lo, exec_lo, s7
	s_cbranch_execz .LBB39_1594
.LBB39_1614:
	v_cmp_ne_u16_e32 vcc_lo, 0, v1
	v_mov_b64_e32 v[14:15], 0
	s_and_not1_b32 s6, s6, exec_lo
	s_and_b32 s11, vcc_lo, exec_lo
	s_delay_alu instid0(SALU_CYCLE_1)
	s_or_b32 s6, s6, s11
	s_or_b32 exec_lo, exec_lo, s7
	s_and_saveexec_b32 s7, s6
	s_cbranch_execnz .LBB39_1595
	s_branch .LBB39_1596
.LBB39_1615:
	s_mov_b32 s1, -1
.LBB39_1616:
                                        ; implicit-def: $vgpr14_vgpr15
.LBB39_1617:
	s_and_b32 vcc_lo, exec_lo, s6
	s_mov_b32 s6, 0
	s_cbranch_vccz .LBB39_1619
; %bb.1618:
	s_cmp_lg_u32 s0, 11
	s_mov_b32 s6, -1
	s_cselect_b32 s1, -1, 0
.LBB39_1619:
	s_delay_alu instid0(SALU_CYCLE_1)
	s_and_b32 vcc_lo, exec_lo, s1
	s_cbranch_vccnz .LBB39_2152
; %bb.1620:
	s_and_not1_b32 vcc_lo, exec_lo, s6
	s_cbranch_vccnz .LBB39_1622
.LBB39_1621:
	global_load_u8 v1, v[16:17], off
	v_mov_b32_e32 v14, 0
	s_mov_b32 s7, -1
	s_wait_loadcnt 0x0
	v_cmp_ne_u16_e32 vcc_lo, 0, v1
	v_cndmask_b32_e64 v15, 0, 0x3ff00000, vcc_lo
.LBB39_1622:
	s_mov_b32 s1, 0
.LBB39_1623:
	s_delay_alu instid0(SALU_CYCLE_1)
	s_and_b32 vcc_lo, exec_lo, s1
	s_cbranch_vccz .LBB39_1672
; %bb.1624:
	s_cmp_lt_i32 s0, 5
	s_cbranch_scc1 .LBB39_1629
; %bb.1625:
	s_cmp_lt_i32 s0, 8
	s_cbranch_scc1 .LBB39_1630
	;; [unrolled: 3-line block ×3, first 2 shown]
; %bb.1627:
	s_cmp_gt_i32 s0, 9
	s_cbranch_scc0 .LBB39_1632
; %bb.1628:
	global_load_b64 v[14:15], v[16:17], off
	s_mov_b32 s1, 0
	s_branch .LBB39_1633
.LBB39_1629:
	s_mov_b32 s1, -1
                                        ; implicit-def: $vgpr14_vgpr15
	s_branch .LBB39_1651
.LBB39_1630:
	s_mov_b32 s1, -1
                                        ; implicit-def: $vgpr14_vgpr15
	s_branch .LBB39_1639
.LBB39_1631:
	s_mov_b32 s1, -1
                                        ; implicit-def: $vgpr14_vgpr15
	s_branch .LBB39_1636
.LBB39_1632:
	s_mov_b32 s1, -1
                                        ; implicit-def: $vgpr14_vgpr15
.LBB39_1633:
	s_delay_alu instid0(SALU_CYCLE_1)
	s_and_not1_b32 vcc_lo, exec_lo, s1
	s_cbranch_vccnz .LBB39_1635
; %bb.1634:
	global_load_b32 v1, v[16:17], off
	s_wait_loadcnt 0x0
	v_cvt_f64_f32_e32 v[14:15], v1
.LBB39_1635:
	s_mov_b32 s1, 0
.LBB39_1636:
	s_delay_alu instid0(SALU_CYCLE_1)
	s_and_not1_b32 vcc_lo, exec_lo, s1
	s_cbranch_vccnz .LBB39_1638
; %bb.1637:
	global_load_b32 v1, v[16:17], off
	s_wait_loadcnt 0x0
	v_cvt_f32_f16_e32 v1, v1
	s_delay_alu instid0(VALU_DEP_1)
	v_cvt_f64_f32_e32 v[14:15], v1
.LBB39_1638:
	s_mov_b32 s1, 0
.LBB39_1639:
	s_delay_alu instid0(SALU_CYCLE_1)
	s_and_not1_b32 vcc_lo, exec_lo, s1
	s_cbranch_vccnz .LBB39_1650
; %bb.1640:
	s_cmp_lt_i32 s0, 6
	s_cbranch_scc1 .LBB39_1643
; %bb.1641:
	s_cmp_gt_i32 s0, 6
	s_cbranch_scc0 .LBB39_1644
; %bb.1642:
	s_wait_loadcnt 0x0
	global_load_b64 v[14:15], v[16:17], off
	s_mov_b32 s1, 0
	s_branch .LBB39_1645
.LBB39_1643:
	s_mov_b32 s1, -1
                                        ; implicit-def: $vgpr14_vgpr15
	s_branch .LBB39_1648
.LBB39_1644:
	s_mov_b32 s1, -1
                                        ; implicit-def: $vgpr14_vgpr15
.LBB39_1645:
	s_delay_alu instid0(SALU_CYCLE_1)
	s_and_not1_b32 vcc_lo, exec_lo, s1
	s_cbranch_vccnz .LBB39_1647
; %bb.1646:
	global_load_b32 v1, v[16:17], off
	s_wait_loadcnt 0x0
	v_cvt_f64_f32_e32 v[14:15], v1
.LBB39_1647:
	s_mov_b32 s1, 0
.LBB39_1648:
	s_delay_alu instid0(SALU_CYCLE_1)
	s_and_not1_b32 vcc_lo, exec_lo, s1
	s_cbranch_vccnz .LBB39_1650
; %bb.1649:
	global_load_u16 v1, v[16:17], off
	s_wait_loadcnt 0x0
	v_cvt_f32_f16_e32 v1, v1
	s_delay_alu instid0(VALU_DEP_1)
	v_cvt_f64_f32_e32 v[14:15], v1
.LBB39_1650:
	s_mov_b32 s1, 0
.LBB39_1651:
	s_delay_alu instid0(SALU_CYCLE_1)
	s_and_not1_b32 vcc_lo, exec_lo, s1
	s_cbranch_vccnz .LBB39_1671
; %bb.1652:
	s_cmp_lt_i32 s0, 2
	s_cbranch_scc1 .LBB39_1656
; %bb.1653:
	s_cmp_lt_i32 s0, 3
	s_cbranch_scc1 .LBB39_1657
; %bb.1654:
	s_cmp_gt_i32 s0, 3
	s_cbranch_scc0 .LBB39_1658
; %bb.1655:
	s_wait_loadcnt 0x0
	global_load_b64 v[14:15], v[16:17], off
	s_mov_b32 s1, 0
	s_wait_loadcnt 0x0
	v_cvt_f64_i32_e32 v[18:19], v15
	v_cvt_f64_u32_e32 v[14:15], v14
	s_delay_alu instid0(VALU_DEP_2) | instskip(NEXT) | instid1(VALU_DEP_1)
	v_ldexp_f64 v[18:19], v[18:19], 32
	v_add_f64_e32 v[14:15], v[18:19], v[14:15]
	s_branch .LBB39_1659
.LBB39_1656:
	s_mov_b32 s1, -1
                                        ; implicit-def: $vgpr14_vgpr15
	s_branch .LBB39_1665
.LBB39_1657:
	s_mov_b32 s1, -1
                                        ; implicit-def: $vgpr14_vgpr15
	s_branch .LBB39_1662
.LBB39_1658:
	s_mov_b32 s1, -1
                                        ; implicit-def: $vgpr14_vgpr15
.LBB39_1659:
	s_delay_alu instid0(SALU_CYCLE_1)
	s_and_not1_b32 vcc_lo, exec_lo, s1
	s_cbranch_vccnz .LBB39_1661
; %bb.1660:
	global_load_b32 v1, v[16:17], off
	s_wait_loadcnt 0x0
	v_cvt_f64_i32_e32 v[14:15], v1
.LBB39_1661:
	s_mov_b32 s1, 0
.LBB39_1662:
	s_delay_alu instid0(SALU_CYCLE_1)
	s_and_not1_b32 vcc_lo, exec_lo, s1
	s_cbranch_vccnz .LBB39_1664
; %bb.1663:
	global_load_i16 v1, v[16:17], off
	s_wait_loadcnt 0x0
	v_cvt_f64_i32_e32 v[14:15], v1
.LBB39_1664:
	s_mov_b32 s1, 0
.LBB39_1665:
	s_delay_alu instid0(SALU_CYCLE_1)
	s_and_not1_b32 vcc_lo, exec_lo, s1
	s_cbranch_vccnz .LBB39_1671
; %bb.1666:
	s_cmp_gt_i32 s0, 0
	s_mov_b32 s0, 0
	s_cbranch_scc0 .LBB39_1668
; %bb.1667:
	global_load_i8 v1, v[16:17], off
	s_wait_loadcnt 0x0
	v_cvt_f64_i32_e32 v[14:15], v1
	s_branch .LBB39_1669
.LBB39_1668:
	s_mov_b32 s0, -1
                                        ; implicit-def: $vgpr14_vgpr15
.LBB39_1669:
	s_delay_alu instid0(SALU_CYCLE_1)
	s_and_not1_b32 vcc_lo, exec_lo, s0
	s_cbranch_vccnz .LBB39_1671
; %bb.1670:
	global_load_u8 v1, v[16:17], off
	s_wait_loadcnt 0x0
	v_cvt_f64_u32_e32 v[14:15], v1
.LBB39_1671:
	s_mov_b32 s7, -1
.LBB39_1672:
	s_delay_alu instid0(SALU_CYCLE_1)
	s_and_not1_b32 vcc_lo, exec_lo, s7
	s_cbranch_vccnz .LBB39_2106
; %bb.1673:
	v_mov_b32_e32 v7, 0
	s_wait_loadcnt 0x0
	v_cmp_eq_f64_e64 s0, 0x7ff00000, v[8:9]
	global_load_u8 v1, v7, s[2:3] offset:345
	s_wait_xcnt 0x0
	v_add_nc_u64_e32 v[6:7], s[4:5], v[6:7]
	s_wait_loadcnt 0x0
	v_and_b32_e32 v3, 0xffff, v1
	v_readfirstlane_b32 s6, v1
	s_delay_alu instid0(VALU_DEP_2)
	v_cmp_gt_i32_e32 vcc_lo, 11, v3
	s_cbranch_vccnz .LBB39_1751
; %bb.1674:
	s_and_b32 s2, 0xffff, s6
	s_mov_b32 s11, -1
	s_mov_b32 s3, 0
	s_cmp_gt_i32 s2, 25
	s_mov_b32 s7, 0
	s_mov_b32 s1, 0
	s_cbranch_scc0 .LBB39_1707
; %bb.1675:
	s_cmp_gt_i32 s2, 28
	s_cbranch_scc0 .LBB39_1690
; %bb.1676:
	s_cmp_gt_i32 s2, 43
	s_cbranch_scc0 .LBB39_1686
; %bb.1677:
	s_cmp_gt_i32 s2, 45
	s_cbranch_scc0 .LBB39_1680
; %bb.1678:
	s_mov_b32 s1, -1
	s_mov_b32 s11, 0
	s_cmp_eq_u32 s2, 46
	s_cbranch_scc0 .LBB39_1680
; %bb.1679:
	v_cndmask_b32_e64 v1, 0, 1.0, s0
	s_mov_b32 s1, 0
	s_mov_b32 s7, -1
	s_delay_alu instid0(VALU_DEP_1) | instskip(NEXT) | instid1(VALU_DEP_1)
	v_bfe_u32 v3, v1, 16, 1
	v_add3_u32 v1, v1, v3, 0x7fff
	s_delay_alu instid0(VALU_DEP_1)
	v_lshrrev_b32_e32 v1, 16, v1
	global_store_b32 v[6:7], v1, off
.LBB39_1680:
	s_and_b32 vcc_lo, exec_lo, s11
	s_cbranch_vccz .LBB39_1685
; %bb.1681:
	s_cmp_eq_u32 s2, 44
	s_mov_b32 s1, -1
	s_cbranch_scc0 .LBB39_1685
; %bb.1682:
	v_cndmask_b32_e64 v5, 0, 1.0, s0
	v_mov_b32_e32 v3, 0xff
	s_mov_b32 s7, exec_lo
	s_wait_xcnt 0x0
	s_delay_alu instid0(VALU_DEP_2) | instskip(NEXT) | instid1(VALU_DEP_1)
	v_lshrrev_b32_e32 v1, 23, v5
	v_cmpx_ne_u32_e32 0xff, v1
; %bb.1683:
	v_and_b32_e32 v3, 0x400000, v5
	v_and_or_b32 v5, 0x3fffff, v5, v1
	s_delay_alu instid0(VALU_DEP_2) | instskip(NEXT) | instid1(VALU_DEP_2)
	v_cmp_ne_u32_e32 vcc_lo, 0, v3
	v_cmp_ne_u32_e64 s1, 0, v5
	s_and_b32 s1, vcc_lo, s1
	s_delay_alu instid0(SALU_CYCLE_1) | instskip(NEXT) | instid1(VALU_DEP_1)
	v_cndmask_b32_e64 v3, 0, 1, s1
	v_add_nc_u32_e32 v3, v1, v3
; %bb.1684:
	s_or_b32 exec_lo, exec_lo, s7
	s_mov_b32 s1, 0
	s_mov_b32 s7, -1
	global_store_b8 v[6:7], v3, off
.LBB39_1685:
	s_mov_b32 s11, 0
.LBB39_1686:
	s_delay_alu instid0(SALU_CYCLE_1)
	s_and_b32 vcc_lo, exec_lo, s11
	s_cbranch_vccz .LBB39_1689
; %bb.1687:
	s_cmp_eq_u32 s2, 29
	s_mov_b32 s1, -1
	s_cbranch_scc0 .LBB39_1689
; %bb.1688:
	s_mov_b32 s1, 0
	v_cndmask_b32_e64 v8, 0, 1, s0
	v_mov_b32_e32 v9, s1
	s_mov_b32 s7, -1
	global_store_b64 v[6:7], v[8:9], off
.LBB39_1689:
	s_mov_b32 s11, 0
.LBB39_1690:
	s_delay_alu instid0(SALU_CYCLE_1)
	s_and_b32 vcc_lo, exec_lo, s11
	s_cbranch_vccz .LBB39_1706
; %bb.1691:
	s_cmp_lt_i32 s2, 27
	s_mov_b32 s7, -1
	s_cbranch_scc1 .LBB39_1697
; %bb.1692:
	s_cmp_gt_i32 s2, 27
	s_cbranch_scc0 .LBB39_1694
; %bb.1693:
	s_wait_xcnt 0x0
	v_cndmask_b32_e64 v1, 0, 1, s0
	s_mov_b32 s7, 0
	global_store_b32 v[6:7], v1, off
.LBB39_1694:
	s_and_not1_b32 vcc_lo, exec_lo, s7
	s_cbranch_vccnz .LBB39_1696
; %bb.1695:
	s_wait_xcnt 0x0
	v_cndmask_b32_e64 v1, 0, 1, s0
	global_store_b16 v[6:7], v1, off
.LBB39_1696:
	s_mov_b32 s7, 0
.LBB39_1697:
	s_delay_alu instid0(SALU_CYCLE_1)
	s_and_not1_b32 vcc_lo, exec_lo, s7
	s_cbranch_vccnz .LBB39_1705
; %bb.1698:
	s_wait_xcnt 0x0
	v_cndmask_b32_e64 v3, 0, 1.0, s0
	v_mov_b32_e32 v5, 0x80
	s_mov_b32 s7, exec_lo
	s_delay_alu instid0(VALU_DEP_2)
	v_cmpx_gt_u32_e32 0x43800000, v3
	s_cbranch_execz .LBB39_1704
; %bb.1699:
	s_mov_b32 s11, 0
	s_mov_b32 s12, exec_lo
                                        ; implicit-def: $vgpr1
	v_cmpx_lt_u32_e32 0x3bffffff, v3
	s_xor_b32 s12, exec_lo, s12
	s_cbranch_execz .LBB39_2153
; %bb.1700:
	v_bfe_u32 v1, v3, 20, 1
	s_mov_b32 s11, exec_lo
	s_delay_alu instid0(VALU_DEP_1) | instskip(NEXT) | instid1(VALU_DEP_1)
	v_add3_u32 v1, v3, v1, 0x487ffff
                                        ; implicit-def: $vgpr3
	v_lshrrev_b32_e32 v1, 20, v1
	s_and_not1_saveexec_b32 s12, s12
	s_cbranch_execnz .LBB39_2154
.LBB39_1701:
	s_or_b32 exec_lo, exec_lo, s12
	v_mov_b32_e32 v5, 0
	s_and_saveexec_b32 s12, s11
.LBB39_1702:
	v_mov_b32_e32 v5, v1
.LBB39_1703:
	s_or_b32 exec_lo, exec_lo, s12
.LBB39_1704:
	s_delay_alu instid0(SALU_CYCLE_1)
	s_or_b32 exec_lo, exec_lo, s7
	global_store_b8 v[6:7], v5, off
.LBB39_1705:
	s_mov_b32 s7, -1
.LBB39_1706:
	s_mov_b32 s11, 0
.LBB39_1707:
	s_delay_alu instid0(SALU_CYCLE_1)
	s_and_b32 vcc_lo, exec_lo, s11
	s_cbranch_vccz .LBB39_1747
; %bb.1708:
	s_cmp_gt_i32 s2, 22
	s_mov_b32 s3, -1
	s_cbranch_scc0 .LBB39_1740
; %bb.1709:
	s_cmp_lt_i32 s2, 24
	s_cbranch_scc1 .LBB39_1729
; %bb.1710:
	s_cmp_gt_i32 s2, 24
	s_cbranch_scc0 .LBB39_1718
; %bb.1711:
	s_wait_xcnt 0x0
	v_cndmask_b32_e64 v3, 0, 1.0, s0
	v_mov_b32_e32 v5, 0x80
	s_mov_b32 s3, exec_lo
	s_delay_alu instid0(VALU_DEP_2)
	v_cmpx_gt_u32_e32 0x47800000, v3
	s_cbranch_execz .LBB39_1717
; %bb.1712:
	s_mov_b32 s7, 0
	s_mov_b32 s11, exec_lo
                                        ; implicit-def: $vgpr1
	v_cmpx_lt_u32_e32 0x37ffffff, v3
	s_xor_b32 s11, exec_lo, s11
	s_cbranch_execz .LBB39_2156
; %bb.1713:
	v_bfe_u32 v1, v3, 21, 1
	s_mov_b32 s7, exec_lo
	s_delay_alu instid0(VALU_DEP_1) | instskip(NEXT) | instid1(VALU_DEP_1)
	v_add3_u32 v1, v3, v1, 0x88fffff
                                        ; implicit-def: $vgpr3
	v_lshrrev_b32_e32 v1, 21, v1
	s_and_not1_saveexec_b32 s11, s11
	s_cbranch_execnz .LBB39_2157
.LBB39_1714:
	s_or_b32 exec_lo, exec_lo, s11
	v_mov_b32_e32 v5, 0
	s_and_saveexec_b32 s11, s7
.LBB39_1715:
	v_mov_b32_e32 v5, v1
.LBB39_1716:
	s_or_b32 exec_lo, exec_lo, s11
.LBB39_1717:
	s_delay_alu instid0(SALU_CYCLE_1)
	s_or_b32 exec_lo, exec_lo, s3
	s_mov_b32 s3, 0
	global_store_b8 v[6:7], v5, off
.LBB39_1718:
	s_and_b32 vcc_lo, exec_lo, s3
	s_cbranch_vccz .LBB39_1728
; %bb.1719:
	s_wait_xcnt 0x0
	v_cndmask_b32_e64 v3, 0, 1.0, s0
	s_mov_b32 s3, exec_lo
                                        ; implicit-def: $vgpr1
	s_delay_alu instid0(VALU_DEP_1)
	v_cmpx_gt_u32_e32 0x43f00000, v3
	s_xor_b32 s3, exec_lo, s3
	s_cbranch_execz .LBB39_1725
; %bb.1720:
	s_mov_b32 s7, exec_lo
                                        ; implicit-def: $vgpr1
	v_cmpx_lt_u32_e32 0x3c7fffff, v3
	s_xor_b32 s7, exec_lo, s7
; %bb.1721:
	v_bfe_u32 v1, v3, 20, 1
	s_delay_alu instid0(VALU_DEP_1) | instskip(NEXT) | instid1(VALU_DEP_1)
	v_add3_u32 v1, v3, v1, 0x407ffff
	v_and_b32_e32 v3, 0xff00000, v1
	v_lshrrev_b32_e32 v1, 20, v1
	s_delay_alu instid0(VALU_DEP_2) | instskip(NEXT) | instid1(VALU_DEP_2)
	v_cmp_ne_u32_e32 vcc_lo, 0x7f00000, v3
                                        ; implicit-def: $vgpr3
	v_cndmask_b32_e32 v1, 0x7e, v1, vcc_lo
; %bb.1722:
	s_and_not1_saveexec_b32 s7, s7
; %bb.1723:
	v_add_f32_e32 v1, 0x46800000, v3
; %bb.1724:
	s_or_b32 exec_lo, exec_lo, s7
                                        ; implicit-def: $vgpr3
.LBB39_1725:
	s_and_not1_saveexec_b32 s3, s3
; %bb.1726:
	v_mov_b32_e32 v1, 0x7f
	v_cmp_lt_u32_e32 vcc_lo, 0x7f800000, v3
	s_delay_alu instid0(VALU_DEP_2)
	v_cndmask_b32_e32 v1, 0x7e, v1, vcc_lo
; %bb.1727:
	s_or_b32 exec_lo, exec_lo, s3
	global_store_b8 v[6:7], v1, off
.LBB39_1728:
	s_mov_b32 s3, 0
.LBB39_1729:
	s_delay_alu instid0(SALU_CYCLE_1)
	s_and_not1_b32 vcc_lo, exec_lo, s3
	s_cbranch_vccnz .LBB39_1739
; %bb.1730:
	s_wait_xcnt 0x0
	v_cndmask_b32_e64 v3, 0, 1.0, s0
	s_mov_b32 s3, exec_lo
                                        ; implicit-def: $vgpr1
	s_delay_alu instid0(VALU_DEP_1)
	v_cmpx_gt_u32_e32 0x47800000, v3
	s_xor_b32 s3, exec_lo, s3
	s_cbranch_execz .LBB39_1736
; %bb.1731:
	s_mov_b32 s7, exec_lo
                                        ; implicit-def: $vgpr1
	v_cmpx_lt_u32_e32 0x387fffff, v3
	s_xor_b32 s7, exec_lo, s7
; %bb.1732:
	v_bfe_u32 v1, v3, 21, 1
	s_delay_alu instid0(VALU_DEP_1) | instskip(NEXT) | instid1(VALU_DEP_1)
	v_add3_u32 v1, v3, v1, 0x80fffff
                                        ; implicit-def: $vgpr3
	v_lshrrev_b32_e32 v1, 21, v1
; %bb.1733:
	s_and_not1_saveexec_b32 s7, s7
; %bb.1734:
	v_add_f32_e32 v1, 0x43000000, v3
; %bb.1735:
	s_or_b32 exec_lo, exec_lo, s7
                                        ; implicit-def: $vgpr3
.LBB39_1736:
	s_and_not1_saveexec_b32 s3, s3
; %bb.1737:
	v_mov_b32_e32 v1, 0x7f
	v_cmp_lt_u32_e32 vcc_lo, 0x7f800000, v3
	s_delay_alu instid0(VALU_DEP_2)
	v_cndmask_b32_e32 v1, 0x7c, v1, vcc_lo
; %bb.1738:
	s_or_b32 exec_lo, exec_lo, s3
	global_store_b8 v[6:7], v1, off
.LBB39_1739:
	s_mov_b32 s3, 0
	s_mov_b32 s7, -1
.LBB39_1740:
	s_and_not1_b32 vcc_lo, exec_lo, s3
	s_mov_b32 s3, 0
	s_cbranch_vccnz .LBB39_1747
; %bb.1741:
	s_cmp_gt_i32 s2, 14
	s_mov_b32 s3, -1
	s_cbranch_scc0 .LBB39_1745
; %bb.1742:
	s_cmp_eq_u32 s2, 15
	s_mov_b32 s1, -1
	s_cbranch_scc0 .LBB39_1744
; %bb.1743:
	s_wait_xcnt 0x0
	v_cndmask_b32_e64 v1, 0, 1.0, s0
	s_mov_b32 s1, 0
	s_mov_b32 s7, -1
	s_delay_alu instid0(VALU_DEP_1) | instskip(NEXT) | instid1(VALU_DEP_1)
	v_bfe_u32 v3, v1, 16, 1
	v_add3_u32 v1, v1, v3, 0x7fff
	global_store_d16_hi_b16 v[6:7], v1, off
.LBB39_1744:
	s_mov_b32 s3, 0
.LBB39_1745:
	s_delay_alu instid0(SALU_CYCLE_1)
	s_and_b32 vcc_lo, exec_lo, s3
	s_mov_b32 s3, 0
	s_cbranch_vccz .LBB39_1747
; %bb.1746:
	s_cmp_lg_u32 s2, 11
	s_mov_b32 s3, -1
	s_cselect_b32 s1, -1, 0
.LBB39_1747:
	s_delay_alu instid0(SALU_CYCLE_1)
	s_and_b32 vcc_lo, exec_lo, s1
	s_cbranch_vccnz .LBB39_2155
; %bb.1748:
	s_and_not1_b32 vcc_lo, exec_lo, s3
	s_cbranch_vccnz .LBB39_1750
.LBB39_1749:
	s_wait_xcnt 0x0
	v_cndmask_b32_e64 v1, 0, 1, s0
	s_mov_b32 s7, -1
	global_store_b8 v[6:7], v1, off
.LBB39_1750:
	s_mov_b32 s1, 0
	s_branch .LBB39_1752
.LBB39_1751:
	s_mov_b32 s1, -1
	s_mov_b32 s7, 0
.LBB39_1752:
	s_and_b32 vcc_lo, exec_lo, s1
	s_cbranch_vccz .LBB39_1791
; %bb.1753:
	s_and_b32 s1, 0xffff, s6
	s_mov_b32 s2, -1
	s_cmp_lt_i32 s1, 5
	s_cbranch_scc1 .LBB39_1774
; %bb.1754:
	s_cmp_lt_i32 s1, 8
	s_cbranch_scc1 .LBB39_1764
; %bb.1755:
	;; [unrolled: 3-line block ×3, first 2 shown]
	s_cmp_gt_i32 s1, 9
	s_cbranch_scc0 .LBB39_1758
; %bb.1757:
	s_wait_xcnt 0x0
	v_cndmask_b32_e64 v1, 0, 1, s0
	v_mov_b32_e32 v18, 0
	s_mov_b32 s2, 0
	s_delay_alu instid0(VALU_DEP_2) | instskip(NEXT) | instid1(VALU_DEP_2)
	v_cvt_f64_u32_e32 v[16:17], v1
	v_mov_b32_e32 v19, v18
	global_store_b128 v[6:7], v[16:19], off
.LBB39_1758:
	s_and_not1_b32 vcc_lo, exec_lo, s2
	s_cbranch_vccnz .LBB39_1760
; %bb.1759:
	s_wait_xcnt 0x0
	v_cndmask_b32_e64 v8, 0, 1.0, s0
	v_mov_b32_e32 v9, 0
	global_store_b64 v[6:7], v[8:9], off
.LBB39_1760:
	s_mov_b32 s2, 0
.LBB39_1761:
	s_delay_alu instid0(SALU_CYCLE_1)
	s_and_not1_b32 vcc_lo, exec_lo, s2
	s_cbranch_vccnz .LBB39_1763
; %bb.1762:
	s_wait_xcnt 0x0
	v_cndmask_b32_e64 v1, 0, 1.0, s0
	s_delay_alu instid0(VALU_DEP_1) | instskip(NEXT) | instid1(VALU_DEP_1)
	v_cvt_f16_f32_e32 v1, v1
	v_and_b32_e32 v1, 0xffff, v1
	global_store_b32 v[6:7], v1, off
.LBB39_1763:
	s_mov_b32 s2, 0
.LBB39_1764:
	s_delay_alu instid0(SALU_CYCLE_1)
	s_and_not1_b32 vcc_lo, exec_lo, s2
	s_cbranch_vccnz .LBB39_1773
; %bb.1765:
	s_cmp_lt_i32 s1, 6
	s_mov_b32 s2, -1
	s_cbranch_scc1 .LBB39_1771
; %bb.1766:
	s_cmp_gt_i32 s1, 6
	s_cbranch_scc0 .LBB39_1768
; %bb.1767:
	s_wait_xcnt 0x0
	v_cndmask_b32_e64 v1, 0, 1, s0
	s_mov_b32 s2, 0
	s_delay_alu instid0(VALU_DEP_1)
	v_cvt_f64_u32_e32 v[8:9], v1
	global_store_b64 v[6:7], v[8:9], off
.LBB39_1768:
	s_and_not1_b32 vcc_lo, exec_lo, s2
	s_cbranch_vccnz .LBB39_1770
; %bb.1769:
	s_wait_xcnt 0x0
	v_cndmask_b32_e64 v1, 0, 1.0, s0
	global_store_b32 v[6:7], v1, off
.LBB39_1770:
	s_mov_b32 s2, 0
.LBB39_1771:
	s_delay_alu instid0(SALU_CYCLE_1)
	s_and_not1_b32 vcc_lo, exec_lo, s2
	s_cbranch_vccnz .LBB39_1773
; %bb.1772:
	s_wait_xcnt 0x0
	v_cndmask_b32_e64 v1, 0, 1.0, s0
	s_delay_alu instid0(VALU_DEP_1)
	v_cvt_f16_f32_e32 v1, v1
	global_store_b16 v[6:7], v1, off
.LBB39_1773:
	s_mov_b32 s2, 0
.LBB39_1774:
	s_delay_alu instid0(SALU_CYCLE_1)
	s_and_not1_b32 vcc_lo, exec_lo, s2
	s_cbranch_vccnz .LBB39_1790
; %bb.1775:
	s_cmp_lt_i32 s1, 2
	s_mov_b32 s2, -1
	s_cbranch_scc1 .LBB39_1785
; %bb.1776:
	s_cmp_lt_i32 s1, 3
	s_cbranch_scc1 .LBB39_1782
; %bb.1777:
	s_cmp_gt_i32 s1, 3
	s_cbranch_scc0 .LBB39_1779
; %bb.1778:
	s_mov_b32 s2, 0
	s_wait_xcnt 0x0
	v_cndmask_b32_e64 v8, 0, 1, s0
	v_mov_b32_e32 v9, s2
	global_store_b64 v[6:7], v[8:9], off
.LBB39_1779:
	s_and_not1_b32 vcc_lo, exec_lo, s2
	s_cbranch_vccnz .LBB39_1781
; %bb.1780:
	s_wait_xcnt 0x0
	v_cndmask_b32_e64 v1, 0, 1, s0
	global_store_b32 v[6:7], v1, off
.LBB39_1781:
	s_mov_b32 s2, 0
.LBB39_1782:
	s_delay_alu instid0(SALU_CYCLE_1)
	s_and_not1_b32 vcc_lo, exec_lo, s2
	s_cbranch_vccnz .LBB39_1784
; %bb.1783:
	s_wait_xcnt 0x0
	v_cndmask_b32_e64 v1, 0, 1, s0
	global_store_b16 v[6:7], v1, off
.LBB39_1784:
	s_mov_b32 s2, 0
.LBB39_1785:
	s_delay_alu instid0(SALU_CYCLE_1)
	s_and_not1_b32 vcc_lo, exec_lo, s2
	s_cbranch_vccnz .LBB39_1790
; %bb.1786:
	s_wait_xcnt 0x0
	v_cndmask_b32_e64 v1, 0, 1, s0
	s_cmp_gt_i32 s1, 0
	s_mov_b32 s0, -1
	s_cbranch_scc0 .LBB39_1788
; %bb.1787:
	s_mov_b32 s0, 0
	global_store_b8 v[6:7], v1, off
.LBB39_1788:
	s_and_not1_b32 vcc_lo, exec_lo, s0
	s_cbranch_vccnz .LBB39_1790
; %bb.1789:
	global_store_b8 v[6:7], v1, off
.LBB39_1790:
	s_mov_b32 s7, -1
.LBB39_1791:
	s_delay_alu instid0(SALU_CYCLE_1)
	s_and_not1_b32 vcc_lo, exec_lo, s7
	s_cbranch_vccnz .LBB39_2106
; %bb.1792:
	v_cmp_eq_f64_e64 s0, 0x7ff00000, v[10:11]
	s_wait_xcnt 0x0
	v_mov_b32_e32 v5, 0
	s_and_b32 s2, 0xffff, s6
	s_delay_alu instid0(SALU_CYCLE_1) | instskip(NEXT) | instid1(VALU_DEP_1)
	s_cmp_lt_i32 s2, 11
	v_add_nc_u64_e32 v[4:5], s[4:5], v[4:5]
	s_cbranch_scc1 .LBB39_1870
; %bb.1793:
	s_mov_b32 s11, -1
	s_mov_b32 s3, 0
	s_cmp_gt_i32 s2, 25
	s_mov_b32 s7, 0
	s_mov_b32 s1, 0
	s_cbranch_scc0 .LBB39_1826
; %bb.1794:
	s_cmp_gt_i32 s2, 28
	s_cbranch_scc0 .LBB39_1809
; %bb.1795:
	s_cmp_gt_i32 s2, 43
	;; [unrolled: 3-line block ×3, first 2 shown]
	s_cbranch_scc0 .LBB39_1799
; %bb.1797:
	s_mov_b32 s1, -1
	s_mov_b32 s11, 0
	s_cmp_eq_u32 s2, 46
	s_cbranch_scc0 .LBB39_1799
; %bb.1798:
	v_cndmask_b32_e64 v1, 0, 1.0, s0
	s_mov_b32 s1, 0
	s_mov_b32 s7, -1
	s_delay_alu instid0(VALU_DEP_1) | instskip(NEXT) | instid1(VALU_DEP_1)
	v_bfe_u32 v3, v1, 16, 1
	v_add3_u32 v1, v1, v3, 0x7fff
	s_delay_alu instid0(VALU_DEP_1)
	v_lshrrev_b32_e32 v1, 16, v1
	global_store_b32 v[4:5], v1, off
.LBB39_1799:
	s_and_b32 vcc_lo, exec_lo, s11
	s_cbranch_vccz .LBB39_1804
; %bb.1800:
	s_cmp_eq_u32 s2, 44
	s_mov_b32 s1, -1
	s_cbranch_scc0 .LBB39_1804
; %bb.1801:
	v_cndmask_b32_e64 v6, 0, 1.0, s0
	v_mov_b32_e32 v3, 0xff
	s_mov_b32 s7, exec_lo
	s_wait_xcnt 0x0
	s_delay_alu instid0(VALU_DEP_2) | instskip(NEXT) | instid1(VALU_DEP_1)
	v_lshrrev_b32_e32 v1, 23, v6
	v_cmpx_ne_u32_e32 0xff, v1
; %bb.1802:
	v_and_b32_e32 v3, 0x400000, v6
	v_and_or_b32 v6, 0x3fffff, v6, v1
	s_delay_alu instid0(VALU_DEP_2) | instskip(NEXT) | instid1(VALU_DEP_2)
	v_cmp_ne_u32_e32 vcc_lo, 0, v3
	v_cmp_ne_u32_e64 s1, 0, v6
	s_and_b32 s1, vcc_lo, s1
	s_delay_alu instid0(SALU_CYCLE_1) | instskip(NEXT) | instid1(VALU_DEP_1)
	v_cndmask_b32_e64 v3, 0, 1, s1
	v_add_nc_u32_e32 v3, v1, v3
; %bb.1803:
	s_or_b32 exec_lo, exec_lo, s7
	s_mov_b32 s1, 0
	s_mov_b32 s7, -1
	global_store_b8 v[4:5], v3, off
.LBB39_1804:
	s_mov_b32 s11, 0
.LBB39_1805:
	s_delay_alu instid0(SALU_CYCLE_1)
	s_and_b32 vcc_lo, exec_lo, s11
	s_cbranch_vccz .LBB39_1808
; %bb.1806:
	s_cmp_eq_u32 s2, 29
	s_mov_b32 s1, -1
	s_cbranch_scc0 .LBB39_1808
; %bb.1807:
	s_mov_b32 s1, 0
	v_cndmask_b32_e64 v6, 0, 1, s0
	v_mov_b32_e32 v7, s1
	s_mov_b32 s7, -1
	global_store_b64 v[4:5], v[6:7], off
.LBB39_1808:
	s_mov_b32 s11, 0
.LBB39_1809:
	s_delay_alu instid0(SALU_CYCLE_1)
	s_and_b32 vcc_lo, exec_lo, s11
	s_cbranch_vccz .LBB39_1825
; %bb.1810:
	s_cmp_lt_i32 s2, 27
	s_mov_b32 s7, -1
	s_cbranch_scc1 .LBB39_1816
; %bb.1811:
	s_cmp_gt_i32 s2, 27
	s_cbranch_scc0 .LBB39_1813
; %bb.1812:
	s_wait_xcnt 0x0
	v_cndmask_b32_e64 v1, 0, 1, s0
	s_mov_b32 s7, 0
	global_store_b32 v[4:5], v1, off
.LBB39_1813:
	s_and_not1_b32 vcc_lo, exec_lo, s7
	s_cbranch_vccnz .LBB39_1815
; %bb.1814:
	s_wait_xcnt 0x0
	v_cndmask_b32_e64 v1, 0, 1, s0
	global_store_b16 v[4:5], v1, off
.LBB39_1815:
	s_mov_b32 s7, 0
.LBB39_1816:
	s_delay_alu instid0(SALU_CYCLE_1)
	s_and_not1_b32 vcc_lo, exec_lo, s7
	s_cbranch_vccnz .LBB39_1824
; %bb.1817:
	s_wait_xcnt 0x0
	v_cndmask_b32_e64 v3, 0, 1.0, s0
	v_mov_b32_e32 v6, 0x80
	s_mov_b32 s7, exec_lo
	s_delay_alu instid0(VALU_DEP_2)
	v_cmpx_gt_u32_e32 0x43800000, v3
	s_cbranch_execz .LBB39_1823
; %bb.1818:
	s_mov_b32 s11, 0
	s_mov_b32 s12, exec_lo
                                        ; implicit-def: $vgpr1
	v_cmpx_lt_u32_e32 0x3bffffff, v3
	s_xor_b32 s12, exec_lo, s12
	s_cbranch_execz .LBB39_2158
; %bb.1819:
	v_bfe_u32 v1, v3, 20, 1
	s_mov_b32 s11, exec_lo
	s_delay_alu instid0(VALU_DEP_1) | instskip(NEXT) | instid1(VALU_DEP_1)
	v_add3_u32 v1, v3, v1, 0x487ffff
                                        ; implicit-def: $vgpr3
	v_lshrrev_b32_e32 v1, 20, v1
	s_and_not1_saveexec_b32 s12, s12
	s_cbranch_execnz .LBB39_2159
.LBB39_1820:
	s_or_b32 exec_lo, exec_lo, s12
	v_mov_b32_e32 v6, 0
	s_and_saveexec_b32 s12, s11
.LBB39_1821:
	v_mov_b32_e32 v6, v1
.LBB39_1822:
	s_or_b32 exec_lo, exec_lo, s12
.LBB39_1823:
	s_delay_alu instid0(SALU_CYCLE_1)
	s_or_b32 exec_lo, exec_lo, s7
	global_store_b8 v[4:5], v6, off
.LBB39_1824:
	s_mov_b32 s7, -1
.LBB39_1825:
	s_mov_b32 s11, 0
.LBB39_1826:
	s_delay_alu instid0(SALU_CYCLE_1)
	s_and_b32 vcc_lo, exec_lo, s11
	s_cbranch_vccz .LBB39_1866
; %bb.1827:
	s_cmp_gt_i32 s2, 22
	s_mov_b32 s3, -1
	s_cbranch_scc0 .LBB39_1859
; %bb.1828:
	s_cmp_lt_i32 s2, 24
	s_cbranch_scc1 .LBB39_1848
; %bb.1829:
	s_cmp_gt_i32 s2, 24
	s_cbranch_scc0 .LBB39_1837
; %bb.1830:
	s_wait_xcnt 0x0
	v_cndmask_b32_e64 v3, 0, 1.0, s0
	v_mov_b32_e32 v6, 0x80
	s_mov_b32 s3, exec_lo
	s_delay_alu instid0(VALU_DEP_2)
	v_cmpx_gt_u32_e32 0x47800000, v3
	s_cbranch_execz .LBB39_1836
; %bb.1831:
	s_mov_b32 s7, 0
	s_mov_b32 s11, exec_lo
                                        ; implicit-def: $vgpr1
	v_cmpx_lt_u32_e32 0x37ffffff, v3
	s_xor_b32 s11, exec_lo, s11
	s_cbranch_execz .LBB39_2161
; %bb.1832:
	v_bfe_u32 v1, v3, 21, 1
	s_mov_b32 s7, exec_lo
	s_delay_alu instid0(VALU_DEP_1) | instskip(NEXT) | instid1(VALU_DEP_1)
	v_add3_u32 v1, v3, v1, 0x88fffff
                                        ; implicit-def: $vgpr3
	v_lshrrev_b32_e32 v1, 21, v1
	s_and_not1_saveexec_b32 s11, s11
	s_cbranch_execnz .LBB39_2162
.LBB39_1833:
	s_or_b32 exec_lo, exec_lo, s11
	v_mov_b32_e32 v6, 0
	s_and_saveexec_b32 s11, s7
.LBB39_1834:
	v_mov_b32_e32 v6, v1
.LBB39_1835:
	s_or_b32 exec_lo, exec_lo, s11
.LBB39_1836:
	s_delay_alu instid0(SALU_CYCLE_1)
	s_or_b32 exec_lo, exec_lo, s3
	s_mov_b32 s3, 0
	global_store_b8 v[4:5], v6, off
.LBB39_1837:
	s_and_b32 vcc_lo, exec_lo, s3
	s_cbranch_vccz .LBB39_1847
; %bb.1838:
	s_wait_xcnt 0x0
	v_cndmask_b32_e64 v3, 0, 1.0, s0
	s_mov_b32 s3, exec_lo
                                        ; implicit-def: $vgpr1
	s_delay_alu instid0(VALU_DEP_1)
	v_cmpx_gt_u32_e32 0x43f00000, v3
	s_xor_b32 s3, exec_lo, s3
	s_cbranch_execz .LBB39_1844
; %bb.1839:
	s_mov_b32 s7, exec_lo
                                        ; implicit-def: $vgpr1
	v_cmpx_lt_u32_e32 0x3c7fffff, v3
	s_xor_b32 s7, exec_lo, s7
; %bb.1840:
	v_bfe_u32 v1, v3, 20, 1
	s_delay_alu instid0(VALU_DEP_1) | instskip(NEXT) | instid1(VALU_DEP_1)
	v_add3_u32 v1, v3, v1, 0x407ffff
	v_and_b32_e32 v3, 0xff00000, v1
	v_lshrrev_b32_e32 v1, 20, v1
	s_delay_alu instid0(VALU_DEP_2) | instskip(NEXT) | instid1(VALU_DEP_2)
	v_cmp_ne_u32_e32 vcc_lo, 0x7f00000, v3
                                        ; implicit-def: $vgpr3
	v_cndmask_b32_e32 v1, 0x7e, v1, vcc_lo
; %bb.1841:
	s_and_not1_saveexec_b32 s7, s7
; %bb.1842:
	v_add_f32_e32 v1, 0x46800000, v3
; %bb.1843:
	s_or_b32 exec_lo, exec_lo, s7
                                        ; implicit-def: $vgpr3
.LBB39_1844:
	s_and_not1_saveexec_b32 s3, s3
; %bb.1845:
	v_mov_b32_e32 v1, 0x7f
	v_cmp_lt_u32_e32 vcc_lo, 0x7f800000, v3
	s_delay_alu instid0(VALU_DEP_2)
	v_cndmask_b32_e32 v1, 0x7e, v1, vcc_lo
; %bb.1846:
	s_or_b32 exec_lo, exec_lo, s3
	global_store_b8 v[4:5], v1, off
.LBB39_1847:
	s_mov_b32 s3, 0
.LBB39_1848:
	s_delay_alu instid0(SALU_CYCLE_1)
	s_and_not1_b32 vcc_lo, exec_lo, s3
	s_cbranch_vccnz .LBB39_1858
; %bb.1849:
	s_wait_xcnt 0x0
	v_cndmask_b32_e64 v3, 0, 1.0, s0
	s_mov_b32 s3, exec_lo
                                        ; implicit-def: $vgpr1
	s_delay_alu instid0(VALU_DEP_1)
	v_cmpx_gt_u32_e32 0x47800000, v3
	s_xor_b32 s3, exec_lo, s3
	s_cbranch_execz .LBB39_1855
; %bb.1850:
	s_mov_b32 s7, exec_lo
                                        ; implicit-def: $vgpr1
	v_cmpx_lt_u32_e32 0x387fffff, v3
	s_xor_b32 s7, exec_lo, s7
; %bb.1851:
	v_bfe_u32 v1, v3, 21, 1
	s_delay_alu instid0(VALU_DEP_1) | instskip(NEXT) | instid1(VALU_DEP_1)
	v_add3_u32 v1, v3, v1, 0x80fffff
                                        ; implicit-def: $vgpr3
	v_lshrrev_b32_e32 v1, 21, v1
; %bb.1852:
	s_and_not1_saveexec_b32 s7, s7
; %bb.1853:
	v_add_f32_e32 v1, 0x43000000, v3
; %bb.1854:
	s_or_b32 exec_lo, exec_lo, s7
                                        ; implicit-def: $vgpr3
.LBB39_1855:
	s_and_not1_saveexec_b32 s3, s3
; %bb.1856:
	v_mov_b32_e32 v1, 0x7f
	v_cmp_lt_u32_e32 vcc_lo, 0x7f800000, v3
	s_delay_alu instid0(VALU_DEP_2)
	v_cndmask_b32_e32 v1, 0x7c, v1, vcc_lo
; %bb.1857:
	s_or_b32 exec_lo, exec_lo, s3
	global_store_b8 v[4:5], v1, off
.LBB39_1858:
	s_mov_b32 s3, 0
	s_mov_b32 s7, -1
.LBB39_1859:
	s_and_not1_b32 vcc_lo, exec_lo, s3
	s_mov_b32 s3, 0
	s_cbranch_vccnz .LBB39_1866
; %bb.1860:
	s_cmp_gt_i32 s2, 14
	s_mov_b32 s3, -1
	s_cbranch_scc0 .LBB39_1864
; %bb.1861:
	s_cmp_eq_u32 s2, 15
	s_mov_b32 s1, -1
	s_cbranch_scc0 .LBB39_1863
; %bb.1862:
	s_wait_xcnt 0x0
	v_cndmask_b32_e64 v1, 0, 1.0, s0
	s_mov_b32 s1, 0
	s_mov_b32 s7, -1
	s_delay_alu instid0(VALU_DEP_1) | instskip(NEXT) | instid1(VALU_DEP_1)
	v_bfe_u32 v3, v1, 16, 1
	v_add3_u32 v1, v1, v3, 0x7fff
	global_store_d16_hi_b16 v[4:5], v1, off
.LBB39_1863:
	s_mov_b32 s3, 0
.LBB39_1864:
	s_delay_alu instid0(SALU_CYCLE_1)
	s_and_b32 vcc_lo, exec_lo, s3
	s_mov_b32 s3, 0
	s_cbranch_vccz .LBB39_1866
; %bb.1865:
	s_cmp_lg_u32 s2, 11
	s_mov_b32 s3, -1
	s_cselect_b32 s1, -1, 0
.LBB39_1866:
	s_delay_alu instid0(SALU_CYCLE_1)
	s_and_b32 vcc_lo, exec_lo, s1
	s_cbranch_vccnz .LBB39_2160
; %bb.1867:
	s_and_not1_b32 vcc_lo, exec_lo, s3
	s_cbranch_vccnz .LBB39_1869
.LBB39_1868:
	s_wait_xcnt 0x0
	v_cndmask_b32_e64 v1, 0, 1, s0
	s_mov_b32 s7, -1
	global_store_b8 v[4:5], v1, off
.LBB39_1869:
	s_mov_b32 s1, 0
	s_branch .LBB39_1871
.LBB39_1870:
	s_mov_b32 s1, -1
	s_mov_b32 s7, 0
.LBB39_1871:
	s_and_b32 vcc_lo, exec_lo, s1
	s_cbranch_vccz .LBB39_1910
; %bb.1872:
	s_cmp_lt_i32 s2, 5
	s_mov_b32 s1, -1
	s_cbranch_scc1 .LBB39_1893
; %bb.1873:
	s_cmp_lt_i32 s2, 8
	s_cbranch_scc1 .LBB39_1883
; %bb.1874:
	s_cmp_lt_i32 s2, 9
	s_cbranch_scc1 .LBB39_1880
; %bb.1875:
	s_cmp_gt_i32 s2, 9
	s_cbranch_scc0 .LBB39_1877
; %bb.1876:
	s_wait_xcnt 0x0
	v_cndmask_b32_e64 v1, 0, 1, s0
	v_mov_b32_e32 v8, 0
	s_mov_b32 s1, 0
	s_delay_alu instid0(VALU_DEP_2) | instskip(NEXT) | instid1(VALU_DEP_2)
	v_cvt_f64_u32_e32 v[6:7], v1
	v_mov_b32_e32 v9, v8
	global_store_b128 v[4:5], v[6:9], off
.LBB39_1877:
	s_and_not1_b32 vcc_lo, exec_lo, s1
	s_cbranch_vccnz .LBB39_1879
; %bb.1878:
	s_wait_xcnt 0x0
	v_cndmask_b32_e64 v6, 0, 1.0, s0
	v_mov_b32_e32 v7, 0
	global_store_b64 v[4:5], v[6:7], off
.LBB39_1879:
	s_mov_b32 s1, 0
.LBB39_1880:
	s_delay_alu instid0(SALU_CYCLE_1)
	s_and_not1_b32 vcc_lo, exec_lo, s1
	s_cbranch_vccnz .LBB39_1882
; %bb.1881:
	s_wait_xcnt 0x0
	v_cndmask_b32_e64 v1, 0, 1.0, s0
	s_delay_alu instid0(VALU_DEP_1) | instskip(NEXT) | instid1(VALU_DEP_1)
	v_cvt_f16_f32_e32 v1, v1
	v_and_b32_e32 v1, 0xffff, v1
	global_store_b32 v[4:5], v1, off
.LBB39_1882:
	s_mov_b32 s1, 0
.LBB39_1883:
	s_delay_alu instid0(SALU_CYCLE_1)
	s_and_not1_b32 vcc_lo, exec_lo, s1
	s_cbranch_vccnz .LBB39_1892
; %bb.1884:
	s_cmp_lt_i32 s2, 6
	s_mov_b32 s1, -1
	s_cbranch_scc1 .LBB39_1890
; %bb.1885:
	s_cmp_gt_i32 s2, 6
	s_cbranch_scc0 .LBB39_1887
; %bb.1886:
	s_wait_xcnt 0x0
	v_cndmask_b32_e64 v1, 0, 1, s0
	s_mov_b32 s1, 0
	s_delay_alu instid0(VALU_DEP_1)
	v_cvt_f64_u32_e32 v[6:7], v1
	global_store_b64 v[4:5], v[6:7], off
.LBB39_1887:
	s_and_not1_b32 vcc_lo, exec_lo, s1
	s_cbranch_vccnz .LBB39_1889
; %bb.1888:
	s_wait_xcnt 0x0
	v_cndmask_b32_e64 v1, 0, 1.0, s0
	global_store_b32 v[4:5], v1, off
.LBB39_1889:
	s_mov_b32 s1, 0
.LBB39_1890:
	s_delay_alu instid0(SALU_CYCLE_1)
	s_and_not1_b32 vcc_lo, exec_lo, s1
	s_cbranch_vccnz .LBB39_1892
; %bb.1891:
	s_wait_xcnt 0x0
	v_cndmask_b32_e64 v1, 0, 1.0, s0
	s_delay_alu instid0(VALU_DEP_1)
	v_cvt_f16_f32_e32 v1, v1
	global_store_b16 v[4:5], v1, off
.LBB39_1892:
	s_mov_b32 s1, 0
.LBB39_1893:
	s_delay_alu instid0(SALU_CYCLE_1)
	s_and_not1_b32 vcc_lo, exec_lo, s1
	s_cbranch_vccnz .LBB39_1909
; %bb.1894:
	s_cmp_lt_i32 s2, 2
	s_mov_b32 s1, -1
	s_cbranch_scc1 .LBB39_1904
; %bb.1895:
	s_cmp_lt_i32 s2, 3
	s_cbranch_scc1 .LBB39_1901
; %bb.1896:
	s_cmp_gt_i32 s2, 3
	s_cbranch_scc0 .LBB39_1898
; %bb.1897:
	s_mov_b32 s1, 0
	s_wait_xcnt 0x0
	v_cndmask_b32_e64 v6, 0, 1, s0
	v_mov_b32_e32 v7, s1
	global_store_b64 v[4:5], v[6:7], off
.LBB39_1898:
	s_and_not1_b32 vcc_lo, exec_lo, s1
	s_cbranch_vccnz .LBB39_1900
; %bb.1899:
	s_wait_xcnt 0x0
	v_cndmask_b32_e64 v1, 0, 1, s0
	global_store_b32 v[4:5], v1, off
.LBB39_1900:
	s_mov_b32 s1, 0
.LBB39_1901:
	s_delay_alu instid0(SALU_CYCLE_1)
	s_and_not1_b32 vcc_lo, exec_lo, s1
	s_cbranch_vccnz .LBB39_1903
; %bb.1902:
	s_wait_xcnt 0x0
	v_cndmask_b32_e64 v1, 0, 1, s0
	global_store_b16 v[4:5], v1, off
.LBB39_1903:
	s_mov_b32 s1, 0
.LBB39_1904:
	s_delay_alu instid0(SALU_CYCLE_1)
	s_and_not1_b32 vcc_lo, exec_lo, s1
	s_cbranch_vccnz .LBB39_1909
; %bb.1905:
	s_wait_xcnt 0x0
	v_cndmask_b32_e64 v1, 0, 1, s0
	s_cmp_gt_i32 s2, 0
	s_mov_b32 s0, -1
	s_cbranch_scc0 .LBB39_1907
; %bb.1906:
	s_mov_b32 s0, 0
	global_store_b8 v[4:5], v1, off
.LBB39_1907:
	s_and_not1_b32 vcc_lo, exec_lo, s0
	s_cbranch_vccnz .LBB39_1909
; %bb.1908:
	global_store_b8 v[4:5], v1, off
.LBB39_1909:
	s_mov_b32 s7, -1
.LBB39_1910:
	s_delay_alu instid0(SALU_CYCLE_1)
	s_and_not1_b32 vcc_lo, exec_lo, s7
	s_cbranch_vccnz .LBB39_2106
; %bb.1911:
	v_cmp_eq_f64_e64 s0, 0x7ff00000, v[12:13]
	s_wait_xcnt 0x0
	v_mov_b32_e32 v3, 0
	s_cmp_lt_i32 s2, 11
	s_delay_alu instid0(VALU_DEP_1)
	v_add_nc_u64_e32 v[2:3], s[4:5], v[2:3]
	s_cbranch_scc1 .LBB39_1989
; %bb.1912:
	s_mov_b32 s11, -1
	s_mov_b32 s3, 0
	s_cmp_gt_i32 s2, 25
	s_mov_b32 s7, 0
	s_mov_b32 s1, 0
	s_cbranch_scc0 .LBB39_1945
; %bb.1913:
	s_cmp_gt_i32 s2, 28
	s_cbranch_scc0 .LBB39_1928
; %bb.1914:
	s_cmp_gt_i32 s2, 43
	;; [unrolled: 3-line block ×3, first 2 shown]
	s_cbranch_scc0 .LBB39_1918
; %bb.1916:
	s_mov_b32 s1, -1
	s_mov_b32 s11, 0
	s_cmp_eq_u32 s2, 46
	s_cbranch_scc0 .LBB39_1918
; %bb.1917:
	v_cndmask_b32_e64 v1, 0, 1.0, s0
	s_mov_b32 s1, 0
	s_mov_b32 s7, -1
	s_delay_alu instid0(VALU_DEP_1) | instskip(NEXT) | instid1(VALU_DEP_1)
	v_bfe_u32 v4, v1, 16, 1
	v_add3_u32 v1, v1, v4, 0x7fff
	s_delay_alu instid0(VALU_DEP_1)
	v_lshrrev_b32_e32 v1, 16, v1
	global_store_b32 v[2:3], v1, off
.LBB39_1918:
	s_and_b32 vcc_lo, exec_lo, s11
	s_cbranch_vccz .LBB39_1923
; %bb.1919:
	s_cmp_eq_u32 s2, 44
	s_mov_b32 s1, -1
	s_cbranch_scc0 .LBB39_1923
; %bb.1920:
	v_cndmask_b32_e64 v5, 0, 1.0, s0
	s_mov_b32 s7, exec_lo
	s_wait_xcnt 0x0
	s_delay_alu instid0(VALU_DEP_1) | instskip(NEXT) | instid1(VALU_DEP_1)
	v_dual_mov_b32 v4, 0xff :: v_dual_lshrrev_b32 v1, 23, v5
	v_cmpx_ne_u32_e32 0xff, v1
; %bb.1921:
	v_and_b32_e32 v4, 0x400000, v5
	v_and_or_b32 v5, 0x3fffff, v5, v1
	s_delay_alu instid0(VALU_DEP_2) | instskip(NEXT) | instid1(VALU_DEP_2)
	v_cmp_ne_u32_e32 vcc_lo, 0, v4
	v_cmp_ne_u32_e64 s1, 0, v5
	s_and_b32 s1, vcc_lo, s1
	s_delay_alu instid0(SALU_CYCLE_1) | instskip(NEXT) | instid1(VALU_DEP_1)
	v_cndmask_b32_e64 v4, 0, 1, s1
	v_add_nc_u32_e32 v4, v1, v4
; %bb.1922:
	s_or_b32 exec_lo, exec_lo, s7
	s_mov_b32 s1, 0
	s_mov_b32 s7, -1
	global_store_b8 v[2:3], v4, off
.LBB39_1923:
	s_mov_b32 s11, 0
.LBB39_1924:
	s_delay_alu instid0(SALU_CYCLE_1)
	s_and_b32 vcc_lo, exec_lo, s11
	s_cbranch_vccz .LBB39_1927
; %bb.1925:
	s_cmp_eq_u32 s2, 29
	s_mov_b32 s1, -1
	s_cbranch_scc0 .LBB39_1927
; %bb.1926:
	s_mov_b32 s1, 0
	s_wait_xcnt 0x0
	v_cndmask_b32_e64 v4, 0, 1, s0
	v_mov_b32_e32 v5, s1
	s_mov_b32 s7, -1
	global_store_b64 v[2:3], v[4:5], off
.LBB39_1927:
	s_mov_b32 s11, 0
.LBB39_1928:
	s_delay_alu instid0(SALU_CYCLE_1)
	s_and_b32 vcc_lo, exec_lo, s11
	s_cbranch_vccz .LBB39_1944
; %bb.1929:
	s_cmp_lt_i32 s2, 27
	s_mov_b32 s7, -1
	s_cbranch_scc1 .LBB39_1935
; %bb.1930:
	s_cmp_gt_i32 s2, 27
	s_cbranch_scc0 .LBB39_1932
; %bb.1931:
	s_wait_xcnt 0x0
	v_cndmask_b32_e64 v1, 0, 1, s0
	s_mov_b32 s7, 0
	global_store_b32 v[2:3], v1, off
.LBB39_1932:
	s_and_not1_b32 vcc_lo, exec_lo, s7
	s_cbranch_vccnz .LBB39_1934
; %bb.1933:
	s_wait_xcnt 0x0
	v_cndmask_b32_e64 v1, 0, 1, s0
	global_store_b16 v[2:3], v1, off
.LBB39_1934:
	s_mov_b32 s7, 0
.LBB39_1935:
	s_delay_alu instid0(SALU_CYCLE_1)
	s_and_not1_b32 vcc_lo, exec_lo, s7
	s_cbranch_vccnz .LBB39_1943
; %bb.1936:
	s_wait_xcnt 0x0
	v_cndmask_b32_e64 v4, 0, 1.0, s0
	v_mov_b32_e32 v5, 0x80
	s_mov_b32 s7, exec_lo
	s_delay_alu instid0(VALU_DEP_2)
	v_cmpx_gt_u32_e32 0x43800000, v4
	s_cbranch_execz .LBB39_1942
; %bb.1937:
	s_mov_b32 s11, 0
	s_mov_b32 s12, exec_lo
                                        ; implicit-def: $vgpr1
	v_cmpx_lt_u32_e32 0x3bffffff, v4
	s_xor_b32 s12, exec_lo, s12
	s_cbranch_execz .LBB39_2163
; %bb.1938:
	v_bfe_u32 v1, v4, 20, 1
	s_mov_b32 s11, exec_lo
	s_delay_alu instid0(VALU_DEP_1) | instskip(NEXT) | instid1(VALU_DEP_1)
	v_add3_u32 v1, v4, v1, 0x487ffff
                                        ; implicit-def: $vgpr4
	v_lshrrev_b32_e32 v1, 20, v1
	s_and_not1_saveexec_b32 s12, s12
	s_cbranch_execnz .LBB39_2164
.LBB39_1939:
	s_or_b32 exec_lo, exec_lo, s12
	v_mov_b32_e32 v5, 0
	s_and_saveexec_b32 s12, s11
.LBB39_1940:
	v_mov_b32_e32 v5, v1
.LBB39_1941:
	s_or_b32 exec_lo, exec_lo, s12
.LBB39_1942:
	s_delay_alu instid0(SALU_CYCLE_1)
	s_or_b32 exec_lo, exec_lo, s7
	global_store_b8 v[2:3], v5, off
.LBB39_1943:
	s_mov_b32 s7, -1
.LBB39_1944:
	s_mov_b32 s11, 0
.LBB39_1945:
	s_delay_alu instid0(SALU_CYCLE_1)
	s_and_b32 vcc_lo, exec_lo, s11
	s_cbranch_vccz .LBB39_1985
; %bb.1946:
	s_cmp_gt_i32 s2, 22
	s_mov_b32 s3, -1
	s_cbranch_scc0 .LBB39_1978
; %bb.1947:
	s_cmp_lt_i32 s2, 24
	s_cbranch_scc1 .LBB39_1967
; %bb.1948:
	s_cmp_gt_i32 s2, 24
	s_cbranch_scc0 .LBB39_1956
; %bb.1949:
	s_wait_xcnt 0x0
	v_cndmask_b32_e64 v4, 0, 1.0, s0
	v_mov_b32_e32 v5, 0x80
	s_mov_b32 s3, exec_lo
	s_delay_alu instid0(VALU_DEP_2)
	v_cmpx_gt_u32_e32 0x47800000, v4
	s_cbranch_execz .LBB39_1955
; %bb.1950:
	s_mov_b32 s7, 0
	s_mov_b32 s11, exec_lo
                                        ; implicit-def: $vgpr1
	v_cmpx_lt_u32_e32 0x37ffffff, v4
	s_xor_b32 s11, exec_lo, s11
	s_cbranch_execz .LBB39_2166
; %bb.1951:
	v_bfe_u32 v1, v4, 21, 1
	s_mov_b32 s7, exec_lo
	s_delay_alu instid0(VALU_DEP_1) | instskip(NEXT) | instid1(VALU_DEP_1)
	v_add3_u32 v1, v4, v1, 0x88fffff
                                        ; implicit-def: $vgpr4
	v_lshrrev_b32_e32 v1, 21, v1
	s_and_not1_saveexec_b32 s11, s11
	s_cbranch_execnz .LBB39_2167
.LBB39_1952:
	s_or_b32 exec_lo, exec_lo, s11
	v_mov_b32_e32 v5, 0
	s_and_saveexec_b32 s11, s7
.LBB39_1953:
	v_mov_b32_e32 v5, v1
.LBB39_1954:
	s_or_b32 exec_lo, exec_lo, s11
.LBB39_1955:
	s_delay_alu instid0(SALU_CYCLE_1)
	s_or_b32 exec_lo, exec_lo, s3
	s_mov_b32 s3, 0
	global_store_b8 v[2:3], v5, off
.LBB39_1956:
	s_and_b32 vcc_lo, exec_lo, s3
	s_cbranch_vccz .LBB39_1966
; %bb.1957:
	s_wait_xcnt 0x0
	v_cndmask_b32_e64 v4, 0, 1.0, s0
	s_mov_b32 s3, exec_lo
                                        ; implicit-def: $vgpr1
	s_delay_alu instid0(VALU_DEP_1)
	v_cmpx_gt_u32_e32 0x43f00000, v4
	s_xor_b32 s3, exec_lo, s3
	s_cbranch_execz .LBB39_1963
; %bb.1958:
	s_mov_b32 s7, exec_lo
                                        ; implicit-def: $vgpr1
	v_cmpx_lt_u32_e32 0x3c7fffff, v4
	s_xor_b32 s7, exec_lo, s7
; %bb.1959:
	v_bfe_u32 v1, v4, 20, 1
	s_delay_alu instid0(VALU_DEP_1) | instskip(NEXT) | instid1(VALU_DEP_1)
	v_add3_u32 v1, v4, v1, 0x407ffff
	v_and_b32_e32 v4, 0xff00000, v1
	v_lshrrev_b32_e32 v1, 20, v1
	s_delay_alu instid0(VALU_DEP_2) | instskip(NEXT) | instid1(VALU_DEP_2)
	v_cmp_ne_u32_e32 vcc_lo, 0x7f00000, v4
                                        ; implicit-def: $vgpr4
	v_cndmask_b32_e32 v1, 0x7e, v1, vcc_lo
; %bb.1960:
	s_and_not1_saveexec_b32 s7, s7
; %bb.1961:
	v_add_f32_e32 v1, 0x46800000, v4
; %bb.1962:
	s_or_b32 exec_lo, exec_lo, s7
                                        ; implicit-def: $vgpr4
.LBB39_1963:
	s_and_not1_saveexec_b32 s3, s3
; %bb.1964:
	v_mov_b32_e32 v1, 0x7f
	v_cmp_lt_u32_e32 vcc_lo, 0x7f800000, v4
	s_delay_alu instid0(VALU_DEP_2)
	v_cndmask_b32_e32 v1, 0x7e, v1, vcc_lo
; %bb.1965:
	s_or_b32 exec_lo, exec_lo, s3
	global_store_b8 v[2:3], v1, off
.LBB39_1966:
	s_mov_b32 s3, 0
.LBB39_1967:
	s_delay_alu instid0(SALU_CYCLE_1)
	s_and_not1_b32 vcc_lo, exec_lo, s3
	s_cbranch_vccnz .LBB39_1977
; %bb.1968:
	s_wait_xcnt 0x0
	v_cndmask_b32_e64 v4, 0, 1.0, s0
	s_mov_b32 s3, exec_lo
                                        ; implicit-def: $vgpr1
	s_delay_alu instid0(VALU_DEP_1)
	v_cmpx_gt_u32_e32 0x47800000, v4
	s_xor_b32 s3, exec_lo, s3
	s_cbranch_execz .LBB39_1974
; %bb.1969:
	s_mov_b32 s7, exec_lo
                                        ; implicit-def: $vgpr1
	v_cmpx_lt_u32_e32 0x387fffff, v4
	s_xor_b32 s7, exec_lo, s7
; %bb.1970:
	v_bfe_u32 v1, v4, 21, 1
	s_delay_alu instid0(VALU_DEP_1) | instskip(NEXT) | instid1(VALU_DEP_1)
	v_add3_u32 v1, v4, v1, 0x80fffff
                                        ; implicit-def: $vgpr4
	v_lshrrev_b32_e32 v1, 21, v1
; %bb.1971:
	s_and_not1_saveexec_b32 s7, s7
; %bb.1972:
	v_add_f32_e32 v1, 0x43000000, v4
; %bb.1973:
	s_or_b32 exec_lo, exec_lo, s7
                                        ; implicit-def: $vgpr4
.LBB39_1974:
	s_and_not1_saveexec_b32 s3, s3
; %bb.1975:
	v_mov_b32_e32 v1, 0x7f
	v_cmp_lt_u32_e32 vcc_lo, 0x7f800000, v4
	s_delay_alu instid0(VALU_DEP_2)
	v_cndmask_b32_e32 v1, 0x7c, v1, vcc_lo
; %bb.1976:
	s_or_b32 exec_lo, exec_lo, s3
	global_store_b8 v[2:3], v1, off
.LBB39_1977:
	s_mov_b32 s3, 0
	s_mov_b32 s7, -1
.LBB39_1978:
	s_and_not1_b32 vcc_lo, exec_lo, s3
	s_mov_b32 s3, 0
	s_cbranch_vccnz .LBB39_1985
; %bb.1979:
	s_cmp_gt_i32 s2, 14
	s_mov_b32 s3, -1
	s_cbranch_scc0 .LBB39_1983
; %bb.1980:
	s_cmp_eq_u32 s2, 15
	s_mov_b32 s1, -1
	s_cbranch_scc0 .LBB39_1982
; %bb.1981:
	s_wait_xcnt 0x0
	v_cndmask_b32_e64 v1, 0, 1.0, s0
	s_mov_b32 s1, 0
	s_mov_b32 s7, -1
	s_delay_alu instid0(VALU_DEP_1) | instskip(NEXT) | instid1(VALU_DEP_1)
	v_bfe_u32 v4, v1, 16, 1
	v_add3_u32 v1, v1, v4, 0x7fff
	global_store_d16_hi_b16 v[2:3], v1, off
.LBB39_1982:
	s_mov_b32 s3, 0
.LBB39_1983:
	s_delay_alu instid0(SALU_CYCLE_1)
	s_and_b32 vcc_lo, exec_lo, s3
	s_mov_b32 s3, 0
	s_cbranch_vccz .LBB39_1985
; %bb.1984:
	s_cmp_lg_u32 s2, 11
	s_mov_b32 s3, -1
	s_cselect_b32 s1, -1, 0
.LBB39_1985:
	s_delay_alu instid0(SALU_CYCLE_1)
	s_and_b32 vcc_lo, exec_lo, s1
	s_cbranch_vccnz .LBB39_2165
; %bb.1986:
	s_and_not1_b32 vcc_lo, exec_lo, s3
	s_cbranch_vccnz .LBB39_1988
.LBB39_1987:
	s_wait_xcnt 0x0
	v_cndmask_b32_e64 v1, 0, 1, s0
	s_mov_b32 s7, -1
	global_store_b8 v[2:3], v1, off
.LBB39_1988:
	s_mov_b32 s1, 0
	s_branch .LBB39_1990
.LBB39_1989:
	s_mov_b32 s1, -1
	s_mov_b32 s7, 0
.LBB39_1990:
	s_and_b32 vcc_lo, exec_lo, s1
	s_cbranch_vccz .LBB39_2029
; %bb.1991:
	s_cmp_lt_i32 s2, 5
	s_mov_b32 s1, -1
	s_cbranch_scc1 .LBB39_2012
; %bb.1992:
	s_cmp_lt_i32 s2, 8
	s_cbranch_scc1 .LBB39_2002
; %bb.1993:
	s_cmp_lt_i32 s2, 9
	s_cbranch_scc1 .LBB39_1999
; %bb.1994:
	s_cmp_gt_i32 s2, 9
	s_cbranch_scc0 .LBB39_1996
; %bb.1995:
	s_wait_xcnt 0x0
	v_cndmask_b32_e64 v1, 0, 1, s0
	v_mov_b32_e32 v6, 0
	s_mov_b32 s1, 0
	s_delay_alu instid0(VALU_DEP_2) | instskip(NEXT) | instid1(VALU_DEP_2)
	v_cvt_f64_u32_e32 v[4:5], v1
	v_mov_b32_e32 v7, v6
	global_store_b128 v[2:3], v[4:7], off
.LBB39_1996:
	s_and_not1_b32 vcc_lo, exec_lo, s1
	s_cbranch_vccnz .LBB39_1998
; %bb.1997:
	s_wait_xcnt 0x0
	v_cndmask_b32_e64 v4, 0, 1.0, s0
	v_mov_b32_e32 v5, 0
	global_store_b64 v[2:3], v[4:5], off
.LBB39_1998:
	s_mov_b32 s1, 0
.LBB39_1999:
	s_delay_alu instid0(SALU_CYCLE_1)
	s_and_not1_b32 vcc_lo, exec_lo, s1
	s_cbranch_vccnz .LBB39_2001
; %bb.2000:
	s_wait_xcnt 0x0
	v_cndmask_b32_e64 v1, 0, 1.0, s0
	s_delay_alu instid0(VALU_DEP_1) | instskip(NEXT) | instid1(VALU_DEP_1)
	v_cvt_f16_f32_e32 v1, v1
	v_and_b32_e32 v1, 0xffff, v1
	global_store_b32 v[2:3], v1, off
.LBB39_2001:
	s_mov_b32 s1, 0
.LBB39_2002:
	s_delay_alu instid0(SALU_CYCLE_1)
	s_and_not1_b32 vcc_lo, exec_lo, s1
	s_cbranch_vccnz .LBB39_2011
; %bb.2003:
	s_cmp_lt_i32 s2, 6
	s_mov_b32 s1, -1
	s_cbranch_scc1 .LBB39_2009
; %bb.2004:
	s_cmp_gt_i32 s2, 6
	s_cbranch_scc0 .LBB39_2006
; %bb.2005:
	s_wait_xcnt 0x0
	v_cndmask_b32_e64 v1, 0, 1, s0
	s_mov_b32 s1, 0
	s_delay_alu instid0(VALU_DEP_1)
	v_cvt_f64_u32_e32 v[4:5], v1
	global_store_b64 v[2:3], v[4:5], off
.LBB39_2006:
	s_and_not1_b32 vcc_lo, exec_lo, s1
	s_cbranch_vccnz .LBB39_2008
; %bb.2007:
	s_wait_xcnt 0x0
	v_cndmask_b32_e64 v1, 0, 1.0, s0
	global_store_b32 v[2:3], v1, off
.LBB39_2008:
	s_mov_b32 s1, 0
.LBB39_2009:
	s_delay_alu instid0(SALU_CYCLE_1)
	s_and_not1_b32 vcc_lo, exec_lo, s1
	s_cbranch_vccnz .LBB39_2011
; %bb.2010:
	s_wait_xcnt 0x0
	v_cndmask_b32_e64 v1, 0, 1.0, s0
	s_delay_alu instid0(VALU_DEP_1)
	v_cvt_f16_f32_e32 v1, v1
	global_store_b16 v[2:3], v1, off
.LBB39_2011:
	s_mov_b32 s1, 0
.LBB39_2012:
	s_delay_alu instid0(SALU_CYCLE_1)
	s_and_not1_b32 vcc_lo, exec_lo, s1
	s_cbranch_vccnz .LBB39_2028
; %bb.2013:
	s_cmp_lt_i32 s2, 2
	s_mov_b32 s1, -1
	s_cbranch_scc1 .LBB39_2023
; %bb.2014:
	s_cmp_lt_i32 s2, 3
	s_cbranch_scc1 .LBB39_2020
; %bb.2015:
	s_cmp_gt_i32 s2, 3
	s_cbranch_scc0 .LBB39_2017
; %bb.2016:
	s_mov_b32 s1, 0
	s_wait_xcnt 0x0
	v_cndmask_b32_e64 v4, 0, 1, s0
	v_mov_b32_e32 v5, s1
	global_store_b64 v[2:3], v[4:5], off
.LBB39_2017:
	s_and_not1_b32 vcc_lo, exec_lo, s1
	s_cbranch_vccnz .LBB39_2019
; %bb.2018:
	s_wait_xcnt 0x0
	v_cndmask_b32_e64 v1, 0, 1, s0
	global_store_b32 v[2:3], v1, off
.LBB39_2019:
	s_mov_b32 s1, 0
.LBB39_2020:
	s_delay_alu instid0(SALU_CYCLE_1)
	s_and_not1_b32 vcc_lo, exec_lo, s1
	s_cbranch_vccnz .LBB39_2022
; %bb.2021:
	s_wait_xcnt 0x0
	v_cndmask_b32_e64 v1, 0, 1, s0
	global_store_b16 v[2:3], v1, off
.LBB39_2022:
	s_mov_b32 s1, 0
.LBB39_2023:
	s_delay_alu instid0(SALU_CYCLE_1)
	s_and_not1_b32 vcc_lo, exec_lo, s1
	s_cbranch_vccnz .LBB39_2028
; %bb.2024:
	s_cmp_gt_i32 s2, 0
	s_mov_b32 s1, -1
	s_cbranch_scc0 .LBB39_2026
; %bb.2025:
	s_wait_xcnt 0x0
	v_cndmask_b32_e64 v1, 0, 1, s0
	s_mov_b32 s1, 0
	global_store_b8 v[2:3], v1, off
.LBB39_2026:
	s_and_not1_b32 vcc_lo, exec_lo, s1
	s_cbranch_vccnz .LBB39_2028
; %bb.2027:
	s_wait_xcnt 0x0
	v_cndmask_b32_e64 v1, 0, 1, s0
	global_store_b8 v[2:3], v1, off
.LBB39_2028:
	s_mov_b32 s7, -1
.LBB39_2029:
	s_delay_alu instid0(SALU_CYCLE_1)
	s_and_not1_b32 vcc_lo, exec_lo, s7
	s_cbranch_vccnz .LBB39_2106
; %bb.2030:
	v_cmp_eq_f64_e64 s1, 0x7ff00000, v[14:15]
	s_wait_xcnt 0x0
	v_mov_b32_e32 v1, 0
	s_cmp_lt_i32 s2, 11
	s_delay_alu instid0(VALU_DEP_1)
	v_add_nc_u64_e32 v[2:3], s[4:5], v[0:1]
	s_cbranch_scc1 .LBB39_2151
; %bb.2031:
	s_mov_b32 s4, -1
	s_mov_b32 s3, 0
	s_cmp_gt_i32 s2, 25
	s_mov_b32 s0, 0
	s_cbranch_scc0 .LBB39_2064
; %bb.2032:
	s_cmp_gt_i32 s2, 28
	s_cbranch_scc0 .LBB39_2048
; %bb.2033:
	s_cmp_gt_i32 s2, 43
	;; [unrolled: 3-line block ×3, first 2 shown]
	s_cbranch_scc0 .LBB39_2038
; %bb.2035:
	s_cmp_eq_u32 s2, 46
	s_mov_b32 s0, -1
	s_cbranch_scc0 .LBB39_2037
; %bb.2036:
	v_cndmask_b32_e64 v0, 0, 1.0, s1
	s_mov_b32 s0, 0
	s_delay_alu instid0(VALU_DEP_1) | instskip(NEXT) | instid1(VALU_DEP_1)
	v_bfe_u32 v1, v0, 16, 1
	v_add3_u32 v0, v0, v1, 0x7fff
	s_delay_alu instid0(VALU_DEP_1)
	v_lshrrev_b32_e32 v0, 16, v0
	global_store_b32 v[2:3], v0, off
.LBB39_2037:
	s_mov_b32 s4, 0
.LBB39_2038:
	s_delay_alu instid0(SALU_CYCLE_1)
	s_and_b32 vcc_lo, exec_lo, s4
	s_cbranch_vccz .LBB39_2043
; %bb.2039:
	s_cmp_eq_u32 s2, 44
	s_mov_b32 s0, -1
	s_cbranch_scc0 .LBB39_2043
; %bb.2040:
	v_cndmask_b32_e64 v4, 0, 1.0, s1
	s_mov_b32 s4, exec_lo
	s_wait_xcnt 0x0
	s_delay_alu instid0(VALU_DEP_1) | instskip(NEXT) | instid1(VALU_DEP_1)
	v_dual_mov_b32 v1, 0xff :: v_dual_lshrrev_b32 v0, 23, v4
	v_cmpx_ne_u32_e32 0xff, v0
; %bb.2041:
	v_and_b32_e32 v1, 0x400000, v4
	v_and_or_b32 v4, 0x3fffff, v4, v0
	s_delay_alu instid0(VALU_DEP_2) | instskip(NEXT) | instid1(VALU_DEP_2)
	v_cmp_ne_u32_e32 vcc_lo, 0, v1
	v_cmp_ne_u32_e64 s0, 0, v4
	s_and_b32 s0, vcc_lo, s0
	s_delay_alu instid0(SALU_CYCLE_1) | instskip(NEXT) | instid1(VALU_DEP_1)
	v_cndmask_b32_e64 v1, 0, 1, s0
	v_add_nc_u32_e32 v1, v0, v1
; %bb.2042:
	s_or_b32 exec_lo, exec_lo, s4
	s_mov_b32 s0, 0
	global_store_b8 v[2:3], v1, off
.LBB39_2043:
	s_mov_b32 s4, 0
.LBB39_2044:
	s_delay_alu instid0(SALU_CYCLE_1)
	s_and_b32 vcc_lo, exec_lo, s4
	s_cbranch_vccz .LBB39_2047
; %bb.2045:
	s_cmp_eq_u32 s2, 29
	s_mov_b32 s0, -1
	s_cbranch_scc0 .LBB39_2047
; %bb.2046:
	s_mov_b32 s0, 0
	s_wait_xcnt 0x0
	v_cndmask_b32_e64 v0, 0, 1, s1
	v_mov_b32_e32 v1, s0
	global_store_b64 v[2:3], v[0:1], off
.LBB39_2047:
	s_mov_b32 s4, 0
.LBB39_2048:
	s_delay_alu instid0(SALU_CYCLE_1)
	s_and_b32 vcc_lo, exec_lo, s4
	s_cbranch_vccz .LBB39_2063
; %bb.2049:
	s_cmp_lt_i32 s2, 27
	s_mov_b32 s4, -1
	s_cbranch_scc1 .LBB39_2055
; %bb.2050:
	s_cmp_gt_i32 s2, 27
	s_cbranch_scc0 .LBB39_2052
; %bb.2051:
	s_wait_xcnt 0x0
	v_cndmask_b32_e64 v0, 0, 1, s1
	s_mov_b32 s4, 0
	global_store_b32 v[2:3], v0, off
.LBB39_2052:
	s_and_not1_b32 vcc_lo, exec_lo, s4
	s_cbranch_vccnz .LBB39_2054
; %bb.2053:
	s_wait_xcnt 0x0
	v_cndmask_b32_e64 v0, 0, 1, s1
	global_store_b16 v[2:3], v0, off
.LBB39_2054:
	s_mov_b32 s4, 0
.LBB39_2055:
	s_delay_alu instid0(SALU_CYCLE_1)
	s_and_not1_b32 vcc_lo, exec_lo, s4
	s_cbranch_vccnz .LBB39_2063
; %bb.2056:
	s_wait_xcnt 0x0
	v_cndmask_b32_e64 v1, 0, 1.0, s1
	v_mov_b32_e32 v4, 0x80
	s_mov_b32 s4, exec_lo
	s_delay_alu instid0(VALU_DEP_2)
	v_cmpx_gt_u32_e32 0x43800000, v1
	s_cbranch_execz .LBB39_2062
; %bb.2057:
	s_mov_b32 s5, 0
	s_mov_b32 s7, exec_lo
                                        ; implicit-def: $vgpr0
	v_cmpx_lt_u32_e32 0x3bffffff, v1
	s_xor_b32 s7, exec_lo, s7
	s_cbranch_execz .LBB39_2168
; %bb.2058:
	v_bfe_u32 v0, v1, 20, 1
	s_mov_b32 s5, exec_lo
	s_delay_alu instid0(VALU_DEP_1) | instskip(NEXT) | instid1(VALU_DEP_1)
	v_add3_u32 v0, v1, v0, 0x487ffff
                                        ; implicit-def: $vgpr1
	v_lshrrev_b32_e32 v0, 20, v0
	s_and_not1_saveexec_b32 s7, s7
	s_cbranch_execnz .LBB39_2169
.LBB39_2059:
	s_or_b32 exec_lo, exec_lo, s7
	v_mov_b32_e32 v4, 0
	s_and_saveexec_b32 s7, s5
.LBB39_2060:
	v_mov_b32_e32 v4, v0
.LBB39_2061:
	s_or_b32 exec_lo, exec_lo, s7
.LBB39_2062:
	s_delay_alu instid0(SALU_CYCLE_1)
	s_or_b32 exec_lo, exec_lo, s4
	global_store_b8 v[2:3], v4, off
.LBB39_2063:
	s_mov_b32 s4, 0
.LBB39_2064:
	s_delay_alu instid0(SALU_CYCLE_1)
	s_and_b32 vcc_lo, exec_lo, s4
	s_cbranch_vccz .LBB39_2104
; %bb.2065:
	s_cmp_gt_i32 s2, 22
	s_mov_b32 s3, -1
	s_cbranch_scc0 .LBB39_2097
; %bb.2066:
	s_cmp_lt_i32 s2, 24
	s_cbranch_scc1 .LBB39_2086
; %bb.2067:
	s_cmp_gt_i32 s2, 24
	s_cbranch_scc0 .LBB39_2075
; %bb.2068:
	s_wait_xcnt 0x0
	v_cndmask_b32_e64 v1, 0, 1.0, s1
	v_mov_b32_e32 v4, 0x80
	s_mov_b32 s3, exec_lo
	s_delay_alu instid0(VALU_DEP_2)
	v_cmpx_gt_u32_e32 0x47800000, v1
	s_cbranch_execz .LBB39_2074
; %bb.2069:
	s_mov_b32 s4, 0
	s_mov_b32 s5, exec_lo
                                        ; implicit-def: $vgpr0
	v_cmpx_lt_u32_e32 0x37ffffff, v1
	s_xor_b32 s5, exec_lo, s5
	s_cbranch_execz .LBB39_2171
; %bb.2070:
	v_bfe_u32 v0, v1, 21, 1
	s_mov_b32 s4, exec_lo
	s_delay_alu instid0(VALU_DEP_1) | instskip(NEXT) | instid1(VALU_DEP_1)
	v_add3_u32 v0, v1, v0, 0x88fffff
                                        ; implicit-def: $vgpr1
	v_lshrrev_b32_e32 v0, 21, v0
	s_and_not1_saveexec_b32 s5, s5
	s_cbranch_execnz .LBB39_2172
.LBB39_2071:
	s_or_b32 exec_lo, exec_lo, s5
	v_mov_b32_e32 v4, 0
	s_and_saveexec_b32 s5, s4
.LBB39_2072:
	v_mov_b32_e32 v4, v0
.LBB39_2073:
	s_or_b32 exec_lo, exec_lo, s5
.LBB39_2074:
	s_delay_alu instid0(SALU_CYCLE_1)
	s_or_b32 exec_lo, exec_lo, s3
	s_mov_b32 s3, 0
	global_store_b8 v[2:3], v4, off
.LBB39_2075:
	s_and_b32 vcc_lo, exec_lo, s3
	s_cbranch_vccz .LBB39_2085
; %bb.2076:
	s_wait_xcnt 0x0
	v_cndmask_b32_e64 v1, 0, 1.0, s1
	s_mov_b32 s3, exec_lo
                                        ; implicit-def: $vgpr0
	s_delay_alu instid0(VALU_DEP_1)
	v_cmpx_gt_u32_e32 0x43f00000, v1
	s_xor_b32 s3, exec_lo, s3
	s_cbranch_execz .LBB39_2082
; %bb.2077:
	s_mov_b32 s4, exec_lo
                                        ; implicit-def: $vgpr0
	v_cmpx_lt_u32_e32 0x3c7fffff, v1
	s_xor_b32 s4, exec_lo, s4
; %bb.2078:
	v_bfe_u32 v0, v1, 20, 1
	s_delay_alu instid0(VALU_DEP_1) | instskip(NEXT) | instid1(VALU_DEP_1)
	v_add3_u32 v0, v1, v0, 0x407ffff
	v_and_b32_e32 v1, 0xff00000, v0
	v_lshrrev_b32_e32 v0, 20, v0
	s_delay_alu instid0(VALU_DEP_2) | instskip(NEXT) | instid1(VALU_DEP_2)
	v_cmp_ne_u32_e32 vcc_lo, 0x7f00000, v1
                                        ; implicit-def: $vgpr1
	v_cndmask_b32_e32 v0, 0x7e, v0, vcc_lo
; %bb.2079:
	s_and_not1_saveexec_b32 s4, s4
; %bb.2080:
	v_add_f32_e32 v0, 0x46800000, v1
; %bb.2081:
	s_or_b32 exec_lo, exec_lo, s4
                                        ; implicit-def: $vgpr1
.LBB39_2082:
	s_and_not1_saveexec_b32 s3, s3
; %bb.2083:
	v_mov_b32_e32 v0, 0x7f
	v_cmp_lt_u32_e32 vcc_lo, 0x7f800000, v1
	s_delay_alu instid0(VALU_DEP_2)
	v_cndmask_b32_e32 v0, 0x7e, v0, vcc_lo
; %bb.2084:
	s_or_b32 exec_lo, exec_lo, s3
	global_store_b8 v[2:3], v0, off
.LBB39_2085:
	s_mov_b32 s3, 0
.LBB39_2086:
	s_delay_alu instid0(SALU_CYCLE_1)
	s_and_not1_b32 vcc_lo, exec_lo, s3
	s_cbranch_vccnz .LBB39_2096
; %bb.2087:
	s_wait_xcnt 0x0
	v_cndmask_b32_e64 v1, 0, 1.0, s1
	s_mov_b32 s3, exec_lo
                                        ; implicit-def: $vgpr0
	s_delay_alu instid0(VALU_DEP_1)
	v_cmpx_gt_u32_e32 0x47800000, v1
	s_xor_b32 s3, exec_lo, s3
	s_cbranch_execz .LBB39_2093
; %bb.2088:
	s_mov_b32 s4, exec_lo
                                        ; implicit-def: $vgpr0
	v_cmpx_lt_u32_e32 0x387fffff, v1
	s_xor_b32 s4, exec_lo, s4
; %bb.2089:
	v_bfe_u32 v0, v1, 21, 1
	s_delay_alu instid0(VALU_DEP_1) | instskip(NEXT) | instid1(VALU_DEP_1)
	v_add3_u32 v0, v1, v0, 0x80fffff
                                        ; implicit-def: $vgpr1
	v_lshrrev_b32_e32 v0, 21, v0
; %bb.2090:
	s_and_not1_saveexec_b32 s4, s4
; %bb.2091:
	v_add_f32_e32 v0, 0x43000000, v1
; %bb.2092:
	s_or_b32 exec_lo, exec_lo, s4
                                        ; implicit-def: $vgpr1
.LBB39_2093:
	s_and_not1_saveexec_b32 s3, s3
; %bb.2094:
	v_mov_b32_e32 v0, 0x7f
	v_cmp_lt_u32_e32 vcc_lo, 0x7f800000, v1
	s_delay_alu instid0(VALU_DEP_2)
	v_cndmask_b32_e32 v0, 0x7c, v0, vcc_lo
; %bb.2095:
	s_or_b32 exec_lo, exec_lo, s3
	global_store_b8 v[2:3], v0, off
.LBB39_2096:
	s_mov_b32 s3, 0
.LBB39_2097:
	s_delay_alu instid0(SALU_CYCLE_1)
	s_and_not1_b32 vcc_lo, exec_lo, s3
	s_mov_b32 s3, 0
	s_cbranch_vccnz .LBB39_2104
; %bb.2098:
	s_cmp_gt_i32 s2, 14
	s_mov_b32 s3, -1
	s_cbranch_scc0 .LBB39_2102
; %bb.2099:
	s_cmp_eq_u32 s2, 15
	s_mov_b32 s0, -1
	s_cbranch_scc0 .LBB39_2101
; %bb.2100:
	s_wait_xcnt 0x0
	v_cndmask_b32_e64 v0, 0, 1.0, s1
	s_mov_b32 s0, 0
	s_delay_alu instid0(VALU_DEP_1) | instskip(NEXT) | instid1(VALU_DEP_1)
	v_bfe_u32 v1, v0, 16, 1
	v_add3_u32 v0, v0, v1, 0x7fff
	global_store_d16_hi_b16 v[2:3], v0, off
.LBB39_2101:
	s_mov_b32 s3, 0
.LBB39_2102:
	s_delay_alu instid0(SALU_CYCLE_1)
	s_and_b32 vcc_lo, exec_lo, s3
	s_mov_b32 s3, 0
	s_cbranch_vccz .LBB39_2104
; %bb.2103:
	s_cmp_lg_u32 s2, 11
	s_mov_b32 s3, -1
	s_cselect_b32 s0, -1, 0
.LBB39_2104:
	s_delay_alu instid0(SALU_CYCLE_1)
	s_and_b32 vcc_lo, exec_lo, s0
	s_cbranch_vccnz .LBB39_2170
.LBB39_2105:
	s_mov_b32 s0, 0
	s_branch .LBB39_2107
.LBB39_2106:
	s_mov_b32 s0, 0
	s_wait_xcnt 0x0
	s_mov_b32 s3, 0
                                        ; implicit-def: $sgpr1
                                        ; implicit-def: $vgpr2_vgpr3
                                        ; implicit-def: $sgpr6
.LBB39_2107:
	s_and_not1_b32 s2, s8, exec_lo
	s_and_b32 s4, s10, exec_lo
	s_and_b32 s0, s0, exec_lo
	;; [unrolled: 1-line block ×3, first 2 shown]
	s_or_b32 s8, s2, s4
.LBB39_2108:
	s_wait_xcnt 0x0
	s_or_b32 exec_lo, exec_lo, s9
	s_and_saveexec_b32 s2, s8
	s_cbranch_execz .LBB39_2111
; %bb.2109:
	; divergent unreachable
	s_or_b32 exec_lo, exec_lo, s2
	s_and_saveexec_b32 s2, s30
	s_delay_alu instid0(SALU_CYCLE_1)
	s_xor_b32 s2, exec_lo, s2
	s_cbranch_execnz .LBB39_2112
.LBB39_2110:
	s_or_b32 exec_lo, exec_lo, s2
	s_and_saveexec_b32 s2, s0
	s_cbranch_execnz .LBB39_2113
	s_branch .LBB39_2150
.LBB39_2111:
	s_or_b32 exec_lo, exec_lo, s2
	s_and_saveexec_b32 s2, s30
	s_delay_alu instid0(SALU_CYCLE_1)
	s_xor_b32 s2, exec_lo, s2
	s_cbranch_execz .LBB39_2110
.LBB39_2112:
	v_cndmask_b32_e64 v0, 0, 1, s1
	global_store_b8 v[2:3], v0, off
	s_wait_xcnt 0x0
	s_or_b32 exec_lo, exec_lo, s2
	s_and_saveexec_b32 s2, s0
	s_cbranch_execz .LBB39_2150
.LBB39_2113:
	s_sext_i32_i16 s2, s6
	s_mov_b32 s0, -1
	s_cmp_lt_i32 s2, 5
	s_cbranch_scc1 .LBB39_2134
; %bb.2114:
	s_cmp_lt_i32 s2, 8
	s_cbranch_scc1 .LBB39_2124
; %bb.2115:
	;; [unrolled: 3-line block ×3, first 2 shown]
	s_cmp_gt_i32 s2, 9
	s_cbranch_scc0 .LBB39_2118
; %bb.2117:
	v_cndmask_b32_e64 v0, 0, 1, s1
	s_wait_loadcnt 0x0
	v_mov_b32_e32 v6, 0
	s_mov_b32 s0, 0
	s_delay_alu instid0(VALU_DEP_2) | instskip(NEXT) | instid1(VALU_DEP_2)
	v_cvt_f64_u32_e32 v[4:5], v0
	v_mov_b32_e32 v7, v6
	global_store_b128 v[2:3], v[4:7], off
.LBB39_2118:
	s_and_not1_b32 vcc_lo, exec_lo, s0
	s_cbranch_vccnz .LBB39_2120
; %bb.2119:
	v_cndmask_b32_e64 v0, 0, 1.0, s1
	v_mov_b32_e32 v1, 0
	global_store_b64 v[2:3], v[0:1], off
.LBB39_2120:
	s_mov_b32 s0, 0
.LBB39_2121:
	s_delay_alu instid0(SALU_CYCLE_1)
	s_and_not1_b32 vcc_lo, exec_lo, s0
	s_cbranch_vccnz .LBB39_2123
; %bb.2122:
	s_wait_xcnt 0x0
	v_cndmask_b32_e64 v0, 0, 1.0, s1
	s_delay_alu instid0(VALU_DEP_1) | instskip(NEXT) | instid1(VALU_DEP_1)
	v_cvt_f16_f32_e32 v0, v0
	v_and_b32_e32 v0, 0xffff, v0
	global_store_b32 v[2:3], v0, off
.LBB39_2123:
	s_mov_b32 s0, 0
.LBB39_2124:
	s_delay_alu instid0(SALU_CYCLE_1)
	s_and_not1_b32 vcc_lo, exec_lo, s0
	s_cbranch_vccnz .LBB39_2133
; %bb.2125:
	s_sext_i32_i16 s2, s6
	s_mov_b32 s0, -1
	s_cmp_lt_i32 s2, 6
	s_cbranch_scc1 .LBB39_2131
; %bb.2126:
	s_cmp_gt_i32 s2, 6
	s_cbranch_scc0 .LBB39_2128
; %bb.2127:
	s_wait_xcnt 0x0
	v_cndmask_b32_e64 v0, 0, 1, s1
	s_mov_b32 s0, 0
	s_delay_alu instid0(VALU_DEP_1)
	v_cvt_f64_u32_e32 v[0:1], v0
	global_store_b64 v[2:3], v[0:1], off
.LBB39_2128:
	s_and_not1_b32 vcc_lo, exec_lo, s0
	s_cbranch_vccnz .LBB39_2130
; %bb.2129:
	s_wait_xcnt 0x0
	v_cndmask_b32_e64 v0, 0, 1.0, s1
	global_store_b32 v[2:3], v0, off
.LBB39_2130:
	s_mov_b32 s0, 0
.LBB39_2131:
	s_delay_alu instid0(SALU_CYCLE_1)
	s_and_not1_b32 vcc_lo, exec_lo, s0
	s_cbranch_vccnz .LBB39_2133
; %bb.2132:
	s_wait_xcnt 0x0
	v_cndmask_b32_e64 v0, 0, 1.0, s1
	s_delay_alu instid0(VALU_DEP_1)
	v_cvt_f16_f32_e32 v0, v0
	global_store_b16 v[2:3], v0, off
.LBB39_2133:
	s_mov_b32 s0, 0
.LBB39_2134:
	s_delay_alu instid0(SALU_CYCLE_1)
	s_and_not1_b32 vcc_lo, exec_lo, s0
	s_cbranch_vccnz .LBB39_2150
; %bb.2135:
	s_sext_i32_i16 s2, s6
	s_mov_b32 s0, -1
	s_cmp_lt_i32 s2, 2
	s_cbranch_scc1 .LBB39_2145
; %bb.2136:
	s_cmp_lt_i32 s2, 3
	s_cbranch_scc1 .LBB39_2142
; %bb.2137:
	s_cmp_gt_i32 s2, 3
	s_cbranch_scc0 .LBB39_2139
; %bb.2138:
	s_mov_b32 s0, 0
	s_wait_xcnt 0x0
	v_cndmask_b32_e64 v0, 0, 1, s1
	v_mov_b32_e32 v1, s0
	global_store_b64 v[2:3], v[0:1], off
.LBB39_2139:
	s_and_not1_b32 vcc_lo, exec_lo, s0
	s_cbranch_vccnz .LBB39_2141
; %bb.2140:
	s_wait_xcnt 0x0
	v_cndmask_b32_e64 v0, 0, 1, s1
	global_store_b32 v[2:3], v0, off
.LBB39_2141:
	s_mov_b32 s0, 0
.LBB39_2142:
	s_delay_alu instid0(SALU_CYCLE_1)
	s_and_not1_b32 vcc_lo, exec_lo, s0
	s_cbranch_vccnz .LBB39_2144
; %bb.2143:
	s_wait_xcnt 0x0
	v_cndmask_b32_e64 v0, 0, 1, s1
	global_store_b16 v[2:3], v0, off
.LBB39_2144:
	s_mov_b32 s0, 0
.LBB39_2145:
	s_delay_alu instid0(SALU_CYCLE_1)
	s_and_not1_b32 vcc_lo, exec_lo, s0
	s_cbranch_vccnz .LBB39_2150
; %bb.2146:
	s_sext_i32_i16 s0, s6
	s_delay_alu instid0(SALU_CYCLE_1)
	s_cmp_gt_i32 s0, 0
	s_mov_b32 s0, -1
	s_cbranch_scc0 .LBB39_2148
; %bb.2147:
	s_wait_xcnt 0x0
	v_cndmask_b32_e64 v0, 0, 1, s1
	s_mov_b32 s0, 0
	global_store_b8 v[2:3], v0, off
.LBB39_2148:
	s_and_not1_b32 vcc_lo, exec_lo, s0
	s_cbranch_vccnz .LBB39_2150
; %bb.2149:
	s_wait_xcnt 0x0
	v_cndmask_b32_e64 v0, 0, 1, s1
	global_store_b8 v[2:3], v0, off
	s_endpgm
.LBB39_2150:
	s_endpgm
.LBB39_2151:
	s_mov_b32 s3, 0
	s_mov_b32 s0, -1
	s_branch .LBB39_2107
.LBB39_2152:
	s_or_b32 s10, s10, exec_lo
	s_trap 2
	s_cbranch_execz .LBB39_1621
	s_branch .LBB39_1622
.LBB39_2153:
	s_and_not1_saveexec_b32 s12, s12
	s_cbranch_execz .LBB39_1701
.LBB39_2154:
	v_add_f32_e32 v1, 0x46000000, v3
	s_and_not1_b32 s11, s11, exec_lo
	s_delay_alu instid0(VALU_DEP_1) | instskip(NEXT) | instid1(VALU_DEP_1)
	v_and_b32_e32 v1, 0xff, v1
	v_cmp_ne_u32_e32 vcc_lo, 0, v1
	s_and_b32 s13, vcc_lo, exec_lo
	s_delay_alu instid0(SALU_CYCLE_1)
	s_or_b32 s11, s11, s13
	s_or_b32 exec_lo, exec_lo, s12
	v_mov_b32_e32 v5, 0
	s_and_saveexec_b32 s12, s11
	s_cbranch_execnz .LBB39_1702
	s_branch .LBB39_1703
.LBB39_2155:
	s_or_b32 s10, s10, exec_lo
	s_trap 2
	s_cbranch_execz .LBB39_1749
	s_branch .LBB39_1750
.LBB39_2156:
	s_and_not1_saveexec_b32 s11, s11
	s_cbranch_execz .LBB39_1714
.LBB39_2157:
	v_add_f32_e32 v1, 0x42800000, v3
	s_and_not1_b32 s7, s7, exec_lo
	s_delay_alu instid0(VALU_DEP_1) | instskip(NEXT) | instid1(VALU_DEP_1)
	v_and_b32_e32 v1, 0xff, v1
	v_cmp_ne_u32_e32 vcc_lo, 0, v1
	s_and_b32 s12, vcc_lo, exec_lo
	s_delay_alu instid0(SALU_CYCLE_1)
	s_or_b32 s7, s7, s12
	s_or_b32 exec_lo, exec_lo, s11
	v_mov_b32_e32 v5, 0
	s_and_saveexec_b32 s11, s7
	s_cbranch_execnz .LBB39_1715
	s_branch .LBB39_1716
.LBB39_2158:
	s_and_not1_saveexec_b32 s12, s12
	s_cbranch_execz .LBB39_1820
.LBB39_2159:
	v_add_f32_e32 v1, 0x46000000, v3
	s_and_not1_b32 s11, s11, exec_lo
	s_delay_alu instid0(VALU_DEP_1) | instskip(NEXT) | instid1(VALU_DEP_1)
	v_and_b32_e32 v1, 0xff, v1
	v_cmp_ne_u32_e32 vcc_lo, 0, v1
	s_and_b32 s13, vcc_lo, exec_lo
	s_delay_alu instid0(SALU_CYCLE_1)
	s_or_b32 s11, s11, s13
	s_or_b32 exec_lo, exec_lo, s12
	v_mov_b32_e32 v6, 0
	s_and_saveexec_b32 s12, s11
	s_cbranch_execnz .LBB39_1821
	s_branch .LBB39_1822
.LBB39_2160:
	s_or_b32 s10, s10, exec_lo
	s_trap 2
	s_cbranch_execz .LBB39_1868
	s_branch .LBB39_1869
.LBB39_2161:
	s_and_not1_saveexec_b32 s11, s11
	s_cbranch_execz .LBB39_1833
.LBB39_2162:
	v_add_f32_e32 v1, 0x42800000, v3
	s_and_not1_b32 s7, s7, exec_lo
	s_delay_alu instid0(VALU_DEP_1) | instskip(NEXT) | instid1(VALU_DEP_1)
	v_and_b32_e32 v1, 0xff, v1
	v_cmp_ne_u32_e32 vcc_lo, 0, v1
	s_and_b32 s12, vcc_lo, exec_lo
	s_delay_alu instid0(SALU_CYCLE_1)
	s_or_b32 s7, s7, s12
	s_or_b32 exec_lo, exec_lo, s11
	v_mov_b32_e32 v6, 0
	s_and_saveexec_b32 s11, s7
	s_cbranch_execnz .LBB39_1834
	s_branch .LBB39_1835
.LBB39_2163:
	s_and_not1_saveexec_b32 s12, s12
	s_cbranch_execz .LBB39_1939
.LBB39_2164:
	v_add_f32_e32 v1, 0x46000000, v4
	s_and_not1_b32 s11, s11, exec_lo
	s_delay_alu instid0(VALU_DEP_1) | instskip(NEXT) | instid1(VALU_DEP_1)
	v_and_b32_e32 v1, 0xff, v1
	v_cmp_ne_u32_e32 vcc_lo, 0, v1
	s_and_b32 s13, vcc_lo, exec_lo
	s_delay_alu instid0(SALU_CYCLE_1)
	s_or_b32 s11, s11, s13
	s_or_b32 exec_lo, exec_lo, s12
	v_mov_b32_e32 v5, 0
	s_and_saveexec_b32 s12, s11
	s_cbranch_execnz .LBB39_1940
	s_branch .LBB39_1941
.LBB39_2165:
	s_or_b32 s10, s10, exec_lo
	s_trap 2
	s_cbranch_execz .LBB39_1987
	s_branch .LBB39_1988
.LBB39_2166:
	s_and_not1_saveexec_b32 s11, s11
	s_cbranch_execz .LBB39_1952
.LBB39_2167:
	v_add_f32_e32 v1, 0x42800000, v4
	s_and_not1_b32 s7, s7, exec_lo
	s_delay_alu instid0(VALU_DEP_1) | instskip(NEXT) | instid1(VALU_DEP_1)
	v_and_b32_e32 v1, 0xff, v1
	v_cmp_ne_u32_e32 vcc_lo, 0, v1
	s_and_b32 s12, vcc_lo, exec_lo
	s_delay_alu instid0(SALU_CYCLE_1)
	s_or_b32 s7, s7, s12
	s_or_b32 exec_lo, exec_lo, s11
	v_mov_b32_e32 v5, 0
	s_and_saveexec_b32 s11, s7
	s_cbranch_execnz .LBB39_1953
	s_branch .LBB39_1954
.LBB39_2168:
	s_and_not1_saveexec_b32 s7, s7
	s_cbranch_execz .LBB39_2059
.LBB39_2169:
	v_add_f32_e32 v0, 0x46000000, v1
	s_and_not1_b32 s5, s5, exec_lo
	s_delay_alu instid0(VALU_DEP_1) | instskip(NEXT) | instid1(VALU_DEP_1)
	v_and_b32_e32 v0, 0xff, v0
	v_cmp_ne_u32_e32 vcc_lo, 0, v0
	s_and_b32 s11, vcc_lo, exec_lo
	s_delay_alu instid0(SALU_CYCLE_1)
	s_or_b32 s5, s5, s11
	s_or_b32 exec_lo, exec_lo, s7
	v_mov_b32_e32 v4, 0
	s_and_saveexec_b32 s7, s5
	s_cbranch_execnz .LBB39_2060
	s_branch .LBB39_2061
.LBB39_2170:
	s_mov_b32 s3, 0
	s_or_b32 s10, s10, exec_lo
	s_trap 2
	s_branch .LBB39_2105
.LBB39_2171:
	s_and_not1_saveexec_b32 s5, s5
	s_cbranch_execz .LBB39_2071
.LBB39_2172:
	v_add_f32_e32 v0, 0x42800000, v1
	s_and_not1_b32 s4, s4, exec_lo
	s_delay_alu instid0(VALU_DEP_1) | instskip(NEXT) | instid1(VALU_DEP_1)
	v_and_b32_e32 v0, 0xff, v0
	v_cmp_ne_u32_e32 vcc_lo, 0, v0
	s_and_b32 s7, vcc_lo, exec_lo
	s_delay_alu instid0(SALU_CYCLE_1)
	s_or_b32 s4, s4, s7
	s_or_b32 exec_lo, exec_lo, s5
	v_mov_b32_e32 v4, 0
	s_and_saveexec_b32 s5, s4
	s_cbranch_execnz .LBB39_2072
	s_branch .LBB39_2073
	.section	.rodata,"a",@progbits
	.p2align	6, 0x0
	.amdhsa_kernel _ZN2at6native32elementwise_kernel_manual_unrollILi128ELi4EZNS0_15gpu_kernel_implIZZZNS0_12_GLOBAL__N_120isposinf_kernel_implERNS_18TensorIteratorBaseEENKUlvE_clEvENKUlvE_clEvEUldE_EEvS5_RKT_EUlibE0_EEviT1_
		.amdhsa_group_segment_fixed_size 0
		.amdhsa_private_segment_fixed_size 0
		.amdhsa_kernarg_size 360
		.amdhsa_user_sgpr_count 2
		.amdhsa_user_sgpr_dispatch_ptr 0
		.amdhsa_user_sgpr_queue_ptr 0
		.amdhsa_user_sgpr_kernarg_segment_ptr 1
		.amdhsa_user_sgpr_dispatch_id 0
		.amdhsa_user_sgpr_kernarg_preload_length 0
		.amdhsa_user_sgpr_kernarg_preload_offset 0
		.amdhsa_user_sgpr_private_segment_size 0
		.amdhsa_wavefront_size32 1
		.amdhsa_uses_dynamic_stack 0
		.amdhsa_enable_private_segment 0
		.amdhsa_system_sgpr_workgroup_id_x 1
		.amdhsa_system_sgpr_workgroup_id_y 0
		.amdhsa_system_sgpr_workgroup_id_z 0
		.amdhsa_system_sgpr_workgroup_info 0
		.amdhsa_system_vgpr_workitem_id 0
		.amdhsa_next_free_vgpr 20
		.amdhsa_next_free_sgpr 68
		.amdhsa_named_barrier_count 0
		.amdhsa_reserve_vcc 1
		.amdhsa_float_round_mode_32 0
		.amdhsa_float_round_mode_16_64 0
		.amdhsa_float_denorm_mode_32 3
		.amdhsa_float_denorm_mode_16_64 3
		.amdhsa_fp16_overflow 0
		.amdhsa_memory_ordered 1
		.amdhsa_forward_progress 1
		.amdhsa_inst_pref_size 255
		.amdhsa_round_robin_scheduling 0
		.amdhsa_exception_fp_ieee_invalid_op 0
		.amdhsa_exception_fp_denorm_src 0
		.amdhsa_exception_fp_ieee_div_zero 0
		.amdhsa_exception_fp_ieee_overflow 0
		.amdhsa_exception_fp_ieee_underflow 0
		.amdhsa_exception_fp_ieee_inexact 0
		.amdhsa_exception_int_div_zero 0
	.end_amdhsa_kernel
	.section	.text._ZN2at6native32elementwise_kernel_manual_unrollILi128ELi4EZNS0_15gpu_kernel_implIZZZNS0_12_GLOBAL__N_120isposinf_kernel_implERNS_18TensorIteratorBaseEENKUlvE_clEvENKUlvE_clEvEUldE_EEvS5_RKT_EUlibE0_EEviT1_,"axG",@progbits,_ZN2at6native32elementwise_kernel_manual_unrollILi128ELi4EZNS0_15gpu_kernel_implIZZZNS0_12_GLOBAL__N_120isposinf_kernel_implERNS_18TensorIteratorBaseEENKUlvE_clEvENKUlvE_clEvEUldE_EEvS5_RKT_EUlibE0_EEviT1_,comdat
.Lfunc_end39:
	.size	_ZN2at6native32elementwise_kernel_manual_unrollILi128ELi4EZNS0_15gpu_kernel_implIZZZNS0_12_GLOBAL__N_120isposinf_kernel_implERNS_18TensorIteratorBaseEENKUlvE_clEvENKUlvE_clEvEUldE_EEvS5_RKT_EUlibE0_EEviT1_, .Lfunc_end39-_ZN2at6native32elementwise_kernel_manual_unrollILi128ELi4EZNS0_15gpu_kernel_implIZZZNS0_12_GLOBAL__N_120isposinf_kernel_implERNS_18TensorIteratorBaseEENKUlvE_clEvENKUlvE_clEvEUldE_EEvS5_RKT_EUlibE0_EEviT1_
                                        ; -- End function
	.set _ZN2at6native32elementwise_kernel_manual_unrollILi128ELi4EZNS0_15gpu_kernel_implIZZZNS0_12_GLOBAL__N_120isposinf_kernel_implERNS_18TensorIteratorBaseEENKUlvE_clEvENKUlvE_clEvEUldE_EEvS5_RKT_EUlibE0_EEviT1_.num_vgpr, 20
	.set _ZN2at6native32elementwise_kernel_manual_unrollILi128ELi4EZNS0_15gpu_kernel_implIZZZNS0_12_GLOBAL__N_120isposinf_kernel_implERNS_18TensorIteratorBaseEENKUlvE_clEvENKUlvE_clEvEUldE_EEvS5_RKT_EUlibE0_EEviT1_.num_agpr, 0
	.set _ZN2at6native32elementwise_kernel_manual_unrollILi128ELi4EZNS0_15gpu_kernel_implIZZZNS0_12_GLOBAL__N_120isposinf_kernel_implERNS_18TensorIteratorBaseEENKUlvE_clEvENKUlvE_clEvEUldE_EEvS5_RKT_EUlibE0_EEviT1_.numbered_sgpr, 68
	.set _ZN2at6native32elementwise_kernel_manual_unrollILi128ELi4EZNS0_15gpu_kernel_implIZZZNS0_12_GLOBAL__N_120isposinf_kernel_implERNS_18TensorIteratorBaseEENKUlvE_clEvENKUlvE_clEvEUldE_EEvS5_RKT_EUlibE0_EEviT1_.num_named_barrier, 0
	.set _ZN2at6native32elementwise_kernel_manual_unrollILi128ELi4EZNS0_15gpu_kernel_implIZZZNS0_12_GLOBAL__N_120isposinf_kernel_implERNS_18TensorIteratorBaseEENKUlvE_clEvENKUlvE_clEvEUldE_EEvS5_RKT_EUlibE0_EEviT1_.private_seg_size, 0
	.set _ZN2at6native32elementwise_kernel_manual_unrollILi128ELi4EZNS0_15gpu_kernel_implIZZZNS0_12_GLOBAL__N_120isposinf_kernel_implERNS_18TensorIteratorBaseEENKUlvE_clEvENKUlvE_clEvEUldE_EEvS5_RKT_EUlibE0_EEviT1_.uses_vcc, 1
	.set _ZN2at6native32elementwise_kernel_manual_unrollILi128ELi4EZNS0_15gpu_kernel_implIZZZNS0_12_GLOBAL__N_120isposinf_kernel_implERNS_18TensorIteratorBaseEENKUlvE_clEvENKUlvE_clEvEUldE_EEvS5_RKT_EUlibE0_EEviT1_.uses_flat_scratch, 0
	.set _ZN2at6native32elementwise_kernel_manual_unrollILi128ELi4EZNS0_15gpu_kernel_implIZZZNS0_12_GLOBAL__N_120isposinf_kernel_implERNS_18TensorIteratorBaseEENKUlvE_clEvENKUlvE_clEvEUldE_EEvS5_RKT_EUlibE0_EEviT1_.has_dyn_sized_stack, 0
	.set _ZN2at6native32elementwise_kernel_manual_unrollILi128ELi4EZNS0_15gpu_kernel_implIZZZNS0_12_GLOBAL__N_120isposinf_kernel_implERNS_18TensorIteratorBaseEENKUlvE_clEvENKUlvE_clEvEUldE_EEvS5_RKT_EUlibE0_EEviT1_.has_recursion, 0
	.set _ZN2at6native32elementwise_kernel_manual_unrollILi128ELi4EZNS0_15gpu_kernel_implIZZZNS0_12_GLOBAL__N_120isposinf_kernel_implERNS_18TensorIteratorBaseEENKUlvE_clEvENKUlvE_clEvEUldE_EEvS5_RKT_EUlibE0_EEviT1_.has_indirect_call, 0
	.section	.AMDGPU.csdata,"",@progbits
; Kernel info:
; codeLenInByte = 41800
; TotalNumSgprs: 70
; NumVgprs: 20
; ScratchSize: 0
; MemoryBound: 1
; FloatMode: 240
; IeeeMode: 1
; LDSByteSize: 0 bytes/workgroup (compile time only)
; SGPRBlocks: 0
; VGPRBlocks: 1
; NumSGPRsForWavesPerEU: 70
; NumVGPRsForWavesPerEU: 20
; NamedBarCnt: 0
; Occupancy: 16
; WaveLimiterHint : 1
; COMPUTE_PGM_RSRC2:SCRATCH_EN: 0
; COMPUTE_PGM_RSRC2:USER_SGPR: 2
; COMPUTE_PGM_RSRC2:TRAP_HANDLER: 0
; COMPUTE_PGM_RSRC2:TGID_X_EN: 1
; COMPUTE_PGM_RSRC2:TGID_Y_EN: 0
; COMPUTE_PGM_RSRC2:TGID_Z_EN: 0
; COMPUTE_PGM_RSRC2:TIDIG_COMP_CNT: 0
	.section	.text._ZN2at6native29vectorized_elementwise_kernelILi16EZZZNS0_12_GLOBAL__N_120isposinf_kernel_implERNS_18TensorIteratorBaseEENKUlvE_clEvENKUlvE0_clEvEUlfE_St5arrayIPcLm2EEEEviT0_T1_,"axG",@progbits,_ZN2at6native29vectorized_elementwise_kernelILi16EZZZNS0_12_GLOBAL__N_120isposinf_kernel_implERNS_18TensorIteratorBaseEENKUlvE_clEvENKUlvE0_clEvEUlfE_St5arrayIPcLm2EEEEviT0_T1_,comdat
	.globl	_ZN2at6native29vectorized_elementwise_kernelILi16EZZZNS0_12_GLOBAL__N_120isposinf_kernel_implERNS_18TensorIteratorBaseEENKUlvE_clEvENKUlvE0_clEvEUlfE_St5arrayIPcLm2EEEEviT0_T1_ ; -- Begin function _ZN2at6native29vectorized_elementwise_kernelILi16EZZZNS0_12_GLOBAL__N_120isposinf_kernel_implERNS_18TensorIteratorBaseEENKUlvE_clEvENKUlvE0_clEvEUlfE_St5arrayIPcLm2EEEEviT0_T1_
	.p2align	8
	.type	_ZN2at6native29vectorized_elementwise_kernelILi16EZZZNS0_12_GLOBAL__N_120isposinf_kernel_implERNS_18TensorIteratorBaseEENKUlvE_clEvENKUlvE0_clEvEUlfE_St5arrayIPcLm2EEEEviT0_T1_,@function
_ZN2at6native29vectorized_elementwise_kernelILi16EZZZNS0_12_GLOBAL__N_120isposinf_kernel_implERNS_18TensorIteratorBaseEENKUlvE_clEvENKUlvE0_clEvEUlfE_St5arrayIPcLm2EEEEviT0_T1_: ; @_ZN2at6native29vectorized_elementwise_kernelILi16EZZZNS0_12_GLOBAL__N_120isposinf_kernel_implERNS_18TensorIteratorBaseEENKUlvE_clEvENKUlvE0_clEvEUlfE_St5arrayIPcLm2EEEEviT0_T1_
; %bb.0:
	s_clause 0x1
	s_load_b32 s3, s[0:1], 0x0
	s_load_b128 s[4:7], s[0:1], 0x8
	s_wait_xcnt 0x0
	s_bfe_u32 s0, ttmp6, 0x4000c
	s_and_b32 s1, ttmp6, 15
	s_add_co_i32 s0, s0, 1
	s_getreg_b32 s2, hwreg(HW_REG_IB_STS2, 6, 4)
	s_mul_i32 s0, ttmp9, s0
	s_delay_alu instid0(SALU_CYCLE_1) | instskip(SKIP_2) | instid1(SALU_CYCLE_1)
	s_add_co_i32 s1, s1, s0
	s_cmp_eq_u32 s2, 0
	s_cselect_b32 s0, ttmp9, s1
	s_lshl_b32 s2, s0, 12
	s_mov_b32 s0, -1
	s_wait_kmcnt 0x0
	s_sub_co_i32 s1, s3, s2
	s_delay_alu instid0(SALU_CYCLE_1)
	s_cmp_gt_i32 s1, 0xfff
	s_cbranch_scc0 .LBB40_2
; %bb.1:
	s_ashr_i32 s3, s2, 31
	v_lshlrev_b32_e32 v1, 6, v0
	s_lshl_b64 s[8:9], s[2:3], 2
	s_mov_b32 s0, 0
	s_add_nc_u64 s[8:9], s[6:7], s[8:9]
	s_clause 0x3
	global_load_b128 v[2:5], v1, s[8:9] offset:16
	global_load_b128 v[6:9], v1, s[8:9]
	global_load_b128 v[10:13], v1, s[8:9] offset:48
	global_load_b128 v[14:17], v1, s[8:9] offset:32
	s_wait_xcnt 0x0
	s_add_nc_u64 s[8:9], s[4:5], s[2:3]
	s_wait_loadcnt 0x3
	v_cmp_eq_f32_e32 vcc_lo, 0x7f800000, v3
	v_cndmask_b32_e64 v1, 0, 1, vcc_lo
	v_cmp_eq_f32_e32 vcc_lo, 0x7f800000, v2
	s_delay_alu instid0(VALU_DEP_2) | instskip(SKIP_2) | instid1(VALU_DEP_2)
	v_lshlrev_b16 v1, 8, v1
	v_cndmask_b32_e64 v2, 0, 1, vcc_lo
	v_cmp_eq_f32_e32 vcc_lo, 0x7f800000, v5
	v_or_b32_e32 v1, v2, v1
	v_cndmask_b32_e64 v3, 0, 1, vcc_lo
	v_cmp_eq_f32_e32 vcc_lo, 0x7f800000, v4
	s_delay_alu instid0(VALU_DEP_2) | instskip(SKIP_3) | instid1(VALU_DEP_2)
	v_lshlrev_b16 v3, 8, v3
	v_cndmask_b32_e64 v4, 0, 1, vcc_lo
	s_wait_loadcnt 0x2
	v_cmp_eq_f32_e32 vcc_lo, 0x7f800000, v7
	v_or_b32_e32 v2, v4, v3
	v_cndmask_b32_e64 v5, 0, 1, vcc_lo
	v_cmp_eq_f32_e32 vcc_lo, 0x7f800000, v6
	s_delay_alu instid0(VALU_DEP_3) | instskip(NEXT) | instid1(VALU_DEP_3)
	v_lshlrev_b32_e32 v2, 16, v2
	v_lshlrev_b16 v5, 8, v5
	v_cndmask_b32_e64 v6, 0, 1, vcc_lo
	v_cmp_eq_f32_e32 vcc_lo, 0x7f800000, v9
	v_and_b32_e32 v1, 0xffff, v1
	v_cndmask_b32_e64 v7, 0, 1, vcc_lo
	v_cmp_eq_f32_e32 vcc_lo, 0x7f800000, v8
	s_delay_alu instid0(VALU_DEP_2) | instskip(SKIP_3) | instid1(VALU_DEP_2)
	v_lshlrev_b16 v7, 8, v7
	v_cndmask_b32_e64 v8, 0, 1, vcc_lo
	s_wait_loadcnt 0x1
	v_cmp_eq_f32_e32 vcc_lo, 0x7f800000, v11
	v_or_b32_e32 v4, v8, v7
	v_cndmask_b32_e64 v9, 0, 1, vcc_lo
	v_cmp_eq_f32_e32 vcc_lo, 0x7f800000, v10
	v_or_b32_e32 v3, v6, v5
	s_delay_alu instid0(VALU_DEP_3) | instskip(SKIP_4) | instid1(VALU_DEP_2)
	v_lshlrev_b16 v9, 8, v9
	v_cndmask_b32_e64 v10, 0, 1, vcc_lo
	v_cmp_eq_f32_e32 vcc_lo, 0x7f800000, v13
	v_cndmask_b32_e64 v11, 0, 1, vcc_lo
	v_cmp_eq_f32_e32 vcc_lo, 0x7f800000, v12
	v_lshlrev_b16 v11, 8, v11
	v_cndmask_b32_e64 v12, 0, 1, vcc_lo
	s_wait_loadcnt 0x0
	v_cmp_eq_f32_e32 vcc_lo, 0x7f800000, v15
	s_delay_alu instid0(VALU_DEP_2) | instskip(SKIP_2) | instid1(VALU_DEP_3)
	v_or_b32_e32 v6, v12, v11
	v_cndmask_b32_e64 v13, 0, 1, vcc_lo
	v_cmp_eq_f32_e32 vcc_lo, 0x7f800000, v14
	v_lshlrev_b32_e32 v6, 16, v6
	s_delay_alu instid0(VALU_DEP_3) | instskip(SKIP_2) | instid1(VALU_DEP_2)
	v_lshlrev_b16 v13, 8, v13
	v_cndmask_b32_e64 v14, 0, 1, vcc_lo
	v_cmp_eq_f32_e32 vcc_lo, 0x7f800000, v17
	v_dual_lshlrev_b32 v4, 16, v4 :: v_dual_bitop2_b32 v7, v14, v13 bitop3:0x54
	v_cndmask_b32_e64 v15, 0, 1, vcc_lo
	v_cmp_eq_f32_e32 vcc_lo, 0x7f800000, v16
	s_delay_alu instid0(VALU_DEP_3) | instskip(NEXT) | instid1(VALU_DEP_3)
	v_and_b32_e32 v7, 0xffff, v7
	v_lshlrev_b16 v15, 8, v15
	v_cndmask_b32_e64 v16, 0, 1, vcc_lo
	s_delay_alu instid0(VALU_DEP_1) | instskip(SKIP_2) | instid1(VALU_DEP_3)
	v_or_b32_e32 v8, v16, v15
	v_or_b32_e32 v5, v10, v9
	v_and_b32_e32 v9, 0xffff, v3
	v_dual_lshlrev_b32 v8, 16, v8 :: v_dual_bitop2_b32 v3, v1, v2 bitop3:0x54
	s_delay_alu instid0(VALU_DEP_3) | instskip(NEXT) | instid1(VALU_DEP_3)
	v_and_b32_e32 v5, 0xffff, v5
	v_or_b32_e32 v2, v9, v4
	s_delay_alu instid0(VALU_DEP_3) | instskip(NEXT) | instid1(VALU_DEP_3)
	v_or_b32_e32 v4, v7, v8
	v_or_b32_e32 v5, v5, v6
	global_store_b128 v0, v[2:5], s[8:9] scale_offset
.LBB40_2:
	s_and_not1_b32 vcc_lo, exec_lo, s0
	s_cbranch_vccnz .LBB40_50
; %bb.3:
	v_cmp_gt_i32_e32 vcc_lo, s1, v0
	s_wait_xcnt 0x0
	v_dual_mov_b32 v3, v0 :: v_dual_bitop2_b32 v1, s2, v0 bitop3:0x54
	v_or_b32_e32 v2, 0x100, v0
	s_mov_b32 s3, 0
	s_mov_b32 s9, 0
	s_and_saveexec_b32 s8, vcc_lo
	s_cbranch_execz .LBB40_5
; %bb.4:
	global_load_b32 v3, v1, s[6:7] scale_offset
	s_wait_loadcnt 0x0
	v_cmp_eq_f32_e64 s0, 0x7f800000, v3
	v_or_b32_e32 v3, 0x100, v0
	s_and_b32 s9, s0, exec_lo
.LBB40_5:
	s_wait_xcnt 0x0
	s_or_b32 exec_lo, exec_lo, s8
	s_delay_alu instid0(SALU_CYCLE_1)
	s_mov_b32 s8, exec_lo
	v_cmpx_gt_i32_e64 s1, v3
	s_cbranch_execz .LBB40_7
; %bb.6:
	v_add_nc_u32_e32 v4, s2, v3
	v_add_nc_u32_e32 v3, 0x100, v3
	global_load_b32 v4, v4, s[6:7] scale_offset
	s_wait_loadcnt 0x0
	v_cmp_eq_f32_e64 s0, 0x7f800000, v4
	s_and_b32 s3, s0, exec_lo
.LBB40_7:
	s_wait_xcnt 0x0
	s_or_b32 exec_lo, exec_lo, s8
	s_mov_b32 s8, 0
	s_mov_b32 s11, 0
	s_mov_b32 s10, exec_lo
	v_cmpx_gt_i32_e64 s1, v3
	s_cbranch_execz .LBB40_9
; %bb.8:
	v_add_nc_u32_e32 v4, s2, v3
	v_add_nc_u32_e32 v3, 0x100, v3
	global_load_b32 v4, v4, s[6:7] scale_offset
	s_wait_loadcnt 0x0
	v_cmp_eq_f32_e64 s0, 0x7f800000, v4
	s_and_b32 s11, s0, exec_lo
.LBB40_9:
	s_wait_xcnt 0x0
	s_or_b32 exec_lo, exec_lo, s10
	s_delay_alu instid0(SALU_CYCLE_1)
	s_mov_b32 s10, exec_lo
	v_cmpx_gt_i32_e64 s1, v3
	s_cbranch_execz .LBB40_11
; %bb.10:
	v_add_nc_u32_e32 v4, s2, v3
	v_add_nc_u32_e32 v3, 0x100, v3
	global_load_b32 v4, v4, s[6:7] scale_offset
	s_wait_loadcnt 0x0
	v_cmp_eq_f32_e64 s0, 0x7f800000, v4
	s_and_b32 s8, s0, exec_lo
.LBB40_11:
	s_wait_xcnt 0x0
	s_or_b32 exec_lo, exec_lo, s10
	s_mov_b32 s10, 0
	s_mov_b32 s13, 0
	s_mov_b32 s12, exec_lo
	v_cmpx_gt_i32_e64 s1, v3
	s_cbranch_execz .LBB40_13
; %bb.12:
	v_add_nc_u32_e32 v4, s2, v3
	v_add_nc_u32_e32 v3, 0x100, v3
	global_load_b32 v4, v4, s[6:7] scale_offset
	s_wait_loadcnt 0x0
	v_cmp_eq_f32_e64 s0, 0x7f800000, v4
	s_and_b32 s13, s0, exec_lo
.LBB40_13:
	;; [unrolled: 29-line block ×6, first 2 shown]
	s_wait_xcnt 0x0
	s_or_b32 exec_lo, exec_lo, s20
	s_delay_alu instid0(SALU_CYCLE_1)
	s_mov_b32 s20, exec_lo
	v_cmpx_gt_i32_e64 s1, v3
	s_cbranch_execz .LBB40_31
; %bb.30:
	v_add_nc_u32_e32 v4, s2, v3
	v_add_nc_u32_e32 v3, 0x100, v3
	global_load_b32 v4, v4, s[6:7] scale_offset
	s_wait_loadcnt 0x0
	v_cmp_eq_f32_e64 s0, 0x7f800000, v4
	s_and_b32 s18, s0, exec_lo
.LBB40_31:
	s_wait_xcnt 0x0
	s_or_b32 exec_lo, exec_lo, s20
	s_mov_b32 s20, 0
	s_mov_b32 s22, 0
	s_mov_b32 s23, exec_lo
	v_cmpx_gt_i32_e64 s1, v3
	s_cbranch_execnz .LBB40_51
; %bb.32:
	s_or_b32 exec_lo, exec_lo, s23
	s_delay_alu instid0(SALU_CYCLE_1)
	s_mov_b32 s23, exec_lo
	v_cmpx_gt_i32_e64 s1, v3
	s_cbranch_execnz .LBB40_52
.LBB40_33:
	s_or_b32 exec_lo, exec_lo, s23
	s_and_saveexec_b32 s0, vcc_lo
	s_cbranch_execnz .LBB40_53
.LBB40_34:
	s_or_b32 exec_lo, exec_lo, s0
	s_delay_alu instid0(SALU_CYCLE_1)
	s_mov_b32 s0, exec_lo
	v_cmpx_gt_i32_e64 s1, v0
	s_cbranch_execnz .LBB40_54
.LBB40_35:
	s_or_b32 exec_lo, exec_lo, s0
	s_delay_alu instid0(SALU_CYCLE_1)
	s_mov_b32 s0, exec_lo
	v_cmpx_gt_i32_e64 s1, v0
	s_cbranch_execnz .LBB40_55
.LBB40_36:
	s_or_b32 exec_lo, exec_lo, s0
	s_delay_alu instid0(SALU_CYCLE_1)
	s_mov_b32 s0, exec_lo
	v_cmpx_gt_i32_e64 s1, v0
	s_cbranch_execnz .LBB40_56
.LBB40_37:
	s_or_b32 exec_lo, exec_lo, s0
	s_delay_alu instid0(SALU_CYCLE_1)
	s_mov_b32 s0, exec_lo
	v_cmpx_gt_i32_e64 s1, v0
	s_cbranch_execnz .LBB40_57
.LBB40_38:
	s_or_b32 exec_lo, exec_lo, s0
	s_delay_alu instid0(SALU_CYCLE_1)
	s_mov_b32 s0, exec_lo
	v_cmpx_gt_i32_e64 s1, v0
	s_cbranch_execnz .LBB40_58
.LBB40_39:
	s_or_b32 exec_lo, exec_lo, s0
	s_delay_alu instid0(SALU_CYCLE_1)
	s_mov_b32 s0, exec_lo
	v_cmpx_gt_i32_e64 s1, v0
	s_cbranch_execnz .LBB40_59
.LBB40_40:
	s_or_b32 exec_lo, exec_lo, s0
	s_delay_alu instid0(SALU_CYCLE_1)
	s_mov_b32 s0, exec_lo
	v_cmpx_gt_i32_e64 s1, v0
	s_cbranch_execnz .LBB40_60
.LBB40_41:
	s_or_b32 exec_lo, exec_lo, s0
	s_delay_alu instid0(SALU_CYCLE_1)
	s_mov_b32 s0, exec_lo
	v_cmpx_gt_i32_e64 s1, v0
	s_cbranch_execnz .LBB40_61
.LBB40_42:
	s_or_b32 exec_lo, exec_lo, s0
	s_delay_alu instid0(SALU_CYCLE_1)
	s_mov_b32 s0, exec_lo
	v_cmpx_gt_i32_e64 s1, v0
	s_cbranch_execnz .LBB40_62
.LBB40_43:
	s_or_b32 exec_lo, exec_lo, s0
	s_delay_alu instid0(SALU_CYCLE_1)
	s_mov_b32 s0, exec_lo
	v_cmpx_gt_i32_e64 s1, v0
	s_cbranch_execnz .LBB40_63
.LBB40_44:
	s_or_b32 exec_lo, exec_lo, s0
	s_delay_alu instid0(SALU_CYCLE_1)
	s_mov_b32 s0, exec_lo
	v_cmpx_gt_i32_e64 s1, v0
	s_cbranch_execnz .LBB40_64
.LBB40_45:
	s_or_b32 exec_lo, exec_lo, s0
	s_delay_alu instid0(SALU_CYCLE_1)
	s_mov_b32 s0, exec_lo
	v_cmpx_gt_i32_e64 s1, v0
	s_cbranch_execnz .LBB40_65
.LBB40_46:
	s_or_b32 exec_lo, exec_lo, s0
	s_delay_alu instid0(SALU_CYCLE_1)
	s_mov_b32 s0, exec_lo
	v_cmpx_gt_i32_e64 s1, v0
	s_cbranch_execnz .LBB40_66
.LBB40_47:
	s_or_b32 exec_lo, exec_lo, s0
	s_delay_alu instid0(SALU_CYCLE_1)
	s_mov_b32 s0, exec_lo
	v_cmpx_gt_i32_e64 s1, v0
	s_cbranch_execnz .LBB40_67
.LBB40_48:
	s_or_b32 exec_lo, exec_lo, s0
	s_delay_alu instid0(SALU_CYCLE_1)
	s_mov_b32 s0, exec_lo
	v_cmpx_gt_i32_e64 s1, v0
	s_cbranch_execz .LBB40_50
.LBB40_49:
	v_cndmask_b32_e64 v1, 0, 1, s20
	v_add_nc_u32_e32 v0, s2, v0
	global_store_b8 v0, v1, s[4:5]
.LBB40_50:
	s_endpgm
.LBB40_51:
	v_add_nc_u32_e32 v4, s2, v3
	v_add_nc_u32_e32 v3, 0x100, v3
	global_load_b32 v4, v4, s[6:7] scale_offset
	s_wait_loadcnt 0x0
	v_cmp_eq_f32_e64 s0, 0x7f800000, v4
	s_and_b32 s22, s0, exec_lo
	s_wait_xcnt 0x0
	s_or_b32 exec_lo, exec_lo, s23
	s_delay_alu instid0(SALU_CYCLE_1)
	s_mov_b32 s23, exec_lo
	v_cmpx_gt_i32_e64 s1, v3
	s_cbranch_execz .LBB40_33
.LBB40_52:
	v_add_nc_u32_e32 v3, s2, v3
	global_load_b32 v3, v3, s[6:7] scale_offset
	s_wait_loadcnt 0x0
	v_cmp_eq_f32_e64 s0, 0x7f800000, v3
	s_and_b32 s20, s0, exec_lo
	s_wait_xcnt 0x0
	s_or_b32 exec_lo, exec_lo, s23
	s_and_saveexec_b32 s0, vcc_lo
	s_cbranch_execz .LBB40_34
.LBB40_53:
	v_cndmask_b32_e64 v3, 0, 1, s9
	v_mov_b32_e32 v0, v2
	global_store_b8 v1, v3, s[4:5]
	s_wait_xcnt 0x0
	s_or_b32 exec_lo, exec_lo, s0
	s_delay_alu instid0(SALU_CYCLE_1)
	s_mov_b32 s0, exec_lo
	v_cmpx_gt_i32_e64 s1, v0
	s_cbranch_execz .LBB40_35
.LBB40_54:
	v_cndmask_b32_e64 v1, 0, 1, s3
	v_add_nc_u32_e32 v2, s2, v0
	v_add_nc_u32_e32 v0, 0x100, v0
	global_store_b8 v2, v1, s[4:5]
	s_wait_xcnt 0x0
	s_or_b32 exec_lo, exec_lo, s0
	s_delay_alu instid0(SALU_CYCLE_1)
	s_mov_b32 s0, exec_lo
	v_cmpx_gt_i32_e64 s1, v0
	s_cbranch_execz .LBB40_36
.LBB40_55:
	v_cndmask_b32_e64 v1, 0, 1, s11
	v_add_nc_u32_e32 v2, s2, v0
	v_add_nc_u32_e32 v0, 0x100, v0
	global_store_b8 v2, v1, s[4:5]
	s_wait_xcnt 0x0
	s_or_b32 exec_lo, exec_lo, s0
	s_delay_alu instid0(SALU_CYCLE_1)
	s_mov_b32 s0, exec_lo
	v_cmpx_gt_i32_e64 s1, v0
	s_cbranch_execz .LBB40_37
.LBB40_56:
	v_cndmask_b32_e64 v1, 0, 1, s8
	v_add_nc_u32_e32 v2, s2, v0
	v_add_nc_u32_e32 v0, 0x100, v0
	global_store_b8 v2, v1, s[4:5]
	s_wait_xcnt 0x0
	s_or_b32 exec_lo, exec_lo, s0
	s_delay_alu instid0(SALU_CYCLE_1)
	s_mov_b32 s0, exec_lo
	v_cmpx_gt_i32_e64 s1, v0
	s_cbranch_execz .LBB40_38
.LBB40_57:
	v_cndmask_b32_e64 v1, 0, 1, s13
	v_add_nc_u32_e32 v2, s2, v0
	v_add_nc_u32_e32 v0, 0x100, v0
	global_store_b8 v2, v1, s[4:5]
	s_wait_xcnt 0x0
	s_or_b32 exec_lo, exec_lo, s0
	s_delay_alu instid0(SALU_CYCLE_1)
	s_mov_b32 s0, exec_lo
	v_cmpx_gt_i32_e64 s1, v0
	s_cbranch_execz .LBB40_39
.LBB40_58:
	v_cndmask_b32_e64 v1, 0, 1, s10
	v_add_nc_u32_e32 v2, s2, v0
	v_add_nc_u32_e32 v0, 0x100, v0
	global_store_b8 v2, v1, s[4:5]
	s_wait_xcnt 0x0
	s_or_b32 exec_lo, exec_lo, s0
	s_delay_alu instid0(SALU_CYCLE_1)
	s_mov_b32 s0, exec_lo
	v_cmpx_gt_i32_e64 s1, v0
	s_cbranch_execz .LBB40_40
.LBB40_59:
	v_cndmask_b32_e64 v1, 0, 1, s15
	v_add_nc_u32_e32 v2, s2, v0
	v_add_nc_u32_e32 v0, 0x100, v0
	global_store_b8 v2, v1, s[4:5]
	s_wait_xcnt 0x0
	s_or_b32 exec_lo, exec_lo, s0
	s_delay_alu instid0(SALU_CYCLE_1)
	s_mov_b32 s0, exec_lo
	v_cmpx_gt_i32_e64 s1, v0
	s_cbranch_execz .LBB40_41
.LBB40_60:
	v_cndmask_b32_e64 v1, 0, 1, s12
	v_add_nc_u32_e32 v2, s2, v0
	v_add_nc_u32_e32 v0, 0x100, v0
	global_store_b8 v2, v1, s[4:5]
	s_wait_xcnt 0x0
	s_or_b32 exec_lo, exec_lo, s0
	s_delay_alu instid0(SALU_CYCLE_1)
	s_mov_b32 s0, exec_lo
	v_cmpx_gt_i32_e64 s1, v0
	s_cbranch_execz .LBB40_42
.LBB40_61:
	v_cndmask_b32_e64 v1, 0, 1, s17
	v_add_nc_u32_e32 v2, s2, v0
	v_add_nc_u32_e32 v0, 0x100, v0
	global_store_b8 v2, v1, s[4:5]
	s_wait_xcnt 0x0
	s_or_b32 exec_lo, exec_lo, s0
	s_delay_alu instid0(SALU_CYCLE_1)
	s_mov_b32 s0, exec_lo
	v_cmpx_gt_i32_e64 s1, v0
	s_cbranch_execz .LBB40_43
.LBB40_62:
	v_cndmask_b32_e64 v1, 0, 1, s14
	v_add_nc_u32_e32 v2, s2, v0
	v_add_nc_u32_e32 v0, 0x100, v0
	global_store_b8 v2, v1, s[4:5]
	s_wait_xcnt 0x0
	s_or_b32 exec_lo, exec_lo, s0
	s_delay_alu instid0(SALU_CYCLE_1)
	s_mov_b32 s0, exec_lo
	v_cmpx_gt_i32_e64 s1, v0
	s_cbranch_execz .LBB40_44
.LBB40_63:
	v_cndmask_b32_e64 v1, 0, 1, s19
	v_add_nc_u32_e32 v2, s2, v0
	v_add_nc_u32_e32 v0, 0x100, v0
	global_store_b8 v2, v1, s[4:5]
	s_wait_xcnt 0x0
	s_or_b32 exec_lo, exec_lo, s0
	s_delay_alu instid0(SALU_CYCLE_1)
	s_mov_b32 s0, exec_lo
	v_cmpx_gt_i32_e64 s1, v0
	s_cbranch_execz .LBB40_45
.LBB40_64:
	v_cndmask_b32_e64 v1, 0, 1, s16
	v_add_nc_u32_e32 v2, s2, v0
	v_add_nc_u32_e32 v0, 0x100, v0
	global_store_b8 v2, v1, s[4:5]
	s_wait_xcnt 0x0
	s_or_b32 exec_lo, exec_lo, s0
	s_delay_alu instid0(SALU_CYCLE_1)
	s_mov_b32 s0, exec_lo
	v_cmpx_gt_i32_e64 s1, v0
	s_cbranch_execz .LBB40_46
.LBB40_65:
	v_cndmask_b32_e64 v1, 0, 1, s21
	v_add_nc_u32_e32 v2, s2, v0
	v_add_nc_u32_e32 v0, 0x100, v0
	global_store_b8 v2, v1, s[4:5]
	s_wait_xcnt 0x0
	s_or_b32 exec_lo, exec_lo, s0
	s_delay_alu instid0(SALU_CYCLE_1)
	s_mov_b32 s0, exec_lo
	v_cmpx_gt_i32_e64 s1, v0
	s_cbranch_execz .LBB40_47
.LBB40_66:
	v_cndmask_b32_e64 v1, 0, 1, s18
	v_add_nc_u32_e32 v2, s2, v0
	v_add_nc_u32_e32 v0, 0x100, v0
	global_store_b8 v2, v1, s[4:5]
	s_wait_xcnt 0x0
	s_or_b32 exec_lo, exec_lo, s0
	s_delay_alu instid0(SALU_CYCLE_1)
	s_mov_b32 s0, exec_lo
	v_cmpx_gt_i32_e64 s1, v0
	s_cbranch_execz .LBB40_48
.LBB40_67:
	v_cndmask_b32_e64 v1, 0, 1, s22
	v_add_nc_u32_e32 v2, s2, v0
	v_add_nc_u32_e32 v0, 0x100, v0
	global_store_b8 v2, v1, s[4:5]
	s_wait_xcnt 0x0
	s_or_b32 exec_lo, exec_lo, s0
	s_delay_alu instid0(SALU_CYCLE_1)
	s_mov_b32 s0, exec_lo
	v_cmpx_gt_i32_e64 s1, v0
	s_cbranch_execnz .LBB40_49
	s_branch .LBB40_50
	.section	.rodata,"a",@progbits
	.p2align	6, 0x0
	.amdhsa_kernel _ZN2at6native29vectorized_elementwise_kernelILi16EZZZNS0_12_GLOBAL__N_120isposinf_kernel_implERNS_18TensorIteratorBaseEENKUlvE_clEvENKUlvE0_clEvEUlfE_St5arrayIPcLm2EEEEviT0_T1_
		.amdhsa_group_segment_fixed_size 0
		.amdhsa_private_segment_fixed_size 0
		.amdhsa_kernarg_size 24
		.amdhsa_user_sgpr_count 2
		.amdhsa_user_sgpr_dispatch_ptr 0
		.amdhsa_user_sgpr_queue_ptr 0
		.amdhsa_user_sgpr_kernarg_segment_ptr 1
		.amdhsa_user_sgpr_dispatch_id 0
		.amdhsa_user_sgpr_kernarg_preload_length 0
		.amdhsa_user_sgpr_kernarg_preload_offset 0
		.amdhsa_user_sgpr_private_segment_size 0
		.amdhsa_wavefront_size32 1
		.amdhsa_uses_dynamic_stack 0
		.amdhsa_enable_private_segment 0
		.amdhsa_system_sgpr_workgroup_id_x 1
		.amdhsa_system_sgpr_workgroup_id_y 0
		.amdhsa_system_sgpr_workgroup_id_z 0
		.amdhsa_system_sgpr_workgroup_info 0
		.amdhsa_system_vgpr_workitem_id 0
		.amdhsa_next_free_vgpr 18
		.amdhsa_next_free_sgpr 24
		.amdhsa_named_barrier_count 0
		.amdhsa_reserve_vcc 1
		.amdhsa_float_round_mode_32 0
		.amdhsa_float_round_mode_16_64 0
		.amdhsa_float_denorm_mode_32 3
		.amdhsa_float_denorm_mode_16_64 3
		.amdhsa_fp16_overflow 0
		.amdhsa_memory_ordered 1
		.amdhsa_forward_progress 1
		.amdhsa_inst_pref_size 25
		.amdhsa_round_robin_scheduling 0
		.amdhsa_exception_fp_ieee_invalid_op 0
		.amdhsa_exception_fp_denorm_src 0
		.amdhsa_exception_fp_ieee_div_zero 0
		.amdhsa_exception_fp_ieee_overflow 0
		.amdhsa_exception_fp_ieee_underflow 0
		.amdhsa_exception_fp_ieee_inexact 0
		.amdhsa_exception_int_div_zero 0
	.end_amdhsa_kernel
	.section	.text._ZN2at6native29vectorized_elementwise_kernelILi16EZZZNS0_12_GLOBAL__N_120isposinf_kernel_implERNS_18TensorIteratorBaseEENKUlvE_clEvENKUlvE0_clEvEUlfE_St5arrayIPcLm2EEEEviT0_T1_,"axG",@progbits,_ZN2at6native29vectorized_elementwise_kernelILi16EZZZNS0_12_GLOBAL__N_120isposinf_kernel_implERNS_18TensorIteratorBaseEENKUlvE_clEvENKUlvE0_clEvEUlfE_St5arrayIPcLm2EEEEviT0_T1_,comdat
.Lfunc_end40:
	.size	_ZN2at6native29vectorized_elementwise_kernelILi16EZZZNS0_12_GLOBAL__N_120isposinf_kernel_implERNS_18TensorIteratorBaseEENKUlvE_clEvENKUlvE0_clEvEUlfE_St5arrayIPcLm2EEEEviT0_T1_, .Lfunc_end40-_ZN2at6native29vectorized_elementwise_kernelILi16EZZZNS0_12_GLOBAL__N_120isposinf_kernel_implERNS_18TensorIteratorBaseEENKUlvE_clEvENKUlvE0_clEvEUlfE_St5arrayIPcLm2EEEEviT0_T1_
                                        ; -- End function
	.set _ZN2at6native29vectorized_elementwise_kernelILi16EZZZNS0_12_GLOBAL__N_120isposinf_kernel_implERNS_18TensorIteratorBaseEENKUlvE_clEvENKUlvE0_clEvEUlfE_St5arrayIPcLm2EEEEviT0_T1_.num_vgpr, 18
	.set _ZN2at6native29vectorized_elementwise_kernelILi16EZZZNS0_12_GLOBAL__N_120isposinf_kernel_implERNS_18TensorIteratorBaseEENKUlvE_clEvENKUlvE0_clEvEUlfE_St5arrayIPcLm2EEEEviT0_T1_.num_agpr, 0
	.set _ZN2at6native29vectorized_elementwise_kernelILi16EZZZNS0_12_GLOBAL__N_120isposinf_kernel_implERNS_18TensorIteratorBaseEENKUlvE_clEvENKUlvE0_clEvEUlfE_St5arrayIPcLm2EEEEviT0_T1_.numbered_sgpr, 24
	.set _ZN2at6native29vectorized_elementwise_kernelILi16EZZZNS0_12_GLOBAL__N_120isposinf_kernel_implERNS_18TensorIteratorBaseEENKUlvE_clEvENKUlvE0_clEvEUlfE_St5arrayIPcLm2EEEEviT0_T1_.num_named_barrier, 0
	.set _ZN2at6native29vectorized_elementwise_kernelILi16EZZZNS0_12_GLOBAL__N_120isposinf_kernel_implERNS_18TensorIteratorBaseEENKUlvE_clEvENKUlvE0_clEvEUlfE_St5arrayIPcLm2EEEEviT0_T1_.private_seg_size, 0
	.set _ZN2at6native29vectorized_elementwise_kernelILi16EZZZNS0_12_GLOBAL__N_120isposinf_kernel_implERNS_18TensorIteratorBaseEENKUlvE_clEvENKUlvE0_clEvEUlfE_St5arrayIPcLm2EEEEviT0_T1_.uses_vcc, 1
	.set _ZN2at6native29vectorized_elementwise_kernelILi16EZZZNS0_12_GLOBAL__N_120isposinf_kernel_implERNS_18TensorIteratorBaseEENKUlvE_clEvENKUlvE0_clEvEUlfE_St5arrayIPcLm2EEEEviT0_T1_.uses_flat_scratch, 0
	.set _ZN2at6native29vectorized_elementwise_kernelILi16EZZZNS0_12_GLOBAL__N_120isposinf_kernel_implERNS_18TensorIteratorBaseEENKUlvE_clEvENKUlvE0_clEvEUlfE_St5arrayIPcLm2EEEEviT0_T1_.has_dyn_sized_stack, 0
	.set _ZN2at6native29vectorized_elementwise_kernelILi16EZZZNS0_12_GLOBAL__N_120isposinf_kernel_implERNS_18TensorIteratorBaseEENKUlvE_clEvENKUlvE0_clEvEUlfE_St5arrayIPcLm2EEEEviT0_T1_.has_recursion, 0
	.set _ZN2at6native29vectorized_elementwise_kernelILi16EZZZNS0_12_GLOBAL__N_120isposinf_kernel_implERNS_18TensorIteratorBaseEENKUlvE_clEvENKUlvE0_clEvEUlfE_St5arrayIPcLm2EEEEviT0_T1_.has_indirect_call, 0
	.section	.AMDGPU.csdata,"",@progbits
; Kernel info:
; codeLenInByte = 3200
; TotalNumSgprs: 26
; NumVgprs: 18
; ScratchSize: 0
; MemoryBound: 0
; FloatMode: 240
; IeeeMode: 1
; LDSByteSize: 0 bytes/workgroup (compile time only)
; SGPRBlocks: 0
; VGPRBlocks: 1
; NumSGPRsForWavesPerEU: 26
; NumVGPRsForWavesPerEU: 18
; NamedBarCnt: 0
; Occupancy: 16
; WaveLimiterHint : 0
; COMPUTE_PGM_RSRC2:SCRATCH_EN: 0
; COMPUTE_PGM_RSRC2:USER_SGPR: 2
; COMPUTE_PGM_RSRC2:TRAP_HANDLER: 0
; COMPUTE_PGM_RSRC2:TGID_X_EN: 1
; COMPUTE_PGM_RSRC2:TGID_Y_EN: 0
; COMPUTE_PGM_RSRC2:TGID_Z_EN: 0
; COMPUTE_PGM_RSRC2:TIDIG_COMP_CNT: 0
	.section	.text._ZN2at6native29vectorized_elementwise_kernelILi8EZZZNS0_12_GLOBAL__N_120isposinf_kernel_implERNS_18TensorIteratorBaseEENKUlvE_clEvENKUlvE0_clEvEUlfE_St5arrayIPcLm2EEEEviT0_T1_,"axG",@progbits,_ZN2at6native29vectorized_elementwise_kernelILi8EZZZNS0_12_GLOBAL__N_120isposinf_kernel_implERNS_18TensorIteratorBaseEENKUlvE_clEvENKUlvE0_clEvEUlfE_St5arrayIPcLm2EEEEviT0_T1_,comdat
	.globl	_ZN2at6native29vectorized_elementwise_kernelILi8EZZZNS0_12_GLOBAL__N_120isposinf_kernel_implERNS_18TensorIteratorBaseEENKUlvE_clEvENKUlvE0_clEvEUlfE_St5arrayIPcLm2EEEEviT0_T1_ ; -- Begin function _ZN2at6native29vectorized_elementwise_kernelILi8EZZZNS0_12_GLOBAL__N_120isposinf_kernel_implERNS_18TensorIteratorBaseEENKUlvE_clEvENKUlvE0_clEvEUlfE_St5arrayIPcLm2EEEEviT0_T1_
	.p2align	8
	.type	_ZN2at6native29vectorized_elementwise_kernelILi8EZZZNS0_12_GLOBAL__N_120isposinf_kernel_implERNS_18TensorIteratorBaseEENKUlvE_clEvENKUlvE0_clEvEUlfE_St5arrayIPcLm2EEEEviT0_T1_,@function
_ZN2at6native29vectorized_elementwise_kernelILi8EZZZNS0_12_GLOBAL__N_120isposinf_kernel_implERNS_18TensorIteratorBaseEENKUlvE_clEvENKUlvE0_clEvEUlfE_St5arrayIPcLm2EEEEviT0_T1_: ; @_ZN2at6native29vectorized_elementwise_kernelILi8EZZZNS0_12_GLOBAL__N_120isposinf_kernel_implERNS_18TensorIteratorBaseEENKUlvE_clEvENKUlvE0_clEvEUlfE_St5arrayIPcLm2EEEEviT0_T1_
; %bb.0:
	s_clause 0x1
	s_load_b32 s3, s[0:1], 0x0
	s_load_b128 s[4:7], s[0:1], 0x8
	s_wait_xcnt 0x0
	s_bfe_u32 s0, ttmp6, 0x4000c
	s_and_b32 s1, ttmp6, 15
	s_add_co_i32 s0, s0, 1
	s_getreg_b32 s2, hwreg(HW_REG_IB_STS2, 6, 4)
	s_mul_i32 s0, ttmp9, s0
	s_delay_alu instid0(SALU_CYCLE_1) | instskip(SKIP_2) | instid1(SALU_CYCLE_1)
	s_add_co_i32 s1, s1, s0
	s_cmp_eq_u32 s2, 0
	s_cselect_b32 s0, ttmp9, s1
	s_lshl_b32 s2, s0, 12
	s_mov_b32 s0, -1
	s_wait_kmcnt 0x0
	s_sub_co_i32 s1, s3, s2
	s_delay_alu instid0(SALU_CYCLE_1)
	s_cmp_gt_i32 s1, 0xfff
	s_cbranch_scc0 .LBB41_2
; %bb.1:
	s_ashr_i32 s3, s2, 31
	v_lshlrev_b32_e32 v1, 5, v0
	s_lshl_b64 s[8:9], s[2:3], 2
	s_mov_b32 s0, 0
	s_add_nc_u64 s[8:9], s[6:7], s[8:9]
	s_clause 0x3
	global_load_b128 v[2:5], v1, s[8:9]
	global_load_b128 v[6:9], v1, s[8:9] offset:16
	global_load_b128 v[10:13], v1, s[8:9] offset:8192
	;; [unrolled: 1-line block ×3, first 2 shown]
	s_wait_xcnt 0x0
	v_or3_b32 v1, 0, 0, 0
	s_add_nc_u64 s[8:9], s[4:5], s[2:3]
	s_wait_loadcnt 0x3
	v_cmp_eq_f32_e32 vcc_lo, 0x7f800000, v2
	v_cndmask_b32_e64 v2, 0, 1, vcc_lo
	v_cmp_eq_f32_e32 vcc_lo, 0x7f800000, v3
	v_cndmask_b32_e64 v3, 0, 0x100, vcc_lo
	v_cmp_eq_f32_e32 vcc_lo, 0x7f800000, v4
	s_delay_alu instid0(VALU_DEP_2)
	v_or_b32_e32 v2, v3, v2
	v_cndmask_b32_e64 v4, 0, 0x10000, vcc_lo
	v_cmp_eq_f32_e32 vcc_lo, 0x7f800000, v5
	v_cndmask_b32_e64 v5, 0, 0x1000000, vcc_lo
	s_wait_loadcnt 0x2
	v_cmp_eq_f32_e32 vcc_lo, 0x7f800000, v6
	s_delay_alu instid0(VALU_DEP_2) | instskip(SKIP_2) | instid1(VALU_DEP_3)
	v_or3_b32 v2, v2, v4, v5
	v_cndmask_b32_e64 v6, 0, 1, vcc_lo
	v_cmp_eq_f32_e32 vcc_lo, 0x7f800000, v7
	v_or3_b32 v2, v2, 0, 0
	v_cndmask_b32_e64 v7, 0, 0x100, vcc_lo
	v_cmp_eq_f32_e32 vcc_lo, 0x7f800000, v8
	s_delay_alu instid0(VALU_DEP_3) | instskip(NEXT) | instid1(VALU_DEP_3)
	v_or3_b32 v2, v2, 0, 0
	v_or3_b32 v5, v1, v6, v7
	v_cndmask_b32_e64 v8, 0, 0x10000, vcc_lo
	v_cmp_eq_f32_e32 vcc_lo, 0x7f800000, v9
	v_cndmask_b32_e64 v9, 0, 0x1000000, vcc_lo
	s_wait_loadcnt 0x1
	v_cmp_eq_f32_e32 vcc_lo, 0x7f800000, v10
	v_cndmask_b32_e64 v10, 0, 1, vcc_lo
	v_cmp_eq_f32_e32 vcc_lo, 0x7f800000, v11
	v_cndmask_b32_e64 v11, 0, 0x100, vcc_lo
	v_cmp_eq_f32_e32 vcc_lo, 0x7f800000, v12
	s_delay_alu instid0(VALU_DEP_2)
	v_or_b32_e32 v3, v11, v10
	v_cndmask_b32_e64 v12, 0, 0x10000, vcc_lo
	v_cmp_eq_f32_e32 vcc_lo, 0x7f800000, v13
	v_cndmask_b32_e64 v13, 0, 0x1000000, vcc_lo
	s_wait_loadcnt 0x0
	v_cmp_eq_f32_e32 vcc_lo, 0x7f800000, v14
	s_delay_alu instid0(VALU_DEP_2) | instskip(SKIP_2) | instid1(VALU_DEP_3)
	v_or3_b32 v3, v3, v12, v13
	v_cndmask_b32_e64 v14, 0, 1, vcc_lo
	v_cmp_eq_f32_e32 vcc_lo, 0x7f800000, v15
	v_or3_b32 v6, v3, 0, 0
	v_or3_b32 v3, v5, v8, v9
	v_cndmask_b32_e64 v10, 0, 0x100, vcc_lo
	v_cmp_eq_f32_e32 vcc_lo, 0x7f800000, v16
	s_delay_alu instid0(VALU_DEP_2) | instskip(SKIP_3) | instid1(VALU_DEP_1)
	v_or3_b32 v1, v1, v14, v10
	v_cndmask_b32_e64 v11, 0, 0x10000, vcc_lo
	v_cmp_eq_f32_e32 vcc_lo, 0x7f800000, v17
	v_cndmask_b32_e64 v4, 0, 0x1000000, vcc_lo
	v_or3_b32 v5, v1, v11, v4
	v_or3_b32 v4, v6, 0, 0
	s_clause 0x1
	global_store_b64 v0, v[2:3], s[8:9] scale_offset
	global_store_b64 v0, v[4:5], s[8:9] offset:2048 scale_offset
.LBB41_2:
	s_and_not1_b32 vcc_lo, exec_lo, s0
	s_cbranch_vccnz .LBB41_50
; %bb.3:
	v_cmp_gt_i32_e32 vcc_lo, s1, v0
	s_wait_xcnt 0x1
	v_dual_mov_b32 v3, v0 :: v_dual_bitop2_b32 v1, s2, v0 bitop3:0x54
	v_or_b32_e32 v2, 0x100, v0
	s_mov_b32 s3, 0
	s_wait_xcnt 0x0
	s_mov_b32 s9, 0
	s_and_saveexec_b32 s8, vcc_lo
	s_cbranch_execz .LBB41_5
; %bb.4:
	global_load_b32 v3, v1, s[6:7] scale_offset
	s_wait_loadcnt 0x0
	v_cmp_eq_f32_e64 s0, 0x7f800000, v3
	v_or_b32_e32 v3, 0x100, v0
	s_and_b32 s9, s0, exec_lo
.LBB41_5:
	s_wait_xcnt 0x0
	s_or_b32 exec_lo, exec_lo, s8
	s_delay_alu instid0(SALU_CYCLE_1)
	s_mov_b32 s8, exec_lo
	v_cmpx_gt_i32_e64 s1, v3
	s_cbranch_execz .LBB41_7
; %bb.6:
	v_add_nc_u32_e32 v4, s2, v3
	v_add_nc_u32_e32 v3, 0x100, v3
	global_load_b32 v4, v4, s[6:7] scale_offset
	s_wait_loadcnt 0x0
	v_cmp_eq_f32_e64 s0, 0x7f800000, v4
	s_and_b32 s3, s0, exec_lo
.LBB41_7:
	s_wait_xcnt 0x0
	s_or_b32 exec_lo, exec_lo, s8
	s_mov_b32 s8, 0
	s_mov_b32 s11, 0
	s_mov_b32 s10, exec_lo
	v_cmpx_gt_i32_e64 s1, v3
	s_cbranch_execz .LBB41_9
; %bb.8:
	v_add_nc_u32_e32 v4, s2, v3
	v_add_nc_u32_e32 v3, 0x100, v3
	global_load_b32 v4, v4, s[6:7] scale_offset
	s_wait_loadcnt 0x0
	v_cmp_eq_f32_e64 s0, 0x7f800000, v4
	s_and_b32 s11, s0, exec_lo
.LBB41_9:
	s_wait_xcnt 0x0
	s_or_b32 exec_lo, exec_lo, s10
	s_delay_alu instid0(SALU_CYCLE_1)
	s_mov_b32 s10, exec_lo
	v_cmpx_gt_i32_e64 s1, v3
	s_cbranch_execz .LBB41_11
; %bb.10:
	v_add_nc_u32_e32 v4, s2, v3
	v_add_nc_u32_e32 v3, 0x100, v3
	global_load_b32 v4, v4, s[6:7] scale_offset
	s_wait_loadcnt 0x0
	v_cmp_eq_f32_e64 s0, 0x7f800000, v4
	s_and_b32 s8, s0, exec_lo
.LBB41_11:
	s_wait_xcnt 0x0
	s_or_b32 exec_lo, exec_lo, s10
	s_mov_b32 s10, 0
	s_mov_b32 s13, 0
	s_mov_b32 s12, exec_lo
	v_cmpx_gt_i32_e64 s1, v3
	s_cbranch_execz .LBB41_13
; %bb.12:
	v_add_nc_u32_e32 v4, s2, v3
	v_add_nc_u32_e32 v3, 0x100, v3
	global_load_b32 v4, v4, s[6:7] scale_offset
	s_wait_loadcnt 0x0
	v_cmp_eq_f32_e64 s0, 0x7f800000, v4
	s_and_b32 s13, s0, exec_lo
.LBB41_13:
	;; [unrolled: 29-line block ×6, first 2 shown]
	s_wait_xcnt 0x0
	s_or_b32 exec_lo, exec_lo, s20
	s_delay_alu instid0(SALU_CYCLE_1)
	s_mov_b32 s20, exec_lo
	v_cmpx_gt_i32_e64 s1, v3
	s_cbranch_execz .LBB41_31
; %bb.30:
	v_add_nc_u32_e32 v4, s2, v3
	v_add_nc_u32_e32 v3, 0x100, v3
	global_load_b32 v4, v4, s[6:7] scale_offset
	s_wait_loadcnt 0x0
	v_cmp_eq_f32_e64 s0, 0x7f800000, v4
	s_and_b32 s18, s0, exec_lo
.LBB41_31:
	s_wait_xcnt 0x0
	s_or_b32 exec_lo, exec_lo, s20
	s_mov_b32 s20, 0
	s_mov_b32 s22, 0
	s_mov_b32 s23, exec_lo
	v_cmpx_gt_i32_e64 s1, v3
	s_cbranch_execnz .LBB41_51
; %bb.32:
	s_or_b32 exec_lo, exec_lo, s23
	s_delay_alu instid0(SALU_CYCLE_1)
	s_mov_b32 s23, exec_lo
	v_cmpx_gt_i32_e64 s1, v3
	s_cbranch_execnz .LBB41_52
.LBB41_33:
	s_or_b32 exec_lo, exec_lo, s23
	s_and_saveexec_b32 s0, vcc_lo
	s_cbranch_execnz .LBB41_53
.LBB41_34:
	s_or_b32 exec_lo, exec_lo, s0
	s_delay_alu instid0(SALU_CYCLE_1)
	s_mov_b32 s0, exec_lo
	v_cmpx_gt_i32_e64 s1, v0
	s_cbranch_execnz .LBB41_54
.LBB41_35:
	s_or_b32 exec_lo, exec_lo, s0
	s_delay_alu instid0(SALU_CYCLE_1)
	s_mov_b32 s0, exec_lo
	v_cmpx_gt_i32_e64 s1, v0
	s_cbranch_execnz .LBB41_55
.LBB41_36:
	s_or_b32 exec_lo, exec_lo, s0
	s_delay_alu instid0(SALU_CYCLE_1)
	s_mov_b32 s0, exec_lo
	v_cmpx_gt_i32_e64 s1, v0
	s_cbranch_execnz .LBB41_56
.LBB41_37:
	s_or_b32 exec_lo, exec_lo, s0
	s_delay_alu instid0(SALU_CYCLE_1)
	s_mov_b32 s0, exec_lo
	v_cmpx_gt_i32_e64 s1, v0
	s_cbranch_execnz .LBB41_57
.LBB41_38:
	s_or_b32 exec_lo, exec_lo, s0
	s_delay_alu instid0(SALU_CYCLE_1)
	s_mov_b32 s0, exec_lo
	v_cmpx_gt_i32_e64 s1, v0
	s_cbranch_execnz .LBB41_58
.LBB41_39:
	s_or_b32 exec_lo, exec_lo, s0
	s_delay_alu instid0(SALU_CYCLE_1)
	s_mov_b32 s0, exec_lo
	v_cmpx_gt_i32_e64 s1, v0
	s_cbranch_execnz .LBB41_59
.LBB41_40:
	s_or_b32 exec_lo, exec_lo, s0
	s_delay_alu instid0(SALU_CYCLE_1)
	s_mov_b32 s0, exec_lo
	v_cmpx_gt_i32_e64 s1, v0
	s_cbranch_execnz .LBB41_60
.LBB41_41:
	s_or_b32 exec_lo, exec_lo, s0
	s_delay_alu instid0(SALU_CYCLE_1)
	s_mov_b32 s0, exec_lo
	v_cmpx_gt_i32_e64 s1, v0
	s_cbranch_execnz .LBB41_61
.LBB41_42:
	s_or_b32 exec_lo, exec_lo, s0
	s_delay_alu instid0(SALU_CYCLE_1)
	s_mov_b32 s0, exec_lo
	v_cmpx_gt_i32_e64 s1, v0
	s_cbranch_execnz .LBB41_62
.LBB41_43:
	s_or_b32 exec_lo, exec_lo, s0
	s_delay_alu instid0(SALU_CYCLE_1)
	s_mov_b32 s0, exec_lo
	v_cmpx_gt_i32_e64 s1, v0
	s_cbranch_execnz .LBB41_63
.LBB41_44:
	s_or_b32 exec_lo, exec_lo, s0
	s_delay_alu instid0(SALU_CYCLE_1)
	s_mov_b32 s0, exec_lo
	v_cmpx_gt_i32_e64 s1, v0
	s_cbranch_execnz .LBB41_64
.LBB41_45:
	s_or_b32 exec_lo, exec_lo, s0
	s_delay_alu instid0(SALU_CYCLE_1)
	s_mov_b32 s0, exec_lo
	v_cmpx_gt_i32_e64 s1, v0
	s_cbranch_execnz .LBB41_65
.LBB41_46:
	s_or_b32 exec_lo, exec_lo, s0
	s_delay_alu instid0(SALU_CYCLE_1)
	s_mov_b32 s0, exec_lo
	v_cmpx_gt_i32_e64 s1, v0
	s_cbranch_execnz .LBB41_66
.LBB41_47:
	s_or_b32 exec_lo, exec_lo, s0
	s_delay_alu instid0(SALU_CYCLE_1)
	s_mov_b32 s0, exec_lo
	v_cmpx_gt_i32_e64 s1, v0
	s_cbranch_execnz .LBB41_67
.LBB41_48:
	s_or_b32 exec_lo, exec_lo, s0
	s_delay_alu instid0(SALU_CYCLE_1)
	s_mov_b32 s0, exec_lo
	v_cmpx_gt_i32_e64 s1, v0
	s_cbranch_execz .LBB41_50
.LBB41_49:
	v_cndmask_b32_e64 v1, 0, 1, s20
	v_add_nc_u32_e32 v0, s2, v0
	global_store_b8 v0, v1, s[4:5]
.LBB41_50:
	s_endpgm
.LBB41_51:
	v_add_nc_u32_e32 v4, s2, v3
	v_add_nc_u32_e32 v3, 0x100, v3
	global_load_b32 v4, v4, s[6:7] scale_offset
	s_wait_loadcnt 0x0
	v_cmp_eq_f32_e64 s0, 0x7f800000, v4
	s_and_b32 s22, s0, exec_lo
	s_wait_xcnt 0x0
	s_or_b32 exec_lo, exec_lo, s23
	s_delay_alu instid0(SALU_CYCLE_1)
	s_mov_b32 s23, exec_lo
	v_cmpx_gt_i32_e64 s1, v3
	s_cbranch_execz .LBB41_33
.LBB41_52:
	v_add_nc_u32_e32 v3, s2, v3
	global_load_b32 v3, v3, s[6:7] scale_offset
	s_wait_loadcnt 0x0
	v_cmp_eq_f32_e64 s0, 0x7f800000, v3
	s_and_b32 s20, s0, exec_lo
	s_wait_xcnt 0x0
	s_or_b32 exec_lo, exec_lo, s23
	s_and_saveexec_b32 s0, vcc_lo
	s_cbranch_execz .LBB41_34
.LBB41_53:
	v_cndmask_b32_e64 v3, 0, 1, s9
	v_mov_b32_e32 v0, v2
	global_store_b8 v1, v3, s[4:5]
	s_wait_xcnt 0x0
	s_or_b32 exec_lo, exec_lo, s0
	s_delay_alu instid0(SALU_CYCLE_1)
	s_mov_b32 s0, exec_lo
	v_cmpx_gt_i32_e64 s1, v0
	s_cbranch_execz .LBB41_35
.LBB41_54:
	v_cndmask_b32_e64 v1, 0, 1, s3
	v_add_nc_u32_e32 v2, s2, v0
	v_add_nc_u32_e32 v0, 0x100, v0
	global_store_b8 v2, v1, s[4:5]
	s_wait_xcnt 0x0
	s_or_b32 exec_lo, exec_lo, s0
	s_delay_alu instid0(SALU_CYCLE_1)
	s_mov_b32 s0, exec_lo
	v_cmpx_gt_i32_e64 s1, v0
	s_cbranch_execz .LBB41_36
.LBB41_55:
	v_cndmask_b32_e64 v1, 0, 1, s11
	v_add_nc_u32_e32 v2, s2, v0
	v_add_nc_u32_e32 v0, 0x100, v0
	global_store_b8 v2, v1, s[4:5]
	s_wait_xcnt 0x0
	s_or_b32 exec_lo, exec_lo, s0
	s_delay_alu instid0(SALU_CYCLE_1)
	s_mov_b32 s0, exec_lo
	v_cmpx_gt_i32_e64 s1, v0
	s_cbranch_execz .LBB41_37
.LBB41_56:
	v_cndmask_b32_e64 v1, 0, 1, s8
	v_add_nc_u32_e32 v2, s2, v0
	v_add_nc_u32_e32 v0, 0x100, v0
	global_store_b8 v2, v1, s[4:5]
	s_wait_xcnt 0x0
	s_or_b32 exec_lo, exec_lo, s0
	s_delay_alu instid0(SALU_CYCLE_1)
	s_mov_b32 s0, exec_lo
	v_cmpx_gt_i32_e64 s1, v0
	s_cbranch_execz .LBB41_38
.LBB41_57:
	v_cndmask_b32_e64 v1, 0, 1, s13
	v_add_nc_u32_e32 v2, s2, v0
	v_add_nc_u32_e32 v0, 0x100, v0
	global_store_b8 v2, v1, s[4:5]
	s_wait_xcnt 0x0
	s_or_b32 exec_lo, exec_lo, s0
	s_delay_alu instid0(SALU_CYCLE_1)
	s_mov_b32 s0, exec_lo
	v_cmpx_gt_i32_e64 s1, v0
	s_cbranch_execz .LBB41_39
.LBB41_58:
	v_cndmask_b32_e64 v1, 0, 1, s10
	v_add_nc_u32_e32 v2, s2, v0
	v_add_nc_u32_e32 v0, 0x100, v0
	global_store_b8 v2, v1, s[4:5]
	s_wait_xcnt 0x0
	s_or_b32 exec_lo, exec_lo, s0
	s_delay_alu instid0(SALU_CYCLE_1)
	s_mov_b32 s0, exec_lo
	v_cmpx_gt_i32_e64 s1, v0
	s_cbranch_execz .LBB41_40
.LBB41_59:
	v_cndmask_b32_e64 v1, 0, 1, s15
	v_add_nc_u32_e32 v2, s2, v0
	v_add_nc_u32_e32 v0, 0x100, v0
	global_store_b8 v2, v1, s[4:5]
	s_wait_xcnt 0x0
	s_or_b32 exec_lo, exec_lo, s0
	s_delay_alu instid0(SALU_CYCLE_1)
	s_mov_b32 s0, exec_lo
	v_cmpx_gt_i32_e64 s1, v0
	s_cbranch_execz .LBB41_41
.LBB41_60:
	v_cndmask_b32_e64 v1, 0, 1, s12
	v_add_nc_u32_e32 v2, s2, v0
	v_add_nc_u32_e32 v0, 0x100, v0
	global_store_b8 v2, v1, s[4:5]
	s_wait_xcnt 0x0
	s_or_b32 exec_lo, exec_lo, s0
	s_delay_alu instid0(SALU_CYCLE_1)
	s_mov_b32 s0, exec_lo
	v_cmpx_gt_i32_e64 s1, v0
	s_cbranch_execz .LBB41_42
.LBB41_61:
	v_cndmask_b32_e64 v1, 0, 1, s17
	v_add_nc_u32_e32 v2, s2, v0
	v_add_nc_u32_e32 v0, 0x100, v0
	global_store_b8 v2, v1, s[4:5]
	s_wait_xcnt 0x0
	s_or_b32 exec_lo, exec_lo, s0
	s_delay_alu instid0(SALU_CYCLE_1)
	s_mov_b32 s0, exec_lo
	v_cmpx_gt_i32_e64 s1, v0
	s_cbranch_execz .LBB41_43
.LBB41_62:
	v_cndmask_b32_e64 v1, 0, 1, s14
	v_add_nc_u32_e32 v2, s2, v0
	v_add_nc_u32_e32 v0, 0x100, v0
	global_store_b8 v2, v1, s[4:5]
	s_wait_xcnt 0x0
	s_or_b32 exec_lo, exec_lo, s0
	s_delay_alu instid0(SALU_CYCLE_1)
	s_mov_b32 s0, exec_lo
	v_cmpx_gt_i32_e64 s1, v0
	s_cbranch_execz .LBB41_44
.LBB41_63:
	v_cndmask_b32_e64 v1, 0, 1, s19
	v_add_nc_u32_e32 v2, s2, v0
	v_add_nc_u32_e32 v0, 0x100, v0
	global_store_b8 v2, v1, s[4:5]
	s_wait_xcnt 0x0
	s_or_b32 exec_lo, exec_lo, s0
	s_delay_alu instid0(SALU_CYCLE_1)
	s_mov_b32 s0, exec_lo
	v_cmpx_gt_i32_e64 s1, v0
	s_cbranch_execz .LBB41_45
.LBB41_64:
	v_cndmask_b32_e64 v1, 0, 1, s16
	v_add_nc_u32_e32 v2, s2, v0
	v_add_nc_u32_e32 v0, 0x100, v0
	global_store_b8 v2, v1, s[4:5]
	s_wait_xcnt 0x0
	s_or_b32 exec_lo, exec_lo, s0
	s_delay_alu instid0(SALU_CYCLE_1)
	s_mov_b32 s0, exec_lo
	v_cmpx_gt_i32_e64 s1, v0
	s_cbranch_execz .LBB41_46
.LBB41_65:
	v_cndmask_b32_e64 v1, 0, 1, s21
	v_add_nc_u32_e32 v2, s2, v0
	v_add_nc_u32_e32 v0, 0x100, v0
	global_store_b8 v2, v1, s[4:5]
	s_wait_xcnt 0x0
	s_or_b32 exec_lo, exec_lo, s0
	s_delay_alu instid0(SALU_CYCLE_1)
	s_mov_b32 s0, exec_lo
	v_cmpx_gt_i32_e64 s1, v0
	s_cbranch_execz .LBB41_47
.LBB41_66:
	v_cndmask_b32_e64 v1, 0, 1, s18
	v_add_nc_u32_e32 v2, s2, v0
	v_add_nc_u32_e32 v0, 0x100, v0
	global_store_b8 v2, v1, s[4:5]
	s_wait_xcnt 0x0
	s_or_b32 exec_lo, exec_lo, s0
	s_delay_alu instid0(SALU_CYCLE_1)
	s_mov_b32 s0, exec_lo
	v_cmpx_gt_i32_e64 s1, v0
	s_cbranch_execz .LBB41_48
.LBB41_67:
	v_cndmask_b32_e64 v1, 0, 1, s22
	v_add_nc_u32_e32 v2, s2, v0
	v_add_nc_u32_e32 v0, 0x100, v0
	global_store_b8 v2, v1, s[4:5]
	s_wait_xcnt 0x0
	s_or_b32 exec_lo, exec_lo, s0
	s_delay_alu instid0(SALU_CYCLE_1)
	s_mov_b32 s0, exec_lo
	v_cmpx_gt_i32_e64 s1, v0
	s_cbranch_execnz .LBB41_49
	s_branch .LBB41_50
	.section	.rodata,"a",@progbits
	.p2align	6, 0x0
	.amdhsa_kernel _ZN2at6native29vectorized_elementwise_kernelILi8EZZZNS0_12_GLOBAL__N_120isposinf_kernel_implERNS_18TensorIteratorBaseEENKUlvE_clEvENKUlvE0_clEvEUlfE_St5arrayIPcLm2EEEEviT0_T1_
		.amdhsa_group_segment_fixed_size 0
		.amdhsa_private_segment_fixed_size 0
		.amdhsa_kernarg_size 24
		.amdhsa_user_sgpr_count 2
		.amdhsa_user_sgpr_dispatch_ptr 0
		.amdhsa_user_sgpr_queue_ptr 0
		.amdhsa_user_sgpr_kernarg_segment_ptr 1
		.amdhsa_user_sgpr_dispatch_id 0
		.amdhsa_user_sgpr_kernarg_preload_length 0
		.amdhsa_user_sgpr_kernarg_preload_offset 0
		.amdhsa_user_sgpr_private_segment_size 0
		.amdhsa_wavefront_size32 1
		.amdhsa_uses_dynamic_stack 0
		.amdhsa_enable_private_segment 0
		.amdhsa_system_sgpr_workgroup_id_x 1
		.amdhsa_system_sgpr_workgroup_id_y 0
		.amdhsa_system_sgpr_workgroup_id_z 0
		.amdhsa_system_sgpr_workgroup_info 0
		.amdhsa_system_vgpr_workitem_id 0
		.amdhsa_next_free_vgpr 18
		.amdhsa_next_free_sgpr 24
		.amdhsa_named_barrier_count 0
		.amdhsa_reserve_vcc 1
		.amdhsa_float_round_mode_32 0
		.amdhsa_float_round_mode_16_64 0
		.amdhsa_float_denorm_mode_32 3
		.amdhsa_float_denorm_mode_16_64 3
		.amdhsa_fp16_overflow 0
		.amdhsa_memory_ordered 1
		.amdhsa_forward_progress 1
		.amdhsa_inst_pref_size 25
		.amdhsa_round_robin_scheduling 0
		.amdhsa_exception_fp_ieee_invalid_op 0
		.amdhsa_exception_fp_denorm_src 0
		.amdhsa_exception_fp_ieee_div_zero 0
		.amdhsa_exception_fp_ieee_overflow 0
		.amdhsa_exception_fp_ieee_underflow 0
		.amdhsa_exception_fp_ieee_inexact 0
		.amdhsa_exception_int_div_zero 0
	.end_amdhsa_kernel
	.section	.text._ZN2at6native29vectorized_elementwise_kernelILi8EZZZNS0_12_GLOBAL__N_120isposinf_kernel_implERNS_18TensorIteratorBaseEENKUlvE_clEvENKUlvE0_clEvEUlfE_St5arrayIPcLm2EEEEviT0_T1_,"axG",@progbits,_ZN2at6native29vectorized_elementwise_kernelILi8EZZZNS0_12_GLOBAL__N_120isposinf_kernel_implERNS_18TensorIteratorBaseEENKUlvE_clEvENKUlvE0_clEvEUlfE_St5arrayIPcLm2EEEEviT0_T1_,comdat
.Lfunc_end41:
	.size	_ZN2at6native29vectorized_elementwise_kernelILi8EZZZNS0_12_GLOBAL__N_120isposinf_kernel_implERNS_18TensorIteratorBaseEENKUlvE_clEvENKUlvE0_clEvEUlfE_St5arrayIPcLm2EEEEviT0_T1_, .Lfunc_end41-_ZN2at6native29vectorized_elementwise_kernelILi8EZZZNS0_12_GLOBAL__N_120isposinf_kernel_implERNS_18TensorIteratorBaseEENKUlvE_clEvENKUlvE0_clEvEUlfE_St5arrayIPcLm2EEEEviT0_T1_
                                        ; -- End function
	.set _ZN2at6native29vectorized_elementwise_kernelILi8EZZZNS0_12_GLOBAL__N_120isposinf_kernel_implERNS_18TensorIteratorBaseEENKUlvE_clEvENKUlvE0_clEvEUlfE_St5arrayIPcLm2EEEEviT0_T1_.num_vgpr, 18
	.set _ZN2at6native29vectorized_elementwise_kernelILi8EZZZNS0_12_GLOBAL__N_120isposinf_kernel_implERNS_18TensorIteratorBaseEENKUlvE_clEvENKUlvE0_clEvEUlfE_St5arrayIPcLm2EEEEviT0_T1_.num_agpr, 0
	.set _ZN2at6native29vectorized_elementwise_kernelILi8EZZZNS0_12_GLOBAL__N_120isposinf_kernel_implERNS_18TensorIteratorBaseEENKUlvE_clEvENKUlvE0_clEvEUlfE_St5arrayIPcLm2EEEEviT0_T1_.numbered_sgpr, 24
	.set _ZN2at6native29vectorized_elementwise_kernelILi8EZZZNS0_12_GLOBAL__N_120isposinf_kernel_implERNS_18TensorIteratorBaseEENKUlvE_clEvENKUlvE0_clEvEUlfE_St5arrayIPcLm2EEEEviT0_T1_.num_named_barrier, 0
	.set _ZN2at6native29vectorized_elementwise_kernelILi8EZZZNS0_12_GLOBAL__N_120isposinf_kernel_implERNS_18TensorIteratorBaseEENKUlvE_clEvENKUlvE0_clEvEUlfE_St5arrayIPcLm2EEEEviT0_T1_.private_seg_size, 0
	.set _ZN2at6native29vectorized_elementwise_kernelILi8EZZZNS0_12_GLOBAL__N_120isposinf_kernel_implERNS_18TensorIteratorBaseEENKUlvE_clEvENKUlvE0_clEvEUlfE_St5arrayIPcLm2EEEEviT0_T1_.uses_vcc, 1
	.set _ZN2at6native29vectorized_elementwise_kernelILi8EZZZNS0_12_GLOBAL__N_120isposinf_kernel_implERNS_18TensorIteratorBaseEENKUlvE_clEvENKUlvE0_clEvEUlfE_St5arrayIPcLm2EEEEviT0_T1_.uses_flat_scratch, 0
	.set _ZN2at6native29vectorized_elementwise_kernelILi8EZZZNS0_12_GLOBAL__N_120isposinf_kernel_implERNS_18TensorIteratorBaseEENKUlvE_clEvENKUlvE0_clEvEUlfE_St5arrayIPcLm2EEEEviT0_T1_.has_dyn_sized_stack, 0
	.set _ZN2at6native29vectorized_elementwise_kernelILi8EZZZNS0_12_GLOBAL__N_120isposinf_kernel_implERNS_18TensorIteratorBaseEENKUlvE_clEvENKUlvE0_clEvEUlfE_St5arrayIPcLm2EEEEviT0_T1_.has_recursion, 0
	.set _ZN2at6native29vectorized_elementwise_kernelILi8EZZZNS0_12_GLOBAL__N_120isposinf_kernel_implERNS_18TensorIteratorBaseEENKUlvE_clEvENKUlvE0_clEvEUlfE_St5arrayIPcLm2EEEEviT0_T1_.has_indirect_call, 0
	.section	.AMDGPU.csdata,"",@progbits
; Kernel info:
; codeLenInByte = 3176
; TotalNumSgprs: 26
; NumVgprs: 18
; ScratchSize: 0
; MemoryBound: 0
; FloatMode: 240
; IeeeMode: 1
; LDSByteSize: 0 bytes/workgroup (compile time only)
; SGPRBlocks: 0
; VGPRBlocks: 1
; NumSGPRsForWavesPerEU: 26
; NumVGPRsForWavesPerEU: 18
; NamedBarCnt: 0
; Occupancy: 16
; WaveLimiterHint : 1
; COMPUTE_PGM_RSRC2:SCRATCH_EN: 0
; COMPUTE_PGM_RSRC2:USER_SGPR: 2
; COMPUTE_PGM_RSRC2:TRAP_HANDLER: 0
; COMPUTE_PGM_RSRC2:TGID_X_EN: 1
; COMPUTE_PGM_RSRC2:TGID_Y_EN: 0
; COMPUTE_PGM_RSRC2:TGID_Z_EN: 0
; COMPUTE_PGM_RSRC2:TIDIG_COMP_CNT: 0
	.section	.text._ZN2at6native29vectorized_elementwise_kernelILi4EZZZNS0_12_GLOBAL__N_120isposinf_kernel_implERNS_18TensorIteratorBaseEENKUlvE_clEvENKUlvE0_clEvEUlfE_St5arrayIPcLm2EEEEviT0_T1_,"axG",@progbits,_ZN2at6native29vectorized_elementwise_kernelILi4EZZZNS0_12_GLOBAL__N_120isposinf_kernel_implERNS_18TensorIteratorBaseEENKUlvE_clEvENKUlvE0_clEvEUlfE_St5arrayIPcLm2EEEEviT0_T1_,comdat
	.globl	_ZN2at6native29vectorized_elementwise_kernelILi4EZZZNS0_12_GLOBAL__N_120isposinf_kernel_implERNS_18TensorIteratorBaseEENKUlvE_clEvENKUlvE0_clEvEUlfE_St5arrayIPcLm2EEEEviT0_T1_ ; -- Begin function _ZN2at6native29vectorized_elementwise_kernelILi4EZZZNS0_12_GLOBAL__N_120isposinf_kernel_implERNS_18TensorIteratorBaseEENKUlvE_clEvENKUlvE0_clEvEUlfE_St5arrayIPcLm2EEEEviT0_T1_
	.p2align	8
	.type	_ZN2at6native29vectorized_elementwise_kernelILi4EZZZNS0_12_GLOBAL__N_120isposinf_kernel_implERNS_18TensorIteratorBaseEENKUlvE_clEvENKUlvE0_clEvEUlfE_St5arrayIPcLm2EEEEviT0_T1_,@function
_ZN2at6native29vectorized_elementwise_kernelILi4EZZZNS0_12_GLOBAL__N_120isposinf_kernel_implERNS_18TensorIteratorBaseEENKUlvE_clEvENKUlvE0_clEvEUlfE_St5arrayIPcLm2EEEEviT0_T1_: ; @_ZN2at6native29vectorized_elementwise_kernelILi4EZZZNS0_12_GLOBAL__N_120isposinf_kernel_implERNS_18TensorIteratorBaseEENKUlvE_clEvENKUlvE0_clEvEUlfE_St5arrayIPcLm2EEEEviT0_T1_
; %bb.0:
	s_clause 0x1
	s_load_b32 s3, s[0:1], 0x0
	s_load_b128 s[4:7], s[0:1], 0x8
	s_wait_xcnt 0x0
	s_bfe_u32 s0, ttmp6, 0x4000c
	s_and_b32 s1, ttmp6, 15
	s_add_co_i32 s0, s0, 1
	s_getreg_b32 s2, hwreg(HW_REG_IB_STS2, 6, 4)
	s_mul_i32 s0, ttmp9, s0
	s_delay_alu instid0(SALU_CYCLE_1) | instskip(SKIP_2) | instid1(SALU_CYCLE_1)
	s_add_co_i32 s1, s1, s0
	s_cmp_eq_u32 s2, 0
	s_cselect_b32 s0, ttmp9, s1
	s_lshl_b32 s2, s0, 12
	s_mov_b32 s0, -1
	s_wait_kmcnt 0x0
	s_sub_co_i32 s1, s3, s2
	s_delay_alu instid0(SALU_CYCLE_1)
	s_cmp_gt_i32 s1, 0xfff
	s_cbranch_scc0 .LBB42_2
; %bb.1:
	s_ashr_i32 s3, s2, 31
	s_mov_b32 s0, 0
	s_lshl_b64 s[8:9], s[2:3], 2
	s_delay_alu instid0(SALU_CYCLE_1)
	s_add_nc_u64 s[8:9], s[6:7], s[8:9]
	s_clause 0x3
	global_load_b128 v[2:5], v0, s[8:9] scale_offset
	global_load_b128 v[6:9], v0, s[8:9] offset:4096 scale_offset
	global_load_b128 v[10:13], v0, s[8:9] offset:8192 scale_offset
	;; [unrolled: 1-line block ×3, first 2 shown]
	s_wait_xcnt 0x0
	s_add_nc_u64 s[8:9], s[4:5], s[2:3]
	s_wait_loadcnt 0x3
	v_cmp_eq_f32_e32 vcc_lo, 0x7f800000, v2
	v_cndmask_b32_e64 v1, 0, 1, vcc_lo
	v_cmp_eq_f32_e32 vcc_lo, 0x7f800000, v3
	v_cndmask_b32_e64 v2, 0, 0x100, vcc_lo
	v_cmp_eq_f32_e32 vcc_lo, 0x7f800000, v4
	s_delay_alu instid0(VALU_DEP_2)
	v_or_b32_e32 v1, v2, v1
	v_cndmask_b32_e64 v3, 0, 0x10000, vcc_lo
	v_cmp_eq_f32_e32 vcc_lo, 0x7f800000, v5
	v_cndmask_b32_e64 v4, 0, 0x1000000, vcc_lo
	s_wait_loadcnt 0x2
	v_cmp_eq_f32_e32 vcc_lo, 0x7f800000, v6
	s_delay_alu instid0(VALU_DEP_2) | instskip(SKIP_4) | instid1(VALU_DEP_2)
	v_or3_b32 v1, v1, v3, v4
	v_cndmask_b32_e64 v5, 0, 1, vcc_lo
	v_cmp_eq_f32_e32 vcc_lo, 0x7f800000, v7
	v_cndmask_b32_e64 v6, 0, 0x100, vcc_lo
	v_cmp_eq_f32_e32 vcc_lo, 0x7f800000, v8
	v_or_b32_e32 v2, v6, v5
	v_cndmask_b32_e64 v7, 0, 0x10000, vcc_lo
	v_cmp_eq_f32_e32 vcc_lo, 0x7f800000, v9
	v_cndmask_b32_e64 v8, 0, 0x1000000, vcc_lo
	s_wait_loadcnt 0x1
	v_cmp_eq_f32_e32 vcc_lo, 0x7f800000, v10
	s_delay_alu instid0(VALU_DEP_2) | instskip(SKIP_4) | instid1(VALU_DEP_2)
	v_or3_b32 v2, v2, v7, v8
	v_cndmask_b32_e64 v9, 0, 1, vcc_lo
	v_cmp_eq_f32_e32 vcc_lo, 0x7f800000, v11
	v_cndmask_b32_e64 v10, 0, 0x100, vcc_lo
	v_cmp_eq_f32_e32 vcc_lo, 0x7f800000, v12
	;; [unrolled: 12-line block ×3, first 2 shown]
	v_or_b32_e32 v6, v14, v13
	v_cndmask_b32_e64 v15, 0, 0x10000, vcc_lo
	v_cmp_eq_f32_e32 vcc_lo, 0x7f800000, v17
	v_cndmask_b32_e64 v16, 0, 0x1000000, vcc_lo
	s_delay_alu instid0(VALU_DEP_1)
	v_or3_b32 v4, v6, v15, v16
	s_clause 0x3
	global_store_b32 v0, v1, s[8:9] scale_offset
	global_store_b32 v0, v2, s[8:9] offset:1024 scale_offset
	global_store_b32 v0, v3, s[8:9] offset:2048 scale_offset
	;; [unrolled: 1-line block ×3, first 2 shown]
.LBB42_2:
	s_and_not1_b32 vcc_lo, exec_lo, s0
	s_cbranch_vccnz .LBB42_50
; %bb.3:
	v_cmp_gt_i32_e32 vcc_lo, s1, v0
	s_wait_xcnt 0x1
	v_dual_mov_b32 v3, v0 :: v_dual_bitop2_b32 v1, s2, v0 bitop3:0x54
	v_or_b32_e32 v2, 0x100, v0
	s_mov_b32 s3, 0
	s_wait_xcnt 0x0
	s_mov_b32 s9, 0
	s_and_saveexec_b32 s8, vcc_lo
	s_cbranch_execz .LBB42_5
; %bb.4:
	global_load_b32 v3, v1, s[6:7] scale_offset
	s_wait_loadcnt 0x0
	v_cmp_eq_f32_e64 s0, 0x7f800000, v3
	v_or_b32_e32 v3, 0x100, v0
	s_and_b32 s9, s0, exec_lo
.LBB42_5:
	s_wait_xcnt 0x0
	s_or_b32 exec_lo, exec_lo, s8
	s_delay_alu instid0(SALU_CYCLE_1)
	s_mov_b32 s8, exec_lo
	v_cmpx_gt_i32_e64 s1, v3
	s_cbranch_execz .LBB42_7
; %bb.6:
	v_add_nc_u32_e32 v4, s2, v3
	v_add_nc_u32_e32 v3, 0x100, v3
	global_load_b32 v4, v4, s[6:7] scale_offset
	s_wait_loadcnt 0x0
	v_cmp_eq_f32_e64 s0, 0x7f800000, v4
	s_and_b32 s3, s0, exec_lo
.LBB42_7:
	s_wait_xcnt 0x0
	s_or_b32 exec_lo, exec_lo, s8
	s_mov_b32 s8, 0
	s_mov_b32 s11, 0
	s_mov_b32 s10, exec_lo
	v_cmpx_gt_i32_e64 s1, v3
	s_cbranch_execz .LBB42_9
; %bb.8:
	v_add_nc_u32_e32 v4, s2, v3
	v_add_nc_u32_e32 v3, 0x100, v3
	global_load_b32 v4, v4, s[6:7] scale_offset
	s_wait_loadcnt 0x0
	v_cmp_eq_f32_e64 s0, 0x7f800000, v4
	s_and_b32 s11, s0, exec_lo
.LBB42_9:
	s_wait_xcnt 0x0
	s_or_b32 exec_lo, exec_lo, s10
	s_delay_alu instid0(SALU_CYCLE_1)
	s_mov_b32 s10, exec_lo
	v_cmpx_gt_i32_e64 s1, v3
	s_cbranch_execz .LBB42_11
; %bb.10:
	v_add_nc_u32_e32 v4, s2, v3
	v_add_nc_u32_e32 v3, 0x100, v3
	global_load_b32 v4, v4, s[6:7] scale_offset
	s_wait_loadcnt 0x0
	v_cmp_eq_f32_e64 s0, 0x7f800000, v4
	s_and_b32 s8, s0, exec_lo
.LBB42_11:
	s_wait_xcnt 0x0
	s_or_b32 exec_lo, exec_lo, s10
	s_mov_b32 s10, 0
	s_mov_b32 s13, 0
	s_mov_b32 s12, exec_lo
	v_cmpx_gt_i32_e64 s1, v3
	s_cbranch_execz .LBB42_13
; %bb.12:
	v_add_nc_u32_e32 v4, s2, v3
	v_add_nc_u32_e32 v3, 0x100, v3
	global_load_b32 v4, v4, s[6:7] scale_offset
	s_wait_loadcnt 0x0
	v_cmp_eq_f32_e64 s0, 0x7f800000, v4
	s_and_b32 s13, s0, exec_lo
.LBB42_13:
	;; [unrolled: 29-line block ×6, first 2 shown]
	s_wait_xcnt 0x0
	s_or_b32 exec_lo, exec_lo, s20
	s_delay_alu instid0(SALU_CYCLE_1)
	s_mov_b32 s20, exec_lo
	v_cmpx_gt_i32_e64 s1, v3
	s_cbranch_execz .LBB42_31
; %bb.30:
	v_add_nc_u32_e32 v4, s2, v3
	v_add_nc_u32_e32 v3, 0x100, v3
	global_load_b32 v4, v4, s[6:7] scale_offset
	s_wait_loadcnt 0x0
	v_cmp_eq_f32_e64 s0, 0x7f800000, v4
	s_and_b32 s18, s0, exec_lo
.LBB42_31:
	s_wait_xcnt 0x0
	s_or_b32 exec_lo, exec_lo, s20
	s_mov_b32 s20, 0
	s_mov_b32 s22, 0
	s_mov_b32 s23, exec_lo
	v_cmpx_gt_i32_e64 s1, v3
	s_cbranch_execnz .LBB42_51
; %bb.32:
	s_or_b32 exec_lo, exec_lo, s23
	s_delay_alu instid0(SALU_CYCLE_1)
	s_mov_b32 s23, exec_lo
	v_cmpx_gt_i32_e64 s1, v3
	s_cbranch_execnz .LBB42_52
.LBB42_33:
	s_or_b32 exec_lo, exec_lo, s23
	s_and_saveexec_b32 s0, vcc_lo
	s_cbranch_execnz .LBB42_53
.LBB42_34:
	s_or_b32 exec_lo, exec_lo, s0
	s_delay_alu instid0(SALU_CYCLE_1)
	s_mov_b32 s0, exec_lo
	v_cmpx_gt_i32_e64 s1, v0
	s_cbranch_execnz .LBB42_54
.LBB42_35:
	s_or_b32 exec_lo, exec_lo, s0
	s_delay_alu instid0(SALU_CYCLE_1)
	s_mov_b32 s0, exec_lo
	v_cmpx_gt_i32_e64 s1, v0
	s_cbranch_execnz .LBB42_55
.LBB42_36:
	s_or_b32 exec_lo, exec_lo, s0
	s_delay_alu instid0(SALU_CYCLE_1)
	s_mov_b32 s0, exec_lo
	v_cmpx_gt_i32_e64 s1, v0
	s_cbranch_execnz .LBB42_56
.LBB42_37:
	s_or_b32 exec_lo, exec_lo, s0
	s_delay_alu instid0(SALU_CYCLE_1)
	s_mov_b32 s0, exec_lo
	v_cmpx_gt_i32_e64 s1, v0
	s_cbranch_execnz .LBB42_57
.LBB42_38:
	s_or_b32 exec_lo, exec_lo, s0
	s_delay_alu instid0(SALU_CYCLE_1)
	s_mov_b32 s0, exec_lo
	v_cmpx_gt_i32_e64 s1, v0
	s_cbranch_execnz .LBB42_58
.LBB42_39:
	s_or_b32 exec_lo, exec_lo, s0
	s_delay_alu instid0(SALU_CYCLE_1)
	s_mov_b32 s0, exec_lo
	v_cmpx_gt_i32_e64 s1, v0
	s_cbranch_execnz .LBB42_59
.LBB42_40:
	s_or_b32 exec_lo, exec_lo, s0
	s_delay_alu instid0(SALU_CYCLE_1)
	s_mov_b32 s0, exec_lo
	v_cmpx_gt_i32_e64 s1, v0
	s_cbranch_execnz .LBB42_60
.LBB42_41:
	s_or_b32 exec_lo, exec_lo, s0
	s_delay_alu instid0(SALU_CYCLE_1)
	s_mov_b32 s0, exec_lo
	v_cmpx_gt_i32_e64 s1, v0
	s_cbranch_execnz .LBB42_61
.LBB42_42:
	s_or_b32 exec_lo, exec_lo, s0
	s_delay_alu instid0(SALU_CYCLE_1)
	s_mov_b32 s0, exec_lo
	v_cmpx_gt_i32_e64 s1, v0
	s_cbranch_execnz .LBB42_62
.LBB42_43:
	s_or_b32 exec_lo, exec_lo, s0
	s_delay_alu instid0(SALU_CYCLE_1)
	s_mov_b32 s0, exec_lo
	v_cmpx_gt_i32_e64 s1, v0
	s_cbranch_execnz .LBB42_63
.LBB42_44:
	s_or_b32 exec_lo, exec_lo, s0
	s_delay_alu instid0(SALU_CYCLE_1)
	s_mov_b32 s0, exec_lo
	v_cmpx_gt_i32_e64 s1, v0
	s_cbranch_execnz .LBB42_64
.LBB42_45:
	s_or_b32 exec_lo, exec_lo, s0
	s_delay_alu instid0(SALU_CYCLE_1)
	s_mov_b32 s0, exec_lo
	v_cmpx_gt_i32_e64 s1, v0
	s_cbranch_execnz .LBB42_65
.LBB42_46:
	s_or_b32 exec_lo, exec_lo, s0
	s_delay_alu instid0(SALU_CYCLE_1)
	s_mov_b32 s0, exec_lo
	v_cmpx_gt_i32_e64 s1, v0
	s_cbranch_execnz .LBB42_66
.LBB42_47:
	s_or_b32 exec_lo, exec_lo, s0
	s_delay_alu instid0(SALU_CYCLE_1)
	s_mov_b32 s0, exec_lo
	v_cmpx_gt_i32_e64 s1, v0
	s_cbranch_execnz .LBB42_67
.LBB42_48:
	s_or_b32 exec_lo, exec_lo, s0
	s_delay_alu instid0(SALU_CYCLE_1)
	s_mov_b32 s0, exec_lo
	v_cmpx_gt_i32_e64 s1, v0
	s_cbranch_execz .LBB42_50
.LBB42_49:
	v_cndmask_b32_e64 v1, 0, 1, s20
	v_add_nc_u32_e32 v0, s2, v0
	global_store_b8 v0, v1, s[4:5]
.LBB42_50:
	s_endpgm
.LBB42_51:
	v_add_nc_u32_e32 v4, s2, v3
	v_add_nc_u32_e32 v3, 0x100, v3
	global_load_b32 v4, v4, s[6:7] scale_offset
	s_wait_loadcnt 0x0
	v_cmp_eq_f32_e64 s0, 0x7f800000, v4
	s_and_b32 s22, s0, exec_lo
	s_wait_xcnt 0x0
	s_or_b32 exec_lo, exec_lo, s23
	s_delay_alu instid0(SALU_CYCLE_1)
	s_mov_b32 s23, exec_lo
	v_cmpx_gt_i32_e64 s1, v3
	s_cbranch_execz .LBB42_33
.LBB42_52:
	v_add_nc_u32_e32 v3, s2, v3
	global_load_b32 v3, v3, s[6:7] scale_offset
	s_wait_loadcnt 0x0
	v_cmp_eq_f32_e64 s0, 0x7f800000, v3
	s_and_b32 s20, s0, exec_lo
	s_wait_xcnt 0x0
	s_or_b32 exec_lo, exec_lo, s23
	s_and_saveexec_b32 s0, vcc_lo
	s_cbranch_execz .LBB42_34
.LBB42_53:
	v_cndmask_b32_e64 v3, 0, 1, s9
	v_mov_b32_e32 v0, v2
	global_store_b8 v1, v3, s[4:5]
	s_wait_xcnt 0x0
	s_or_b32 exec_lo, exec_lo, s0
	s_delay_alu instid0(SALU_CYCLE_1)
	s_mov_b32 s0, exec_lo
	v_cmpx_gt_i32_e64 s1, v0
	s_cbranch_execz .LBB42_35
.LBB42_54:
	v_cndmask_b32_e64 v1, 0, 1, s3
	v_add_nc_u32_e32 v2, s2, v0
	v_add_nc_u32_e32 v0, 0x100, v0
	global_store_b8 v2, v1, s[4:5]
	s_wait_xcnt 0x0
	s_or_b32 exec_lo, exec_lo, s0
	s_delay_alu instid0(SALU_CYCLE_1)
	s_mov_b32 s0, exec_lo
	v_cmpx_gt_i32_e64 s1, v0
	s_cbranch_execz .LBB42_36
.LBB42_55:
	v_cndmask_b32_e64 v1, 0, 1, s11
	v_add_nc_u32_e32 v2, s2, v0
	v_add_nc_u32_e32 v0, 0x100, v0
	global_store_b8 v2, v1, s[4:5]
	s_wait_xcnt 0x0
	s_or_b32 exec_lo, exec_lo, s0
	s_delay_alu instid0(SALU_CYCLE_1)
	s_mov_b32 s0, exec_lo
	v_cmpx_gt_i32_e64 s1, v0
	s_cbranch_execz .LBB42_37
.LBB42_56:
	v_cndmask_b32_e64 v1, 0, 1, s8
	v_add_nc_u32_e32 v2, s2, v0
	v_add_nc_u32_e32 v0, 0x100, v0
	global_store_b8 v2, v1, s[4:5]
	s_wait_xcnt 0x0
	s_or_b32 exec_lo, exec_lo, s0
	s_delay_alu instid0(SALU_CYCLE_1)
	s_mov_b32 s0, exec_lo
	v_cmpx_gt_i32_e64 s1, v0
	s_cbranch_execz .LBB42_38
.LBB42_57:
	v_cndmask_b32_e64 v1, 0, 1, s13
	v_add_nc_u32_e32 v2, s2, v0
	v_add_nc_u32_e32 v0, 0x100, v0
	global_store_b8 v2, v1, s[4:5]
	s_wait_xcnt 0x0
	s_or_b32 exec_lo, exec_lo, s0
	s_delay_alu instid0(SALU_CYCLE_1)
	s_mov_b32 s0, exec_lo
	v_cmpx_gt_i32_e64 s1, v0
	s_cbranch_execz .LBB42_39
.LBB42_58:
	v_cndmask_b32_e64 v1, 0, 1, s10
	v_add_nc_u32_e32 v2, s2, v0
	v_add_nc_u32_e32 v0, 0x100, v0
	global_store_b8 v2, v1, s[4:5]
	s_wait_xcnt 0x0
	s_or_b32 exec_lo, exec_lo, s0
	s_delay_alu instid0(SALU_CYCLE_1)
	s_mov_b32 s0, exec_lo
	v_cmpx_gt_i32_e64 s1, v0
	s_cbranch_execz .LBB42_40
.LBB42_59:
	v_cndmask_b32_e64 v1, 0, 1, s15
	v_add_nc_u32_e32 v2, s2, v0
	v_add_nc_u32_e32 v0, 0x100, v0
	global_store_b8 v2, v1, s[4:5]
	s_wait_xcnt 0x0
	s_or_b32 exec_lo, exec_lo, s0
	s_delay_alu instid0(SALU_CYCLE_1)
	s_mov_b32 s0, exec_lo
	v_cmpx_gt_i32_e64 s1, v0
	s_cbranch_execz .LBB42_41
.LBB42_60:
	v_cndmask_b32_e64 v1, 0, 1, s12
	v_add_nc_u32_e32 v2, s2, v0
	v_add_nc_u32_e32 v0, 0x100, v0
	global_store_b8 v2, v1, s[4:5]
	s_wait_xcnt 0x0
	s_or_b32 exec_lo, exec_lo, s0
	s_delay_alu instid0(SALU_CYCLE_1)
	s_mov_b32 s0, exec_lo
	v_cmpx_gt_i32_e64 s1, v0
	s_cbranch_execz .LBB42_42
.LBB42_61:
	v_cndmask_b32_e64 v1, 0, 1, s17
	v_add_nc_u32_e32 v2, s2, v0
	v_add_nc_u32_e32 v0, 0x100, v0
	global_store_b8 v2, v1, s[4:5]
	s_wait_xcnt 0x0
	s_or_b32 exec_lo, exec_lo, s0
	s_delay_alu instid0(SALU_CYCLE_1)
	s_mov_b32 s0, exec_lo
	v_cmpx_gt_i32_e64 s1, v0
	s_cbranch_execz .LBB42_43
.LBB42_62:
	v_cndmask_b32_e64 v1, 0, 1, s14
	v_add_nc_u32_e32 v2, s2, v0
	v_add_nc_u32_e32 v0, 0x100, v0
	global_store_b8 v2, v1, s[4:5]
	s_wait_xcnt 0x0
	s_or_b32 exec_lo, exec_lo, s0
	s_delay_alu instid0(SALU_CYCLE_1)
	s_mov_b32 s0, exec_lo
	v_cmpx_gt_i32_e64 s1, v0
	s_cbranch_execz .LBB42_44
.LBB42_63:
	v_cndmask_b32_e64 v1, 0, 1, s19
	v_add_nc_u32_e32 v2, s2, v0
	v_add_nc_u32_e32 v0, 0x100, v0
	global_store_b8 v2, v1, s[4:5]
	s_wait_xcnt 0x0
	s_or_b32 exec_lo, exec_lo, s0
	s_delay_alu instid0(SALU_CYCLE_1)
	s_mov_b32 s0, exec_lo
	v_cmpx_gt_i32_e64 s1, v0
	s_cbranch_execz .LBB42_45
.LBB42_64:
	v_cndmask_b32_e64 v1, 0, 1, s16
	v_add_nc_u32_e32 v2, s2, v0
	v_add_nc_u32_e32 v0, 0x100, v0
	global_store_b8 v2, v1, s[4:5]
	s_wait_xcnt 0x0
	s_or_b32 exec_lo, exec_lo, s0
	s_delay_alu instid0(SALU_CYCLE_1)
	s_mov_b32 s0, exec_lo
	v_cmpx_gt_i32_e64 s1, v0
	s_cbranch_execz .LBB42_46
.LBB42_65:
	v_cndmask_b32_e64 v1, 0, 1, s21
	v_add_nc_u32_e32 v2, s2, v0
	v_add_nc_u32_e32 v0, 0x100, v0
	global_store_b8 v2, v1, s[4:5]
	s_wait_xcnt 0x0
	s_or_b32 exec_lo, exec_lo, s0
	s_delay_alu instid0(SALU_CYCLE_1)
	s_mov_b32 s0, exec_lo
	v_cmpx_gt_i32_e64 s1, v0
	s_cbranch_execz .LBB42_47
.LBB42_66:
	v_cndmask_b32_e64 v1, 0, 1, s18
	v_add_nc_u32_e32 v2, s2, v0
	v_add_nc_u32_e32 v0, 0x100, v0
	global_store_b8 v2, v1, s[4:5]
	s_wait_xcnt 0x0
	s_or_b32 exec_lo, exec_lo, s0
	s_delay_alu instid0(SALU_CYCLE_1)
	s_mov_b32 s0, exec_lo
	v_cmpx_gt_i32_e64 s1, v0
	s_cbranch_execz .LBB42_48
.LBB42_67:
	v_cndmask_b32_e64 v1, 0, 1, s22
	v_add_nc_u32_e32 v2, s2, v0
	v_add_nc_u32_e32 v0, 0x100, v0
	global_store_b8 v2, v1, s[4:5]
	s_wait_xcnt 0x0
	s_or_b32 exec_lo, exec_lo, s0
	s_delay_alu instid0(SALU_CYCLE_1)
	s_mov_b32 s0, exec_lo
	v_cmpx_gt_i32_e64 s1, v0
	s_cbranch_execnz .LBB42_49
	s_branch .LBB42_50
	.section	.rodata,"a",@progbits
	.p2align	6, 0x0
	.amdhsa_kernel _ZN2at6native29vectorized_elementwise_kernelILi4EZZZNS0_12_GLOBAL__N_120isposinf_kernel_implERNS_18TensorIteratorBaseEENKUlvE_clEvENKUlvE0_clEvEUlfE_St5arrayIPcLm2EEEEviT0_T1_
		.amdhsa_group_segment_fixed_size 0
		.amdhsa_private_segment_fixed_size 0
		.amdhsa_kernarg_size 24
		.amdhsa_user_sgpr_count 2
		.amdhsa_user_sgpr_dispatch_ptr 0
		.amdhsa_user_sgpr_queue_ptr 0
		.amdhsa_user_sgpr_kernarg_segment_ptr 1
		.amdhsa_user_sgpr_dispatch_id 0
		.amdhsa_user_sgpr_kernarg_preload_length 0
		.amdhsa_user_sgpr_kernarg_preload_offset 0
		.amdhsa_user_sgpr_private_segment_size 0
		.amdhsa_wavefront_size32 1
		.amdhsa_uses_dynamic_stack 0
		.amdhsa_enable_private_segment 0
		.amdhsa_system_sgpr_workgroup_id_x 1
		.amdhsa_system_sgpr_workgroup_id_y 0
		.amdhsa_system_sgpr_workgroup_id_z 0
		.amdhsa_system_sgpr_workgroup_info 0
		.amdhsa_system_vgpr_workitem_id 0
		.amdhsa_next_free_vgpr 18
		.amdhsa_next_free_sgpr 24
		.amdhsa_named_barrier_count 0
		.amdhsa_reserve_vcc 1
		.amdhsa_float_round_mode_32 0
		.amdhsa_float_round_mode_16_64 0
		.amdhsa_float_denorm_mode_32 3
		.amdhsa_float_denorm_mode_16_64 3
		.amdhsa_fp16_overflow 0
		.amdhsa_memory_ordered 1
		.amdhsa_forward_progress 1
		.amdhsa_inst_pref_size 25
		.amdhsa_round_robin_scheduling 0
		.amdhsa_exception_fp_ieee_invalid_op 0
		.amdhsa_exception_fp_denorm_src 0
		.amdhsa_exception_fp_ieee_div_zero 0
		.amdhsa_exception_fp_ieee_overflow 0
		.amdhsa_exception_fp_ieee_underflow 0
		.amdhsa_exception_fp_ieee_inexact 0
		.amdhsa_exception_int_div_zero 0
	.end_amdhsa_kernel
	.section	.text._ZN2at6native29vectorized_elementwise_kernelILi4EZZZNS0_12_GLOBAL__N_120isposinf_kernel_implERNS_18TensorIteratorBaseEENKUlvE_clEvENKUlvE0_clEvEUlfE_St5arrayIPcLm2EEEEviT0_T1_,"axG",@progbits,_ZN2at6native29vectorized_elementwise_kernelILi4EZZZNS0_12_GLOBAL__N_120isposinf_kernel_implERNS_18TensorIteratorBaseEENKUlvE_clEvENKUlvE0_clEvEUlfE_St5arrayIPcLm2EEEEviT0_T1_,comdat
.Lfunc_end42:
	.size	_ZN2at6native29vectorized_elementwise_kernelILi4EZZZNS0_12_GLOBAL__N_120isposinf_kernel_implERNS_18TensorIteratorBaseEENKUlvE_clEvENKUlvE0_clEvEUlfE_St5arrayIPcLm2EEEEviT0_T1_, .Lfunc_end42-_ZN2at6native29vectorized_elementwise_kernelILi4EZZZNS0_12_GLOBAL__N_120isposinf_kernel_implERNS_18TensorIteratorBaseEENKUlvE_clEvENKUlvE0_clEvEUlfE_St5arrayIPcLm2EEEEviT0_T1_
                                        ; -- End function
	.set _ZN2at6native29vectorized_elementwise_kernelILi4EZZZNS0_12_GLOBAL__N_120isposinf_kernel_implERNS_18TensorIteratorBaseEENKUlvE_clEvENKUlvE0_clEvEUlfE_St5arrayIPcLm2EEEEviT0_T1_.num_vgpr, 18
	.set _ZN2at6native29vectorized_elementwise_kernelILi4EZZZNS0_12_GLOBAL__N_120isposinf_kernel_implERNS_18TensorIteratorBaseEENKUlvE_clEvENKUlvE0_clEvEUlfE_St5arrayIPcLm2EEEEviT0_T1_.num_agpr, 0
	.set _ZN2at6native29vectorized_elementwise_kernelILi4EZZZNS0_12_GLOBAL__N_120isposinf_kernel_implERNS_18TensorIteratorBaseEENKUlvE_clEvENKUlvE0_clEvEUlfE_St5arrayIPcLm2EEEEviT0_T1_.numbered_sgpr, 24
	.set _ZN2at6native29vectorized_elementwise_kernelILi4EZZZNS0_12_GLOBAL__N_120isposinf_kernel_implERNS_18TensorIteratorBaseEENKUlvE_clEvENKUlvE0_clEvEUlfE_St5arrayIPcLm2EEEEviT0_T1_.num_named_barrier, 0
	.set _ZN2at6native29vectorized_elementwise_kernelILi4EZZZNS0_12_GLOBAL__N_120isposinf_kernel_implERNS_18TensorIteratorBaseEENKUlvE_clEvENKUlvE0_clEvEUlfE_St5arrayIPcLm2EEEEviT0_T1_.private_seg_size, 0
	.set _ZN2at6native29vectorized_elementwise_kernelILi4EZZZNS0_12_GLOBAL__N_120isposinf_kernel_implERNS_18TensorIteratorBaseEENKUlvE_clEvENKUlvE0_clEvEUlfE_St5arrayIPcLm2EEEEviT0_T1_.uses_vcc, 1
	.set _ZN2at6native29vectorized_elementwise_kernelILi4EZZZNS0_12_GLOBAL__N_120isposinf_kernel_implERNS_18TensorIteratorBaseEENKUlvE_clEvENKUlvE0_clEvEUlfE_St5arrayIPcLm2EEEEviT0_T1_.uses_flat_scratch, 0
	.set _ZN2at6native29vectorized_elementwise_kernelILi4EZZZNS0_12_GLOBAL__N_120isposinf_kernel_implERNS_18TensorIteratorBaseEENKUlvE_clEvENKUlvE0_clEvEUlfE_St5arrayIPcLm2EEEEviT0_T1_.has_dyn_sized_stack, 0
	.set _ZN2at6native29vectorized_elementwise_kernelILi4EZZZNS0_12_GLOBAL__N_120isposinf_kernel_implERNS_18TensorIteratorBaseEENKUlvE_clEvENKUlvE0_clEvEUlfE_St5arrayIPcLm2EEEEviT0_T1_.has_recursion, 0
	.set _ZN2at6native29vectorized_elementwise_kernelILi4EZZZNS0_12_GLOBAL__N_120isposinf_kernel_implERNS_18TensorIteratorBaseEENKUlvE_clEvENKUlvE0_clEvEUlfE_St5arrayIPcLm2EEEEviT0_T1_.has_indirect_call, 0
	.section	.AMDGPU.csdata,"",@progbits
; Kernel info:
; codeLenInByte = 3148
; TotalNumSgprs: 26
; NumVgprs: 18
; ScratchSize: 0
; MemoryBound: 0
; FloatMode: 240
; IeeeMode: 1
; LDSByteSize: 0 bytes/workgroup (compile time only)
; SGPRBlocks: 0
; VGPRBlocks: 1
; NumSGPRsForWavesPerEU: 26
; NumVGPRsForWavesPerEU: 18
; NamedBarCnt: 0
; Occupancy: 16
; WaveLimiterHint : 1
; COMPUTE_PGM_RSRC2:SCRATCH_EN: 0
; COMPUTE_PGM_RSRC2:USER_SGPR: 2
; COMPUTE_PGM_RSRC2:TRAP_HANDLER: 0
; COMPUTE_PGM_RSRC2:TGID_X_EN: 1
; COMPUTE_PGM_RSRC2:TGID_Y_EN: 0
; COMPUTE_PGM_RSRC2:TGID_Z_EN: 0
; COMPUTE_PGM_RSRC2:TIDIG_COMP_CNT: 0
	.section	.text._ZN2at6native29vectorized_elementwise_kernelILi2EZZZNS0_12_GLOBAL__N_120isposinf_kernel_implERNS_18TensorIteratorBaseEENKUlvE_clEvENKUlvE0_clEvEUlfE_St5arrayIPcLm2EEEEviT0_T1_,"axG",@progbits,_ZN2at6native29vectorized_elementwise_kernelILi2EZZZNS0_12_GLOBAL__N_120isposinf_kernel_implERNS_18TensorIteratorBaseEENKUlvE_clEvENKUlvE0_clEvEUlfE_St5arrayIPcLm2EEEEviT0_T1_,comdat
	.globl	_ZN2at6native29vectorized_elementwise_kernelILi2EZZZNS0_12_GLOBAL__N_120isposinf_kernel_implERNS_18TensorIteratorBaseEENKUlvE_clEvENKUlvE0_clEvEUlfE_St5arrayIPcLm2EEEEviT0_T1_ ; -- Begin function _ZN2at6native29vectorized_elementwise_kernelILi2EZZZNS0_12_GLOBAL__N_120isposinf_kernel_implERNS_18TensorIteratorBaseEENKUlvE_clEvENKUlvE0_clEvEUlfE_St5arrayIPcLm2EEEEviT0_T1_
	.p2align	8
	.type	_ZN2at6native29vectorized_elementwise_kernelILi2EZZZNS0_12_GLOBAL__N_120isposinf_kernel_implERNS_18TensorIteratorBaseEENKUlvE_clEvENKUlvE0_clEvEUlfE_St5arrayIPcLm2EEEEviT0_T1_,@function
_ZN2at6native29vectorized_elementwise_kernelILi2EZZZNS0_12_GLOBAL__N_120isposinf_kernel_implERNS_18TensorIteratorBaseEENKUlvE_clEvENKUlvE0_clEvEUlfE_St5arrayIPcLm2EEEEviT0_T1_: ; @_ZN2at6native29vectorized_elementwise_kernelILi2EZZZNS0_12_GLOBAL__N_120isposinf_kernel_implERNS_18TensorIteratorBaseEENKUlvE_clEvENKUlvE0_clEvEUlfE_St5arrayIPcLm2EEEEviT0_T1_
; %bb.0:
	s_clause 0x1
	s_load_b32 s3, s[0:1], 0x0
	s_load_b128 s[4:7], s[0:1], 0x8
	s_wait_xcnt 0x0
	s_bfe_u32 s0, ttmp6, 0x4000c
	s_and_b32 s1, ttmp6, 15
	s_add_co_i32 s0, s0, 1
	s_getreg_b32 s2, hwreg(HW_REG_IB_STS2, 6, 4)
	s_mul_i32 s0, ttmp9, s0
	s_delay_alu instid0(SALU_CYCLE_1) | instskip(SKIP_2) | instid1(SALU_CYCLE_1)
	s_add_co_i32 s1, s1, s0
	s_cmp_eq_u32 s2, 0
	s_cselect_b32 s0, ttmp9, s1
	s_lshl_b32 s2, s0, 12
	s_mov_b32 s0, -1
	s_wait_kmcnt 0x0
	s_sub_co_i32 s1, s3, s2
	s_delay_alu instid0(SALU_CYCLE_1)
	s_cmp_gt_i32 s1, 0xfff
	s_cbranch_scc0 .LBB43_2
; %bb.1:
	s_ashr_i32 s3, s2, 31
	s_mov_b32 s0, 0
	s_lshl_b64 s[8:9], s[2:3], 2
	s_delay_alu instid0(SALU_CYCLE_1)
	s_add_nc_u64 s[8:9], s[6:7], s[8:9]
	s_clause 0x7
	global_load_b64 v[2:3], v0, s[8:9] scale_offset
	global_load_b64 v[4:5], v0, s[8:9] offset:2048 scale_offset
	global_load_b64 v[6:7], v0, s[8:9] offset:4096 scale_offset
	;; [unrolled: 1-line block ×7, first 2 shown]
	s_wait_xcnt 0x0
	s_add_nc_u64 s[8:9], s[4:5], s[2:3]
	s_wait_loadcnt 0x7
	v_cmp_eq_f32_e32 vcc_lo, 0x7f800000, v2
	v_cndmask_b32_e64 v1, 0, 1, vcc_lo
	v_cmp_eq_f32_e32 vcc_lo, 0x7f800000, v3
	v_cndmask_b32_e64 v2, 0, 0x100, vcc_lo
	s_wait_loadcnt 0x6
	v_cmp_eq_f32_e32 vcc_lo, 0x7f800000, v4
	s_delay_alu instid0(VALU_DEP_2)
	v_or_b32_e32 v1, v2, v1
	v_cndmask_b32_e64 v3, 0, 1, vcc_lo
	v_cmp_eq_f32_e32 vcc_lo, 0x7f800000, v5
	v_cndmask_b32_e64 v4, 0, 0x100, vcc_lo
	s_wait_loadcnt 0x5
	v_cmp_eq_f32_e32 vcc_lo, 0x7f800000, v6
	s_delay_alu instid0(VALU_DEP_2)
	v_or_b32_e32 v2, v4, v3
	;; [unrolled: 7-line block ×6, first 2 shown]
	v_cndmask_b32_e64 v13, 0, 1, vcc_lo
	v_cmp_eq_f32_e32 vcc_lo, 0x7f800000, v15
	v_cndmask_b32_e64 v14, 0, 0x100, vcc_lo
	s_wait_loadcnt 0x0
	v_cmp_eq_f32_e32 vcc_lo, 0x7f800000, v16
	s_delay_alu instid0(VALU_DEP_2) | instskip(SKIP_3) | instid1(VALU_DEP_1)
	v_or_b32_e32 v7, v14, v13
	v_cndmask_b32_e64 v15, 0, 1, vcc_lo
	v_cmp_eq_f32_e32 vcc_lo, 0x7f800000, v17
	v_cndmask_b32_e64 v16, 0, 0x100, vcc_lo
	v_or_b32_e32 v8, v16, v15
	s_clause 0x7
	global_store_b16 v0, v1, s[8:9] scale_offset
	global_store_b16 v0, v2, s[8:9] offset:512 scale_offset
	global_store_b16 v0, v3, s[8:9] offset:1024 scale_offset
	global_store_b16 v0, v4, s[8:9] offset:1536 scale_offset
	global_store_b16 v0, v5, s[8:9] offset:2048 scale_offset
	global_store_b16 v0, v6, s[8:9] offset:2560 scale_offset
	global_store_b16 v0, v7, s[8:9] offset:3072 scale_offset
	global_store_b16 v0, v8, s[8:9] offset:3584 scale_offset
.LBB43_2:
	s_and_not1_b32 vcc_lo, exec_lo, s0
	s_cbranch_vccnz .LBB43_50
; %bb.3:
	v_cmp_gt_i32_e32 vcc_lo, s1, v0
	s_wait_xcnt 0x5
	v_dual_mov_b32 v3, v0 :: v_dual_bitop2_b32 v1, s2, v0 bitop3:0x54
	v_or_b32_e32 v2, 0x100, v0
	s_mov_b32 s3, 0
	s_wait_xcnt 0x0
	s_mov_b32 s9, 0
	s_and_saveexec_b32 s8, vcc_lo
	s_cbranch_execz .LBB43_5
; %bb.4:
	global_load_b32 v3, v1, s[6:7] scale_offset
	s_wait_loadcnt 0x0
	v_cmp_eq_f32_e64 s0, 0x7f800000, v3
	v_or_b32_e32 v3, 0x100, v0
	s_and_b32 s9, s0, exec_lo
.LBB43_5:
	s_wait_xcnt 0x0
	s_or_b32 exec_lo, exec_lo, s8
	s_delay_alu instid0(SALU_CYCLE_1)
	s_mov_b32 s8, exec_lo
	v_cmpx_gt_i32_e64 s1, v3
	s_cbranch_execz .LBB43_7
; %bb.6:
	v_add_nc_u32_e32 v4, s2, v3
	v_add_nc_u32_e32 v3, 0x100, v3
	global_load_b32 v4, v4, s[6:7] scale_offset
	s_wait_loadcnt 0x0
	v_cmp_eq_f32_e64 s0, 0x7f800000, v4
	s_and_b32 s3, s0, exec_lo
.LBB43_7:
	s_wait_xcnt 0x0
	s_or_b32 exec_lo, exec_lo, s8
	s_mov_b32 s8, 0
	s_mov_b32 s11, 0
	s_mov_b32 s10, exec_lo
	v_cmpx_gt_i32_e64 s1, v3
	s_cbranch_execz .LBB43_9
; %bb.8:
	v_add_nc_u32_e32 v4, s2, v3
	v_add_nc_u32_e32 v3, 0x100, v3
	global_load_b32 v4, v4, s[6:7] scale_offset
	s_wait_loadcnt 0x0
	v_cmp_eq_f32_e64 s0, 0x7f800000, v4
	s_and_b32 s11, s0, exec_lo
.LBB43_9:
	s_wait_xcnt 0x0
	s_or_b32 exec_lo, exec_lo, s10
	s_delay_alu instid0(SALU_CYCLE_1)
	s_mov_b32 s10, exec_lo
	v_cmpx_gt_i32_e64 s1, v3
	s_cbranch_execz .LBB43_11
; %bb.10:
	v_add_nc_u32_e32 v4, s2, v3
	v_add_nc_u32_e32 v3, 0x100, v3
	global_load_b32 v4, v4, s[6:7] scale_offset
	s_wait_loadcnt 0x0
	v_cmp_eq_f32_e64 s0, 0x7f800000, v4
	s_and_b32 s8, s0, exec_lo
.LBB43_11:
	s_wait_xcnt 0x0
	s_or_b32 exec_lo, exec_lo, s10
	s_mov_b32 s10, 0
	s_mov_b32 s13, 0
	s_mov_b32 s12, exec_lo
	v_cmpx_gt_i32_e64 s1, v3
	s_cbranch_execz .LBB43_13
; %bb.12:
	v_add_nc_u32_e32 v4, s2, v3
	v_add_nc_u32_e32 v3, 0x100, v3
	global_load_b32 v4, v4, s[6:7] scale_offset
	s_wait_loadcnt 0x0
	v_cmp_eq_f32_e64 s0, 0x7f800000, v4
	s_and_b32 s13, s0, exec_lo
.LBB43_13:
	;; [unrolled: 29-line block ×6, first 2 shown]
	s_wait_xcnt 0x0
	s_or_b32 exec_lo, exec_lo, s20
	s_delay_alu instid0(SALU_CYCLE_1)
	s_mov_b32 s20, exec_lo
	v_cmpx_gt_i32_e64 s1, v3
	s_cbranch_execz .LBB43_31
; %bb.30:
	v_add_nc_u32_e32 v4, s2, v3
	v_add_nc_u32_e32 v3, 0x100, v3
	global_load_b32 v4, v4, s[6:7] scale_offset
	s_wait_loadcnt 0x0
	v_cmp_eq_f32_e64 s0, 0x7f800000, v4
	s_and_b32 s18, s0, exec_lo
.LBB43_31:
	s_wait_xcnt 0x0
	s_or_b32 exec_lo, exec_lo, s20
	s_mov_b32 s20, 0
	s_mov_b32 s22, 0
	s_mov_b32 s23, exec_lo
	v_cmpx_gt_i32_e64 s1, v3
	s_cbranch_execnz .LBB43_51
; %bb.32:
	s_or_b32 exec_lo, exec_lo, s23
	s_delay_alu instid0(SALU_CYCLE_1)
	s_mov_b32 s23, exec_lo
	v_cmpx_gt_i32_e64 s1, v3
	s_cbranch_execnz .LBB43_52
.LBB43_33:
	s_or_b32 exec_lo, exec_lo, s23
	s_and_saveexec_b32 s0, vcc_lo
	s_cbranch_execnz .LBB43_53
.LBB43_34:
	s_or_b32 exec_lo, exec_lo, s0
	s_delay_alu instid0(SALU_CYCLE_1)
	s_mov_b32 s0, exec_lo
	v_cmpx_gt_i32_e64 s1, v0
	s_cbranch_execnz .LBB43_54
.LBB43_35:
	s_or_b32 exec_lo, exec_lo, s0
	s_delay_alu instid0(SALU_CYCLE_1)
	s_mov_b32 s0, exec_lo
	v_cmpx_gt_i32_e64 s1, v0
	s_cbranch_execnz .LBB43_55
.LBB43_36:
	s_or_b32 exec_lo, exec_lo, s0
	s_delay_alu instid0(SALU_CYCLE_1)
	s_mov_b32 s0, exec_lo
	v_cmpx_gt_i32_e64 s1, v0
	s_cbranch_execnz .LBB43_56
.LBB43_37:
	s_or_b32 exec_lo, exec_lo, s0
	s_delay_alu instid0(SALU_CYCLE_1)
	s_mov_b32 s0, exec_lo
	v_cmpx_gt_i32_e64 s1, v0
	s_cbranch_execnz .LBB43_57
.LBB43_38:
	s_or_b32 exec_lo, exec_lo, s0
	s_delay_alu instid0(SALU_CYCLE_1)
	s_mov_b32 s0, exec_lo
	v_cmpx_gt_i32_e64 s1, v0
	s_cbranch_execnz .LBB43_58
.LBB43_39:
	s_or_b32 exec_lo, exec_lo, s0
	s_delay_alu instid0(SALU_CYCLE_1)
	s_mov_b32 s0, exec_lo
	v_cmpx_gt_i32_e64 s1, v0
	s_cbranch_execnz .LBB43_59
.LBB43_40:
	s_or_b32 exec_lo, exec_lo, s0
	s_delay_alu instid0(SALU_CYCLE_1)
	s_mov_b32 s0, exec_lo
	v_cmpx_gt_i32_e64 s1, v0
	s_cbranch_execnz .LBB43_60
.LBB43_41:
	s_or_b32 exec_lo, exec_lo, s0
	s_delay_alu instid0(SALU_CYCLE_1)
	s_mov_b32 s0, exec_lo
	v_cmpx_gt_i32_e64 s1, v0
	s_cbranch_execnz .LBB43_61
.LBB43_42:
	s_or_b32 exec_lo, exec_lo, s0
	s_delay_alu instid0(SALU_CYCLE_1)
	s_mov_b32 s0, exec_lo
	v_cmpx_gt_i32_e64 s1, v0
	s_cbranch_execnz .LBB43_62
.LBB43_43:
	s_or_b32 exec_lo, exec_lo, s0
	s_delay_alu instid0(SALU_CYCLE_1)
	s_mov_b32 s0, exec_lo
	v_cmpx_gt_i32_e64 s1, v0
	s_cbranch_execnz .LBB43_63
.LBB43_44:
	s_or_b32 exec_lo, exec_lo, s0
	s_delay_alu instid0(SALU_CYCLE_1)
	s_mov_b32 s0, exec_lo
	v_cmpx_gt_i32_e64 s1, v0
	s_cbranch_execnz .LBB43_64
.LBB43_45:
	s_or_b32 exec_lo, exec_lo, s0
	s_delay_alu instid0(SALU_CYCLE_1)
	s_mov_b32 s0, exec_lo
	v_cmpx_gt_i32_e64 s1, v0
	s_cbranch_execnz .LBB43_65
.LBB43_46:
	s_or_b32 exec_lo, exec_lo, s0
	s_delay_alu instid0(SALU_CYCLE_1)
	s_mov_b32 s0, exec_lo
	v_cmpx_gt_i32_e64 s1, v0
	s_cbranch_execnz .LBB43_66
.LBB43_47:
	s_or_b32 exec_lo, exec_lo, s0
	s_delay_alu instid0(SALU_CYCLE_1)
	s_mov_b32 s0, exec_lo
	v_cmpx_gt_i32_e64 s1, v0
	s_cbranch_execnz .LBB43_67
.LBB43_48:
	s_or_b32 exec_lo, exec_lo, s0
	s_delay_alu instid0(SALU_CYCLE_1)
	s_mov_b32 s0, exec_lo
	v_cmpx_gt_i32_e64 s1, v0
	s_cbranch_execz .LBB43_50
.LBB43_49:
	v_cndmask_b32_e64 v1, 0, 1, s20
	v_add_nc_u32_e32 v0, s2, v0
	global_store_b8 v0, v1, s[4:5]
.LBB43_50:
	s_endpgm
.LBB43_51:
	v_add_nc_u32_e32 v4, s2, v3
	v_add_nc_u32_e32 v3, 0x100, v3
	global_load_b32 v4, v4, s[6:7] scale_offset
	s_wait_loadcnt 0x0
	v_cmp_eq_f32_e64 s0, 0x7f800000, v4
	s_and_b32 s22, s0, exec_lo
	s_wait_xcnt 0x0
	s_or_b32 exec_lo, exec_lo, s23
	s_delay_alu instid0(SALU_CYCLE_1)
	s_mov_b32 s23, exec_lo
	v_cmpx_gt_i32_e64 s1, v3
	s_cbranch_execz .LBB43_33
.LBB43_52:
	v_add_nc_u32_e32 v3, s2, v3
	global_load_b32 v3, v3, s[6:7] scale_offset
	s_wait_loadcnt 0x0
	v_cmp_eq_f32_e64 s0, 0x7f800000, v3
	s_and_b32 s20, s0, exec_lo
	s_wait_xcnt 0x0
	s_or_b32 exec_lo, exec_lo, s23
	s_and_saveexec_b32 s0, vcc_lo
	s_cbranch_execz .LBB43_34
.LBB43_53:
	v_cndmask_b32_e64 v3, 0, 1, s9
	v_mov_b32_e32 v0, v2
	global_store_b8 v1, v3, s[4:5]
	s_wait_xcnt 0x0
	s_or_b32 exec_lo, exec_lo, s0
	s_delay_alu instid0(SALU_CYCLE_1)
	s_mov_b32 s0, exec_lo
	v_cmpx_gt_i32_e64 s1, v0
	s_cbranch_execz .LBB43_35
.LBB43_54:
	v_cndmask_b32_e64 v1, 0, 1, s3
	v_add_nc_u32_e32 v2, s2, v0
	v_add_nc_u32_e32 v0, 0x100, v0
	global_store_b8 v2, v1, s[4:5]
	s_wait_xcnt 0x0
	s_or_b32 exec_lo, exec_lo, s0
	s_delay_alu instid0(SALU_CYCLE_1)
	s_mov_b32 s0, exec_lo
	v_cmpx_gt_i32_e64 s1, v0
	s_cbranch_execz .LBB43_36
.LBB43_55:
	v_cndmask_b32_e64 v1, 0, 1, s11
	v_add_nc_u32_e32 v2, s2, v0
	v_add_nc_u32_e32 v0, 0x100, v0
	global_store_b8 v2, v1, s[4:5]
	s_wait_xcnt 0x0
	s_or_b32 exec_lo, exec_lo, s0
	s_delay_alu instid0(SALU_CYCLE_1)
	s_mov_b32 s0, exec_lo
	v_cmpx_gt_i32_e64 s1, v0
	s_cbranch_execz .LBB43_37
.LBB43_56:
	v_cndmask_b32_e64 v1, 0, 1, s8
	v_add_nc_u32_e32 v2, s2, v0
	v_add_nc_u32_e32 v0, 0x100, v0
	global_store_b8 v2, v1, s[4:5]
	s_wait_xcnt 0x0
	s_or_b32 exec_lo, exec_lo, s0
	s_delay_alu instid0(SALU_CYCLE_1)
	s_mov_b32 s0, exec_lo
	v_cmpx_gt_i32_e64 s1, v0
	s_cbranch_execz .LBB43_38
.LBB43_57:
	v_cndmask_b32_e64 v1, 0, 1, s13
	v_add_nc_u32_e32 v2, s2, v0
	v_add_nc_u32_e32 v0, 0x100, v0
	global_store_b8 v2, v1, s[4:5]
	s_wait_xcnt 0x0
	s_or_b32 exec_lo, exec_lo, s0
	s_delay_alu instid0(SALU_CYCLE_1)
	s_mov_b32 s0, exec_lo
	v_cmpx_gt_i32_e64 s1, v0
	s_cbranch_execz .LBB43_39
.LBB43_58:
	v_cndmask_b32_e64 v1, 0, 1, s10
	v_add_nc_u32_e32 v2, s2, v0
	v_add_nc_u32_e32 v0, 0x100, v0
	global_store_b8 v2, v1, s[4:5]
	s_wait_xcnt 0x0
	s_or_b32 exec_lo, exec_lo, s0
	s_delay_alu instid0(SALU_CYCLE_1)
	s_mov_b32 s0, exec_lo
	v_cmpx_gt_i32_e64 s1, v0
	s_cbranch_execz .LBB43_40
.LBB43_59:
	v_cndmask_b32_e64 v1, 0, 1, s15
	v_add_nc_u32_e32 v2, s2, v0
	v_add_nc_u32_e32 v0, 0x100, v0
	global_store_b8 v2, v1, s[4:5]
	s_wait_xcnt 0x0
	s_or_b32 exec_lo, exec_lo, s0
	s_delay_alu instid0(SALU_CYCLE_1)
	s_mov_b32 s0, exec_lo
	v_cmpx_gt_i32_e64 s1, v0
	s_cbranch_execz .LBB43_41
.LBB43_60:
	v_cndmask_b32_e64 v1, 0, 1, s12
	v_add_nc_u32_e32 v2, s2, v0
	v_add_nc_u32_e32 v0, 0x100, v0
	global_store_b8 v2, v1, s[4:5]
	s_wait_xcnt 0x0
	s_or_b32 exec_lo, exec_lo, s0
	s_delay_alu instid0(SALU_CYCLE_1)
	s_mov_b32 s0, exec_lo
	v_cmpx_gt_i32_e64 s1, v0
	s_cbranch_execz .LBB43_42
.LBB43_61:
	v_cndmask_b32_e64 v1, 0, 1, s17
	v_add_nc_u32_e32 v2, s2, v0
	v_add_nc_u32_e32 v0, 0x100, v0
	global_store_b8 v2, v1, s[4:5]
	s_wait_xcnt 0x0
	s_or_b32 exec_lo, exec_lo, s0
	s_delay_alu instid0(SALU_CYCLE_1)
	s_mov_b32 s0, exec_lo
	v_cmpx_gt_i32_e64 s1, v0
	s_cbranch_execz .LBB43_43
.LBB43_62:
	v_cndmask_b32_e64 v1, 0, 1, s14
	v_add_nc_u32_e32 v2, s2, v0
	v_add_nc_u32_e32 v0, 0x100, v0
	global_store_b8 v2, v1, s[4:5]
	s_wait_xcnt 0x0
	s_or_b32 exec_lo, exec_lo, s0
	s_delay_alu instid0(SALU_CYCLE_1)
	s_mov_b32 s0, exec_lo
	v_cmpx_gt_i32_e64 s1, v0
	s_cbranch_execz .LBB43_44
.LBB43_63:
	v_cndmask_b32_e64 v1, 0, 1, s19
	v_add_nc_u32_e32 v2, s2, v0
	v_add_nc_u32_e32 v0, 0x100, v0
	global_store_b8 v2, v1, s[4:5]
	s_wait_xcnt 0x0
	s_or_b32 exec_lo, exec_lo, s0
	s_delay_alu instid0(SALU_CYCLE_1)
	s_mov_b32 s0, exec_lo
	v_cmpx_gt_i32_e64 s1, v0
	s_cbranch_execz .LBB43_45
.LBB43_64:
	v_cndmask_b32_e64 v1, 0, 1, s16
	v_add_nc_u32_e32 v2, s2, v0
	v_add_nc_u32_e32 v0, 0x100, v0
	global_store_b8 v2, v1, s[4:5]
	s_wait_xcnt 0x0
	s_or_b32 exec_lo, exec_lo, s0
	s_delay_alu instid0(SALU_CYCLE_1)
	s_mov_b32 s0, exec_lo
	v_cmpx_gt_i32_e64 s1, v0
	s_cbranch_execz .LBB43_46
.LBB43_65:
	v_cndmask_b32_e64 v1, 0, 1, s21
	v_add_nc_u32_e32 v2, s2, v0
	v_add_nc_u32_e32 v0, 0x100, v0
	global_store_b8 v2, v1, s[4:5]
	s_wait_xcnt 0x0
	s_or_b32 exec_lo, exec_lo, s0
	s_delay_alu instid0(SALU_CYCLE_1)
	s_mov_b32 s0, exec_lo
	v_cmpx_gt_i32_e64 s1, v0
	s_cbranch_execz .LBB43_47
.LBB43_66:
	v_cndmask_b32_e64 v1, 0, 1, s18
	v_add_nc_u32_e32 v2, s2, v0
	v_add_nc_u32_e32 v0, 0x100, v0
	global_store_b8 v2, v1, s[4:5]
	s_wait_xcnt 0x0
	s_or_b32 exec_lo, exec_lo, s0
	s_delay_alu instid0(SALU_CYCLE_1)
	s_mov_b32 s0, exec_lo
	v_cmpx_gt_i32_e64 s1, v0
	s_cbranch_execz .LBB43_48
.LBB43_67:
	v_cndmask_b32_e64 v1, 0, 1, s22
	v_add_nc_u32_e32 v2, s2, v0
	v_add_nc_u32_e32 v0, 0x100, v0
	global_store_b8 v2, v1, s[4:5]
	s_wait_xcnt 0x0
	s_or_b32 exec_lo, exec_lo, s0
	s_delay_alu instid0(SALU_CYCLE_1)
	s_mov_b32 s0, exec_lo
	v_cmpx_gt_i32_e64 s1, v0
	s_cbranch_execnz .LBB43_49
	s_branch .LBB43_50
	.section	.rodata,"a",@progbits
	.p2align	6, 0x0
	.amdhsa_kernel _ZN2at6native29vectorized_elementwise_kernelILi2EZZZNS0_12_GLOBAL__N_120isposinf_kernel_implERNS_18TensorIteratorBaseEENKUlvE_clEvENKUlvE0_clEvEUlfE_St5arrayIPcLm2EEEEviT0_T1_
		.amdhsa_group_segment_fixed_size 0
		.amdhsa_private_segment_fixed_size 0
		.amdhsa_kernarg_size 24
		.amdhsa_user_sgpr_count 2
		.amdhsa_user_sgpr_dispatch_ptr 0
		.amdhsa_user_sgpr_queue_ptr 0
		.amdhsa_user_sgpr_kernarg_segment_ptr 1
		.amdhsa_user_sgpr_dispatch_id 0
		.amdhsa_user_sgpr_kernarg_preload_length 0
		.amdhsa_user_sgpr_kernarg_preload_offset 0
		.amdhsa_user_sgpr_private_segment_size 0
		.amdhsa_wavefront_size32 1
		.amdhsa_uses_dynamic_stack 0
		.amdhsa_enable_private_segment 0
		.amdhsa_system_sgpr_workgroup_id_x 1
		.amdhsa_system_sgpr_workgroup_id_y 0
		.amdhsa_system_sgpr_workgroup_id_z 0
		.amdhsa_system_sgpr_workgroup_info 0
		.amdhsa_system_vgpr_workitem_id 0
		.amdhsa_next_free_vgpr 18
		.amdhsa_next_free_sgpr 24
		.amdhsa_named_barrier_count 0
		.amdhsa_reserve_vcc 1
		.amdhsa_float_round_mode_32 0
		.amdhsa_float_round_mode_16_64 0
		.amdhsa_float_denorm_mode_32 3
		.amdhsa_float_denorm_mode_16_64 3
		.amdhsa_fp16_overflow 0
		.amdhsa_memory_ordered 1
		.amdhsa_forward_progress 1
		.amdhsa_inst_pref_size 26
		.amdhsa_round_robin_scheduling 0
		.amdhsa_exception_fp_ieee_invalid_op 0
		.amdhsa_exception_fp_denorm_src 0
		.amdhsa_exception_fp_ieee_div_zero 0
		.amdhsa_exception_fp_ieee_overflow 0
		.amdhsa_exception_fp_ieee_underflow 0
		.amdhsa_exception_fp_ieee_inexact 0
		.amdhsa_exception_int_div_zero 0
	.end_amdhsa_kernel
	.section	.text._ZN2at6native29vectorized_elementwise_kernelILi2EZZZNS0_12_GLOBAL__N_120isposinf_kernel_implERNS_18TensorIteratorBaseEENKUlvE_clEvENKUlvE0_clEvEUlfE_St5arrayIPcLm2EEEEviT0_T1_,"axG",@progbits,_ZN2at6native29vectorized_elementwise_kernelILi2EZZZNS0_12_GLOBAL__N_120isposinf_kernel_implERNS_18TensorIteratorBaseEENKUlvE_clEvENKUlvE0_clEvEUlfE_St5arrayIPcLm2EEEEviT0_T1_,comdat
.Lfunc_end43:
	.size	_ZN2at6native29vectorized_elementwise_kernelILi2EZZZNS0_12_GLOBAL__N_120isposinf_kernel_implERNS_18TensorIteratorBaseEENKUlvE_clEvENKUlvE0_clEvEUlfE_St5arrayIPcLm2EEEEviT0_T1_, .Lfunc_end43-_ZN2at6native29vectorized_elementwise_kernelILi2EZZZNS0_12_GLOBAL__N_120isposinf_kernel_implERNS_18TensorIteratorBaseEENKUlvE_clEvENKUlvE0_clEvEUlfE_St5arrayIPcLm2EEEEviT0_T1_
                                        ; -- End function
	.set _ZN2at6native29vectorized_elementwise_kernelILi2EZZZNS0_12_GLOBAL__N_120isposinf_kernel_implERNS_18TensorIteratorBaseEENKUlvE_clEvENKUlvE0_clEvEUlfE_St5arrayIPcLm2EEEEviT0_T1_.num_vgpr, 18
	.set _ZN2at6native29vectorized_elementwise_kernelILi2EZZZNS0_12_GLOBAL__N_120isposinf_kernel_implERNS_18TensorIteratorBaseEENKUlvE_clEvENKUlvE0_clEvEUlfE_St5arrayIPcLm2EEEEviT0_T1_.num_agpr, 0
	.set _ZN2at6native29vectorized_elementwise_kernelILi2EZZZNS0_12_GLOBAL__N_120isposinf_kernel_implERNS_18TensorIteratorBaseEENKUlvE_clEvENKUlvE0_clEvEUlfE_St5arrayIPcLm2EEEEviT0_T1_.numbered_sgpr, 24
	.set _ZN2at6native29vectorized_elementwise_kernelILi2EZZZNS0_12_GLOBAL__N_120isposinf_kernel_implERNS_18TensorIteratorBaseEENKUlvE_clEvENKUlvE0_clEvEUlfE_St5arrayIPcLm2EEEEviT0_T1_.num_named_barrier, 0
	.set _ZN2at6native29vectorized_elementwise_kernelILi2EZZZNS0_12_GLOBAL__N_120isposinf_kernel_implERNS_18TensorIteratorBaseEENKUlvE_clEvENKUlvE0_clEvEUlfE_St5arrayIPcLm2EEEEviT0_T1_.private_seg_size, 0
	.set _ZN2at6native29vectorized_elementwise_kernelILi2EZZZNS0_12_GLOBAL__N_120isposinf_kernel_implERNS_18TensorIteratorBaseEENKUlvE_clEvENKUlvE0_clEvEUlfE_St5arrayIPcLm2EEEEviT0_T1_.uses_vcc, 1
	.set _ZN2at6native29vectorized_elementwise_kernelILi2EZZZNS0_12_GLOBAL__N_120isposinf_kernel_implERNS_18TensorIteratorBaseEENKUlvE_clEvENKUlvE0_clEvEUlfE_St5arrayIPcLm2EEEEviT0_T1_.uses_flat_scratch, 0
	.set _ZN2at6native29vectorized_elementwise_kernelILi2EZZZNS0_12_GLOBAL__N_120isposinf_kernel_implERNS_18TensorIteratorBaseEENKUlvE_clEvENKUlvE0_clEvEUlfE_St5arrayIPcLm2EEEEviT0_T1_.has_dyn_sized_stack, 0
	.set _ZN2at6native29vectorized_elementwise_kernelILi2EZZZNS0_12_GLOBAL__N_120isposinf_kernel_implERNS_18TensorIteratorBaseEENKUlvE_clEvENKUlvE0_clEvEUlfE_St5arrayIPcLm2EEEEviT0_T1_.has_recursion, 0
	.set _ZN2at6native29vectorized_elementwise_kernelILi2EZZZNS0_12_GLOBAL__N_120isposinf_kernel_implERNS_18TensorIteratorBaseEENKUlvE_clEvENKUlvE0_clEvEUlfE_St5arrayIPcLm2EEEEviT0_T1_.has_indirect_call, 0
	.section	.AMDGPU.csdata,"",@progbits
; Kernel info:
; codeLenInByte = 3236
; TotalNumSgprs: 26
; NumVgprs: 18
; ScratchSize: 0
; MemoryBound: 0
; FloatMode: 240
; IeeeMode: 1
; LDSByteSize: 0 bytes/workgroup (compile time only)
; SGPRBlocks: 0
; VGPRBlocks: 1
; NumSGPRsForWavesPerEU: 26
; NumVGPRsForWavesPerEU: 18
; NamedBarCnt: 0
; Occupancy: 16
; WaveLimiterHint : 1
; COMPUTE_PGM_RSRC2:SCRATCH_EN: 0
; COMPUTE_PGM_RSRC2:USER_SGPR: 2
; COMPUTE_PGM_RSRC2:TRAP_HANDLER: 0
; COMPUTE_PGM_RSRC2:TGID_X_EN: 1
; COMPUTE_PGM_RSRC2:TGID_Y_EN: 0
; COMPUTE_PGM_RSRC2:TGID_Z_EN: 0
; COMPUTE_PGM_RSRC2:TIDIG_COMP_CNT: 0
	.section	.text._ZN2at6native27unrolled_elementwise_kernelIZZZNS0_12_GLOBAL__N_120isposinf_kernel_implERNS_18TensorIteratorBaseEENKUlvE_clEvENKUlvE0_clEvEUlfE_St5arrayIPcLm2EELi4E23TrivialOffsetCalculatorILi1EjESC_NS0_6memory15LoadWithoutCastENSD_16StoreWithoutCastEEEviT_T0_T2_T3_T4_T5_,"axG",@progbits,_ZN2at6native27unrolled_elementwise_kernelIZZZNS0_12_GLOBAL__N_120isposinf_kernel_implERNS_18TensorIteratorBaseEENKUlvE_clEvENKUlvE0_clEvEUlfE_St5arrayIPcLm2EELi4E23TrivialOffsetCalculatorILi1EjESC_NS0_6memory15LoadWithoutCastENSD_16StoreWithoutCastEEEviT_T0_T2_T3_T4_T5_,comdat
	.globl	_ZN2at6native27unrolled_elementwise_kernelIZZZNS0_12_GLOBAL__N_120isposinf_kernel_implERNS_18TensorIteratorBaseEENKUlvE_clEvENKUlvE0_clEvEUlfE_St5arrayIPcLm2EELi4E23TrivialOffsetCalculatorILi1EjESC_NS0_6memory15LoadWithoutCastENSD_16StoreWithoutCastEEEviT_T0_T2_T3_T4_T5_ ; -- Begin function _ZN2at6native27unrolled_elementwise_kernelIZZZNS0_12_GLOBAL__N_120isposinf_kernel_implERNS_18TensorIteratorBaseEENKUlvE_clEvENKUlvE0_clEvEUlfE_St5arrayIPcLm2EELi4E23TrivialOffsetCalculatorILi1EjESC_NS0_6memory15LoadWithoutCastENSD_16StoreWithoutCastEEEviT_T0_T2_T3_T4_T5_
	.p2align	8
	.type	_ZN2at6native27unrolled_elementwise_kernelIZZZNS0_12_GLOBAL__N_120isposinf_kernel_implERNS_18TensorIteratorBaseEENKUlvE_clEvENKUlvE0_clEvEUlfE_St5arrayIPcLm2EELi4E23TrivialOffsetCalculatorILi1EjESC_NS0_6memory15LoadWithoutCastENSD_16StoreWithoutCastEEEviT_T0_T2_T3_T4_T5_,@function
_ZN2at6native27unrolled_elementwise_kernelIZZZNS0_12_GLOBAL__N_120isposinf_kernel_implERNS_18TensorIteratorBaseEENKUlvE_clEvENKUlvE0_clEvEUlfE_St5arrayIPcLm2EELi4E23TrivialOffsetCalculatorILi1EjESC_NS0_6memory15LoadWithoutCastENSD_16StoreWithoutCastEEEviT_T0_T2_T3_T4_T5_: ; @_ZN2at6native27unrolled_elementwise_kernelIZZZNS0_12_GLOBAL__N_120isposinf_kernel_implERNS_18TensorIteratorBaseEENKUlvE_clEvENKUlvE0_clEvEUlfE_St5arrayIPcLm2EELi4E23TrivialOffsetCalculatorILi1EjESC_NS0_6memory15LoadWithoutCastENSD_16StoreWithoutCastEEEviT_T0_T2_T3_T4_T5_
; %bb.0:
	s_clause 0x1
	s_load_b32 s2, s[0:1], 0x0
	s_load_b128 s[4:7], s[0:1], 0x8
	s_bfe_u32 s3, ttmp6, 0x4000c
	s_wait_xcnt 0x0
	s_and_b32 s0, ttmp6, 15
	s_add_co_i32 s3, s3, 1
	v_or_b32_e32 v1, 0x100, v0
	s_mul_i32 s1, ttmp9, s3
	s_getreg_b32 s3, hwreg(HW_REG_IB_STS2, 6, 4)
	s_add_co_i32 s0, s0, s1
	s_cmp_eq_u32 s3, 0
	s_mov_b32 s8, 0
	s_cselect_b32 s0, ttmp9, s0
	s_mov_b32 s3, 0
	s_lshl_b32 s1, s0, 10
	s_delay_alu instid0(SALU_CYCLE_1) | instskip(SKIP_2) | instid1(SALU_CYCLE_1)
	v_dual_mov_b32 v3, v0 :: v_dual_bitop2_b32 v2, s1, v0 bitop3:0x54
	s_wait_kmcnt 0x0
	s_sub_co_i32 s2, s2, s1
	v_cmp_gt_i32_e32 vcc_lo, s2, v0
	s_and_saveexec_b32 s9, vcc_lo
	s_cbranch_execz .LBB44_2
; %bb.1:
	global_load_b32 v3, v2, s[6:7] scale_offset
	s_wait_loadcnt 0x0
	v_cmp_eq_f32_e64 s0, 0x7f800000, v3
	v_or_b32_e32 v3, 0x100, v0
	s_and_b32 s3, s0, exec_lo
.LBB44_2:
	s_or_b32 exec_lo, exec_lo, s9
	s_delay_alu instid0(SALU_CYCLE_1) | instskip(NEXT) | instid1(VALU_DEP_1)
	s_mov_b32 s9, exec_lo
	v_cmpx_gt_i32_e64 s2, v3
	s_cbranch_execz .LBB44_4
; %bb.3:
	v_add_nc_u32_e32 v4, s1, v3
	v_add_nc_u32_e32 v3, 0x100, v3
	global_load_b32 v4, v4, s[6:7] scale_offset
	s_wait_loadcnt 0x0
	v_cmp_eq_f32_e64 s0, 0x7f800000, v4
	s_and_b32 s8, s0, exec_lo
.LBB44_4:
	s_or_b32 exec_lo, exec_lo, s9
	s_mov_b32 s9, 0
	s_mov_b32 s10, 0
	s_mov_b32 s11, exec_lo
	v_cmpx_gt_i32_e64 s2, v3
	s_cbranch_execz .LBB44_6
; %bb.5:
	v_add_nc_u32_e32 v4, s1, v3
	v_add_nc_u32_e32 v3, 0x100, v3
	global_load_b32 v4, v4, s[6:7] scale_offset
	s_wait_loadcnt 0x0
	v_cmp_eq_f32_e64 s0, 0x7f800000, v4
	s_and_b32 s10, s0, exec_lo
.LBB44_6:
	s_or_b32 exec_lo, exec_lo, s11
	s_delay_alu instid0(SALU_CYCLE_1)
	s_mov_b32 s11, exec_lo
	v_cmpx_gt_i32_e64 s2, v3
	s_cbranch_execz .LBB44_8
; %bb.7:
	v_add_nc_u32_e32 v3, s1, v3
	global_load_b32 v3, v3, s[6:7] scale_offset
	s_wait_loadcnt 0x0
	v_cmp_eq_f32_e64 s0, 0x7f800000, v3
	s_and_b32 s9, s0, exec_lo
.LBB44_8:
	s_or_b32 exec_lo, exec_lo, s11
	v_cndmask_b32_e64 v3, 0, 1, s3
	v_cndmask_b32_e64 v4, 0, 1, s8
	;; [unrolled: 1-line block ×3, first 2 shown]
	v_cmp_gt_i32_e64 s0, s2, v1
	s_delay_alu instid0(VALU_DEP_4) | instskip(NEXT) | instid1(VALU_DEP_4)
	v_cndmask_b32_e32 v3, 0, v3, vcc_lo
	v_lshlrev_b16 v4, 8, v4
	s_delay_alu instid0(VALU_DEP_1) | instskip(NEXT) | instid1(VALU_DEP_1)
	v_dual_lshlrev_b32 v5, 16, v5 :: v_dual_bitop2_b32 v4, v3, v4 bitop3:0x54
	v_and_b32_e32 v4, 0xffff, v4
	s_delay_alu instid0(VALU_DEP_1) | instskip(SKIP_1) | instid1(VALU_DEP_2)
	v_cndmask_b32_e64 v3, v3, v4, s0
	v_or_b32_e32 v4, 0x200, v0
	v_or_b32_e32 v5, v3, v5
	s_delay_alu instid0(VALU_DEP_2) | instskip(SKIP_1) | instid1(VALU_DEP_2)
	v_cmp_gt_i32_e64 s0, s2, v4
	v_cndmask_b32_e64 v4, 0, 1, s9
	v_cndmask_b32_e64 v3, v3, v5, s0
	s_delay_alu instid0(VALU_DEP_2) | instskip(NEXT) | instid1(VALU_DEP_2)
	v_lshlrev_b16 v4, 8, v4
	v_lshrrev_b32_e32 v5, 16, v3
	s_delay_alu instid0(VALU_DEP_1) | instskip(SKIP_1) | instid1(VALU_DEP_2)
	v_bitop3_b16 v4, v5, v4, 0xff bitop3:0xec
	v_or_b32_e32 v5, 0x300, v0
	v_lshlrev_b32_e32 v4, 16, v4
	s_delay_alu instid0(VALU_DEP_2) | instskip(NEXT) | instid1(VALU_DEP_2)
	v_cmp_gt_i32_e64 s0, s2, v5
	v_and_or_b32 v4, 0xffff, v3, v4
	s_delay_alu instid0(VALU_DEP_1)
	v_cndmask_b32_e64 v3, v3, v4, s0
	s_and_saveexec_b32 s0, vcc_lo
	s_cbranch_execnz .LBB44_13
; %bb.9:
	s_or_b32 exec_lo, exec_lo, s0
	s_delay_alu instid0(SALU_CYCLE_1)
	s_mov_b32 s0, exec_lo
	v_cmpx_gt_i32_e64 s2, v0
	s_cbranch_execnz .LBB44_14
.LBB44_10:
	s_or_b32 exec_lo, exec_lo, s0
	s_delay_alu instid0(SALU_CYCLE_1)
	s_mov_b32 s0, exec_lo
	v_cmpx_gt_i32_e64 s2, v0
	s_cbranch_execnz .LBB44_15
.LBB44_11:
	s_or_b32 exec_lo, exec_lo, s0
	s_delay_alu instid0(SALU_CYCLE_1)
	s_mov_b32 s0, exec_lo
	v_cmpx_gt_i32_e64 s2, v0
	s_cbranch_execnz .LBB44_16
.LBB44_12:
	s_endpgm
.LBB44_13:
	v_mov_b32_e32 v0, v1
	global_store_b8 v2, v3, s[4:5]
	s_wait_xcnt 0x0
	s_or_b32 exec_lo, exec_lo, s0
	s_delay_alu instid0(SALU_CYCLE_1)
	s_mov_b32 s0, exec_lo
	v_cmpx_gt_i32_e64 s2, v0
	s_cbranch_execz .LBB44_10
.LBB44_14:
	v_add_nc_u32_e32 v1, 0x100, v0
	v_dual_add_nc_u32 v2, s1, v0 :: v_dual_lshrrev_b32 v4, 8, v3
	s_delay_alu instid0(VALU_DEP_2) | instskip(SKIP_3) | instid1(SALU_CYCLE_1)
	v_mov_b32_e32 v0, v1
	global_store_b8 v2, v4, s[4:5]
	s_wait_xcnt 0x0
	s_or_b32 exec_lo, exec_lo, s0
	s_mov_b32 s0, exec_lo
	v_cmpx_gt_i32_e64 s2, v0
	s_cbranch_execz .LBB44_11
.LBB44_15:
	v_add_nc_u32_e32 v1, 0x100, v0
	s_delay_alu instid0(VALU_DEP_1) | instskip(SKIP_3) | instid1(SALU_CYCLE_1)
	v_dual_add_nc_u32 v2, s1, v0 :: v_dual_mov_b32 v0, v1
	global_store_d16_hi_b8 v2, v3, s[4:5]
	s_wait_xcnt 0x0
	s_or_b32 exec_lo, exec_lo, s0
	s_mov_b32 s0, exec_lo
	v_cmpx_gt_i32_e64 s2, v0
	s_cbranch_execz .LBB44_12
.LBB44_16:
	v_dual_add_nc_u32 v0, s1, v0 :: v_dual_lshrrev_b32 v1, 24, v3
	global_store_b8 v0, v1, s[4:5]
	s_endpgm
	.section	.rodata,"a",@progbits
	.p2align	6, 0x0
	.amdhsa_kernel _ZN2at6native27unrolled_elementwise_kernelIZZZNS0_12_GLOBAL__N_120isposinf_kernel_implERNS_18TensorIteratorBaseEENKUlvE_clEvENKUlvE0_clEvEUlfE_St5arrayIPcLm2EELi4E23TrivialOffsetCalculatorILi1EjESC_NS0_6memory15LoadWithoutCastENSD_16StoreWithoutCastEEEviT_T0_T2_T3_T4_T5_
		.amdhsa_group_segment_fixed_size 0
		.amdhsa_private_segment_fixed_size 0
		.amdhsa_kernarg_size 28
		.amdhsa_user_sgpr_count 2
		.amdhsa_user_sgpr_dispatch_ptr 0
		.amdhsa_user_sgpr_queue_ptr 0
		.amdhsa_user_sgpr_kernarg_segment_ptr 1
		.amdhsa_user_sgpr_dispatch_id 0
		.amdhsa_user_sgpr_kernarg_preload_length 0
		.amdhsa_user_sgpr_kernarg_preload_offset 0
		.amdhsa_user_sgpr_private_segment_size 0
		.amdhsa_wavefront_size32 1
		.amdhsa_uses_dynamic_stack 0
		.amdhsa_enable_private_segment 0
		.amdhsa_system_sgpr_workgroup_id_x 1
		.amdhsa_system_sgpr_workgroup_id_y 0
		.amdhsa_system_sgpr_workgroup_id_z 0
		.amdhsa_system_sgpr_workgroup_info 0
		.amdhsa_system_vgpr_workitem_id 0
		.amdhsa_next_free_vgpr 6
		.amdhsa_next_free_sgpr 12
		.amdhsa_named_barrier_count 0
		.amdhsa_reserve_vcc 1
		.amdhsa_float_round_mode_32 0
		.amdhsa_float_round_mode_16_64 0
		.amdhsa_float_denorm_mode_32 3
		.amdhsa_float_denorm_mode_16_64 3
		.amdhsa_fp16_overflow 0
		.amdhsa_memory_ordered 1
		.amdhsa_forward_progress 1
		.amdhsa_inst_pref_size 7
		.amdhsa_round_robin_scheduling 0
		.amdhsa_exception_fp_ieee_invalid_op 0
		.amdhsa_exception_fp_denorm_src 0
		.amdhsa_exception_fp_ieee_div_zero 0
		.amdhsa_exception_fp_ieee_overflow 0
		.amdhsa_exception_fp_ieee_underflow 0
		.amdhsa_exception_fp_ieee_inexact 0
		.amdhsa_exception_int_div_zero 0
	.end_amdhsa_kernel
	.section	.text._ZN2at6native27unrolled_elementwise_kernelIZZZNS0_12_GLOBAL__N_120isposinf_kernel_implERNS_18TensorIteratorBaseEENKUlvE_clEvENKUlvE0_clEvEUlfE_St5arrayIPcLm2EELi4E23TrivialOffsetCalculatorILi1EjESC_NS0_6memory15LoadWithoutCastENSD_16StoreWithoutCastEEEviT_T0_T2_T3_T4_T5_,"axG",@progbits,_ZN2at6native27unrolled_elementwise_kernelIZZZNS0_12_GLOBAL__N_120isposinf_kernel_implERNS_18TensorIteratorBaseEENKUlvE_clEvENKUlvE0_clEvEUlfE_St5arrayIPcLm2EELi4E23TrivialOffsetCalculatorILi1EjESC_NS0_6memory15LoadWithoutCastENSD_16StoreWithoutCastEEEviT_T0_T2_T3_T4_T5_,comdat
.Lfunc_end44:
	.size	_ZN2at6native27unrolled_elementwise_kernelIZZZNS0_12_GLOBAL__N_120isposinf_kernel_implERNS_18TensorIteratorBaseEENKUlvE_clEvENKUlvE0_clEvEUlfE_St5arrayIPcLm2EELi4E23TrivialOffsetCalculatorILi1EjESC_NS0_6memory15LoadWithoutCastENSD_16StoreWithoutCastEEEviT_T0_T2_T3_T4_T5_, .Lfunc_end44-_ZN2at6native27unrolled_elementwise_kernelIZZZNS0_12_GLOBAL__N_120isposinf_kernel_implERNS_18TensorIteratorBaseEENKUlvE_clEvENKUlvE0_clEvEUlfE_St5arrayIPcLm2EELi4E23TrivialOffsetCalculatorILi1EjESC_NS0_6memory15LoadWithoutCastENSD_16StoreWithoutCastEEEviT_T0_T2_T3_T4_T5_
                                        ; -- End function
	.set _ZN2at6native27unrolled_elementwise_kernelIZZZNS0_12_GLOBAL__N_120isposinf_kernel_implERNS_18TensorIteratorBaseEENKUlvE_clEvENKUlvE0_clEvEUlfE_St5arrayIPcLm2EELi4E23TrivialOffsetCalculatorILi1EjESC_NS0_6memory15LoadWithoutCastENSD_16StoreWithoutCastEEEviT_T0_T2_T3_T4_T5_.num_vgpr, 6
	.set _ZN2at6native27unrolled_elementwise_kernelIZZZNS0_12_GLOBAL__N_120isposinf_kernel_implERNS_18TensorIteratorBaseEENKUlvE_clEvENKUlvE0_clEvEUlfE_St5arrayIPcLm2EELi4E23TrivialOffsetCalculatorILi1EjESC_NS0_6memory15LoadWithoutCastENSD_16StoreWithoutCastEEEviT_T0_T2_T3_T4_T5_.num_agpr, 0
	.set _ZN2at6native27unrolled_elementwise_kernelIZZZNS0_12_GLOBAL__N_120isposinf_kernel_implERNS_18TensorIteratorBaseEENKUlvE_clEvENKUlvE0_clEvEUlfE_St5arrayIPcLm2EELi4E23TrivialOffsetCalculatorILi1EjESC_NS0_6memory15LoadWithoutCastENSD_16StoreWithoutCastEEEviT_T0_T2_T3_T4_T5_.numbered_sgpr, 12
	.set _ZN2at6native27unrolled_elementwise_kernelIZZZNS0_12_GLOBAL__N_120isposinf_kernel_implERNS_18TensorIteratorBaseEENKUlvE_clEvENKUlvE0_clEvEUlfE_St5arrayIPcLm2EELi4E23TrivialOffsetCalculatorILi1EjESC_NS0_6memory15LoadWithoutCastENSD_16StoreWithoutCastEEEviT_T0_T2_T3_T4_T5_.num_named_barrier, 0
	.set _ZN2at6native27unrolled_elementwise_kernelIZZZNS0_12_GLOBAL__N_120isposinf_kernel_implERNS_18TensorIteratorBaseEENKUlvE_clEvENKUlvE0_clEvEUlfE_St5arrayIPcLm2EELi4E23TrivialOffsetCalculatorILi1EjESC_NS0_6memory15LoadWithoutCastENSD_16StoreWithoutCastEEEviT_T0_T2_T3_T4_T5_.private_seg_size, 0
	.set _ZN2at6native27unrolled_elementwise_kernelIZZZNS0_12_GLOBAL__N_120isposinf_kernel_implERNS_18TensorIteratorBaseEENKUlvE_clEvENKUlvE0_clEvEUlfE_St5arrayIPcLm2EELi4E23TrivialOffsetCalculatorILi1EjESC_NS0_6memory15LoadWithoutCastENSD_16StoreWithoutCastEEEviT_T0_T2_T3_T4_T5_.uses_vcc, 1
	.set _ZN2at6native27unrolled_elementwise_kernelIZZZNS0_12_GLOBAL__N_120isposinf_kernel_implERNS_18TensorIteratorBaseEENKUlvE_clEvENKUlvE0_clEvEUlfE_St5arrayIPcLm2EELi4E23TrivialOffsetCalculatorILi1EjESC_NS0_6memory15LoadWithoutCastENSD_16StoreWithoutCastEEEviT_T0_T2_T3_T4_T5_.uses_flat_scratch, 0
	.set _ZN2at6native27unrolled_elementwise_kernelIZZZNS0_12_GLOBAL__N_120isposinf_kernel_implERNS_18TensorIteratorBaseEENKUlvE_clEvENKUlvE0_clEvEUlfE_St5arrayIPcLm2EELi4E23TrivialOffsetCalculatorILi1EjESC_NS0_6memory15LoadWithoutCastENSD_16StoreWithoutCastEEEviT_T0_T2_T3_T4_T5_.has_dyn_sized_stack, 0
	.set _ZN2at6native27unrolled_elementwise_kernelIZZZNS0_12_GLOBAL__N_120isposinf_kernel_implERNS_18TensorIteratorBaseEENKUlvE_clEvENKUlvE0_clEvEUlfE_St5arrayIPcLm2EELi4E23TrivialOffsetCalculatorILi1EjESC_NS0_6memory15LoadWithoutCastENSD_16StoreWithoutCastEEEviT_T0_T2_T3_T4_T5_.has_recursion, 0
	.set _ZN2at6native27unrolled_elementwise_kernelIZZZNS0_12_GLOBAL__N_120isposinf_kernel_implERNS_18TensorIteratorBaseEENKUlvE_clEvENKUlvE0_clEvEUlfE_St5arrayIPcLm2EELi4E23TrivialOffsetCalculatorILi1EjESC_NS0_6memory15LoadWithoutCastENSD_16StoreWithoutCastEEEviT_T0_T2_T3_T4_T5_.has_indirect_call, 0
	.section	.AMDGPU.csdata,"",@progbits
; Kernel info:
; codeLenInByte = 844
; TotalNumSgprs: 14
; NumVgprs: 6
; ScratchSize: 0
; MemoryBound: 0
; FloatMode: 240
; IeeeMode: 1
; LDSByteSize: 0 bytes/workgroup (compile time only)
; SGPRBlocks: 0
; VGPRBlocks: 0
; NumSGPRsForWavesPerEU: 14
; NumVGPRsForWavesPerEU: 6
; NamedBarCnt: 0
; Occupancy: 16
; WaveLimiterHint : 0
; COMPUTE_PGM_RSRC2:SCRATCH_EN: 0
; COMPUTE_PGM_RSRC2:USER_SGPR: 2
; COMPUTE_PGM_RSRC2:TRAP_HANDLER: 0
; COMPUTE_PGM_RSRC2:TGID_X_EN: 1
; COMPUTE_PGM_RSRC2:TGID_Y_EN: 0
; COMPUTE_PGM_RSRC2:TGID_Z_EN: 0
; COMPUTE_PGM_RSRC2:TIDIG_COMP_CNT: 0
	.section	.text._ZN2at6native32elementwise_kernel_manual_unrollILi128ELi8EZNS0_22gpu_kernel_impl_nocastIZZZNS0_12_GLOBAL__N_120isposinf_kernel_implERNS_18TensorIteratorBaseEENKUlvE_clEvENKUlvE0_clEvEUlfE_EEvS5_RKT_EUlibE_EEviT1_,"axG",@progbits,_ZN2at6native32elementwise_kernel_manual_unrollILi128ELi8EZNS0_22gpu_kernel_impl_nocastIZZZNS0_12_GLOBAL__N_120isposinf_kernel_implERNS_18TensorIteratorBaseEENKUlvE_clEvENKUlvE0_clEvEUlfE_EEvS5_RKT_EUlibE_EEviT1_,comdat
	.globl	_ZN2at6native32elementwise_kernel_manual_unrollILi128ELi8EZNS0_22gpu_kernel_impl_nocastIZZZNS0_12_GLOBAL__N_120isposinf_kernel_implERNS_18TensorIteratorBaseEENKUlvE_clEvENKUlvE0_clEvEUlfE_EEvS5_RKT_EUlibE_EEviT1_ ; -- Begin function _ZN2at6native32elementwise_kernel_manual_unrollILi128ELi8EZNS0_22gpu_kernel_impl_nocastIZZZNS0_12_GLOBAL__N_120isposinf_kernel_implERNS_18TensorIteratorBaseEENKUlvE_clEvENKUlvE0_clEvEUlfE_EEvS5_RKT_EUlibE_EEviT1_
	.p2align	8
	.type	_ZN2at6native32elementwise_kernel_manual_unrollILi128ELi8EZNS0_22gpu_kernel_impl_nocastIZZZNS0_12_GLOBAL__N_120isposinf_kernel_implERNS_18TensorIteratorBaseEENKUlvE_clEvENKUlvE0_clEvEUlfE_EEvS5_RKT_EUlibE_EEviT1_,@function
_ZN2at6native32elementwise_kernel_manual_unrollILi128ELi8EZNS0_22gpu_kernel_impl_nocastIZZZNS0_12_GLOBAL__N_120isposinf_kernel_implERNS_18TensorIteratorBaseEENKUlvE_clEvENKUlvE0_clEvEUlfE_EEvS5_RKT_EUlibE_EEviT1_: ; @_ZN2at6native32elementwise_kernel_manual_unrollILi128ELi8EZNS0_22gpu_kernel_impl_nocastIZZZNS0_12_GLOBAL__N_120isposinf_kernel_implERNS_18TensorIteratorBaseEENKUlvE_clEvENKUlvE0_clEvEUlfE_EEvS5_RKT_EUlibE_EEviT1_
; %bb.0:
	s_clause 0x1
	s_load_b32 s28, s[0:1], 0x8
	s_load_b32 s34, s[0:1], 0x0
	s_bfe_u32 s2, ttmp6, 0x4000c
	s_and_b32 s3, ttmp6, 15
	s_add_co_i32 s2, s2, 1
	s_getreg_b32 s4, hwreg(HW_REG_IB_STS2, 6, 4)
	s_mul_i32 s2, ttmp9, s2
	s_add_nc_u64 s[12:13], s[0:1], 8
	s_add_co_i32 s3, s3, s2
	s_cmp_eq_u32 s4, 0
	s_mov_b32 s17, 0
	s_cselect_b32 s2, ttmp9, s3
	s_wait_xcnt 0x0
	s_mov_b32 s0, exec_lo
	v_lshl_or_b32 v0, s2, 10, v0
	s_delay_alu instid0(VALU_DEP_1) | instskip(SKIP_2) | instid1(SALU_CYCLE_1)
	v_or_b32_e32 v16, 0x380, v0
	s_wait_kmcnt 0x0
	s_add_co_i32 s29, s28, -1
	s_cmp_gt_u32 s29, 1
	s_cselect_b32 s30, -1, 0
	v_cmpx_le_i32_e64 s34, v16
	s_xor_b32 s31, exec_lo, s0
	s_cbranch_execz .LBB45_7
; %bb.1:
	s_clause 0x3
	s_load_b128 s[4:7], s[12:13], 0x4
	s_load_b64 s[14:15], s[12:13], 0x14
	s_load_b128 s[8:11], s[12:13], 0xc4
	s_load_b128 s[0:3], s[12:13], 0x148
	s_cmp_lg_u32 s28, 0
	s_add_nc_u64 s[20:21], s[12:13], 0xc4
	s_cselect_b32 s36, -1, 0
	s_min_u32 s35, s29, 15
	s_cmp_gt_u32 s28, 1
	s_mov_b32 s19, s17
	s_cselect_b32 s33, -1, 0
	s_wait_kmcnt 0x0
	s_mov_b32 s16, s5
	s_mov_b32 s18, s14
	s_mov_b32 s5, exec_lo
	v_cmpx_gt_i32_e64 s34, v0
	s_cbranch_execz .LBB45_14
; %bb.2:
	s_and_not1_b32 vcc_lo, exec_lo, s30
	s_cbranch_vccnz .LBB45_21
; %bb.3:
	s_and_not1_b32 vcc_lo, exec_lo, s36
	s_cbranch_vccnz .LBB45_129
; %bb.4:
	s_add_co_i32 s14, s35, 1
	s_cmp_eq_u32 s29, 2
	s_cbranch_scc1 .LBB45_131
; %bb.5:
	v_dual_mov_b32 v2, 0 :: v_dual_mov_b32 v3, 0
	v_mov_b32_e32 v1, v0
	s_and_b32 s22, s14, 28
	s_mov_b32 s23, 0
	s_mov_b64 s[24:25], s[12:13]
	s_mov_b64 s[26:27], s[20:21]
.LBB45_6:                               ; =>This Inner Loop Header: Depth=1
	s_clause 0x1
	s_load_b256 s[40:47], s[24:25], 0x4
	s_load_b128 s[56:59], s[24:25], 0x24
	s_load_b256 s[48:55], s[26:27], 0x0
	s_add_co_i32 s23, s23, 4
	s_wait_xcnt 0x0
	s_add_nc_u64 s[24:25], s[24:25], 48
	s_cmp_lg_u32 s22, s23
	s_add_nc_u64 s[26:27], s[26:27], 32
	s_wait_kmcnt 0x0
	v_mul_hi_u32 v4, s41, v1
	s_delay_alu instid0(VALU_DEP_1) | instskip(NEXT) | instid1(VALU_DEP_1)
	v_add_nc_u32_e32 v4, v1, v4
	v_lshrrev_b32_e32 v4, s42, v4
	s_delay_alu instid0(VALU_DEP_1) | instskip(NEXT) | instid1(VALU_DEP_1)
	v_mul_hi_u32 v5, s44, v4
	v_add_nc_u32_e32 v5, v4, v5
	s_delay_alu instid0(VALU_DEP_1) | instskip(NEXT) | instid1(VALU_DEP_1)
	v_lshrrev_b32_e32 v5, s45, v5
	v_mul_hi_u32 v6, s47, v5
	s_delay_alu instid0(VALU_DEP_1) | instskip(SKIP_1) | instid1(VALU_DEP_1)
	v_add_nc_u32_e32 v6, v5, v6
	v_mul_lo_u32 v7, v4, s40
	v_sub_nc_u32_e32 v1, v1, v7
	v_mul_lo_u32 v7, v5, s43
	s_delay_alu instid0(VALU_DEP_4) | instskip(NEXT) | instid1(VALU_DEP_3)
	v_lshrrev_b32_e32 v6, s56, v6
	v_mad_u32 v3, v1, s49, v3
	v_mad_u32 v1, v1, s48, v2
	s_delay_alu instid0(VALU_DEP_4) | instskip(NEXT) | instid1(VALU_DEP_4)
	v_sub_nc_u32_e32 v2, v4, v7
	v_mul_hi_u32 v8, s58, v6
	v_mul_lo_u32 v4, v6, s46
	s_delay_alu instid0(VALU_DEP_3) | instskip(SKIP_1) | instid1(VALU_DEP_4)
	v_mad_u32 v3, v2, s51, v3
	v_mad_u32 v2, v2, s50, v1
	v_add_nc_u32_e32 v7, v6, v8
	s_delay_alu instid0(VALU_DEP_1) | instskip(NEXT) | instid1(VALU_DEP_1)
	v_dual_sub_nc_u32 v4, v5, v4 :: v_dual_lshrrev_b32 v1, s59, v7
	v_mad_u32 v3, v4, s53, v3
	s_delay_alu instid0(VALU_DEP_4) | instskip(NEXT) | instid1(VALU_DEP_3)
	v_mad_u32 v2, v4, s52, v2
	v_mul_lo_u32 v5, v1, s57
	s_delay_alu instid0(VALU_DEP_1) | instskip(NEXT) | instid1(VALU_DEP_1)
	v_sub_nc_u32_e32 v4, v6, v5
	v_mad_u32 v3, v4, s55, v3
	s_delay_alu instid0(VALU_DEP_4)
	v_mad_u32 v2, v4, s54, v2
	s_cbranch_scc1 .LBB45_6
	s_branch .LBB45_132
.LBB45_7:
	s_and_not1_saveexec_b32 s0, s31
	s_cbranch_execz .LBB45_221
.LBB45_8:
	v_cndmask_b32_e64 v14, 0, 1, s30
	s_and_not1_b32 vcc_lo, exec_lo, s30
	s_cbranch_vccnz .LBB45_20
; %bb.9:
	s_cmp_lg_u32 s28, 0
	s_mov_b32 s6, 0
	s_cbranch_scc0 .LBB45_23
; %bb.10:
	s_min_u32 s1, s29, 15
	s_delay_alu instid0(SALU_CYCLE_1)
	s_add_co_i32 s1, s1, 1
	s_cmp_eq_u32 s29, 2
	s_cbranch_scc1 .LBB45_24
; %bb.11:
	v_dual_mov_b32 v2, 0 :: v_dual_mov_b32 v3, 0
	v_mov_b32_e32 v1, v0
	s_and_b32 s0, s1, 28
	s_add_nc_u64 s[2:3], s[12:13], 0xc4
	s_mov_b32 s7, 0
	s_mov_b64 s[4:5], s[12:13]
.LBB45_12:                              ; =>This Inner Loop Header: Depth=1
	s_clause 0x1
	s_load_b256 s[16:23], s[4:5], 0x4
	s_load_b128 s[8:11], s[4:5], 0x24
	s_load_b256 s[36:43], s[2:3], 0x0
	s_add_co_i32 s7, s7, 4
	s_wait_xcnt 0x0
	s_add_nc_u64 s[4:5], s[4:5], 48
	s_cmp_lg_u32 s0, s7
	s_add_nc_u64 s[2:3], s[2:3], 32
	s_wait_kmcnt 0x0
	v_mul_hi_u32 v4, s17, v1
	s_delay_alu instid0(VALU_DEP_1) | instskip(NEXT) | instid1(VALU_DEP_1)
	v_add_nc_u32_e32 v4, v1, v4
	v_lshrrev_b32_e32 v4, s18, v4
	s_delay_alu instid0(VALU_DEP_1) | instskip(NEXT) | instid1(VALU_DEP_1)
	v_mul_hi_u32 v5, s20, v4
	v_add_nc_u32_e32 v5, v4, v5
	s_delay_alu instid0(VALU_DEP_1) | instskip(NEXT) | instid1(VALU_DEP_1)
	v_lshrrev_b32_e32 v5, s21, v5
	v_mul_hi_u32 v6, s23, v5
	s_delay_alu instid0(VALU_DEP_1) | instskip(SKIP_1) | instid1(VALU_DEP_1)
	v_add_nc_u32_e32 v6, v5, v6
	v_mul_lo_u32 v7, v4, s16
	v_sub_nc_u32_e32 v1, v1, v7
	v_mul_lo_u32 v7, v5, s19
	s_delay_alu instid0(VALU_DEP_4) | instskip(NEXT) | instid1(VALU_DEP_3)
	v_lshrrev_b32_e32 v6, s8, v6
	v_mad_u32 v3, v1, s37, v3
	v_mad_u32 v1, v1, s36, v2
	s_delay_alu instid0(VALU_DEP_4) | instskip(NEXT) | instid1(VALU_DEP_4)
	v_sub_nc_u32_e32 v2, v4, v7
	v_mul_hi_u32 v8, s10, v6
	v_mul_lo_u32 v4, v6, s22
	s_delay_alu instid0(VALU_DEP_3) | instskip(SKIP_1) | instid1(VALU_DEP_4)
	v_mad_u32 v3, v2, s39, v3
	v_mad_u32 v2, v2, s38, v1
	v_add_nc_u32_e32 v7, v6, v8
	s_delay_alu instid0(VALU_DEP_1) | instskip(NEXT) | instid1(VALU_DEP_1)
	v_dual_sub_nc_u32 v4, v5, v4 :: v_dual_lshrrev_b32 v1, s11, v7
	v_mad_u32 v3, v4, s41, v3
	s_delay_alu instid0(VALU_DEP_4) | instskip(NEXT) | instid1(VALU_DEP_3)
	v_mad_u32 v2, v4, s40, v2
	v_mul_lo_u32 v5, v1, s9
	s_delay_alu instid0(VALU_DEP_1) | instskip(NEXT) | instid1(VALU_DEP_1)
	v_sub_nc_u32_e32 v4, v6, v5
	v_mad_u32 v3, v4, s43, v3
	s_delay_alu instid0(VALU_DEP_4)
	v_mad_u32 v2, v4, s42, v2
	s_cbranch_scc1 .LBB45_12
; %bb.13:
	s_and_b32 s4, s1, 3
	s_mov_b32 s1, 0
	s_cmp_eq_u32 s4, 0
	s_cbranch_scc0 .LBB45_25
	s_branch .LBB45_27
.LBB45_14:
	s_or_b32 exec_lo, exec_lo, s5
	s_delay_alu instid0(SALU_CYCLE_1)
	s_mov_b32 s5, exec_lo
	v_cmpx_gt_i32_e64 s34, v0
	s_cbranch_execz .LBB45_139
.LBB45_15:
	s_and_not1_b32 vcc_lo, exec_lo, s30
	s_cbranch_vccnz .LBB45_22
; %bb.16:
	s_and_not1_b32 vcc_lo, exec_lo, s36
	s_cbranch_vccnz .LBB45_130
; %bb.17:
	s_add_co_i32 s14, s35, 1
	s_cmp_eq_u32 s29, 2
	s_cbranch_scc1 .LBB45_147
; %bb.18:
	v_dual_mov_b32 v2, 0 :: v_dual_mov_b32 v3, 0
	v_mov_b32_e32 v1, v0
	s_and_b32 s22, s14, 28
	s_mov_b32 s23, 0
	s_mov_b64 s[24:25], s[12:13]
	s_mov_b64 s[26:27], s[20:21]
.LBB45_19:                              ; =>This Inner Loop Header: Depth=1
	s_clause 0x1
	s_load_b256 s[40:47], s[24:25], 0x4
	s_load_b128 s[56:59], s[24:25], 0x24
	s_load_b256 s[48:55], s[26:27], 0x0
	s_add_co_i32 s23, s23, 4
	s_wait_xcnt 0x0
	s_add_nc_u64 s[24:25], s[24:25], 48
	s_cmp_eq_u32 s22, s23
	s_add_nc_u64 s[26:27], s[26:27], 32
	s_wait_kmcnt 0x0
	v_mul_hi_u32 v4, s41, v1
	s_delay_alu instid0(VALU_DEP_1) | instskip(NEXT) | instid1(VALU_DEP_1)
	v_add_nc_u32_e32 v4, v1, v4
	v_lshrrev_b32_e32 v4, s42, v4
	s_delay_alu instid0(VALU_DEP_1) | instskip(NEXT) | instid1(VALU_DEP_1)
	v_mul_hi_u32 v5, s44, v4
	v_add_nc_u32_e32 v5, v4, v5
	s_delay_alu instid0(VALU_DEP_1) | instskip(NEXT) | instid1(VALU_DEP_1)
	v_lshrrev_b32_e32 v5, s45, v5
	v_mul_hi_u32 v6, s47, v5
	s_delay_alu instid0(VALU_DEP_1) | instskip(SKIP_1) | instid1(VALU_DEP_1)
	v_add_nc_u32_e32 v6, v5, v6
	v_mul_lo_u32 v7, v4, s40
	v_sub_nc_u32_e32 v1, v1, v7
	v_mul_lo_u32 v7, v5, s43
	s_delay_alu instid0(VALU_DEP_4) | instskip(NEXT) | instid1(VALU_DEP_3)
	v_lshrrev_b32_e32 v6, s56, v6
	v_mad_u32 v3, v1, s49, v3
	v_mad_u32 v1, v1, s48, v2
	s_delay_alu instid0(VALU_DEP_4) | instskip(NEXT) | instid1(VALU_DEP_4)
	v_sub_nc_u32_e32 v2, v4, v7
	v_mul_hi_u32 v8, s58, v6
	v_mul_lo_u32 v4, v6, s46
	s_delay_alu instid0(VALU_DEP_3) | instskip(SKIP_1) | instid1(VALU_DEP_4)
	v_mad_u32 v3, v2, s51, v3
	v_mad_u32 v2, v2, s50, v1
	v_add_nc_u32_e32 v7, v6, v8
	s_delay_alu instid0(VALU_DEP_1) | instskip(NEXT) | instid1(VALU_DEP_1)
	v_dual_sub_nc_u32 v4, v5, v4 :: v_dual_lshrrev_b32 v1, s59, v7
	v_mad_u32 v3, v4, s53, v3
	s_delay_alu instid0(VALU_DEP_4) | instskip(NEXT) | instid1(VALU_DEP_3)
	v_mad_u32 v2, v4, s52, v2
	v_mul_lo_u32 v5, v1, s57
	s_delay_alu instid0(VALU_DEP_1) | instskip(NEXT) | instid1(VALU_DEP_1)
	v_sub_nc_u32_e32 v4, v6, v5
	v_mad_u32 v3, v4, s55, v3
	s_delay_alu instid0(VALU_DEP_4)
	v_mad_u32 v2, v4, s54, v2
	s_cbranch_scc0 .LBB45_19
	s_branch .LBB45_148
.LBB45_20:
	s_mov_b32 s6, -1
                                        ; implicit-def: $vgpr3
	s_branch .LBB45_27
.LBB45_21:
                                        ; implicit-def: $vgpr3
	s_branch .LBB45_136
.LBB45_22:
                                        ; implicit-def: $vgpr3
	s_branch .LBB45_152
.LBB45_23:
	v_dual_mov_b32 v3, 0 :: v_dual_mov_b32 v2, 0
	s_branch .LBB45_27
.LBB45_24:
	v_mov_b64_e32 v[2:3], 0
	v_mov_b32_e32 v1, v0
	s_mov_b32 s0, 0
	s_and_b32 s4, s1, 3
	s_mov_b32 s1, 0
	s_cmp_eq_u32 s4, 0
	s_cbranch_scc1 .LBB45_27
.LBB45_25:
	s_lshl_b32 s2, s0, 3
	s_mov_b32 s3, s1
	s_mul_u64 s[8:9], s[0:1], 12
	s_add_nc_u64 s[2:3], s[12:13], s[2:3]
	s_delay_alu instid0(SALU_CYCLE_1)
	s_add_nc_u64 s[0:1], s[2:3], 0xc4
	s_add_nc_u64 s[2:3], s[12:13], s[8:9]
.LBB45_26:                              ; =>This Inner Loop Header: Depth=1
	s_load_b96 s[8:10], s[2:3], 0x4
	s_add_co_i32 s4, s4, -1
	s_wait_xcnt 0x0
	s_add_nc_u64 s[2:3], s[2:3], 12
	s_cmp_lg_u32 s4, 0
	s_wait_kmcnt 0x0
	v_mul_hi_u32 v4, s9, v1
	s_delay_alu instid0(VALU_DEP_1) | instskip(NEXT) | instid1(VALU_DEP_1)
	v_add_nc_u32_e32 v4, v1, v4
	v_lshrrev_b32_e32 v4, s10, v4
	s_load_b64 s[10:11], s[0:1], 0x0
	s_wait_xcnt 0x0
	s_add_nc_u64 s[0:1], s[0:1], 8
	s_delay_alu instid0(VALU_DEP_1) | instskip(NEXT) | instid1(VALU_DEP_1)
	v_mul_lo_u32 v5, v4, s8
	v_sub_nc_u32_e32 v1, v1, v5
	s_wait_kmcnt 0x0
	s_delay_alu instid0(VALU_DEP_1)
	v_mad_u32 v3, v1, s11, v3
	v_mad_u32 v2, v1, s10, v2
	v_mov_b32_e32 v1, v4
	s_cbranch_scc1 .LBB45_26
.LBB45_27:
	s_and_not1_b32 vcc_lo, exec_lo, s6
	s_cbranch_vccnz .LBB45_30
; %bb.28:
	s_clause 0x1
	s_load_b96 s[0:2], s[12:13], 0x4
	s_load_b64 s[4:5], s[12:13], 0xc4
	s_cmp_lt_u32 s28, 2
	s_wait_kmcnt 0x0
	v_mul_hi_u32 v1, s1, v0
	s_delay_alu instid0(VALU_DEP_1) | instskip(NEXT) | instid1(VALU_DEP_1)
	v_add_nc_u32_e32 v1, v0, v1
	v_lshrrev_b32_e32 v1, s2, v1
	s_delay_alu instid0(VALU_DEP_1) | instskip(NEXT) | instid1(VALU_DEP_1)
	v_mul_lo_u32 v2, v1, s0
	v_sub_nc_u32_e32 v2, v0, v2
	s_delay_alu instid0(VALU_DEP_1)
	v_mul_lo_u32 v3, v2, s5
	v_mul_lo_u32 v2, v2, s4
	s_cbranch_scc1 .LBB45_30
; %bb.29:
	s_clause 0x1
	s_load_b96 s[0:2], s[12:13], 0x10
	s_load_b64 s[4:5], s[12:13], 0xcc
	s_wait_kmcnt 0x0
	v_mul_hi_u32 v4, s1, v1
	s_delay_alu instid0(VALU_DEP_1) | instskip(NEXT) | instid1(VALU_DEP_1)
	v_add_nc_u32_e32 v4, v1, v4
	v_lshrrev_b32_e32 v4, s2, v4
	s_delay_alu instid0(VALU_DEP_1) | instskip(NEXT) | instid1(VALU_DEP_1)
	v_mul_lo_u32 v4, v4, s0
	v_sub_nc_u32_e32 v1, v1, v4
	s_delay_alu instid0(VALU_DEP_1)
	v_mad_u32 v2, v1, s4, v2
	v_mad_u32 v3, v1, s5, v3
.LBB45_30:
	v_cmp_ne_u32_e32 vcc_lo, 1, v14
	v_add_nc_u32_e32 v1, 0x80, v0
	s_cbranch_vccnz .LBB45_36
; %bb.31:
	s_cmp_lg_u32 s28, 0
	s_mov_b32 s6, 0
	s_cbranch_scc0 .LBB45_37
; %bb.32:
	s_min_u32 s1, s29, 15
	s_delay_alu instid0(SALU_CYCLE_1)
	s_add_co_i32 s1, s1, 1
	s_cmp_eq_u32 s29, 2
	s_cbranch_scc1 .LBB45_38
; %bb.33:
	v_dual_mov_b32 v4, 0 :: v_dual_mov_b32 v5, 0
	v_mov_b32_e32 v6, v1
	s_and_b32 s0, s1, 28
	s_add_nc_u64 s[2:3], s[12:13], 0xc4
	s_mov_b32 s7, 0
	s_mov_b64 s[4:5], s[12:13]
.LBB45_34:                              ; =>This Inner Loop Header: Depth=1
	s_clause 0x1
	s_load_b256 s[16:23], s[4:5], 0x4
	s_load_b128 s[8:11], s[4:5], 0x24
	s_load_b256 s[36:43], s[2:3], 0x0
	s_add_co_i32 s7, s7, 4
	s_wait_xcnt 0x0
	s_add_nc_u64 s[4:5], s[4:5], 48
	s_cmp_lg_u32 s0, s7
	s_add_nc_u64 s[2:3], s[2:3], 32
	s_wait_kmcnt 0x0
	v_mul_hi_u32 v7, s17, v6
	s_delay_alu instid0(VALU_DEP_1) | instskip(NEXT) | instid1(VALU_DEP_1)
	v_add_nc_u32_e32 v7, v6, v7
	v_lshrrev_b32_e32 v7, s18, v7
	s_delay_alu instid0(VALU_DEP_1) | instskip(NEXT) | instid1(VALU_DEP_1)
	v_mul_hi_u32 v8, s20, v7
	v_add_nc_u32_e32 v8, v7, v8
	s_delay_alu instid0(VALU_DEP_1) | instskip(NEXT) | instid1(VALU_DEP_1)
	v_lshrrev_b32_e32 v8, s21, v8
	v_mul_hi_u32 v9, s23, v8
	s_delay_alu instid0(VALU_DEP_1) | instskip(SKIP_1) | instid1(VALU_DEP_1)
	v_add_nc_u32_e32 v9, v8, v9
	v_mul_lo_u32 v10, v7, s16
	v_sub_nc_u32_e32 v6, v6, v10
	v_mul_lo_u32 v10, v8, s19
	s_delay_alu instid0(VALU_DEP_4) | instskip(NEXT) | instid1(VALU_DEP_3)
	v_lshrrev_b32_e32 v9, s8, v9
	v_mad_u32 v5, v6, s37, v5
	v_mad_u32 v4, v6, s36, v4
	s_delay_alu instid0(VALU_DEP_4) | instskip(NEXT) | instid1(VALU_DEP_4)
	v_sub_nc_u32_e32 v6, v7, v10
	v_mul_hi_u32 v11, s10, v9
	v_mul_lo_u32 v7, v9, s22
	s_delay_alu instid0(VALU_DEP_3) | instskip(SKIP_1) | instid1(VALU_DEP_4)
	v_mad_u32 v5, v6, s39, v5
	v_mad_u32 v4, v6, s38, v4
	v_add_nc_u32_e32 v10, v9, v11
	s_delay_alu instid0(VALU_DEP_1) | instskip(NEXT) | instid1(VALU_DEP_1)
	v_dual_sub_nc_u32 v7, v8, v7 :: v_dual_lshrrev_b32 v6, s11, v10
	v_mad_u32 v5, v7, s41, v5
	s_delay_alu instid0(VALU_DEP_4) | instskip(NEXT) | instid1(VALU_DEP_3)
	v_mad_u32 v4, v7, s40, v4
	v_mul_lo_u32 v8, v6, s9
	s_delay_alu instid0(VALU_DEP_1) | instskip(NEXT) | instid1(VALU_DEP_1)
	v_sub_nc_u32_e32 v7, v9, v8
	v_mad_u32 v5, v7, s43, v5
	s_delay_alu instid0(VALU_DEP_4)
	v_mad_u32 v4, v7, s42, v4
	s_cbranch_scc1 .LBB45_34
; %bb.35:
	s_and_b32 s4, s1, 3
	s_mov_b32 s1, 0
	s_cmp_eq_u32 s4, 0
	s_cbranch_scc0 .LBB45_39
	s_branch .LBB45_41
.LBB45_36:
	s_mov_b32 s6, -1
                                        ; implicit-def: $vgpr5
	s_branch .LBB45_41
.LBB45_37:
	v_dual_mov_b32 v5, 0 :: v_dual_mov_b32 v4, 0
	s_branch .LBB45_41
.LBB45_38:
	v_mov_b64_e32 v[4:5], 0
	v_mov_b32_e32 v6, v1
	s_mov_b32 s0, 0
	s_and_b32 s4, s1, 3
	s_mov_b32 s1, 0
	s_cmp_eq_u32 s4, 0
	s_cbranch_scc1 .LBB45_41
.LBB45_39:
	s_lshl_b32 s2, s0, 3
	s_mov_b32 s3, s1
	s_mul_u64 s[8:9], s[0:1], 12
	s_add_nc_u64 s[2:3], s[12:13], s[2:3]
	s_delay_alu instid0(SALU_CYCLE_1)
	s_add_nc_u64 s[0:1], s[2:3], 0xc4
	s_add_nc_u64 s[2:3], s[12:13], s[8:9]
.LBB45_40:                              ; =>This Inner Loop Header: Depth=1
	s_load_b96 s[8:10], s[2:3], 0x4
	s_add_co_i32 s4, s4, -1
	s_wait_xcnt 0x0
	s_add_nc_u64 s[2:3], s[2:3], 12
	s_cmp_lg_u32 s4, 0
	s_wait_kmcnt 0x0
	v_mul_hi_u32 v7, s9, v6
	s_delay_alu instid0(VALU_DEP_1) | instskip(NEXT) | instid1(VALU_DEP_1)
	v_add_nc_u32_e32 v7, v6, v7
	v_lshrrev_b32_e32 v7, s10, v7
	s_load_b64 s[10:11], s[0:1], 0x0
	s_wait_xcnt 0x0
	s_add_nc_u64 s[0:1], s[0:1], 8
	s_delay_alu instid0(VALU_DEP_1) | instskip(NEXT) | instid1(VALU_DEP_1)
	v_mul_lo_u32 v8, v7, s8
	v_sub_nc_u32_e32 v6, v6, v8
	s_wait_kmcnt 0x0
	s_delay_alu instid0(VALU_DEP_1)
	v_mad_u32 v5, v6, s11, v5
	v_mad_u32 v4, v6, s10, v4
	v_mov_b32_e32 v6, v7
	s_cbranch_scc1 .LBB45_40
.LBB45_41:
	s_and_not1_b32 vcc_lo, exec_lo, s6
	s_cbranch_vccnz .LBB45_44
; %bb.42:
	s_clause 0x1
	s_load_b96 s[0:2], s[12:13], 0x4
	s_load_b64 s[4:5], s[12:13], 0xc4
	s_cmp_lt_u32 s28, 2
	s_wait_kmcnt 0x0
	v_mul_hi_u32 v4, s1, v1
	s_delay_alu instid0(VALU_DEP_1) | instskip(NEXT) | instid1(VALU_DEP_1)
	v_add_nc_u32_e32 v4, v1, v4
	v_lshrrev_b32_e32 v6, s2, v4
	s_delay_alu instid0(VALU_DEP_1) | instskip(NEXT) | instid1(VALU_DEP_1)
	v_mul_lo_u32 v4, v6, s0
	v_sub_nc_u32_e32 v1, v1, v4
	s_delay_alu instid0(VALU_DEP_1)
	v_mul_lo_u32 v5, v1, s5
	v_mul_lo_u32 v4, v1, s4
	s_cbranch_scc1 .LBB45_44
; %bb.43:
	s_clause 0x1
	s_load_b96 s[0:2], s[12:13], 0x10
	s_load_b64 s[4:5], s[12:13], 0xcc
	s_wait_kmcnt 0x0
	v_mul_hi_u32 v1, s1, v6
	s_delay_alu instid0(VALU_DEP_1) | instskip(NEXT) | instid1(VALU_DEP_1)
	v_add_nc_u32_e32 v1, v6, v1
	v_lshrrev_b32_e32 v1, s2, v1
	s_delay_alu instid0(VALU_DEP_1) | instskip(NEXT) | instid1(VALU_DEP_1)
	v_mul_lo_u32 v1, v1, s0
	v_sub_nc_u32_e32 v1, v6, v1
	s_delay_alu instid0(VALU_DEP_1)
	v_mad_u32 v4, v1, s4, v4
	v_mad_u32 v5, v1, s5, v5
.LBB45_44:
	v_cmp_ne_u32_e32 vcc_lo, 1, v14
	v_add_nc_u32_e32 v1, 0x100, v0
	s_cbranch_vccnz .LBB45_50
; %bb.45:
	s_cmp_lg_u32 s28, 0
	s_mov_b32 s6, 0
	s_cbranch_scc0 .LBB45_51
; %bb.46:
	s_min_u32 s1, s29, 15
	s_delay_alu instid0(SALU_CYCLE_1)
	s_add_co_i32 s1, s1, 1
	s_cmp_eq_u32 s29, 2
	s_cbranch_scc1 .LBB45_52
; %bb.47:
	v_dual_mov_b32 v6, 0 :: v_dual_mov_b32 v7, 0
	v_mov_b32_e32 v8, v1
	s_and_b32 s0, s1, 28
	s_add_nc_u64 s[2:3], s[12:13], 0xc4
	s_mov_b32 s7, 0
	s_mov_b64 s[4:5], s[12:13]
.LBB45_48:                              ; =>This Inner Loop Header: Depth=1
	s_clause 0x1
	s_load_b256 s[16:23], s[4:5], 0x4
	s_load_b128 s[8:11], s[4:5], 0x24
	s_load_b256 s[36:43], s[2:3], 0x0
	s_add_co_i32 s7, s7, 4
	s_wait_xcnt 0x0
	s_add_nc_u64 s[4:5], s[4:5], 48
	s_cmp_lg_u32 s0, s7
	s_add_nc_u64 s[2:3], s[2:3], 32
	s_wait_kmcnt 0x0
	v_mul_hi_u32 v9, s17, v8
	s_delay_alu instid0(VALU_DEP_1) | instskip(NEXT) | instid1(VALU_DEP_1)
	v_add_nc_u32_e32 v9, v8, v9
	v_lshrrev_b32_e32 v9, s18, v9
	s_delay_alu instid0(VALU_DEP_1) | instskip(NEXT) | instid1(VALU_DEP_1)
	v_mul_hi_u32 v10, s20, v9
	v_add_nc_u32_e32 v10, v9, v10
	s_delay_alu instid0(VALU_DEP_1) | instskip(NEXT) | instid1(VALU_DEP_1)
	v_lshrrev_b32_e32 v10, s21, v10
	v_mul_hi_u32 v11, s23, v10
	s_delay_alu instid0(VALU_DEP_1) | instskip(SKIP_1) | instid1(VALU_DEP_1)
	v_add_nc_u32_e32 v11, v10, v11
	v_mul_lo_u32 v12, v9, s16
	v_sub_nc_u32_e32 v8, v8, v12
	v_mul_lo_u32 v12, v10, s19
	s_delay_alu instid0(VALU_DEP_4) | instskip(NEXT) | instid1(VALU_DEP_3)
	v_lshrrev_b32_e32 v11, s8, v11
	v_mad_u32 v7, v8, s37, v7
	v_mad_u32 v6, v8, s36, v6
	s_delay_alu instid0(VALU_DEP_4) | instskip(NEXT) | instid1(VALU_DEP_4)
	v_sub_nc_u32_e32 v8, v9, v12
	v_mul_hi_u32 v13, s10, v11
	v_mul_lo_u32 v9, v11, s22
	s_delay_alu instid0(VALU_DEP_3) | instskip(SKIP_1) | instid1(VALU_DEP_4)
	v_mad_u32 v7, v8, s39, v7
	v_mad_u32 v6, v8, s38, v6
	v_add_nc_u32_e32 v12, v11, v13
	s_delay_alu instid0(VALU_DEP_1) | instskip(NEXT) | instid1(VALU_DEP_1)
	v_dual_sub_nc_u32 v9, v10, v9 :: v_dual_lshrrev_b32 v8, s11, v12
	v_mad_u32 v7, v9, s41, v7
	s_delay_alu instid0(VALU_DEP_4) | instskip(NEXT) | instid1(VALU_DEP_3)
	v_mad_u32 v6, v9, s40, v6
	v_mul_lo_u32 v10, v8, s9
	s_delay_alu instid0(VALU_DEP_1) | instskip(NEXT) | instid1(VALU_DEP_1)
	v_sub_nc_u32_e32 v9, v11, v10
	v_mad_u32 v7, v9, s43, v7
	s_delay_alu instid0(VALU_DEP_4)
	v_mad_u32 v6, v9, s42, v6
	s_cbranch_scc1 .LBB45_48
; %bb.49:
	s_and_b32 s4, s1, 3
	s_mov_b32 s1, 0
	s_cmp_eq_u32 s4, 0
	s_cbranch_scc0 .LBB45_53
	s_branch .LBB45_55
.LBB45_50:
	s_mov_b32 s6, -1
                                        ; implicit-def: $vgpr7
	s_branch .LBB45_55
.LBB45_51:
	v_dual_mov_b32 v7, 0 :: v_dual_mov_b32 v6, 0
	s_branch .LBB45_55
.LBB45_52:
	v_mov_b64_e32 v[6:7], 0
	v_mov_b32_e32 v8, v1
	s_mov_b32 s0, 0
	s_and_b32 s4, s1, 3
	s_mov_b32 s1, 0
	s_cmp_eq_u32 s4, 0
	s_cbranch_scc1 .LBB45_55
.LBB45_53:
	s_lshl_b32 s2, s0, 3
	s_mov_b32 s3, s1
	s_mul_u64 s[8:9], s[0:1], 12
	s_add_nc_u64 s[2:3], s[12:13], s[2:3]
	s_delay_alu instid0(SALU_CYCLE_1)
	s_add_nc_u64 s[0:1], s[2:3], 0xc4
	s_add_nc_u64 s[2:3], s[12:13], s[8:9]
.LBB45_54:                              ; =>This Inner Loop Header: Depth=1
	s_load_b96 s[8:10], s[2:3], 0x4
	s_add_co_i32 s4, s4, -1
	s_wait_xcnt 0x0
	s_add_nc_u64 s[2:3], s[2:3], 12
	s_cmp_lg_u32 s4, 0
	s_wait_kmcnt 0x0
	v_mul_hi_u32 v9, s9, v8
	s_delay_alu instid0(VALU_DEP_1) | instskip(NEXT) | instid1(VALU_DEP_1)
	v_add_nc_u32_e32 v9, v8, v9
	v_lshrrev_b32_e32 v9, s10, v9
	s_load_b64 s[10:11], s[0:1], 0x0
	s_wait_xcnt 0x0
	s_add_nc_u64 s[0:1], s[0:1], 8
	s_delay_alu instid0(VALU_DEP_1) | instskip(NEXT) | instid1(VALU_DEP_1)
	v_mul_lo_u32 v10, v9, s8
	v_sub_nc_u32_e32 v8, v8, v10
	s_wait_kmcnt 0x0
	s_delay_alu instid0(VALU_DEP_1)
	v_mad_u32 v7, v8, s11, v7
	v_mad_u32 v6, v8, s10, v6
	v_mov_b32_e32 v8, v9
	s_cbranch_scc1 .LBB45_54
.LBB45_55:
	s_and_not1_b32 vcc_lo, exec_lo, s6
	s_cbranch_vccnz .LBB45_58
; %bb.56:
	s_clause 0x1
	s_load_b96 s[0:2], s[12:13], 0x4
	s_load_b64 s[4:5], s[12:13], 0xc4
	s_cmp_lt_u32 s28, 2
	s_wait_kmcnt 0x0
	v_mul_hi_u32 v6, s1, v1
	s_delay_alu instid0(VALU_DEP_1) | instskip(NEXT) | instid1(VALU_DEP_1)
	v_add_nc_u32_e32 v6, v1, v6
	v_lshrrev_b32_e32 v8, s2, v6
	s_delay_alu instid0(VALU_DEP_1) | instskip(NEXT) | instid1(VALU_DEP_1)
	v_mul_lo_u32 v6, v8, s0
	v_sub_nc_u32_e32 v1, v1, v6
	s_delay_alu instid0(VALU_DEP_1)
	v_mul_lo_u32 v7, v1, s5
	v_mul_lo_u32 v6, v1, s4
	s_cbranch_scc1 .LBB45_58
; %bb.57:
	s_clause 0x1
	s_load_b96 s[0:2], s[12:13], 0x10
	s_load_b64 s[4:5], s[12:13], 0xcc
	s_wait_kmcnt 0x0
	v_mul_hi_u32 v1, s1, v8
	s_delay_alu instid0(VALU_DEP_1) | instskip(NEXT) | instid1(VALU_DEP_1)
	v_add_nc_u32_e32 v1, v8, v1
	v_lshrrev_b32_e32 v1, s2, v1
	s_delay_alu instid0(VALU_DEP_1) | instskip(NEXT) | instid1(VALU_DEP_1)
	v_mul_lo_u32 v1, v1, s0
	v_sub_nc_u32_e32 v1, v8, v1
	s_delay_alu instid0(VALU_DEP_1)
	v_mad_u32 v6, v1, s4, v6
	v_mad_u32 v7, v1, s5, v7
.LBB45_58:
	v_cmp_ne_u32_e32 vcc_lo, 1, v14
	v_add_nc_u32_e32 v1, 0x180, v0
	s_cbranch_vccnz .LBB45_64
; %bb.59:
	s_cmp_lg_u32 s28, 0
	s_mov_b32 s6, 0
	s_cbranch_scc0 .LBB45_65
; %bb.60:
	s_min_u32 s1, s29, 15
	s_delay_alu instid0(SALU_CYCLE_1)
	s_add_co_i32 s1, s1, 1
	s_cmp_eq_u32 s29, 2
	s_cbranch_scc1 .LBB45_66
; %bb.61:
	v_dual_mov_b32 v8, 0 :: v_dual_mov_b32 v9, 0
	v_mov_b32_e32 v10, v1
	s_and_b32 s0, s1, 28
	s_add_nc_u64 s[2:3], s[12:13], 0xc4
	s_mov_b32 s7, 0
	s_mov_b64 s[4:5], s[12:13]
.LBB45_62:                              ; =>This Inner Loop Header: Depth=1
	s_clause 0x1
	s_load_b256 s[16:23], s[4:5], 0x4
	s_load_b128 s[8:11], s[4:5], 0x24
	s_load_b256 s[36:43], s[2:3], 0x0
	s_add_co_i32 s7, s7, 4
	s_wait_xcnt 0x0
	s_add_nc_u64 s[4:5], s[4:5], 48
	s_cmp_lg_u32 s0, s7
	s_add_nc_u64 s[2:3], s[2:3], 32
	s_wait_kmcnt 0x0
	v_mul_hi_u32 v11, s17, v10
	s_delay_alu instid0(VALU_DEP_1) | instskip(NEXT) | instid1(VALU_DEP_1)
	v_add_nc_u32_e32 v11, v10, v11
	v_lshrrev_b32_e32 v11, s18, v11
	s_delay_alu instid0(VALU_DEP_1) | instskip(NEXT) | instid1(VALU_DEP_1)
	v_mul_hi_u32 v12, s20, v11
	v_add_nc_u32_e32 v12, v11, v12
	s_delay_alu instid0(VALU_DEP_1) | instskip(NEXT) | instid1(VALU_DEP_1)
	v_lshrrev_b32_e32 v12, s21, v12
	v_mul_hi_u32 v13, s23, v12
	s_delay_alu instid0(VALU_DEP_1) | instskip(SKIP_1) | instid1(VALU_DEP_1)
	v_add_nc_u32_e32 v13, v12, v13
	v_mul_lo_u32 v15, v11, s16
	v_sub_nc_u32_e32 v10, v10, v15
	v_mul_lo_u32 v15, v12, s19
	s_delay_alu instid0(VALU_DEP_4) | instskip(NEXT) | instid1(VALU_DEP_3)
	v_lshrrev_b32_e32 v13, s8, v13
	v_mad_u32 v9, v10, s37, v9
	v_mad_u32 v8, v10, s36, v8
	s_delay_alu instid0(VALU_DEP_4) | instskip(NEXT) | instid1(VALU_DEP_4)
	v_sub_nc_u32_e32 v10, v11, v15
	v_mul_hi_u32 v17, s10, v13
	v_mul_lo_u32 v11, v13, s22
	s_delay_alu instid0(VALU_DEP_3) | instskip(SKIP_1) | instid1(VALU_DEP_3)
	v_mad_u32 v9, v10, s39, v9
	v_mad_u32 v8, v10, s38, v8
	v_dual_add_nc_u32 v15, v13, v17 :: v_dual_sub_nc_u32 v11, v12, v11
	s_delay_alu instid0(VALU_DEP_1) | instskip(NEXT) | instid1(VALU_DEP_2)
	v_lshrrev_b32_e32 v10, s11, v15
	v_mad_u32 v9, v11, s41, v9
	s_delay_alu instid0(VALU_DEP_4) | instskip(NEXT) | instid1(VALU_DEP_3)
	v_mad_u32 v8, v11, s40, v8
	v_mul_lo_u32 v12, v10, s9
	s_delay_alu instid0(VALU_DEP_1) | instskip(NEXT) | instid1(VALU_DEP_1)
	v_sub_nc_u32_e32 v11, v13, v12
	v_mad_u32 v9, v11, s43, v9
	s_delay_alu instid0(VALU_DEP_4)
	v_mad_u32 v8, v11, s42, v8
	s_cbranch_scc1 .LBB45_62
; %bb.63:
	s_and_b32 s4, s1, 3
	s_mov_b32 s1, 0
	s_cmp_eq_u32 s4, 0
	s_cbranch_scc0 .LBB45_67
	s_branch .LBB45_69
.LBB45_64:
	s_mov_b32 s6, -1
                                        ; implicit-def: $vgpr9
	s_branch .LBB45_69
.LBB45_65:
	v_dual_mov_b32 v9, 0 :: v_dual_mov_b32 v8, 0
	s_branch .LBB45_69
.LBB45_66:
	v_mov_b64_e32 v[8:9], 0
	v_mov_b32_e32 v10, v1
	s_mov_b32 s0, 0
	s_and_b32 s4, s1, 3
	s_mov_b32 s1, 0
	s_cmp_eq_u32 s4, 0
	s_cbranch_scc1 .LBB45_69
.LBB45_67:
	s_lshl_b32 s2, s0, 3
	s_mov_b32 s3, s1
	s_mul_u64 s[8:9], s[0:1], 12
	s_add_nc_u64 s[2:3], s[12:13], s[2:3]
	s_delay_alu instid0(SALU_CYCLE_1)
	s_add_nc_u64 s[0:1], s[2:3], 0xc4
	s_add_nc_u64 s[2:3], s[12:13], s[8:9]
.LBB45_68:                              ; =>This Inner Loop Header: Depth=1
	s_load_b96 s[8:10], s[2:3], 0x4
	s_add_co_i32 s4, s4, -1
	s_wait_xcnt 0x0
	s_add_nc_u64 s[2:3], s[2:3], 12
	s_cmp_lg_u32 s4, 0
	s_wait_kmcnt 0x0
	v_mul_hi_u32 v11, s9, v10
	s_delay_alu instid0(VALU_DEP_1) | instskip(NEXT) | instid1(VALU_DEP_1)
	v_add_nc_u32_e32 v11, v10, v11
	v_lshrrev_b32_e32 v11, s10, v11
	s_load_b64 s[10:11], s[0:1], 0x0
	s_wait_xcnt 0x0
	s_add_nc_u64 s[0:1], s[0:1], 8
	s_delay_alu instid0(VALU_DEP_1) | instskip(NEXT) | instid1(VALU_DEP_1)
	v_mul_lo_u32 v12, v11, s8
	v_sub_nc_u32_e32 v10, v10, v12
	s_wait_kmcnt 0x0
	s_delay_alu instid0(VALU_DEP_1)
	v_mad_u32 v9, v10, s11, v9
	v_mad_u32 v8, v10, s10, v8
	v_mov_b32_e32 v10, v11
	s_cbranch_scc1 .LBB45_68
.LBB45_69:
	s_and_not1_b32 vcc_lo, exec_lo, s6
	s_cbranch_vccnz .LBB45_72
; %bb.70:
	s_clause 0x1
	s_load_b96 s[0:2], s[12:13], 0x4
	s_load_b64 s[4:5], s[12:13], 0xc4
	s_cmp_lt_u32 s28, 2
	s_wait_kmcnt 0x0
	v_mul_hi_u32 v8, s1, v1
	s_delay_alu instid0(VALU_DEP_1) | instskip(NEXT) | instid1(VALU_DEP_1)
	v_add_nc_u32_e32 v8, v1, v8
	v_lshrrev_b32_e32 v10, s2, v8
	s_delay_alu instid0(VALU_DEP_1) | instskip(NEXT) | instid1(VALU_DEP_1)
	v_mul_lo_u32 v8, v10, s0
	v_sub_nc_u32_e32 v1, v1, v8
	s_delay_alu instid0(VALU_DEP_1)
	v_mul_lo_u32 v9, v1, s5
	v_mul_lo_u32 v8, v1, s4
	s_cbranch_scc1 .LBB45_72
; %bb.71:
	s_clause 0x1
	s_load_b96 s[0:2], s[12:13], 0x10
	s_load_b64 s[4:5], s[12:13], 0xcc
	s_wait_kmcnt 0x0
	v_mul_hi_u32 v1, s1, v10
	s_delay_alu instid0(VALU_DEP_1) | instskip(NEXT) | instid1(VALU_DEP_1)
	v_add_nc_u32_e32 v1, v10, v1
	v_lshrrev_b32_e32 v1, s2, v1
	s_delay_alu instid0(VALU_DEP_1) | instskip(NEXT) | instid1(VALU_DEP_1)
	v_mul_lo_u32 v1, v1, s0
	v_sub_nc_u32_e32 v1, v10, v1
	s_delay_alu instid0(VALU_DEP_1)
	v_mad_u32 v8, v1, s4, v8
	v_mad_u32 v9, v1, s5, v9
.LBB45_72:
	v_cmp_ne_u32_e32 vcc_lo, 1, v14
	v_add_nc_u32_e32 v1, 0x200, v0
	s_cbranch_vccnz .LBB45_78
; %bb.73:
	s_cmp_lg_u32 s28, 0
	s_mov_b32 s6, 0
	s_cbranch_scc0 .LBB45_79
; %bb.74:
	s_min_u32 s1, s29, 15
	s_delay_alu instid0(SALU_CYCLE_1)
	s_add_co_i32 s1, s1, 1
	s_cmp_eq_u32 s29, 2
	s_cbranch_scc1 .LBB45_80
; %bb.75:
	v_dual_mov_b32 v10, 0 :: v_dual_mov_b32 v11, 0
	v_mov_b32_e32 v12, v1
	s_and_b32 s0, s1, 28
	s_add_nc_u64 s[2:3], s[12:13], 0xc4
	s_mov_b32 s7, 0
	s_mov_b64 s[4:5], s[12:13]
.LBB45_76:                              ; =>This Inner Loop Header: Depth=1
	s_clause 0x1
	s_load_b256 s[16:23], s[4:5], 0x4
	s_load_b128 s[8:11], s[4:5], 0x24
	s_load_b256 s[36:43], s[2:3], 0x0
	s_add_co_i32 s7, s7, 4
	s_wait_xcnt 0x0
	s_add_nc_u64 s[4:5], s[4:5], 48
	s_cmp_lg_u32 s0, s7
	s_add_nc_u64 s[2:3], s[2:3], 32
	s_wait_kmcnt 0x0
	v_mul_hi_u32 v13, s17, v12
	s_delay_alu instid0(VALU_DEP_1) | instskip(NEXT) | instid1(VALU_DEP_1)
	v_add_nc_u32_e32 v13, v12, v13
	v_lshrrev_b32_e32 v13, s18, v13
	s_delay_alu instid0(VALU_DEP_1) | instskip(NEXT) | instid1(VALU_DEP_1)
	v_mul_lo_u32 v18, v13, s16
	v_sub_nc_u32_e32 v12, v12, v18
	v_mul_hi_u32 v15, s20, v13
	s_delay_alu instid0(VALU_DEP_2) | instskip(SKIP_1) | instid1(VALU_DEP_3)
	v_mad_u32 v11, v12, s37, v11
	v_mad_u32 v10, v12, s36, v10
	v_add_nc_u32_e32 v15, v13, v15
	s_delay_alu instid0(VALU_DEP_1) | instskip(NEXT) | instid1(VALU_DEP_1)
	v_lshrrev_b32_e32 v15, s21, v15
	v_mul_hi_u32 v17, s23, v15
	v_mul_lo_u32 v18, v15, s19
	s_delay_alu instid0(VALU_DEP_1) | instskip(NEXT) | instid1(VALU_DEP_1)
	v_dual_add_nc_u32 v17, v15, v17 :: v_dual_sub_nc_u32 v12, v13, v18
	v_lshrrev_b32_e32 v17, s8, v17
	s_delay_alu instid0(VALU_DEP_2) | instskip(SKIP_1) | instid1(VALU_DEP_3)
	v_mad_u32 v11, v12, s39, v11
	v_mad_u32 v10, v12, s38, v10
	v_mul_hi_u32 v19, s10, v17
	v_mul_lo_u32 v13, v17, s22
	s_delay_alu instid0(VALU_DEP_1) | instskip(NEXT) | instid1(VALU_DEP_1)
	v_dual_add_nc_u32 v18, v17, v19 :: v_dual_sub_nc_u32 v13, v15, v13
	v_lshrrev_b32_e32 v12, s11, v18
	s_delay_alu instid0(VALU_DEP_2) | instskip(SKIP_1) | instid1(VALU_DEP_3)
	v_mad_u32 v11, v13, s41, v11
	v_mad_u32 v10, v13, s40, v10
	v_mul_lo_u32 v15, v12, s9
	s_delay_alu instid0(VALU_DEP_1) | instskip(NEXT) | instid1(VALU_DEP_1)
	v_sub_nc_u32_e32 v13, v17, v15
	v_mad_u32 v11, v13, s43, v11
	s_delay_alu instid0(VALU_DEP_4)
	v_mad_u32 v10, v13, s42, v10
	s_cbranch_scc1 .LBB45_76
; %bb.77:
	s_and_b32 s4, s1, 3
	s_mov_b32 s1, 0
	s_cmp_eq_u32 s4, 0
	s_cbranch_scc0 .LBB45_81
	s_branch .LBB45_83
.LBB45_78:
	s_mov_b32 s6, -1
                                        ; implicit-def: $vgpr11
	s_branch .LBB45_83
.LBB45_79:
	v_dual_mov_b32 v11, 0 :: v_dual_mov_b32 v10, 0
	s_branch .LBB45_83
.LBB45_80:
	v_mov_b64_e32 v[10:11], 0
	v_mov_b32_e32 v12, v1
	s_mov_b32 s0, 0
	s_and_b32 s4, s1, 3
	s_mov_b32 s1, 0
	s_cmp_eq_u32 s4, 0
	s_cbranch_scc1 .LBB45_83
.LBB45_81:
	s_lshl_b32 s2, s0, 3
	s_mov_b32 s3, s1
	s_mul_u64 s[8:9], s[0:1], 12
	s_add_nc_u64 s[2:3], s[12:13], s[2:3]
	s_delay_alu instid0(SALU_CYCLE_1)
	s_add_nc_u64 s[0:1], s[2:3], 0xc4
	s_add_nc_u64 s[2:3], s[12:13], s[8:9]
.LBB45_82:                              ; =>This Inner Loop Header: Depth=1
	s_load_b96 s[8:10], s[2:3], 0x4
	s_add_co_i32 s4, s4, -1
	s_wait_xcnt 0x0
	s_add_nc_u64 s[2:3], s[2:3], 12
	s_cmp_lg_u32 s4, 0
	s_wait_kmcnt 0x0
	v_mul_hi_u32 v13, s9, v12
	s_delay_alu instid0(VALU_DEP_1) | instskip(NEXT) | instid1(VALU_DEP_1)
	v_add_nc_u32_e32 v13, v12, v13
	v_lshrrev_b32_e32 v13, s10, v13
	s_load_b64 s[10:11], s[0:1], 0x0
	s_wait_xcnt 0x0
	s_add_nc_u64 s[0:1], s[0:1], 8
	s_delay_alu instid0(VALU_DEP_1) | instskip(NEXT) | instid1(VALU_DEP_1)
	v_mul_lo_u32 v15, v13, s8
	v_sub_nc_u32_e32 v12, v12, v15
	s_wait_kmcnt 0x0
	s_delay_alu instid0(VALU_DEP_1)
	v_mad_u32 v11, v12, s11, v11
	v_mad_u32 v10, v12, s10, v10
	v_mov_b32_e32 v12, v13
	s_cbranch_scc1 .LBB45_82
.LBB45_83:
	s_and_not1_b32 vcc_lo, exec_lo, s6
	s_cbranch_vccnz .LBB45_86
; %bb.84:
	s_clause 0x1
	s_load_b96 s[0:2], s[12:13], 0x4
	s_load_b64 s[4:5], s[12:13], 0xc4
	s_cmp_lt_u32 s28, 2
	s_wait_kmcnt 0x0
	v_mul_hi_u32 v10, s1, v1
	s_delay_alu instid0(VALU_DEP_1) | instskip(NEXT) | instid1(VALU_DEP_1)
	v_add_nc_u32_e32 v10, v1, v10
	v_lshrrev_b32_e32 v12, s2, v10
	s_delay_alu instid0(VALU_DEP_1) | instskip(NEXT) | instid1(VALU_DEP_1)
	v_mul_lo_u32 v10, v12, s0
	v_sub_nc_u32_e32 v1, v1, v10
	s_delay_alu instid0(VALU_DEP_1)
	v_mul_lo_u32 v11, v1, s5
	v_mul_lo_u32 v10, v1, s4
	s_cbranch_scc1 .LBB45_86
; %bb.85:
	s_clause 0x1
	s_load_b96 s[0:2], s[12:13], 0x10
	s_load_b64 s[4:5], s[12:13], 0xcc
	s_wait_kmcnt 0x0
	v_mul_hi_u32 v1, s1, v12
	s_delay_alu instid0(VALU_DEP_1) | instskip(NEXT) | instid1(VALU_DEP_1)
	v_add_nc_u32_e32 v1, v12, v1
	v_lshrrev_b32_e32 v1, s2, v1
	s_delay_alu instid0(VALU_DEP_1) | instskip(NEXT) | instid1(VALU_DEP_1)
	v_mul_lo_u32 v1, v1, s0
	v_sub_nc_u32_e32 v1, v12, v1
	s_delay_alu instid0(VALU_DEP_1)
	v_mad_u32 v10, v1, s4, v10
	v_mad_u32 v11, v1, s5, v11
.LBB45_86:
	v_cmp_ne_u32_e32 vcc_lo, 1, v14
	v_add_nc_u32_e32 v1, 0x280, v0
	s_cbranch_vccnz .LBB45_92
; %bb.87:
	s_cmp_lg_u32 s28, 0
	s_mov_b32 s6, 0
	s_cbranch_scc0 .LBB45_93
; %bb.88:
	s_min_u32 s1, s29, 15
	s_delay_alu instid0(SALU_CYCLE_1)
	s_add_co_i32 s1, s1, 1
	s_cmp_eq_u32 s29, 2
	s_cbranch_scc1 .LBB45_94
; %bb.89:
	v_dual_mov_b32 v12, 0 :: v_dual_mov_b32 v13, 0
	v_mov_b32_e32 v15, v1
	s_and_b32 s0, s1, 28
	s_add_nc_u64 s[2:3], s[12:13], 0xc4
	s_mov_b32 s7, 0
	s_mov_b64 s[4:5], s[12:13]
.LBB45_90:                              ; =>This Inner Loop Header: Depth=1
	s_clause 0x1
	s_load_b256 s[16:23], s[4:5], 0x4
	s_load_b128 s[8:11], s[4:5], 0x24
	s_load_b256 s[36:43], s[2:3], 0x0
	s_add_co_i32 s7, s7, 4
	s_wait_xcnt 0x0
	s_add_nc_u64 s[4:5], s[4:5], 48
	s_cmp_lg_u32 s0, s7
	s_add_nc_u64 s[2:3], s[2:3], 32
	s_wait_kmcnt 0x0
	v_mul_hi_u32 v17, s17, v15
	s_delay_alu instid0(VALU_DEP_1) | instskip(NEXT) | instid1(VALU_DEP_1)
	v_add_nc_u32_e32 v17, v15, v17
	v_lshrrev_b32_e32 v17, s18, v17
	s_delay_alu instid0(VALU_DEP_1) | instskip(NEXT) | instid1(VALU_DEP_1)
	v_mul_hi_u32 v18, s20, v17
	v_add_nc_u32_e32 v18, v17, v18
	s_delay_alu instid0(VALU_DEP_1) | instskip(NEXT) | instid1(VALU_DEP_1)
	v_lshrrev_b32_e32 v18, s21, v18
	v_mul_hi_u32 v19, s23, v18
	s_delay_alu instid0(VALU_DEP_1) | instskip(SKIP_1) | instid1(VALU_DEP_1)
	v_add_nc_u32_e32 v19, v18, v19
	v_mul_lo_u32 v20, v17, s16
	v_sub_nc_u32_e32 v15, v15, v20
	v_mul_lo_u32 v20, v18, s19
	s_delay_alu instid0(VALU_DEP_4) | instskip(NEXT) | instid1(VALU_DEP_3)
	v_lshrrev_b32_e32 v19, s8, v19
	v_mad_u32 v13, v15, s37, v13
	v_mad_u32 v12, v15, s36, v12
	s_delay_alu instid0(VALU_DEP_4) | instskip(NEXT) | instid1(VALU_DEP_4)
	v_sub_nc_u32_e32 v15, v17, v20
	v_mul_hi_u32 v21, s10, v19
	v_mul_lo_u32 v17, v19, s22
	s_delay_alu instid0(VALU_DEP_3) | instskip(SKIP_1) | instid1(VALU_DEP_4)
	v_mad_u32 v13, v15, s39, v13
	v_mad_u32 v12, v15, s38, v12
	v_add_nc_u32_e32 v20, v19, v21
	s_delay_alu instid0(VALU_DEP_1) | instskip(NEXT) | instid1(VALU_DEP_1)
	v_dual_sub_nc_u32 v17, v18, v17 :: v_dual_lshrrev_b32 v15, s11, v20
	v_mad_u32 v13, v17, s41, v13
	s_delay_alu instid0(VALU_DEP_4) | instskip(NEXT) | instid1(VALU_DEP_3)
	v_mad_u32 v12, v17, s40, v12
	v_mul_lo_u32 v18, v15, s9
	s_delay_alu instid0(VALU_DEP_1) | instskip(NEXT) | instid1(VALU_DEP_1)
	v_sub_nc_u32_e32 v17, v19, v18
	v_mad_u32 v13, v17, s43, v13
	s_delay_alu instid0(VALU_DEP_4)
	v_mad_u32 v12, v17, s42, v12
	s_cbranch_scc1 .LBB45_90
; %bb.91:
	s_and_b32 s4, s1, 3
	s_mov_b32 s1, 0
	s_cmp_eq_u32 s4, 0
	s_cbranch_scc0 .LBB45_95
	s_branch .LBB45_97
.LBB45_92:
	s_mov_b32 s6, -1
                                        ; implicit-def: $vgpr13
	s_branch .LBB45_97
.LBB45_93:
	v_dual_mov_b32 v13, 0 :: v_dual_mov_b32 v12, 0
	s_branch .LBB45_97
.LBB45_94:
	v_mov_b64_e32 v[12:13], 0
	v_mov_b32_e32 v15, v1
	s_mov_b32 s0, 0
	s_and_b32 s4, s1, 3
	s_mov_b32 s1, 0
	s_cmp_eq_u32 s4, 0
	s_cbranch_scc1 .LBB45_97
.LBB45_95:
	s_lshl_b32 s2, s0, 3
	s_mov_b32 s3, s1
	s_mul_u64 s[8:9], s[0:1], 12
	s_add_nc_u64 s[2:3], s[12:13], s[2:3]
	s_delay_alu instid0(SALU_CYCLE_1)
	s_add_nc_u64 s[0:1], s[2:3], 0xc4
	s_add_nc_u64 s[2:3], s[12:13], s[8:9]
.LBB45_96:                              ; =>This Inner Loop Header: Depth=1
	s_load_b96 s[8:10], s[2:3], 0x4
	s_add_co_i32 s4, s4, -1
	s_wait_xcnt 0x0
	s_add_nc_u64 s[2:3], s[2:3], 12
	s_cmp_lg_u32 s4, 0
	s_wait_kmcnt 0x0
	v_mul_hi_u32 v17, s9, v15
	s_delay_alu instid0(VALU_DEP_1) | instskip(NEXT) | instid1(VALU_DEP_1)
	v_add_nc_u32_e32 v17, v15, v17
	v_lshrrev_b32_e32 v17, s10, v17
	s_load_b64 s[10:11], s[0:1], 0x0
	s_wait_xcnt 0x0
	s_add_nc_u64 s[0:1], s[0:1], 8
	s_delay_alu instid0(VALU_DEP_1) | instskip(NEXT) | instid1(VALU_DEP_1)
	v_mul_lo_u32 v18, v17, s8
	v_sub_nc_u32_e32 v15, v15, v18
	s_wait_kmcnt 0x0
	s_delay_alu instid0(VALU_DEP_1)
	v_mad_u32 v13, v15, s11, v13
	v_mad_u32 v12, v15, s10, v12
	v_mov_b32_e32 v15, v17
	s_cbranch_scc1 .LBB45_96
.LBB45_97:
	s_and_not1_b32 vcc_lo, exec_lo, s6
	s_cbranch_vccnz .LBB45_100
; %bb.98:
	s_clause 0x1
	s_load_b96 s[0:2], s[12:13], 0x4
	s_load_b64 s[4:5], s[12:13], 0xc4
	s_cmp_lt_u32 s28, 2
	s_wait_kmcnt 0x0
	v_mul_hi_u32 v12, s1, v1
	s_delay_alu instid0(VALU_DEP_1) | instskip(NEXT) | instid1(VALU_DEP_1)
	v_add_nc_u32_e32 v12, v1, v12
	v_lshrrev_b32_e32 v15, s2, v12
	s_delay_alu instid0(VALU_DEP_1) | instskip(NEXT) | instid1(VALU_DEP_1)
	v_mul_lo_u32 v12, v15, s0
	v_sub_nc_u32_e32 v1, v1, v12
	s_delay_alu instid0(VALU_DEP_1)
	v_mul_lo_u32 v13, v1, s5
	v_mul_lo_u32 v12, v1, s4
	s_cbranch_scc1 .LBB45_100
; %bb.99:
	s_clause 0x1
	s_load_b96 s[0:2], s[12:13], 0x10
	s_load_b64 s[4:5], s[12:13], 0xcc
	s_wait_kmcnt 0x0
	v_mul_hi_u32 v1, s1, v15
	s_delay_alu instid0(VALU_DEP_1) | instskip(NEXT) | instid1(VALU_DEP_1)
	v_add_nc_u32_e32 v1, v15, v1
	v_lshrrev_b32_e32 v1, s2, v1
	s_delay_alu instid0(VALU_DEP_1) | instskip(NEXT) | instid1(VALU_DEP_1)
	v_mul_lo_u32 v1, v1, s0
	v_sub_nc_u32_e32 v1, v15, v1
	s_delay_alu instid0(VALU_DEP_1)
	v_mad_u32 v12, v1, s4, v12
	v_mad_u32 v13, v1, s5, v13
.LBB45_100:
	v_cmp_ne_u32_e32 vcc_lo, 1, v14
	v_add_nc_u32_e32 v15, 0x300, v0
	s_cbranch_vccnz .LBB45_106
; %bb.101:
	s_cmp_lg_u32 s28, 0
	s_mov_b32 s6, 0
	s_cbranch_scc0 .LBB45_107
; %bb.102:
	s_min_u32 s1, s29, 15
	s_delay_alu instid0(SALU_CYCLE_1)
	s_add_co_i32 s1, s1, 1
	s_cmp_eq_u32 s29, 2
	s_cbranch_scc1 .LBB45_108
; %bb.103:
	v_dual_mov_b32 v0, 0 :: v_dual_mov_b32 v1, 0
	v_mov_b32_e32 v17, v15
	s_and_b32 s0, s1, 28
	s_add_nc_u64 s[2:3], s[12:13], 0xc4
	s_mov_b32 s7, 0
	s_mov_b64 s[4:5], s[12:13]
.LBB45_104:                             ; =>This Inner Loop Header: Depth=1
	s_clause 0x1
	s_load_b256 s[16:23], s[4:5], 0x4
	s_load_b128 s[8:11], s[4:5], 0x24
	s_load_b256 s[36:43], s[2:3], 0x0
	s_add_co_i32 s7, s7, 4
	s_wait_xcnt 0x0
	s_add_nc_u64 s[4:5], s[4:5], 48
	s_cmp_lg_u32 s0, s7
	s_add_nc_u64 s[2:3], s[2:3], 32
	s_wait_kmcnt 0x0
	v_mul_hi_u32 v18, s17, v17
	s_delay_alu instid0(VALU_DEP_1) | instskip(NEXT) | instid1(VALU_DEP_1)
	v_add_nc_u32_e32 v18, v17, v18
	v_lshrrev_b32_e32 v18, s18, v18
	s_delay_alu instid0(VALU_DEP_1) | instskip(NEXT) | instid1(VALU_DEP_1)
	v_mul_hi_u32 v19, s20, v18
	v_add_nc_u32_e32 v19, v18, v19
	s_delay_alu instid0(VALU_DEP_1) | instskip(NEXT) | instid1(VALU_DEP_1)
	v_lshrrev_b32_e32 v19, s21, v19
	v_mul_hi_u32 v20, s23, v19
	s_delay_alu instid0(VALU_DEP_1) | instskip(SKIP_1) | instid1(VALU_DEP_1)
	v_add_nc_u32_e32 v20, v19, v20
	v_mul_lo_u32 v21, v18, s16
	v_sub_nc_u32_e32 v17, v17, v21
	v_mul_lo_u32 v21, v19, s19
	s_delay_alu instid0(VALU_DEP_4) | instskip(NEXT) | instid1(VALU_DEP_3)
	v_lshrrev_b32_e32 v20, s8, v20
	v_mad_u32 v1, v17, s37, v1
	v_mad_u32 v0, v17, s36, v0
	s_delay_alu instid0(VALU_DEP_4) | instskip(NEXT) | instid1(VALU_DEP_4)
	v_sub_nc_u32_e32 v17, v18, v21
	v_mul_hi_u32 v22, s10, v20
	v_mul_lo_u32 v18, v20, s22
	s_delay_alu instid0(VALU_DEP_3) | instskip(SKIP_1) | instid1(VALU_DEP_4)
	v_mad_u32 v1, v17, s39, v1
	v_mad_u32 v0, v17, s38, v0
	v_add_nc_u32_e32 v21, v20, v22
	s_delay_alu instid0(VALU_DEP_1) | instskip(NEXT) | instid1(VALU_DEP_1)
	v_dual_sub_nc_u32 v18, v19, v18 :: v_dual_lshrrev_b32 v17, s11, v21
	v_mad_u32 v1, v18, s41, v1
	s_delay_alu instid0(VALU_DEP_4) | instskip(NEXT) | instid1(VALU_DEP_3)
	v_mad_u32 v0, v18, s40, v0
	v_mul_lo_u32 v19, v17, s9
	s_delay_alu instid0(VALU_DEP_1) | instskip(NEXT) | instid1(VALU_DEP_1)
	v_sub_nc_u32_e32 v18, v20, v19
	v_mad_u32 v1, v18, s43, v1
	s_delay_alu instid0(VALU_DEP_4)
	v_mad_u32 v0, v18, s42, v0
	s_cbranch_scc1 .LBB45_104
; %bb.105:
	s_and_b32 s4, s1, 3
	s_mov_b32 s1, 0
	s_cmp_eq_u32 s4, 0
	s_cbranch_scc0 .LBB45_109
	s_branch .LBB45_111
.LBB45_106:
	s_mov_b32 s6, -1
                                        ; implicit-def: $vgpr1
	s_branch .LBB45_111
.LBB45_107:
	v_dual_mov_b32 v1, 0 :: v_dual_mov_b32 v0, 0
	s_branch .LBB45_111
.LBB45_108:
	v_mov_b64_e32 v[0:1], 0
	v_mov_b32_e32 v17, v15
	s_mov_b32 s0, 0
	s_and_b32 s4, s1, 3
	s_mov_b32 s1, 0
	s_cmp_eq_u32 s4, 0
	s_cbranch_scc1 .LBB45_111
.LBB45_109:
	s_lshl_b32 s2, s0, 3
	s_mov_b32 s3, s1
	s_mul_u64 s[8:9], s[0:1], 12
	s_add_nc_u64 s[2:3], s[12:13], s[2:3]
	s_delay_alu instid0(SALU_CYCLE_1)
	s_add_nc_u64 s[0:1], s[2:3], 0xc4
	s_add_nc_u64 s[2:3], s[12:13], s[8:9]
.LBB45_110:                             ; =>This Inner Loop Header: Depth=1
	s_load_b96 s[8:10], s[2:3], 0x4
	s_add_co_i32 s4, s4, -1
	s_wait_xcnt 0x0
	s_add_nc_u64 s[2:3], s[2:3], 12
	s_cmp_lg_u32 s4, 0
	s_wait_kmcnt 0x0
	v_mul_hi_u32 v18, s9, v17
	s_delay_alu instid0(VALU_DEP_1) | instskip(NEXT) | instid1(VALU_DEP_1)
	v_add_nc_u32_e32 v18, v17, v18
	v_lshrrev_b32_e32 v18, s10, v18
	s_load_b64 s[10:11], s[0:1], 0x0
	s_wait_xcnt 0x0
	s_add_nc_u64 s[0:1], s[0:1], 8
	s_delay_alu instid0(VALU_DEP_1) | instskip(NEXT) | instid1(VALU_DEP_1)
	v_mul_lo_u32 v19, v18, s8
	v_sub_nc_u32_e32 v17, v17, v19
	s_wait_kmcnt 0x0
	s_delay_alu instid0(VALU_DEP_1)
	v_mad_u32 v1, v17, s11, v1
	v_mad_u32 v0, v17, s10, v0
	v_mov_b32_e32 v17, v18
	s_cbranch_scc1 .LBB45_110
.LBB45_111:
	s_and_not1_b32 vcc_lo, exec_lo, s6
	s_cbranch_vccnz .LBB45_114
; %bb.112:
	s_clause 0x1
	s_load_b96 s[0:2], s[12:13], 0x4
	s_load_b64 s[4:5], s[12:13], 0xc4
	s_cmp_lt_u32 s28, 2
	s_wait_kmcnt 0x0
	v_mul_hi_u32 v0, s1, v15
	s_delay_alu instid0(VALU_DEP_1) | instskip(NEXT) | instid1(VALU_DEP_1)
	v_add_nc_u32_e32 v0, v15, v0
	v_lshrrev_b32_e32 v17, s2, v0
	s_delay_alu instid0(VALU_DEP_1) | instskip(NEXT) | instid1(VALU_DEP_1)
	v_mul_lo_u32 v0, v17, s0
	v_sub_nc_u32_e32 v0, v15, v0
	s_delay_alu instid0(VALU_DEP_1)
	v_mul_lo_u32 v1, v0, s5
	v_mul_lo_u32 v0, v0, s4
	s_cbranch_scc1 .LBB45_114
; %bb.113:
	s_clause 0x1
	s_load_b96 s[0:2], s[12:13], 0x10
	s_load_b64 s[4:5], s[12:13], 0xcc
	s_wait_kmcnt 0x0
	v_mul_hi_u32 v15, s1, v17
	s_delay_alu instid0(VALU_DEP_1) | instskip(NEXT) | instid1(VALU_DEP_1)
	v_add_nc_u32_e32 v15, v17, v15
	v_lshrrev_b32_e32 v15, s2, v15
	s_delay_alu instid0(VALU_DEP_1) | instskip(NEXT) | instid1(VALU_DEP_1)
	v_mul_lo_u32 v15, v15, s0
	v_sub_nc_u32_e32 v15, v17, v15
	s_delay_alu instid0(VALU_DEP_1)
	v_mad_u32 v0, v15, s4, v0
	v_mad_u32 v1, v15, s5, v1
.LBB45_114:
	v_cmp_ne_u32_e32 vcc_lo, 1, v14
	s_cbranch_vccnz .LBB45_120
; %bb.115:
	s_cmp_lg_u32 s28, 0
	s_mov_b32 s6, 0
	s_cbranch_scc0 .LBB45_121
; %bb.116:
	s_min_u32 s1, s29, 15
	s_delay_alu instid0(SALU_CYCLE_1)
	s_add_co_i32 s1, s1, 1
	s_cmp_eq_u32 s29, 2
	s_cbranch_scc1 .LBB45_122
; %bb.117:
	v_dual_mov_b32 v14, 0 :: v_dual_mov_b32 v15, 0
	v_mov_b32_e32 v17, v16
	s_and_b32 s0, s1, 28
	s_add_nc_u64 s[2:3], s[12:13], 0xc4
	s_mov_b32 s7, 0
	s_mov_b64 s[4:5], s[12:13]
.LBB45_118:                             ; =>This Inner Loop Header: Depth=1
	s_clause 0x1
	s_load_b256 s[16:23], s[4:5], 0x4
	s_load_b128 s[8:11], s[4:5], 0x24
	s_load_b256 s[36:43], s[2:3], 0x0
	s_add_co_i32 s7, s7, 4
	s_wait_xcnt 0x0
	s_add_nc_u64 s[4:5], s[4:5], 48
	s_cmp_lg_u32 s0, s7
	s_add_nc_u64 s[2:3], s[2:3], 32
	s_wait_kmcnt 0x0
	v_mul_hi_u32 v18, s17, v17
	s_delay_alu instid0(VALU_DEP_1) | instskip(NEXT) | instid1(VALU_DEP_1)
	v_add_nc_u32_e32 v18, v17, v18
	v_lshrrev_b32_e32 v18, s18, v18
	s_delay_alu instid0(VALU_DEP_1) | instskip(NEXT) | instid1(VALU_DEP_1)
	v_mul_hi_u32 v19, s20, v18
	v_add_nc_u32_e32 v19, v18, v19
	s_delay_alu instid0(VALU_DEP_1) | instskip(NEXT) | instid1(VALU_DEP_1)
	v_lshrrev_b32_e32 v19, s21, v19
	v_mul_hi_u32 v20, s23, v19
	s_delay_alu instid0(VALU_DEP_1) | instskip(SKIP_1) | instid1(VALU_DEP_1)
	v_add_nc_u32_e32 v20, v19, v20
	v_mul_lo_u32 v21, v18, s16
	v_sub_nc_u32_e32 v17, v17, v21
	v_mul_lo_u32 v21, v19, s19
	s_delay_alu instid0(VALU_DEP_4) | instskip(NEXT) | instid1(VALU_DEP_3)
	v_lshrrev_b32_e32 v20, s8, v20
	v_mad_u32 v15, v17, s37, v15
	v_mad_u32 v14, v17, s36, v14
	s_delay_alu instid0(VALU_DEP_4) | instskip(NEXT) | instid1(VALU_DEP_4)
	v_sub_nc_u32_e32 v17, v18, v21
	v_mul_hi_u32 v22, s10, v20
	v_mul_lo_u32 v18, v20, s22
	s_delay_alu instid0(VALU_DEP_3) | instskip(SKIP_1) | instid1(VALU_DEP_4)
	v_mad_u32 v15, v17, s39, v15
	v_mad_u32 v14, v17, s38, v14
	v_add_nc_u32_e32 v21, v20, v22
	s_delay_alu instid0(VALU_DEP_1) | instskip(NEXT) | instid1(VALU_DEP_1)
	v_dual_sub_nc_u32 v18, v19, v18 :: v_dual_lshrrev_b32 v17, s11, v21
	v_mad_u32 v15, v18, s41, v15
	s_delay_alu instid0(VALU_DEP_4) | instskip(NEXT) | instid1(VALU_DEP_3)
	v_mad_u32 v14, v18, s40, v14
	v_mul_lo_u32 v19, v17, s9
	s_delay_alu instid0(VALU_DEP_1) | instskip(NEXT) | instid1(VALU_DEP_1)
	v_sub_nc_u32_e32 v18, v20, v19
	v_mad_u32 v15, v18, s43, v15
	s_delay_alu instid0(VALU_DEP_4)
	v_mad_u32 v14, v18, s42, v14
	s_cbranch_scc1 .LBB45_118
; %bb.119:
	s_and_b32 s4, s1, 3
	s_mov_b32 s1, 0
	s_cmp_eq_u32 s4, 0
	s_cbranch_scc0 .LBB45_123
	s_branch .LBB45_125
.LBB45_120:
	s_mov_b32 s6, -1
                                        ; implicit-def: $vgpr15
	s_branch .LBB45_125
.LBB45_121:
	v_dual_mov_b32 v15, 0 :: v_dual_mov_b32 v14, 0
	s_branch .LBB45_125
.LBB45_122:
	v_mov_b64_e32 v[14:15], 0
	v_mov_b32_e32 v17, v16
	s_mov_b32 s0, 0
	s_and_b32 s4, s1, 3
	s_mov_b32 s1, 0
	s_cmp_eq_u32 s4, 0
	s_cbranch_scc1 .LBB45_125
.LBB45_123:
	s_lshl_b32 s2, s0, 3
	s_mov_b32 s3, s1
	s_mul_u64 s[8:9], s[0:1], 12
	s_add_nc_u64 s[2:3], s[12:13], s[2:3]
	s_delay_alu instid0(SALU_CYCLE_1)
	s_add_nc_u64 s[0:1], s[2:3], 0xc4
	s_add_nc_u64 s[2:3], s[12:13], s[8:9]
.LBB45_124:                             ; =>This Inner Loop Header: Depth=1
	s_load_b96 s[8:10], s[2:3], 0x4
	s_add_co_i32 s4, s4, -1
	s_wait_xcnt 0x0
	s_add_nc_u64 s[2:3], s[2:3], 12
	s_cmp_lg_u32 s4, 0
	s_wait_kmcnt 0x0
	v_mul_hi_u32 v18, s9, v17
	s_delay_alu instid0(VALU_DEP_1) | instskip(NEXT) | instid1(VALU_DEP_1)
	v_add_nc_u32_e32 v18, v17, v18
	v_lshrrev_b32_e32 v18, s10, v18
	s_load_b64 s[10:11], s[0:1], 0x0
	s_wait_xcnt 0x0
	s_add_nc_u64 s[0:1], s[0:1], 8
	s_delay_alu instid0(VALU_DEP_1) | instskip(NEXT) | instid1(VALU_DEP_1)
	v_mul_lo_u32 v19, v18, s8
	v_sub_nc_u32_e32 v17, v17, v19
	s_wait_kmcnt 0x0
	s_delay_alu instid0(VALU_DEP_1)
	v_mad_u32 v15, v17, s11, v15
	v_mad_u32 v14, v17, s10, v14
	v_mov_b32_e32 v17, v18
	s_cbranch_scc1 .LBB45_124
.LBB45_125:
	s_and_not1_b32 vcc_lo, exec_lo, s6
	s_cbranch_vccnz .LBB45_128
; %bb.126:
	s_clause 0x1
	s_load_b96 s[0:2], s[12:13], 0x4
	s_load_b64 s[4:5], s[12:13], 0xc4
	s_cmp_lt_u32 s28, 2
	s_wait_kmcnt 0x0
	v_mul_hi_u32 v14, s1, v16
	s_delay_alu instid0(VALU_DEP_1) | instskip(NEXT) | instid1(VALU_DEP_1)
	v_add_nc_u32_e32 v14, v16, v14
	v_lshrrev_b32_e32 v17, s2, v14
	s_delay_alu instid0(VALU_DEP_1) | instskip(NEXT) | instid1(VALU_DEP_1)
	v_mul_lo_u32 v14, v17, s0
	v_sub_nc_u32_e32 v14, v16, v14
	s_delay_alu instid0(VALU_DEP_1)
	v_mul_lo_u32 v15, v14, s5
	v_mul_lo_u32 v14, v14, s4
	s_cbranch_scc1 .LBB45_128
; %bb.127:
	s_clause 0x1
	s_load_b96 s[0:2], s[12:13], 0x10
	s_load_b64 s[4:5], s[12:13], 0xcc
	s_wait_kmcnt 0x0
	v_mul_hi_u32 v16, s1, v17
	s_delay_alu instid0(VALU_DEP_1) | instskip(NEXT) | instid1(VALU_DEP_1)
	v_add_nc_u32_e32 v16, v17, v16
	v_lshrrev_b32_e32 v16, s2, v16
	s_delay_alu instid0(VALU_DEP_1) | instskip(NEXT) | instid1(VALU_DEP_1)
	v_mul_lo_u32 v16, v16, s0
	v_sub_nc_u32_e32 v16, v17, v16
	s_delay_alu instid0(VALU_DEP_1)
	v_mad_u32 v14, v16, s4, v14
	v_mad_u32 v15, v16, s5, v15
.LBB45_128:
	s_load_b128 s[0:3], s[12:13], 0x148
	s_wait_kmcnt 0x0
	s_clause 0x7
	global_load_b32 v16, v3, s[2:3]
	global_load_b32 v17, v5, s[2:3]
	;; [unrolled: 1-line block ×8, first 2 shown]
	s_wait_loadcnt 0x7
	v_cmp_eq_f32_e32 vcc_lo, 0x7f800000, v16
	s_wait_xcnt 0x1
	v_cndmask_b32_e64 v1, 0, 1, vcc_lo
	s_wait_loadcnt 0x6
	v_cmp_eq_f32_e32 vcc_lo, 0x7f800000, v17
	v_cndmask_b32_e64 v3, 0, 1, vcc_lo
	s_wait_loadcnt 0x5
	v_cmp_eq_f32_e32 vcc_lo, 0x7f800000, v18
	;; [unrolled: 3-line block ×7, first 2 shown]
	s_wait_xcnt 0x0
	v_cndmask_b32_e64 v15, 0, 1, vcc_lo
	s_clause 0x7
	global_store_b8 v2, v1, s[0:1]
	global_store_b8 v4, v3, s[0:1]
	;; [unrolled: 1-line block ×8, first 2 shown]
	s_endpgm
.LBB45_129:
	v_dual_mov_b32 v3, 0 :: v_dual_mov_b32 v2, 0
	s_branch .LBB45_135
.LBB45_130:
	v_dual_mov_b32 v3, 0 :: v_dual_mov_b32 v2, 0
	s_branch .LBB45_151
.LBB45_131:
	v_mov_b64_e32 v[2:3], 0
	v_mov_b32_e32 v1, v0
	s_mov_b32 s22, 0
.LBB45_132:
	s_and_b32 s14, s14, 3
	s_mov_b32 s23, 0
	s_cmp_eq_u32 s14, 0
	s_cbranch_scc1 .LBB45_135
; %bb.133:
	s_lshl_b32 s24, s22, 3
	s_mov_b32 s25, s23
	s_mul_u64 s[26:27], s[22:23], 12
	s_add_nc_u64 s[24:25], s[12:13], s[24:25]
	s_delay_alu instid0(SALU_CYCLE_1)
	s_add_nc_u64 s[22:23], s[24:25], 0xc4
	s_add_nc_u64 s[24:25], s[12:13], s[26:27]
.LBB45_134:                             ; =>This Inner Loop Header: Depth=1
	s_load_b96 s[40:42], s[24:25], 0x4
	s_load_b64 s[26:27], s[22:23], 0x0
	s_add_co_i32 s14, s14, -1
	s_wait_xcnt 0x0
	s_add_nc_u64 s[24:25], s[24:25], 12
	s_cmp_lg_u32 s14, 0
	s_add_nc_u64 s[22:23], s[22:23], 8
	s_wait_kmcnt 0x0
	v_mul_hi_u32 v4, s41, v1
	s_delay_alu instid0(VALU_DEP_1) | instskip(NEXT) | instid1(VALU_DEP_1)
	v_add_nc_u32_e32 v4, v1, v4
	v_lshrrev_b32_e32 v4, s42, v4
	s_delay_alu instid0(VALU_DEP_1) | instskip(NEXT) | instid1(VALU_DEP_1)
	v_mul_lo_u32 v5, v4, s40
	v_sub_nc_u32_e32 v1, v1, v5
	s_delay_alu instid0(VALU_DEP_1)
	v_mad_u32 v3, v1, s27, v3
	v_mad_u32 v2, v1, s26, v2
	v_mov_b32_e32 v1, v4
	s_cbranch_scc1 .LBB45_134
.LBB45_135:
	s_cbranch_execnz .LBB45_138
.LBB45_136:
	v_mov_b32_e32 v1, 0
	s_and_not1_b32 vcc_lo, exec_lo, s33
	s_delay_alu instid0(VALU_DEP_1) | instskip(NEXT) | instid1(VALU_DEP_1)
	v_mul_u64_e32 v[2:3], s[16:17], v[0:1]
	v_add_nc_u32_e32 v2, v0, v3
	s_delay_alu instid0(VALU_DEP_1) | instskip(NEXT) | instid1(VALU_DEP_1)
	v_lshrrev_b32_e32 v4, s6, v2
	v_mul_lo_u32 v2, v4, s4
	s_delay_alu instid0(VALU_DEP_1) | instskip(NEXT) | instid1(VALU_DEP_1)
	v_sub_nc_u32_e32 v2, v0, v2
	v_mul_lo_u32 v3, v2, s9
	v_mul_lo_u32 v2, v2, s8
	s_cbranch_vccnz .LBB45_138
; %bb.137:
	v_mov_b32_e32 v5, v1
	s_delay_alu instid0(VALU_DEP_1) | instskip(NEXT) | instid1(VALU_DEP_1)
	v_mul_u64_e32 v[6:7], s[18:19], v[4:5]
	v_add_nc_u32_e32 v1, v4, v7
	s_delay_alu instid0(VALU_DEP_1) | instskip(NEXT) | instid1(VALU_DEP_1)
	v_lshrrev_b32_e32 v1, s15, v1
	v_mul_lo_u32 v1, v1, s7
	s_delay_alu instid0(VALU_DEP_1) | instskip(NEXT) | instid1(VALU_DEP_1)
	v_sub_nc_u32_e32 v1, v4, v1
	v_mad_u32 v2, v1, s10, v2
	v_mad_u32 v3, v1, s11, v3
.LBB45_138:
	global_load_b32 v1, v3, s[2:3]
	v_add_nc_u32_e32 v0, 0x80, v0
	s_wait_loadcnt 0x0
	v_cmp_eq_f32_e32 vcc_lo, 0x7f800000, v1
	v_cndmask_b32_e64 v1, 0, 1, vcc_lo
	global_store_b8 v2, v1, s[0:1]
	s_wait_xcnt 0x0
	s_or_b32 exec_lo, exec_lo, s5
	s_delay_alu instid0(SALU_CYCLE_1)
	s_mov_b32 s5, exec_lo
	v_cmpx_gt_i32_e64 s34, v0
	s_cbranch_execnz .LBB45_15
.LBB45_139:
	s_or_b32 exec_lo, exec_lo, s5
	s_delay_alu instid0(SALU_CYCLE_1)
	s_mov_b32 s5, exec_lo
	v_cmpx_gt_i32_e64 s34, v0
	s_cbranch_execz .LBB45_155
.LBB45_140:
	s_and_not1_b32 vcc_lo, exec_lo, s30
	s_cbranch_vccnz .LBB45_145
; %bb.141:
	s_and_not1_b32 vcc_lo, exec_lo, s36
	s_cbranch_vccnz .LBB45_146
; %bb.142:
	s_add_co_i32 s14, s35, 1
	s_cmp_eq_u32 s29, 2
	s_cbranch_scc1 .LBB45_163
; %bb.143:
	v_dual_mov_b32 v2, 0 :: v_dual_mov_b32 v3, 0
	v_mov_b32_e32 v1, v0
	s_and_b32 s22, s14, 28
	s_mov_b32 s23, 0
	s_mov_b64 s[24:25], s[12:13]
	s_mov_b64 s[26:27], s[20:21]
.LBB45_144:                             ; =>This Inner Loop Header: Depth=1
	s_clause 0x1
	s_load_b256 s[40:47], s[24:25], 0x4
	s_load_b128 s[56:59], s[24:25], 0x24
	s_load_b256 s[48:55], s[26:27], 0x0
	s_add_co_i32 s23, s23, 4
	s_wait_xcnt 0x0
	s_add_nc_u64 s[24:25], s[24:25], 48
	s_cmp_eq_u32 s22, s23
	s_add_nc_u64 s[26:27], s[26:27], 32
	s_wait_kmcnt 0x0
	v_mul_hi_u32 v4, s41, v1
	s_delay_alu instid0(VALU_DEP_1) | instskip(NEXT) | instid1(VALU_DEP_1)
	v_add_nc_u32_e32 v4, v1, v4
	v_lshrrev_b32_e32 v4, s42, v4
	s_delay_alu instid0(VALU_DEP_1) | instskip(NEXT) | instid1(VALU_DEP_1)
	v_mul_hi_u32 v5, s44, v4
	v_add_nc_u32_e32 v5, v4, v5
	s_delay_alu instid0(VALU_DEP_1) | instskip(NEXT) | instid1(VALU_DEP_1)
	v_lshrrev_b32_e32 v5, s45, v5
	v_mul_hi_u32 v6, s47, v5
	s_delay_alu instid0(VALU_DEP_1) | instskip(SKIP_1) | instid1(VALU_DEP_1)
	v_add_nc_u32_e32 v6, v5, v6
	v_mul_lo_u32 v7, v4, s40
	v_sub_nc_u32_e32 v1, v1, v7
	v_mul_lo_u32 v7, v5, s43
	s_delay_alu instid0(VALU_DEP_4) | instskip(NEXT) | instid1(VALU_DEP_3)
	v_lshrrev_b32_e32 v6, s56, v6
	v_mad_u32 v3, v1, s49, v3
	v_mad_u32 v1, v1, s48, v2
	s_delay_alu instid0(VALU_DEP_4) | instskip(NEXT) | instid1(VALU_DEP_4)
	v_sub_nc_u32_e32 v2, v4, v7
	v_mul_hi_u32 v8, s58, v6
	v_mul_lo_u32 v4, v6, s46
	s_delay_alu instid0(VALU_DEP_3) | instskip(SKIP_1) | instid1(VALU_DEP_4)
	v_mad_u32 v3, v2, s51, v3
	v_mad_u32 v2, v2, s50, v1
	v_add_nc_u32_e32 v7, v6, v8
	s_delay_alu instid0(VALU_DEP_1) | instskip(NEXT) | instid1(VALU_DEP_1)
	v_dual_sub_nc_u32 v4, v5, v4 :: v_dual_lshrrev_b32 v1, s59, v7
	v_mad_u32 v3, v4, s53, v3
	s_delay_alu instid0(VALU_DEP_4) | instskip(NEXT) | instid1(VALU_DEP_3)
	v_mad_u32 v2, v4, s52, v2
	v_mul_lo_u32 v5, v1, s57
	s_delay_alu instid0(VALU_DEP_1) | instskip(NEXT) | instid1(VALU_DEP_1)
	v_sub_nc_u32_e32 v4, v6, v5
	v_mad_u32 v3, v4, s55, v3
	s_delay_alu instid0(VALU_DEP_4)
	v_mad_u32 v2, v4, s54, v2
	s_cbranch_scc0 .LBB45_144
	s_branch .LBB45_164
.LBB45_145:
                                        ; implicit-def: $vgpr3
	s_branch .LBB45_168
.LBB45_146:
	v_dual_mov_b32 v3, 0 :: v_dual_mov_b32 v2, 0
	s_branch .LBB45_167
.LBB45_147:
	v_mov_b64_e32 v[2:3], 0
	v_mov_b32_e32 v1, v0
	s_mov_b32 s22, 0
.LBB45_148:
	s_and_b32 s14, s14, 3
	s_mov_b32 s23, 0
	s_cmp_eq_u32 s14, 0
	s_cbranch_scc1 .LBB45_151
; %bb.149:
	s_lshl_b32 s24, s22, 3
	s_mov_b32 s25, s23
	s_mul_u64 s[26:27], s[22:23], 12
	s_add_nc_u64 s[24:25], s[12:13], s[24:25]
	s_delay_alu instid0(SALU_CYCLE_1)
	s_add_nc_u64 s[22:23], s[24:25], 0xc4
	s_add_nc_u64 s[24:25], s[12:13], s[26:27]
.LBB45_150:                             ; =>This Inner Loop Header: Depth=1
	s_load_b96 s[40:42], s[24:25], 0x4
	s_load_b64 s[26:27], s[22:23], 0x0
	s_add_co_i32 s14, s14, -1
	s_wait_xcnt 0x0
	s_add_nc_u64 s[24:25], s[24:25], 12
	s_cmp_lg_u32 s14, 0
	s_add_nc_u64 s[22:23], s[22:23], 8
	s_wait_kmcnt 0x0
	v_mul_hi_u32 v4, s41, v1
	s_delay_alu instid0(VALU_DEP_1) | instskip(NEXT) | instid1(VALU_DEP_1)
	v_add_nc_u32_e32 v4, v1, v4
	v_lshrrev_b32_e32 v4, s42, v4
	s_delay_alu instid0(VALU_DEP_1) | instskip(NEXT) | instid1(VALU_DEP_1)
	v_mul_lo_u32 v5, v4, s40
	v_sub_nc_u32_e32 v1, v1, v5
	s_delay_alu instid0(VALU_DEP_1)
	v_mad_u32 v3, v1, s27, v3
	v_mad_u32 v2, v1, s26, v2
	v_mov_b32_e32 v1, v4
	s_cbranch_scc1 .LBB45_150
.LBB45_151:
	s_cbranch_execnz .LBB45_154
.LBB45_152:
	v_mov_b32_e32 v1, 0
	s_and_not1_b32 vcc_lo, exec_lo, s33
	s_delay_alu instid0(VALU_DEP_1) | instskip(NEXT) | instid1(VALU_DEP_1)
	v_mul_u64_e32 v[2:3], s[16:17], v[0:1]
	v_add_nc_u32_e32 v2, v0, v3
	s_delay_alu instid0(VALU_DEP_1) | instskip(NEXT) | instid1(VALU_DEP_1)
	v_lshrrev_b32_e32 v4, s6, v2
	v_mul_lo_u32 v2, v4, s4
	s_delay_alu instid0(VALU_DEP_1) | instskip(NEXT) | instid1(VALU_DEP_1)
	v_sub_nc_u32_e32 v2, v0, v2
	v_mul_lo_u32 v3, v2, s9
	v_mul_lo_u32 v2, v2, s8
	s_cbranch_vccnz .LBB45_154
; %bb.153:
	v_mov_b32_e32 v5, v1
	s_delay_alu instid0(VALU_DEP_1) | instskip(NEXT) | instid1(VALU_DEP_1)
	v_mul_u64_e32 v[6:7], s[18:19], v[4:5]
	v_add_nc_u32_e32 v1, v4, v7
	s_delay_alu instid0(VALU_DEP_1) | instskip(NEXT) | instid1(VALU_DEP_1)
	v_lshrrev_b32_e32 v1, s15, v1
	v_mul_lo_u32 v1, v1, s7
	s_delay_alu instid0(VALU_DEP_1) | instskip(NEXT) | instid1(VALU_DEP_1)
	v_sub_nc_u32_e32 v1, v4, v1
	v_mad_u32 v2, v1, s10, v2
	v_mad_u32 v3, v1, s11, v3
.LBB45_154:
	global_load_b32 v1, v3, s[2:3]
	v_add_nc_u32_e32 v0, 0x80, v0
	s_wait_loadcnt 0x0
	v_cmp_eq_f32_e32 vcc_lo, 0x7f800000, v1
	v_cndmask_b32_e64 v1, 0, 1, vcc_lo
	global_store_b8 v2, v1, s[0:1]
	s_wait_xcnt 0x0
	s_or_b32 exec_lo, exec_lo, s5
	s_delay_alu instid0(SALU_CYCLE_1)
	s_mov_b32 s5, exec_lo
	v_cmpx_gt_i32_e64 s34, v0
	s_cbranch_execnz .LBB45_140
.LBB45_155:
	s_or_b32 exec_lo, exec_lo, s5
	s_delay_alu instid0(SALU_CYCLE_1)
	s_mov_b32 s5, exec_lo
	v_cmpx_gt_i32_e64 s34, v0
	s_cbranch_execz .LBB45_171
.LBB45_156:
	s_and_not1_b32 vcc_lo, exec_lo, s30
	s_cbranch_vccnz .LBB45_161
; %bb.157:
	s_and_not1_b32 vcc_lo, exec_lo, s36
	s_cbranch_vccnz .LBB45_162
; %bb.158:
	s_add_co_i32 s14, s35, 1
	s_cmp_eq_u32 s29, 2
	s_cbranch_scc1 .LBB45_179
; %bb.159:
	v_dual_mov_b32 v2, 0 :: v_dual_mov_b32 v3, 0
	v_mov_b32_e32 v1, v0
	s_and_b32 s22, s14, 28
	s_mov_b32 s23, 0
	s_mov_b64 s[24:25], s[12:13]
	s_mov_b64 s[26:27], s[20:21]
.LBB45_160:                             ; =>This Inner Loop Header: Depth=1
	s_clause 0x1
	s_load_b256 s[40:47], s[24:25], 0x4
	s_load_b128 s[56:59], s[24:25], 0x24
	s_load_b256 s[48:55], s[26:27], 0x0
	s_add_co_i32 s23, s23, 4
	s_wait_xcnt 0x0
	s_add_nc_u64 s[24:25], s[24:25], 48
	s_cmp_eq_u32 s22, s23
	s_add_nc_u64 s[26:27], s[26:27], 32
	s_wait_kmcnt 0x0
	v_mul_hi_u32 v4, s41, v1
	s_delay_alu instid0(VALU_DEP_1) | instskip(NEXT) | instid1(VALU_DEP_1)
	v_add_nc_u32_e32 v4, v1, v4
	v_lshrrev_b32_e32 v4, s42, v4
	s_delay_alu instid0(VALU_DEP_1) | instskip(NEXT) | instid1(VALU_DEP_1)
	v_mul_hi_u32 v5, s44, v4
	v_add_nc_u32_e32 v5, v4, v5
	s_delay_alu instid0(VALU_DEP_1) | instskip(NEXT) | instid1(VALU_DEP_1)
	v_lshrrev_b32_e32 v5, s45, v5
	v_mul_hi_u32 v6, s47, v5
	s_delay_alu instid0(VALU_DEP_1) | instskip(SKIP_1) | instid1(VALU_DEP_1)
	v_add_nc_u32_e32 v6, v5, v6
	v_mul_lo_u32 v7, v4, s40
	v_sub_nc_u32_e32 v1, v1, v7
	v_mul_lo_u32 v7, v5, s43
	s_delay_alu instid0(VALU_DEP_4) | instskip(NEXT) | instid1(VALU_DEP_3)
	v_lshrrev_b32_e32 v6, s56, v6
	v_mad_u32 v3, v1, s49, v3
	v_mad_u32 v1, v1, s48, v2
	s_delay_alu instid0(VALU_DEP_4) | instskip(NEXT) | instid1(VALU_DEP_4)
	v_sub_nc_u32_e32 v2, v4, v7
	v_mul_hi_u32 v8, s58, v6
	v_mul_lo_u32 v4, v6, s46
	s_delay_alu instid0(VALU_DEP_3) | instskip(SKIP_1) | instid1(VALU_DEP_4)
	v_mad_u32 v3, v2, s51, v3
	v_mad_u32 v2, v2, s50, v1
	v_add_nc_u32_e32 v7, v6, v8
	s_delay_alu instid0(VALU_DEP_1) | instskip(NEXT) | instid1(VALU_DEP_1)
	v_dual_sub_nc_u32 v4, v5, v4 :: v_dual_lshrrev_b32 v1, s59, v7
	v_mad_u32 v3, v4, s53, v3
	s_delay_alu instid0(VALU_DEP_4) | instskip(NEXT) | instid1(VALU_DEP_3)
	v_mad_u32 v2, v4, s52, v2
	v_mul_lo_u32 v5, v1, s57
	s_delay_alu instid0(VALU_DEP_1) | instskip(NEXT) | instid1(VALU_DEP_1)
	v_sub_nc_u32_e32 v4, v6, v5
	v_mad_u32 v3, v4, s55, v3
	s_delay_alu instid0(VALU_DEP_4)
	v_mad_u32 v2, v4, s54, v2
	s_cbranch_scc0 .LBB45_160
	s_branch .LBB45_180
.LBB45_161:
                                        ; implicit-def: $vgpr3
	s_branch .LBB45_184
.LBB45_162:
	v_dual_mov_b32 v3, 0 :: v_dual_mov_b32 v2, 0
	s_branch .LBB45_183
.LBB45_163:
	v_mov_b64_e32 v[2:3], 0
	v_mov_b32_e32 v1, v0
	s_mov_b32 s22, 0
.LBB45_164:
	s_and_b32 s14, s14, 3
	s_mov_b32 s23, 0
	s_cmp_eq_u32 s14, 0
	s_cbranch_scc1 .LBB45_167
; %bb.165:
	s_lshl_b32 s24, s22, 3
	s_mov_b32 s25, s23
	s_mul_u64 s[26:27], s[22:23], 12
	s_add_nc_u64 s[24:25], s[12:13], s[24:25]
	s_delay_alu instid0(SALU_CYCLE_1)
	s_add_nc_u64 s[22:23], s[24:25], 0xc4
	s_add_nc_u64 s[24:25], s[12:13], s[26:27]
.LBB45_166:                             ; =>This Inner Loop Header: Depth=1
	s_load_b96 s[40:42], s[24:25], 0x4
	s_load_b64 s[26:27], s[22:23], 0x0
	s_add_co_i32 s14, s14, -1
	s_wait_xcnt 0x0
	s_add_nc_u64 s[24:25], s[24:25], 12
	s_cmp_lg_u32 s14, 0
	s_add_nc_u64 s[22:23], s[22:23], 8
	s_wait_kmcnt 0x0
	v_mul_hi_u32 v4, s41, v1
	s_delay_alu instid0(VALU_DEP_1) | instskip(NEXT) | instid1(VALU_DEP_1)
	v_add_nc_u32_e32 v4, v1, v4
	v_lshrrev_b32_e32 v4, s42, v4
	s_delay_alu instid0(VALU_DEP_1) | instskip(NEXT) | instid1(VALU_DEP_1)
	v_mul_lo_u32 v5, v4, s40
	v_sub_nc_u32_e32 v1, v1, v5
	s_delay_alu instid0(VALU_DEP_1)
	v_mad_u32 v3, v1, s27, v3
	v_mad_u32 v2, v1, s26, v2
	v_mov_b32_e32 v1, v4
	s_cbranch_scc1 .LBB45_166
.LBB45_167:
	s_cbranch_execnz .LBB45_170
.LBB45_168:
	v_mov_b32_e32 v1, 0
	s_and_not1_b32 vcc_lo, exec_lo, s33
	s_delay_alu instid0(VALU_DEP_1) | instskip(NEXT) | instid1(VALU_DEP_1)
	v_mul_u64_e32 v[2:3], s[16:17], v[0:1]
	v_add_nc_u32_e32 v2, v0, v3
	s_delay_alu instid0(VALU_DEP_1) | instskip(NEXT) | instid1(VALU_DEP_1)
	v_lshrrev_b32_e32 v4, s6, v2
	v_mul_lo_u32 v2, v4, s4
	s_delay_alu instid0(VALU_DEP_1) | instskip(NEXT) | instid1(VALU_DEP_1)
	v_sub_nc_u32_e32 v2, v0, v2
	v_mul_lo_u32 v3, v2, s9
	v_mul_lo_u32 v2, v2, s8
	s_cbranch_vccnz .LBB45_170
; %bb.169:
	v_mov_b32_e32 v5, v1
	s_delay_alu instid0(VALU_DEP_1) | instskip(NEXT) | instid1(VALU_DEP_1)
	v_mul_u64_e32 v[6:7], s[18:19], v[4:5]
	v_add_nc_u32_e32 v1, v4, v7
	s_delay_alu instid0(VALU_DEP_1) | instskip(NEXT) | instid1(VALU_DEP_1)
	v_lshrrev_b32_e32 v1, s15, v1
	v_mul_lo_u32 v1, v1, s7
	s_delay_alu instid0(VALU_DEP_1) | instskip(NEXT) | instid1(VALU_DEP_1)
	v_sub_nc_u32_e32 v1, v4, v1
	v_mad_u32 v2, v1, s10, v2
	v_mad_u32 v3, v1, s11, v3
.LBB45_170:
	global_load_b32 v1, v3, s[2:3]
	v_add_nc_u32_e32 v0, 0x80, v0
	s_wait_loadcnt 0x0
	v_cmp_eq_f32_e32 vcc_lo, 0x7f800000, v1
	v_cndmask_b32_e64 v1, 0, 1, vcc_lo
	global_store_b8 v2, v1, s[0:1]
	s_wait_xcnt 0x0
	s_or_b32 exec_lo, exec_lo, s5
	s_delay_alu instid0(SALU_CYCLE_1)
	s_mov_b32 s5, exec_lo
	v_cmpx_gt_i32_e64 s34, v0
	s_cbranch_execnz .LBB45_156
.LBB45_171:
	s_or_b32 exec_lo, exec_lo, s5
	s_delay_alu instid0(SALU_CYCLE_1)
	s_mov_b32 s5, exec_lo
	v_cmpx_gt_i32_e64 s34, v0
	s_cbranch_execz .LBB45_187
.LBB45_172:
	s_and_not1_b32 vcc_lo, exec_lo, s30
	s_cbranch_vccnz .LBB45_177
; %bb.173:
	s_and_not1_b32 vcc_lo, exec_lo, s36
	s_cbranch_vccnz .LBB45_178
; %bb.174:
	s_add_co_i32 s14, s35, 1
	s_cmp_eq_u32 s29, 2
	s_cbranch_scc1 .LBB45_195
; %bb.175:
	v_dual_mov_b32 v2, 0 :: v_dual_mov_b32 v3, 0
	v_mov_b32_e32 v1, v0
	s_and_b32 s22, s14, 28
	s_mov_b32 s23, 0
	s_mov_b64 s[24:25], s[12:13]
	s_mov_b64 s[26:27], s[20:21]
.LBB45_176:                             ; =>This Inner Loop Header: Depth=1
	s_clause 0x1
	s_load_b256 s[40:47], s[24:25], 0x4
	s_load_b128 s[56:59], s[24:25], 0x24
	s_load_b256 s[48:55], s[26:27], 0x0
	s_add_co_i32 s23, s23, 4
	s_wait_xcnt 0x0
	s_add_nc_u64 s[24:25], s[24:25], 48
	s_cmp_eq_u32 s22, s23
	s_add_nc_u64 s[26:27], s[26:27], 32
	s_wait_kmcnt 0x0
	v_mul_hi_u32 v4, s41, v1
	s_delay_alu instid0(VALU_DEP_1) | instskip(NEXT) | instid1(VALU_DEP_1)
	v_add_nc_u32_e32 v4, v1, v4
	v_lshrrev_b32_e32 v4, s42, v4
	s_delay_alu instid0(VALU_DEP_1) | instskip(NEXT) | instid1(VALU_DEP_1)
	v_mul_hi_u32 v5, s44, v4
	v_add_nc_u32_e32 v5, v4, v5
	s_delay_alu instid0(VALU_DEP_1) | instskip(NEXT) | instid1(VALU_DEP_1)
	v_lshrrev_b32_e32 v5, s45, v5
	v_mul_hi_u32 v6, s47, v5
	s_delay_alu instid0(VALU_DEP_1) | instskip(SKIP_1) | instid1(VALU_DEP_1)
	v_add_nc_u32_e32 v6, v5, v6
	v_mul_lo_u32 v7, v4, s40
	v_sub_nc_u32_e32 v1, v1, v7
	v_mul_lo_u32 v7, v5, s43
	s_delay_alu instid0(VALU_DEP_4) | instskip(NEXT) | instid1(VALU_DEP_3)
	v_lshrrev_b32_e32 v6, s56, v6
	v_mad_u32 v3, v1, s49, v3
	v_mad_u32 v1, v1, s48, v2
	s_delay_alu instid0(VALU_DEP_4) | instskip(NEXT) | instid1(VALU_DEP_4)
	v_sub_nc_u32_e32 v2, v4, v7
	v_mul_hi_u32 v8, s58, v6
	v_mul_lo_u32 v4, v6, s46
	s_delay_alu instid0(VALU_DEP_3) | instskip(SKIP_1) | instid1(VALU_DEP_4)
	v_mad_u32 v3, v2, s51, v3
	v_mad_u32 v2, v2, s50, v1
	v_add_nc_u32_e32 v7, v6, v8
	s_delay_alu instid0(VALU_DEP_1) | instskip(NEXT) | instid1(VALU_DEP_1)
	v_dual_sub_nc_u32 v4, v5, v4 :: v_dual_lshrrev_b32 v1, s59, v7
	v_mad_u32 v3, v4, s53, v3
	s_delay_alu instid0(VALU_DEP_4) | instskip(NEXT) | instid1(VALU_DEP_3)
	v_mad_u32 v2, v4, s52, v2
	v_mul_lo_u32 v5, v1, s57
	s_delay_alu instid0(VALU_DEP_1) | instskip(NEXT) | instid1(VALU_DEP_1)
	v_sub_nc_u32_e32 v4, v6, v5
	v_mad_u32 v3, v4, s55, v3
	s_delay_alu instid0(VALU_DEP_4)
	v_mad_u32 v2, v4, s54, v2
	s_cbranch_scc0 .LBB45_176
	s_branch .LBB45_196
.LBB45_177:
                                        ; implicit-def: $vgpr3
	s_branch .LBB45_200
.LBB45_178:
	v_dual_mov_b32 v3, 0 :: v_dual_mov_b32 v2, 0
	s_branch .LBB45_199
.LBB45_179:
	v_mov_b64_e32 v[2:3], 0
	v_mov_b32_e32 v1, v0
	s_mov_b32 s22, 0
.LBB45_180:
	s_and_b32 s14, s14, 3
	s_mov_b32 s23, 0
	s_cmp_eq_u32 s14, 0
	s_cbranch_scc1 .LBB45_183
; %bb.181:
	s_lshl_b32 s24, s22, 3
	s_mov_b32 s25, s23
	s_mul_u64 s[26:27], s[22:23], 12
	s_add_nc_u64 s[24:25], s[12:13], s[24:25]
	s_delay_alu instid0(SALU_CYCLE_1)
	s_add_nc_u64 s[22:23], s[24:25], 0xc4
	s_add_nc_u64 s[24:25], s[12:13], s[26:27]
.LBB45_182:                             ; =>This Inner Loop Header: Depth=1
	s_load_b96 s[40:42], s[24:25], 0x4
	s_load_b64 s[26:27], s[22:23], 0x0
	s_add_co_i32 s14, s14, -1
	s_wait_xcnt 0x0
	s_add_nc_u64 s[24:25], s[24:25], 12
	s_cmp_lg_u32 s14, 0
	s_add_nc_u64 s[22:23], s[22:23], 8
	s_wait_kmcnt 0x0
	v_mul_hi_u32 v4, s41, v1
	s_delay_alu instid0(VALU_DEP_1) | instskip(NEXT) | instid1(VALU_DEP_1)
	v_add_nc_u32_e32 v4, v1, v4
	v_lshrrev_b32_e32 v4, s42, v4
	s_delay_alu instid0(VALU_DEP_1) | instskip(NEXT) | instid1(VALU_DEP_1)
	v_mul_lo_u32 v5, v4, s40
	v_sub_nc_u32_e32 v1, v1, v5
	s_delay_alu instid0(VALU_DEP_1)
	v_mad_u32 v3, v1, s27, v3
	v_mad_u32 v2, v1, s26, v2
	v_mov_b32_e32 v1, v4
	s_cbranch_scc1 .LBB45_182
.LBB45_183:
	s_cbranch_execnz .LBB45_186
.LBB45_184:
	v_mov_b32_e32 v1, 0
	s_and_not1_b32 vcc_lo, exec_lo, s33
	s_delay_alu instid0(VALU_DEP_1) | instskip(NEXT) | instid1(VALU_DEP_1)
	v_mul_u64_e32 v[2:3], s[16:17], v[0:1]
	v_add_nc_u32_e32 v2, v0, v3
	s_delay_alu instid0(VALU_DEP_1) | instskip(NEXT) | instid1(VALU_DEP_1)
	v_lshrrev_b32_e32 v4, s6, v2
	v_mul_lo_u32 v2, v4, s4
	s_delay_alu instid0(VALU_DEP_1) | instskip(NEXT) | instid1(VALU_DEP_1)
	v_sub_nc_u32_e32 v2, v0, v2
	v_mul_lo_u32 v3, v2, s9
	v_mul_lo_u32 v2, v2, s8
	s_cbranch_vccnz .LBB45_186
; %bb.185:
	v_mov_b32_e32 v5, v1
	s_delay_alu instid0(VALU_DEP_1) | instskip(NEXT) | instid1(VALU_DEP_1)
	v_mul_u64_e32 v[6:7], s[18:19], v[4:5]
	v_add_nc_u32_e32 v1, v4, v7
	s_delay_alu instid0(VALU_DEP_1) | instskip(NEXT) | instid1(VALU_DEP_1)
	v_lshrrev_b32_e32 v1, s15, v1
	v_mul_lo_u32 v1, v1, s7
	s_delay_alu instid0(VALU_DEP_1) | instskip(NEXT) | instid1(VALU_DEP_1)
	v_sub_nc_u32_e32 v1, v4, v1
	v_mad_u32 v2, v1, s10, v2
	v_mad_u32 v3, v1, s11, v3
.LBB45_186:
	global_load_b32 v1, v3, s[2:3]
	v_add_nc_u32_e32 v0, 0x80, v0
	s_wait_loadcnt 0x0
	v_cmp_eq_f32_e32 vcc_lo, 0x7f800000, v1
	v_cndmask_b32_e64 v1, 0, 1, vcc_lo
	global_store_b8 v2, v1, s[0:1]
	s_wait_xcnt 0x0
	s_or_b32 exec_lo, exec_lo, s5
	s_delay_alu instid0(SALU_CYCLE_1)
	s_mov_b32 s5, exec_lo
	v_cmpx_gt_i32_e64 s34, v0
	s_cbranch_execnz .LBB45_172
.LBB45_187:
	s_or_b32 exec_lo, exec_lo, s5
	s_delay_alu instid0(SALU_CYCLE_1)
	s_mov_b32 s5, exec_lo
	v_cmpx_gt_i32_e64 s34, v0
	s_cbranch_execz .LBB45_203
.LBB45_188:
	s_and_not1_b32 vcc_lo, exec_lo, s30
	s_cbranch_vccnz .LBB45_193
; %bb.189:
	s_and_not1_b32 vcc_lo, exec_lo, s36
	s_cbranch_vccnz .LBB45_194
; %bb.190:
	s_add_co_i32 s14, s35, 1
	s_cmp_eq_u32 s29, 2
	s_cbranch_scc1 .LBB45_211
; %bb.191:
	v_dual_mov_b32 v2, 0 :: v_dual_mov_b32 v3, 0
	v_mov_b32_e32 v1, v0
	s_and_b32 s22, s14, 28
	s_mov_b32 s23, 0
	s_mov_b64 s[24:25], s[12:13]
	s_mov_b64 s[26:27], s[20:21]
.LBB45_192:                             ; =>This Inner Loop Header: Depth=1
	s_clause 0x1
	s_load_b256 s[40:47], s[24:25], 0x4
	s_load_b128 s[56:59], s[24:25], 0x24
	s_load_b256 s[48:55], s[26:27], 0x0
	s_add_co_i32 s23, s23, 4
	s_wait_xcnt 0x0
	s_add_nc_u64 s[24:25], s[24:25], 48
	s_cmp_eq_u32 s22, s23
	s_add_nc_u64 s[26:27], s[26:27], 32
	s_wait_kmcnt 0x0
	v_mul_hi_u32 v4, s41, v1
	s_delay_alu instid0(VALU_DEP_1) | instskip(NEXT) | instid1(VALU_DEP_1)
	v_add_nc_u32_e32 v4, v1, v4
	v_lshrrev_b32_e32 v4, s42, v4
	s_delay_alu instid0(VALU_DEP_1) | instskip(NEXT) | instid1(VALU_DEP_1)
	v_mul_hi_u32 v5, s44, v4
	v_add_nc_u32_e32 v5, v4, v5
	s_delay_alu instid0(VALU_DEP_1) | instskip(NEXT) | instid1(VALU_DEP_1)
	v_lshrrev_b32_e32 v5, s45, v5
	v_mul_hi_u32 v6, s47, v5
	s_delay_alu instid0(VALU_DEP_1) | instskip(SKIP_1) | instid1(VALU_DEP_1)
	v_add_nc_u32_e32 v6, v5, v6
	v_mul_lo_u32 v7, v4, s40
	v_sub_nc_u32_e32 v1, v1, v7
	v_mul_lo_u32 v7, v5, s43
	s_delay_alu instid0(VALU_DEP_4) | instskip(NEXT) | instid1(VALU_DEP_3)
	v_lshrrev_b32_e32 v6, s56, v6
	v_mad_u32 v3, v1, s49, v3
	v_mad_u32 v1, v1, s48, v2
	s_delay_alu instid0(VALU_DEP_4) | instskip(NEXT) | instid1(VALU_DEP_4)
	v_sub_nc_u32_e32 v2, v4, v7
	v_mul_hi_u32 v8, s58, v6
	v_mul_lo_u32 v4, v6, s46
	s_delay_alu instid0(VALU_DEP_3) | instskip(SKIP_1) | instid1(VALU_DEP_4)
	v_mad_u32 v3, v2, s51, v3
	v_mad_u32 v2, v2, s50, v1
	v_add_nc_u32_e32 v7, v6, v8
	s_delay_alu instid0(VALU_DEP_1) | instskip(NEXT) | instid1(VALU_DEP_1)
	v_dual_sub_nc_u32 v4, v5, v4 :: v_dual_lshrrev_b32 v1, s59, v7
	v_mad_u32 v3, v4, s53, v3
	s_delay_alu instid0(VALU_DEP_4) | instskip(NEXT) | instid1(VALU_DEP_3)
	v_mad_u32 v2, v4, s52, v2
	v_mul_lo_u32 v5, v1, s57
	s_delay_alu instid0(VALU_DEP_1) | instskip(NEXT) | instid1(VALU_DEP_1)
	v_sub_nc_u32_e32 v4, v6, v5
	v_mad_u32 v3, v4, s55, v3
	s_delay_alu instid0(VALU_DEP_4)
	v_mad_u32 v2, v4, s54, v2
	s_cbranch_scc0 .LBB45_192
	s_branch .LBB45_212
.LBB45_193:
                                        ; implicit-def: $vgpr3
	s_branch .LBB45_216
.LBB45_194:
	v_dual_mov_b32 v3, 0 :: v_dual_mov_b32 v2, 0
	s_branch .LBB45_215
.LBB45_195:
	v_mov_b64_e32 v[2:3], 0
	v_mov_b32_e32 v1, v0
	s_mov_b32 s22, 0
.LBB45_196:
	s_and_b32 s14, s14, 3
	s_mov_b32 s23, 0
	s_cmp_eq_u32 s14, 0
	s_cbranch_scc1 .LBB45_199
; %bb.197:
	s_lshl_b32 s24, s22, 3
	s_mov_b32 s25, s23
	s_mul_u64 s[26:27], s[22:23], 12
	s_add_nc_u64 s[24:25], s[12:13], s[24:25]
	s_delay_alu instid0(SALU_CYCLE_1)
	s_add_nc_u64 s[22:23], s[24:25], 0xc4
	s_add_nc_u64 s[24:25], s[12:13], s[26:27]
.LBB45_198:                             ; =>This Inner Loop Header: Depth=1
	s_load_b96 s[40:42], s[24:25], 0x4
	s_load_b64 s[26:27], s[22:23], 0x0
	s_add_co_i32 s14, s14, -1
	s_wait_xcnt 0x0
	s_add_nc_u64 s[24:25], s[24:25], 12
	s_cmp_lg_u32 s14, 0
	s_add_nc_u64 s[22:23], s[22:23], 8
	s_wait_kmcnt 0x0
	v_mul_hi_u32 v4, s41, v1
	s_delay_alu instid0(VALU_DEP_1) | instskip(NEXT) | instid1(VALU_DEP_1)
	v_add_nc_u32_e32 v4, v1, v4
	v_lshrrev_b32_e32 v4, s42, v4
	s_delay_alu instid0(VALU_DEP_1) | instskip(NEXT) | instid1(VALU_DEP_1)
	v_mul_lo_u32 v5, v4, s40
	v_sub_nc_u32_e32 v1, v1, v5
	s_delay_alu instid0(VALU_DEP_1)
	v_mad_u32 v3, v1, s27, v3
	v_mad_u32 v2, v1, s26, v2
	v_mov_b32_e32 v1, v4
	s_cbranch_scc1 .LBB45_198
.LBB45_199:
	s_cbranch_execnz .LBB45_202
.LBB45_200:
	v_mov_b32_e32 v1, 0
	s_and_not1_b32 vcc_lo, exec_lo, s33
	s_delay_alu instid0(VALU_DEP_1) | instskip(NEXT) | instid1(VALU_DEP_1)
	v_mul_u64_e32 v[2:3], s[16:17], v[0:1]
	v_add_nc_u32_e32 v2, v0, v3
	s_delay_alu instid0(VALU_DEP_1) | instskip(NEXT) | instid1(VALU_DEP_1)
	v_lshrrev_b32_e32 v4, s6, v2
	v_mul_lo_u32 v2, v4, s4
	s_delay_alu instid0(VALU_DEP_1) | instskip(NEXT) | instid1(VALU_DEP_1)
	v_sub_nc_u32_e32 v2, v0, v2
	v_mul_lo_u32 v3, v2, s9
	v_mul_lo_u32 v2, v2, s8
	s_cbranch_vccnz .LBB45_202
; %bb.201:
	v_mov_b32_e32 v5, v1
	s_delay_alu instid0(VALU_DEP_1) | instskip(NEXT) | instid1(VALU_DEP_1)
	v_mul_u64_e32 v[6:7], s[18:19], v[4:5]
	v_add_nc_u32_e32 v1, v4, v7
	s_delay_alu instid0(VALU_DEP_1) | instskip(NEXT) | instid1(VALU_DEP_1)
	v_lshrrev_b32_e32 v1, s15, v1
	v_mul_lo_u32 v1, v1, s7
	s_delay_alu instid0(VALU_DEP_1) | instskip(NEXT) | instid1(VALU_DEP_1)
	v_sub_nc_u32_e32 v1, v4, v1
	v_mad_u32 v2, v1, s10, v2
	v_mad_u32 v3, v1, s11, v3
.LBB45_202:
	global_load_b32 v1, v3, s[2:3]
	v_add_nc_u32_e32 v0, 0x80, v0
	s_wait_loadcnt 0x0
	v_cmp_eq_f32_e32 vcc_lo, 0x7f800000, v1
	v_cndmask_b32_e64 v1, 0, 1, vcc_lo
	global_store_b8 v2, v1, s[0:1]
	s_wait_xcnt 0x0
	s_or_b32 exec_lo, exec_lo, s5
	s_delay_alu instid0(SALU_CYCLE_1)
	s_mov_b32 s5, exec_lo
	v_cmpx_gt_i32_e64 s34, v0
	s_cbranch_execnz .LBB45_188
.LBB45_203:
	s_or_b32 exec_lo, exec_lo, s5
	s_delay_alu instid0(SALU_CYCLE_1)
	s_mov_b32 s5, exec_lo
	v_cmpx_gt_i32_e64 s34, v0
	s_cbranch_execz .LBB45_219
.LBB45_204:
	s_and_not1_b32 vcc_lo, exec_lo, s30
	s_cbranch_vccnz .LBB45_209
; %bb.205:
	s_and_not1_b32 vcc_lo, exec_lo, s36
	s_cbranch_vccnz .LBB45_210
; %bb.206:
	s_add_co_i32 s14, s35, 1
	s_cmp_eq_u32 s29, 2
	s_cbranch_scc1 .LBB45_222
; %bb.207:
	v_dual_mov_b32 v2, 0 :: v_dual_mov_b32 v3, 0
	v_mov_b32_e32 v1, v0
	s_and_b32 s22, s14, 28
	s_mov_b32 s23, 0
	s_mov_b64 s[24:25], s[12:13]
	s_mov_b64 s[26:27], s[20:21]
.LBB45_208:                             ; =>This Inner Loop Header: Depth=1
	s_clause 0x1
	s_load_b256 s[40:47], s[24:25], 0x4
	s_load_b128 s[56:59], s[24:25], 0x24
	s_load_b256 s[48:55], s[26:27], 0x0
	s_add_co_i32 s23, s23, 4
	s_wait_xcnt 0x0
	s_add_nc_u64 s[24:25], s[24:25], 48
	s_cmp_eq_u32 s22, s23
	s_add_nc_u64 s[26:27], s[26:27], 32
	s_wait_kmcnt 0x0
	v_mul_hi_u32 v4, s41, v1
	s_delay_alu instid0(VALU_DEP_1) | instskip(NEXT) | instid1(VALU_DEP_1)
	v_add_nc_u32_e32 v4, v1, v4
	v_lshrrev_b32_e32 v4, s42, v4
	s_delay_alu instid0(VALU_DEP_1) | instskip(NEXT) | instid1(VALU_DEP_1)
	v_mul_hi_u32 v5, s44, v4
	v_add_nc_u32_e32 v5, v4, v5
	s_delay_alu instid0(VALU_DEP_1) | instskip(NEXT) | instid1(VALU_DEP_1)
	v_lshrrev_b32_e32 v5, s45, v5
	v_mul_hi_u32 v6, s47, v5
	s_delay_alu instid0(VALU_DEP_1) | instskip(SKIP_1) | instid1(VALU_DEP_1)
	v_add_nc_u32_e32 v6, v5, v6
	v_mul_lo_u32 v7, v4, s40
	v_sub_nc_u32_e32 v1, v1, v7
	v_mul_lo_u32 v7, v5, s43
	s_delay_alu instid0(VALU_DEP_4) | instskip(NEXT) | instid1(VALU_DEP_3)
	v_lshrrev_b32_e32 v6, s56, v6
	v_mad_u32 v3, v1, s49, v3
	v_mad_u32 v1, v1, s48, v2
	s_delay_alu instid0(VALU_DEP_4) | instskip(NEXT) | instid1(VALU_DEP_4)
	v_sub_nc_u32_e32 v2, v4, v7
	v_mul_hi_u32 v8, s58, v6
	v_mul_lo_u32 v4, v6, s46
	s_delay_alu instid0(VALU_DEP_3) | instskip(SKIP_1) | instid1(VALU_DEP_4)
	v_mad_u32 v3, v2, s51, v3
	v_mad_u32 v2, v2, s50, v1
	v_add_nc_u32_e32 v7, v6, v8
	s_delay_alu instid0(VALU_DEP_1) | instskip(NEXT) | instid1(VALU_DEP_1)
	v_dual_sub_nc_u32 v4, v5, v4 :: v_dual_lshrrev_b32 v1, s59, v7
	v_mad_u32 v3, v4, s53, v3
	s_delay_alu instid0(VALU_DEP_4) | instskip(NEXT) | instid1(VALU_DEP_3)
	v_mad_u32 v2, v4, s52, v2
	v_mul_lo_u32 v5, v1, s57
	s_delay_alu instid0(VALU_DEP_1) | instskip(NEXT) | instid1(VALU_DEP_1)
	v_sub_nc_u32_e32 v4, v6, v5
	v_mad_u32 v3, v4, s55, v3
	s_delay_alu instid0(VALU_DEP_4)
	v_mad_u32 v2, v4, s54, v2
	s_cbranch_scc0 .LBB45_208
	s_branch .LBB45_223
.LBB45_209:
                                        ; implicit-def: $vgpr3
	s_branch .LBB45_227
.LBB45_210:
	v_dual_mov_b32 v3, 0 :: v_dual_mov_b32 v2, 0
	s_branch .LBB45_226
.LBB45_211:
	v_mov_b64_e32 v[2:3], 0
	v_mov_b32_e32 v1, v0
	s_mov_b32 s22, 0
.LBB45_212:
	s_and_b32 s14, s14, 3
	s_mov_b32 s23, 0
	s_cmp_eq_u32 s14, 0
	s_cbranch_scc1 .LBB45_215
; %bb.213:
	s_lshl_b32 s24, s22, 3
	s_mov_b32 s25, s23
	s_mul_u64 s[26:27], s[22:23], 12
	s_add_nc_u64 s[24:25], s[12:13], s[24:25]
	s_delay_alu instid0(SALU_CYCLE_1)
	s_add_nc_u64 s[22:23], s[24:25], 0xc4
	s_add_nc_u64 s[24:25], s[12:13], s[26:27]
.LBB45_214:                             ; =>This Inner Loop Header: Depth=1
	s_load_b96 s[40:42], s[24:25], 0x4
	s_load_b64 s[26:27], s[22:23], 0x0
	s_add_co_i32 s14, s14, -1
	s_wait_xcnt 0x0
	s_add_nc_u64 s[24:25], s[24:25], 12
	s_cmp_lg_u32 s14, 0
	s_add_nc_u64 s[22:23], s[22:23], 8
	s_wait_kmcnt 0x0
	v_mul_hi_u32 v4, s41, v1
	s_delay_alu instid0(VALU_DEP_1) | instskip(NEXT) | instid1(VALU_DEP_1)
	v_add_nc_u32_e32 v4, v1, v4
	v_lshrrev_b32_e32 v4, s42, v4
	s_delay_alu instid0(VALU_DEP_1) | instskip(NEXT) | instid1(VALU_DEP_1)
	v_mul_lo_u32 v5, v4, s40
	v_sub_nc_u32_e32 v1, v1, v5
	s_delay_alu instid0(VALU_DEP_1)
	v_mad_u32 v3, v1, s27, v3
	v_mad_u32 v2, v1, s26, v2
	v_mov_b32_e32 v1, v4
	s_cbranch_scc1 .LBB45_214
.LBB45_215:
	s_cbranch_execnz .LBB45_218
.LBB45_216:
	v_mov_b32_e32 v1, 0
	s_and_not1_b32 vcc_lo, exec_lo, s33
	s_delay_alu instid0(VALU_DEP_1) | instskip(NEXT) | instid1(VALU_DEP_1)
	v_mul_u64_e32 v[2:3], s[16:17], v[0:1]
	v_add_nc_u32_e32 v2, v0, v3
	s_delay_alu instid0(VALU_DEP_1) | instskip(NEXT) | instid1(VALU_DEP_1)
	v_lshrrev_b32_e32 v4, s6, v2
	v_mul_lo_u32 v2, v4, s4
	s_delay_alu instid0(VALU_DEP_1) | instskip(NEXT) | instid1(VALU_DEP_1)
	v_sub_nc_u32_e32 v2, v0, v2
	v_mul_lo_u32 v3, v2, s9
	v_mul_lo_u32 v2, v2, s8
	s_cbranch_vccnz .LBB45_218
; %bb.217:
	v_mov_b32_e32 v5, v1
	s_delay_alu instid0(VALU_DEP_1) | instskip(NEXT) | instid1(VALU_DEP_1)
	v_mul_u64_e32 v[6:7], s[18:19], v[4:5]
	v_add_nc_u32_e32 v1, v4, v7
	s_delay_alu instid0(VALU_DEP_1) | instskip(NEXT) | instid1(VALU_DEP_1)
	v_lshrrev_b32_e32 v1, s15, v1
	v_mul_lo_u32 v1, v1, s7
	s_delay_alu instid0(VALU_DEP_1) | instskip(NEXT) | instid1(VALU_DEP_1)
	v_sub_nc_u32_e32 v1, v4, v1
	v_mad_u32 v2, v1, s10, v2
	v_mad_u32 v3, v1, s11, v3
.LBB45_218:
	global_load_b32 v1, v3, s[2:3]
	v_add_nc_u32_e32 v0, 0x80, v0
	s_wait_loadcnt 0x0
	v_cmp_eq_f32_e32 vcc_lo, 0x7f800000, v1
	v_cndmask_b32_e64 v1, 0, 1, vcc_lo
	global_store_b8 v2, v1, s[0:1]
	s_wait_xcnt 0x0
	s_or_b32 exec_lo, exec_lo, s5
	s_delay_alu instid0(SALU_CYCLE_1)
	s_mov_b32 s5, exec_lo
	v_cmpx_gt_i32_e64 s34, v0
	s_cbranch_execnz .LBB45_204
.LBB45_219:
	s_or_b32 exec_lo, exec_lo, s5
	s_delay_alu instid0(SALU_CYCLE_1)
	s_mov_b32 s5, exec_lo
	v_cmpx_gt_i32_e64 s34, v0
	s_cbranch_execnz .LBB45_230
.LBB45_220:
	s_or_b32 exec_lo, exec_lo, s5
                                        ; implicit-def: $vgpr16
                                        ; implicit-def: $vgpr0
	s_and_not1_saveexec_b32 s0, s31
	s_cbranch_execnz .LBB45_8
.LBB45_221:
	s_endpgm
.LBB45_222:
	v_mov_b64_e32 v[2:3], 0
	v_mov_b32_e32 v1, v0
	s_mov_b32 s22, 0
.LBB45_223:
	s_and_b32 s14, s14, 3
	s_mov_b32 s23, 0
	s_cmp_eq_u32 s14, 0
	s_cbranch_scc1 .LBB45_226
; %bb.224:
	s_lshl_b32 s24, s22, 3
	s_mov_b32 s25, s23
	s_mul_u64 s[26:27], s[22:23], 12
	s_add_nc_u64 s[24:25], s[12:13], s[24:25]
	s_delay_alu instid0(SALU_CYCLE_1)
	s_add_nc_u64 s[22:23], s[24:25], 0xc4
	s_add_nc_u64 s[24:25], s[12:13], s[26:27]
.LBB45_225:                             ; =>This Inner Loop Header: Depth=1
	s_load_b96 s[40:42], s[24:25], 0x4
	s_load_b64 s[26:27], s[22:23], 0x0
	s_add_co_i32 s14, s14, -1
	s_wait_xcnt 0x0
	s_add_nc_u64 s[24:25], s[24:25], 12
	s_cmp_lg_u32 s14, 0
	s_add_nc_u64 s[22:23], s[22:23], 8
	s_wait_kmcnt 0x0
	v_mul_hi_u32 v4, s41, v1
	s_delay_alu instid0(VALU_DEP_1) | instskip(NEXT) | instid1(VALU_DEP_1)
	v_add_nc_u32_e32 v4, v1, v4
	v_lshrrev_b32_e32 v4, s42, v4
	s_delay_alu instid0(VALU_DEP_1) | instskip(NEXT) | instid1(VALU_DEP_1)
	v_mul_lo_u32 v5, v4, s40
	v_sub_nc_u32_e32 v1, v1, v5
	s_delay_alu instid0(VALU_DEP_1)
	v_mad_u32 v3, v1, s27, v3
	v_mad_u32 v2, v1, s26, v2
	v_mov_b32_e32 v1, v4
	s_cbranch_scc1 .LBB45_225
.LBB45_226:
	s_cbranch_execnz .LBB45_229
.LBB45_227:
	v_mov_b32_e32 v1, 0
	s_and_not1_b32 vcc_lo, exec_lo, s33
	s_delay_alu instid0(VALU_DEP_1) | instskip(NEXT) | instid1(VALU_DEP_1)
	v_mul_u64_e32 v[2:3], s[16:17], v[0:1]
	v_add_nc_u32_e32 v2, v0, v3
	s_delay_alu instid0(VALU_DEP_1) | instskip(NEXT) | instid1(VALU_DEP_1)
	v_lshrrev_b32_e32 v4, s6, v2
	v_mul_lo_u32 v2, v4, s4
	s_delay_alu instid0(VALU_DEP_1) | instskip(NEXT) | instid1(VALU_DEP_1)
	v_sub_nc_u32_e32 v2, v0, v2
	v_mul_lo_u32 v3, v2, s9
	v_mul_lo_u32 v2, v2, s8
	s_cbranch_vccnz .LBB45_229
; %bb.228:
	v_mov_b32_e32 v5, v1
	s_delay_alu instid0(VALU_DEP_1) | instskip(NEXT) | instid1(VALU_DEP_1)
	v_mul_u64_e32 v[6:7], s[18:19], v[4:5]
	v_add_nc_u32_e32 v1, v4, v7
	s_delay_alu instid0(VALU_DEP_1) | instskip(NEXT) | instid1(VALU_DEP_1)
	v_lshrrev_b32_e32 v1, s15, v1
	v_mul_lo_u32 v1, v1, s7
	s_delay_alu instid0(VALU_DEP_1) | instskip(NEXT) | instid1(VALU_DEP_1)
	v_sub_nc_u32_e32 v1, v4, v1
	v_mad_u32 v2, v1, s10, v2
	v_mad_u32 v3, v1, s11, v3
.LBB45_229:
	global_load_b32 v1, v3, s[2:3]
	v_add_nc_u32_e32 v0, 0x80, v0
	s_wait_loadcnt 0x0
	v_cmp_eq_f32_e32 vcc_lo, 0x7f800000, v1
	v_cndmask_b32_e64 v1, 0, 1, vcc_lo
	global_store_b8 v2, v1, s[0:1]
	s_wait_xcnt 0x0
	s_or_b32 exec_lo, exec_lo, s5
	s_delay_alu instid0(SALU_CYCLE_1)
	s_mov_b32 s5, exec_lo
	v_cmpx_gt_i32_e64 s34, v0
	s_cbranch_execz .LBB45_220
.LBB45_230:
	s_and_not1_b32 vcc_lo, exec_lo, s30
	s_cbranch_vccnz .LBB45_235
; %bb.231:
	s_and_not1_b32 vcc_lo, exec_lo, s36
	s_cbranch_vccnz .LBB45_236
; %bb.232:
	s_add_co_i32 s35, s35, 1
	s_cmp_eq_u32 s29, 2
	s_cbranch_scc1 .LBB45_237
; %bb.233:
	v_dual_mov_b32 v2, 0 :: v_dual_mov_b32 v3, 0
	v_mov_b32_e32 v1, v0
	s_and_b32 s22, s35, 28
	s_mov_b32 s14, 0
	s_mov_b64 s[24:25], s[12:13]
.LBB45_234:                             ; =>This Inner Loop Header: Depth=1
	s_clause 0x1
	s_load_b256 s[36:43], s[24:25], 0x4
	s_load_b128 s[52:55], s[24:25], 0x24
	s_load_b256 s[44:51], s[20:21], 0x0
	s_add_co_i32 s14, s14, 4
	s_wait_xcnt 0x0
	s_add_nc_u64 s[24:25], s[24:25], 48
	s_cmp_eq_u32 s22, s14
	s_add_nc_u64 s[20:21], s[20:21], 32
	s_wait_kmcnt 0x0
	v_mul_hi_u32 v4, s37, v1
	s_delay_alu instid0(VALU_DEP_1) | instskip(NEXT) | instid1(VALU_DEP_1)
	v_add_nc_u32_e32 v4, v1, v4
	v_lshrrev_b32_e32 v4, s38, v4
	s_delay_alu instid0(VALU_DEP_1) | instskip(NEXT) | instid1(VALU_DEP_1)
	v_mul_hi_u32 v5, s40, v4
	v_add_nc_u32_e32 v5, v4, v5
	s_delay_alu instid0(VALU_DEP_1) | instskip(NEXT) | instid1(VALU_DEP_1)
	v_lshrrev_b32_e32 v5, s41, v5
	v_mul_hi_u32 v6, s43, v5
	s_delay_alu instid0(VALU_DEP_1) | instskip(SKIP_1) | instid1(VALU_DEP_1)
	v_add_nc_u32_e32 v6, v5, v6
	v_mul_lo_u32 v7, v4, s36
	v_sub_nc_u32_e32 v1, v1, v7
	v_mul_lo_u32 v7, v5, s39
	s_delay_alu instid0(VALU_DEP_4) | instskip(NEXT) | instid1(VALU_DEP_3)
	v_lshrrev_b32_e32 v6, s52, v6
	v_mad_u32 v3, v1, s45, v3
	v_mad_u32 v1, v1, s44, v2
	s_delay_alu instid0(VALU_DEP_4) | instskip(NEXT) | instid1(VALU_DEP_4)
	v_sub_nc_u32_e32 v2, v4, v7
	v_mul_hi_u32 v8, s54, v6
	v_mul_lo_u32 v4, v6, s42
	s_delay_alu instid0(VALU_DEP_3) | instskip(SKIP_1) | instid1(VALU_DEP_4)
	v_mad_u32 v3, v2, s47, v3
	v_mad_u32 v2, v2, s46, v1
	v_add_nc_u32_e32 v7, v6, v8
	s_delay_alu instid0(VALU_DEP_1) | instskip(NEXT) | instid1(VALU_DEP_1)
	v_dual_sub_nc_u32 v4, v5, v4 :: v_dual_lshrrev_b32 v1, s55, v7
	v_mad_u32 v3, v4, s49, v3
	s_delay_alu instid0(VALU_DEP_4) | instskip(NEXT) | instid1(VALU_DEP_3)
	v_mad_u32 v2, v4, s48, v2
	v_mul_lo_u32 v5, v1, s53
	s_delay_alu instid0(VALU_DEP_1) | instskip(NEXT) | instid1(VALU_DEP_1)
	v_sub_nc_u32_e32 v4, v6, v5
	v_mad_u32 v3, v4, s51, v3
	s_delay_alu instid0(VALU_DEP_4)
	v_mad_u32 v2, v4, s50, v2
	s_cbranch_scc0 .LBB45_234
	s_branch .LBB45_238
.LBB45_235:
                                        ; implicit-def: $vgpr3
	s_branch .LBB45_242
.LBB45_236:
	v_dual_mov_b32 v3, 0 :: v_dual_mov_b32 v2, 0
	s_branch .LBB45_241
.LBB45_237:
	v_mov_b64_e32 v[2:3], 0
	v_mov_b32_e32 v1, v0
	s_mov_b32 s22, 0
.LBB45_238:
	s_and_b32 s14, s35, 3
	s_mov_b32 s23, 0
	s_cmp_eq_u32 s14, 0
	s_cbranch_scc1 .LBB45_241
; %bb.239:
	s_lshl_b32 s20, s22, 3
	s_mov_b32 s21, s23
	s_mul_u64 s[22:23], s[22:23], 12
	s_add_nc_u64 s[20:21], s[12:13], s[20:21]
	s_add_nc_u64 s[22:23], s[12:13], s[22:23]
	;; [unrolled: 1-line block ×3, first 2 shown]
.LBB45_240:                             ; =>This Inner Loop Header: Depth=1
	s_load_b96 s[24:26], s[22:23], 0x4
	s_add_co_i32 s14, s14, -1
	s_wait_xcnt 0x0
	s_add_nc_u64 s[22:23], s[22:23], 12
	s_cmp_lg_u32 s14, 0
	s_wait_kmcnt 0x0
	v_mul_hi_u32 v4, s25, v1
	s_delay_alu instid0(VALU_DEP_1) | instskip(NEXT) | instid1(VALU_DEP_1)
	v_add_nc_u32_e32 v4, v1, v4
	v_lshrrev_b32_e32 v4, s26, v4
	s_load_b64 s[26:27], s[20:21], 0x0
	s_wait_xcnt 0x0
	s_add_nc_u64 s[20:21], s[20:21], 8
	s_delay_alu instid0(VALU_DEP_1) | instskip(NEXT) | instid1(VALU_DEP_1)
	v_mul_lo_u32 v5, v4, s24
	v_sub_nc_u32_e32 v1, v1, v5
	s_wait_kmcnt 0x0
	s_delay_alu instid0(VALU_DEP_1)
	v_mad_u32 v3, v1, s27, v3
	v_mad_u32 v2, v1, s26, v2
	v_mov_b32_e32 v1, v4
	s_cbranch_scc1 .LBB45_240
.LBB45_241:
	s_cbranch_execnz .LBB45_244
.LBB45_242:
	v_mov_b32_e32 v1, 0
	s_and_not1_b32 vcc_lo, exec_lo, s33
	s_delay_alu instid0(VALU_DEP_1) | instskip(NEXT) | instid1(VALU_DEP_1)
	v_mul_u64_e32 v[2:3], s[16:17], v[0:1]
	v_add_nc_u32_e32 v2, v0, v3
	s_delay_alu instid0(VALU_DEP_1) | instskip(NEXT) | instid1(VALU_DEP_1)
	v_lshrrev_b32_e32 v4, s6, v2
	v_mul_lo_u32 v2, v4, s4
	s_delay_alu instid0(VALU_DEP_1) | instskip(NEXT) | instid1(VALU_DEP_1)
	v_sub_nc_u32_e32 v0, v0, v2
	v_mul_lo_u32 v3, v0, s9
	v_mul_lo_u32 v2, v0, s8
	s_cbranch_vccnz .LBB45_244
; %bb.243:
	v_mov_b32_e32 v5, v1
	s_delay_alu instid0(VALU_DEP_1) | instskip(NEXT) | instid1(VALU_DEP_1)
	v_mul_u64_e32 v[0:1], s[18:19], v[4:5]
	v_add_nc_u32_e32 v0, v4, v1
	s_delay_alu instid0(VALU_DEP_1) | instskip(NEXT) | instid1(VALU_DEP_1)
	v_lshrrev_b32_e32 v0, s15, v0
	v_mul_lo_u32 v0, v0, s7
	s_delay_alu instid0(VALU_DEP_1) | instskip(NEXT) | instid1(VALU_DEP_1)
	v_sub_nc_u32_e32 v0, v4, v0
	v_mad_u32 v2, v0, s10, v2
	v_mad_u32 v3, v0, s11, v3
.LBB45_244:
	global_load_b32 v0, v3, s[2:3]
	s_wait_loadcnt 0x0
	v_cmp_eq_f32_e32 vcc_lo, 0x7f800000, v0
	v_cndmask_b32_e64 v0, 0, 1, vcc_lo
	global_store_b8 v2, v0, s[0:1]
	s_wait_xcnt 0x0
	s_or_b32 exec_lo, exec_lo, s5
                                        ; implicit-def: $vgpr16
                                        ; implicit-def: $vgpr0
	s_and_not1_saveexec_b32 s0, s31
	s_cbranch_execz .LBB45_221
	s_branch .LBB45_8
	.section	.rodata,"a",@progbits
	.p2align	6, 0x0
	.amdhsa_kernel _ZN2at6native32elementwise_kernel_manual_unrollILi128ELi8EZNS0_22gpu_kernel_impl_nocastIZZZNS0_12_GLOBAL__N_120isposinf_kernel_implERNS_18TensorIteratorBaseEENKUlvE_clEvENKUlvE0_clEvEUlfE_EEvS5_RKT_EUlibE_EEviT1_
		.amdhsa_group_segment_fixed_size 0
		.amdhsa_private_segment_fixed_size 0
		.amdhsa_kernarg_size 360
		.amdhsa_user_sgpr_count 2
		.amdhsa_user_sgpr_dispatch_ptr 0
		.amdhsa_user_sgpr_queue_ptr 0
		.amdhsa_user_sgpr_kernarg_segment_ptr 1
		.amdhsa_user_sgpr_dispatch_id 0
		.amdhsa_user_sgpr_kernarg_preload_length 0
		.amdhsa_user_sgpr_kernarg_preload_offset 0
		.amdhsa_user_sgpr_private_segment_size 0
		.amdhsa_wavefront_size32 1
		.amdhsa_uses_dynamic_stack 0
		.amdhsa_enable_private_segment 0
		.amdhsa_system_sgpr_workgroup_id_x 1
		.amdhsa_system_sgpr_workgroup_id_y 0
		.amdhsa_system_sgpr_workgroup_id_z 0
		.amdhsa_system_sgpr_workgroup_info 0
		.amdhsa_system_vgpr_workitem_id 0
		.amdhsa_next_free_vgpr 24
		.amdhsa_next_free_sgpr 60
		.amdhsa_named_barrier_count 0
		.amdhsa_reserve_vcc 1
		.amdhsa_float_round_mode_32 0
		.amdhsa_float_round_mode_16_64 0
		.amdhsa_float_denorm_mode_32 3
		.amdhsa_float_denorm_mode_16_64 3
		.amdhsa_fp16_overflow 0
		.amdhsa_memory_ordered 1
		.amdhsa_forward_progress 1
		.amdhsa_inst_pref_size 99
		.amdhsa_round_robin_scheduling 0
		.amdhsa_exception_fp_ieee_invalid_op 0
		.amdhsa_exception_fp_denorm_src 0
		.amdhsa_exception_fp_ieee_div_zero 0
		.amdhsa_exception_fp_ieee_overflow 0
		.amdhsa_exception_fp_ieee_underflow 0
		.amdhsa_exception_fp_ieee_inexact 0
		.amdhsa_exception_int_div_zero 0
	.end_amdhsa_kernel
	.section	.text._ZN2at6native32elementwise_kernel_manual_unrollILi128ELi8EZNS0_22gpu_kernel_impl_nocastIZZZNS0_12_GLOBAL__N_120isposinf_kernel_implERNS_18TensorIteratorBaseEENKUlvE_clEvENKUlvE0_clEvEUlfE_EEvS5_RKT_EUlibE_EEviT1_,"axG",@progbits,_ZN2at6native32elementwise_kernel_manual_unrollILi128ELi8EZNS0_22gpu_kernel_impl_nocastIZZZNS0_12_GLOBAL__N_120isposinf_kernel_implERNS_18TensorIteratorBaseEENKUlvE_clEvENKUlvE0_clEvEUlfE_EEvS5_RKT_EUlibE_EEviT1_,comdat
.Lfunc_end45:
	.size	_ZN2at6native32elementwise_kernel_manual_unrollILi128ELi8EZNS0_22gpu_kernel_impl_nocastIZZZNS0_12_GLOBAL__N_120isposinf_kernel_implERNS_18TensorIteratorBaseEENKUlvE_clEvENKUlvE0_clEvEUlfE_EEvS5_RKT_EUlibE_EEviT1_, .Lfunc_end45-_ZN2at6native32elementwise_kernel_manual_unrollILi128ELi8EZNS0_22gpu_kernel_impl_nocastIZZZNS0_12_GLOBAL__N_120isposinf_kernel_implERNS_18TensorIteratorBaseEENKUlvE_clEvENKUlvE0_clEvEUlfE_EEvS5_RKT_EUlibE_EEviT1_
                                        ; -- End function
	.set _ZN2at6native32elementwise_kernel_manual_unrollILi128ELi8EZNS0_22gpu_kernel_impl_nocastIZZZNS0_12_GLOBAL__N_120isposinf_kernel_implERNS_18TensorIteratorBaseEENKUlvE_clEvENKUlvE0_clEvEUlfE_EEvS5_RKT_EUlibE_EEviT1_.num_vgpr, 24
	.set _ZN2at6native32elementwise_kernel_manual_unrollILi128ELi8EZNS0_22gpu_kernel_impl_nocastIZZZNS0_12_GLOBAL__N_120isposinf_kernel_implERNS_18TensorIteratorBaseEENKUlvE_clEvENKUlvE0_clEvEUlfE_EEvS5_RKT_EUlibE_EEviT1_.num_agpr, 0
	.set _ZN2at6native32elementwise_kernel_manual_unrollILi128ELi8EZNS0_22gpu_kernel_impl_nocastIZZZNS0_12_GLOBAL__N_120isposinf_kernel_implERNS_18TensorIteratorBaseEENKUlvE_clEvENKUlvE0_clEvEUlfE_EEvS5_RKT_EUlibE_EEviT1_.numbered_sgpr, 60
	.set _ZN2at6native32elementwise_kernel_manual_unrollILi128ELi8EZNS0_22gpu_kernel_impl_nocastIZZZNS0_12_GLOBAL__N_120isposinf_kernel_implERNS_18TensorIteratorBaseEENKUlvE_clEvENKUlvE0_clEvEUlfE_EEvS5_RKT_EUlibE_EEviT1_.num_named_barrier, 0
	.set _ZN2at6native32elementwise_kernel_manual_unrollILi128ELi8EZNS0_22gpu_kernel_impl_nocastIZZZNS0_12_GLOBAL__N_120isposinf_kernel_implERNS_18TensorIteratorBaseEENKUlvE_clEvENKUlvE0_clEvEUlfE_EEvS5_RKT_EUlibE_EEviT1_.private_seg_size, 0
	.set _ZN2at6native32elementwise_kernel_manual_unrollILi128ELi8EZNS0_22gpu_kernel_impl_nocastIZZZNS0_12_GLOBAL__N_120isposinf_kernel_implERNS_18TensorIteratorBaseEENKUlvE_clEvENKUlvE0_clEvEUlfE_EEvS5_RKT_EUlibE_EEviT1_.uses_vcc, 1
	.set _ZN2at6native32elementwise_kernel_manual_unrollILi128ELi8EZNS0_22gpu_kernel_impl_nocastIZZZNS0_12_GLOBAL__N_120isposinf_kernel_implERNS_18TensorIteratorBaseEENKUlvE_clEvENKUlvE0_clEvEUlfE_EEvS5_RKT_EUlibE_EEviT1_.uses_flat_scratch, 0
	.set _ZN2at6native32elementwise_kernel_manual_unrollILi128ELi8EZNS0_22gpu_kernel_impl_nocastIZZZNS0_12_GLOBAL__N_120isposinf_kernel_implERNS_18TensorIteratorBaseEENKUlvE_clEvENKUlvE0_clEvEUlfE_EEvS5_RKT_EUlibE_EEviT1_.has_dyn_sized_stack, 0
	.set _ZN2at6native32elementwise_kernel_manual_unrollILi128ELi8EZNS0_22gpu_kernel_impl_nocastIZZZNS0_12_GLOBAL__N_120isposinf_kernel_implERNS_18TensorIteratorBaseEENKUlvE_clEvENKUlvE0_clEvEUlfE_EEvS5_RKT_EUlibE_EEviT1_.has_recursion, 0
	.set _ZN2at6native32elementwise_kernel_manual_unrollILi128ELi8EZNS0_22gpu_kernel_impl_nocastIZZZNS0_12_GLOBAL__N_120isposinf_kernel_implERNS_18TensorIteratorBaseEENKUlvE_clEvENKUlvE0_clEvEUlfE_EEvS5_RKT_EUlibE_EEviT1_.has_indirect_call, 0
	.section	.AMDGPU.csdata,"",@progbits
; Kernel info:
; codeLenInByte = 12548
; TotalNumSgprs: 62
; NumVgprs: 24
; ScratchSize: 0
; MemoryBound: 0
; FloatMode: 240
; IeeeMode: 1
; LDSByteSize: 0 bytes/workgroup (compile time only)
; SGPRBlocks: 0
; VGPRBlocks: 1
; NumSGPRsForWavesPerEU: 62
; NumVGPRsForWavesPerEU: 24
; NamedBarCnt: 0
; Occupancy: 16
; WaveLimiterHint : 1
; COMPUTE_PGM_RSRC2:SCRATCH_EN: 0
; COMPUTE_PGM_RSRC2:USER_SGPR: 2
; COMPUTE_PGM_RSRC2:TRAP_HANDLER: 0
; COMPUTE_PGM_RSRC2:TGID_X_EN: 1
; COMPUTE_PGM_RSRC2:TGID_Y_EN: 0
; COMPUTE_PGM_RSRC2:TGID_Z_EN: 0
; COMPUTE_PGM_RSRC2:TIDIG_COMP_CNT: 0
	.section	.text._ZN2at6native32elementwise_kernel_manual_unrollILi128ELi4EZNS0_15gpu_kernel_implIZZZNS0_12_GLOBAL__N_120isposinf_kernel_implERNS_18TensorIteratorBaseEENKUlvE_clEvENKUlvE0_clEvEUlfE_EEvS5_RKT_EUlibE_EEviT1_,"axG",@progbits,_ZN2at6native32elementwise_kernel_manual_unrollILi128ELi4EZNS0_15gpu_kernel_implIZZZNS0_12_GLOBAL__N_120isposinf_kernel_implERNS_18TensorIteratorBaseEENKUlvE_clEvENKUlvE0_clEvEUlfE_EEvS5_RKT_EUlibE_EEviT1_,comdat
	.globl	_ZN2at6native32elementwise_kernel_manual_unrollILi128ELi4EZNS0_15gpu_kernel_implIZZZNS0_12_GLOBAL__N_120isposinf_kernel_implERNS_18TensorIteratorBaseEENKUlvE_clEvENKUlvE0_clEvEUlfE_EEvS5_RKT_EUlibE_EEviT1_ ; -- Begin function _ZN2at6native32elementwise_kernel_manual_unrollILi128ELi4EZNS0_15gpu_kernel_implIZZZNS0_12_GLOBAL__N_120isposinf_kernel_implERNS_18TensorIteratorBaseEENKUlvE_clEvENKUlvE0_clEvEUlfE_EEvS5_RKT_EUlibE_EEviT1_
	.p2align	8
	.type	_ZN2at6native32elementwise_kernel_manual_unrollILi128ELi4EZNS0_15gpu_kernel_implIZZZNS0_12_GLOBAL__N_120isposinf_kernel_implERNS_18TensorIteratorBaseEENKUlvE_clEvENKUlvE0_clEvEUlfE_EEvS5_RKT_EUlibE_EEviT1_,@function
_ZN2at6native32elementwise_kernel_manual_unrollILi128ELi4EZNS0_15gpu_kernel_implIZZZNS0_12_GLOBAL__N_120isposinf_kernel_implERNS_18TensorIteratorBaseEENKUlvE_clEvENKUlvE0_clEvEUlfE_EEvS5_RKT_EUlibE_EEviT1_: ; @_ZN2at6native32elementwise_kernel_manual_unrollILi128ELi4EZNS0_15gpu_kernel_implIZZZNS0_12_GLOBAL__N_120isposinf_kernel_implERNS_18TensorIteratorBaseEENKUlvE_clEvENKUlvE0_clEvEUlfE_EEvS5_RKT_EUlibE_EEviT1_
; %bb.0:
	v_mov_b32_e32 v1, 0
	s_bfe_u32 s10, ttmp6, 0x4000c
	s_clause 0x1
	s_load_b32 s13, s[0:1], 0x0
	s_load_b128 s[4:7], s[0:1], 0x8
	s_add_co_i32 s10, s10, 1
	s_and_b32 s9, ttmp6, 15
	global_load_u16 v1, v1, s[0:1] offset:33
	s_load_b64 s[2:3], s[0:1], 0x18
	s_wait_xcnt 0x0
	s_mul_i32 s1, ttmp9, s10
	s_getreg_b32 s11, hwreg(HW_REG_IB_STS2, 6, 4)
	s_add_co_i32 s9, s9, s1
	s_mov_b32 s12, 0
	s_wait_loadcnt 0x0
	v_readfirstlane_b32 s8, v1
	s_and_b32 s0, 0xffff, s8
	s_delay_alu instid0(SALU_CYCLE_1)
	s_lshr_b32 s10, s0, 8
	s_cmp_eq_u32 s11, 0
	s_cselect_b32 s0, ttmp9, s9
	s_mov_b32 s9, 0
	v_lshl_or_b32 v4, s0, 9, v0
	s_mov_b32 s0, exec_lo
	s_delay_alu instid0(VALU_DEP_1) | instskip(SKIP_1) | instid1(VALU_DEP_1)
	v_or_b32_e32 v0, 0x180, v4
	s_wait_kmcnt 0x0
	v_cmpx_le_i32_e64 s13, v0
	s_xor_b32 s11, exec_lo, s0
	s_cbranch_execz .LBB46_1031
; %bb.1:
	s_mov_b32 s1, -1
	s_mov_b32 s16, 0
	s_mov_b32 s14, 0
	s_mov_b32 s15, exec_lo
	v_cmpx_gt_i32_e64 s13, v4
	s_cbranch_execz .LBB46_252
; %bb.2:
	v_mul_lo_u32 v0, v4, s3
	s_and_b32 s0, 0xffff, s10
	s_delay_alu instid0(SALU_CYCLE_1) | instskip(NEXT) | instid1(VALU_DEP_1)
	s_cmp_lt_i32 s0, 11
	v_ashrrev_i32_e32 v1, 31, v0
	s_delay_alu instid0(VALU_DEP_1)
	v_add_nc_u64_e32 v[0:1], s[6:7], v[0:1]
	s_cbranch_scc1 .LBB46_9
; %bb.3:
	s_cmp_gt_i32 s0, 25
	s_cbranch_scc0 .LBB46_18
; %bb.4:
	s_cmp_gt_i32 s0, 28
	s_cbranch_scc0 .LBB46_21
	;; [unrolled: 3-line block ×4, first 2 shown]
; %bb.7:
	s_cmp_eq_u32 s0, 46
	s_cbranch_scc0 .LBB46_27
; %bb.8:
	global_load_b32 v2, v[0:1], off
	s_wait_loadcnt 0x0
	v_lshlrev_b32_e32 v2, 16, v2
	s_branch .LBB46_29
.LBB46_9:
	s_mov_b32 s1, 0
                                        ; implicit-def: $vgpr2
	s_cbranch_execnz .LBB46_202
.LBB46_10:
	s_and_not1_b32 vcc_lo, exec_lo, s1
	s_cbranch_vccnz .LBB46_249
.LBB46_11:
	s_wait_xcnt 0x0
	v_mul_lo_u32 v0, v4, s2
	s_wait_loadcnt 0x0
	s_delay_alu instid0(VALU_DEP_2) | instskip(SKIP_1) | instid1(SALU_CYCLE_1)
	v_cmp_eq_f32_e64 s0, 0x7f800000, v2
	s_and_b32 s12, s8, 0xff
	s_cmp_lt_i32 s12, 11
	v_ashrrev_i32_e32 v1, 31, v0
	s_delay_alu instid0(VALU_DEP_1)
	v_add_nc_u64_e32 v[0:1], s[4:5], v[0:1]
	s_cbranch_scc1 .LBB46_19
; %bb.12:
	s_and_b32 s17, 0xffff, s12
	s_delay_alu instid0(SALU_CYCLE_1)
	s_cmp_gt_i32 s17, 25
	s_cbranch_scc0 .LBB46_22
; %bb.13:
	s_cmp_gt_i32 s17, 28
	s_cbranch_scc0 .LBB46_24
; %bb.14:
	;; [unrolled: 3-line block ×4, first 2 shown]
	s_mov_b32 s19, 0
	s_mov_b32 s1, -1
	s_cmp_eq_u32 s17, 46
	s_mov_b32 s18, 0
	s_cbranch_scc0 .LBB46_33
; %bb.17:
	v_cndmask_b32_e64 v2, 0, 1.0, s0
	s_mov_b32 s18, -1
	s_mov_b32 s1, 0
	s_delay_alu instid0(VALU_DEP_1) | instskip(NEXT) | instid1(VALU_DEP_1)
	v_bfe_u32 v3, v2, 16, 1
	v_add3_u32 v2, v2, v3, 0x7fff
	s_delay_alu instid0(VALU_DEP_1)
	v_lshrrev_b32_e32 v2, 16, v2
	global_store_b32 v[0:1], v2, off
	s_branch .LBB46_33
.LBB46_18:
	s_mov_b32 s1, 0
                                        ; implicit-def: $vgpr2
	s_cbranch_execnz .LBB46_167
	s_branch .LBB46_201
.LBB46_19:
	s_mov_b32 s1, 0
	s_mov_b32 s18, 0
	s_cbranch_execnz .LBB46_102
.LBB46_20:
	s_and_not1_b32 vcc_lo, exec_lo, s18
	s_cbranch_vccnz .LBB46_250
	s_branch .LBB46_140
.LBB46_21:
	s_mov_b32 s12, -1
	s_mov_b32 s1, 0
                                        ; implicit-def: $vgpr2
	s_branch .LBB46_148
.LBB46_22:
	s_mov_b32 s19, -1
	s_mov_b32 s1, 0
	s_mov_b32 s18, 0
	s_branch .LBB46_60
.LBB46_23:
	s_mov_b32 s12, -1
	s_mov_b32 s1, 0
                                        ; implicit-def: $vgpr2
	s_branch .LBB46_143
.LBB46_24:
	s_mov_b32 s19, -1
	s_mov_b32 s1, 0
	s_mov_b32 s18, 0
	s_branch .LBB46_43
.LBB46_25:
	s_mov_b32 s12, -1
	s_branch .LBB46_28
.LBB46_26:
	s_mov_b32 s19, -1
	s_mov_b32 s1, 0
	s_mov_b32 s18, 0
	s_branch .LBB46_39
.LBB46_27:
	s_mov_b32 s14, -1
.LBB46_28:
	s_mov_b32 s1, 0
                                        ; implicit-def: $vgpr2
.LBB46_29:
	s_and_b32 vcc_lo, exec_lo, s12
	s_cbranch_vccz .LBB46_142
; %bb.30:
	s_cmp_eq_u32 s0, 44
	s_cbranch_scc0 .LBB46_141
; %bb.31:
	global_load_u8 v2, v[0:1], off
	s_mov_b32 s14, 0
	s_mov_b32 s1, -1
	s_wait_loadcnt 0x0
	v_lshlrev_b32_e32 v3, 23, v2
	v_cmp_ne_u32_e32 vcc_lo, 0xff, v2
	s_delay_alu instid0(VALU_DEP_2) | instskip(SKIP_1) | instid1(VALU_DEP_2)
	v_cndmask_b32_e32 v3, 0x7f800001, v3, vcc_lo
	v_cmp_ne_u32_e32 vcc_lo, 0, v2
	v_cndmask_b32_e32 v2, 0x400000, v3, vcc_lo
	s_branch .LBB46_142
.LBB46_32:
	s_mov_b32 s19, -1
	s_mov_b32 s1, 0
	s_mov_b32 s18, 0
.LBB46_33:
	s_and_b32 vcc_lo, exec_lo, s19
	s_cbranch_vccz .LBB46_38
; %bb.34:
	s_cmp_eq_u32 s17, 44
	s_mov_b32 s1, -1
	s_cbranch_scc0 .LBB46_38
; %bb.35:
	v_cndmask_b32_e64 v5, 0, 1.0, s0
	s_mov_b32 s18, exec_lo
	s_wait_xcnt 0x0
	s_delay_alu instid0(VALU_DEP_1) | instskip(NEXT) | instid1(VALU_DEP_1)
	v_dual_mov_b32 v3, 0xff :: v_dual_lshrrev_b32 v2, 23, v5
	v_cmpx_ne_u32_e32 0xff, v2
; %bb.36:
	v_and_b32_e32 v3, 0x400000, v5
	v_and_or_b32 v5, 0x3fffff, v5, v2
	s_delay_alu instid0(VALU_DEP_2) | instskip(NEXT) | instid1(VALU_DEP_2)
	v_cmp_ne_u32_e32 vcc_lo, 0, v3
	v_cmp_ne_u32_e64 s1, 0, v5
	s_and_b32 s1, vcc_lo, s1
	s_delay_alu instid0(SALU_CYCLE_1) | instskip(NEXT) | instid1(VALU_DEP_1)
	v_cndmask_b32_e64 v3, 0, 1, s1
	v_add_nc_u32_e32 v3, v2, v3
; %bb.37:
	s_or_b32 exec_lo, exec_lo, s18
	s_mov_b32 s18, -1
	s_mov_b32 s1, 0
	global_store_b8 v[0:1], v3, off
.LBB46_38:
	s_mov_b32 s19, 0
.LBB46_39:
	s_delay_alu instid0(SALU_CYCLE_1)
	s_and_b32 vcc_lo, exec_lo, s19
	s_cbranch_vccz .LBB46_42
; %bb.40:
	s_cmp_eq_u32 s17, 29
	s_mov_b32 s1, -1
	s_cbranch_scc0 .LBB46_42
; %bb.41:
	s_mov_b32 s1, 0
	s_wait_xcnt 0x0
	v_cndmask_b32_e64 v2, 0, 1, s0
	v_mov_b32_e32 v3, s1
	s_mov_b32 s18, -1
	s_mov_b32 s19, 0
	global_store_b64 v[0:1], v[2:3], off
	s_branch .LBB46_43
.LBB46_42:
	s_mov_b32 s19, 0
.LBB46_43:
	s_delay_alu instid0(SALU_CYCLE_1)
	s_and_b32 vcc_lo, exec_lo, s19
	s_cbranch_vccz .LBB46_59
; %bb.44:
	s_cmp_lt_i32 s17, 27
	s_mov_b32 s18, -1
	s_cbranch_scc1 .LBB46_50
; %bb.45:
	s_cmp_gt_i32 s17, 27
	s_cbranch_scc0 .LBB46_47
; %bb.46:
	s_wait_xcnt 0x0
	v_cndmask_b32_e64 v2, 0, 1, s0
	s_mov_b32 s18, 0
	global_store_b32 v[0:1], v2, off
.LBB46_47:
	s_and_not1_b32 vcc_lo, exec_lo, s18
	s_cbranch_vccnz .LBB46_49
; %bb.48:
	s_wait_xcnt 0x0
	v_cndmask_b32_e64 v2, 0, 1, s0
	global_store_b16 v[0:1], v2, off
.LBB46_49:
	s_mov_b32 s18, 0
.LBB46_50:
	s_delay_alu instid0(SALU_CYCLE_1)
	s_and_not1_b32 vcc_lo, exec_lo, s18
	s_cbranch_vccnz .LBB46_58
; %bb.51:
	s_wait_xcnt 0x0
	v_cndmask_b32_e64 v3, 0, 1.0, s0
	v_mov_b32_e32 v5, 0x80
	s_mov_b32 s18, exec_lo
	s_delay_alu instid0(VALU_DEP_2)
	v_cmpx_gt_u32_e32 0x43800000, v3
	s_cbranch_execz .LBB46_57
; %bb.52:
	s_mov_b32 s19, 0
	s_mov_b32 s20, exec_lo
                                        ; implicit-def: $vgpr2
	v_cmpx_lt_u32_e32 0x3bffffff, v3
	s_xor_b32 s20, exec_lo, s20
	s_cbranch_execz .LBB46_279
; %bb.53:
	v_bfe_u32 v2, v3, 20, 1
	s_mov_b32 s19, exec_lo
	s_delay_alu instid0(VALU_DEP_1) | instskip(NEXT) | instid1(VALU_DEP_1)
	v_add3_u32 v2, v3, v2, 0x487ffff
                                        ; implicit-def: $vgpr3
	v_lshrrev_b32_e32 v2, 20, v2
	s_and_not1_saveexec_b32 s20, s20
	s_cbranch_execnz .LBB46_280
.LBB46_54:
	s_or_b32 exec_lo, exec_lo, s20
	v_mov_b32_e32 v5, 0
	s_and_saveexec_b32 s20, s19
.LBB46_55:
	v_mov_b32_e32 v5, v2
.LBB46_56:
	s_or_b32 exec_lo, exec_lo, s20
.LBB46_57:
	s_delay_alu instid0(SALU_CYCLE_1)
	s_or_b32 exec_lo, exec_lo, s18
	global_store_b8 v[0:1], v5, off
.LBB46_58:
	s_mov_b32 s18, -1
.LBB46_59:
	s_mov_b32 s19, 0
.LBB46_60:
	s_delay_alu instid0(SALU_CYCLE_1)
	s_and_b32 vcc_lo, exec_lo, s19
	s_cbranch_vccz .LBB46_101
; %bb.61:
	s_cmp_gt_i32 s17, 22
	s_mov_b32 s19, -1
	s_cbranch_scc0 .LBB46_93
; %bb.62:
	s_cmp_lt_i32 s17, 24
	s_mov_b32 s18, -1
	s_cbranch_scc1 .LBB46_82
; %bb.63:
	s_cmp_gt_i32 s17, 24
	s_cbranch_scc0 .LBB46_71
; %bb.64:
	s_wait_xcnt 0x0
	v_cndmask_b32_e64 v3, 0, 1.0, s0
	v_mov_b32_e32 v5, 0x80
	s_mov_b32 s18, exec_lo
	s_delay_alu instid0(VALU_DEP_2)
	v_cmpx_gt_u32_e32 0x47800000, v3
	s_cbranch_execz .LBB46_70
; %bb.65:
	s_mov_b32 s19, 0
	s_mov_b32 s20, exec_lo
                                        ; implicit-def: $vgpr2
	v_cmpx_lt_u32_e32 0x37ffffff, v3
	s_xor_b32 s20, exec_lo, s20
	s_cbranch_execz .LBB46_283
; %bb.66:
	v_bfe_u32 v2, v3, 21, 1
	s_mov_b32 s19, exec_lo
	s_delay_alu instid0(VALU_DEP_1) | instskip(NEXT) | instid1(VALU_DEP_1)
	v_add3_u32 v2, v3, v2, 0x88fffff
                                        ; implicit-def: $vgpr3
	v_lshrrev_b32_e32 v2, 21, v2
	s_and_not1_saveexec_b32 s20, s20
	s_cbranch_execnz .LBB46_284
.LBB46_67:
	s_or_b32 exec_lo, exec_lo, s20
	v_mov_b32_e32 v5, 0
	s_and_saveexec_b32 s20, s19
.LBB46_68:
	v_mov_b32_e32 v5, v2
.LBB46_69:
	s_or_b32 exec_lo, exec_lo, s20
.LBB46_70:
	s_delay_alu instid0(SALU_CYCLE_1)
	s_or_b32 exec_lo, exec_lo, s18
	s_mov_b32 s18, 0
	global_store_b8 v[0:1], v5, off
.LBB46_71:
	s_and_b32 vcc_lo, exec_lo, s18
	s_cbranch_vccz .LBB46_81
; %bb.72:
	s_wait_xcnt 0x0
	v_cndmask_b32_e64 v3, 0, 1.0, s0
	s_mov_b32 s18, exec_lo
                                        ; implicit-def: $vgpr2
	s_delay_alu instid0(VALU_DEP_1)
	v_cmpx_gt_u32_e32 0x43f00000, v3
	s_xor_b32 s18, exec_lo, s18
	s_cbranch_execz .LBB46_78
; %bb.73:
	s_mov_b32 s19, exec_lo
                                        ; implicit-def: $vgpr2
	v_cmpx_lt_u32_e32 0x3c7fffff, v3
	s_xor_b32 s19, exec_lo, s19
; %bb.74:
	v_bfe_u32 v2, v3, 20, 1
	s_delay_alu instid0(VALU_DEP_1) | instskip(NEXT) | instid1(VALU_DEP_1)
	v_add3_u32 v2, v3, v2, 0x407ffff
	v_and_b32_e32 v3, 0xff00000, v2
	v_lshrrev_b32_e32 v2, 20, v2
	s_delay_alu instid0(VALU_DEP_2) | instskip(NEXT) | instid1(VALU_DEP_2)
	v_cmp_ne_u32_e32 vcc_lo, 0x7f00000, v3
                                        ; implicit-def: $vgpr3
	v_cndmask_b32_e32 v2, 0x7e, v2, vcc_lo
; %bb.75:
	s_and_not1_saveexec_b32 s19, s19
; %bb.76:
	v_add_f32_e32 v2, 0x46800000, v3
; %bb.77:
	s_or_b32 exec_lo, exec_lo, s19
                                        ; implicit-def: $vgpr3
.LBB46_78:
	s_and_not1_saveexec_b32 s18, s18
; %bb.79:
	v_mov_b32_e32 v2, 0x7f
	v_cmp_lt_u32_e32 vcc_lo, 0x7f800000, v3
	s_delay_alu instid0(VALU_DEP_2)
	v_cndmask_b32_e32 v2, 0x7e, v2, vcc_lo
; %bb.80:
	s_or_b32 exec_lo, exec_lo, s18
	global_store_b8 v[0:1], v2, off
.LBB46_81:
	s_mov_b32 s18, 0
.LBB46_82:
	s_delay_alu instid0(SALU_CYCLE_1)
	s_and_not1_b32 vcc_lo, exec_lo, s18
	s_cbranch_vccnz .LBB46_92
; %bb.83:
	s_wait_xcnt 0x0
	v_cndmask_b32_e64 v3, 0, 1.0, s0
	s_mov_b32 s18, exec_lo
                                        ; implicit-def: $vgpr2
	s_delay_alu instid0(VALU_DEP_1)
	v_cmpx_gt_u32_e32 0x47800000, v3
	s_xor_b32 s18, exec_lo, s18
	s_cbranch_execz .LBB46_89
; %bb.84:
	s_mov_b32 s19, exec_lo
                                        ; implicit-def: $vgpr2
	v_cmpx_lt_u32_e32 0x387fffff, v3
	s_xor_b32 s19, exec_lo, s19
; %bb.85:
	v_bfe_u32 v2, v3, 21, 1
	s_delay_alu instid0(VALU_DEP_1) | instskip(NEXT) | instid1(VALU_DEP_1)
	v_add3_u32 v2, v3, v2, 0x80fffff
                                        ; implicit-def: $vgpr3
	v_lshrrev_b32_e32 v2, 21, v2
; %bb.86:
	s_and_not1_saveexec_b32 s19, s19
; %bb.87:
	v_add_f32_e32 v2, 0x43000000, v3
; %bb.88:
	s_or_b32 exec_lo, exec_lo, s19
                                        ; implicit-def: $vgpr3
.LBB46_89:
	s_and_not1_saveexec_b32 s18, s18
; %bb.90:
	v_mov_b32_e32 v2, 0x7f
	v_cmp_lt_u32_e32 vcc_lo, 0x7f800000, v3
	s_delay_alu instid0(VALU_DEP_2)
	v_cndmask_b32_e32 v2, 0x7c, v2, vcc_lo
; %bb.91:
	s_or_b32 exec_lo, exec_lo, s18
	global_store_b8 v[0:1], v2, off
.LBB46_92:
	s_mov_b32 s19, 0
	s_mov_b32 s18, -1
.LBB46_93:
	s_and_not1_b32 vcc_lo, exec_lo, s19
	s_cbranch_vccnz .LBB46_101
; %bb.94:
	s_cmp_gt_i32 s17, 14
	s_mov_b32 s19, -1
	s_cbranch_scc0 .LBB46_98
; %bb.95:
	s_cmp_eq_u32 s17, 15
	s_mov_b32 s1, -1
	s_cbranch_scc0 .LBB46_97
; %bb.96:
	s_wait_xcnt 0x0
	v_cndmask_b32_e64 v2, 0, 1.0, s0
	s_mov_b32 s18, -1
	s_mov_b32 s1, 0
	s_delay_alu instid0(VALU_DEP_1) | instskip(NEXT) | instid1(VALU_DEP_1)
	v_bfe_u32 v3, v2, 16, 1
	v_add3_u32 v2, v2, v3, 0x7fff
	global_store_d16_hi_b16 v[0:1], v2, off
.LBB46_97:
	s_mov_b32 s19, 0
.LBB46_98:
	s_delay_alu instid0(SALU_CYCLE_1)
	s_and_b32 vcc_lo, exec_lo, s19
	s_cbranch_vccz .LBB46_101
; %bb.99:
	s_cmp_eq_u32 s17, 11
	s_mov_b32 s1, -1
	s_cbranch_scc0 .LBB46_101
; %bb.100:
	s_wait_xcnt 0x0
	v_cndmask_b32_e64 v2, 0, 1, s0
	s_mov_b32 s18, -1
	s_mov_b32 s1, 0
	global_store_b8 v[0:1], v2, off
.LBB46_101:
	s_branch .LBB46_20
.LBB46_102:
	s_and_b32 s12, 0xffff, s12
	s_mov_b32 s17, -1
	s_cmp_lt_i32 s12, 5
	s_cbranch_scc1 .LBB46_123
; %bb.103:
	s_cmp_lt_i32 s12, 8
	s_cbranch_scc1 .LBB46_113
; %bb.104:
	;; [unrolled: 3-line block ×3, first 2 shown]
	s_cmp_gt_i32 s12, 9
	s_cbranch_scc0 .LBB46_107
; %bb.106:
	s_wait_xcnt 0x0
	v_cndmask_b32_e64 v2, 0, 1, s0
	v_mov_b32_e32 v8, 0
	s_mov_b32 s17, 0
	s_delay_alu instid0(VALU_DEP_2) | instskip(NEXT) | instid1(VALU_DEP_2)
	v_cvt_f64_u32_e32 v[6:7], v2
	v_mov_b32_e32 v9, v8
	global_store_b128 v[0:1], v[6:9], off
.LBB46_107:
	s_and_not1_b32 vcc_lo, exec_lo, s17
	s_cbranch_vccnz .LBB46_109
; %bb.108:
	s_wait_xcnt 0x0
	v_cndmask_b32_e64 v2, 0, 1.0, s0
	v_mov_b32_e32 v3, 0
	global_store_b64 v[0:1], v[2:3], off
.LBB46_109:
	s_mov_b32 s17, 0
.LBB46_110:
	s_delay_alu instid0(SALU_CYCLE_1)
	s_and_not1_b32 vcc_lo, exec_lo, s17
	s_cbranch_vccnz .LBB46_112
; %bb.111:
	s_wait_xcnt 0x0
	v_cndmask_b32_e64 v2, 0, 1.0, s0
	s_delay_alu instid0(VALU_DEP_1) | instskip(NEXT) | instid1(VALU_DEP_1)
	v_cvt_f16_f32_e32 v2, v2
	v_and_b32_e32 v2, 0xffff, v2
	global_store_b32 v[0:1], v2, off
.LBB46_112:
	s_mov_b32 s17, 0
.LBB46_113:
	s_delay_alu instid0(SALU_CYCLE_1)
	s_and_not1_b32 vcc_lo, exec_lo, s17
	s_cbranch_vccnz .LBB46_122
; %bb.114:
	s_cmp_lt_i32 s12, 6
	s_mov_b32 s17, -1
	s_cbranch_scc1 .LBB46_120
; %bb.115:
	s_cmp_gt_i32 s12, 6
	s_cbranch_scc0 .LBB46_117
; %bb.116:
	s_wait_xcnt 0x0
	v_cndmask_b32_e64 v2, 0, 1, s0
	s_mov_b32 s17, 0
	s_delay_alu instid0(VALU_DEP_1)
	v_cvt_f64_u32_e32 v[2:3], v2
	global_store_b64 v[0:1], v[2:3], off
.LBB46_117:
	s_and_not1_b32 vcc_lo, exec_lo, s17
	s_cbranch_vccnz .LBB46_119
; %bb.118:
	s_wait_xcnt 0x0
	v_cndmask_b32_e64 v2, 0, 1.0, s0
	global_store_b32 v[0:1], v2, off
.LBB46_119:
	s_mov_b32 s17, 0
.LBB46_120:
	s_delay_alu instid0(SALU_CYCLE_1)
	s_and_not1_b32 vcc_lo, exec_lo, s17
	s_cbranch_vccnz .LBB46_122
; %bb.121:
	s_wait_xcnt 0x0
	v_cndmask_b32_e64 v2, 0, 1.0, s0
	s_delay_alu instid0(VALU_DEP_1)
	v_cvt_f16_f32_e32 v2, v2
	global_store_b16 v[0:1], v2, off
.LBB46_122:
	s_mov_b32 s17, 0
.LBB46_123:
	s_delay_alu instid0(SALU_CYCLE_1)
	s_and_not1_b32 vcc_lo, exec_lo, s17
	s_cbranch_vccnz .LBB46_139
; %bb.124:
	s_cmp_lt_i32 s12, 2
	s_mov_b32 s17, -1
	s_cbranch_scc1 .LBB46_134
; %bb.125:
	s_cmp_lt_i32 s12, 3
	s_cbranch_scc1 .LBB46_131
; %bb.126:
	s_cmp_gt_i32 s12, 3
	s_cbranch_scc0 .LBB46_128
; %bb.127:
	s_mov_b32 s17, 0
	s_wait_xcnt 0x0
	v_cndmask_b32_e64 v2, 0, 1, s0
	v_mov_b32_e32 v3, s17
	global_store_b64 v[0:1], v[2:3], off
.LBB46_128:
	s_and_not1_b32 vcc_lo, exec_lo, s17
	s_cbranch_vccnz .LBB46_130
; %bb.129:
	s_wait_xcnt 0x0
	v_cndmask_b32_e64 v2, 0, 1, s0
	global_store_b32 v[0:1], v2, off
.LBB46_130:
	s_mov_b32 s17, 0
.LBB46_131:
	s_delay_alu instid0(SALU_CYCLE_1)
	s_and_not1_b32 vcc_lo, exec_lo, s17
	s_cbranch_vccnz .LBB46_133
; %bb.132:
	s_wait_xcnt 0x0
	v_cndmask_b32_e64 v2, 0, 1, s0
	global_store_b16 v[0:1], v2, off
.LBB46_133:
	s_mov_b32 s17, 0
.LBB46_134:
	s_delay_alu instid0(SALU_CYCLE_1)
	s_and_not1_b32 vcc_lo, exec_lo, s17
	s_cbranch_vccnz .LBB46_139
; %bb.135:
	s_wait_xcnt 0x0
	v_cndmask_b32_e64 v2, 0, 1, s0
	s_cmp_gt_i32 s12, 0
	s_mov_b32 s0, -1
	s_cbranch_scc0 .LBB46_137
; %bb.136:
	s_mov_b32 s0, 0
	global_store_b8 v[0:1], v2, off
.LBB46_137:
	s_and_not1_b32 vcc_lo, exec_lo, s0
	s_cbranch_vccnz .LBB46_139
; %bb.138:
	global_store_b8 v[0:1], v2, off
.LBB46_139:
.LBB46_140:
	v_add_nc_u32_e32 v4, 0x80, v4
	s_mov_b32 s0, -1
	s_branch .LBB46_251
.LBB46_141:
	s_mov_b32 s14, -1
                                        ; implicit-def: $vgpr2
.LBB46_142:
	s_mov_b32 s12, 0
.LBB46_143:
	s_delay_alu instid0(SALU_CYCLE_1)
	s_and_b32 vcc_lo, exec_lo, s12
	s_cbranch_vccz .LBB46_147
; %bb.144:
	s_cmp_eq_u32 s0, 29
	s_cbranch_scc0 .LBB46_146
; %bb.145:
	global_load_b64 v[2:3], v[0:1], off
	s_mov_b32 s1, -1
	s_mov_b32 s14, 0
	s_mov_b32 s12, 0
	s_wait_loadcnt 0x0
	v_clz_i32_u32_e32 v5, v3
	s_delay_alu instid0(VALU_DEP_1) | instskip(NEXT) | instid1(VALU_DEP_1)
	v_min_u32_e32 v5, 32, v5
	v_lshlrev_b64_e32 v[2:3], v5, v[2:3]
	s_delay_alu instid0(VALU_DEP_1) | instskip(NEXT) | instid1(VALU_DEP_1)
	v_min_u32_e32 v2, 1, v2
	v_dual_sub_nc_u32 v3, 32, v5 :: v_dual_bitop2_b32 v2, v3, v2 bitop3:0x54
	s_delay_alu instid0(VALU_DEP_1) | instskip(NEXT) | instid1(VALU_DEP_1)
	v_cvt_f32_u32_e32 v2, v2
	v_ldexp_f32 v2, v2, v3
	s_branch .LBB46_148
.LBB46_146:
	s_mov_b32 s14, -1
                                        ; implicit-def: $vgpr2
.LBB46_147:
	s_mov_b32 s12, 0
.LBB46_148:
	s_delay_alu instid0(SALU_CYCLE_1)
	s_and_b32 vcc_lo, exec_lo, s12
	s_cbranch_vccz .LBB46_166
; %bb.149:
	s_cmp_lt_i32 s0, 27
	s_cbranch_scc1 .LBB46_152
; %bb.150:
	s_cmp_gt_i32 s0, 27
	s_cbranch_scc0 .LBB46_153
; %bb.151:
	global_load_b32 v2, v[0:1], off
	s_mov_b32 s1, 0
	s_wait_loadcnt 0x0
	v_cvt_f32_u32_e32 v2, v2
	s_branch .LBB46_154
.LBB46_152:
	s_mov_b32 s1, -1
                                        ; implicit-def: $vgpr2
	s_branch .LBB46_157
.LBB46_153:
	s_mov_b32 s1, -1
                                        ; implicit-def: $vgpr2
.LBB46_154:
	s_delay_alu instid0(SALU_CYCLE_1)
	s_and_not1_b32 vcc_lo, exec_lo, s1
	s_cbranch_vccnz .LBB46_156
; %bb.155:
	global_load_u16 v2, v[0:1], off
	s_wait_loadcnt 0x0
	v_cvt_f32_u32_e32 v2, v2
.LBB46_156:
	s_mov_b32 s1, 0
.LBB46_157:
	s_delay_alu instid0(SALU_CYCLE_1)
	s_and_not1_b32 vcc_lo, exec_lo, s1
	s_cbranch_vccnz .LBB46_165
; %bb.158:
	global_load_u8 v3, v[0:1], off
	s_mov_b32 s1, 0
	s_mov_b32 s12, exec_lo
	s_wait_loadcnt 0x0
	v_cmpx_lt_i16_e32 0x7f, v3
	s_xor_b32 s12, exec_lo, s12
	s_cbranch_execz .LBB46_178
; %bb.159:
	s_mov_b32 s1, -1
	s_mov_b32 s17, exec_lo
	v_cmpx_eq_u16_e32 0x80, v3
; %bb.160:
	s_xor_b32 s1, exec_lo, -1
; %bb.161:
	s_or_b32 exec_lo, exec_lo, s17
	s_delay_alu instid0(SALU_CYCLE_1)
	s_and_b32 s1, s1, exec_lo
	s_or_saveexec_b32 s12, s12
	v_mov_b32_e32 v2, 0x7f800001
	s_xor_b32 exec_lo, exec_lo, s12
	s_cbranch_execnz .LBB46_179
.LBB46_162:
	s_or_b32 exec_lo, exec_lo, s12
	s_and_saveexec_b32 s12, s1
	s_cbranch_execz .LBB46_164
.LBB46_163:
	v_and_b32_e32 v2, 0xffff, v3
	s_delay_alu instid0(VALU_DEP_1) | instskip(SKIP_1) | instid1(VALU_DEP_2)
	v_dual_lshlrev_b32 v3, 24, v3 :: v_dual_bitop2_b32 v5, 7, v2 bitop3:0x40
	v_bfe_u32 v8, v2, 3, 4
	v_and_b32_e32 v3, 0x80000000, v3
	s_delay_alu instid0(VALU_DEP_3) | instskip(NEXT) | instid1(VALU_DEP_3)
	v_clz_i32_u32_e32 v6, v5
	v_cmp_eq_u32_e32 vcc_lo, 0, v8
	s_delay_alu instid0(VALU_DEP_2) | instskip(NEXT) | instid1(VALU_DEP_1)
	v_min_u32_e32 v6, 32, v6
	v_subrev_nc_u32_e32 v7, 28, v6
	v_sub_nc_u32_e32 v6, 29, v6
	s_delay_alu instid0(VALU_DEP_2) | instskip(NEXT) | instid1(VALU_DEP_2)
	v_lshlrev_b32_e32 v2, v7, v2
	v_cndmask_b32_e32 v6, v8, v6, vcc_lo
	s_delay_alu instid0(VALU_DEP_2) | instskip(NEXT) | instid1(VALU_DEP_1)
	v_and_b32_e32 v2, 7, v2
	v_cndmask_b32_e32 v2, v5, v2, vcc_lo
	s_delay_alu instid0(VALU_DEP_3) | instskip(NEXT) | instid1(VALU_DEP_2)
	v_lshl_add_u32 v5, v6, 23, 0x3b800000
	v_lshlrev_b32_e32 v2, 20, v2
	s_delay_alu instid0(VALU_DEP_1)
	v_or3_b32 v2, v3, v5, v2
.LBB46_164:
	s_or_b32 exec_lo, exec_lo, s12
.LBB46_165:
	s_mov_b32 s1, -1
.LBB46_166:
	s_branch .LBB46_201
.LBB46_167:
	s_cmp_gt_i32 s0, 22
	s_cbranch_scc0 .LBB46_177
; %bb.168:
	s_cmp_lt_i32 s0, 24
	s_cbranch_scc1 .LBB46_180
; %bb.169:
	s_cmp_gt_i32 s0, 24
	s_cbranch_scc0 .LBB46_181
; %bb.170:
	global_load_u8 v3, v[0:1], off
	s_mov_b32 s1, 0
	s_mov_b32 s12, exec_lo
	s_wait_loadcnt 0x0
	v_cmpx_lt_i16_e32 0x7f, v3
	s_xor_b32 s12, exec_lo, s12
	s_cbranch_execz .LBB46_193
; %bb.171:
	s_mov_b32 s1, -1
	s_mov_b32 s17, exec_lo
	v_cmpx_eq_u16_e32 0x80, v3
; %bb.172:
	s_xor_b32 s1, exec_lo, -1
; %bb.173:
	s_or_b32 exec_lo, exec_lo, s17
	s_delay_alu instid0(SALU_CYCLE_1)
	s_and_b32 s1, s1, exec_lo
	s_or_saveexec_b32 s12, s12
	v_mov_b32_e32 v2, 0x7f800001
	s_xor_b32 exec_lo, exec_lo, s12
	s_cbranch_execnz .LBB46_194
.LBB46_174:
	s_or_b32 exec_lo, exec_lo, s12
	s_and_saveexec_b32 s12, s1
	s_cbranch_execz .LBB46_176
.LBB46_175:
	v_and_b32_e32 v2, 0xffff, v3
	s_delay_alu instid0(VALU_DEP_1) | instskip(SKIP_1) | instid1(VALU_DEP_2)
	v_dual_lshlrev_b32 v3, 24, v3 :: v_dual_bitop2_b32 v5, 3, v2 bitop3:0x40
	v_bfe_u32 v8, v2, 2, 5
	v_and_b32_e32 v3, 0x80000000, v3
	s_delay_alu instid0(VALU_DEP_3) | instskip(NEXT) | instid1(VALU_DEP_3)
	v_clz_i32_u32_e32 v6, v5
	v_cmp_eq_u32_e32 vcc_lo, 0, v8
	s_delay_alu instid0(VALU_DEP_2) | instskip(NEXT) | instid1(VALU_DEP_1)
	v_min_u32_e32 v6, 32, v6
	v_subrev_nc_u32_e32 v7, 29, v6
	v_sub_nc_u32_e32 v6, 30, v6
	s_delay_alu instid0(VALU_DEP_2) | instskip(NEXT) | instid1(VALU_DEP_2)
	v_lshlrev_b32_e32 v2, v7, v2
	v_cndmask_b32_e32 v6, v8, v6, vcc_lo
	s_delay_alu instid0(VALU_DEP_2) | instskip(NEXT) | instid1(VALU_DEP_1)
	v_and_b32_e32 v2, 3, v2
	v_cndmask_b32_e32 v2, v5, v2, vcc_lo
	s_delay_alu instid0(VALU_DEP_3) | instskip(NEXT) | instid1(VALU_DEP_2)
	v_lshl_add_u32 v5, v6, 23, 0x37800000
	v_lshlrev_b32_e32 v2, 21, v2
	s_delay_alu instid0(VALU_DEP_1)
	v_or3_b32 v2, v3, v5, v2
.LBB46_176:
	s_or_b32 exec_lo, exec_lo, s12
	s_mov_b32 s1, 0
	s_branch .LBB46_182
.LBB46_177:
	s_mov_b32 s12, -1
                                        ; implicit-def: $vgpr2
	s_branch .LBB46_188
.LBB46_178:
	s_or_saveexec_b32 s12, s12
	v_mov_b32_e32 v2, 0x7f800001
	s_xor_b32 exec_lo, exec_lo, s12
	s_cbranch_execz .LBB46_162
.LBB46_179:
	v_cmp_ne_u16_e32 vcc_lo, 0, v3
	v_mov_b32_e32 v2, 0
	s_and_not1_b32 s1, s1, exec_lo
	s_and_b32 s17, vcc_lo, exec_lo
	s_delay_alu instid0(SALU_CYCLE_1)
	s_or_b32 s1, s1, s17
	s_or_b32 exec_lo, exec_lo, s12
	s_and_saveexec_b32 s12, s1
	s_cbranch_execnz .LBB46_163
	s_branch .LBB46_164
.LBB46_180:
	s_mov_b32 s1, -1
                                        ; implicit-def: $vgpr2
	s_branch .LBB46_185
.LBB46_181:
	s_mov_b32 s1, -1
                                        ; implicit-def: $vgpr2
.LBB46_182:
	s_delay_alu instid0(SALU_CYCLE_1)
	s_and_b32 vcc_lo, exec_lo, s1
	s_cbranch_vccz .LBB46_184
; %bb.183:
	global_load_u8 v2, v[0:1], off
	s_wait_loadcnt 0x0
	v_lshlrev_b32_e32 v2, 24, v2
	s_delay_alu instid0(VALU_DEP_1) | instskip(NEXT) | instid1(VALU_DEP_1)
	v_and_b32_e32 v3, 0x7f000000, v2
	v_clz_i32_u32_e32 v5, v3
	v_add_nc_u32_e32 v7, 0x1000000, v3
	v_cmp_ne_u32_e32 vcc_lo, 0, v3
	s_delay_alu instid0(VALU_DEP_3) | instskip(NEXT) | instid1(VALU_DEP_1)
	v_min_u32_e32 v5, 32, v5
	v_sub_nc_u32_e64 v5, v5, 4 clamp
	s_delay_alu instid0(VALU_DEP_1) | instskip(NEXT) | instid1(VALU_DEP_1)
	v_dual_lshlrev_b32 v6, v5, v3 :: v_dual_lshlrev_b32 v5, 23, v5
	v_lshrrev_b32_e32 v6, 4, v6
	s_delay_alu instid0(VALU_DEP_1) | instskip(NEXT) | instid1(VALU_DEP_1)
	v_dual_sub_nc_u32 v5, v6, v5 :: v_dual_ashrrev_i32 v6, 8, v7
	v_add_nc_u32_e32 v5, 0x3c000000, v5
	s_delay_alu instid0(VALU_DEP_1) | instskip(NEXT) | instid1(VALU_DEP_1)
	v_and_or_b32 v5, 0x7f800000, v6, v5
	v_cndmask_b32_e32 v3, 0, v5, vcc_lo
	s_delay_alu instid0(VALU_DEP_1)
	v_and_or_b32 v2, 0x80000000, v2, v3
.LBB46_184:
	s_mov_b32 s1, 0
.LBB46_185:
	s_delay_alu instid0(SALU_CYCLE_1)
	s_and_not1_b32 vcc_lo, exec_lo, s1
	s_cbranch_vccnz .LBB46_187
; %bb.186:
	global_load_u8 v2, v[0:1], off
	s_wait_loadcnt 0x0
	v_lshlrev_b32_e32 v3, 25, v2
	v_lshlrev_b16 v2, 8, v2
	s_delay_alu instid0(VALU_DEP_2) | instskip(NEXT) | instid1(VALU_DEP_2)
	v_cmp_gt_u32_e32 vcc_lo, 0x8000000, v3
	v_and_or_b32 v6, 0x7f00, v2, 0.5
	v_lshrrev_b32_e32 v5, 4, v3
	v_bfe_i32 v2, v2, 0, 16
	s_delay_alu instid0(VALU_DEP_3) | instskip(NEXT) | instid1(VALU_DEP_3)
	v_add_f32_e32 v6, -0.5, v6
	v_or_b32_e32 v5, 0x70000000, v5
	s_delay_alu instid0(VALU_DEP_1) | instskip(NEXT) | instid1(VALU_DEP_1)
	v_mul_f32_e32 v5, 0x7800000, v5
	v_cndmask_b32_e32 v3, v5, v6, vcc_lo
	s_delay_alu instid0(VALU_DEP_1)
	v_and_or_b32 v2, 0x80000000, v2, v3
.LBB46_187:
	s_mov_b32 s12, 0
	s_mov_b32 s1, -1
.LBB46_188:
	s_and_not1_b32 vcc_lo, exec_lo, s12
	s_cbranch_vccnz .LBB46_201
; %bb.189:
	s_cmp_gt_i32 s0, 14
	s_cbranch_scc0 .LBB46_192
; %bb.190:
	s_cmp_eq_u32 s0, 15
	s_cbranch_scc0 .LBB46_195
; %bb.191:
	global_load_u16 v2, v[0:1], off
	s_mov_b32 s1, -1
	s_mov_b32 s14, 0
	s_wait_loadcnt 0x0
	v_lshlrev_b32_e32 v2, 16, v2
	s_branch .LBB46_196
.LBB46_192:
	s_mov_b32 s12, -1
                                        ; implicit-def: $vgpr2
	s_branch .LBB46_197
.LBB46_193:
	s_or_saveexec_b32 s12, s12
	v_mov_b32_e32 v2, 0x7f800001
	s_xor_b32 exec_lo, exec_lo, s12
	s_cbranch_execz .LBB46_174
.LBB46_194:
	v_cmp_ne_u16_e32 vcc_lo, 0, v3
	v_mov_b32_e32 v2, 0
	s_and_not1_b32 s1, s1, exec_lo
	s_and_b32 s17, vcc_lo, exec_lo
	s_delay_alu instid0(SALU_CYCLE_1)
	s_or_b32 s1, s1, s17
	s_or_b32 exec_lo, exec_lo, s12
	s_and_saveexec_b32 s12, s1
	s_cbranch_execnz .LBB46_175
	s_branch .LBB46_176
.LBB46_195:
	s_mov_b32 s14, -1
                                        ; implicit-def: $vgpr2
.LBB46_196:
	s_mov_b32 s12, 0
.LBB46_197:
	s_delay_alu instid0(SALU_CYCLE_1)
	s_and_b32 vcc_lo, exec_lo, s12
	s_cbranch_vccz .LBB46_201
; %bb.198:
	s_cmp_eq_u32 s0, 11
	s_cbranch_scc0 .LBB46_200
; %bb.199:
	global_load_u8 v2, v[0:1], off
	s_mov_b32 s14, 0
	s_mov_b32 s1, -1
	s_wait_loadcnt 0x0
	v_cmp_ne_u16_e32 vcc_lo, 0, v2
	v_cndmask_b32_e64 v2, 0, 1.0, vcc_lo
	s_branch .LBB46_201
.LBB46_200:
	s_mov_b32 s14, -1
                                        ; implicit-def: $vgpr2
.LBB46_201:
	s_branch .LBB46_10
.LBB46_202:
	s_cmp_lt_i32 s0, 5
	s_cbranch_scc1 .LBB46_207
; %bb.203:
	s_cmp_lt_i32 s0, 8
	s_cbranch_scc1 .LBB46_208
; %bb.204:
	;; [unrolled: 3-line block ×3, first 2 shown]
	s_cmp_gt_i32 s0, 9
	s_cbranch_scc0 .LBB46_210
; %bb.206:
	global_load_b64 v[2:3], v[0:1], off
	s_mov_b32 s1, 0
	s_wait_loadcnt 0x0
	v_cvt_f32_f64_e32 v2, v[2:3]
	s_branch .LBB46_211
.LBB46_207:
                                        ; implicit-def: $vgpr2
	s_branch .LBB46_229
.LBB46_208:
	s_mov_b32 s1, -1
                                        ; implicit-def: $vgpr2
	s_branch .LBB46_217
.LBB46_209:
	s_mov_b32 s1, -1
                                        ; implicit-def: $vgpr2
	s_branch .LBB46_214
.LBB46_210:
	s_mov_b32 s1, -1
                                        ; implicit-def: $vgpr2
.LBB46_211:
	s_delay_alu instid0(SALU_CYCLE_1)
	s_and_not1_b32 vcc_lo, exec_lo, s1
	s_cbranch_vccnz .LBB46_213
; %bb.212:
	global_load_b32 v2, v[0:1], off
.LBB46_213:
	s_mov_b32 s1, 0
.LBB46_214:
	s_delay_alu instid0(SALU_CYCLE_1)
	s_and_not1_b32 vcc_lo, exec_lo, s1
	s_cbranch_vccnz .LBB46_216
; %bb.215:
	s_wait_loadcnt 0x0
	global_load_b32 v2, v[0:1], off
	s_wait_loadcnt 0x0
	v_cvt_f32_f16_e32 v2, v2
.LBB46_216:
	s_mov_b32 s1, 0
.LBB46_217:
	s_delay_alu instid0(SALU_CYCLE_1)
	s_and_not1_b32 vcc_lo, exec_lo, s1
	s_cbranch_vccnz .LBB46_228
; %bb.218:
	s_cmp_lt_i32 s0, 6
	s_cbranch_scc1 .LBB46_221
; %bb.219:
	s_cmp_gt_i32 s0, 6
	s_cbranch_scc0 .LBB46_222
; %bb.220:
	s_wait_loadcnt 0x0
	global_load_b64 v[2:3], v[0:1], off
	s_mov_b32 s1, 0
	s_wait_loadcnt 0x0
	v_cvt_f32_f64_e32 v2, v[2:3]
	s_branch .LBB46_223
.LBB46_221:
	s_mov_b32 s1, -1
                                        ; implicit-def: $vgpr2
	s_branch .LBB46_226
.LBB46_222:
	s_mov_b32 s1, -1
                                        ; implicit-def: $vgpr2
.LBB46_223:
	s_delay_alu instid0(SALU_CYCLE_1)
	s_and_not1_b32 vcc_lo, exec_lo, s1
	s_cbranch_vccnz .LBB46_225
; %bb.224:
	s_wait_loadcnt 0x0
	global_load_b32 v2, v[0:1], off
.LBB46_225:
	s_mov_b32 s1, 0
.LBB46_226:
	s_delay_alu instid0(SALU_CYCLE_1)
	s_and_not1_b32 vcc_lo, exec_lo, s1
	s_cbranch_vccnz .LBB46_228
; %bb.227:
	s_wait_loadcnt 0x0
	global_load_u16 v2, v[0:1], off
	s_wait_loadcnt 0x0
	v_cvt_f32_f16_e32 v2, v2
.LBB46_228:
	s_cbranch_execnz .LBB46_248
.LBB46_229:
	s_cmp_lt_i32 s0, 2
	s_cbranch_scc1 .LBB46_233
; %bb.230:
	s_cmp_lt_i32 s0, 3
	s_cbranch_scc1 .LBB46_234
; %bb.231:
	s_cmp_gt_i32 s0, 3
	s_cbranch_scc0 .LBB46_235
; %bb.232:
	s_wait_loadcnt 0x0
	global_load_b64 v[2:3], v[0:1], off
	s_mov_b32 s1, 0
	s_wait_loadcnt 0x0
	v_xor_b32_e32 v5, v2, v3
	v_cls_i32_e32 v6, v3
	s_delay_alu instid0(VALU_DEP_2) | instskip(NEXT) | instid1(VALU_DEP_1)
	v_ashrrev_i32_e32 v5, 31, v5
	v_add_nc_u32_e32 v5, 32, v5
	s_delay_alu instid0(VALU_DEP_1) | instskip(NEXT) | instid1(VALU_DEP_1)
	v_add_min_u32_e64 v5, v6, -1, v5
	v_lshlrev_b64_e32 v[2:3], v5, v[2:3]
	s_delay_alu instid0(VALU_DEP_1) | instskip(NEXT) | instid1(VALU_DEP_1)
	v_min_u32_e32 v2, 1, v2
	v_dual_sub_nc_u32 v3, 32, v5 :: v_dual_bitop2_b32 v2, v3, v2 bitop3:0x54
	s_delay_alu instid0(VALU_DEP_1) | instskip(NEXT) | instid1(VALU_DEP_1)
	v_cvt_f32_i32_e32 v2, v2
	v_ldexp_f32 v2, v2, v3
	s_branch .LBB46_236
.LBB46_233:
	s_mov_b32 s1, -1
                                        ; implicit-def: $vgpr2
	s_branch .LBB46_242
.LBB46_234:
	s_mov_b32 s1, -1
                                        ; implicit-def: $vgpr2
	s_branch .LBB46_239
.LBB46_235:
	s_mov_b32 s1, -1
                                        ; implicit-def: $vgpr2
.LBB46_236:
	s_delay_alu instid0(SALU_CYCLE_1)
	s_and_not1_b32 vcc_lo, exec_lo, s1
	s_cbranch_vccnz .LBB46_238
; %bb.237:
	s_wait_loadcnt 0x0
	global_load_b32 v2, v[0:1], off
	s_wait_loadcnt 0x0
	v_cvt_f32_i32_e32 v2, v2
.LBB46_238:
	s_mov_b32 s1, 0
.LBB46_239:
	s_delay_alu instid0(SALU_CYCLE_1)
	s_and_not1_b32 vcc_lo, exec_lo, s1
	s_cbranch_vccnz .LBB46_241
; %bb.240:
	s_wait_loadcnt 0x0
	global_load_i16 v2, v[0:1], off
	s_wait_loadcnt 0x0
	v_cvt_f32_i32_e32 v2, v2
.LBB46_241:
	s_mov_b32 s1, 0
.LBB46_242:
	s_delay_alu instid0(SALU_CYCLE_1)
	s_and_not1_b32 vcc_lo, exec_lo, s1
	s_cbranch_vccnz .LBB46_248
; %bb.243:
	s_cmp_gt_i32 s0, 0
	s_mov_b32 s0, 0
	s_cbranch_scc0 .LBB46_245
; %bb.244:
	s_wait_loadcnt 0x0
	global_load_i8 v2, v[0:1], off
	s_wait_loadcnt 0x0
	v_cvt_f32_i32_e32 v2, v2
	s_branch .LBB46_246
.LBB46_245:
	s_mov_b32 s0, -1
                                        ; implicit-def: $vgpr2
.LBB46_246:
	s_delay_alu instid0(SALU_CYCLE_1)
	s_and_not1_b32 vcc_lo, exec_lo, s0
	s_cbranch_vccnz .LBB46_248
; %bb.247:
	global_load_u8 v0, v[0:1], off
	s_wait_loadcnt 0x0
	v_cvt_f32_ubyte0_e32 v2, v0
.LBB46_248:
	s_branch .LBB46_11
.LBB46_249:
	s_mov_b32 s1, 0
.LBB46_250:
	s_mov_b32 s0, 0
                                        ; implicit-def: $vgpr4
.LBB46_251:
	s_and_b32 s12, s1, exec_lo
	s_and_b32 s14, s14, exec_lo
	s_or_not1_b32 s1, s0, exec_lo
.LBB46_252:
	s_wait_xcnt 0x0
	s_or_b32 exec_lo, exec_lo, s15
	s_mov_b32 s17, 0
	s_mov_b32 s0, 0
                                        ; implicit-def: $vgpr0_vgpr1
                                        ; implicit-def: $vgpr2
	s_and_saveexec_b32 s15, s1
	s_cbranch_execz .LBB46_261
; %bb.253:
	s_mov_b32 s0, -1
	s_mov_b32 s16, s14
	s_mov_b32 s17, s12
	s_mov_b32 s18, exec_lo
	v_cmpx_gt_i32_e64 s13, v4
	s_cbranch_execz .LBB46_515
; %bb.254:
	v_mul_lo_u32 v0, v4, s3
	s_and_b32 s0, 0xffff, s10
	s_delay_alu instid0(SALU_CYCLE_1) | instskip(NEXT) | instid1(VALU_DEP_1)
	s_cmp_lt_i32 s0, 11
	v_ashrrev_i32_e32 v1, 31, v0
	s_delay_alu instid0(VALU_DEP_1)
	v_add_nc_u64_e32 v[0:1], s[6:7], v[0:1]
	s_cbranch_scc1 .LBB46_264
; %bb.255:
	s_cmp_gt_i32 s0, 25
	s_cbranch_scc0 .LBB46_273
; %bb.256:
	s_cmp_gt_i32 s0, 28
	s_cbranch_scc0 .LBB46_275
	;; [unrolled: 3-line block ×4, first 2 shown]
; %bb.259:
	s_cmp_eq_u32 s0, 46
	s_mov_b32 s17, 0
	s_cbranch_scc0 .LBB46_285
; %bb.260:
	s_wait_loadcnt 0x0
	global_load_b32 v2, v[0:1], off
	s_mov_b32 s1, -1
	s_mov_b32 s16, 0
	s_wait_loadcnt 0x0
	v_lshlrev_b32_e32 v2, 16, v2
	s_branch .LBB46_287
.LBB46_261:
	s_or_b32 exec_lo, exec_lo, s15
	s_mov_b32 s1, 0
	s_and_saveexec_b32 s13, s14
	s_cbranch_execnz .LBB46_863
.LBB46_262:
	s_or_b32 exec_lo, exec_lo, s13
	s_and_saveexec_b32 s13, s16
	s_delay_alu instid0(SALU_CYCLE_1)
	s_xor_b32 s13, exec_lo, s13
	s_cbranch_execz .LBB46_864
.LBB46_263:
	s_wait_loadcnt 0x0
	global_load_u8 v2, v[0:1], off
	s_or_b32 s0, s0, exec_lo
	s_wait_loadcnt 0x0
	v_cmp_ne_u16_e32 vcc_lo, 0, v2
	v_cndmask_b32_e64 v2, 0, 1.0, vcc_lo
	s_wait_xcnt 0x0
	s_or_b32 exec_lo, exec_lo, s13
	s_and_saveexec_b32 s13, s17
	s_cbranch_execz .LBB46_910
	s_branch .LBB46_865
.LBB46_264:
	s_mov_b32 s1, 0
	s_mov_b32 s16, s14
                                        ; implicit-def: $vgpr2
	s_cbranch_execnz .LBB46_464
.LBB46_265:
	s_and_not1_b32 vcc_lo, exec_lo, s1
	s_cbranch_vccnz .LBB46_512
.LBB46_266:
	s_wait_xcnt 0x0
	v_mul_lo_u32 v0, v4, s2
	s_wait_loadcnt 0x0
	s_delay_alu instid0(VALU_DEP_2) | instskip(SKIP_1) | instid1(SALU_CYCLE_1)
	v_cmp_eq_f32_e64 s0, 0x7f800000, v2
	s_and_b32 s17, s8, 0xff
	s_cmp_lt_i32 s17, 11
	v_ashrrev_i32_e32 v1, 31, v0
	s_delay_alu instid0(VALU_DEP_1)
	v_add_nc_u64_e32 v[0:1], s[4:5], v[0:1]
	s_cbranch_scc1 .LBB46_274
; %bb.267:
	s_and_b32 s19, 0xffff, s17
	s_delay_alu instid0(SALU_CYCLE_1)
	s_cmp_gt_i32 s19, 25
	s_cbranch_scc0 .LBB46_276
; %bb.268:
	s_cmp_gt_i32 s19, 28
	s_cbranch_scc0 .LBB46_278
; %bb.269:
	;; [unrolled: 3-line block ×4, first 2 shown]
	s_mov_b32 s21, 0
	s_mov_b32 s1, -1
	s_cmp_eq_u32 s19, 46
	s_mov_b32 s20, 0
	s_cbranch_scc0 .LBB46_291
; %bb.272:
	v_cndmask_b32_e64 v2, 0, 1.0, s0
	s_mov_b32 s20, -1
	s_mov_b32 s1, 0
	s_delay_alu instid0(VALU_DEP_1) | instskip(NEXT) | instid1(VALU_DEP_1)
	v_bfe_u32 v3, v2, 16, 1
	v_add3_u32 v2, v2, v3, 0x7fff
	s_delay_alu instid0(VALU_DEP_1)
	v_lshrrev_b32_e32 v2, 16, v2
	global_store_b32 v[0:1], v2, off
	s_branch .LBB46_291
.LBB46_273:
	s_mov_b32 s17, -1
	s_mov_b32 s1, 0
	s_mov_b32 s16, s14
                                        ; implicit-def: $vgpr2
	s_branch .LBB46_428
.LBB46_274:
	s_mov_b32 s19, -1
	s_mov_b32 s20, 0
	s_mov_b32 s1, s12
	s_branch .LBB46_360
.LBB46_275:
	s_mov_b32 s17, -1
	s_mov_b32 s1, 0
	s_mov_b32 s16, s14
                                        ; implicit-def: $vgpr2
	s_branch .LBB46_409
.LBB46_276:
	s_mov_b32 s21, -1
	s_mov_b32 s20, 0
	s_mov_b32 s1, s12
	s_branch .LBB46_318
.LBB46_277:
	s_mov_b32 s17, -1
	s_mov_b32 s1, 0
	s_mov_b32 s16, s14
                                        ; implicit-def: $vgpr2
	s_branch .LBB46_404
.LBB46_278:
	s_mov_b32 s21, -1
	s_mov_b32 s20, 0
	s_mov_b32 s1, s12
	s_branch .LBB46_301
.LBB46_279:
	s_and_not1_saveexec_b32 s20, s20
	s_cbranch_execz .LBB46_54
.LBB46_280:
	v_add_f32_e32 v2, 0x46000000, v3
	s_and_not1_b32 s19, s19, exec_lo
	s_delay_alu instid0(VALU_DEP_1) | instskip(NEXT) | instid1(VALU_DEP_1)
	v_and_b32_e32 v2, 0xff, v2
	v_cmp_ne_u32_e32 vcc_lo, 0, v2
	s_and_b32 s21, vcc_lo, exec_lo
	s_delay_alu instid0(SALU_CYCLE_1)
	s_or_b32 s19, s19, s21
	s_or_b32 exec_lo, exec_lo, s20
	v_mov_b32_e32 v5, 0
	s_and_saveexec_b32 s20, s19
	s_cbranch_execnz .LBB46_55
	s_branch .LBB46_56
.LBB46_281:
	s_mov_b32 s17, -1
	s_mov_b32 s1, 0
	s_mov_b32 s16, s14
	s_branch .LBB46_286
.LBB46_282:
	s_mov_b32 s21, -1
	s_mov_b32 s20, 0
	s_mov_b32 s1, s12
	s_branch .LBB46_297
.LBB46_283:
	s_and_not1_saveexec_b32 s20, s20
	s_cbranch_execz .LBB46_67
.LBB46_284:
	v_add_f32_e32 v2, 0x42800000, v3
	s_and_not1_b32 s19, s19, exec_lo
	s_delay_alu instid0(VALU_DEP_1) | instskip(NEXT) | instid1(VALU_DEP_1)
	v_and_b32_e32 v2, 0xff, v2
	v_cmp_ne_u32_e32 vcc_lo, 0, v2
	s_and_b32 s21, vcc_lo, exec_lo
	s_delay_alu instid0(SALU_CYCLE_1)
	s_or_b32 s19, s19, s21
	s_or_b32 exec_lo, exec_lo, s20
	v_mov_b32_e32 v5, 0
	s_and_saveexec_b32 s20, s19
	s_cbranch_execnz .LBB46_68
	s_branch .LBB46_69
.LBB46_285:
	s_mov_b32 s16, -1
	s_mov_b32 s1, 0
.LBB46_286:
                                        ; implicit-def: $vgpr2
.LBB46_287:
	s_and_b32 vcc_lo, exec_lo, s17
	s_cbranch_vccz .LBB46_403
; %bb.288:
	s_cmp_eq_u32 s0, 44
	s_cbranch_scc0 .LBB46_402
; %bb.289:
	s_wait_loadcnt 0x0
	global_load_u8 v2, v[0:1], off
	s_mov_b32 s16, 0
	s_mov_b32 s1, -1
	s_wait_loadcnt 0x0
	v_lshlrev_b32_e32 v3, 23, v2
	v_cmp_ne_u32_e32 vcc_lo, 0xff, v2
	s_delay_alu instid0(VALU_DEP_2) | instskip(SKIP_1) | instid1(VALU_DEP_2)
	v_cndmask_b32_e32 v3, 0x7f800001, v3, vcc_lo
	v_cmp_ne_u32_e32 vcc_lo, 0, v2
	v_cndmask_b32_e32 v2, 0x400000, v3, vcc_lo
	s_branch .LBB46_403
.LBB46_290:
	s_mov_b32 s21, -1
	s_mov_b32 s20, 0
	s_mov_b32 s1, s12
.LBB46_291:
	s_and_b32 vcc_lo, exec_lo, s21
	s_cbranch_vccz .LBB46_296
; %bb.292:
	s_cmp_eq_u32 s19, 44
	s_mov_b32 s1, -1
	s_cbranch_scc0 .LBB46_296
; %bb.293:
	v_cndmask_b32_e64 v5, 0, 1.0, s0
	s_mov_b32 s20, exec_lo
	s_wait_xcnt 0x0
	s_delay_alu instid0(VALU_DEP_1) | instskip(NEXT) | instid1(VALU_DEP_1)
	v_dual_mov_b32 v3, 0xff :: v_dual_lshrrev_b32 v2, 23, v5
	v_cmpx_ne_u32_e32 0xff, v2
; %bb.294:
	v_and_b32_e32 v3, 0x400000, v5
	v_and_or_b32 v5, 0x3fffff, v5, v2
	s_delay_alu instid0(VALU_DEP_2) | instskip(NEXT) | instid1(VALU_DEP_2)
	v_cmp_ne_u32_e32 vcc_lo, 0, v3
	v_cmp_ne_u32_e64 s1, 0, v5
	s_and_b32 s1, vcc_lo, s1
	s_delay_alu instid0(SALU_CYCLE_1) | instskip(NEXT) | instid1(VALU_DEP_1)
	v_cndmask_b32_e64 v3, 0, 1, s1
	v_add_nc_u32_e32 v3, v2, v3
; %bb.295:
	s_or_b32 exec_lo, exec_lo, s20
	s_mov_b32 s20, -1
	s_mov_b32 s1, 0
	global_store_b8 v[0:1], v3, off
.LBB46_296:
	s_mov_b32 s21, 0
.LBB46_297:
	s_delay_alu instid0(SALU_CYCLE_1)
	s_and_b32 vcc_lo, exec_lo, s21
	s_cbranch_vccz .LBB46_300
; %bb.298:
	s_cmp_eq_u32 s19, 29
	s_mov_b32 s1, -1
	s_cbranch_scc0 .LBB46_300
; %bb.299:
	s_mov_b32 s1, 0
	s_wait_xcnt 0x0
	v_cndmask_b32_e64 v2, 0, 1, s0
	v_mov_b32_e32 v3, s1
	s_mov_b32 s20, -1
	s_mov_b32 s21, 0
	global_store_b64 v[0:1], v[2:3], off
	s_branch .LBB46_301
.LBB46_300:
	s_mov_b32 s21, 0
.LBB46_301:
	s_delay_alu instid0(SALU_CYCLE_1)
	s_and_b32 vcc_lo, exec_lo, s21
	s_cbranch_vccz .LBB46_317
; %bb.302:
	s_cmp_lt_i32 s19, 27
	s_mov_b32 s20, -1
	s_cbranch_scc1 .LBB46_308
; %bb.303:
	s_cmp_gt_i32 s19, 27
	s_cbranch_scc0 .LBB46_305
; %bb.304:
	s_wait_xcnt 0x0
	v_cndmask_b32_e64 v2, 0, 1, s0
	s_mov_b32 s20, 0
	global_store_b32 v[0:1], v2, off
.LBB46_305:
	s_and_not1_b32 vcc_lo, exec_lo, s20
	s_cbranch_vccnz .LBB46_307
; %bb.306:
	s_wait_xcnt 0x0
	v_cndmask_b32_e64 v2, 0, 1, s0
	global_store_b16 v[0:1], v2, off
.LBB46_307:
	s_mov_b32 s20, 0
.LBB46_308:
	s_delay_alu instid0(SALU_CYCLE_1)
	s_and_not1_b32 vcc_lo, exec_lo, s20
	s_cbranch_vccnz .LBB46_316
; %bb.309:
	s_wait_xcnt 0x0
	v_cndmask_b32_e64 v3, 0, 1.0, s0
	v_mov_b32_e32 v5, 0x80
	s_mov_b32 s20, exec_lo
	s_delay_alu instid0(VALU_DEP_2)
	v_cmpx_gt_u32_e32 0x43800000, v3
	s_cbranch_execz .LBB46_315
; %bb.310:
	s_mov_b32 s21, 0
	s_mov_b32 s22, exec_lo
                                        ; implicit-def: $vgpr2
	v_cmpx_lt_u32_e32 0x3bffffff, v3
	s_xor_b32 s22, exec_lo, s22
	s_cbranch_execz .LBB46_528
; %bb.311:
	v_bfe_u32 v2, v3, 20, 1
	s_mov_b32 s21, exec_lo
	s_delay_alu instid0(VALU_DEP_1) | instskip(NEXT) | instid1(VALU_DEP_1)
	v_add3_u32 v2, v3, v2, 0x487ffff
                                        ; implicit-def: $vgpr3
	v_lshrrev_b32_e32 v2, 20, v2
	s_and_not1_saveexec_b32 s22, s22
	s_cbranch_execnz .LBB46_529
.LBB46_312:
	s_or_b32 exec_lo, exec_lo, s22
	v_mov_b32_e32 v5, 0
	s_and_saveexec_b32 s22, s21
.LBB46_313:
	v_mov_b32_e32 v5, v2
.LBB46_314:
	s_or_b32 exec_lo, exec_lo, s22
.LBB46_315:
	s_delay_alu instid0(SALU_CYCLE_1)
	s_or_b32 exec_lo, exec_lo, s20
	global_store_b8 v[0:1], v5, off
.LBB46_316:
	s_mov_b32 s20, -1
.LBB46_317:
	s_mov_b32 s21, 0
.LBB46_318:
	s_delay_alu instid0(SALU_CYCLE_1)
	s_and_b32 vcc_lo, exec_lo, s21
	s_cbranch_vccz .LBB46_359
; %bb.319:
	s_cmp_gt_i32 s19, 22
	s_mov_b32 s21, -1
	s_cbranch_scc0 .LBB46_351
; %bb.320:
	s_cmp_lt_i32 s19, 24
	s_mov_b32 s20, -1
	s_cbranch_scc1 .LBB46_340
; %bb.321:
	s_cmp_gt_i32 s19, 24
	s_cbranch_scc0 .LBB46_329
; %bb.322:
	s_wait_xcnt 0x0
	v_cndmask_b32_e64 v3, 0, 1.0, s0
	v_mov_b32_e32 v5, 0x80
	s_mov_b32 s20, exec_lo
	s_delay_alu instid0(VALU_DEP_2)
	v_cmpx_gt_u32_e32 0x47800000, v3
	s_cbranch_execz .LBB46_328
; %bb.323:
	s_mov_b32 s21, 0
	s_mov_b32 s22, exec_lo
                                        ; implicit-def: $vgpr2
	v_cmpx_lt_u32_e32 0x37ffffff, v3
	s_xor_b32 s22, exec_lo, s22
	s_cbranch_execz .LBB46_531
; %bb.324:
	v_bfe_u32 v2, v3, 21, 1
	s_mov_b32 s21, exec_lo
	s_delay_alu instid0(VALU_DEP_1) | instskip(NEXT) | instid1(VALU_DEP_1)
	v_add3_u32 v2, v3, v2, 0x88fffff
                                        ; implicit-def: $vgpr3
	v_lshrrev_b32_e32 v2, 21, v2
	s_and_not1_saveexec_b32 s22, s22
	s_cbranch_execnz .LBB46_532
.LBB46_325:
	s_or_b32 exec_lo, exec_lo, s22
	v_mov_b32_e32 v5, 0
	s_and_saveexec_b32 s22, s21
.LBB46_326:
	v_mov_b32_e32 v5, v2
.LBB46_327:
	s_or_b32 exec_lo, exec_lo, s22
.LBB46_328:
	s_delay_alu instid0(SALU_CYCLE_1)
	s_or_b32 exec_lo, exec_lo, s20
	s_mov_b32 s20, 0
	global_store_b8 v[0:1], v5, off
.LBB46_329:
	s_and_b32 vcc_lo, exec_lo, s20
	s_cbranch_vccz .LBB46_339
; %bb.330:
	s_wait_xcnt 0x0
	v_cndmask_b32_e64 v3, 0, 1.0, s0
	s_mov_b32 s20, exec_lo
                                        ; implicit-def: $vgpr2
	s_delay_alu instid0(VALU_DEP_1)
	v_cmpx_gt_u32_e32 0x43f00000, v3
	s_xor_b32 s20, exec_lo, s20
	s_cbranch_execz .LBB46_336
; %bb.331:
	s_mov_b32 s21, exec_lo
                                        ; implicit-def: $vgpr2
	v_cmpx_lt_u32_e32 0x3c7fffff, v3
	s_xor_b32 s21, exec_lo, s21
; %bb.332:
	v_bfe_u32 v2, v3, 20, 1
	s_delay_alu instid0(VALU_DEP_1) | instskip(NEXT) | instid1(VALU_DEP_1)
	v_add3_u32 v2, v3, v2, 0x407ffff
	v_and_b32_e32 v3, 0xff00000, v2
	v_lshrrev_b32_e32 v2, 20, v2
	s_delay_alu instid0(VALU_DEP_2) | instskip(NEXT) | instid1(VALU_DEP_2)
	v_cmp_ne_u32_e32 vcc_lo, 0x7f00000, v3
                                        ; implicit-def: $vgpr3
	v_cndmask_b32_e32 v2, 0x7e, v2, vcc_lo
; %bb.333:
	s_and_not1_saveexec_b32 s21, s21
; %bb.334:
	v_add_f32_e32 v2, 0x46800000, v3
; %bb.335:
	s_or_b32 exec_lo, exec_lo, s21
                                        ; implicit-def: $vgpr3
.LBB46_336:
	s_and_not1_saveexec_b32 s20, s20
; %bb.337:
	v_mov_b32_e32 v2, 0x7f
	v_cmp_lt_u32_e32 vcc_lo, 0x7f800000, v3
	s_delay_alu instid0(VALU_DEP_2)
	v_cndmask_b32_e32 v2, 0x7e, v2, vcc_lo
; %bb.338:
	s_or_b32 exec_lo, exec_lo, s20
	global_store_b8 v[0:1], v2, off
.LBB46_339:
	s_mov_b32 s20, 0
.LBB46_340:
	s_delay_alu instid0(SALU_CYCLE_1)
	s_and_not1_b32 vcc_lo, exec_lo, s20
	s_cbranch_vccnz .LBB46_350
; %bb.341:
	s_wait_xcnt 0x0
	v_cndmask_b32_e64 v3, 0, 1.0, s0
	s_mov_b32 s20, exec_lo
                                        ; implicit-def: $vgpr2
	s_delay_alu instid0(VALU_DEP_1)
	v_cmpx_gt_u32_e32 0x47800000, v3
	s_xor_b32 s20, exec_lo, s20
	s_cbranch_execz .LBB46_347
; %bb.342:
	s_mov_b32 s21, exec_lo
                                        ; implicit-def: $vgpr2
	v_cmpx_lt_u32_e32 0x387fffff, v3
	s_xor_b32 s21, exec_lo, s21
; %bb.343:
	v_bfe_u32 v2, v3, 21, 1
	s_delay_alu instid0(VALU_DEP_1) | instskip(NEXT) | instid1(VALU_DEP_1)
	v_add3_u32 v2, v3, v2, 0x80fffff
                                        ; implicit-def: $vgpr3
	v_lshrrev_b32_e32 v2, 21, v2
; %bb.344:
	s_and_not1_saveexec_b32 s21, s21
; %bb.345:
	v_add_f32_e32 v2, 0x43000000, v3
; %bb.346:
	s_or_b32 exec_lo, exec_lo, s21
                                        ; implicit-def: $vgpr3
.LBB46_347:
	s_and_not1_saveexec_b32 s20, s20
; %bb.348:
	v_mov_b32_e32 v2, 0x7f
	v_cmp_lt_u32_e32 vcc_lo, 0x7f800000, v3
	s_delay_alu instid0(VALU_DEP_2)
	v_cndmask_b32_e32 v2, 0x7c, v2, vcc_lo
; %bb.349:
	s_or_b32 exec_lo, exec_lo, s20
	global_store_b8 v[0:1], v2, off
.LBB46_350:
	s_mov_b32 s21, 0
	s_mov_b32 s20, -1
.LBB46_351:
	s_and_not1_b32 vcc_lo, exec_lo, s21
	s_cbranch_vccnz .LBB46_359
; %bb.352:
	s_cmp_gt_i32 s19, 14
	s_mov_b32 s21, -1
	s_cbranch_scc0 .LBB46_356
; %bb.353:
	s_cmp_eq_u32 s19, 15
	s_mov_b32 s1, -1
	s_cbranch_scc0 .LBB46_355
; %bb.354:
	s_wait_xcnt 0x0
	v_cndmask_b32_e64 v2, 0, 1.0, s0
	s_mov_b32 s20, -1
	s_mov_b32 s1, 0
	s_delay_alu instid0(VALU_DEP_1) | instskip(NEXT) | instid1(VALU_DEP_1)
	v_bfe_u32 v3, v2, 16, 1
	v_add3_u32 v2, v2, v3, 0x7fff
	global_store_d16_hi_b16 v[0:1], v2, off
.LBB46_355:
	s_mov_b32 s21, 0
.LBB46_356:
	s_delay_alu instid0(SALU_CYCLE_1)
	s_and_b32 vcc_lo, exec_lo, s21
	s_cbranch_vccz .LBB46_359
; %bb.357:
	s_cmp_eq_u32 s19, 11
	s_mov_b32 s1, -1
	s_cbranch_scc0 .LBB46_359
; %bb.358:
	s_wait_xcnt 0x0
	v_cndmask_b32_e64 v2, 0, 1, s0
	s_mov_b32 s20, -1
	s_mov_b32 s1, 0
	global_store_b8 v[0:1], v2, off
.LBB46_359:
	s_mov_b32 s19, 0
.LBB46_360:
	s_delay_alu instid0(SALU_CYCLE_1)
	s_and_b32 vcc_lo, exec_lo, s19
	s_cbranch_vccz .LBB46_399
; %bb.361:
	s_and_b32 s17, 0xffff, s17
	s_mov_b32 s19, -1
	s_cmp_lt_i32 s17, 5
	s_cbranch_scc1 .LBB46_382
; %bb.362:
	s_cmp_lt_i32 s17, 8
	s_cbranch_scc1 .LBB46_372
; %bb.363:
	;; [unrolled: 3-line block ×3, first 2 shown]
	s_cmp_gt_i32 s17, 9
	s_cbranch_scc0 .LBB46_366
; %bb.365:
	s_wait_xcnt 0x0
	v_cndmask_b32_e64 v2, 0, 1, s0
	v_mov_b32_e32 v8, 0
	s_mov_b32 s19, 0
	s_delay_alu instid0(VALU_DEP_2) | instskip(NEXT) | instid1(VALU_DEP_2)
	v_cvt_f64_u32_e32 v[6:7], v2
	v_mov_b32_e32 v9, v8
	global_store_b128 v[0:1], v[6:9], off
.LBB46_366:
	s_and_not1_b32 vcc_lo, exec_lo, s19
	s_cbranch_vccnz .LBB46_368
; %bb.367:
	s_wait_xcnt 0x0
	v_cndmask_b32_e64 v2, 0, 1.0, s0
	v_mov_b32_e32 v3, 0
	global_store_b64 v[0:1], v[2:3], off
.LBB46_368:
	s_mov_b32 s19, 0
.LBB46_369:
	s_delay_alu instid0(SALU_CYCLE_1)
	s_and_not1_b32 vcc_lo, exec_lo, s19
	s_cbranch_vccnz .LBB46_371
; %bb.370:
	s_wait_xcnt 0x0
	v_cndmask_b32_e64 v2, 0, 1.0, s0
	s_delay_alu instid0(VALU_DEP_1) | instskip(NEXT) | instid1(VALU_DEP_1)
	v_cvt_f16_f32_e32 v2, v2
	v_and_b32_e32 v2, 0xffff, v2
	global_store_b32 v[0:1], v2, off
.LBB46_371:
	s_mov_b32 s19, 0
.LBB46_372:
	s_delay_alu instid0(SALU_CYCLE_1)
	s_and_not1_b32 vcc_lo, exec_lo, s19
	s_cbranch_vccnz .LBB46_381
; %bb.373:
	s_cmp_lt_i32 s17, 6
	s_mov_b32 s19, -1
	s_cbranch_scc1 .LBB46_379
; %bb.374:
	s_cmp_gt_i32 s17, 6
	s_cbranch_scc0 .LBB46_376
; %bb.375:
	s_wait_xcnt 0x0
	v_cndmask_b32_e64 v2, 0, 1, s0
	s_mov_b32 s19, 0
	s_delay_alu instid0(VALU_DEP_1)
	v_cvt_f64_u32_e32 v[2:3], v2
	global_store_b64 v[0:1], v[2:3], off
.LBB46_376:
	s_and_not1_b32 vcc_lo, exec_lo, s19
	s_cbranch_vccnz .LBB46_378
; %bb.377:
	s_wait_xcnt 0x0
	v_cndmask_b32_e64 v2, 0, 1.0, s0
	global_store_b32 v[0:1], v2, off
.LBB46_378:
	s_mov_b32 s19, 0
.LBB46_379:
	s_delay_alu instid0(SALU_CYCLE_1)
	s_and_not1_b32 vcc_lo, exec_lo, s19
	s_cbranch_vccnz .LBB46_381
; %bb.380:
	s_wait_xcnt 0x0
	v_cndmask_b32_e64 v2, 0, 1.0, s0
	s_delay_alu instid0(VALU_DEP_1)
	v_cvt_f16_f32_e32 v2, v2
	global_store_b16 v[0:1], v2, off
.LBB46_381:
	s_mov_b32 s19, 0
.LBB46_382:
	s_delay_alu instid0(SALU_CYCLE_1)
	s_and_not1_b32 vcc_lo, exec_lo, s19
	s_cbranch_vccnz .LBB46_398
; %bb.383:
	s_cmp_lt_i32 s17, 2
	s_mov_b32 s19, -1
	s_cbranch_scc1 .LBB46_393
; %bb.384:
	s_cmp_lt_i32 s17, 3
	s_cbranch_scc1 .LBB46_390
; %bb.385:
	s_cmp_gt_i32 s17, 3
	s_cbranch_scc0 .LBB46_387
; %bb.386:
	s_mov_b32 s19, 0
	s_wait_xcnt 0x0
	v_cndmask_b32_e64 v2, 0, 1, s0
	v_mov_b32_e32 v3, s19
	global_store_b64 v[0:1], v[2:3], off
.LBB46_387:
	s_and_not1_b32 vcc_lo, exec_lo, s19
	s_cbranch_vccnz .LBB46_389
; %bb.388:
	s_wait_xcnt 0x0
	v_cndmask_b32_e64 v2, 0, 1, s0
	global_store_b32 v[0:1], v2, off
.LBB46_389:
	s_mov_b32 s19, 0
.LBB46_390:
	s_delay_alu instid0(SALU_CYCLE_1)
	s_and_not1_b32 vcc_lo, exec_lo, s19
	s_cbranch_vccnz .LBB46_392
; %bb.391:
	s_wait_xcnt 0x0
	v_cndmask_b32_e64 v2, 0, 1, s0
	global_store_b16 v[0:1], v2, off
.LBB46_392:
	s_mov_b32 s19, 0
.LBB46_393:
	s_delay_alu instid0(SALU_CYCLE_1)
	s_and_not1_b32 vcc_lo, exec_lo, s19
	s_cbranch_vccnz .LBB46_398
; %bb.394:
	s_wait_xcnt 0x0
	v_cndmask_b32_e64 v2, 0, 1, s0
	s_cmp_gt_i32 s17, 0
	s_mov_b32 s0, -1
	s_cbranch_scc0 .LBB46_396
; %bb.395:
	s_mov_b32 s0, 0
	global_store_b8 v[0:1], v2, off
.LBB46_396:
	s_and_not1_b32 vcc_lo, exec_lo, s0
	s_cbranch_vccnz .LBB46_398
; %bb.397:
	global_store_b8 v[0:1], v2, off
.LBB46_398:
	s_mov_b32 s20, -1
.LBB46_399:
	s_delay_alu instid0(SALU_CYCLE_1)
	s_and_not1_b32 vcc_lo, exec_lo, s20
	s_cbranch_vccnz .LBB46_401
; %bb.400:
	v_add_nc_u32_e32 v4, 0x80, v4
	s_mov_b32 s0, -1
	s_branch .LBB46_514
.LBB46_401:
	s_mov_b32 s0, 0
	s_branch .LBB46_513
.LBB46_402:
	s_mov_b32 s16, -1
                                        ; implicit-def: $vgpr2
.LBB46_403:
	s_mov_b32 s17, 0
.LBB46_404:
	s_delay_alu instid0(SALU_CYCLE_1)
	s_and_b32 vcc_lo, exec_lo, s17
	s_cbranch_vccz .LBB46_408
; %bb.405:
	s_cmp_eq_u32 s0, 29
	s_cbranch_scc0 .LBB46_407
; %bb.406:
	s_wait_loadcnt 0x0
	global_load_b64 v[2:3], v[0:1], off
	s_mov_b32 s1, -1
	s_mov_b32 s16, 0
	s_mov_b32 s17, 0
	s_wait_loadcnt 0x0
	v_clz_i32_u32_e32 v5, v3
	s_delay_alu instid0(VALU_DEP_1) | instskip(NEXT) | instid1(VALU_DEP_1)
	v_min_u32_e32 v5, 32, v5
	v_lshlrev_b64_e32 v[2:3], v5, v[2:3]
	s_delay_alu instid0(VALU_DEP_1) | instskip(NEXT) | instid1(VALU_DEP_1)
	v_min_u32_e32 v2, 1, v2
	v_dual_sub_nc_u32 v3, 32, v5 :: v_dual_bitop2_b32 v2, v3, v2 bitop3:0x54
	s_delay_alu instid0(VALU_DEP_1) | instskip(NEXT) | instid1(VALU_DEP_1)
	v_cvt_f32_u32_e32 v2, v2
	v_ldexp_f32 v2, v2, v3
	s_branch .LBB46_409
.LBB46_407:
	s_mov_b32 s16, -1
                                        ; implicit-def: $vgpr2
.LBB46_408:
	s_mov_b32 s17, 0
.LBB46_409:
	s_delay_alu instid0(SALU_CYCLE_1)
	s_and_b32 vcc_lo, exec_lo, s17
	s_cbranch_vccz .LBB46_427
; %bb.410:
	s_cmp_lt_i32 s0, 27
	s_cbranch_scc1 .LBB46_413
; %bb.411:
	s_cmp_gt_i32 s0, 27
	s_cbranch_scc0 .LBB46_414
; %bb.412:
	s_wait_loadcnt 0x0
	global_load_b32 v2, v[0:1], off
	s_mov_b32 s1, 0
	s_wait_loadcnt 0x0
	v_cvt_f32_u32_e32 v2, v2
	s_branch .LBB46_415
.LBB46_413:
	s_mov_b32 s1, -1
                                        ; implicit-def: $vgpr2
	s_branch .LBB46_418
.LBB46_414:
	s_mov_b32 s1, -1
                                        ; implicit-def: $vgpr2
.LBB46_415:
	s_delay_alu instid0(SALU_CYCLE_1)
	s_and_not1_b32 vcc_lo, exec_lo, s1
	s_cbranch_vccnz .LBB46_417
; %bb.416:
	s_wait_loadcnt 0x0
	global_load_u16 v2, v[0:1], off
	s_wait_loadcnt 0x0
	v_cvt_f32_u32_e32 v2, v2
.LBB46_417:
	s_mov_b32 s1, 0
.LBB46_418:
	s_delay_alu instid0(SALU_CYCLE_1)
	s_and_not1_b32 vcc_lo, exec_lo, s1
	s_cbranch_vccnz .LBB46_426
; %bb.419:
	global_load_u8 v3, v[0:1], off
	s_mov_b32 s1, 0
	s_mov_b32 s17, exec_lo
	s_wait_loadcnt 0x0
	v_cmpx_lt_i16_e32 0x7f, v3
	s_xor_b32 s17, exec_lo, s17
	s_cbranch_execz .LBB46_440
; %bb.420:
	s_mov_b32 s1, -1
	s_mov_b32 s19, exec_lo
	v_cmpx_eq_u16_e32 0x80, v3
; %bb.421:
	s_xor_b32 s1, exec_lo, -1
; %bb.422:
	s_or_b32 exec_lo, exec_lo, s19
	s_delay_alu instid0(SALU_CYCLE_1)
	s_and_b32 s1, s1, exec_lo
	s_or_saveexec_b32 s17, s17
	v_mov_b32_e32 v2, 0x7f800001
	s_xor_b32 exec_lo, exec_lo, s17
	s_cbranch_execnz .LBB46_441
.LBB46_423:
	s_or_b32 exec_lo, exec_lo, s17
	s_and_saveexec_b32 s17, s1
	s_cbranch_execz .LBB46_425
.LBB46_424:
	v_and_b32_e32 v2, 0xffff, v3
	s_delay_alu instid0(VALU_DEP_1) | instskip(SKIP_1) | instid1(VALU_DEP_2)
	v_dual_lshlrev_b32 v3, 24, v3 :: v_dual_bitop2_b32 v5, 7, v2 bitop3:0x40
	v_bfe_u32 v8, v2, 3, 4
	v_and_b32_e32 v3, 0x80000000, v3
	s_delay_alu instid0(VALU_DEP_3) | instskip(NEXT) | instid1(VALU_DEP_3)
	v_clz_i32_u32_e32 v6, v5
	v_cmp_eq_u32_e32 vcc_lo, 0, v8
	s_delay_alu instid0(VALU_DEP_2) | instskip(NEXT) | instid1(VALU_DEP_1)
	v_min_u32_e32 v6, 32, v6
	v_subrev_nc_u32_e32 v7, 28, v6
	v_sub_nc_u32_e32 v6, 29, v6
	s_delay_alu instid0(VALU_DEP_2) | instskip(NEXT) | instid1(VALU_DEP_2)
	v_lshlrev_b32_e32 v2, v7, v2
	v_cndmask_b32_e32 v6, v8, v6, vcc_lo
	s_delay_alu instid0(VALU_DEP_2) | instskip(NEXT) | instid1(VALU_DEP_1)
	v_and_b32_e32 v2, 7, v2
	v_cndmask_b32_e32 v2, v5, v2, vcc_lo
	s_delay_alu instid0(VALU_DEP_3) | instskip(NEXT) | instid1(VALU_DEP_2)
	v_lshl_add_u32 v5, v6, 23, 0x3b800000
	v_lshlrev_b32_e32 v2, 20, v2
	s_delay_alu instid0(VALU_DEP_1)
	v_or3_b32 v2, v3, v5, v2
.LBB46_425:
	s_or_b32 exec_lo, exec_lo, s17
.LBB46_426:
	s_mov_b32 s1, -1
.LBB46_427:
	s_mov_b32 s17, 0
.LBB46_428:
	s_delay_alu instid0(SALU_CYCLE_1)
	s_and_b32 vcc_lo, exec_lo, s17
	s_cbranch_vccz .LBB46_463
; %bb.429:
	s_cmp_gt_i32 s0, 22
	s_cbranch_scc0 .LBB46_439
; %bb.430:
	s_cmp_lt_i32 s0, 24
	s_cbranch_scc1 .LBB46_442
; %bb.431:
	s_cmp_gt_i32 s0, 24
	s_cbranch_scc0 .LBB46_443
; %bb.432:
	global_load_u8 v3, v[0:1], off
	s_mov_b32 s1, 0
	s_mov_b32 s17, exec_lo
	s_wait_loadcnt 0x0
	v_cmpx_lt_i16_e32 0x7f, v3
	s_xor_b32 s17, exec_lo, s17
	s_cbranch_execz .LBB46_455
; %bb.433:
	s_mov_b32 s1, -1
	s_mov_b32 s19, exec_lo
	v_cmpx_eq_u16_e32 0x80, v3
; %bb.434:
	s_xor_b32 s1, exec_lo, -1
; %bb.435:
	s_or_b32 exec_lo, exec_lo, s19
	s_delay_alu instid0(SALU_CYCLE_1)
	s_and_b32 s1, s1, exec_lo
	s_or_saveexec_b32 s17, s17
	v_mov_b32_e32 v2, 0x7f800001
	s_xor_b32 exec_lo, exec_lo, s17
	s_cbranch_execnz .LBB46_456
.LBB46_436:
	s_or_b32 exec_lo, exec_lo, s17
	s_and_saveexec_b32 s17, s1
	s_cbranch_execz .LBB46_438
.LBB46_437:
	v_and_b32_e32 v2, 0xffff, v3
	s_delay_alu instid0(VALU_DEP_1) | instskip(SKIP_1) | instid1(VALU_DEP_2)
	v_dual_lshlrev_b32 v3, 24, v3 :: v_dual_bitop2_b32 v5, 3, v2 bitop3:0x40
	v_bfe_u32 v8, v2, 2, 5
	v_and_b32_e32 v3, 0x80000000, v3
	s_delay_alu instid0(VALU_DEP_3) | instskip(NEXT) | instid1(VALU_DEP_3)
	v_clz_i32_u32_e32 v6, v5
	v_cmp_eq_u32_e32 vcc_lo, 0, v8
	s_delay_alu instid0(VALU_DEP_2) | instskip(NEXT) | instid1(VALU_DEP_1)
	v_min_u32_e32 v6, 32, v6
	v_subrev_nc_u32_e32 v7, 29, v6
	v_sub_nc_u32_e32 v6, 30, v6
	s_delay_alu instid0(VALU_DEP_2) | instskip(NEXT) | instid1(VALU_DEP_2)
	v_lshlrev_b32_e32 v2, v7, v2
	v_cndmask_b32_e32 v6, v8, v6, vcc_lo
	s_delay_alu instid0(VALU_DEP_2) | instskip(NEXT) | instid1(VALU_DEP_1)
	v_and_b32_e32 v2, 3, v2
	v_cndmask_b32_e32 v2, v5, v2, vcc_lo
	s_delay_alu instid0(VALU_DEP_3) | instskip(NEXT) | instid1(VALU_DEP_2)
	v_lshl_add_u32 v5, v6, 23, 0x37800000
	v_lshlrev_b32_e32 v2, 21, v2
	s_delay_alu instid0(VALU_DEP_1)
	v_or3_b32 v2, v3, v5, v2
.LBB46_438:
	s_or_b32 exec_lo, exec_lo, s17
	s_mov_b32 s1, 0
	s_branch .LBB46_444
.LBB46_439:
	s_mov_b32 s17, -1
                                        ; implicit-def: $vgpr2
	s_branch .LBB46_450
.LBB46_440:
	s_or_saveexec_b32 s17, s17
	v_mov_b32_e32 v2, 0x7f800001
	s_xor_b32 exec_lo, exec_lo, s17
	s_cbranch_execz .LBB46_423
.LBB46_441:
	v_cmp_ne_u16_e32 vcc_lo, 0, v3
	v_mov_b32_e32 v2, 0
	s_and_not1_b32 s1, s1, exec_lo
	s_and_b32 s19, vcc_lo, exec_lo
	s_delay_alu instid0(SALU_CYCLE_1)
	s_or_b32 s1, s1, s19
	s_or_b32 exec_lo, exec_lo, s17
	s_and_saveexec_b32 s17, s1
	s_cbranch_execnz .LBB46_424
	s_branch .LBB46_425
.LBB46_442:
	s_mov_b32 s1, -1
                                        ; implicit-def: $vgpr2
	s_branch .LBB46_447
.LBB46_443:
	s_mov_b32 s1, -1
                                        ; implicit-def: $vgpr2
.LBB46_444:
	s_delay_alu instid0(SALU_CYCLE_1)
	s_and_b32 vcc_lo, exec_lo, s1
	s_cbranch_vccz .LBB46_446
; %bb.445:
	s_wait_loadcnt 0x0
	global_load_u8 v2, v[0:1], off
	s_wait_loadcnt 0x0
	v_lshlrev_b32_e32 v2, 24, v2
	s_delay_alu instid0(VALU_DEP_1) | instskip(NEXT) | instid1(VALU_DEP_1)
	v_and_b32_e32 v3, 0x7f000000, v2
	v_clz_i32_u32_e32 v5, v3
	v_add_nc_u32_e32 v7, 0x1000000, v3
	v_cmp_ne_u32_e32 vcc_lo, 0, v3
	s_delay_alu instid0(VALU_DEP_3) | instskip(NEXT) | instid1(VALU_DEP_1)
	v_min_u32_e32 v5, 32, v5
	v_sub_nc_u32_e64 v5, v5, 4 clamp
	s_delay_alu instid0(VALU_DEP_1) | instskip(NEXT) | instid1(VALU_DEP_1)
	v_dual_lshlrev_b32 v6, v5, v3 :: v_dual_lshlrev_b32 v5, 23, v5
	v_lshrrev_b32_e32 v6, 4, v6
	s_delay_alu instid0(VALU_DEP_1) | instskip(NEXT) | instid1(VALU_DEP_1)
	v_dual_sub_nc_u32 v5, v6, v5 :: v_dual_ashrrev_i32 v6, 8, v7
	v_add_nc_u32_e32 v5, 0x3c000000, v5
	s_delay_alu instid0(VALU_DEP_1) | instskip(NEXT) | instid1(VALU_DEP_1)
	v_and_or_b32 v5, 0x7f800000, v6, v5
	v_cndmask_b32_e32 v3, 0, v5, vcc_lo
	s_delay_alu instid0(VALU_DEP_1)
	v_and_or_b32 v2, 0x80000000, v2, v3
.LBB46_446:
	s_mov_b32 s1, 0
.LBB46_447:
	s_delay_alu instid0(SALU_CYCLE_1)
	s_and_not1_b32 vcc_lo, exec_lo, s1
	s_cbranch_vccnz .LBB46_449
; %bb.448:
	s_wait_loadcnt 0x0
	global_load_u8 v2, v[0:1], off
	s_wait_loadcnt 0x0
	v_lshlrev_b32_e32 v3, 25, v2
	v_lshlrev_b16 v2, 8, v2
	s_delay_alu instid0(VALU_DEP_2) | instskip(NEXT) | instid1(VALU_DEP_2)
	v_cmp_gt_u32_e32 vcc_lo, 0x8000000, v3
	v_and_or_b32 v6, 0x7f00, v2, 0.5
	v_lshrrev_b32_e32 v5, 4, v3
	v_bfe_i32 v2, v2, 0, 16
	s_delay_alu instid0(VALU_DEP_3) | instskip(NEXT) | instid1(VALU_DEP_3)
	v_add_f32_e32 v6, -0.5, v6
	v_or_b32_e32 v5, 0x70000000, v5
	s_delay_alu instid0(VALU_DEP_1) | instskip(NEXT) | instid1(VALU_DEP_1)
	v_mul_f32_e32 v5, 0x7800000, v5
	v_cndmask_b32_e32 v3, v5, v6, vcc_lo
	s_delay_alu instid0(VALU_DEP_1)
	v_and_or_b32 v2, 0x80000000, v2, v3
.LBB46_449:
	s_mov_b32 s17, 0
	s_mov_b32 s1, -1
.LBB46_450:
	s_and_not1_b32 vcc_lo, exec_lo, s17
	s_cbranch_vccnz .LBB46_463
; %bb.451:
	s_cmp_gt_i32 s0, 14
	s_cbranch_scc0 .LBB46_454
; %bb.452:
	s_cmp_eq_u32 s0, 15
	s_cbranch_scc0 .LBB46_457
; %bb.453:
	s_wait_loadcnt 0x0
	global_load_u16 v2, v[0:1], off
	s_mov_b32 s1, -1
	s_mov_b32 s16, 0
	s_wait_loadcnt 0x0
	v_lshlrev_b32_e32 v2, 16, v2
	s_branch .LBB46_458
.LBB46_454:
	s_mov_b32 s17, -1
                                        ; implicit-def: $vgpr2
	s_branch .LBB46_459
.LBB46_455:
	s_or_saveexec_b32 s17, s17
	v_mov_b32_e32 v2, 0x7f800001
	s_xor_b32 exec_lo, exec_lo, s17
	s_cbranch_execz .LBB46_436
.LBB46_456:
	v_cmp_ne_u16_e32 vcc_lo, 0, v3
	v_mov_b32_e32 v2, 0
	s_and_not1_b32 s1, s1, exec_lo
	s_and_b32 s19, vcc_lo, exec_lo
	s_delay_alu instid0(SALU_CYCLE_1)
	s_or_b32 s1, s1, s19
	s_or_b32 exec_lo, exec_lo, s17
	s_and_saveexec_b32 s17, s1
	s_cbranch_execnz .LBB46_437
	s_branch .LBB46_438
.LBB46_457:
	s_mov_b32 s16, -1
                                        ; implicit-def: $vgpr2
.LBB46_458:
	s_mov_b32 s17, 0
.LBB46_459:
	s_delay_alu instid0(SALU_CYCLE_1)
	s_and_b32 vcc_lo, exec_lo, s17
	s_cbranch_vccz .LBB46_463
; %bb.460:
	s_cmp_eq_u32 s0, 11
	s_cbranch_scc0 .LBB46_462
; %bb.461:
	s_wait_loadcnt 0x0
	global_load_u8 v2, v[0:1], off
	s_mov_b32 s16, 0
	s_mov_b32 s1, -1
	s_wait_loadcnt 0x0
	v_cmp_ne_u16_e32 vcc_lo, 0, v2
	v_cndmask_b32_e64 v2, 0, 1.0, vcc_lo
	s_branch .LBB46_463
.LBB46_462:
	s_mov_b32 s16, -1
                                        ; implicit-def: $vgpr2
.LBB46_463:
	s_branch .LBB46_265
.LBB46_464:
	s_cmp_lt_i32 s0, 5
	s_cbranch_scc1 .LBB46_469
; %bb.465:
	s_cmp_lt_i32 s0, 8
	s_cbranch_scc1 .LBB46_470
; %bb.466:
	;; [unrolled: 3-line block ×3, first 2 shown]
	s_cmp_gt_i32 s0, 9
	s_cbranch_scc0 .LBB46_472
; %bb.468:
	s_wait_loadcnt 0x0
	global_load_b64 v[2:3], v[0:1], off
	s_mov_b32 s1, 0
	s_wait_loadcnt 0x0
	v_cvt_f32_f64_e32 v2, v[2:3]
	s_branch .LBB46_473
.LBB46_469:
	s_mov_b32 s1, -1
                                        ; implicit-def: $vgpr2
	s_branch .LBB46_491
.LBB46_470:
	s_mov_b32 s1, -1
                                        ; implicit-def: $vgpr2
	s_branch .LBB46_479
.LBB46_471:
	s_mov_b32 s1, -1
                                        ; implicit-def: $vgpr2
	s_branch .LBB46_476
.LBB46_472:
	s_mov_b32 s1, -1
                                        ; implicit-def: $vgpr2
.LBB46_473:
	s_delay_alu instid0(SALU_CYCLE_1)
	s_and_not1_b32 vcc_lo, exec_lo, s1
	s_cbranch_vccnz .LBB46_475
; %bb.474:
	s_wait_loadcnt 0x0
	global_load_b32 v2, v[0:1], off
.LBB46_475:
	s_mov_b32 s1, 0
.LBB46_476:
	s_delay_alu instid0(SALU_CYCLE_1)
	s_and_not1_b32 vcc_lo, exec_lo, s1
	s_cbranch_vccnz .LBB46_478
; %bb.477:
	s_wait_loadcnt 0x0
	global_load_b32 v2, v[0:1], off
	s_wait_loadcnt 0x0
	v_cvt_f32_f16_e32 v2, v2
.LBB46_478:
	s_mov_b32 s1, 0
.LBB46_479:
	s_delay_alu instid0(SALU_CYCLE_1)
	s_and_not1_b32 vcc_lo, exec_lo, s1
	s_cbranch_vccnz .LBB46_490
; %bb.480:
	s_cmp_lt_i32 s0, 6
	s_cbranch_scc1 .LBB46_483
; %bb.481:
	s_cmp_gt_i32 s0, 6
	s_cbranch_scc0 .LBB46_484
; %bb.482:
	s_wait_loadcnt 0x0
	global_load_b64 v[2:3], v[0:1], off
	s_mov_b32 s1, 0
	s_wait_loadcnt 0x0
	v_cvt_f32_f64_e32 v2, v[2:3]
	s_branch .LBB46_485
.LBB46_483:
	s_mov_b32 s1, -1
                                        ; implicit-def: $vgpr2
	s_branch .LBB46_488
.LBB46_484:
	s_mov_b32 s1, -1
                                        ; implicit-def: $vgpr2
.LBB46_485:
	s_delay_alu instid0(SALU_CYCLE_1)
	s_and_not1_b32 vcc_lo, exec_lo, s1
	s_cbranch_vccnz .LBB46_487
; %bb.486:
	s_wait_loadcnt 0x0
	global_load_b32 v2, v[0:1], off
.LBB46_487:
	s_mov_b32 s1, 0
.LBB46_488:
	s_delay_alu instid0(SALU_CYCLE_1)
	s_and_not1_b32 vcc_lo, exec_lo, s1
	s_cbranch_vccnz .LBB46_490
; %bb.489:
	s_wait_loadcnt 0x0
	global_load_u16 v2, v[0:1], off
	s_wait_loadcnt 0x0
	v_cvt_f32_f16_e32 v2, v2
.LBB46_490:
	s_mov_b32 s1, 0
.LBB46_491:
	s_delay_alu instid0(SALU_CYCLE_1)
	s_and_not1_b32 vcc_lo, exec_lo, s1
	s_cbranch_vccnz .LBB46_511
; %bb.492:
	s_cmp_lt_i32 s0, 2
	s_cbranch_scc1 .LBB46_496
; %bb.493:
	s_cmp_lt_i32 s0, 3
	s_cbranch_scc1 .LBB46_497
; %bb.494:
	s_cmp_gt_i32 s0, 3
	s_cbranch_scc0 .LBB46_498
; %bb.495:
	s_wait_loadcnt 0x0
	global_load_b64 v[2:3], v[0:1], off
	s_mov_b32 s1, 0
	s_wait_loadcnt 0x0
	v_xor_b32_e32 v5, v2, v3
	v_cls_i32_e32 v6, v3
	s_delay_alu instid0(VALU_DEP_2) | instskip(NEXT) | instid1(VALU_DEP_1)
	v_ashrrev_i32_e32 v5, 31, v5
	v_add_nc_u32_e32 v5, 32, v5
	s_delay_alu instid0(VALU_DEP_1) | instskip(NEXT) | instid1(VALU_DEP_1)
	v_add_min_u32_e64 v5, v6, -1, v5
	v_lshlrev_b64_e32 v[2:3], v5, v[2:3]
	s_delay_alu instid0(VALU_DEP_1) | instskip(NEXT) | instid1(VALU_DEP_1)
	v_min_u32_e32 v2, 1, v2
	v_dual_sub_nc_u32 v3, 32, v5 :: v_dual_bitop2_b32 v2, v3, v2 bitop3:0x54
	s_delay_alu instid0(VALU_DEP_1) | instskip(NEXT) | instid1(VALU_DEP_1)
	v_cvt_f32_i32_e32 v2, v2
	v_ldexp_f32 v2, v2, v3
	s_branch .LBB46_499
.LBB46_496:
	s_mov_b32 s1, -1
                                        ; implicit-def: $vgpr2
	s_branch .LBB46_505
.LBB46_497:
	s_mov_b32 s1, -1
                                        ; implicit-def: $vgpr2
	s_branch .LBB46_502
.LBB46_498:
	s_mov_b32 s1, -1
                                        ; implicit-def: $vgpr2
.LBB46_499:
	s_delay_alu instid0(SALU_CYCLE_1)
	s_and_not1_b32 vcc_lo, exec_lo, s1
	s_cbranch_vccnz .LBB46_501
; %bb.500:
	s_wait_loadcnt 0x0
	global_load_b32 v2, v[0:1], off
	s_wait_loadcnt 0x0
	v_cvt_f32_i32_e32 v2, v2
.LBB46_501:
	s_mov_b32 s1, 0
.LBB46_502:
	s_delay_alu instid0(SALU_CYCLE_1)
	s_and_not1_b32 vcc_lo, exec_lo, s1
	s_cbranch_vccnz .LBB46_504
; %bb.503:
	s_wait_loadcnt 0x0
	global_load_i16 v2, v[0:1], off
	s_wait_loadcnt 0x0
	v_cvt_f32_i32_e32 v2, v2
.LBB46_504:
	s_mov_b32 s1, 0
.LBB46_505:
	s_delay_alu instid0(SALU_CYCLE_1)
	s_and_not1_b32 vcc_lo, exec_lo, s1
	s_cbranch_vccnz .LBB46_511
; %bb.506:
	s_cmp_gt_i32 s0, 0
	s_mov_b32 s0, 0
	s_cbranch_scc0 .LBB46_508
; %bb.507:
	s_wait_loadcnt 0x0
	global_load_i8 v2, v[0:1], off
	s_wait_loadcnt 0x0
	v_cvt_f32_i32_e32 v2, v2
	s_branch .LBB46_509
.LBB46_508:
	s_mov_b32 s0, -1
                                        ; implicit-def: $vgpr2
.LBB46_509:
	s_delay_alu instid0(SALU_CYCLE_1)
	s_and_not1_b32 vcc_lo, exec_lo, s0
	s_cbranch_vccnz .LBB46_511
; %bb.510:
	global_load_u8 v0, v[0:1], off
	s_wait_loadcnt 0x0
	v_cvt_f32_ubyte0_e32 v2, v0
.LBB46_511:
	s_branch .LBB46_266
.LBB46_512:
	s_mov_b32 s0, 0
	s_mov_b32 s1, s12
.LBB46_513:
                                        ; implicit-def: $vgpr4
.LBB46_514:
	s_and_not1_b32 s17, s12, exec_lo
	s_and_b32 s1, s1, exec_lo
	s_and_not1_b32 s19, s14, exec_lo
	s_and_b32 s16, s16, exec_lo
	s_or_b32 s17, s17, s1
	s_or_b32 s16, s19, s16
	s_or_not1_b32 s0, s0, exec_lo
.LBB46_515:
	s_wait_xcnt 0x0
	s_or_b32 exec_lo, exec_lo, s18
	s_mov_b32 s1, 0
	s_mov_b32 s19, 0
	s_mov_b32 s20, 0
                                        ; implicit-def: $vgpr0_vgpr1
                                        ; implicit-def: $vgpr2
	s_and_saveexec_b32 s18, s0
	s_cbranch_execz .LBB46_862
; %bb.516:
	s_mov_b32 s20, -1
	s_mov_b32 s0, s16
	s_mov_b32 s1, s17
	s_mov_b32 s19, exec_lo
	v_cmpx_gt_i32_e64 s13, v4
	s_cbranch_execz .LBB46_776
; %bb.517:
	v_mul_lo_u32 v0, v4, s3
	s_and_b32 s0, 0xffff, s10
	s_delay_alu instid0(SALU_CYCLE_1) | instskip(NEXT) | instid1(VALU_DEP_1)
	s_cmp_lt_i32 s0, 11
	v_ashrrev_i32_e32 v1, 31, v0
	s_delay_alu instid0(VALU_DEP_1)
	v_add_nc_u64_e32 v[0:1], s[6:7], v[0:1]
	s_cbranch_scc1 .LBB46_524
; %bb.518:
	s_cmp_gt_i32 s0, 25
	s_cbranch_scc0 .LBB46_525
; %bb.519:
	s_cmp_gt_i32 s0, 28
	s_cbranch_scc0 .LBB46_526
	;; [unrolled: 3-line block ×4, first 2 shown]
; %bb.522:
	s_cmp_eq_u32 s0, 46
	s_mov_b32 s21, 0
	s_cbranch_scc0 .LBB46_533
; %bb.523:
	s_wait_loadcnt 0x0
	global_load_b32 v2, v[0:1], off
	s_mov_b32 s1, -1
	s_mov_b32 s20, 0
	s_wait_loadcnt 0x0
	v_lshlrev_b32_e32 v2, 16, v2
	s_branch .LBB46_535
.LBB46_524:
	s_mov_b32 s21, -1
	s_mov_b32 s1, 0
	s_mov_b32 s20, s16
                                        ; implicit-def: $vgpr2
	s_branch .LBB46_600
.LBB46_525:
	s_mov_b32 s21, -1
	s_mov_b32 s1, 0
	s_mov_b32 s20, s16
                                        ; implicit-def: $vgpr2
	s_branch .LBB46_564
.LBB46_526:
	s_mov_b32 s21, -1
	s_mov_b32 s1, 0
	s_mov_b32 s20, s16
                                        ; implicit-def: $vgpr2
	s_branch .LBB46_545
.LBB46_527:
	s_mov_b32 s21, -1
	s_mov_b32 s1, 0
	s_mov_b32 s20, s16
                                        ; implicit-def: $vgpr2
	s_branch .LBB46_540
.LBB46_528:
	s_and_not1_saveexec_b32 s22, s22
	s_cbranch_execz .LBB46_312
.LBB46_529:
	v_add_f32_e32 v2, 0x46000000, v3
	s_and_not1_b32 s21, s21, exec_lo
	s_delay_alu instid0(VALU_DEP_1) | instskip(NEXT) | instid1(VALU_DEP_1)
	v_and_b32_e32 v2, 0xff, v2
	v_cmp_ne_u32_e32 vcc_lo, 0, v2
	s_and_b32 s23, vcc_lo, exec_lo
	s_delay_alu instid0(SALU_CYCLE_1)
	s_or_b32 s21, s21, s23
	s_or_b32 exec_lo, exec_lo, s22
	v_mov_b32_e32 v5, 0
	s_and_saveexec_b32 s22, s21
	s_cbranch_execnz .LBB46_313
	s_branch .LBB46_314
.LBB46_530:
	s_mov_b32 s21, -1
	s_mov_b32 s1, 0
	s_mov_b32 s20, s16
	s_branch .LBB46_534
.LBB46_531:
	s_and_not1_saveexec_b32 s22, s22
	s_cbranch_execz .LBB46_325
.LBB46_532:
	v_add_f32_e32 v2, 0x42800000, v3
	s_and_not1_b32 s21, s21, exec_lo
	s_delay_alu instid0(VALU_DEP_1) | instskip(NEXT) | instid1(VALU_DEP_1)
	v_and_b32_e32 v2, 0xff, v2
	v_cmp_ne_u32_e32 vcc_lo, 0, v2
	s_and_b32 s23, vcc_lo, exec_lo
	s_delay_alu instid0(SALU_CYCLE_1)
	s_or_b32 s21, s21, s23
	s_or_b32 exec_lo, exec_lo, s22
	v_mov_b32_e32 v5, 0
	s_and_saveexec_b32 s22, s21
	s_cbranch_execnz .LBB46_326
	s_branch .LBB46_327
.LBB46_533:
	s_mov_b32 s1, 0
.LBB46_534:
                                        ; implicit-def: $vgpr2
.LBB46_535:
	s_and_b32 vcc_lo, exec_lo, s21
	s_cbranch_vccz .LBB46_539
; %bb.536:
	s_cmp_eq_u32 s0, 44
	s_cbranch_scc0 .LBB46_538
; %bb.537:
	s_wait_loadcnt 0x0
	global_load_u8 v2, v[0:1], off
	s_mov_b32 s20, 0
	s_mov_b32 s1, -1
	s_wait_loadcnt 0x0
	v_lshlrev_b32_e32 v3, 23, v2
	v_cmp_ne_u32_e32 vcc_lo, 0xff, v2
	s_delay_alu instid0(VALU_DEP_2) | instskip(SKIP_1) | instid1(VALU_DEP_2)
	v_cndmask_b32_e32 v3, 0x7f800001, v3, vcc_lo
	v_cmp_ne_u32_e32 vcc_lo, 0, v2
	v_cndmask_b32_e32 v2, 0x400000, v3, vcc_lo
	s_branch .LBB46_539
.LBB46_538:
	s_mov_b32 s20, -1
                                        ; implicit-def: $vgpr2
.LBB46_539:
	s_mov_b32 s21, 0
.LBB46_540:
	s_delay_alu instid0(SALU_CYCLE_1)
	s_and_b32 vcc_lo, exec_lo, s21
	s_cbranch_vccz .LBB46_544
; %bb.541:
	s_cmp_eq_u32 s0, 29
	s_cbranch_scc0 .LBB46_543
; %bb.542:
	s_wait_loadcnt 0x0
	global_load_b64 v[2:3], v[0:1], off
	s_mov_b32 s1, -1
	s_mov_b32 s20, 0
	s_mov_b32 s21, 0
	s_wait_loadcnt 0x0
	v_clz_i32_u32_e32 v5, v3
	s_delay_alu instid0(VALU_DEP_1) | instskip(NEXT) | instid1(VALU_DEP_1)
	v_min_u32_e32 v5, 32, v5
	v_lshlrev_b64_e32 v[2:3], v5, v[2:3]
	s_delay_alu instid0(VALU_DEP_1) | instskip(NEXT) | instid1(VALU_DEP_1)
	v_min_u32_e32 v2, 1, v2
	v_dual_sub_nc_u32 v3, 32, v5 :: v_dual_bitop2_b32 v2, v3, v2 bitop3:0x54
	s_delay_alu instid0(VALU_DEP_1) | instskip(NEXT) | instid1(VALU_DEP_1)
	v_cvt_f32_u32_e32 v2, v2
	v_ldexp_f32 v2, v2, v3
	s_branch .LBB46_545
.LBB46_543:
	s_mov_b32 s20, -1
                                        ; implicit-def: $vgpr2
.LBB46_544:
	s_mov_b32 s21, 0
.LBB46_545:
	s_delay_alu instid0(SALU_CYCLE_1)
	s_and_b32 vcc_lo, exec_lo, s21
	s_cbranch_vccz .LBB46_563
; %bb.546:
	s_cmp_lt_i32 s0, 27
	s_cbranch_scc1 .LBB46_549
; %bb.547:
	s_cmp_gt_i32 s0, 27
	s_cbranch_scc0 .LBB46_550
; %bb.548:
	s_wait_loadcnt 0x0
	global_load_b32 v2, v[0:1], off
	s_mov_b32 s1, 0
	s_wait_loadcnt 0x0
	v_cvt_f32_u32_e32 v2, v2
	s_branch .LBB46_551
.LBB46_549:
	s_mov_b32 s1, -1
                                        ; implicit-def: $vgpr2
	s_branch .LBB46_554
.LBB46_550:
	s_mov_b32 s1, -1
                                        ; implicit-def: $vgpr2
.LBB46_551:
	s_delay_alu instid0(SALU_CYCLE_1)
	s_and_not1_b32 vcc_lo, exec_lo, s1
	s_cbranch_vccnz .LBB46_553
; %bb.552:
	s_wait_loadcnt 0x0
	global_load_u16 v2, v[0:1], off
	s_wait_loadcnt 0x0
	v_cvt_f32_u32_e32 v2, v2
.LBB46_553:
	s_mov_b32 s1, 0
.LBB46_554:
	s_delay_alu instid0(SALU_CYCLE_1)
	s_and_not1_b32 vcc_lo, exec_lo, s1
	s_cbranch_vccnz .LBB46_562
; %bb.555:
	global_load_u8 v3, v[0:1], off
	s_mov_b32 s1, 0
	s_mov_b32 s21, exec_lo
	s_wait_loadcnt 0x0
	v_cmpx_lt_i16_e32 0x7f, v3
	s_xor_b32 s21, exec_lo, s21
	s_cbranch_execz .LBB46_576
; %bb.556:
	s_mov_b32 s1, -1
	s_mov_b32 s22, exec_lo
	v_cmpx_eq_u16_e32 0x80, v3
; %bb.557:
	s_xor_b32 s1, exec_lo, -1
; %bb.558:
	s_or_b32 exec_lo, exec_lo, s22
	s_delay_alu instid0(SALU_CYCLE_1)
	s_and_b32 s1, s1, exec_lo
	s_or_saveexec_b32 s21, s21
	v_mov_b32_e32 v2, 0x7f800001
	s_xor_b32 exec_lo, exec_lo, s21
	s_cbranch_execnz .LBB46_577
.LBB46_559:
	s_or_b32 exec_lo, exec_lo, s21
	s_and_saveexec_b32 s21, s1
	s_cbranch_execz .LBB46_561
.LBB46_560:
	v_and_b32_e32 v2, 0xffff, v3
	s_delay_alu instid0(VALU_DEP_1) | instskip(SKIP_1) | instid1(VALU_DEP_2)
	v_dual_lshlrev_b32 v3, 24, v3 :: v_dual_bitop2_b32 v5, 7, v2 bitop3:0x40
	v_bfe_u32 v8, v2, 3, 4
	v_and_b32_e32 v3, 0x80000000, v3
	s_delay_alu instid0(VALU_DEP_3) | instskip(NEXT) | instid1(VALU_DEP_3)
	v_clz_i32_u32_e32 v6, v5
	v_cmp_eq_u32_e32 vcc_lo, 0, v8
	s_delay_alu instid0(VALU_DEP_2) | instskip(NEXT) | instid1(VALU_DEP_1)
	v_min_u32_e32 v6, 32, v6
	v_subrev_nc_u32_e32 v7, 28, v6
	v_sub_nc_u32_e32 v6, 29, v6
	s_delay_alu instid0(VALU_DEP_2) | instskip(NEXT) | instid1(VALU_DEP_2)
	v_lshlrev_b32_e32 v2, v7, v2
	v_cndmask_b32_e32 v6, v8, v6, vcc_lo
	s_delay_alu instid0(VALU_DEP_2) | instskip(NEXT) | instid1(VALU_DEP_1)
	v_and_b32_e32 v2, 7, v2
	v_cndmask_b32_e32 v2, v5, v2, vcc_lo
	s_delay_alu instid0(VALU_DEP_3) | instskip(NEXT) | instid1(VALU_DEP_2)
	v_lshl_add_u32 v5, v6, 23, 0x3b800000
	v_lshlrev_b32_e32 v2, 20, v2
	s_delay_alu instid0(VALU_DEP_1)
	v_or3_b32 v2, v3, v5, v2
.LBB46_561:
	s_or_b32 exec_lo, exec_lo, s21
.LBB46_562:
	s_mov_b32 s1, -1
.LBB46_563:
	s_mov_b32 s21, 0
.LBB46_564:
	s_delay_alu instid0(SALU_CYCLE_1)
	s_and_b32 vcc_lo, exec_lo, s21
	s_cbranch_vccz .LBB46_599
; %bb.565:
	s_cmp_gt_i32 s0, 22
	s_cbranch_scc0 .LBB46_575
; %bb.566:
	s_cmp_lt_i32 s0, 24
	s_cbranch_scc1 .LBB46_578
; %bb.567:
	s_cmp_gt_i32 s0, 24
	s_cbranch_scc0 .LBB46_579
; %bb.568:
	global_load_u8 v3, v[0:1], off
	s_mov_b32 s1, 0
	s_mov_b32 s21, exec_lo
	s_wait_loadcnt 0x0
	v_cmpx_lt_i16_e32 0x7f, v3
	s_xor_b32 s21, exec_lo, s21
	s_cbranch_execz .LBB46_591
; %bb.569:
	s_mov_b32 s1, -1
	s_mov_b32 s22, exec_lo
	v_cmpx_eq_u16_e32 0x80, v3
; %bb.570:
	s_xor_b32 s1, exec_lo, -1
; %bb.571:
	s_or_b32 exec_lo, exec_lo, s22
	s_delay_alu instid0(SALU_CYCLE_1)
	s_and_b32 s1, s1, exec_lo
	s_or_saveexec_b32 s21, s21
	v_mov_b32_e32 v2, 0x7f800001
	s_xor_b32 exec_lo, exec_lo, s21
	s_cbranch_execnz .LBB46_592
.LBB46_572:
	s_or_b32 exec_lo, exec_lo, s21
	s_and_saveexec_b32 s21, s1
	s_cbranch_execz .LBB46_574
.LBB46_573:
	v_and_b32_e32 v2, 0xffff, v3
	s_delay_alu instid0(VALU_DEP_1) | instskip(SKIP_1) | instid1(VALU_DEP_2)
	v_dual_lshlrev_b32 v3, 24, v3 :: v_dual_bitop2_b32 v5, 3, v2 bitop3:0x40
	v_bfe_u32 v8, v2, 2, 5
	v_and_b32_e32 v3, 0x80000000, v3
	s_delay_alu instid0(VALU_DEP_3) | instskip(NEXT) | instid1(VALU_DEP_3)
	v_clz_i32_u32_e32 v6, v5
	v_cmp_eq_u32_e32 vcc_lo, 0, v8
	s_delay_alu instid0(VALU_DEP_2) | instskip(NEXT) | instid1(VALU_DEP_1)
	v_min_u32_e32 v6, 32, v6
	v_subrev_nc_u32_e32 v7, 29, v6
	v_sub_nc_u32_e32 v6, 30, v6
	s_delay_alu instid0(VALU_DEP_2) | instskip(NEXT) | instid1(VALU_DEP_2)
	v_lshlrev_b32_e32 v2, v7, v2
	v_cndmask_b32_e32 v6, v8, v6, vcc_lo
	s_delay_alu instid0(VALU_DEP_2) | instskip(NEXT) | instid1(VALU_DEP_1)
	v_and_b32_e32 v2, 3, v2
	v_cndmask_b32_e32 v2, v5, v2, vcc_lo
	s_delay_alu instid0(VALU_DEP_3) | instskip(NEXT) | instid1(VALU_DEP_2)
	v_lshl_add_u32 v5, v6, 23, 0x37800000
	v_lshlrev_b32_e32 v2, 21, v2
	s_delay_alu instid0(VALU_DEP_1)
	v_or3_b32 v2, v3, v5, v2
.LBB46_574:
	s_or_b32 exec_lo, exec_lo, s21
	s_mov_b32 s1, 0
	s_branch .LBB46_580
.LBB46_575:
	s_mov_b32 s21, -1
                                        ; implicit-def: $vgpr2
	s_branch .LBB46_586
.LBB46_576:
	s_or_saveexec_b32 s21, s21
	v_mov_b32_e32 v2, 0x7f800001
	s_xor_b32 exec_lo, exec_lo, s21
	s_cbranch_execz .LBB46_559
.LBB46_577:
	v_cmp_ne_u16_e32 vcc_lo, 0, v3
	v_mov_b32_e32 v2, 0
	s_and_not1_b32 s1, s1, exec_lo
	s_and_b32 s22, vcc_lo, exec_lo
	s_delay_alu instid0(SALU_CYCLE_1)
	s_or_b32 s1, s1, s22
	s_or_b32 exec_lo, exec_lo, s21
	s_and_saveexec_b32 s21, s1
	s_cbranch_execnz .LBB46_560
	s_branch .LBB46_561
.LBB46_578:
	s_mov_b32 s1, -1
                                        ; implicit-def: $vgpr2
	s_branch .LBB46_583
.LBB46_579:
	s_mov_b32 s1, -1
                                        ; implicit-def: $vgpr2
.LBB46_580:
	s_delay_alu instid0(SALU_CYCLE_1)
	s_and_b32 vcc_lo, exec_lo, s1
	s_cbranch_vccz .LBB46_582
; %bb.581:
	s_wait_loadcnt 0x0
	global_load_u8 v2, v[0:1], off
	s_wait_loadcnt 0x0
	v_lshlrev_b32_e32 v2, 24, v2
	s_delay_alu instid0(VALU_DEP_1) | instskip(NEXT) | instid1(VALU_DEP_1)
	v_and_b32_e32 v3, 0x7f000000, v2
	v_clz_i32_u32_e32 v5, v3
	v_add_nc_u32_e32 v7, 0x1000000, v3
	v_cmp_ne_u32_e32 vcc_lo, 0, v3
	s_delay_alu instid0(VALU_DEP_3) | instskip(NEXT) | instid1(VALU_DEP_1)
	v_min_u32_e32 v5, 32, v5
	v_sub_nc_u32_e64 v5, v5, 4 clamp
	s_delay_alu instid0(VALU_DEP_1) | instskip(NEXT) | instid1(VALU_DEP_1)
	v_dual_lshlrev_b32 v6, v5, v3 :: v_dual_lshlrev_b32 v5, 23, v5
	v_lshrrev_b32_e32 v6, 4, v6
	s_delay_alu instid0(VALU_DEP_1) | instskip(NEXT) | instid1(VALU_DEP_1)
	v_dual_sub_nc_u32 v5, v6, v5 :: v_dual_ashrrev_i32 v6, 8, v7
	v_add_nc_u32_e32 v5, 0x3c000000, v5
	s_delay_alu instid0(VALU_DEP_1) | instskip(NEXT) | instid1(VALU_DEP_1)
	v_and_or_b32 v5, 0x7f800000, v6, v5
	v_cndmask_b32_e32 v3, 0, v5, vcc_lo
	s_delay_alu instid0(VALU_DEP_1)
	v_and_or_b32 v2, 0x80000000, v2, v3
.LBB46_582:
	s_mov_b32 s1, 0
.LBB46_583:
	s_delay_alu instid0(SALU_CYCLE_1)
	s_and_not1_b32 vcc_lo, exec_lo, s1
	s_cbranch_vccnz .LBB46_585
; %bb.584:
	s_wait_loadcnt 0x0
	global_load_u8 v2, v[0:1], off
	s_wait_loadcnt 0x0
	v_lshlrev_b32_e32 v3, 25, v2
	v_lshlrev_b16 v2, 8, v2
	s_delay_alu instid0(VALU_DEP_2) | instskip(NEXT) | instid1(VALU_DEP_2)
	v_cmp_gt_u32_e32 vcc_lo, 0x8000000, v3
	v_and_or_b32 v6, 0x7f00, v2, 0.5
	v_lshrrev_b32_e32 v5, 4, v3
	v_bfe_i32 v2, v2, 0, 16
	s_delay_alu instid0(VALU_DEP_3) | instskip(NEXT) | instid1(VALU_DEP_3)
	v_add_f32_e32 v6, -0.5, v6
	v_or_b32_e32 v5, 0x70000000, v5
	s_delay_alu instid0(VALU_DEP_1) | instskip(NEXT) | instid1(VALU_DEP_1)
	v_mul_f32_e32 v5, 0x7800000, v5
	v_cndmask_b32_e32 v3, v5, v6, vcc_lo
	s_delay_alu instid0(VALU_DEP_1)
	v_and_or_b32 v2, 0x80000000, v2, v3
.LBB46_585:
	s_mov_b32 s21, 0
	s_mov_b32 s1, -1
.LBB46_586:
	s_and_not1_b32 vcc_lo, exec_lo, s21
	s_cbranch_vccnz .LBB46_599
; %bb.587:
	s_cmp_gt_i32 s0, 14
	s_cbranch_scc0 .LBB46_590
; %bb.588:
	s_cmp_eq_u32 s0, 15
	s_cbranch_scc0 .LBB46_593
; %bb.589:
	s_wait_loadcnt 0x0
	global_load_u16 v2, v[0:1], off
	s_mov_b32 s1, -1
	s_mov_b32 s20, 0
	s_wait_loadcnt 0x0
	v_lshlrev_b32_e32 v2, 16, v2
	s_branch .LBB46_594
.LBB46_590:
	s_mov_b32 s21, -1
                                        ; implicit-def: $vgpr2
	s_branch .LBB46_595
.LBB46_591:
	s_or_saveexec_b32 s21, s21
	v_mov_b32_e32 v2, 0x7f800001
	s_xor_b32 exec_lo, exec_lo, s21
	s_cbranch_execz .LBB46_572
.LBB46_592:
	v_cmp_ne_u16_e32 vcc_lo, 0, v3
	v_mov_b32_e32 v2, 0
	s_and_not1_b32 s1, s1, exec_lo
	s_and_b32 s22, vcc_lo, exec_lo
	s_delay_alu instid0(SALU_CYCLE_1)
	s_or_b32 s1, s1, s22
	s_or_b32 exec_lo, exec_lo, s21
	s_and_saveexec_b32 s21, s1
	s_cbranch_execnz .LBB46_573
	s_branch .LBB46_574
.LBB46_593:
	s_mov_b32 s20, -1
                                        ; implicit-def: $vgpr2
.LBB46_594:
	s_mov_b32 s21, 0
.LBB46_595:
	s_delay_alu instid0(SALU_CYCLE_1)
	s_and_b32 vcc_lo, exec_lo, s21
	s_cbranch_vccz .LBB46_599
; %bb.596:
	s_cmp_eq_u32 s0, 11
	s_cbranch_scc0 .LBB46_598
; %bb.597:
	s_wait_loadcnt 0x0
	global_load_u8 v2, v[0:1], off
	s_mov_b32 s20, 0
	s_mov_b32 s1, -1
	s_wait_loadcnt 0x0
	v_cmp_ne_u16_e32 vcc_lo, 0, v2
	v_cndmask_b32_e64 v2, 0, 1.0, vcc_lo
	s_branch .LBB46_599
.LBB46_598:
	s_mov_b32 s20, -1
                                        ; implicit-def: $vgpr2
.LBB46_599:
	s_mov_b32 s21, 0
.LBB46_600:
	s_delay_alu instid0(SALU_CYCLE_1)
	s_and_b32 vcc_lo, exec_lo, s21
	s_cbranch_vccz .LBB46_649
; %bb.601:
	s_cmp_lt_i32 s0, 5
	s_cbranch_scc1 .LBB46_606
; %bb.602:
	s_cmp_lt_i32 s0, 8
	s_cbranch_scc1 .LBB46_607
	;; [unrolled: 3-line block ×3, first 2 shown]
; %bb.604:
	s_cmp_gt_i32 s0, 9
	s_cbranch_scc0 .LBB46_609
; %bb.605:
	s_wait_loadcnt 0x0
	global_load_b64 v[2:3], v[0:1], off
	s_mov_b32 s1, 0
	s_wait_loadcnt 0x0
	v_cvt_f32_f64_e32 v2, v[2:3]
	s_branch .LBB46_610
.LBB46_606:
	s_mov_b32 s1, -1
                                        ; implicit-def: $vgpr2
	s_branch .LBB46_628
.LBB46_607:
	s_mov_b32 s1, -1
                                        ; implicit-def: $vgpr2
	s_branch .LBB46_616
.LBB46_608:
	s_mov_b32 s1, -1
                                        ; implicit-def: $vgpr2
	s_branch .LBB46_613
.LBB46_609:
	s_mov_b32 s1, -1
                                        ; implicit-def: $vgpr2
.LBB46_610:
	s_delay_alu instid0(SALU_CYCLE_1)
	s_and_not1_b32 vcc_lo, exec_lo, s1
	s_cbranch_vccnz .LBB46_612
; %bb.611:
	s_wait_loadcnt 0x0
	global_load_b32 v2, v[0:1], off
.LBB46_612:
	s_mov_b32 s1, 0
.LBB46_613:
	s_delay_alu instid0(SALU_CYCLE_1)
	s_and_not1_b32 vcc_lo, exec_lo, s1
	s_cbranch_vccnz .LBB46_615
; %bb.614:
	s_wait_loadcnt 0x0
	global_load_b32 v2, v[0:1], off
	s_wait_loadcnt 0x0
	v_cvt_f32_f16_e32 v2, v2
.LBB46_615:
	s_mov_b32 s1, 0
.LBB46_616:
	s_delay_alu instid0(SALU_CYCLE_1)
	s_and_not1_b32 vcc_lo, exec_lo, s1
	s_cbranch_vccnz .LBB46_627
; %bb.617:
	s_cmp_lt_i32 s0, 6
	s_cbranch_scc1 .LBB46_620
; %bb.618:
	s_cmp_gt_i32 s0, 6
	s_cbranch_scc0 .LBB46_621
; %bb.619:
	s_wait_loadcnt 0x0
	global_load_b64 v[2:3], v[0:1], off
	s_mov_b32 s1, 0
	s_wait_loadcnt 0x0
	v_cvt_f32_f64_e32 v2, v[2:3]
	s_branch .LBB46_622
.LBB46_620:
	s_mov_b32 s1, -1
                                        ; implicit-def: $vgpr2
	s_branch .LBB46_625
.LBB46_621:
	s_mov_b32 s1, -1
                                        ; implicit-def: $vgpr2
.LBB46_622:
	s_delay_alu instid0(SALU_CYCLE_1)
	s_and_not1_b32 vcc_lo, exec_lo, s1
	s_cbranch_vccnz .LBB46_624
; %bb.623:
	s_wait_loadcnt 0x0
	global_load_b32 v2, v[0:1], off
.LBB46_624:
	s_mov_b32 s1, 0
.LBB46_625:
	s_delay_alu instid0(SALU_CYCLE_1)
	s_and_not1_b32 vcc_lo, exec_lo, s1
	s_cbranch_vccnz .LBB46_627
; %bb.626:
	s_wait_loadcnt 0x0
	global_load_u16 v2, v[0:1], off
	s_wait_loadcnt 0x0
	v_cvt_f32_f16_e32 v2, v2
.LBB46_627:
	s_mov_b32 s1, 0
.LBB46_628:
	s_delay_alu instid0(SALU_CYCLE_1)
	s_and_not1_b32 vcc_lo, exec_lo, s1
	s_cbranch_vccnz .LBB46_648
; %bb.629:
	s_cmp_lt_i32 s0, 2
	s_cbranch_scc1 .LBB46_633
; %bb.630:
	s_cmp_lt_i32 s0, 3
	s_cbranch_scc1 .LBB46_634
; %bb.631:
	s_cmp_gt_i32 s0, 3
	s_cbranch_scc0 .LBB46_635
; %bb.632:
	s_wait_loadcnt 0x0
	global_load_b64 v[2:3], v[0:1], off
	s_mov_b32 s1, 0
	s_wait_loadcnt 0x0
	v_xor_b32_e32 v5, v2, v3
	v_cls_i32_e32 v6, v3
	s_delay_alu instid0(VALU_DEP_2) | instskip(NEXT) | instid1(VALU_DEP_1)
	v_ashrrev_i32_e32 v5, 31, v5
	v_add_nc_u32_e32 v5, 32, v5
	s_delay_alu instid0(VALU_DEP_1) | instskip(NEXT) | instid1(VALU_DEP_1)
	v_add_min_u32_e64 v5, v6, -1, v5
	v_lshlrev_b64_e32 v[2:3], v5, v[2:3]
	s_delay_alu instid0(VALU_DEP_1) | instskip(NEXT) | instid1(VALU_DEP_1)
	v_min_u32_e32 v2, 1, v2
	v_dual_sub_nc_u32 v3, 32, v5 :: v_dual_bitop2_b32 v2, v3, v2 bitop3:0x54
	s_delay_alu instid0(VALU_DEP_1) | instskip(NEXT) | instid1(VALU_DEP_1)
	v_cvt_f32_i32_e32 v2, v2
	v_ldexp_f32 v2, v2, v3
	s_branch .LBB46_636
.LBB46_633:
	s_mov_b32 s1, -1
                                        ; implicit-def: $vgpr2
	s_branch .LBB46_642
.LBB46_634:
	s_mov_b32 s1, -1
                                        ; implicit-def: $vgpr2
	s_branch .LBB46_639
.LBB46_635:
	s_mov_b32 s1, -1
                                        ; implicit-def: $vgpr2
.LBB46_636:
	s_delay_alu instid0(SALU_CYCLE_1)
	s_and_not1_b32 vcc_lo, exec_lo, s1
	s_cbranch_vccnz .LBB46_638
; %bb.637:
	s_wait_loadcnt 0x0
	global_load_b32 v2, v[0:1], off
	s_wait_loadcnt 0x0
	v_cvt_f32_i32_e32 v2, v2
.LBB46_638:
	s_mov_b32 s1, 0
.LBB46_639:
	s_delay_alu instid0(SALU_CYCLE_1)
	s_and_not1_b32 vcc_lo, exec_lo, s1
	s_cbranch_vccnz .LBB46_641
; %bb.640:
	s_wait_loadcnt 0x0
	global_load_i16 v2, v[0:1], off
	s_wait_loadcnt 0x0
	v_cvt_f32_i32_e32 v2, v2
.LBB46_641:
	s_mov_b32 s1, 0
.LBB46_642:
	s_delay_alu instid0(SALU_CYCLE_1)
	s_and_not1_b32 vcc_lo, exec_lo, s1
	s_cbranch_vccnz .LBB46_648
; %bb.643:
	s_cmp_gt_i32 s0, 0
	s_mov_b32 s0, 0
	s_cbranch_scc0 .LBB46_645
; %bb.644:
	s_wait_loadcnt 0x0
	global_load_i8 v2, v[0:1], off
	s_wait_loadcnt 0x0
	v_cvt_f32_i32_e32 v2, v2
	s_branch .LBB46_646
.LBB46_645:
	s_mov_b32 s0, -1
                                        ; implicit-def: $vgpr2
.LBB46_646:
	s_delay_alu instid0(SALU_CYCLE_1)
	s_and_not1_b32 vcc_lo, exec_lo, s0
	s_cbranch_vccnz .LBB46_648
; %bb.647:
	global_load_u8 v0, v[0:1], off
	s_wait_loadcnt 0x0
	v_cvt_f32_ubyte0_e32 v2, v0
.LBB46_648:
	s_mov_b32 s1, -1
.LBB46_649:
	s_delay_alu instid0(SALU_CYCLE_1)
	s_and_not1_b32 vcc_lo, exec_lo, s1
	s_cbranch_vccnz .LBB46_657
; %bb.650:
	s_wait_xcnt 0x0
	v_mul_lo_u32 v0, v4, s2
	s_wait_loadcnt 0x0
	s_delay_alu instid0(VALU_DEP_2) | instskip(SKIP_1) | instid1(SALU_CYCLE_1)
	v_cmp_eq_f32_e64 s0, 0x7f800000, v2
	s_and_b32 s21, s8, 0xff
	s_cmp_lt_i32 s21, 11
	v_ashrrev_i32_e32 v1, 31, v0
	s_delay_alu instid0(VALU_DEP_1)
	v_add_nc_u64_e32 v[0:1], s[4:5], v[0:1]
	s_cbranch_scc1 .LBB46_658
; %bb.651:
	s_and_b32 s22, 0xffff, s21
	s_delay_alu instid0(SALU_CYCLE_1)
	s_cmp_gt_i32 s22, 25
	s_cbranch_scc0 .LBB46_659
; %bb.652:
	s_cmp_gt_i32 s22, 28
	s_cbranch_scc0 .LBB46_660
; %bb.653:
	;; [unrolled: 3-line block ×4, first 2 shown]
	s_mov_b32 s24, 0
	s_mov_b32 s1, -1
	s_cmp_eq_u32 s22, 46
	s_mov_b32 s23, 0
	s_cbranch_scc0 .LBB46_663
; %bb.656:
	v_cndmask_b32_e64 v2, 0, 1.0, s0
	s_mov_b32 s23, -1
	s_mov_b32 s1, 0
	s_delay_alu instid0(VALU_DEP_1) | instskip(NEXT) | instid1(VALU_DEP_1)
	v_bfe_u32 v3, v2, 16, 1
	v_add3_u32 v2, v2, v3, 0x7fff
	s_delay_alu instid0(VALU_DEP_1)
	v_lshrrev_b32_e32 v2, 16, v2
	global_store_b32 v[0:1], v2, off
	s_branch .LBB46_663
.LBB46_657:
	s_mov_b32 s21, 0
	s_mov_b32 s1, s17
	s_branch .LBB46_774
.LBB46_658:
	s_mov_b32 s22, -1
	s_mov_b32 s23, 0
	s_mov_b32 s1, s17
	s_branch .LBB46_732
.LBB46_659:
	s_mov_b32 s24, -1
	s_mov_b32 s23, 0
	s_mov_b32 s1, s17
	s_branch .LBB46_690
.LBB46_660:
	s_mov_b32 s24, -1
	s_mov_b32 s23, 0
	s_mov_b32 s1, s17
	s_branch .LBB46_673
.LBB46_661:
	s_mov_b32 s24, -1
	s_mov_b32 s23, 0
	s_mov_b32 s1, s17
	s_branch .LBB46_669
.LBB46_662:
	s_mov_b32 s24, -1
	s_mov_b32 s23, 0
	s_mov_b32 s1, s17
.LBB46_663:
	s_and_b32 vcc_lo, exec_lo, s24
	s_cbranch_vccz .LBB46_668
; %bb.664:
	s_cmp_eq_u32 s22, 44
	s_mov_b32 s1, -1
	s_cbranch_scc0 .LBB46_668
; %bb.665:
	v_cndmask_b32_e64 v5, 0, 1.0, s0
	s_mov_b32 s23, exec_lo
	s_wait_xcnt 0x0
	s_delay_alu instid0(VALU_DEP_1) | instskip(NEXT) | instid1(VALU_DEP_1)
	v_dual_mov_b32 v3, 0xff :: v_dual_lshrrev_b32 v2, 23, v5
	v_cmpx_ne_u32_e32 0xff, v2
; %bb.666:
	v_and_b32_e32 v3, 0x400000, v5
	v_and_or_b32 v5, 0x3fffff, v5, v2
	s_delay_alu instid0(VALU_DEP_2) | instskip(NEXT) | instid1(VALU_DEP_2)
	v_cmp_ne_u32_e32 vcc_lo, 0, v3
	v_cmp_ne_u32_e64 s1, 0, v5
	s_and_b32 s1, vcc_lo, s1
	s_delay_alu instid0(SALU_CYCLE_1) | instskip(NEXT) | instid1(VALU_DEP_1)
	v_cndmask_b32_e64 v3, 0, 1, s1
	v_add_nc_u32_e32 v3, v2, v3
; %bb.667:
	s_or_b32 exec_lo, exec_lo, s23
	s_mov_b32 s23, -1
	s_mov_b32 s1, 0
	global_store_b8 v[0:1], v3, off
.LBB46_668:
	s_mov_b32 s24, 0
.LBB46_669:
	s_delay_alu instid0(SALU_CYCLE_1)
	s_and_b32 vcc_lo, exec_lo, s24
	s_cbranch_vccz .LBB46_672
; %bb.670:
	s_cmp_eq_u32 s22, 29
	s_mov_b32 s1, -1
	s_cbranch_scc0 .LBB46_672
; %bb.671:
	s_mov_b32 s1, 0
	s_wait_xcnt 0x0
	v_cndmask_b32_e64 v2, 0, 1, s0
	v_mov_b32_e32 v3, s1
	s_mov_b32 s23, -1
	s_mov_b32 s24, 0
	global_store_b64 v[0:1], v[2:3], off
	s_branch .LBB46_673
.LBB46_672:
	s_mov_b32 s24, 0
.LBB46_673:
	s_delay_alu instid0(SALU_CYCLE_1)
	s_and_b32 vcc_lo, exec_lo, s24
	s_cbranch_vccz .LBB46_689
; %bb.674:
	s_cmp_lt_i32 s22, 27
	s_mov_b32 s23, -1
	s_cbranch_scc1 .LBB46_680
; %bb.675:
	s_cmp_gt_i32 s22, 27
	s_cbranch_scc0 .LBB46_677
; %bb.676:
	s_wait_xcnt 0x0
	v_cndmask_b32_e64 v2, 0, 1, s0
	s_mov_b32 s23, 0
	global_store_b32 v[0:1], v2, off
.LBB46_677:
	s_and_not1_b32 vcc_lo, exec_lo, s23
	s_cbranch_vccnz .LBB46_679
; %bb.678:
	s_wait_xcnt 0x0
	v_cndmask_b32_e64 v2, 0, 1, s0
	global_store_b16 v[0:1], v2, off
.LBB46_679:
	s_mov_b32 s23, 0
.LBB46_680:
	s_delay_alu instid0(SALU_CYCLE_1)
	s_and_not1_b32 vcc_lo, exec_lo, s23
	s_cbranch_vccnz .LBB46_688
; %bb.681:
	s_wait_xcnt 0x0
	v_cndmask_b32_e64 v3, 0, 1.0, s0
	v_mov_b32_e32 v5, 0x80
	s_mov_b32 s23, exec_lo
	s_delay_alu instid0(VALU_DEP_2)
	v_cmpx_gt_u32_e32 0x43800000, v3
	s_cbranch_execz .LBB46_687
; %bb.682:
	s_mov_b32 s24, 0
	s_mov_b32 s25, exec_lo
                                        ; implicit-def: $vgpr2
	v_cmpx_lt_u32_e32 0x3bffffff, v3
	s_xor_b32 s25, exec_lo, s25
	s_cbranch_execz .LBB46_789
; %bb.683:
	v_bfe_u32 v2, v3, 20, 1
	s_mov_b32 s24, exec_lo
	s_delay_alu instid0(VALU_DEP_1) | instskip(NEXT) | instid1(VALU_DEP_1)
	v_add3_u32 v2, v3, v2, 0x487ffff
                                        ; implicit-def: $vgpr3
	v_lshrrev_b32_e32 v2, 20, v2
	s_and_not1_saveexec_b32 s25, s25
	s_cbranch_execnz .LBB46_790
.LBB46_684:
	s_or_b32 exec_lo, exec_lo, s25
	v_mov_b32_e32 v5, 0
	s_and_saveexec_b32 s25, s24
.LBB46_685:
	v_mov_b32_e32 v5, v2
.LBB46_686:
	s_or_b32 exec_lo, exec_lo, s25
.LBB46_687:
	s_delay_alu instid0(SALU_CYCLE_1)
	s_or_b32 exec_lo, exec_lo, s23
	global_store_b8 v[0:1], v5, off
.LBB46_688:
	s_mov_b32 s23, -1
.LBB46_689:
	s_mov_b32 s24, 0
.LBB46_690:
	s_delay_alu instid0(SALU_CYCLE_1)
	s_and_b32 vcc_lo, exec_lo, s24
	s_cbranch_vccz .LBB46_731
; %bb.691:
	s_cmp_gt_i32 s22, 22
	s_mov_b32 s24, -1
	s_cbranch_scc0 .LBB46_723
; %bb.692:
	s_cmp_lt_i32 s22, 24
	s_mov_b32 s23, -1
	s_cbranch_scc1 .LBB46_712
; %bb.693:
	s_cmp_gt_i32 s22, 24
	s_cbranch_scc0 .LBB46_701
; %bb.694:
	s_wait_xcnt 0x0
	v_cndmask_b32_e64 v3, 0, 1.0, s0
	v_mov_b32_e32 v5, 0x80
	s_mov_b32 s23, exec_lo
	s_delay_alu instid0(VALU_DEP_2)
	v_cmpx_gt_u32_e32 0x47800000, v3
	s_cbranch_execz .LBB46_700
; %bb.695:
	s_mov_b32 s24, 0
	s_mov_b32 s25, exec_lo
                                        ; implicit-def: $vgpr2
	v_cmpx_lt_u32_e32 0x37ffffff, v3
	s_xor_b32 s25, exec_lo, s25
	s_cbranch_execz .LBB46_792
; %bb.696:
	v_bfe_u32 v2, v3, 21, 1
	s_mov_b32 s24, exec_lo
	s_delay_alu instid0(VALU_DEP_1) | instskip(NEXT) | instid1(VALU_DEP_1)
	v_add3_u32 v2, v3, v2, 0x88fffff
                                        ; implicit-def: $vgpr3
	v_lshrrev_b32_e32 v2, 21, v2
	s_and_not1_saveexec_b32 s25, s25
	s_cbranch_execnz .LBB46_793
.LBB46_697:
	s_or_b32 exec_lo, exec_lo, s25
	v_mov_b32_e32 v5, 0
	s_and_saveexec_b32 s25, s24
.LBB46_698:
	v_mov_b32_e32 v5, v2
.LBB46_699:
	s_or_b32 exec_lo, exec_lo, s25
.LBB46_700:
	s_delay_alu instid0(SALU_CYCLE_1)
	s_or_b32 exec_lo, exec_lo, s23
	s_mov_b32 s23, 0
	global_store_b8 v[0:1], v5, off
.LBB46_701:
	s_and_b32 vcc_lo, exec_lo, s23
	s_cbranch_vccz .LBB46_711
; %bb.702:
	s_wait_xcnt 0x0
	v_cndmask_b32_e64 v3, 0, 1.0, s0
	s_mov_b32 s23, exec_lo
                                        ; implicit-def: $vgpr2
	s_delay_alu instid0(VALU_DEP_1)
	v_cmpx_gt_u32_e32 0x43f00000, v3
	s_xor_b32 s23, exec_lo, s23
	s_cbranch_execz .LBB46_708
; %bb.703:
	s_mov_b32 s24, exec_lo
                                        ; implicit-def: $vgpr2
	v_cmpx_lt_u32_e32 0x3c7fffff, v3
	s_xor_b32 s24, exec_lo, s24
; %bb.704:
	v_bfe_u32 v2, v3, 20, 1
	s_delay_alu instid0(VALU_DEP_1) | instskip(NEXT) | instid1(VALU_DEP_1)
	v_add3_u32 v2, v3, v2, 0x407ffff
	v_and_b32_e32 v3, 0xff00000, v2
	v_lshrrev_b32_e32 v2, 20, v2
	s_delay_alu instid0(VALU_DEP_2) | instskip(NEXT) | instid1(VALU_DEP_2)
	v_cmp_ne_u32_e32 vcc_lo, 0x7f00000, v3
                                        ; implicit-def: $vgpr3
	v_cndmask_b32_e32 v2, 0x7e, v2, vcc_lo
; %bb.705:
	s_and_not1_saveexec_b32 s24, s24
; %bb.706:
	v_add_f32_e32 v2, 0x46800000, v3
; %bb.707:
	s_or_b32 exec_lo, exec_lo, s24
                                        ; implicit-def: $vgpr3
.LBB46_708:
	s_and_not1_saveexec_b32 s23, s23
; %bb.709:
	v_mov_b32_e32 v2, 0x7f
	v_cmp_lt_u32_e32 vcc_lo, 0x7f800000, v3
	s_delay_alu instid0(VALU_DEP_2)
	v_cndmask_b32_e32 v2, 0x7e, v2, vcc_lo
; %bb.710:
	s_or_b32 exec_lo, exec_lo, s23
	global_store_b8 v[0:1], v2, off
.LBB46_711:
	s_mov_b32 s23, 0
.LBB46_712:
	s_delay_alu instid0(SALU_CYCLE_1)
	s_and_not1_b32 vcc_lo, exec_lo, s23
	s_cbranch_vccnz .LBB46_722
; %bb.713:
	s_wait_xcnt 0x0
	v_cndmask_b32_e64 v3, 0, 1.0, s0
	s_mov_b32 s23, exec_lo
                                        ; implicit-def: $vgpr2
	s_delay_alu instid0(VALU_DEP_1)
	v_cmpx_gt_u32_e32 0x47800000, v3
	s_xor_b32 s23, exec_lo, s23
	s_cbranch_execz .LBB46_719
; %bb.714:
	s_mov_b32 s24, exec_lo
                                        ; implicit-def: $vgpr2
	v_cmpx_lt_u32_e32 0x387fffff, v3
	s_xor_b32 s24, exec_lo, s24
; %bb.715:
	v_bfe_u32 v2, v3, 21, 1
	s_delay_alu instid0(VALU_DEP_1) | instskip(NEXT) | instid1(VALU_DEP_1)
	v_add3_u32 v2, v3, v2, 0x80fffff
                                        ; implicit-def: $vgpr3
	v_lshrrev_b32_e32 v2, 21, v2
; %bb.716:
	s_and_not1_saveexec_b32 s24, s24
; %bb.717:
	v_add_f32_e32 v2, 0x43000000, v3
; %bb.718:
	s_or_b32 exec_lo, exec_lo, s24
                                        ; implicit-def: $vgpr3
.LBB46_719:
	s_and_not1_saveexec_b32 s23, s23
; %bb.720:
	v_mov_b32_e32 v2, 0x7f
	v_cmp_lt_u32_e32 vcc_lo, 0x7f800000, v3
	s_delay_alu instid0(VALU_DEP_2)
	v_cndmask_b32_e32 v2, 0x7c, v2, vcc_lo
; %bb.721:
	s_or_b32 exec_lo, exec_lo, s23
	global_store_b8 v[0:1], v2, off
.LBB46_722:
	s_mov_b32 s24, 0
	s_mov_b32 s23, -1
.LBB46_723:
	s_and_not1_b32 vcc_lo, exec_lo, s24
	s_cbranch_vccnz .LBB46_731
; %bb.724:
	s_cmp_gt_i32 s22, 14
	s_mov_b32 s24, -1
	s_cbranch_scc0 .LBB46_728
; %bb.725:
	s_cmp_eq_u32 s22, 15
	s_mov_b32 s1, -1
	s_cbranch_scc0 .LBB46_727
; %bb.726:
	s_wait_xcnt 0x0
	v_cndmask_b32_e64 v2, 0, 1.0, s0
	s_mov_b32 s23, -1
	s_mov_b32 s1, 0
	s_delay_alu instid0(VALU_DEP_1) | instskip(NEXT) | instid1(VALU_DEP_1)
	v_bfe_u32 v3, v2, 16, 1
	v_add3_u32 v2, v2, v3, 0x7fff
	global_store_d16_hi_b16 v[0:1], v2, off
.LBB46_727:
	s_mov_b32 s24, 0
.LBB46_728:
	s_delay_alu instid0(SALU_CYCLE_1)
	s_and_b32 vcc_lo, exec_lo, s24
	s_cbranch_vccz .LBB46_731
; %bb.729:
	s_cmp_eq_u32 s22, 11
	s_mov_b32 s1, -1
	s_cbranch_scc0 .LBB46_731
; %bb.730:
	s_wait_xcnt 0x0
	v_cndmask_b32_e64 v2, 0, 1, s0
	s_mov_b32 s23, -1
	s_mov_b32 s1, 0
	global_store_b8 v[0:1], v2, off
.LBB46_731:
	s_mov_b32 s22, 0
.LBB46_732:
	s_delay_alu instid0(SALU_CYCLE_1)
	s_and_b32 vcc_lo, exec_lo, s22
	s_cbranch_vccz .LBB46_771
; %bb.733:
	s_and_b32 s21, 0xffff, s21
	s_mov_b32 s22, -1
	s_cmp_lt_i32 s21, 5
	s_cbranch_scc1 .LBB46_754
; %bb.734:
	s_cmp_lt_i32 s21, 8
	s_cbranch_scc1 .LBB46_744
; %bb.735:
	;; [unrolled: 3-line block ×3, first 2 shown]
	s_cmp_gt_i32 s21, 9
	s_cbranch_scc0 .LBB46_738
; %bb.737:
	s_wait_xcnt 0x0
	v_cndmask_b32_e64 v2, 0, 1, s0
	v_mov_b32_e32 v8, 0
	s_mov_b32 s22, 0
	s_delay_alu instid0(VALU_DEP_2) | instskip(NEXT) | instid1(VALU_DEP_2)
	v_cvt_f64_u32_e32 v[6:7], v2
	v_mov_b32_e32 v9, v8
	global_store_b128 v[0:1], v[6:9], off
.LBB46_738:
	s_and_not1_b32 vcc_lo, exec_lo, s22
	s_cbranch_vccnz .LBB46_740
; %bb.739:
	s_wait_xcnt 0x0
	v_cndmask_b32_e64 v2, 0, 1.0, s0
	v_mov_b32_e32 v3, 0
	global_store_b64 v[0:1], v[2:3], off
.LBB46_740:
	s_mov_b32 s22, 0
.LBB46_741:
	s_delay_alu instid0(SALU_CYCLE_1)
	s_and_not1_b32 vcc_lo, exec_lo, s22
	s_cbranch_vccnz .LBB46_743
; %bb.742:
	s_wait_xcnt 0x0
	v_cndmask_b32_e64 v2, 0, 1.0, s0
	s_delay_alu instid0(VALU_DEP_1) | instskip(NEXT) | instid1(VALU_DEP_1)
	v_cvt_f16_f32_e32 v2, v2
	v_and_b32_e32 v2, 0xffff, v2
	global_store_b32 v[0:1], v2, off
.LBB46_743:
	s_mov_b32 s22, 0
.LBB46_744:
	s_delay_alu instid0(SALU_CYCLE_1)
	s_and_not1_b32 vcc_lo, exec_lo, s22
	s_cbranch_vccnz .LBB46_753
; %bb.745:
	s_cmp_lt_i32 s21, 6
	s_mov_b32 s22, -1
	s_cbranch_scc1 .LBB46_751
; %bb.746:
	s_cmp_gt_i32 s21, 6
	s_cbranch_scc0 .LBB46_748
; %bb.747:
	s_wait_xcnt 0x0
	v_cndmask_b32_e64 v2, 0, 1, s0
	s_mov_b32 s22, 0
	s_delay_alu instid0(VALU_DEP_1)
	v_cvt_f64_u32_e32 v[2:3], v2
	global_store_b64 v[0:1], v[2:3], off
.LBB46_748:
	s_and_not1_b32 vcc_lo, exec_lo, s22
	s_cbranch_vccnz .LBB46_750
; %bb.749:
	s_wait_xcnt 0x0
	v_cndmask_b32_e64 v2, 0, 1.0, s0
	global_store_b32 v[0:1], v2, off
.LBB46_750:
	s_mov_b32 s22, 0
.LBB46_751:
	s_delay_alu instid0(SALU_CYCLE_1)
	s_and_not1_b32 vcc_lo, exec_lo, s22
	s_cbranch_vccnz .LBB46_753
; %bb.752:
	s_wait_xcnt 0x0
	v_cndmask_b32_e64 v2, 0, 1.0, s0
	s_delay_alu instid0(VALU_DEP_1)
	v_cvt_f16_f32_e32 v2, v2
	global_store_b16 v[0:1], v2, off
.LBB46_753:
	s_mov_b32 s22, 0
.LBB46_754:
	s_delay_alu instid0(SALU_CYCLE_1)
	s_and_not1_b32 vcc_lo, exec_lo, s22
	s_cbranch_vccnz .LBB46_770
; %bb.755:
	s_cmp_lt_i32 s21, 2
	s_mov_b32 s22, -1
	s_cbranch_scc1 .LBB46_765
; %bb.756:
	s_cmp_lt_i32 s21, 3
	s_cbranch_scc1 .LBB46_762
; %bb.757:
	s_cmp_gt_i32 s21, 3
	s_cbranch_scc0 .LBB46_759
; %bb.758:
	s_mov_b32 s22, 0
	s_wait_xcnt 0x0
	v_cndmask_b32_e64 v2, 0, 1, s0
	v_mov_b32_e32 v3, s22
	global_store_b64 v[0:1], v[2:3], off
.LBB46_759:
	s_and_not1_b32 vcc_lo, exec_lo, s22
	s_cbranch_vccnz .LBB46_761
; %bb.760:
	s_wait_xcnt 0x0
	v_cndmask_b32_e64 v2, 0, 1, s0
	global_store_b32 v[0:1], v2, off
.LBB46_761:
	s_mov_b32 s22, 0
.LBB46_762:
	s_delay_alu instid0(SALU_CYCLE_1)
	s_and_not1_b32 vcc_lo, exec_lo, s22
	s_cbranch_vccnz .LBB46_764
; %bb.763:
	s_wait_xcnt 0x0
	v_cndmask_b32_e64 v2, 0, 1, s0
	global_store_b16 v[0:1], v2, off
.LBB46_764:
	s_mov_b32 s22, 0
.LBB46_765:
	s_delay_alu instid0(SALU_CYCLE_1)
	s_and_not1_b32 vcc_lo, exec_lo, s22
	s_cbranch_vccnz .LBB46_770
; %bb.766:
	s_wait_xcnt 0x0
	v_cndmask_b32_e64 v2, 0, 1, s0
	s_cmp_gt_i32 s21, 0
	s_mov_b32 s0, -1
	s_cbranch_scc0 .LBB46_768
; %bb.767:
	s_mov_b32 s0, 0
	global_store_b8 v[0:1], v2, off
.LBB46_768:
	s_and_not1_b32 vcc_lo, exec_lo, s0
	s_cbranch_vccnz .LBB46_770
; %bb.769:
	global_store_b8 v[0:1], v2, off
.LBB46_770:
	s_mov_b32 s23, -1
.LBB46_771:
	s_delay_alu instid0(SALU_CYCLE_1)
	s_and_not1_b32 vcc_lo, exec_lo, s23
	s_cbranch_vccnz .LBB46_773
; %bb.772:
	v_add_nc_u32_e32 v4, 0x80, v4
	s_mov_b32 s21, -1
	s_branch .LBB46_775
.LBB46_773:
	s_mov_b32 s21, 0
.LBB46_774:
                                        ; implicit-def: $vgpr4
.LBB46_775:
	s_and_not1_b32 s0, s17, exec_lo
	s_and_b32 s1, s1, exec_lo
	s_and_not1_b32 s22, s16, exec_lo
	s_and_b32 s20, s20, exec_lo
	s_or_b32 s1, s0, s1
	s_or_b32 s0, s22, s20
	s_or_not1_b32 s20, s21, exec_lo
.LBB46_776:
	s_wait_xcnt 0x0
	s_or_b32 exec_lo, exec_lo, s19
	s_mov_b32 s21, 0
	s_mov_b32 s22, 0
	;; [unrolled: 1-line block ×3, first 2 shown]
                                        ; implicit-def: $vgpr0_vgpr1
                                        ; implicit-def: $vgpr2
	s_and_saveexec_b32 s19, s20
	s_cbranch_execz .LBB46_861
; %bb.777:
	v_cmp_gt_i32_e32 vcc_lo, s13, v4
	s_mov_b32 s20, 0
	s_mov_b32 s21, s0
	;; [unrolled: 1-line block ×3, first 2 shown]
                                        ; implicit-def: $vgpr0_vgpr1
                                        ; implicit-def: $vgpr2
	s_and_saveexec_b32 s13, vcc_lo
	s_cbranch_execz .LBB46_860
; %bb.778:
	v_mul_lo_u32 v0, v4, s3
	s_and_b32 s20, 0xffff, s10
	s_delay_alu instid0(SALU_CYCLE_1) | instskip(NEXT) | instid1(VALU_DEP_1)
	s_cmp_lt_i32 s20, 11
	v_ashrrev_i32_e32 v1, 31, v0
	s_delay_alu instid0(VALU_DEP_1)
	v_add_nc_u64_e32 v[0:1], s[6:7], v[0:1]
	s_cbranch_scc1 .LBB46_785
; %bb.779:
	s_cmp_gt_i32 s20, 25
	s_cbranch_scc0 .LBB46_786
; %bb.780:
	s_cmp_gt_i32 s20, 28
	s_cbranch_scc0 .LBB46_787
	;; [unrolled: 3-line block ×4, first 2 shown]
; %bb.783:
	s_cmp_eq_u32 s20, 46
	s_cbranch_scc0 .LBB46_794
; %bb.784:
	s_wait_loadcnt 0x0
	global_load_b32 v2, v[0:1], off
	s_mov_b32 s21, 0
	s_mov_b32 s23, -1
	s_wait_loadcnt 0x0
	v_lshlrev_b32_e32 v2, 16, v2
	s_branch .LBB46_796
.LBB46_785:
	s_mov_b32 s20, -1
	s_mov_b32 s21, s0
                                        ; implicit-def: $vgpr2
	s_branch .LBB46_859
.LBB46_786:
	s_mov_b32 s24, -1
	s_mov_b32 s21, s0
                                        ; implicit-def: $vgpr2
	s_branch .LBB46_825
.LBB46_787:
	s_mov_b32 s24, -1
	s_mov_b32 s21, s0
                                        ; implicit-def: $vgpr2
	s_branch .LBB46_806
.LBB46_788:
	s_mov_b32 s24, -1
	s_mov_b32 s21, s0
                                        ; implicit-def: $vgpr2
	s_branch .LBB46_801
.LBB46_789:
	s_and_not1_saveexec_b32 s25, s25
	s_cbranch_execz .LBB46_684
.LBB46_790:
	v_add_f32_e32 v2, 0x46000000, v3
	s_and_not1_b32 s24, s24, exec_lo
	s_delay_alu instid0(VALU_DEP_1) | instskip(NEXT) | instid1(VALU_DEP_1)
	v_and_b32_e32 v2, 0xff, v2
	v_cmp_ne_u32_e32 vcc_lo, 0, v2
	s_and_b32 s26, vcc_lo, exec_lo
	s_delay_alu instid0(SALU_CYCLE_1)
	s_or_b32 s24, s24, s26
	s_or_b32 exec_lo, exec_lo, s25
	v_mov_b32_e32 v5, 0
	s_and_saveexec_b32 s25, s24
	s_cbranch_execnz .LBB46_685
	s_branch .LBB46_686
.LBB46_791:
	s_mov_b32 s24, -1
	s_mov_b32 s21, s0
	s_branch .LBB46_795
.LBB46_792:
	s_and_not1_saveexec_b32 s25, s25
	s_cbranch_execz .LBB46_697
.LBB46_793:
	v_add_f32_e32 v2, 0x42800000, v3
	s_and_not1_b32 s24, s24, exec_lo
	s_delay_alu instid0(VALU_DEP_1) | instskip(NEXT) | instid1(VALU_DEP_1)
	v_and_b32_e32 v2, 0xff, v2
	v_cmp_ne_u32_e32 vcc_lo, 0, v2
	s_and_b32 s26, vcc_lo, exec_lo
	s_delay_alu instid0(SALU_CYCLE_1)
	s_or_b32 s24, s24, s26
	s_or_b32 exec_lo, exec_lo, s25
	v_mov_b32_e32 v5, 0
	s_and_saveexec_b32 s25, s24
	s_cbranch_execnz .LBB46_698
	s_branch .LBB46_699
.LBB46_794:
	s_mov_b32 s21, -1
.LBB46_795:
                                        ; implicit-def: $vgpr2
.LBB46_796:
	s_and_b32 vcc_lo, exec_lo, s24
	s_cbranch_vccz .LBB46_800
; %bb.797:
	s_cmp_eq_u32 s20, 44
	s_cbranch_scc0 .LBB46_799
; %bb.798:
	s_wait_loadcnt 0x0
	global_load_u8 v2, v[0:1], off
	s_mov_b32 s21, 0
	s_mov_b32 s23, -1
	s_wait_loadcnt 0x0
	v_lshlrev_b32_e32 v3, 23, v2
	v_cmp_ne_u32_e32 vcc_lo, 0xff, v2
	s_delay_alu instid0(VALU_DEP_2) | instskip(SKIP_1) | instid1(VALU_DEP_2)
	v_cndmask_b32_e32 v3, 0x7f800001, v3, vcc_lo
	v_cmp_ne_u32_e32 vcc_lo, 0, v2
	v_cndmask_b32_e32 v2, 0x400000, v3, vcc_lo
	s_branch .LBB46_800
.LBB46_799:
	s_mov_b32 s21, -1
                                        ; implicit-def: $vgpr2
.LBB46_800:
	s_mov_b32 s24, 0
.LBB46_801:
	s_delay_alu instid0(SALU_CYCLE_1)
	s_and_b32 vcc_lo, exec_lo, s24
	s_cbranch_vccz .LBB46_805
; %bb.802:
	s_cmp_eq_u32 s20, 29
	s_cbranch_scc0 .LBB46_804
; %bb.803:
	s_wait_loadcnt 0x0
	global_load_b64 v[2:3], v[0:1], off
	s_mov_b32 s21, 0
	s_mov_b32 s23, -1
	s_mov_b32 s24, 0
	s_wait_loadcnt 0x0
	v_clz_i32_u32_e32 v5, v3
	s_delay_alu instid0(VALU_DEP_1) | instskip(NEXT) | instid1(VALU_DEP_1)
	v_min_u32_e32 v5, 32, v5
	v_lshlrev_b64_e32 v[2:3], v5, v[2:3]
	s_delay_alu instid0(VALU_DEP_1) | instskip(NEXT) | instid1(VALU_DEP_1)
	v_min_u32_e32 v2, 1, v2
	v_dual_sub_nc_u32 v3, 32, v5 :: v_dual_bitop2_b32 v2, v3, v2 bitop3:0x54
	s_delay_alu instid0(VALU_DEP_1) | instskip(NEXT) | instid1(VALU_DEP_1)
	v_cvt_f32_u32_e32 v2, v2
	v_ldexp_f32 v2, v2, v3
	s_branch .LBB46_806
.LBB46_804:
	s_mov_b32 s21, -1
                                        ; implicit-def: $vgpr2
.LBB46_805:
	s_mov_b32 s24, 0
.LBB46_806:
	s_delay_alu instid0(SALU_CYCLE_1)
	s_and_b32 vcc_lo, exec_lo, s24
	s_cbranch_vccz .LBB46_824
; %bb.807:
	s_cmp_lt_i32 s20, 27
	s_cbranch_scc1 .LBB46_810
; %bb.808:
	s_cmp_gt_i32 s20, 27
	s_cbranch_scc0 .LBB46_811
; %bb.809:
	s_wait_loadcnt 0x0
	global_load_b32 v2, v[0:1], off
	s_mov_b32 s23, 0
	s_wait_loadcnt 0x0
	v_cvt_f32_u32_e32 v2, v2
	s_branch .LBB46_812
.LBB46_810:
	s_mov_b32 s23, -1
                                        ; implicit-def: $vgpr2
	s_branch .LBB46_815
.LBB46_811:
	s_mov_b32 s23, -1
                                        ; implicit-def: $vgpr2
.LBB46_812:
	s_delay_alu instid0(SALU_CYCLE_1)
	s_and_not1_b32 vcc_lo, exec_lo, s23
	s_cbranch_vccnz .LBB46_814
; %bb.813:
	s_wait_loadcnt 0x0
	global_load_u16 v2, v[0:1], off
	s_wait_loadcnt 0x0
	v_cvt_f32_u32_e32 v2, v2
.LBB46_814:
	s_mov_b32 s23, 0
.LBB46_815:
	s_delay_alu instid0(SALU_CYCLE_1)
	s_and_not1_b32 vcc_lo, exec_lo, s23
	s_cbranch_vccnz .LBB46_823
; %bb.816:
	global_load_u8 v3, v[0:1], off
	s_mov_b32 s23, 0
	s_mov_b32 s24, exec_lo
	s_wait_loadcnt 0x0
	v_cmpx_lt_i16_e32 0x7f, v3
	s_xor_b32 s24, exec_lo, s24
	s_cbranch_execz .LBB46_837
; %bb.817:
	s_mov_b32 s23, -1
	s_mov_b32 s25, exec_lo
	v_cmpx_eq_u16_e32 0x80, v3
; %bb.818:
	s_xor_b32 s23, exec_lo, -1
; %bb.819:
	s_or_b32 exec_lo, exec_lo, s25
	s_delay_alu instid0(SALU_CYCLE_1)
	s_and_b32 s23, s23, exec_lo
	s_or_saveexec_b32 s24, s24
	v_mov_b32_e32 v2, 0x7f800001
	s_xor_b32 exec_lo, exec_lo, s24
	s_cbranch_execnz .LBB46_838
.LBB46_820:
	s_or_b32 exec_lo, exec_lo, s24
	s_and_saveexec_b32 s24, s23
	s_cbranch_execz .LBB46_822
.LBB46_821:
	v_and_b32_e32 v2, 0xffff, v3
	s_delay_alu instid0(VALU_DEP_1) | instskip(SKIP_1) | instid1(VALU_DEP_2)
	v_dual_lshlrev_b32 v3, 24, v3 :: v_dual_bitop2_b32 v5, 7, v2 bitop3:0x40
	v_bfe_u32 v8, v2, 3, 4
	v_and_b32_e32 v3, 0x80000000, v3
	s_delay_alu instid0(VALU_DEP_3) | instskip(NEXT) | instid1(VALU_DEP_3)
	v_clz_i32_u32_e32 v6, v5
	v_cmp_eq_u32_e32 vcc_lo, 0, v8
	s_delay_alu instid0(VALU_DEP_2) | instskip(NEXT) | instid1(VALU_DEP_1)
	v_min_u32_e32 v6, 32, v6
	v_subrev_nc_u32_e32 v7, 28, v6
	v_sub_nc_u32_e32 v6, 29, v6
	s_delay_alu instid0(VALU_DEP_2) | instskip(NEXT) | instid1(VALU_DEP_2)
	v_lshlrev_b32_e32 v2, v7, v2
	v_cndmask_b32_e32 v6, v8, v6, vcc_lo
	s_delay_alu instid0(VALU_DEP_2) | instskip(NEXT) | instid1(VALU_DEP_1)
	v_and_b32_e32 v2, 7, v2
	v_cndmask_b32_e32 v2, v5, v2, vcc_lo
	s_delay_alu instid0(VALU_DEP_3) | instskip(NEXT) | instid1(VALU_DEP_2)
	v_lshl_add_u32 v5, v6, 23, 0x3b800000
	v_lshlrev_b32_e32 v2, 20, v2
	s_delay_alu instid0(VALU_DEP_1)
	v_or3_b32 v2, v3, v5, v2
.LBB46_822:
	s_or_b32 exec_lo, exec_lo, s24
.LBB46_823:
	s_mov_b32 s23, -1
.LBB46_824:
	s_mov_b32 s24, 0
.LBB46_825:
	s_delay_alu instid0(SALU_CYCLE_1)
	s_and_b32 vcc_lo, exec_lo, s24
	s_cbranch_vccz .LBB46_858
; %bb.826:
	s_cmp_gt_i32 s20, 22
	s_cbranch_scc0 .LBB46_836
; %bb.827:
	s_cmp_lt_i32 s20, 24
	s_cbranch_scc1 .LBB46_839
; %bb.828:
	s_cmp_gt_i32 s20, 24
	s_cbranch_scc0 .LBB46_840
; %bb.829:
	global_load_u8 v3, v[0:1], off
	s_mov_b32 s23, exec_lo
	s_wait_loadcnt 0x0
	v_cmpx_lt_i16_e32 0x7f, v3
	s_xor_b32 s23, exec_lo, s23
	s_cbranch_execz .LBB46_852
; %bb.830:
	s_mov_b32 s22, -1
	s_mov_b32 s24, exec_lo
	v_cmpx_eq_u16_e32 0x80, v3
; %bb.831:
	s_xor_b32 s22, exec_lo, -1
; %bb.832:
	s_or_b32 exec_lo, exec_lo, s24
	s_delay_alu instid0(SALU_CYCLE_1)
	s_and_b32 s22, s22, exec_lo
	s_or_saveexec_b32 s23, s23
	v_mov_b32_e32 v2, 0x7f800001
	s_xor_b32 exec_lo, exec_lo, s23
	s_cbranch_execnz .LBB46_853
.LBB46_833:
	s_or_b32 exec_lo, exec_lo, s23
	s_and_saveexec_b32 s23, s22
	s_cbranch_execz .LBB46_835
.LBB46_834:
	v_and_b32_e32 v2, 0xffff, v3
	s_delay_alu instid0(VALU_DEP_1) | instskip(SKIP_1) | instid1(VALU_DEP_2)
	v_dual_lshlrev_b32 v3, 24, v3 :: v_dual_bitop2_b32 v5, 3, v2 bitop3:0x40
	v_bfe_u32 v8, v2, 2, 5
	v_and_b32_e32 v3, 0x80000000, v3
	s_delay_alu instid0(VALU_DEP_3) | instskip(NEXT) | instid1(VALU_DEP_3)
	v_clz_i32_u32_e32 v6, v5
	v_cmp_eq_u32_e32 vcc_lo, 0, v8
	s_delay_alu instid0(VALU_DEP_2) | instskip(NEXT) | instid1(VALU_DEP_1)
	v_min_u32_e32 v6, 32, v6
	v_subrev_nc_u32_e32 v7, 29, v6
	v_sub_nc_u32_e32 v6, 30, v6
	s_delay_alu instid0(VALU_DEP_2) | instskip(NEXT) | instid1(VALU_DEP_2)
	v_lshlrev_b32_e32 v2, v7, v2
	v_cndmask_b32_e32 v6, v8, v6, vcc_lo
	s_delay_alu instid0(VALU_DEP_2) | instskip(NEXT) | instid1(VALU_DEP_1)
	v_and_b32_e32 v2, 3, v2
	v_cndmask_b32_e32 v2, v5, v2, vcc_lo
	s_delay_alu instid0(VALU_DEP_3) | instskip(NEXT) | instid1(VALU_DEP_2)
	v_lshl_add_u32 v5, v6, 23, 0x37800000
	v_lshlrev_b32_e32 v2, 21, v2
	s_delay_alu instid0(VALU_DEP_1)
	v_or3_b32 v2, v3, v5, v2
.LBB46_835:
	s_or_b32 exec_lo, exec_lo, s23
	s_mov_b32 s22, 0
	s_branch .LBB46_841
.LBB46_836:
	s_mov_b32 s22, -1
                                        ; implicit-def: $vgpr2
	s_branch .LBB46_847
.LBB46_837:
	s_or_saveexec_b32 s24, s24
	v_mov_b32_e32 v2, 0x7f800001
	s_xor_b32 exec_lo, exec_lo, s24
	s_cbranch_execz .LBB46_820
.LBB46_838:
	v_cmp_ne_u16_e32 vcc_lo, 0, v3
	v_mov_b32_e32 v2, 0
	s_and_not1_b32 s23, s23, exec_lo
	s_and_b32 s25, vcc_lo, exec_lo
	s_delay_alu instid0(SALU_CYCLE_1)
	s_or_b32 s23, s23, s25
	s_or_b32 exec_lo, exec_lo, s24
	s_and_saveexec_b32 s24, s23
	s_cbranch_execnz .LBB46_821
	s_branch .LBB46_822
.LBB46_839:
	s_mov_b32 s22, -1
                                        ; implicit-def: $vgpr2
	s_branch .LBB46_844
.LBB46_840:
	s_mov_b32 s22, -1
                                        ; implicit-def: $vgpr2
.LBB46_841:
	s_delay_alu instid0(SALU_CYCLE_1)
	s_and_b32 vcc_lo, exec_lo, s22
	s_cbranch_vccz .LBB46_843
; %bb.842:
	s_wait_loadcnt 0x0
	global_load_u8 v2, v[0:1], off
	s_wait_loadcnt 0x0
	v_lshlrev_b32_e32 v2, 24, v2
	s_delay_alu instid0(VALU_DEP_1) | instskip(NEXT) | instid1(VALU_DEP_1)
	v_and_b32_e32 v3, 0x7f000000, v2
	v_clz_i32_u32_e32 v5, v3
	v_add_nc_u32_e32 v7, 0x1000000, v3
	v_cmp_ne_u32_e32 vcc_lo, 0, v3
	s_delay_alu instid0(VALU_DEP_3) | instskip(NEXT) | instid1(VALU_DEP_1)
	v_min_u32_e32 v5, 32, v5
	v_sub_nc_u32_e64 v5, v5, 4 clamp
	s_delay_alu instid0(VALU_DEP_1) | instskip(NEXT) | instid1(VALU_DEP_1)
	v_dual_lshlrev_b32 v6, v5, v3 :: v_dual_lshlrev_b32 v5, 23, v5
	v_lshrrev_b32_e32 v6, 4, v6
	s_delay_alu instid0(VALU_DEP_1) | instskip(NEXT) | instid1(VALU_DEP_1)
	v_dual_sub_nc_u32 v5, v6, v5 :: v_dual_ashrrev_i32 v6, 8, v7
	v_add_nc_u32_e32 v5, 0x3c000000, v5
	s_delay_alu instid0(VALU_DEP_1) | instskip(NEXT) | instid1(VALU_DEP_1)
	v_and_or_b32 v5, 0x7f800000, v6, v5
	v_cndmask_b32_e32 v3, 0, v5, vcc_lo
	s_delay_alu instid0(VALU_DEP_1)
	v_and_or_b32 v2, 0x80000000, v2, v3
.LBB46_843:
	s_mov_b32 s22, 0
.LBB46_844:
	s_delay_alu instid0(SALU_CYCLE_1)
	s_and_not1_b32 vcc_lo, exec_lo, s22
	s_cbranch_vccnz .LBB46_846
; %bb.845:
	s_wait_loadcnt 0x0
	global_load_u8 v2, v[0:1], off
	s_wait_loadcnt 0x0
	v_lshlrev_b32_e32 v3, 25, v2
	v_lshlrev_b16 v2, 8, v2
	s_delay_alu instid0(VALU_DEP_2) | instskip(NEXT) | instid1(VALU_DEP_2)
	v_cmp_gt_u32_e32 vcc_lo, 0x8000000, v3
	v_and_or_b32 v6, 0x7f00, v2, 0.5
	v_lshrrev_b32_e32 v5, 4, v3
	v_bfe_i32 v2, v2, 0, 16
	s_delay_alu instid0(VALU_DEP_3) | instskip(NEXT) | instid1(VALU_DEP_3)
	v_add_f32_e32 v6, -0.5, v6
	v_or_b32_e32 v5, 0x70000000, v5
	s_delay_alu instid0(VALU_DEP_1) | instskip(NEXT) | instid1(VALU_DEP_1)
	v_mul_f32_e32 v5, 0x7800000, v5
	v_cndmask_b32_e32 v3, v5, v6, vcc_lo
	s_delay_alu instid0(VALU_DEP_1)
	v_and_or_b32 v2, 0x80000000, v2, v3
.LBB46_846:
	s_mov_b32 s22, 0
	s_mov_b32 s23, -1
.LBB46_847:
	s_and_not1_b32 vcc_lo, exec_lo, s22
	s_mov_b32 s22, 0
	s_cbranch_vccnz .LBB46_858
; %bb.848:
	s_cmp_gt_i32 s20, 14
	s_cbranch_scc0 .LBB46_851
; %bb.849:
	s_cmp_eq_u32 s20, 15
	s_cbranch_scc0 .LBB46_854
; %bb.850:
	s_wait_loadcnt 0x0
	global_load_u16 v2, v[0:1], off
	s_mov_b32 s21, 0
	s_mov_b32 s23, -1
	s_wait_loadcnt 0x0
	v_lshlrev_b32_e32 v2, 16, v2
	s_branch .LBB46_856
.LBB46_851:
	s_mov_b32 s22, -1
	s_branch .LBB46_855
.LBB46_852:
	s_or_saveexec_b32 s23, s23
	v_mov_b32_e32 v2, 0x7f800001
	s_xor_b32 exec_lo, exec_lo, s23
	s_cbranch_execz .LBB46_833
.LBB46_853:
	v_cmp_ne_u16_e32 vcc_lo, 0, v3
	v_mov_b32_e32 v2, 0
	s_and_not1_b32 s22, s22, exec_lo
	s_and_b32 s24, vcc_lo, exec_lo
	s_delay_alu instid0(SALU_CYCLE_1)
	s_or_b32 s22, s22, s24
	s_or_b32 exec_lo, exec_lo, s23
	s_and_saveexec_b32 s23, s22
	s_cbranch_execnz .LBB46_834
	s_branch .LBB46_835
.LBB46_854:
	s_mov_b32 s21, -1
.LBB46_855:
                                        ; implicit-def: $vgpr2
.LBB46_856:
	s_and_b32 vcc_lo, exec_lo, s22
	s_mov_b32 s22, 0
	s_cbranch_vccz .LBB46_858
; %bb.857:
	s_cmp_lg_u32 s20, 11
	s_mov_b32 s22, -1
	s_cselect_b32 s20, -1, 0
	s_and_not1_b32 s21, s21, exec_lo
	s_and_b32 s20, s20, exec_lo
	s_delay_alu instid0(SALU_CYCLE_1)
	s_or_b32 s21, s21, s20
.LBB46_858:
	s_mov_b32 s20, 0
.LBB46_859:
	s_and_not1_b32 s25, s0, exec_lo
	s_and_b32 s21, s21, exec_lo
	s_and_b32 s23, s23, exec_lo
	;; [unrolled: 1-line block ×4, first 2 shown]
	s_or_b32 s21, s25, s21
.LBB46_860:
	s_wait_xcnt 0x0
	s_or_b32 exec_lo, exec_lo, s13
	s_delay_alu instid0(SALU_CYCLE_1)
	s_and_not1_b32 s0, s0, exec_lo
	s_and_b32 s13, s21, exec_lo
	s_and_b32 s23, s23, exec_lo
	;; [unrolled: 1-line block ×4, first 2 shown]
	s_or_b32 s0, s0, s13
.LBB46_861:
	s_or_b32 exec_lo, exec_lo, s19
	s_delay_alu instid0(SALU_CYCLE_1)
	s_and_not1_b32 s13, s17, exec_lo
	s_and_b32 s1, s1, exec_lo
	s_and_b32 s0, s0, exec_lo
	s_or_b32 s17, s13, s1
	s_and_not1_b32 s13, s16, exec_lo
	s_and_b32 s20, s23, exec_lo
	s_and_b32 s19, s22, exec_lo
	;; [unrolled: 1-line block ×3, first 2 shown]
	s_or_b32 s16, s13, s0
.LBB46_862:
	s_or_b32 exec_lo, exec_lo, s18
	s_delay_alu instid0(SALU_CYCLE_1)
	s_and_not1_b32 s0, s12, exec_lo
	s_and_b32 s12, s17, exec_lo
	s_and_not1_b32 s13, s14, exec_lo
	s_and_b32 s14, s16, exec_lo
	s_or_b32 s12, s0, s12
	s_and_b32 s0, s20, exec_lo
	s_and_b32 s17, s19, exec_lo
	;; [unrolled: 1-line block ×3, first 2 shown]
	s_or_b32 s14, s13, s14
	s_or_b32 exec_lo, exec_lo, s15
	s_mov_b32 s1, 0
	s_and_saveexec_b32 s13, s14
	s_cbranch_execz .LBB46_262
.LBB46_863:
	s_mov_b32 s1, exec_lo
	s_and_not1_b32 s16, s16, exec_lo
	s_trap 2
	s_or_b32 exec_lo, exec_lo, s13
	s_and_saveexec_b32 s13, s16
	s_delay_alu instid0(SALU_CYCLE_1)
	s_xor_b32 s13, exec_lo, s13
	s_cbranch_execnz .LBB46_263
.LBB46_864:
	s_or_b32 exec_lo, exec_lo, s13
	s_and_saveexec_b32 s13, s17
	s_cbranch_execz .LBB46_910
.LBB46_865:
	s_sext_i32_i16 s14, s10
	s_delay_alu instid0(SALU_CYCLE_1)
	s_cmp_lt_i32 s14, 5
	s_cbranch_scc1 .LBB46_870
; %bb.866:
	s_cmp_lt_i32 s14, 8
	s_cbranch_scc1 .LBB46_871
; %bb.867:
	;; [unrolled: 3-line block ×3, first 2 shown]
	s_cmp_gt_i32 s14, 9
	s_cbranch_scc0 .LBB46_873
; %bb.869:
	s_wait_loadcnt 0x0
	global_load_b64 v[2:3], v[0:1], off
	s_mov_b32 s14, 0
	s_wait_loadcnt 0x0
	v_cvt_f32_f64_e32 v2, v[2:3]
	s_branch .LBB46_874
.LBB46_870:
                                        ; implicit-def: $vgpr2
	s_branch .LBB46_891
.LBB46_871:
                                        ; implicit-def: $vgpr2
	s_branch .LBB46_880
.LBB46_872:
	s_mov_b32 s14, -1
                                        ; implicit-def: $vgpr2
	s_branch .LBB46_877
.LBB46_873:
	s_mov_b32 s14, -1
                                        ; implicit-def: $vgpr2
.LBB46_874:
	s_delay_alu instid0(SALU_CYCLE_1)
	s_and_not1_b32 vcc_lo, exec_lo, s14
	s_cbranch_vccnz .LBB46_876
; %bb.875:
	s_wait_loadcnt 0x0
	global_load_b32 v2, v[0:1], off
.LBB46_876:
	s_mov_b32 s14, 0
.LBB46_877:
	s_delay_alu instid0(SALU_CYCLE_1)
	s_and_not1_b32 vcc_lo, exec_lo, s14
	s_cbranch_vccnz .LBB46_879
; %bb.878:
	s_wait_loadcnt 0x0
	global_load_b32 v2, v[0:1], off
	s_wait_loadcnt 0x0
	v_cvt_f32_f16_e32 v2, v2
.LBB46_879:
	s_cbranch_execnz .LBB46_890
.LBB46_880:
	s_sext_i32_i16 s14, s10
	s_delay_alu instid0(SALU_CYCLE_1)
	s_cmp_lt_i32 s14, 6
	s_cbranch_scc1 .LBB46_883
; %bb.881:
	s_cmp_gt_i32 s14, 6
	s_cbranch_scc0 .LBB46_884
; %bb.882:
	s_wait_loadcnt 0x0
	global_load_b64 v[2:3], v[0:1], off
	s_mov_b32 s14, 0
	s_wait_loadcnt 0x0
	v_cvt_f32_f64_e32 v2, v[2:3]
	s_branch .LBB46_885
.LBB46_883:
	s_mov_b32 s14, -1
                                        ; implicit-def: $vgpr2
	s_branch .LBB46_888
.LBB46_884:
	s_mov_b32 s14, -1
                                        ; implicit-def: $vgpr2
.LBB46_885:
	s_delay_alu instid0(SALU_CYCLE_1)
	s_and_not1_b32 vcc_lo, exec_lo, s14
	s_cbranch_vccnz .LBB46_887
; %bb.886:
	s_wait_loadcnt 0x0
	global_load_b32 v2, v[0:1], off
.LBB46_887:
	s_mov_b32 s14, 0
.LBB46_888:
	s_delay_alu instid0(SALU_CYCLE_1)
	s_and_not1_b32 vcc_lo, exec_lo, s14
	s_cbranch_vccnz .LBB46_890
; %bb.889:
	s_wait_loadcnt 0x0
	global_load_u16 v2, v[0:1], off
	s_wait_loadcnt 0x0
	v_cvt_f32_f16_e32 v2, v2
.LBB46_890:
	s_cbranch_execnz .LBB46_909
.LBB46_891:
	s_sext_i32_i16 s14, s10
	s_delay_alu instid0(SALU_CYCLE_1)
	s_cmp_lt_i32 s14, 2
	s_cbranch_scc1 .LBB46_895
; %bb.892:
	s_cmp_lt_i32 s14, 3
	s_cbranch_scc1 .LBB46_896
; %bb.893:
	s_cmp_gt_i32 s14, 3
	s_cbranch_scc0 .LBB46_897
; %bb.894:
	s_wait_loadcnt 0x0
	global_load_b64 v[2:3], v[0:1], off
	s_mov_b32 s14, 0
	s_wait_loadcnt 0x0
	v_xor_b32_e32 v5, v2, v3
	v_cls_i32_e32 v6, v3
	s_delay_alu instid0(VALU_DEP_2) | instskip(NEXT) | instid1(VALU_DEP_1)
	v_ashrrev_i32_e32 v5, 31, v5
	v_add_nc_u32_e32 v5, 32, v5
	s_delay_alu instid0(VALU_DEP_1) | instskip(NEXT) | instid1(VALU_DEP_1)
	v_add_min_u32_e64 v5, v6, -1, v5
	v_lshlrev_b64_e32 v[2:3], v5, v[2:3]
	s_delay_alu instid0(VALU_DEP_1) | instskip(NEXT) | instid1(VALU_DEP_1)
	v_min_u32_e32 v2, 1, v2
	v_dual_sub_nc_u32 v3, 32, v5 :: v_dual_bitop2_b32 v2, v3, v2 bitop3:0x54
	s_delay_alu instid0(VALU_DEP_1) | instskip(NEXT) | instid1(VALU_DEP_1)
	v_cvt_f32_i32_e32 v2, v2
	v_ldexp_f32 v2, v2, v3
	s_branch .LBB46_898
.LBB46_895:
                                        ; implicit-def: $vgpr2
	s_branch .LBB46_904
.LBB46_896:
	s_mov_b32 s14, -1
                                        ; implicit-def: $vgpr2
	s_branch .LBB46_901
.LBB46_897:
	s_mov_b32 s14, -1
                                        ; implicit-def: $vgpr2
.LBB46_898:
	s_delay_alu instid0(SALU_CYCLE_1)
	s_and_not1_b32 vcc_lo, exec_lo, s14
	s_cbranch_vccnz .LBB46_900
; %bb.899:
	s_wait_loadcnt 0x0
	global_load_b32 v2, v[0:1], off
	s_wait_loadcnt 0x0
	v_cvt_f32_i32_e32 v2, v2
.LBB46_900:
	s_mov_b32 s14, 0
.LBB46_901:
	s_delay_alu instid0(SALU_CYCLE_1)
	s_and_not1_b32 vcc_lo, exec_lo, s14
	s_cbranch_vccnz .LBB46_903
; %bb.902:
	s_wait_loadcnt 0x0
	global_load_i16 v2, v[0:1], off
	s_wait_loadcnt 0x0
	v_cvt_f32_i32_e32 v2, v2
.LBB46_903:
	s_cbranch_execnz .LBB46_909
.LBB46_904:
	s_sext_i32_i16 s14, s10
	s_delay_alu instid0(SALU_CYCLE_1)
	s_cmp_gt_i32 s14, 0
	s_mov_b32 s14, 0
	s_cbranch_scc0 .LBB46_906
; %bb.905:
	s_wait_loadcnt 0x0
	global_load_i8 v2, v[0:1], off
	s_wait_loadcnt 0x0
	v_cvt_f32_i32_e32 v2, v2
	s_branch .LBB46_907
.LBB46_906:
	s_mov_b32 s14, -1
                                        ; implicit-def: $vgpr2
.LBB46_907:
	s_delay_alu instid0(SALU_CYCLE_1)
	s_and_not1_b32 vcc_lo, exec_lo, s14
	s_cbranch_vccnz .LBB46_909
; %bb.908:
	global_load_u8 v0, v[0:1], off
	s_wait_loadcnt 0x0
	v_cvt_f32_ubyte0_e32 v2, v0
.LBB46_909:
	s_or_b32 s0, s0, exec_lo
.LBB46_910:
	s_wait_xcnt 0x0
	s_or_b32 exec_lo, exec_lo, s13
	s_mov_b32 s17, 0
	s_mov_b32 s16, 0
                                        ; implicit-def: $sgpr13
                                        ; implicit-def: $sgpr14
                                        ; implicit-def: $vgpr0_vgpr1
	s_and_saveexec_b32 s15, s0
	s_cbranch_execz .LBB46_918
; %bb.911:
	v_mul_lo_u32 v0, v4, s2
	s_wait_loadcnt 0x0
	s_delay_alu instid0(VALU_DEP_2) | instskip(SKIP_1) | instid1(SALU_CYCLE_1)
	v_cmp_eq_f32_e64 s13, 0x7f800000, v2
	s_and_b32 s14, s8, 0xff
	s_cmp_lt_i32 s14, 11
	v_ashrrev_i32_e32 v1, 31, v0
	s_delay_alu instid0(VALU_DEP_1)
	v_add_nc_u64_e32 v[0:1], s[4:5], v[0:1]
	s_cbranch_scc1 .LBB46_921
; %bb.912:
	s_and_b32 s16, 0xffff, s14
	s_mov_b32 s17, -1
	s_cmp_gt_i32 s16, 25
	s_mov_b32 s0, s12
	s_cbranch_scc0 .LBB46_949
; %bb.913:
	s_cmp_gt_i32 s16, 28
	s_mov_b32 s0, s12
	s_cbranch_scc0 .LBB46_933
; %bb.914:
	;; [unrolled: 4-line block ×4, first 2 shown]
	s_cmp_eq_u32 s16, 46
	s_mov_b32 s0, -1
	s_cbranch_scc0 .LBB46_922
; %bb.917:
	v_cndmask_b32_e64 v2, 0, 1.0, s13
	s_mov_b32 s0, 0
	s_mov_b32 s17, 0
	s_delay_alu instid0(VALU_DEP_1) | instskip(NEXT) | instid1(VALU_DEP_1)
	v_bfe_u32 v3, v2, 16, 1
	v_add3_u32 v2, v2, v3, 0x7fff
	s_delay_alu instid0(VALU_DEP_1)
	v_lshrrev_b32_e32 v2, 16, v2
	global_store_b32 v[0:1], v2, off
	s_branch .LBB46_923
.LBB46_918:
	s_or_b32 exec_lo, exec_lo, s15
	s_and_saveexec_b32 s0, s12
	s_cbranch_execnz .LBB46_991
.LBB46_919:
	s_or_b32 exec_lo, exec_lo, s0
	s_and_saveexec_b32 s0, s17
	s_delay_alu instid0(SALU_CYCLE_1)
	s_xor_b32 s0, exec_lo, s0
	s_cbranch_execz .LBB46_992
.LBB46_920:
	s_wait_loadcnt 0x0
	v_cndmask_b32_e64 v2, 0, 1, s13
	global_store_b8 v[0:1], v2, off
	s_wait_xcnt 0x0
	s_or_b32 exec_lo, exec_lo, s0
	s_and_saveexec_b32 s0, s16
	s_delay_alu instid0(SALU_CYCLE_1)
	s_xor_b32 s0, exec_lo, s0
	s_cbranch_execz .LBB46_1030
	s_branch .LBB46_993
.LBB46_921:
	s_mov_b32 s18, 0
	s_mov_b32 s17, -1
	s_mov_b32 s0, s12
	s_branch .LBB46_990
.LBB46_922:
	s_mov_b32 s17, 0
.LBB46_923:
	s_delay_alu instid0(SALU_CYCLE_1)
	s_and_b32 vcc_lo, exec_lo, s17
	s_cbranch_vccz .LBB46_928
; %bb.924:
	s_cmp_eq_u32 s16, 44
	s_mov_b32 s0, -1
	s_cbranch_scc0 .LBB46_928
; %bb.925:
	v_cndmask_b32_e64 v4, 0, 1.0, s13
	s_mov_b32 s17, exec_lo
	s_wait_xcnt 0x0
	s_delay_alu instid0(VALU_DEP_1) | instskip(NEXT) | instid1(VALU_DEP_1)
	v_dual_mov_b32 v3, 0xff :: v_dual_lshrrev_b32 v2, 23, v4
	v_cmpx_ne_u32_e32 0xff, v2
; %bb.926:
	v_and_b32_e32 v3, 0x400000, v4
	v_and_or_b32 v4, 0x3fffff, v4, v2
	s_delay_alu instid0(VALU_DEP_2) | instskip(NEXT) | instid1(VALU_DEP_2)
	v_cmp_ne_u32_e32 vcc_lo, 0, v3
	v_cmp_ne_u32_e64 s0, 0, v4
	s_and_b32 s0, vcc_lo, s0
	s_delay_alu instid0(SALU_CYCLE_1) | instskip(NEXT) | instid1(VALU_DEP_1)
	v_cndmask_b32_e64 v3, 0, 1, s0
	v_add_nc_u32_e32 v3, v2, v3
; %bb.927:
	s_or_b32 exec_lo, exec_lo, s17
	s_mov_b32 s0, 0
	global_store_b8 v[0:1], v3, off
.LBB46_928:
	s_mov_b32 s17, 0
.LBB46_929:
	s_delay_alu instid0(SALU_CYCLE_1)
	s_and_b32 vcc_lo, exec_lo, s17
	s_cbranch_vccz .LBB46_932
; %bb.930:
	s_cmp_eq_u32 s16, 29
	s_mov_b32 s0, -1
	s_cbranch_scc0 .LBB46_932
; %bb.931:
	s_mov_b32 s0, 0
	s_wait_xcnt 0x0
	v_cndmask_b32_e64 v2, 0, 1, s13
	v_mov_b32_e32 v3, s0
	s_mov_b32 s17, 0
	global_store_b64 v[0:1], v[2:3], off
	s_branch .LBB46_933
.LBB46_932:
	s_mov_b32 s17, 0
.LBB46_933:
	s_delay_alu instid0(SALU_CYCLE_1)
	s_and_b32 vcc_lo, exec_lo, s17
	s_cbranch_vccz .LBB46_948
; %bb.934:
	s_cmp_lt_i32 s16, 27
	s_mov_b32 s17, -1
	s_cbranch_scc1 .LBB46_940
; %bb.935:
	s_wait_xcnt 0x0
	v_cndmask_b32_e64 v2, 0, 1, s13
	s_cmp_gt_i32 s16, 27
	s_cbranch_scc0 .LBB46_937
; %bb.936:
	s_mov_b32 s17, 0
	global_store_b32 v[0:1], v2, off
.LBB46_937:
	s_and_not1_b32 vcc_lo, exec_lo, s17
	s_cbranch_vccnz .LBB46_939
; %bb.938:
	global_store_b16 v[0:1], v2, off
.LBB46_939:
	s_mov_b32 s17, 0
.LBB46_940:
	s_delay_alu instid0(SALU_CYCLE_1)
	s_and_not1_b32 vcc_lo, exec_lo, s17
	s_cbranch_vccnz .LBB46_948
; %bb.941:
	s_wait_xcnt 0x0
	v_cndmask_b32_e64 v3, 0, 1.0, s13
	v_mov_b32_e32 v4, 0x80
	s_mov_b32 s17, exec_lo
	s_delay_alu instid0(VALU_DEP_2)
	v_cmpx_gt_u32_e32 0x43800000, v3
	s_cbranch_execz .LBB46_947
; %bb.942:
	s_mov_b32 s18, 0
	s_mov_b32 s19, exec_lo
                                        ; implicit-def: $vgpr2
	v_cmpx_lt_u32_e32 0x3bffffff, v3
	s_xor_b32 s19, exec_lo, s19
	s_cbranch_execz .LBB46_1045
; %bb.943:
	v_bfe_u32 v2, v3, 20, 1
	s_mov_b32 s18, exec_lo
	s_delay_alu instid0(VALU_DEP_1) | instskip(NEXT) | instid1(VALU_DEP_1)
	v_add3_u32 v2, v3, v2, 0x487ffff
                                        ; implicit-def: $vgpr3
	v_lshrrev_b32_e32 v2, 20, v2
	s_and_not1_saveexec_b32 s19, s19
	s_cbranch_execnz .LBB46_1046
.LBB46_944:
	s_or_b32 exec_lo, exec_lo, s19
	v_mov_b32_e32 v4, 0
	s_and_saveexec_b32 s19, s18
.LBB46_945:
	v_mov_b32_e32 v4, v2
.LBB46_946:
	s_or_b32 exec_lo, exec_lo, s19
.LBB46_947:
	s_delay_alu instid0(SALU_CYCLE_1)
	s_or_b32 exec_lo, exec_lo, s17
	global_store_b8 v[0:1], v4, off
.LBB46_948:
	s_mov_b32 s17, 0
.LBB46_949:
	s_delay_alu instid0(SALU_CYCLE_1)
	s_and_b32 vcc_lo, exec_lo, s17
	s_mov_b32 s17, 0
	s_cbranch_vccz .LBB46_989
; %bb.950:
	s_cmp_gt_i32 s16, 22
	s_mov_b32 s18, -1
	s_cbranch_scc0 .LBB46_982
; %bb.951:
	s_cmp_lt_i32 s16, 24
	s_cbranch_scc1 .LBB46_971
; %bb.952:
	s_cmp_gt_i32 s16, 24
	s_cbranch_scc0 .LBB46_960
; %bb.953:
	s_wait_xcnt 0x0
	v_cndmask_b32_e64 v3, 0, 1.0, s13
	v_mov_b32_e32 v4, 0x80
	s_mov_b32 s18, exec_lo
	s_delay_alu instid0(VALU_DEP_2)
	v_cmpx_gt_u32_e32 0x47800000, v3
	s_cbranch_execz .LBB46_959
; %bb.954:
	s_mov_b32 s19, 0
	s_mov_b32 s20, exec_lo
                                        ; implicit-def: $vgpr2
	v_cmpx_lt_u32_e32 0x37ffffff, v3
	s_xor_b32 s20, exec_lo, s20
	s_cbranch_execz .LBB46_1171
; %bb.955:
	v_bfe_u32 v2, v3, 21, 1
	s_mov_b32 s19, exec_lo
	s_delay_alu instid0(VALU_DEP_1) | instskip(NEXT) | instid1(VALU_DEP_1)
	v_add3_u32 v2, v3, v2, 0x88fffff
                                        ; implicit-def: $vgpr3
	v_lshrrev_b32_e32 v2, 21, v2
	s_and_not1_saveexec_b32 s20, s20
	s_cbranch_execnz .LBB46_1172
.LBB46_956:
	s_or_b32 exec_lo, exec_lo, s20
	v_mov_b32_e32 v4, 0
	s_and_saveexec_b32 s20, s19
.LBB46_957:
	v_mov_b32_e32 v4, v2
.LBB46_958:
	s_or_b32 exec_lo, exec_lo, s20
.LBB46_959:
	s_delay_alu instid0(SALU_CYCLE_1)
	s_or_b32 exec_lo, exec_lo, s18
	s_mov_b32 s18, 0
	global_store_b8 v[0:1], v4, off
.LBB46_960:
	s_and_b32 vcc_lo, exec_lo, s18
	s_cbranch_vccz .LBB46_970
; %bb.961:
	s_wait_xcnt 0x0
	v_cndmask_b32_e64 v3, 0, 1.0, s13
	s_mov_b32 s18, exec_lo
                                        ; implicit-def: $vgpr2
	s_delay_alu instid0(VALU_DEP_1)
	v_cmpx_gt_u32_e32 0x43f00000, v3
	s_xor_b32 s18, exec_lo, s18
	s_cbranch_execz .LBB46_967
; %bb.962:
	s_mov_b32 s19, exec_lo
                                        ; implicit-def: $vgpr2
	v_cmpx_lt_u32_e32 0x3c7fffff, v3
	s_xor_b32 s19, exec_lo, s19
; %bb.963:
	v_bfe_u32 v2, v3, 20, 1
	s_delay_alu instid0(VALU_DEP_1) | instskip(NEXT) | instid1(VALU_DEP_1)
	v_add3_u32 v2, v3, v2, 0x407ffff
	v_and_b32_e32 v3, 0xff00000, v2
	v_lshrrev_b32_e32 v2, 20, v2
	s_delay_alu instid0(VALU_DEP_2) | instskip(NEXT) | instid1(VALU_DEP_2)
	v_cmp_ne_u32_e32 vcc_lo, 0x7f00000, v3
                                        ; implicit-def: $vgpr3
	v_cndmask_b32_e32 v2, 0x7e, v2, vcc_lo
; %bb.964:
	s_and_not1_saveexec_b32 s19, s19
; %bb.965:
	v_add_f32_e32 v2, 0x46800000, v3
; %bb.966:
	s_or_b32 exec_lo, exec_lo, s19
                                        ; implicit-def: $vgpr3
.LBB46_967:
	s_and_not1_saveexec_b32 s18, s18
; %bb.968:
	v_mov_b32_e32 v2, 0x7f
	v_cmp_lt_u32_e32 vcc_lo, 0x7f800000, v3
	s_delay_alu instid0(VALU_DEP_2)
	v_cndmask_b32_e32 v2, 0x7e, v2, vcc_lo
; %bb.969:
	s_or_b32 exec_lo, exec_lo, s18
	global_store_b8 v[0:1], v2, off
.LBB46_970:
	s_mov_b32 s18, 0
.LBB46_971:
	s_delay_alu instid0(SALU_CYCLE_1)
	s_and_not1_b32 vcc_lo, exec_lo, s18
	s_cbranch_vccnz .LBB46_981
; %bb.972:
	s_wait_xcnt 0x0
	v_cndmask_b32_e64 v3, 0, 1.0, s13
	s_mov_b32 s18, exec_lo
                                        ; implicit-def: $vgpr2
	s_delay_alu instid0(VALU_DEP_1)
	v_cmpx_gt_u32_e32 0x47800000, v3
	s_xor_b32 s18, exec_lo, s18
	s_cbranch_execz .LBB46_978
; %bb.973:
	s_mov_b32 s19, exec_lo
                                        ; implicit-def: $vgpr2
	v_cmpx_lt_u32_e32 0x387fffff, v3
	s_xor_b32 s19, exec_lo, s19
; %bb.974:
	v_bfe_u32 v2, v3, 21, 1
	s_delay_alu instid0(VALU_DEP_1) | instskip(NEXT) | instid1(VALU_DEP_1)
	v_add3_u32 v2, v3, v2, 0x80fffff
                                        ; implicit-def: $vgpr3
	v_lshrrev_b32_e32 v2, 21, v2
; %bb.975:
	s_and_not1_saveexec_b32 s19, s19
; %bb.976:
	v_add_f32_e32 v2, 0x43000000, v3
; %bb.977:
	s_or_b32 exec_lo, exec_lo, s19
                                        ; implicit-def: $vgpr3
.LBB46_978:
	s_and_not1_saveexec_b32 s18, s18
; %bb.979:
	v_mov_b32_e32 v2, 0x7f
	v_cmp_lt_u32_e32 vcc_lo, 0x7f800000, v3
	s_delay_alu instid0(VALU_DEP_2)
	v_cndmask_b32_e32 v2, 0x7c, v2, vcc_lo
; %bb.980:
	s_or_b32 exec_lo, exec_lo, s18
	global_store_b8 v[0:1], v2, off
.LBB46_981:
	s_mov_b32 s18, 0
.LBB46_982:
	s_delay_alu instid0(SALU_CYCLE_1)
	s_and_not1_b32 vcc_lo, exec_lo, s18
	s_mov_b32 s18, 0
	s_cbranch_vccnz .LBB46_990
; %bb.983:
	s_cmp_gt_i32 s16, 14
	s_mov_b32 s18, -1
	s_cbranch_scc0 .LBB46_987
; %bb.984:
	s_cmp_eq_u32 s16, 15
	s_mov_b32 s0, -1
	s_cbranch_scc0 .LBB46_986
; %bb.985:
	s_wait_xcnt 0x0
	v_cndmask_b32_e64 v2, 0, 1.0, s13
	s_mov_b32 s0, 0
	s_delay_alu instid0(VALU_DEP_1) | instskip(NEXT) | instid1(VALU_DEP_1)
	v_bfe_u32 v3, v2, 16, 1
	v_add3_u32 v2, v2, v3, 0x7fff
	global_store_d16_hi_b16 v[0:1], v2, off
.LBB46_986:
	s_mov_b32 s18, 0
.LBB46_987:
	s_delay_alu instid0(SALU_CYCLE_1)
	s_and_b32 vcc_lo, exec_lo, s18
	s_mov_b32 s18, 0
	s_cbranch_vccz .LBB46_990
; %bb.988:
	s_cmp_lg_u32 s16, 11
	s_mov_b32 s18, -1
	s_cselect_b32 s16, -1, 0
	s_and_not1_b32 s0, s0, exec_lo
	s_and_b32 s16, s16, exec_lo
	s_delay_alu instid0(SALU_CYCLE_1)
	s_or_b32 s0, s0, s16
	s_branch .LBB46_990
.LBB46_989:
	s_mov_b32 s18, 0
.LBB46_990:
	s_and_not1_b32 s12, s12, exec_lo
	s_and_b32 s0, s0, exec_lo
	s_and_b32 s16, s17, exec_lo
	;; [unrolled: 1-line block ×3, first 2 shown]
	s_or_b32 s12, s12, s0
	s_wait_xcnt 0x0
	s_or_b32 exec_lo, exec_lo, s15
	s_and_saveexec_b32 s0, s12
	s_cbranch_execz .LBB46_919
.LBB46_991:
	s_or_b32 s1, s1, exec_lo
	s_and_not1_b32 s17, s17, exec_lo
	s_trap 2
	s_or_b32 exec_lo, exec_lo, s0
	s_and_saveexec_b32 s0, s17
	s_delay_alu instid0(SALU_CYCLE_1)
	s_xor_b32 s0, exec_lo, s0
	s_cbranch_execnz .LBB46_920
.LBB46_992:
	s_or_b32 exec_lo, exec_lo, s0
	s_and_saveexec_b32 s0, s16
	s_delay_alu instid0(SALU_CYCLE_1)
	s_xor_b32 s0, exec_lo, s0
	s_cbranch_execz .LBB46_1030
.LBB46_993:
	s_sext_i32_i16 s15, s14
	s_mov_b32 s12, -1
	s_cmp_lt_i32 s15, 5
	s_cbranch_scc1 .LBB46_1014
; %bb.994:
	s_cmp_lt_i32 s15, 8
	s_cbranch_scc1 .LBB46_1004
; %bb.995:
	s_cmp_lt_i32 s15, 9
	s_cbranch_scc1 .LBB46_1001
; %bb.996:
	s_cmp_gt_i32 s15, 9
	s_cbranch_scc0 .LBB46_998
; %bb.997:
	s_wait_loadcnt 0x0
	v_cndmask_b32_e64 v2, 0, 1, s13
	v_mov_b32_e32 v4, 0
	s_mov_b32 s12, 0
	s_delay_alu instid0(VALU_DEP_2) | instskip(NEXT) | instid1(VALU_DEP_2)
	v_cvt_f64_u32_e32 v[2:3], v2
	v_mov_b32_e32 v5, v4
	global_store_b128 v[0:1], v[2:5], off
.LBB46_998:
	s_and_not1_b32 vcc_lo, exec_lo, s12
	s_cbranch_vccnz .LBB46_1000
; %bb.999:
	s_wait_loadcnt 0x0
	v_cndmask_b32_e64 v2, 0, 1.0, s13
	v_mov_b32_e32 v3, 0
	global_store_b64 v[0:1], v[2:3], off
.LBB46_1000:
	s_mov_b32 s12, 0
.LBB46_1001:
	s_delay_alu instid0(SALU_CYCLE_1)
	s_and_not1_b32 vcc_lo, exec_lo, s12
	s_cbranch_vccnz .LBB46_1003
; %bb.1002:
	s_wait_loadcnt 0x0
	v_cndmask_b32_e64 v2, 0, 1.0, s13
	s_delay_alu instid0(VALU_DEP_1) | instskip(NEXT) | instid1(VALU_DEP_1)
	v_cvt_f16_f32_e32 v2, v2
	v_and_b32_e32 v2, 0xffff, v2
	global_store_b32 v[0:1], v2, off
.LBB46_1003:
	s_mov_b32 s12, 0
.LBB46_1004:
	s_delay_alu instid0(SALU_CYCLE_1)
	s_and_not1_b32 vcc_lo, exec_lo, s12
	s_cbranch_vccnz .LBB46_1013
; %bb.1005:
	s_sext_i32_i16 s15, s14
	s_mov_b32 s12, -1
	s_cmp_lt_i32 s15, 6
	s_cbranch_scc1 .LBB46_1011
; %bb.1006:
	s_cmp_gt_i32 s15, 6
	s_cbranch_scc0 .LBB46_1008
; %bb.1007:
	s_wait_loadcnt 0x0
	v_cndmask_b32_e64 v2, 0, 1, s13
	s_mov_b32 s12, 0
	s_delay_alu instid0(VALU_DEP_1)
	v_cvt_f64_u32_e32 v[2:3], v2
	global_store_b64 v[0:1], v[2:3], off
.LBB46_1008:
	s_and_not1_b32 vcc_lo, exec_lo, s12
	s_cbranch_vccnz .LBB46_1010
; %bb.1009:
	s_wait_loadcnt 0x0
	v_cndmask_b32_e64 v2, 0, 1.0, s13
	global_store_b32 v[0:1], v2, off
.LBB46_1010:
	s_mov_b32 s12, 0
.LBB46_1011:
	s_delay_alu instid0(SALU_CYCLE_1)
	s_and_not1_b32 vcc_lo, exec_lo, s12
	s_cbranch_vccnz .LBB46_1013
; %bb.1012:
	s_wait_loadcnt 0x0
	v_cndmask_b32_e64 v2, 0, 1.0, s13
	s_delay_alu instid0(VALU_DEP_1)
	v_cvt_f16_f32_e32 v2, v2
	global_store_b16 v[0:1], v2, off
.LBB46_1013:
	s_mov_b32 s12, 0
.LBB46_1014:
	s_delay_alu instid0(SALU_CYCLE_1)
	s_and_not1_b32 vcc_lo, exec_lo, s12
	s_cbranch_vccnz .LBB46_1030
; %bb.1015:
	s_sext_i32_i16 s15, s14
	s_mov_b32 s12, -1
	s_cmp_lt_i32 s15, 2
	s_cbranch_scc1 .LBB46_1025
; %bb.1016:
	s_cmp_lt_i32 s15, 3
	s_cbranch_scc1 .LBB46_1022
; %bb.1017:
	s_cmp_gt_i32 s15, 3
	s_cbranch_scc0 .LBB46_1019
; %bb.1018:
	s_mov_b32 s12, 0
	s_wait_loadcnt 0x0
	v_cndmask_b32_e64 v2, 0, 1, s13
	v_mov_b32_e32 v3, s12
	global_store_b64 v[0:1], v[2:3], off
.LBB46_1019:
	s_and_not1_b32 vcc_lo, exec_lo, s12
	s_cbranch_vccnz .LBB46_1021
; %bb.1020:
	s_wait_loadcnt 0x0
	v_cndmask_b32_e64 v2, 0, 1, s13
	global_store_b32 v[0:1], v2, off
.LBB46_1021:
	s_mov_b32 s12, 0
.LBB46_1022:
	s_delay_alu instid0(SALU_CYCLE_1)
	s_and_not1_b32 vcc_lo, exec_lo, s12
	s_cbranch_vccnz .LBB46_1024
; %bb.1023:
	s_wait_loadcnt 0x0
	v_cndmask_b32_e64 v2, 0, 1, s13
	global_store_b16 v[0:1], v2, off
.LBB46_1024:
	s_mov_b32 s12, 0
.LBB46_1025:
	s_delay_alu instid0(SALU_CYCLE_1)
	s_and_not1_b32 vcc_lo, exec_lo, s12
	s_cbranch_vccnz .LBB46_1030
; %bb.1026:
	s_wait_loadcnt 0x0
	v_cndmask_b32_e64 v2, 0, 1, s13
	s_sext_i32_i16 s12, s14
	s_delay_alu instid0(SALU_CYCLE_1)
	s_cmp_gt_i32 s12, 0
	s_mov_b32 s12, -1
	s_cbranch_scc0 .LBB46_1028
; %bb.1027:
	s_mov_b32 s12, 0
	global_store_b8 v[0:1], v2, off
.LBB46_1028:
	s_and_not1_b32 vcc_lo, exec_lo, s12
	s_cbranch_vccnz .LBB46_1030
; %bb.1029:
	global_store_b8 v[0:1], v2, off
.LBB46_1030:
	s_wait_xcnt 0x0
	s_or_b32 exec_lo, exec_lo, s0
	s_delay_alu instid0(SALU_CYCLE_1)
	s_and_b32 s12, s1, exec_lo
                                        ; implicit-def: $vgpr4
.LBB46_1031:
	s_or_saveexec_b32 s11, s11
	s_mov_b32 s0, 0
                                        ; implicit-def: $sgpr1
                                        ; implicit-def: $sgpr13
                                        ; implicit-def: $vgpr0_vgpr1
	s_xor_b32 exec_lo, exec_lo, s11
	s_cbranch_execz .LBB46_1983
; %bb.1032:
	v_mul_lo_u32 v0, s3, v4
	s_and_b32 s0, 0xffff, s10
	s_delay_alu instid0(SALU_CYCLE_1) | instskip(NEXT) | instid1(VALU_DEP_1)
	s_cmp_lt_i32 s0, 11
	v_ashrrev_i32_e32 v1, 31, v0
	s_wait_loadcnt 0x0
	s_delay_alu instid0(VALU_DEP_1)
	v_add_nc_u64_e32 v[2:3], s[6:7], v[0:1]
	s_cbranch_scc1 .LBB46_1039
; %bb.1033:
	s_cmp_gt_i32 s0, 25
	s_mov_b32 s10, 0
	s_cbranch_scc0 .LBB46_1041
; %bb.1034:
	s_cmp_gt_i32 s0, 28
	s_cbranch_scc0 .LBB46_1042
; %bb.1035:
	s_cmp_gt_i32 s0, 43
	;; [unrolled: 3-line block ×3, first 2 shown]
	s_cbranch_scc0 .LBB46_1044
; %bb.1037:
	s_cmp_eq_u32 s0, 46
	s_cbranch_scc0 .LBB46_1047
; %bb.1038:
	global_load_b32 v1, v[2:3], off
	s_mov_b32 s1, 0
	s_mov_b32 s13, -1
	s_wait_loadcnt 0x0
	v_lshlrev_b32_e32 v5, 16, v1
	s_branch .LBB46_1049
.LBB46_1039:
	s_mov_b32 s13, 0
	s_mov_b32 s9, s12
                                        ; implicit-def: $vgpr5
	s_cbranch_execnz .LBB46_1112
.LBB46_1040:
	s_and_not1_b32 vcc_lo, exec_lo, s13
	s_cbranch_vccz .LBB46_1157
	s_branch .LBB46_1981
.LBB46_1041:
	s_mov_b32 s13, 0
	s_mov_b32 s1, 0
                                        ; implicit-def: $vgpr5
	s_cbranch_execnz .LBB46_1077
	s_branch .LBB46_1108
.LBB46_1042:
	s_mov_b32 s9, -1
	s_mov_b32 s13, 0
	s_mov_b32 s1, 0
                                        ; implicit-def: $vgpr5
	s_branch .LBB46_1058
.LBB46_1043:
	s_mov_b32 s13, 0
	s_mov_b32 s1, 0
                                        ; implicit-def: $vgpr5
	s_cbranch_execnz .LBB46_1054
	s_branch .LBB46_1057
.LBB46_1044:
	s_mov_b32 s9, -1
	s_mov_b32 s13, 0
	s_mov_b32 s1, 0
	s_branch .LBB46_1048
.LBB46_1045:
	s_and_not1_saveexec_b32 s19, s19
	s_cbranch_execz .LBB46_944
.LBB46_1046:
	v_add_f32_e32 v2, 0x46000000, v3
	s_and_not1_b32 s18, s18, exec_lo
	s_delay_alu instid0(VALU_DEP_1) | instskip(NEXT) | instid1(VALU_DEP_1)
	v_and_b32_e32 v2, 0xff, v2
	v_cmp_ne_u32_e32 vcc_lo, 0, v2
	s_and_b32 s20, vcc_lo, exec_lo
	s_delay_alu instid0(SALU_CYCLE_1)
	s_or_b32 s18, s18, s20
	s_or_b32 exec_lo, exec_lo, s19
	v_mov_b32_e32 v4, 0
	s_and_saveexec_b32 s19, s18
	s_cbranch_execnz .LBB46_945
	s_branch .LBB46_946
.LBB46_1047:
	s_mov_b32 s1, -1
	s_mov_b32 s13, 0
.LBB46_1048:
                                        ; implicit-def: $vgpr5
.LBB46_1049:
	s_and_b32 vcc_lo, exec_lo, s9
	s_cbranch_vccz .LBB46_1052
; %bb.1050:
	s_cmp_eq_u32 s0, 44
	s_cbranch_scc0 .LBB46_1053
; %bb.1051:
	global_load_u8 v1, v[2:3], off
	s_mov_b32 s1, 0
	s_mov_b32 s13, -1
	s_wait_loadcnt 0x0
	v_lshlrev_b32_e32 v5, 23, v1
	v_cmp_ne_u32_e32 vcc_lo, 0xff, v1
	s_delay_alu instid0(VALU_DEP_2) | instskip(SKIP_1) | instid1(VALU_DEP_2)
	v_cndmask_b32_e32 v5, 0x7f800001, v5, vcc_lo
	v_cmp_ne_u32_e32 vcc_lo, 0, v1
	v_cndmask_b32_e32 v5, 0x400000, v5, vcc_lo
.LBB46_1052:
	s_branch .LBB46_1057
.LBB46_1053:
	s_mov_b32 s1, -1
                                        ; implicit-def: $vgpr5
	s_branch .LBB46_1057
.LBB46_1054:
	s_cmp_eq_u32 s0, 29
	s_cbranch_scc0 .LBB46_1056
; %bb.1055:
	global_load_b64 v[6:7], v[2:3], off
	s_mov_b32 s1, 0
	s_mov_b32 s13, -1
	s_mov_b32 s9, 0
	s_wait_loadcnt 0x0
	v_clz_i32_u32_e32 v1, v7
	s_delay_alu instid0(VALU_DEP_1) | instskip(NEXT) | instid1(VALU_DEP_1)
	v_min_u32_e32 v1, 32, v1
	v_lshlrev_b64_e32 v[6:7], v1, v[6:7]
	v_sub_nc_u32_e32 v1, 32, v1
	s_delay_alu instid0(VALU_DEP_2) | instskip(NEXT) | instid1(VALU_DEP_1)
	v_min_u32_e32 v5, 1, v6
	v_or_b32_e32 v5, v7, v5
	s_delay_alu instid0(VALU_DEP_1) | instskip(NEXT) | instid1(VALU_DEP_1)
	v_cvt_f32_u32_e32 v5, v5
	v_ldexp_f32 v5, v5, v1
	s_branch .LBB46_1058
.LBB46_1056:
	s_mov_b32 s1, -1
                                        ; implicit-def: $vgpr5
.LBB46_1057:
	s_mov_b32 s9, 0
.LBB46_1058:
	s_delay_alu instid0(SALU_CYCLE_1)
	s_and_b32 vcc_lo, exec_lo, s9
	s_cbranch_vccz .LBB46_1076
; %bb.1059:
	s_cmp_lt_i32 s0, 27
	s_cbranch_scc1 .LBB46_1062
; %bb.1060:
	s_cmp_gt_i32 s0, 27
	s_cbranch_scc0 .LBB46_1063
; %bb.1061:
	global_load_b32 v1, v[2:3], off
	s_mov_b32 s9, 0
	s_wait_loadcnt 0x0
	v_cvt_f32_u32_e32 v5, v1
	s_branch .LBB46_1064
.LBB46_1062:
	s_mov_b32 s9, -1
                                        ; implicit-def: $vgpr5
	s_branch .LBB46_1067
.LBB46_1063:
	s_mov_b32 s9, -1
                                        ; implicit-def: $vgpr5
.LBB46_1064:
	s_delay_alu instid0(SALU_CYCLE_1)
	s_and_not1_b32 vcc_lo, exec_lo, s9
	s_cbranch_vccnz .LBB46_1066
; %bb.1065:
	global_load_u16 v1, v[2:3], off
	s_wait_loadcnt 0x0
	v_cvt_f32_u32_e32 v5, v1
.LBB46_1066:
	s_mov_b32 s9, 0
.LBB46_1067:
	s_delay_alu instid0(SALU_CYCLE_1)
	s_and_not1_b32 vcc_lo, exec_lo, s9
	s_cbranch_vccnz .LBB46_1075
; %bb.1068:
	global_load_u8 v1, v[2:3], off
	s_mov_b32 s9, 0
	s_mov_b32 s13, exec_lo
	s_wait_loadcnt 0x0
	v_cmpx_lt_i16_e32 0x7f, v1
	s_xor_b32 s13, exec_lo, s13
	s_cbranch_execz .LBB46_1088
; %bb.1069:
	s_mov_b32 s9, -1
	s_mov_b32 s14, exec_lo
	v_cmpx_eq_u16_e32 0x80, v1
; %bb.1070:
	s_xor_b32 s9, exec_lo, -1
; %bb.1071:
	s_or_b32 exec_lo, exec_lo, s14
	s_delay_alu instid0(SALU_CYCLE_1)
	s_and_b32 s9, s9, exec_lo
	s_or_saveexec_b32 s13, s13
	v_mov_b32_e32 v5, 0x7f800001
	s_xor_b32 exec_lo, exec_lo, s13
	s_cbranch_execnz .LBB46_1089
.LBB46_1072:
	s_or_b32 exec_lo, exec_lo, s13
	s_and_saveexec_b32 s13, s9
	s_cbranch_execz .LBB46_1074
.LBB46_1073:
	v_and_b32_e32 v5, 0xffff, v1
	s_delay_alu instid0(VALU_DEP_1) | instskip(SKIP_1) | instid1(VALU_DEP_2)
	v_and_b32_e32 v6, 7, v5
	v_bfe_u32 v9, v5, 3, 4
	v_clz_i32_u32_e32 v7, v6
	s_delay_alu instid0(VALU_DEP_2) | instskip(NEXT) | instid1(VALU_DEP_2)
	v_cmp_eq_u32_e32 vcc_lo, 0, v9
	v_min_u32_e32 v7, 32, v7
	s_delay_alu instid0(VALU_DEP_1) | instskip(NEXT) | instid1(VALU_DEP_1)
	v_subrev_nc_u32_e32 v8, 28, v7
	v_dual_lshlrev_b32 v5, v8, v5 :: v_dual_sub_nc_u32 v7, 29, v7
	s_delay_alu instid0(VALU_DEP_1) | instskip(NEXT) | instid1(VALU_DEP_2)
	v_and_b32_e32 v5, 7, v5
	v_dual_lshlrev_b32 v1, 24, v1 :: v_dual_cndmask_b32 v7, v9, v7, vcc_lo
	s_delay_alu instid0(VALU_DEP_2) | instskip(NEXT) | instid1(VALU_DEP_2)
	v_cndmask_b32_e32 v5, v6, v5, vcc_lo
	v_and_b32_e32 v1, 0x80000000, v1
	s_delay_alu instid0(VALU_DEP_3) | instskip(NEXT) | instid1(VALU_DEP_3)
	v_lshl_add_u32 v6, v7, 23, 0x3b800000
	v_lshlrev_b32_e32 v5, 20, v5
	s_delay_alu instid0(VALU_DEP_1)
	v_or3_b32 v5, v1, v6, v5
.LBB46_1074:
	s_or_b32 exec_lo, exec_lo, s13
.LBB46_1075:
	s_mov_b32 s13, -1
.LBB46_1076:
	s_branch .LBB46_1108
.LBB46_1077:
	s_cmp_gt_i32 s0, 22
	s_cbranch_scc0 .LBB46_1087
; %bb.1078:
	s_cmp_lt_i32 s0, 24
	s_cbranch_scc1 .LBB46_1090
; %bb.1079:
	s_cmp_gt_i32 s0, 24
	s_cbranch_scc0 .LBB46_1091
; %bb.1080:
	global_load_u8 v1, v[2:3], off
	s_mov_b32 s9, 0
	s_mov_b32 s10, exec_lo
	s_wait_loadcnt 0x0
	v_cmpx_lt_i16_e32 0x7f, v1
	s_xor_b32 s10, exec_lo, s10
	s_cbranch_execz .LBB46_1102
; %bb.1081:
	s_mov_b32 s9, -1
	s_mov_b32 s13, exec_lo
	v_cmpx_eq_u16_e32 0x80, v1
; %bb.1082:
	s_xor_b32 s9, exec_lo, -1
; %bb.1083:
	s_or_b32 exec_lo, exec_lo, s13
	s_delay_alu instid0(SALU_CYCLE_1)
	s_and_b32 s9, s9, exec_lo
	s_or_saveexec_b32 s10, s10
	v_mov_b32_e32 v5, 0x7f800001
	s_xor_b32 exec_lo, exec_lo, s10
	s_cbranch_execnz .LBB46_1103
.LBB46_1084:
	s_or_b32 exec_lo, exec_lo, s10
	s_and_saveexec_b32 s10, s9
	s_cbranch_execz .LBB46_1086
.LBB46_1085:
	v_and_b32_e32 v5, 0xffff, v1
	s_delay_alu instid0(VALU_DEP_1) | instskip(SKIP_1) | instid1(VALU_DEP_2)
	v_and_b32_e32 v6, 3, v5
	v_bfe_u32 v9, v5, 2, 5
	v_clz_i32_u32_e32 v7, v6
	s_delay_alu instid0(VALU_DEP_2) | instskip(NEXT) | instid1(VALU_DEP_2)
	v_cmp_eq_u32_e32 vcc_lo, 0, v9
	v_min_u32_e32 v7, 32, v7
	s_delay_alu instid0(VALU_DEP_1) | instskip(NEXT) | instid1(VALU_DEP_1)
	v_subrev_nc_u32_e32 v8, 29, v7
	v_dual_lshlrev_b32 v5, v8, v5 :: v_dual_sub_nc_u32 v7, 30, v7
	s_delay_alu instid0(VALU_DEP_1) | instskip(NEXT) | instid1(VALU_DEP_2)
	v_and_b32_e32 v5, 3, v5
	v_dual_lshlrev_b32 v1, 24, v1 :: v_dual_cndmask_b32 v7, v9, v7, vcc_lo
	s_delay_alu instid0(VALU_DEP_2) | instskip(NEXT) | instid1(VALU_DEP_2)
	v_cndmask_b32_e32 v5, v6, v5, vcc_lo
	v_and_b32_e32 v1, 0x80000000, v1
	s_delay_alu instid0(VALU_DEP_3) | instskip(NEXT) | instid1(VALU_DEP_3)
	v_lshl_add_u32 v6, v7, 23, 0x37800000
	v_lshlrev_b32_e32 v5, 21, v5
	s_delay_alu instid0(VALU_DEP_1)
	v_or3_b32 v5, v1, v6, v5
.LBB46_1086:
	s_or_b32 exec_lo, exec_lo, s10
	s_mov_b32 s9, 0
	s_branch .LBB46_1092
.LBB46_1087:
                                        ; implicit-def: $vgpr5
	s_mov_b32 s10, 0
	s_branch .LBB46_1098
.LBB46_1088:
	s_or_saveexec_b32 s13, s13
	v_mov_b32_e32 v5, 0x7f800001
	s_xor_b32 exec_lo, exec_lo, s13
	s_cbranch_execz .LBB46_1072
.LBB46_1089:
	v_cmp_ne_u16_e32 vcc_lo, 0, v1
	v_mov_b32_e32 v5, 0
	s_and_not1_b32 s9, s9, exec_lo
	s_and_b32 s14, vcc_lo, exec_lo
	s_delay_alu instid0(SALU_CYCLE_1)
	s_or_b32 s9, s9, s14
	s_or_b32 exec_lo, exec_lo, s13
	s_and_saveexec_b32 s13, s9
	s_cbranch_execnz .LBB46_1073
	s_branch .LBB46_1074
.LBB46_1090:
	s_mov_b32 s9, -1
                                        ; implicit-def: $vgpr5
	s_branch .LBB46_1095
.LBB46_1091:
	s_mov_b32 s9, -1
                                        ; implicit-def: $vgpr5
.LBB46_1092:
	s_delay_alu instid0(SALU_CYCLE_1)
	s_and_b32 vcc_lo, exec_lo, s9
	s_cbranch_vccz .LBB46_1094
; %bb.1093:
	global_load_u8 v1, v[2:3], off
	s_wait_loadcnt 0x0
	v_lshlrev_b32_e32 v1, 24, v1
	s_delay_alu instid0(VALU_DEP_1) | instskip(NEXT) | instid1(VALU_DEP_1)
	v_and_b32_e32 v5, 0x7f000000, v1
	v_clz_i32_u32_e32 v6, v5
	v_cmp_ne_u32_e32 vcc_lo, 0, v5
	v_add_nc_u32_e32 v8, 0x1000000, v5
	s_delay_alu instid0(VALU_DEP_3) | instskip(NEXT) | instid1(VALU_DEP_1)
	v_min_u32_e32 v6, 32, v6
	v_sub_nc_u32_e64 v6, v6, 4 clamp
	s_delay_alu instid0(VALU_DEP_1) | instskip(NEXT) | instid1(VALU_DEP_1)
	v_dual_lshlrev_b32 v7, v6, v5 :: v_dual_lshlrev_b32 v6, 23, v6
	v_lshrrev_b32_e32 v7, 4, v7
	s_delay_alu instid0(VALU_DEP_1) | instskip(NEXT) | instid1(VALU_DEP_1)
	v_dual_sub_nc_u32 v6, v7, v6 :: v_dual_ashrrev_i32 v7, 8, v8
	v_add_nc_u32_e32 v6, 0x3c000000, v6
	s_delay_alu instid0(VALU_DEP_1) | instskip(NEXT) | instid1(VALU_DEP_1)
	v_and_or_b32 v6, 0x7f800000, v7, v6
	v_cndmask_b32_e32 v5, 0, v6, vcc_lo
	s_delay_alu instid0(VALU_DEP_1)
	v_and_or_b32 v5, 0x80000000, v1, v5
.LBB46_1094:
	s_mov_b32 s9, 0
.LBB46_1095:
	s_delay_alu instid0(SALU_CYCLE_1)
	s_and_not1_b32 vcc_lo, exec_lo, s9
	s_cbranch_vccnz .LBB46_1097
; %bb.1096:
	global_load_u8 v1, v[2:3], off
	s_wait_loadcnt 0x0
	v_lshlrev_b32_e32 v5, 25, v1
	v_lshlrev_b16 v1, 8, v1
	s_delay_alu instid0(VALU_DEP_1) | instskip(SKIP_1) | instid1(VALU_DEP_2)
	v_and_or_b32 v7, 0x7f00, v1, 0.5
	v_bfe_i32 v1, v1, 0, 16
	v_dual_add_f32 v7, -0.5, v7 :: v_dual_lshrrev_b32 v6, 4, v5
	v_cmp_gt_u32_e32 vcc_lo, 0x8000000, v5
	s_delay_alu instid0(VALU_DEP_2) | instskip(NEXT) | instid1(VALU_DEP_1)
	v_or_b32_e32 v6, 0x70000000, v6
	v_mul_f32_e32 v6, 0x7800000, v6
	s_delay_alu instid0(VALU_DEP_1) | instskip(NEXT) | instid1(VALU_DEP_1)
	v_cndmask_b32_e32 v5, v6, v7, vcc_lo
	v_and_or_b32 v5, 0x80000000, v1, v5
.LBB46_1097:
	s_mov_b32 s13, -1
	s_mov_b32 s10, 0
	s_cbranch_execnz .LBB46_1108
.LBB46_1098:
	s_cmp_gt_i32 s0, 14
	s_cbranch_scc0 .LBB46_1101
; %bb.1099:
	s_cmp_eq_u32 s0, 15
	s_cbranch_scc0 .LBB46_1104
; %bb.1100:
	global_load_u16 v1, v[2:3], off
	s_mov_b32 s1, 0
	s_mov_b32 s13, -1
	s_wait_loadcnt 0x0
	v_lshlrev_b32_e32 v5, 16, v1
	s_branch .LBB46_1105
.LBB46_1101:
	s_mov_b32 s9, -1
                                        ; implicit-def: $vgpr5
	s_branch .LBB46_1106
.LBB46_1102:
	s_or_saveexec_b32 s10, s10
	v_mov_b32_e32 v5, 0x7f800001
	s_xor_b32 exec_lo, exec_lo, s10
	s_cbranch_execz .LBB46_1084
.LBB46_1103:
	v_cmp_ne_u16_e32 vcc_lo, 0, v1
	v_mov_b32_e32 v5, 0
	s_and_not1_b32 s9, s9, exec_lo
	s_and_b32 s13, vcc_lo, exec_lo
	s_delay_alu instid0(SALU_CYCLE_1)
	s_or_b32 s9, s9, s13
	s_or_b32 exec_lo, exec_lo, s10
	s_and_saveexec_b32 s10, s9
	s_cbranch_execnz .LBB46_1085
	s_branch .LBB46_1086
.LBB46_1104:
	s_mov_b32 s1, -1
                                        ; implicit-def: $vgpr5
.LBB46_1105:
	s_mov_b32 s9, 0
.LBB46_1106:
	s_delay_alu instid0(SALU_CYCLE_1)
	s_and_b32 vcc_lo, exec_lo, s9
	s_cbranch_vccz .LBB46_1108
; %bb.1107:
	s_cmp_lg_u32 s0, 11
	s_mov_b32 s10, -1
	s_cselect_b32 s1, -1, 0
.LBB46_1108:
	s_delay_alu instid0(SALU_CYCLE_1)
	s_and_b32 vcc_lo, exec_lo, s1
	s_mov_b32 s9, s12
	s_cbranch_vccnz .LBB46_1169
; %bb.1109:
	s_and_not1_b32 vcc_lo, exec_lo, s10
	s_cbranch_vccnz .LBB46_1111
.LBB46_1110:
	global_load_u8 v1, v[2:3], off
	s_mov_b32 s13, -1
	s_wait_loadcnt 0x0
	v_cmp_ne_u16_e32 vcc_lo, 0, v1
	v_cndmask_b32_e64 v5, 0, 1.0, vcc_lo
.LBB46_1111:
	s_branch .LBB46_1040
.LBB46_1112:
	s_cmp_lt_i32 s0, 5
	s_cbranch_scc1 .LBB46_1117
; %bb.1113:
	s_cmp_lt_i32 s0, 8
	s_cbranch_scc1 .LBB46_1118
; %bb.1114:
	;; [unrolled: 3-line block ×3, first 2 shown]
	s_cmp_gt_i32 s0, 9
	s_cbranch_scc0 .LBB46_1120
; %bb.1116:
	global_load_b64 v[6:7], v[2:3], off
	s_mov_b32 s1, 0
	s_wait_loadcnt 0x0
	v_cvt_f32_f64_e32 v5, v[6:7]
	s_branch .LBB46_1121
.LBB46_1117:
                                        ; implicit-def: $vgpr5
	s_branch .LBB46_1138
.LBB46_1118:
                                        ; implicit-def: $vgpr5
	s_branch .LBB46_1127
.LBB46_1119:
	s_mov_b32 s1, -1
                                        ; implicit-def: $vgpr5
	s_branch .LBB46_1124
.LBB46_1120:
	s_mov_b32 s1, -1
                                        ; implicit-def: $vgpr5
.LBB46_1121:
	s_delay_alu instid0(SALU_CYCLE_1)
	s_and_not1_b32 vcc_lo, exec_lo, s1
	s_cbranch_vccnz .LBB46_1123
; %bb.1122:
	global_load_b32 v5, v[2:3], off
.LBB46_1123:
	s_mov_b32 s1, 0
.LBB46_1124:
	s_delay_alu instid0(SALU_CYCLE_1)
	s_and_not1_b32 vcc_lo, exec_lo, s1
	s_cbranch_vccnz .LBB46_1126
; %bb.1125:
	global_load_b32 v1, v[2:3], off
	s_wait_loadcnt 0x0
	v_cvt_f32_f16_e32 v5, v1
.LBB46_1126:
	s_cbranch_execnz .LBB46_1137
.LBB46_1127:
	s_cmp_lt_i32 s0, 6
	s_cbranch_scc1 .LBB46_1130
; %bb.1128:
	s_cmp_gt_i32 s0, 6
	s_cbranch_scc0 .LBB46_1131
; %bb.1129:
	global_load_b64 v[6:7], v[2:3], off
	s_mov_b32 s1, 0
	s_wait_loadcnt 0x0
	v_cvt_f32_f64_e32 v5, v[6:7]
	s_branch .LBB46_1132
.LBB46_1130:
	s_mov_b32 s1, -1
                                        ; implicit-def: $vgpr5
	s_branch .LBB46_1135
.LBB46_1131:
	s_mov_b32 s1, -1
                                        ; implicit-def: $vgpr5
.LBB46_1132:
	s_delay_alu instid0(SALU_CYCLE_1)
	s_and_not1_b32 vcc_lo, exec_lo, s1
	s_cbranch_vccnz .LBB46_1134
; %bb.1133:
	s_wait_loadcnt 0x0
	global_load_b32 v5, v[2:3], off
.LBB46_1134:
	s_mov_b32 s1, 0
.LBB46_1135:
	s_delay_alu instid0(SALU_CYCLE_1)
	s_and_not1_b32 vcc_lo, exec_lo, s1
	s_cbranch_vccnz .LBB46_1137
; %bb.1136:
	global_load_u16 v1, v[2:3], off
	s_wait_loadcnt 0x0
	v_cvt_f32_f16_e32 v5, v1
.LBB46_1137:
	s_cbranch_execnz .LBB46_1156
.LBB46_1138:
	s_cmp_lt_i32 s0, 2
	s_cbranch_scc1 .LBB46_1142
; %bb.1139:
	s_cmp_lt_i32 s0, 3
	s_cbranch_scc1 .LBB46_1143
; %bb.1140:
	s_cmp_gt_i32 s0, 3
	s_cbranch_scc0 .LBB46_1144
; %bb.1141:
	global_load_b64 v[6:7], v[2:3], off
	s_mov_b32 s1, 0
	s_wait_loadcnt 0x0
	v_xor_b32_e32 v1, v6, v7
	v_cls_i32_e32 v5, v7
	s_delay_alu instid0(VALU_DEP_2) | instskip(NEXT) | instid1(VALU_DEP_1)
	v_ashrrev_i32_e32 v1, 31, v1
	v_add_nc_u32_e32 v1, 32, v1
	s_delay_alu instid0(VALU_DEP_1) | instskip(NEXT) | instid1(VALU_DEP_1)
	v_add_min_u32_e64 v1, v5, -1, v1
	v_lshlrev_b64_e32 v[6:7], v1, v[6:7]
	v_sub_nc_u32_e32 v1, 32, v1
	s_delay_alu instid0(VALU_DEP_2) | instskip(NEXT) | instid1(VALU_DEP_1)
	v_min_u32_e32 v5, 1, v6
	v_or_b32_e32 v5, v7, v5
	s_delay_alu instid0(VALU_DEP_1) | instskip(NEXT) | instid1(VALU_DEP_1)
	v_cvt_f32_i32_e32 v5, v5
	v_ldexp_f32 v5, v5, v1
	s_branch .LBB46_1145
.LBB46_1142:
                                        ; implicit-def: $vgpr5
	s_branch .LBB46_1151
.LBB46_1143:
	s_mov_b32 s1, -1
                                        ; implicit-def: $vgpr5
	s_branch .LBB46_1148
.LBB46_1144:
	s_mov_b32 s1, -1
                                        ; implicit-def: $vgpr5
.LBB46_1145:
	s_delay_alu instid0(SALU_CYCLE_1)
	s_and_not1_b32 vcc_lo, exec_lo, s1
	s_cbranch_vccnz .LBB46_1147
; %bb.1146:
	global_load_b32 v1, v[2:3], off
	s_wait_loadcnt 0x0
	v_cvt_f32_i32_e32 v5, v1
.LBB46_1147:
	s_mov_b32 s1, 0
.LBB46_1148:
	s_delay_alu instid0(SALU_CYCLE_1)
	s_and_not1_b32 vcc_lo, exec_lo, s1
	s_cbranch_vccnz .LBB46_1150
; %bb.1149:
	global_load_i16 v1, v[2:3], off
	s_wait_loadcnt 0x0
	v_cvt_f32_i32_e32 v5, v1
.LBB46_1150:
	s_cbranch_execnz .LBB46_1156
.LBB46_1151:
	s_cmp_gt_i32 s0, 0
	s_mov_b32 s1, 0
	s_cbranch_scc0 .LBB46_1153
; %bb.1152:
	global_load_i8 v1, v[2:3], off
	s_wait_loadcnt 0x0
	v_cvt_f32_i32_e32 v5, v1
	s_branch .LBB46_1154
.LBB46_1153:
	s_mov_b32 s1, -1
                                        ; implicit-def: $vgpr5
.LBB46_1154:
	s_delay_alu instid0(SALU_CYCLE_1)
	s_and_not1_b32 vcc_lo, exec_lo, s1
	s_cbranch_vccnz .LBB46_1156
; %bb.1155:
	global_load_u8 v1, v[2:3], off
	s_wait_loadcnt 0x0
	v_cvt_f32_ubyte0_e32 v5, v1
.LBB46_1156:
.LBB46_1157:
	s_lshl_b32 s1, s3, 7
	s_cmp_lt_i32 s0, 11
	v_add_nc_u32_e32 v0, s1, v0
	s_delay_alu instid0(VALU_DEP_1) | instskip(SKIP_1) | instid1(VALU_DEP_1)
	v_ashrrev_i32_e32 v1, 31, v0
	s_wait_xcnt 0x0
	v_add_nc_u64_e32 v[2:3], s[6:7], v[0:1]
	s_cbranch_scc1 .LBB46_1164
; %bb.1158:
	s_cmp_gt_i32 s0, 25
	s_mov_b32 s10, 0
	s_cbranch_scc0 .LBB46_1166
; %bb.1159:
	s_cmp_gt_i32 s0, 28
	s_cbranch_scc0 .LBB46_1167
; %bb.1160:
	s_cmp_gt_i32 s0, 43
	;; [unrolled: 3-line block ×3, first 2 shown]
	s_cbranch_scc0 .LBB46_1170
; %bb.1162:
	s_cmp_eq_u32 s0, 46
	s_mov_b32 s14, 0
	s_cbranch_scc0 .LBB46_1173
; %bb.1163:
	global_load_b32 v1, v[2:3], off
	s_mov_b32 s3, 0
	s_mov_b32 s13, -1
	s_wait_loadcnt 0x0
	v_lshlrev_b32_e32 v6, 16, v1
	s_branch .LBB46_1175
.LBB46_1164:
	s_mov_b32 s13, 0
                                        ; implicit-def: $vgpr6
	s_cbranch_execnz .LBB46_1240
.LBB46_1165:
	s_and_not1_b32 vcc_lo, exec_lo, s13
	s_cbranch_vccnz .LBB46_1981
	s_branch .LBB46_1287
.LBB46_1166:
	s_mov_b32 s13, 0
	s_mov_b32 s3, 0
                                        ; implicit-def: $vgpr6
	s_cbranch_execnz .LBB46_1204
	s_branch .LBB46_1236
.LBB46_1167:
	s_mov_b32 s14, -1
	s_mov_b32 s13, 0
	s_mov_b32 s3, 0
                                        ; implicit-def: $vgpr6
	s_branch .LBB46_1185
.LBB46_1168:
	s_mov_b32 s14, -1
	s_mov_b32 s13, 0
	s_mov_b32 s3, 0
                                        ; implicit-def: $vgpr6
	s_branch .LBB46_1180
.LBB46_1169:
	s_or_b32 s9, s12, exec_lo
	s_trap 2
	s_cbranch_execz .LBB46_1110
	s_branch .LBB46_1111
.LBB46_1170:
	s_mov_b32 s14, -1
	s_mov_b32 s13, 0
	s_mov_b32 s3, 0
	s_branch .LBB46_1174
.LBB46_1171:
	s_and_not1_saveexec_b32 s20, s20
	s_cbranch_execz .LBB46_956
.LBB46_1172:
	v_add_f32_e32 v2, 0x42800000, v3
	s_and_not1_b32 s19, s19, exec_lo
	s_delay_alu instid0(VALU_DEP_1) | instskip(NEXT) | instid1(VALU_DEP_1)
	v_and_b32_e32 v2, 0xff, v2
	v_cmp_ne_u32_e32 vcc_lo, 0, v2
	s_and_b32 s21, vcc_lo, exec_lo
	s_delay_alu instid0(SALU_CYCLE_1)
	s_or_b32 s19, s19, s21
	s_or_b32 exec_lo, exec_lo, s20
	v_mov_b32_e32 v4, 0
	s_and_saveexec_b32 s20, s19
	s_cbranch_execnz .LBB46_957
	s_branch .LBB46_958
.LBB46_1173:
	s_mov_b32 s3, -1
	s_mov_b32 s13, 0
.LBB46_1174:
                                        ; implicit-def: $vgpr6
.LBB46_1175:
	s_and_b32 vcc_lo, exec_lo, s14
	s_cbranch_vccz .LBB46_1179
; %bb.1176:
	s_cmp_eq_u32 s0, 44
	s_cbranch_scc0 .LBB46_1178
; %bb.1177:
	global_load_u8 v1, v[2:3], off
	s_mov_b32 s3, 0
	s_mov_b32 s13, -1
	s_wait_loadcnt 0x0
	v_lshlrev_b32_e32 v6, 23, v1
	v_cmp_ne_u32_e32 vcc_lo, 0xff, v1
	s_delay_alu instid0(VALU_DEP_2) | instskip(SKIP_1) | instid1(VALU_DEP_2)
	v_cndmask_b32_e32 v6, 0x7f800001, v6, vcc_lo
	v_cmp_ne_u32_e32 vcc_lo, 0, v1
	v_cndmask_b32_e32 v6, 0x400000, v6, vcc_lo
	s_branch .LBB46_1179
.LBB46_1178:
	s_mov_b32 s3, -1
                                        ; implicit-def: $vgpr6
.LBB46_1179:
	s_mov_b32 s14, 0
.LBB46_1180:
	s_delay_alu instid0(SALU_CYCLE_1)
	s_and_b32 vcc_lo, exec_lo, s14
	s_cbranch_vccz .LBB46_1184
; %bb.1181:
	s_cmp_eq_u32 s0, 29
	s_cbranch_scc0 .LBB46_1183
; %bb.1182:
	global_load_b64 v[6:7], v[2:3], off
	s_mov_b32 s3, 0
	s_mov_b32 s13, -1
	s_mov_b32 s14, 0
	s_wait_loadcnt 0x0
	v_clz_i32_u32_e32 v1, v7
	s_delay_alu instid0(VALU_DEP_1) | instskip(NEXT) | instid1(VALU_DEP_1)
	v_min_u32_e32 v1, 32, v1
	v_lshlrev_b64_e32 v[6:7], v1, v[6:7]
	v_sub_nc_u32_e32 v1, 32, v1
	s_delay_alu instid0(VALU_DEP_2) | instskip(NEXT) | instid1(VALU_DEP_1)
	v_min_u32_e32 v6, 1, v6
	v_or_b32_e32 v6, v7, v6
	s_delay_alu instid0(VALU_DEP_1) | instskip(NEXT) | instid1(VALU_DEP_1)
	v_cvt_f32_u32_e32 v6, v6
	v_ldexp_f32 v6, v6, v1
	s_branch .LBB46_1185
.LBB46_1183:
	s_mov_b32 s3, -1
                                        ; implicit-def: $vgpr6
.LBB46_1184:
	s_mov_b32 s14, 0
.LBB46_1185:
	s_delay_alu instid0(SALU_CYCLE_1)
	s_and_b32 vcc_lo, exec_lo, s14
	s_cbranch_vccz .LBB46_1203
; %bb.1186:
	s_cmp_lt_i32 s0, 27
	s_cbranch_scc1 .LBB46_1189
; %bb.1187:
	s_cmp_gt_i32 s0, 27
	s_cbranch_scc0 .LBB46_1190
; %bb.1188:
	global_load_b32 v1, v[2:3], off
	s_mov_b32 s13, 0
	s_wait_loadcnt 0x0
	v_cvt_f32_u32_e32 v6, v1
	s_branch .LBB46_1191
.LBB46_1189:
	s_mov_b32 s13, -1
                                        ; implicit-def: $vgpr6
	s_branch .LBB46_1194
.LBB46_1190:
	s_mov_b32 s13, -1
                                        ; implicit-def: $vgpr6
.LBB46_1191:
	s_delay_alu instid0(SALU_CYCLE_1)
	s_and_not1_b32 vcc_lo, exec_lo, s13
	s_cbranch_vccnz .LBB46_1193
; %bb.1192:
	global_load_u16 v1, v[2:3], off
	s_wait_loadcnt 0x0
	v_cvt_f32_u32_e32 v6, v1
.LBB46_1193:
	s_mov_b32 s13, 0
.LBB46_1194:
	s_delay_alu instid0(SALU_CYCLE_1)
	s_and_not1_b32 vcc_lo, exec_lo, s13
	s_cbranch_vccnz .LBB46_1202
; %bb.1195:
	global_load_u8 v1, v[2:3], off
	s_mov_b32 s13, 0
	s_mov_b32 s14, exec_lo
	s_wait_loadcnt 0x0
	v_cmpx_lt_i16_e32 0x7f, v1
	s_xor_b32 s14, exec_lo, s14
	s_cbranch_execz .LBB46_1215
; %bb.1196:
	s_mov_b32 s13, -1
	s_mov_b32 s15, exec_lo
	v_cmpx_eq_u16_e32 0x80, v1
; %bb.1197:
	s_xor_b32 s13, exec_lo, -1
; %bb.1198:
	s_or_b32 exec_lo, exec_lo, s15
	s_delay_alu instid0(SALU_CYCLE_1)
	s_and_b32 s13, s13, exec_lo
	s_or_saveexec_b32 s14, s14
	v_mov_b32_e32 v6, 0x7f800001
	s_xor_b32 exec_lo, exec_lo, s14
	s_cbranch_execnz .LBB46_1216
.LBB46_1199:
	s_or_b32 exec_lo, exec_lo, s14
	s_and_saveexec_b32 s14, s13
	s_cbranch_execz .LBB46_1201
.LBB46_1200:
	v_and_b32_e32 v6, 0xffff, v1
	s_delay_alu instid0(VALU_DEP_1) | instskip(SKIP_1) | instid1(VALU_DEP_2)
	v_and_b32_e32 v7, 7, v6
	v_bfe_u32 v10, v6, 3, 4
	v_clz_i32_u32_e32 v8, v7
	s_delay_alu instid0(VALU_DEP_2) | instskip(NEXT) | instid1(VALU_DEP_2)
	v_cmp_eq_u32_e32 vcc_lo, 0, v10
	v_min_u32_e32 v8, 32, v8
	s_delay_alu instid0(VALU_DEP_1) | instskip(NEXT) | instid1(VALU_DEP_1)
	v_subrev_nc_u32_e32 v9, 28, v8
	v_dual_lshlrev_b32 v6, v9, v6 :: v_dual_sub_nc_u32 v8, 29, v8
	s_delay_alu instid0(VALU_DEP_1) | instskip(NEXT) | instid1(VALU_DEP_1)
	v_dual_lshlrev_b32 v1, 24, v1 :: v_dual_bitop2_b32 v6, 7, v6 bitop3:0x40
	v_dual_cndmask_b32 v8, v10, v8, vcc_lo :: v_dual_cndmask_b32 v6, v7, v6, vcc_lo
	s_delay_alu instid0(VALU_DEP_2) | instskip(NEXT) | instid1(VALU_DEP_2)
	v_and_b32_e32 v1, 0x80000000, v1
	v_lshl_add_u32 v7, v8, 23, 0x3b800000
	s_delay_alu instid0(VALU_DEP_3) | instskip(NEXT) | instid1(VALU_DEP_1)
	v_lshlrev_b32_e32 v6, 20, v6
	v_or3_b32 v6, v1, v7, v6
.LBB46_1201:
	s_or_b32 exec_lo, exec_lo, s14
.LBB46_1202:
	s_mov_b32 s13, -1
.LBB46_1203:
	s_branch .LBB46_1236
.LBB46_1204:
	s_cmp_gt_i32 s0, 22
	s_cbranch_scc0 .LBB46_1214
; %bb.1205:
	s_cmp_lt_i32 s0, 24
	s_cbranch_scc1 .LBB46_1217
; %bb.1206:
	s_cmp_gt_i32 s0, 24
	s_cbranch_scc0 .LBB46_1218
; %bb.1207:
	global_load_u8 v1, v[2:3], off
	s_mov_b32 s13, exec_lo
	s_wait_loadcnt 0x0
	v_cmpx_lt_i16_e32 0x7f, v1
	s_xor_b32 s13, exec_lo, s13
	s_cbranch_execz .LBB46_1230
; %bb.1208:
	s_mov_b32 s10, -1
	s_mov_b32 s14, exec_lo
	v_cmpx_eq_u16_e32 0x80, v1
; %bb.1209:
	s_xor_b32 s10, exec_lo, -1
; %bb.1210:
	s_or_b32 exec_lo, exec_lo, s14
	s_delay_alu instid0(SALU_CYCLE_1)
	s_and_b32 s10, s10, exec_lo
	s_or_saveexec_b32 s13, s13
	v_mov_b32_e32 v6, 0x7f800001
	s_xor_b32 exec_lo, exec_lo, s13
	s_cbranch_execnz .LBB46_1231
.LBB46_1211:
	s_or_b32 exec_lo, exec_lo, s13
	s_and_saveexec_b32 s13, s10
	s_cbranch_execz .LBB46_1213
.LBB46_1212:
	v_and_b32_e32 v6, 0xffff, v1
	s_delay_alu instid0(VALU_DEP_1) | instskip(SKIP_1) | instid1(VALU_DEP_2)
	v_and_b32_e32 v7, 3, v6
	v_bfe_u32 v10, v6, 2, 5
	v_clz_i32_u32_e32 v8, v7
	s_delay_alu instid0(VALU_DEP_2) | instskip(NEXT) | instid1(VALU_DEP_2)
	v_cmp_eq_u32_e32 vcc_lo, 0, v10
	v_min_u32_e32 v8, 32, v8
	s_delay_alu instid0(VALU_DEP_1) | instskip(NEXT) | instid1(VALU_DEP_1)
	v_subrev_nc_u32_e32 v9, 29, v8
	v_dual_lshlrev_b32 v6, v9, v6 :: v_dual_sub_nc_u32 v8, 30, v8
	s_delay_alu instid0(VALU_DEP_1) | instskip(NEXT) | instid1(VALU_DEP_1)
	v_dual_lshlrev_b32 v1, 24, v1 :: v_dual_bitop2_b32 v6, 3, v6 bitop3:0x40
	v_dual_cndmask_b32 v8, v10, v8, vcc_lo :: v_dual_cndmask_b32 v6, v7, v6, vcc_lo
	s_delay_alu instid0(VALU_DEP_2) | instskip(NEXT) | instid1(VALU_DEP_2)
	v_and_b32_e32 v1, 0x80000000, v1
	v_lshl_add_u32 v7, v8, 23, 0x37800000
	s_delay_alu instid0(VALU_DEP_3) | instskip(NEXT) | instid1(VALU_DEP_1)
	v_lshlrev_b32_e32 v6, 21, v6
	v_or3_b32 v6, v1, v7, v6
.LBB46_1213:
	s_or_b32 exec_lo, exec_lo, s13
	s_mov_b32 s10, 0
	s_branch .LBB46_1219
.LBB46_1214:
	s_mov_b32 s10, -1
                                        ; implicit-def: $vgpr6
	s_branch .LBB46_1225
.LBB46_1215:
	s_or_saveexec_b32 s14, s14
	v_mov_b32_e32 v6, 0x7f800001
	s_xor_b32 exec_lo, exec_lo, s14
	s_cbranch_execz .LBB46_1199
.LBB46_1216:
	v_cmp_ne_u16_e32 vcc_lo, 0, v1
	v_mov_b32_e32 v6, 0
	s_and_not1_b32 s13, s13, exec_lo
	s_and_b32 s15, vcc_lo, exec_lo
	s_delay_alu instid0(SALU_CYCLE_1)
	s_or_b32 s13, s13, s15
	s_or_b32 exec_lo, exec_lo, s14
	s_and_saveexec_b32 s14, s13
	s_cbranch_execnz .LBB46_1200
	s_branch .LBB46_1201
.LBB46_1217:
	s_mov_b32 s10, -1
                                        ; implicit-def: $vgpr6
	s_branch .LBB46_1222
.LBB46_1218:
	s_mov_b32 s10, -1
                                        ; implicit-def: $vgpr6
.LBB46_1219:
	s_delay_alu instid0(SALU_CYCLE_1)
	s_and_b32 vcc_lo, exec_lo, s10
	s_cbranch_vccz .LBB46_1221
; %bb.1220:
	global_load_u8 v1, v[2:3], off
	s_wait_loadcnt 0x0
	v_lshlrev_b32_e32 v1, 24, v1
	s_delay_alu instid0(VALU_DEP_1) | instskip(NEXT) | instid1(VALU_DEP_1)
	v_and_b32_e32 v6, 0x7f000000, v1
	v_clz_i32_u32_e32 v7, v6
	v_cmp_ne_u32_e32 vcc_lo, 0, v6
	v_add_nc_u32_e32 v9, 0x1000000, v6
	s_delay_alu instid0(VALU_DEP_3) | instskip(NEXT) | instid1(VALU_DEP_1)
	v_min_u32_e32 v7, 32, v7
	v_sub_nc_u32_e64 v7, v7, 4 clamp
	s_delay_alu instid0(VALU_DEP_1) | instskip(NEXT) | instid1(VALU_DEP_1)
	v_dual_lshlrev_b32 v8, v7, v6 :: v_dual_lshlrev_b32 v7, 23, v7
	v_lshrrev_b32_e32 v8, 4, v8
	s_delay_alu instid0(VALU_DEP_1) | instskip(NEXT) | instid1(VALU_DEP_1)
	v_dual_sub_nc_u32 v7, v8, v7 :: v_dual_ashrrev_i32 v8, 8, v9
	v_add_nc_u32_e32 v7, 0x3c000000, v7
	s_delay_alu instid0(VALU_DEP_1) | instskip(NEXT) | instid1(VALU_DEP_1)
	v_and_or_b32 v7, 0x7f800000, v8, v7
	v_cndmask_b32_e32 v6, 0, v7, vcc_lo
	s_delay_alu instid0(VALU_DEP_1)
	v_and_or_b32 v6, 0x80000000, v1, v6
.LBB46_1221:
	s_mov_b32 s10, 0
.LBB46_1222:
	s_delay_alu instid0(SALU_CYCLE_1)
	s_and_not1_b32 vcc_lo, exec_lo, s10
	s_cbranch_vccnz .LBB46_1224
; %bb.1223:
	global_load_u8 v1, v[2:3], off
	s_wait_loadcnt 0x0
	v_lshlrev_b32_e32 v6, 25, v1
	v_lshlrev_b16 v1, 8, v1
	s_delay_alu instid0(VALU_DEP_1) | instskip(SKIP_1) | instid1(VALU_DEP_2)
	v_and_or_b32 v8, 0x7f00, v1, 0.5
	v_bfe_i32 v1, v1, 0, 16
	v_dual_add_f32 v8, -0.5, v8 :: v_dual_lshrrev_b32 v7, 4, v6
	v_cmp_gt_u32_e32 vcc_lo, 0x8000000, v6
	s_delay_alu instid0(VALU_DEP_2) | instskip(NEXT) | instid1(VALU_DEP_1)
	v_or_b32_e32 v7, 0x70000000, v7
	v_mul_f32_e32 v7, 0x7800000, v7
	s_delay_alu instid0(VALU_DEP_1) | instskip(NEXT) | instid1(VALU_DEP_1)
	v_cndmask_b32_e32 v6, v7, v8, vcc_lo
	v_and_or_b32 v6, 0x80000000, v1, v6
.LBB46_1224:
	s_mov_b32 s10, 0
	s_mov_b32 s13, -1
.LBB46_1225:
	s_and_not1_b32 vcc_lo, exec_lo, s10
	s_mov_b32 s10, 0
	s_cbranch_vccnz .LBB46_1236
; %bb.1226:
	s_cmp_gt_i32 s0, 14
	s_cbranch_scc0 .LBB46_1229
; %bb.1227:
	s_cmp_eq_u32 s0, 15
	s_cbranch_scc0 .LBB46_1232
; %bb.1228:
	global_load_u16 v1, v[2:3], off
	s_mov_b32 s3, 0
	s_mov_b32 s13, -1
	s_wait_loadcnt 0x0
	v_lshlrev_b32_e32 v6, 16, v1
	s_branch .LBB46_1234
.LBB46_1229:
	s_mov_b32 s10, -1
	s_branch .LBB46_1233
.LBB46_1230:
	s_or_saveexec_b32 s13, s13
	v_mov_b32_e32 v6, 0x7f800001
	s_xor_b32 exec_lo, exec_lo, s13
	s_cbranch_execz .LBB46_1211
.LBB46_1231:
	v_cmp_ne_u16_e32 vcc_lo, 0, v1
	v_mov_b32_e32 v6, 0
	s_and_not1_b32 s10, s10, exec_lo
	s_and_b32 s14, vcc_lo, exec_lo
	s_delay_alu instid0(SALU_CYCLE_1)
	s_or_b32 s10, s10, s14
	s_or_b32 exec_lo, exec_lo, s13
	s_and_saveexec_b32 s13, s10
	s_cbranch_execnz .LBB46_1212
	s_branch .LBB46_1213
.LBB46_1232:
	s_mov_b32 s3, -1
.LBB46_1233:
                                        ; implicit-def: $vgpr6
.LBB46_1234:
	s_and_b32 vcc_lo, exec_lo, s10
	s_mov_b32 s10, 0
	s_cbranch_vccz .LBB46_1236
; %bb.1235:
	s_cmp_lg_u32 s0, 11
	s_mov_b32 s10, -1
	s_cselect_b32 s3, -1, 0
.LBB46_1236:
	s_delay_alu instid0(SALU_CYCLE_1)
	s_and_b32 vcc_lo, exec_lo, s3
	s_cbranch_vccnz .LBB46_1299
; %bb.1237:
	s_and_not1_b32 vcc_lo, exec_lo, s10
	s_cbranch_vccnz .LBB46_1239
.LBB46_1238:
	global_load_u8 v1, v[2:3], off
	s_mov_b32 s13, -1
	s_wait_loadcnt 0x0
	v_cmp_ne_u16_e32 vcc_lo, 0, v1
	v_cndmask_b32_e64 v6, 0, 1.0, vcc_lo
.LBB46_1239:
	s_branch .LBB46_1165
.LBB46_1240:
	s_cmp_lt_i32 s0, 5
	s_cbranch_scc1 .LBB46_1245
; %bb.1241:
	s_cmp_lt_i32 s0, 8
	s_cbranch_scc1 .LBB46_1246
; %bb.1242:
	;; [unrolled: 3-line block ×3, first 2 shown]
	s_cmp_gt_i32 s0, 9
	s_cbranch_scc0 .LBB46_1248
; %bb.1244:
	global_load_b64 v[6:7], v[2:3], off
	s_mov_b32 s3, 0
	s_wait_loadcnt 0x0
	v_cvt_f32_f64_e32 v6, v[6:7]
	s_branch .LBB46_1249
.LBB46_1245:
                                        ; implicit-def: $vgpr6
	s_branch .LBB46_1267
.LBB46_1246:
	s_mov_b32 s3, -1
                                        ; implicit-def: $vgpr6
	s_branch .LBB46_1255
.LBB46_1247:
	s_mov_b32 s3, -1
                                        ; implicit-def: $vgpr6
	s_branch .LBB46_1252
.LBB46_1248:
	s_mov_b32 s3, -1
                                        ; implicit-def: $vgpr6
.LBB46_1249:
	s_delay_alu instid0(SALU_CYCLE_1)
	s_and_not1_b32 vcc_lo, exec_lo, s3
	s_cbranch_vccnz .LBB46_1251
; %bb.1250:
	global_load_b32 v6, v[2:3], off
.LBB46_1251:
	s_mov_b32 s3, 0
.LBB46_1252:
	s_delay_alu instid0(SALU_CYCLE_1)
	s_and_not1_b32 vcc_lo, exec_lo, s3
	s_cbranch_vccnz .LBB46_1254
; %bb.1253:
	global_load_b32 v1, v[2:3], off
	s_wait_loadcnt 0x0
	v_cvt_f32_f16_e32 v6, v1
.LBB46_1254:
	s_mov_b32 s3, 0
.LBB46_1255:
	s_delay_alu instid0(SALU_CYCLE_1)
	s_and_not1_b32 vcc_lo, exec_lo, s3
	s_cbranch_vccnz .LBB46_1266
; %bb.1256:
	s_cmp_lt_i32 s0, 6
	s_cbranch_scc1 .LBB46_1259
; %bb.1257:
	s_cmp_gt_i32 s0, 6
	s_cbranch_scc0 .LBB46_1260
; %bb.1258:
	s_wait_loadcnt 0x0
	global_load_b64 v[6:7], v[2:3], off
	s_mov_b32 s3, 0
	s_wait_loadcnt 0x0
	v_cvt_f32_f64_e32 v6, v[6:7]
	s_branch .LBB46_1261
.LBB46_1259:
	s_mov_b32 s3, -1
                                        ; implicit-def: $vgpr6
	s_branch .LBB46_1264
.LBB46_1260:
	s_mov_b32 s3, -1
                                        ; implicit-def: $vgpr6
.LBB46_1261:
	s_delay_alu instid0(SALU_CYCLE_1)
	s_and_not1_b32 vcc_lo, exec_lo, s3
	s_cbranch_vccnz .LBB46_1263
; %bb.1262:
	s_wait_loadcnt 0x0
	global_load_b32 v6, v[2:3], off
.LBB46_1263:
	s_mov_b32 s3, 0
.LBB46_1264:
	s_delay_alu instid0(SALU_CYCLE_1)
	s_and_not1_b32 vcc_lo, exec_lo, s3
	s_cbranch_vccnz .LBB46_1266
; %bb.1265:
	global_load_u16 v1, v[2:3], off
	s_wait_loadcnt 0x0
	v_cvt_f32_f16_e32 v6, v1
.LBB46_1266:
	s_cbranch_execnz .LBB46_1286
.LBB46_1267:
	s_cmp_lt_i32 s0, 2
	s_cbranch_scc1 .LBB46_1271
; %bb.1268:
	s_cmp_lt_i32 s0, 3
	s_cbranch_scc1 .LBB46_1272
; %bb.1269:
	s_cmp_gt_i32 s0, 3
	s_cbranch_scc0 .LBB46_1273
; %bb.1270:
	s_wait_loadcnt 0x0
	global_load_b64 v[6:7], v[2:3], off
	s_mov_b32 s3, 0
	s_wait_loadcnt 0x0
	v_xor_b32_e32 v1, v6, v7
	v_cls_i32_e32 v8, v7
	s_delay_alu instid0(VALU_DEP_2) | instskip(NEXT) | instid1(VALU_DEP_1)
	v_ashrrev_i32_e32 v1, 31, v1
	v_add_nc_u32_e32 v1, 32, v1
	s_delay_alu instid0(VALU_DEP_1) | instskip(NEXT) | instid1(VALU_DEP_1)
	v_add_min_u32_e64 v1, v8, -1, v1
	v_lshlrev_b64_e32 v[6:7], v1, v[6:7]
	v_sub_nc_u32_e32 v1, 32, v1
	s_delay_alu instid0(VALU_DEP_2) | instskip(NEXT) | instid1(VALU_DEP_1)
	v_min_u32_e32 v6, 1, v6
	v_or_b32_e32 v6, v7, v6
	s_delay_alu instid0(VALU_DEP_1) | instskip(NEXT) | instid1(VALU_DEP_1)
	v_cvt_f32_i32_e32 v6, v6
	v_ldexp_f32 v6, v6, v1
	s_branch .LBB46_1274
.LBB46_1271:
	s_mov_b32 s3, -1
                                        ; implicit-def: $vgpr6
	s_branch .LBB46_1280
.LBB46_1272:
	s_mov_b32 s3, -1
                                        ; implicit-def: $vgpr6
	s_branch .LBB46_1277
.LBB46_1273:
	s_mov_b32 s3, -1
                                        ; implicit-def: $vgpr6
.LBB46_1274:
	s_delay_alu instid0(SALU_CYCLE_1)
	s_and_not1_b32 vcc_lo, exec_lo, s3
	s_cbranch_vccnz .LBB46_1276
; %bb.1275:
	global_load_b32 v1, v[2:3], off
	s_wait_loadcnt 0x0
	v_cvt_f32_i32_e32 v6, v1
.LBB46_1276:
	s_mov_b32 s3, 0
.LBB46_1277:
	s_delay_alu instid0(SALU_CYCLE_1)
	s_and_not1_b32 vcc_lo, exec_lo, s3
	s_cbranch_vccnz .LBB46_1279
; %bb.1278:
	global_load_i16 v1, v[2:3], off
	s_wait_loadcnt 0x0
	v_cvt_f32_i32_e32 v6, v1
.LBB46_1279:
	s_mov_b32 s3, 0
.LBB46_1280:
	s_delay_alu instid0(SALU_CYCLE_1)
	s_and_not1_b32 vcc_lo, exec_lo, s3
	s_cbranch_vccnz .LBB46_1286
; %bb.1281:
	s_cmp_gt_i32 s0, 0
	s_mov_b32 s3, 0
	s_cbranch_scc0 .LBB46_1283
; %bb.1282:
	global_load_i8 v1, v[2:3], off
	s_wait_loadcnt 0x0
	v_cvt_f32_i32_e32 v6, v1
	s_branch .LBB46_1284
.LBB46_1283:
	s_mov_b32 s3, -1
                                        ; implicit-def: $vgpr6
.LBB46_1284:
	s_delay_alu instid0(SALU_CYCLE_1)
	s_and_not1_b32 vcc_lo, exec_lo, s3
	s_cbranch_vccnz .LBB46_1286
; %bb.1285:
	global_load_u8 v1, v[2:3], off
	s_wait_loadcnt 0x0
	v_cvt_f32_ubyte0_e32 v6, v1
.LBB46_1286:
.LBB46_1287:
	v_add_nc_u32_e32 v0, s1, v0
	s_cmp_lt_i32 s0, 11
	s_delay_alu instid0(VALU_DEP_1) | instskip(SKIP_1) | instid1(VALU_DEP_1)
	v_ashrrev_i32_e32 v1, 31, v0
	s_wait_xcnt 0x0
	v_add_nc_u64_e32 v[2:3], s[6:7], v[0:1]
	s_cbranch_scc1 .LBB46_1294
; %bb.1288:
	s_cmp_gt_i32 s0, 25
	s_mov_b32 s10, 0
	s_cbranch_scc0 .LBB46_1296
; %bb.1289:
	s_cmp_gt_i32 s0, 28
	s_cbranch_scc0 .LBB46_1297
; %bb.1290:
	s_cmp_gt_i32 s0, 43
	s_cbranch_scc0 .LBB46_1298
; %bb.1291:
	s_cmp_gt_i32 s0, 45
	s_cbranch_scc0 .LBB46_1300
; %bb.1292:
	s_cmp_eq_u32 s0, 46
	s_mov_b32 s14, 0
	s_cbranch_scc0 .LBB46_1301
; %bb.1293:
	global_load_b32 v1, v[2:3], off
	s_mov_b32 s3, 0
	s_mov_b32 s13, -1
	s_wait_loadcnt 0x0
	v_lshlrev_b32_e32 v7, 16, v1
	s_branch .LBB46_1303
.LBB46_1294:
	s_mov_b32 s13, 0
                                        ; implicit-def: $vgpr7
	s_cbranch_execnz .LBB46_1369
.LBB46_1295:
	s_and_not1_b32 vcc_lo, exec_lo, s13
	s_cbranch_vccnz .LBB46_1981
	s_branch .LBB46_1417
.LBB46_1296:
	s_mov_b32 s14, -1
	s_mov_b32 s13, 0
	s_mov_b32 s3, 0
                                        ; implicit-def: $vgpr7
	s_branch .LBB46_1332
.LBB46_1297:
	s_mov_b32 s14, -1
	s_mov_b32 s13, 0
	s_mov_b32 s3, 0
                                        ; implicit-def: $vgpr7
	s_branch .LBB46_1313
.LBB46_1298:
	s_mov_b32 s14, -1
	s_mov_b32 s13, 0
	s_mov_b32 s3, 0
                                        ; implicit-def: $vgpr7
	s_branch .LBB46_1308
.LBB46_1299:
	s_or_b32 s9, s9, exec_lo
	s_trap 2
	s_cbranch_execz .LBB46_1238
	s_branch .LBB46_1239
.LBB46_1300:
	s_mov_b32 s14, -1
	s_mov_b32 s13, 0
	s_mov_b32 s3, 0
	s_branch .LBB46_1302
.LBB46_1301:
	s_mov_b32 s3, -1
	s_mov_b32 s13, 0
.LBB46_1302:
                                        ; implicit-def: $vgpr7
.LBB46_1303:
	s_and_b32 vcc_lo, exec_lo, s14
	s_cbranch_vccz .LBB46_1307
; %bb.1304:
	s_cmp_eq_u32 s0, 44
	s_cbranch_scc0 .LBB46_1306
; %bb.1305:
	global_load_u8 v1, v[2:3], off
	s_mov_b32 s3, 0
	s_mov_b32 s13, -1
	s_wait_loadcnt 0x0
	v_lshlrev_b32_e32 v7, 23, v1
	v_cmp_ne_u32_e32 vcc_lo, 0xff, v1
	s_delay_alu instid0(VALU_DEP_2) | instskip(SKIP_1) | instid1(VALU_DEP_2)
	v_cndmask_b32_e32 v7, 0x7f800001, v7, vcc_lo
	v_cmp_ne_u32_e32 vcc_lo, 0, v1
	v_cndmask_b32_e32 v7, 0x400000, v7, vcc_lo
	s_branch .LBB46_1307
.LBB46_1306:
	s_mov_b32 s3, -1
                                        ; implicit-def: $vgpr7
.LBB46_1307:
	s_mov_b32 s14, 0
.LBB46_1308:
	s_delay_alu instid0(SALU_CYCLE_1)
	s_and_b32 vcc_lo, exec_lo, s14
	s_cbranch_vccz .LBB46_1312
; %bb.1309:
	s_cmp_eq_u32 s0, 29
	s_cbranch_scc0 .LBB46_1311
; %bb.1310:
	global_load_b64 v[8:9], v[2:3], off
	s_mov_b32 s3, 0
	s_mov_b32 s13, -1
	s_mov_b32 s14, 0
	s_wait_loadcnt 0x0
	v_clz_i32_u32_e32 v1, v9
	s_delay_alu instid0(VALU_DEP_1) | instskip(NEXT) | instid1(VALU_DEP_1)
	v_min_u32_e32 v1, 32, v1
	v_lshlrev_b64_e32 v[8:9], v1, v[8:9]
	v_sub_nc_u32_e32 v1, 32, v1
	s_delay_alu instid0(VALU_DEP_2) | instskip(NEXT) | instid1(VALU_DEP_1)
	v_min_u32_e32 v7, 1, v8
	v_or_b32_e32 v7, v9, v7
	s_delay_alu instid0(VALU_DEP_1) | instskip(NEXT) | instid1(VALU_DEP_1)
	v_cvt_f32_u32_e32 v7, v7
	v_ldexp_f32 v7, v7, v1
	s_branch .LBB46_1313
.LBB46_1311:
	s_mov_b32 s3, -1
                                        ; implicit-def: $vgpr7
.LBB46_1312:
	s_mov_b32 s14, 0
.LBB46_1313:
	s_delay_alu instid0(SALU_CYCLE_1)
	s_and_b32 vcc_lo, exec_lo, s14
	s_cbranch_vccz .LBB46_1331
; %bb.1314:
	s_cmp_lt_i32 s0, 27
	s_cbranch_scc1 .LBB46_1317
; %bb.1315:
	s_cmp_gt_i32 s0, 27
	s_cbranch_scc0 .LBB46_1318
; %bb.1316:
	global_load_b32 v1, v[2:3], off
	s_mov_b32 s13, 0
	s_wait_loadcnt 0x0
	v_cvt_f32_u32_e32 v7, v1
	s_branch .LBB46_1319
.LBB46_1317:
	s_mov_b32 s13, -1
                                        ; implicit-def: $vgpr7
	s_branch .LBB46_1322
.LBB46_1318:
	s_mov_b32 s13, -1
                                        ; implicit-def: $vgpr7
.LBB46_1319:
	s_delay_alu instid0(SALU_CYCLE_1)
	s_and_not1_b32 vcc_lo, exec_lo, s13
	s_cbranch_vccnz .LBB46_1321
; %bb.1320:
	global_load_u16 v1, v[2:3], off
	s_wait_loadcnt 0x0
	v_cvt_f32_u32_e32 v7, v1
.LBB46_1321:
	s_mov_b32 s13, 0
.LBB46_1322:
	s_delay_alu instid0(SALU_CYCLE_1)
	s_and_not1_b32 vcc_lo, exec_lo, s13
	s_cbranch_vccnz .LBB46_1330
; %bb.1323:
	global_load_u8 v1, v[2:3], off
	s_mov_b32 s13, 0
	s_mov_b32 s14, exec_lo
	s_wait_loadcnt 0x0
	v_cmpx_lt_i16_e32 0x7f, v1
	s_xor_b32 s14, exec_lo, s14
	s_cbranch_execz .LBB46_1344
; %bb.1324:
	s_mov_b32 s13, -1
	s_mov_b32 s15, exec_lo
	v_cmpx_eq_u16_e32 0x80, v1
; %bb.1325:
	s_xor_b32 s13, exec_lo, -1
; %bb.1326:
	s_or_b32 exec_lo, exec_lo, s15
	s_delay_alu instid0(SALU_CYCLE_1)
	s_and_b32 s13, s13, exec_lo
	s_or_saveexec_b32 s14, s14
	v_mov_b32_e32 v7, 0x7f800001
	s_xor_b32 exec_lo, exec_lo, s14
	s_cbranch_execnz .LBB46_1345
.LBB46_1327:
	s_or_b32 exec_lo, exec_lo, s14
	s_and_saveexec_b32 s14, s13
	s_cbranch_execz .LBB46_1329
.LBB46_1328:
	v_and_b32_e32 v7, 0xffff, v1
	s_delay_alu instid0(VALU_DEP_1) | instskip(SKIP_1) | instid1(VALU_DEP_2)
	v_and_b32_e32 v8, 7, v7
	v_bfe_u32 v11, v7, 3, 4
	v_clz_i32_u32_e32 v9, v8
	s_delay_alu instid0(VALU_DEP_2) | instskip(NEXT) | instid1(VALU_DEP_2)
	v_cmp_eq_u32_e32 vcc_lo, 0, v11
	v_min_u32_e32 v9, 32, v9
	s_delay_alu instid0(VALU_DEP_1) | instskip(NEXT) | instid1(VALU_DEP_1)
	v_subrev_nc_u32_e32 v10, 28, v9
	v_dual_lshlrev_b32 v7, v10, v7 :: v_dual_sub_nc_u32 v9, 29, v9
	s_delay_alu instid0(VALU_DEP_1) | instskip(NEXT) | instid1(VALU_DEP_1)
	v_dual_lshlrev_b32 v1, 24, v1 :: v_dual_bitop2_b32 v7, 7, v7 bitop3:0x40
	v_dual_cndmask_b32 v7, v8, v7, vcc_lo :: v_dual_cndmask_b32 v9, v11, v9, vcc_lo
	s_delay_alu instid0(VALU_DEP_2) | instskip(NEXT) | instid1(VALU_DEP_2)
	v_and_b32_e32 v1, 0x80000000, v1
	v_lshlrev_b32_e32 v7, 20, v7
	s_delay_alu instid0(VALU_DEP_3) | instskip(NEXT) | instid1(VALU_DEP_1)
	v_lshl_add_u32 v8, v9, 23, 0x3b800000
	v_or3_b32 v7, v1, v8, v7
.LBB46_1329:
	s_or_b32 exec_lo, exec_lo, s14
.LBB46_1330:
	s_mov_b32 s13, -1
.LBB46_1331:
	s_mov_b32 s14, 0
.LBB46_1332:
	s_delay_alu instid0(SALU_CYCLE_1)
	s_and_b32 vcc_lo, exec_lo, s14
	s_cbranch_vccz .LBB46_1365
; %bb.1333:
	s_cmp_gt_i32 s0, 22
	s_cbranch_scc0 .LBB46_1343
; %bb.1334:
	s_cmp_lt_i32 s0, 24
	s_cbranch_scc1 .LBB46_1346
; %bb.1335:
	s_cmp_gt_i32 s0, 24
	s_cbranch_scc0 .LBB46_1347
; %bb.1336:
	global_load_u8 v1, v[2:3], off
	s_mov_b32 s13, exec_lo
	s_wait_loadcnt 0x0
	v_cmpx_lt_i16_e32 0x7f, v1
	s_xor_b32 s13, exec_lo, s13
	s_cbranch_execz .LBB46_1359
; %bb.1337:
	s_mov_b32 s10, -1
	s_mov_b32 s14, exec_lo
	v_cmpx_eq_u16_e32 0x80, v1
; %bb.1338:
	s_xor_b32 s10, exec_lo, -1
; %bb.1339:
	s_or_b32 exec_lo, exec_lo, s14
	s_delay_alu instid0(SALU_CYCLE_1)
	s_and_b32 s10, s10, exec_lo
	s_or_saveexec_b32 s13, s13
	v_mov_b32_e32 v7, 0x7f800001
	s_xor_b32 exec_lo, exec_lo, s13
	s_cbranch_execnz .LBB46_1360
.LBB46_1340:
	s_or_b32 exec_lo, exec_lo, s13
	s_and_saveexec_b32 s13, s10
	s_cbranch_execz .LBB46_1342
.LBB46_1341:
	v_and_b32_e32 v7, 0xffff, v1
	s_delay_alu instid0(VALU_DEP_1) | instskip(SKIP_1) | instid1(VALU_DEP_2)
	v_and_b32_e32 v8, 3, v7
	v_bfe_u32 v11, v7, 2, 5
	v_clz_i32_u32_e32 v9, v8
	s_delay_alu instid0(VALU_DEP_2) | instskip(NEXT) | instid1(VALU_DEP_2)
	v_cmp_eq_u32_e32 vcc_lo, 0, v11
	v_min_u32_e32 v9, 32, v9
	s_delay_alu instid0(VALU_DEP_1) | instskip(NEXT) | instid1(VALU_DEP_1)
	v_subrev_nc_u32_e32 v10, 29, v9
	v_dual_lshlrev_b32 v7, v10, v7 :: v_dual_sub_nc_u32 v9, 30, v9
	s_delay_alu instid0(VALU_DEP_1) | instskip(NEXT) | instid1(VALU_DEP_1)
	v_dual_lshlrev_b32 v1, 24, v1 :: v_dual_bitop2_b32 v7, 3, v7 bitop3:0x40
	v_dual_cndmask_b32 v7, v8, v7, vcc_lo :: v_dual_cndmask_b32 v9, v11, v9, vcc_lo
	s_delay_alu instid0(VALU_DEP_2) | instskip(NEXT) | instid1(VALU_DEP_2)
	v_and_b32_e32 v1, 0x80000000, v1
	v_lshlrev_b32_e32 v7, 21, v7
	s_delay_alu instid0(VALU_DEP_3) | instskip(NEXT) | instid1(VALU_DEP_1)
	v_lshl_add_u32 v8, v9, 23, 0x37800000
	v_or3_b32 v7, v1, v8, v7
.LBB46_1342:
	s_or_b32 exec_lo, exec_lo, s13
	s_mov_b32 s10, 0
	s_branch .LBB46_1348
.LBB46_1343:
	s_mov_b32 s10, -1
                                        ; implicit-def: $vgpr7
	s_branch .LBB46_1354
.LBB46_1344:
	s_or_saveexec_b32 s14, s14
	v_mov_b32_e32 v7, 0x7f800001
	s_xor_b32 exec_lo, exec_lo, s14
	s_cbranch_execz .LBB46_1327
.LBB46_1345:
	v_cmp_ne_u16_e32 vcc_lo, 0, v1
	v_mov_b32_e32 v7, 0
	s_and_not1_b32 s13, s13, exec_lo
	s_and_b32 s15, vcc_lo, exec_lo
	s_delay_alu instid0(SALU_CYCLE_1)
	s_or_b32 s13, s13, s15
	s_or_b32 exec_lo, exec_lo, s14
	s_and_saveexec_b32 s14, s13
	s_cbranch_execnz .LBB46_1328
	s_branch .LBB46_1329
.LBB46_1346:
	s_mov_b32 s10, -1
                                        ; implicit-def: $vgpr7
	s_branch .LBB46_1351
.LBB46_1347:
	s_mov_b32 s10, -1
                                        ; implicit-def: $vgpr7
.LBB46_1348:
	s_delay_alu instid0(SALU_CYCLE_1)
	s_and_b32 vcc_lo, exec_lo, s10
	s_cbranch_vccz .LBB46_1350
; %bb.1349:
	global_load_u8 v1, v[2:3], off
	s_wait_loadcnt 0x0
	v_lshlrev_b32_e32 v1, 24, v1
	s_delay_alu instid0(VALU_DEP_1) | instskip(NEXT) | instid1(VALU_DEP_1)
	v_and_b32_e32 v7, 0x7f000000, v1
	v_clz_i32_u32_e32 v8, v7
	v_cmp_ne_u32_e32 vcc_lo, 0, v7
	v_add_nc_u32_e32 v10, 0x1000000, v7
	s_delay_alu instid0(VALU_DEP_3) | instskip(NEXT) | instid1(VALU_DEP_1)
	v_min_u32_e32 v8, 32, v8
	v_sub_nc_u32_e64 v8, v8, 4 clamp
	s_delay_alu instid0(VALU_DEP_1) | instskip(NEXT) | instid1(VALU_DEP_1)
	v_dual_lshlrev_b32 v9, v8, v7 :: v_dual_lshlrev_b32 v8, 23, v8
	v_lshrrev_b32_e32 v9, 4, v9
	s_delay_alu instid0(VALU_DEP_1) | instskip(NEXT) | instid1(VALU_DEP_1)
	v_dual_sub_nc_u32 v8, v9, v8 :: v_dual_ashrrev_i32 v9, 8, v10
	v_add_nc_u32_e32 v8, 0x3c000000, v8
	s_delay_alu instid0(VALU_DEP_1) | instskip(NEXT) | instid1(VALU_DEP_1)
	v_and_or_b32 v8, 0x7f800000, v9, v8
	v_cndmask_b32_e32 v7, 0, v8, vcc_lo
	s_delay_alu instid0(VALU_DEP_1)
	v_and_or_b32 v7, 0x80000000, v1, v7
.LBB46_1350:
	s_mov_b32 s10, 0
.LBB46_1351:
	s_delay_alu instid0(SALU_CYCLE_1)
	s_and_not1_b32 vcc_lo, exec_lo, s10
	s_cbranch_vccnz .LBB46_1353
; %bb.1352:
	global_load_u8 v1, v[2:3], off
	s_wait_loadcnt 0x0
	v_lshlrev_b32_e32 v7, 25, v1
	v_lshlrev_b16 v1, 8, v1
	s_delay_alu instid0(VALU_DEP_1) | instskip(NEXT) | instid1(VALU_DEP_3)
	v_and_or_b32 v9, 0x7f00, v1, 0.5
	v_lshrrev_b32_e32 v8, 4, v7
	v_bfe_i32 v1, v1, 0, 16
	s_delay_alu instid0(VALU_DEP_3) | instskip(NEXT) | instid1(VALU_DEP_3)
	v_add_f32_e32 v9, -0.5, v9
	v_or_b32_e32 v8, 0x70000000, v8
	s_delay_alu instid0(VALU_DEP_1) | instskip(SKIP_1) | instid1(VALU_DEP_2)
	v_mul_f32_e32 v8, 0x7800000, v8
	v_cmp_gt_u32_e32 vcc_lo, 0x8000000, v7
	v_cndmask_b32_e32 v7, v8, v9, vcc_lo
	s_delay_alu instid0(VALU_DEP_1)
	v_and_or_b32 v7, 0x80000000, v1, v7
.LBB46_1353:
	s_mov_b32 s10, 0
	s_mov_b32 s13, -1
.LBB46_1354:
	s_and_not1_b32 vcc_lo, exec_lo, s10
	s_mov_b32 s10, 0
	s_cbranch_vccnz .LBB46_1365
; %bb.1355:
	s_cmp_gt_i32 s0, 14
	s_cbranch_scc0 .LBB46_1358
; %bb.1356:
	s_cmp_eq_u32 s0, 15
	s_cbranch_scc0 .LBB46_1361
; %bb.1357:
	global_load_u16 v1, v[2:3], off
	s_mov_b32 s3, 0
	s_mov_b32 s13, -1
	s_wait_loadcnt 0x0
	v_lshlrev_b32_e32 v7, 16, v1
	s_branch .LBB46_1363
.LBB46_1358:
	s_mov_b32 s10, -1
	s_branch .LBB46_1362
.LBB46_1359:
	s_or_saveexec_b32 s13, s13
	v_mov_b32_e32 v7, 0x7f800001
	s_xor_b32 exec_lo, exec_lo, s13
	s_cbranch_execz .LBB46_1340
.LBB46_1360:
	v_cmp_ne_u16_e32 vcc_lo, 0, v1
	v_mov_b32_e32 v7, 0
	s_and_not1_b32 s10, s10, exec_lo
	s_and_b32 s14, vcc_lo, exec_lo
	s_delay_alu instid0(SALU_CYCLE_1)
	s_or_b32 s10, s10, s14
	s_or_b32 exec_lo, exec_lo, s13
	s_and_saveexec_b32 s13, s10
	s_cbranch_execnz .LBB46_1341
	s_branch .LBB46_1342
.LBB46_1361:
	s_mov_b32 s3, -1
.LBB46_1362:
                                        ; implicit-def: $vgpr7
.LBB46_1363:
	s_and_b32 vcc_lo, exec_lo, s10
	s_mov_b32 s10, 0
	s_cbranch_vccz .LBB46_1365
; %bb.1364:
	s_cmp_lg_u32 s0, 11
	s_mov_b32 s10, -1
	s_cselect_b32 s3, -1, 0
.LBB46_1365:
	s_delay_alu instid0(SALU_CYCLE_1)
	s_and_b32 vcc_lo, exec_lo, s3
	s_cbranch_vccnz .LBB46_1428
; %bb.1366:
	s_and_not1_b32 vcc_lo, exec_lo, s10
	s_cbranch_vccnz .LBB46_1368
.LBB46_1367:
	global_load_u8 v1, v[2:3], off
	s_mov_b32 s13, -1
	s_wait_loadcnt 0x0
	v_cmp_ne_u16_e32 vcc_lo, 0, v1
	v_cndmask_b32_e64 v7, 0, 1.0, vcc_lo
.LBB46_1368:
	s_branch .LBB46_1295
.LBB46_1369:
	s_cmp_lt_i32 s0, 5
	s_cbranch_scc1 .LBB46_1374
; %bb.1370:
	s_cmp_lt_i32 s0, 8
	s_cbranch_scc1 .LBB46_1375
; %bb.1371:
	;; [unrolled: 3-line block ×3, first 2 shown]
	s_cmp_gt_i32 s0, 9
	s_cbranch_scc0 .LBB46_1377
; %bb.1373:
	global_load_b64 v[8:9], v[2:3], off
	s_mov_b32 s3, 0
	s_wait_loadcnt 0x0
	v_cvt_f32_f64_e32 v7, v[8:9]
	s_branch .LBB46_1378
.LBB46_1374:
	s_mov_b32 s3, -1
                                        ; implicit-def: $vgpr7
	s_branch .LBB46_1396
.LBB46_1375:
	s_mov_b32 s3, -1
                                        ; implicit-def: $vgpr7
	s_branch .LBB46_1384
.LBB46_1376:
	s_mov_b32 s3, -1
                                        ; implicit-def: $vgpr7
	s_branch .LBB46_1381
.LBB46_1377:
	s_mov_b32 s3, -1
                                        ; implicit-def: $vgpr7
.LBB46_1378:
	s_delay_alu instid0(SALU_CYCLE_1)
	s_and_not1_b32 vcc_lo, exec_lo, s3
	s_cbranch_vccnz .LBB46_1380
; %bb.1379:
	global_load_b32 v7, v[2:3], off
.LBB46_1380:
	s_mov_b32 s3, 0
.LBB46_1381:
	s_delay_alu instid0(SALU_CYCLE_1)
	s_and_not1_b32 vcc_lo, exec_lo, s3
	s_cbranch_vccnz .LBB46_1383
; %bb.1382:
	global_load_b32 v1, v[2:3], off
	s_wait_loadcnt 0x0
	v_cvt_f32_f16_e32 v7, v1
.LBB46_1383:
	s_mov_b32 s3, 0
.LBB46_1384:
	s_delay_alu instid0(SALU_CYCLE_1)
	s_and_not1_b32 vcc_lo, exec_lo, s3
	s_cbranch_vccnz .LBB46_1395
; %bb.1385:
	s_cmp_lt_i32 s0, 6
	s_cbranch_scc1 .LBB46_1388
; %bb.1386:
	s_cmp_gt_i32 s0, 6
	s_cbranch_scc0 .LBB46_1389
; %bb.1387:
	global_load_b64 v[8:9], v[2:3], off
	s_mov_b32 s3, 0
	s_wait_loadcnt 0x0
	v_cvt_f32_f64_e32 v7, v[8:9]
	s_branch .LBB46_1390
.LBB46_1388:
	s_mov_b32 s3, -1
                                        ; implicit-def: $vgpr7
	s_branch .LBB46_1393
.LBB46_1389:
	s_mov_b32 s3, -1
                                        ; implicit-def: $vgpr7
.LBB46_1390:
	s_delay_alu instid0(SALU_CYCLE_1)
	s_and_not1_b32 vcc_lo, exec_lo, s3
	s_cbranch_vccnz .LBB46_1392
; %bb.1391:
	s_wait_loadcnt 0x0
	global_load_b32 v7, v[2:3], off
.LBB46_1392:
	s_mov_b32 s3, 0
.LBB46_1393:
	s_delay_alu instid0(SALU_CYCLE_1)
	s_and_not1_b32 vcc_lo, exec_lo, s3
	s_cbranch_vccnz .LBB46_1395
; %bb.1394:
	global_load_u16 v1, v[2:3], off
	s_wait_loadcnt 0x0
	v_cvt_f32_f16_e32 v7, v1
.LBB46_1395:
	s_mov_b32 s3, 0
.LBB46_1396:
	s_delay_alu instid0(SALU_CYCLE_1)
	s_and_not1_b32 vcc_lo, exec_lo, s3
	s_cbranch_vccnz .LBB46_1416
; %bb.1397:
	s_cmp_lt_i32 s0, 2
	s_cbranch_scc1 .LBB46_1401
; %bb.1398:
	s_cmp_lt_i32 s0, 3
	s_cbranch_scc1 .LBB46_1402
; %bb.1399:
	s_cmp_gt_i32 s0, 3
	s_cbranch_scc0 .LBB46_1403
; %bb.1400:
	global_load_b64 v[8:9], v[2:3], off
	s_mov_b32 s3, 0
	s_wait_loadcnt 0x0
	v_xor_b32_e32 v1, v8, v9
	v_cls_i32_e32 v7, v9
	s_delay_alu instid0(VALU_DEP_2) | instskip(NEXT) | instid1(VALU_DEP_1)
	v_ashrrev_i32_e32 v1, 31, v1
	v_add_nc_u32_e32 v1, 32, v1
	s_delay_alu instid0(VALU_DEP_1) | instskip(NEXT) | instid1(VALU_DEP_1)
	v_add_min_u32_e64 v1, v7, -1, v1
	v_lshlrev_b64_e32 v[8:9], v1, v[8:9]
	v_sub_nc_u32_e32 v1, 32, v1
	s_delay_alu instid0(VALU_DEP_2) | instskip(NEXT) | instid1(VALU_DEP_1)
	v_min_u32_e32 v7, 1, v8
	v_or_b32_e32 v7, v9, v7
	s_delay_alu instid0(VALU_DEP_1) | instskip(NEXT) | instid1(VALU_DEP_1)
	v_cvt_f32_i32_e32 v7, v7
	v_ldexp_f32 v7, v7, v1
	s_branch .LBB46_1404
.LBB46_1401:
	s_mov_b32 s3, -1
                                        ; implicit-def: $vgpr7
	s_branch .LBB46_1410
.LBB46_1402:
	s_mov_b32 s3, -1
                                        ; implicit-def: $vgpr7
	s_branch .LBB46_1407
.LBB46_1403:
	s_mov_b32 s3, -1
                                        ; implicit-def: $vgpr7
.LBB46_1404:
	s_delay_alu instid0(SALU_CYCLE_1)
	s_and_not1_b32 vcc_lo, exec_lo, s3
	s_cbranch_vccnz .LBB46_1406
; %bb.1405:
	global_load_b32 v1, v[2:3], off
	s_wait_loadcnt 0x0
	v_cvt_f32_i32_e32 v7, v1
.LBB46_1406:
	s_mov_b32 s3, 0
.LBB46_1407:
	s_delay_alu instid0(SALU_CYCLE_1)
	s_and_not1_b32 vcc_lo, exec_lo, s3
	s_cbranch_vccnz .LBB46_1409
; %bb.1408:
	global_load_i16 v1, v[2:3], off
	s_wait_loadcnt 0x0
	v_cvt_f32_i32_e32 v7, v1
.LBB46_1409:
	s_mov_b32 s3, 0
.LBB46_1410:
	s_delay_alu instid0(SALU_CYCLE_1)
	s_and_not1_b32 vcc_lo, exec_lo, s3
	s_cbranch_vccnz .LBB46_1416
; %bb.1411:
	s_cmp_gt_i32 s0, 0
	s_mov_b32 s3, 0
	s_cbranch_scc0 .LBB46_1413
; %bb.1412:
	global_load_i8 v1, v[2:3], off
	s_wait_loadcnt 0x0
	v_cvt_f32_i32_e32 v7, v1
	s_branch .LBB46_1414
.LBB46_1413:
	s_mov_b32 s3, -1
                                        ; implicit-def: $vgpr7
.LBB46_1414:
	s_delay_alu instid0(SALU_CYCLE_1)
	s_and_not1_b32 vcc_lo, exec_lo, s3
	s_cbranch_vccnz .LBB46_1416
; %bb.1415:
	global_load_u8 v1, v[2:3], off
	s_wait_loadcnt 0x0
	v_cvt_f32_ubyte0_e32 v7, v1
.LBB46_1416:
.LBB46_1417:
	v_add_nc_u32_e32 v0, s1, v0
	s_cmp_lt_i32 s0, 11
	s_delay_alu instid0(VALU_DEP_1) | instskip(NEXT) | instid1(VALU_DEP_1)
	v_ashrrev_i32_e32 v1, 31, v0
	v_add_nc_u64_e32 v[0:1], s[6:7], v[0:1]
	s_cbranch_scc1 .LBB46_1424
; %bb.1418:
	s_cmp_gt_i32 s0, 25
	s_mov_b32 s3, 0
	s_cbranch_scc0 .LBB46_1425
; %bb.1419:
	s_cmp_gt_i32 s0, 28
	s_cbranch_scc0 .LBB46_1426
; %bb.1420:
	s_cmp_gt_i32 s0, 43
	;; [unrolled: 3-line block ×3, first 2 shown]
	s_cbranch_scc0 .LBB46_1429
; %bb.1422:
	s_cmp_eq_u32 s0, 46
	s_mov_b32 s7, 0
	s_cbranch_scc0 .LBB46_1430
; %bb.1423:
	global_load_b32 v2, v[0:1], off
	s_mov_b32 s1, 0
	s_mov_b32 s6, -1
	s_wait_loadcnt 0x0
	v_lshlrev_b32_e32 v8, 16, v2
	s_branch .LBB46_1432
.LBB46_1424:
	s_mov_b32 s1, -1
	s_mov_b32 s6, 0
                                        ; implicit-def: $vgpr8
	s_branch .LBB46_1498
.LBB46_1425:
	s_mov_b32 s7, -1
	s_mov_b32 s6, 0
	s_mov_b32 s1, 0
                                        ; implicit-def: $vgpr8
	s_branch .LBB46_1461
.LBB46_1426:
	s_mov_b32 s7, -1
	s_mov_b32 s6, 0
	s_mov_b32 s1, 0
                                        ; implicit-def: $vgpr8
	s_branch .LBB46_1442
.LBB46_1427:
	s_mov_b32 s7, -1
	s_mov_b32 s6, 0
	s_mov_b32 s1, 0
                                        ; implicit-def: $vgpr8
	s_branch .LBB46_1437
.LBB46_1428:
	s_or_b32 s9, s9, exec_lo
	s_trap 2
	s_cbranch_execz .LBB46_1367
	s_branch .LBB46_1368
.LBB46_1429:
	s_mov_b32 s7, -1
	s_mov_b32 s6, 0
	s_mov_b32 s1, 0
	s_branch .LBB46_1431
.LBB46_1430:
	s_mov_b32 s1, -1
	s_mov_b32 s6, 0
.LBB46_1431:
                                        ; implicit-def: $vgpr8
.LBB46_1432:
	s_and_b32 vcc_lo, exec_lo, s7
	s_cbranch_vccz .LBB46_1436
; %bb.1433:
	s_cmp_eq_u32 s0, 44
	s_cbranch_scc0 .LBB46_1435
; %bb.1434:
	global_load_u8 v2, v[0:1], off
	s_mov_b32 s1, 0
	s_mov_b32 s6, -1
	s_wait_loadcnt 0x0
	v_lshlrev_b32_e32 v3, 23, v2
	v_cmp_ne_u32_e32 vcc_lo, 0xff, v2
	s_delay_alu instid0(VALU_DEP_2) | instskip(SKIP_1) | instid1(VALU_DEP_2)
	v_cndmask_b32_e32 v3, 0x7f800001, v3, vcc_lo
	v_cmp_ne_u32_e32 vcc_lo, 0, v2
	v_cndmask_b32_e32 v8, 0x400000, v3, vcc_lo
	s_branch .LBB46_1436
.LBB46_1435:
	s_mov_b32 s1, -1
                                        ; implicit-def: $vgpr8
.LBB46_1436:
	s_mov_b32 s7, 0
.LBB46_1437:
	s_delay_alu instid0(SALU_CYCLE_1)
	s_and_b32 vcc_lo, exec_lo, s7
	s_cbranch_vccz .LBB46_1441
; %bb.1438:
	s_cmp_eq_u32 s0, 29
	s_cbranch_scc0 .LBB46_1440
; %bb.1439:
	global_load_b64 v[2:3], v[0:1], off
	s_mov_b32 s1, 0
	s_mov_b32 s6, -1
	s_mov_b32 s7, 0
	s_wait_loadcnt 0x0
	v_clz_i32_u32_e32 v8, v3
	s_delay_alu instid0(VALU_DEP_1) | instskip(NEXT) | instid1(VALU_DEP_1)
	v_min_u32_e32 v8, 32, v8
	v_lshlrev_b64_e32 v[2:3], v8, v[2:3]
	s_delay_alu instid0(VALU_DEP_1) | instskip(NEXT) | instid1(VALU_DEP_1)
	v_min_u32_e32 v2, 1, v2
	v_dual_sub_nc_u32 v3, 32, v8 :: v_dual_bitop2_b32 v2, v3, v2 bitop3:0x54
	s_delay_alu instid0(VALU_DEP_1) | instskip(NEXT) | instid1(VALU_DEP_1)
	v_cvt_f32_u32_e32 v2, v2
	v_ldexp_f32 v8, v2, v3
	s_branch .LBB46_1442
.LBB46_1440:
	s_mov_b32 s1, -1
                                        ; implicit-def: $vgpr8
.LBB46_1441:
	s_mov_b32 s7, 0
.LBB46_1442:
	s_delay_alu instid0(SALU_CYCLE_1)
	s_and_b32 vcc_lo, exec_lo, s7
	s_cbranch_vccz .LBB46_1460
; %bb.1443:
	s_cmp_lt_i32 s0, 27
	s_cbranch_scc1 .LBB46_1446
; %bb.1444:
	s_cmp_gt_i32 s0, 27
	s_cbranch_scc0 .LBB46_1447
; %bb.1445:
	global_load_b32 v2, v[0:1], off
	s_mov_b32 s6, 0
	s_wait_loadcnt 0x0
	v_cvt_f32_u32_e32 v8, v2
	s_branch .LBB46_1448
.LBB46_1446:
	s_mov_b32 s6, -1
                                        ; implicit-def: $vgpr8
	s_branch .LBB46_1451
.LBB46_1447:
	s_mov_b32 s6, -1
                                        ; implicit-def: $vgpr8
.LBB46_1448:
	s_delay_alu instid0(SALU_CYCLE_1)
	s_and_not1_b32 vcc_lo, exec_lo, s6
	s_cbranch_vccnz .LBB46_1450
; %bb.1449:
	global_load_u16 v2, v[0:1], off
	s_wait_loadcnt 0x0
	v_cvt_f32_u32_e32 v8, v2
.LBB46_1450:
	s_mov_b32 s6, 0
.LBB46_1451:
	s_delay_alu instid0(SALU_CYCLE_1)
	s_and_not1_b32 vcc_lo, exec_lo, s6
	s_cbranch_vccnz .LBB46_1459
; %bb.1452:
	global_load_u8 v2, v[0:1], off
	s_mov_b32 s6, 0
	s_mov_b32 s7, exec_lo
	s_wait_loadcnt 0x0
	v_cmpx_lt_i16_e32 0x7f, v2
	s_xor_b32 s7, exec_lo, s7
	s_cbranch_execz .LBB46_1473
; %bb.1453:
	s_mov_b32 s6, -1
	s_mov_b32 s10, exec_lo
	v_cmpx_eq_u16_e32 0x80, v2
; %bb.1454:
	s_xor_b32 s6, exec_lo, -1
; %bb.1455:
	s_or_b32 exec_lo, exec_lo, s10
	s_delay_alu instid0(SALU_CYCLE_1)
	s_and_b32 s6, s6, exec_lo
	s_or_saveexec_b32 s7, s7
	v_mov_b32_e32 v8, 0x7f800001
	s_xor_b32 exec_lo, exec_lo, s7
	s_cbranch_execnz .LBB46_1474
.LBB46_1456:
	s_or_b32 exec_lo, exec_lo, s7
	s_and_saveexec_b32 s7, s6
	s_cbranch_execz .LBB46_1458
.LBB46_1457:
	v_and_b32_e32 v3, 0xffff, v2
	s_delay_alu instid0(VALU_DEP_1) | instskip(SKIP_1) | instid1(VALU_DEP_2)
	v_and_b32_e32 v8, 7, v3
	v_bfe_u32 v11, v3, 3, 4
	v_clz_i32_u32_e32 v9, v8
	s_delay_alu instid0(VALU_DEP_2) | instskip(NEXT) | instid1(VALU_DEP_2)
	v_cmp_eq_u32_e32 vcc_lo, 0, v11
	v_min_u32_e32 v9, 32, v9
	s_delay_alu instid0(VALU_DEP_1) | instskip(NEXT) | instid1(VALU_DEP_1)
	v_subrev_nc_u32_e32 v10, 28, v9
	v_dual_lshlrev_b32 v3, v10, v3 :: v_dual_sub_nc_u32 v9, 29, v9
	s_delay_alu instid0(VALU_DEP_1) | instskip(NEXT) | instid1(VALU_DEP_1)
	v_dual_lshlrev_b32 v2, 24, v2 :: v_dual_bitop2_b32 v3, 7, v3 bitop3:0x40
	v_dual_cndmask_b32 v9, v11, v9, vcc_lo :: v_dual_cndmask_b32 v3, v8, v3, vcc_lo
	s_delay_alu instid0(VALU_DEP_2) | instskip(NEXT) | instid1(VALU_DEP_2)
	v_and_b32_e32 v2, 0x80000000, v2
	v_lshl_add_u32 v8, v9, 23, 0x3b800000
	s_delay_alu instid0(VALU_DEP_3) | instskip(NEXT) | instid1(VALU_DEP_1)
	v_lshlrev_b32_e32 v3, 20, v3
	v_or3_b32 v8, v2, v8, v3
.LBB46_1458:
	s_or_b32 exec_lo, exec_lo, s7
.LBB46_1459:
	s_mov_b32 s6, -1
.LBB46_1460:
	s_mov_b32 s7, 0
.LBB46_1461:
	s_delay_alu instid0(SALU_CYCLE_1)
	s_and_b32 vcc_lo, exec_lo, s7
	s_cbranch_vccz .LBB46_1494
; %bb.1462:
	s_cmp_gt_i32 s0, 22
	s_cbranch_scc0 .LBB46_1472
; %bb.1463:
	s_cmp_lt_i32 s0, 24
	s_cbranch_scc1 .LBB46_1475
; %bb.1464:
	s_cmp_gt_i32 s0, 24
	s_cbranch_scc0 .LBB46_1476
; %bb.1465:
	global_load_u8 v2, v[0:1], off
	s_mov_b32 s6, exec_lo
	s_wait_loadcnt 0x0
	v_cmpx_lt_i16_e32 0x7f, v2
	s_xor_b32 s6, exec_lo, s6
	s_cbranch_execz .LBB46_1488
; %bb.1466:
	s_mov_b32 s3, -1
	s_mov_b32 s7, exec_lo
	v_cmpx_eq_u16_e32 0x80, v2
; %bb.1467:
	s_xor_b32 s3, exec_lo, -1
; %bb.1468:
	s_or_b32 exec_lo, exec_lo, s7
	s_delay_alu instid0(SALU_CYCLE_1)
	s_and_b32 s3, s3, exec_lo
	s_or_saveexec_b32 s6, s6
	v_mov_b32_e32 v8, 0x7f800001
	s_xor_b32 exec_lo, exec_lo, s6
	s_cbranch_execnz .LBB46_1489
.LBB46_1469:
	s_or_b32 exec_lo, exec_lo, s6
	s_and_saveexec_b32 s6, s3
	s_cbranch_execz .LBB46_1471
.LBB46_1470:
	v_and_b32_e32 v3, 0xffff, v2
	s_delay_alu instid0(VALU_DEP_1) | instskip(SKIP_1) | instid1(VALU_DEP_2)
	v_and_b32_e32 v8, 3, v3
	v_bfe_u32 v11, v3, 2, 5
	v_clz_i32_u32_e32 v9, v8
	s_delay_alu instid0(VALU_DEP_2) | instskip(NEXT) | instid1(VALU_DEP_2)
	v_cmp_eq_u32_e32 vcc_lo, 0, v11
	v_min_u32_e32 v9, 32, v9
	s_delay_alu instid0(VALU_DEP_1) | instskip(NEXT) | instid1(VALU_DEP_1)
	v_subrev_nc_u32_e32 v10, 29, v9
	v_dual_lshlrev_b32 v3, v10, v3 :: v_dual_sub_nc_u32 v9, 30, v9
	s_delay_alu instid0(VALU_DEP_1) | instskip(NEXT) | instid1(VALU_DEP_1)
	v_dual_lshlrev_b32 v2, 24, v2 :: v_dual_bitop2_b32 v3, 3, v3 bitop3:0x40
	v_dual_cndmask_b32 v9, v11, v9, vcc_lo :: v_dual_cndmask_b32 v3, v8, v3, vcc_lo
	s_delay_alu instid0(VALU_DEP_2) | instskip(NEXT) | instid1(VALU_DEP_2)
	v_and_b32_e32 v2, 0x80000000, v2
	v_lshl_add_u32 v8, v9, 23, 0x37800000
	s_delay_alu instid0(VALU_DEP_3) | instskip(NEXT) | instid1(VALU_DEP_1)
	v_lshlrev_b32_e32 v3, 21, v3
	v_or3_b32 v8, v2, v8, v3
.LBB46_1471:
	s_or_b32 exec_lo, exec_lo, s6
	s_mov_b32 s3, 0
	s_branch .LBB46_1477
.LBB46_1472:
	s_mov_b32 s3, -1
                                        ; implicit-def: $vgpr8
	s_branch .LBB46_1483
.LBB46_1473:
	s_or_saveexec_b32 s7, s7
	v_mov_b32_e32 v8, 0x7f800001
	s_xor_b32 exec_lo, exec_lo, s7
	s_cbranch_execz .LBB46_1456
.LBB46_1474:
	v_cmp_ne_u16_e32 vcc_lo, 0, v2
	v_mov_b32_e32 v8, 0
	s_and_not1_b32 s6, s6, exec_lo
	s_and_b32 s10, vcc_lo, exec_lo
	s_delay_alu instid0(SALU_CYCLE_1)
	s_or_b32 s6, s6, s10
	s_or_b32 exec_lo, exec_lo, s7
	s_and_saveexec_b32 s7, s6
	s_cbranch_execnz .LBB46_1457
	s_branch .LBB46_1458
.LBB46_1475:
	s_mov_b32 s3, -1
                                        ; implicit-def: $vgpr8
	s_branch .LBB46_1480
.LBB46_1476:
	s_mov_b32 s3, -1
                                        ; implicit-def: $vgpr8
.LBB46_1477:
	s_delay_alu instid0(SALU_CYCLE_1)
	s_and_b32 vcc_lo, exec_lo, s3
	s_cbranch_vccz .LBB46_1479
; %bb.1478:
	global_load_u8 v2, v[0:1], off
	s_wait_loadcnt 0x0
	v_lshlrev_b32_e32 v2, 24, v2
	s_delay_alu instid0(VALU_DEP_1) | instskip(NEXT) | instid1(VALU_DEP_1)
	v_and_b32_e32 v3, 0x7f000000, v2
	v_clz_i32_u32_e32 v8, v3
	v_cmp_ne_u32_e32 vcc_lo, 0, v3
	v_add_nc_u32_e32 v10, 0x1000000, v3
	s_delay_alu instid0(VALU_DEP_3) | instskip(NEXT) | instid1(VALU_DEP_1)
	v_min_u32_e32 v8, 32, v8
	v_sub_nc_u32_e64 v8, v8, 4 clamp
	s_delay_alu instid0(VALU_DEP_1) | instskip(NEXT) | instid1(VALU_DEP_1)
	v_dual_lshlrev_b32 v9, v8, v3 :: v_dual_lshlrev_b32 v8, 23, v8
	v_lshrrev_b32_e32 v9, 4, v9
	s_delay_alu instid0(VALU_DEP_1) | instskip(NEXT) | instid1(VALU_DEP_1)
	v_dual_sub_nc_u32 v8, v9, v8 :: v_dual_ashrrev_i32 v9, 8, v10
	v_add_nc_u32_e32 v8, 0x3c000000, v8
	s_delay_alu instid0(VALU_DEP_1) | instskip(NEXT) | instid1(VALU_DEP_1)
	v_and_or_b32 v8, 0x7f800000, v9, v8
	v_cndmask_b32_e32 v3, 0, v8, vcc_lo
	s_delay_alu instid0(VALU_DEP_1)
	v_and_or_b32 v8, 0x80000000, v2, v3
.LBB46_1479:
	s_mov_b32 s3, 0
.LBB46_1480:
	s_delay_alu instid0(SALU_CYCLE_1)
	s_and_not1_b32 vcc_lo, exec_lo, s3
	s_cbranch_vccnz .LBB46_1482
; %bb.1481:
	global_load_u8 v2, v[0:1], off
	s_wait_loadcnt 0x0
	v_lshlrev_b32_e32 v3, 25, v2
	v_lshlrev_b16 v2, 8, v2
	s_delay_alu instid0(VALU_DEP_1) | instskip(SKIP_1) | instid1(VALU_DEP_2)
	v_and_or_b32 v9, 0x7f00, v2, 0.5
	v_bfe_i32 v2, v2, 0, 16
	v_dual_add_f32 v9, -0.5, v9 :: v_dual_lshrrev_b32 v8, 4, v3
	v_cmp_gt_u32_e32 vcc_lo, 0x8000000, v3
	s_delay_alu instid0(VALU_DEP_2) | instskip(NEXT) | instid1(VALU_DEP_1)
	v_or_b32_e32 v8, 0x70000000, v8
	v_mul_f32_e32 v8, 0x7800000, v8
	s_delay_alu instid0(VALU_DEP_1) | instskip(NEXT) | instid1(VALU_DEP_1)
	v_cndmask_b32_e32 v3, v8, v9, vcc_lo
	v_and_or_b32 v8, 0x80000000, v2, v3
.LBB46_1482:
	s_mov_b32 s3, 0
	s_mov_b32 s6, -1
.LBB46_1483:
	s_and_not1_b32 vcc_lo, exec_lo, s3
	s_mov_b32 s3, 0
	s_cbranch_vccnz .LBB46_1494
; %bb.1484:
	s_cmp_gt_i32 s0, 14
	s_cbranch_scc0 .LBB46_1487
; %bb.1485:
	s_cmp_eq_u32 s0, 15
	s_cbranch_scc0 .LBB46_1490
; %bb.1486:
	global_load_u16 v2, v[0:1], off
	s_mov_b32 s1, 0
	s_mov_b32 s6, -1
	s_wait_loadcnt 0x0
	v_lshlrev_b32_e32 v8, 16, v2
	s_branch .LBB46_1492
.LBB46_1487:
	s_mov_b32 s3, -1
	s_branch .LBB46_1491
.LBB46_1488:
	s_or_saveexec_b32 s6, s6
	v_mov_b32_e32 v8, 0x7f800001
	s_xor_b32 exec_lo, exec_lo, s6
	s_cbranch_execz .LBB46_1469
.LBB46_1489:
	v_cmp_ne_u16_e32 vcc_lo, 0, v2
	v_mov_b32_e32 v8, 0
	s_and_not1_b32 s3, s3, exec_lo
	s_and_b32 s7, vcc_lo, exec_lo
	s_delay_alu instid0(SALU_CYCLE_1)
	s_or_b32 s3, s3, s7
	s_or_b32 exec_lo, exec_lo, s6
	s_and_saveexec_b32 s6, s3
	s_cbranch_execnz .LBB46_1470
	s_branch .LBB46_1471
.LBB46_1490:
	s_mov_b32 s1, -1
.LBB46_1491:
                                        ; implicit-def: $vgpr8
.LBB46_1492:
	s_and_b32 vcc_lo, exec_lo, s3
	s_mov_b32 s3, 0
	s_cbranch_vccz .LBB46_1494
; %bb.1493:
	s_cmp_lg_u32 s0, 11
	s_mov_b32 s3, -1
	s_cselect_b32 s1, -1, 0
.LBB46_1494:
	s_delay_alu instid0(SALU_CYCLE_1)
	s_and_b32 vcc_lo, exec_lo, s1
	s_cbranch_vccnz .LBB46_2027
; %bb.1495:
	s_and_not1_b32 vcc_lo, exec_lo, s3
	s_cbranch_vccnz .LBB46_1497
.LBB46_1496:
	global_load_u8 v2, v[0:1], off
	s_mov_b32 s6, -1
	s_wait_loadcnt 0x0
	v_cmp_ne_u16_e32 vcc_lo, 0, v2
	v_cndmask_b32_e64 v8, 0, 1.0, vcc_lo
.LBB46_1497:
	s_mov_b32 s1, 0
.LBB46_1498:
	s_delay_alu instid0(SALU_CYCLE_1)
	s_and_b32 vcc_lo, exec_lo, s1
	s_cbranch_vccz .LBB46_1547
; %bb.1499:
	s_cmp_lt_i32 s0, 5
	s_cbranch_scc1 .LBB46_1504
; %bb.1500:
	s_cmp_lt_i32 s0, 8
	s_cbranch_scc1 .LBB46_1505
	;; [unrolled: 3-line block ×3, first 2 shown]
; %bb.1502:
	s_cmp_gt_i32 s0, 9
	s_cbranch_scc0 .LBB46_1507
; %bb.1503:
	global_load_b64 v[2:3], v[0:1], off
	s_mov_b32 s1, 0
	s_wait_loadcnt 0x0
	v_cvt_f32_f64_e32 v8, v[2:3]
	s_branch .LBB46_1508
.LBB46_1504:
	s_mov_b32 s1, -1
                                        ; implicit-def: $vgpr8
	s_branch .LBB46_1526
.LBB46_1505:
	s_mov_b32 s1, -1
                                        ; implicit-def: $vgpr8
	s_branch .LBB46_1514
.LBB46_1506:
	s_mov_b32 s1, -1
                                        ; implicit-def: $vgpr8
	s_branch .LBB46_1511
.LBB46_1507:
	s_mov_b32 s1, -1
                                        ; implicit-def: $vgpr8
.LBB46_1508:
	s_delay_alu instid0(SALU_CYCLE_1)
	s_and_not1_b32 vcc_lo, exec_lo, s1
	s_cbranch_vccnz .LBB46_1510
; %bb.1509:
	global_load_b32 v8, v[0:1], off
.LBB46_1510:
	s_mov_b32 s1, 0
.LBB46_1511:
	s_delay_alu instid0(SALU_CYCLE_1)
	s_and_not1_b32 vcc_lo, exec_lo, s1
	s_cbranch_vccnz .LBB46_1513
; %bb.1512:
	global_load_b32 v2, v[0:1], off
	s_wait_loadcnt 0x0
	v_cvt_f32_f16_e32 v8, v2
.LBB46_1513:
	s_mov_b32 s1, 0
.LBB46_1514:
	s_delay_alu instid0(SALU_CYCLE_1)
	s_and_not1_b32 vcc_lo, exec_lo, s1
	s_cbranch_vccnz .LBB46_1525
; %bb.1515:
	s_cmp_lt_i32 s0, 6
	s_cbranch_scc1 .LBB46_1518
; %bb.1516:
	s_cmp_gt_i32 s0, 6
	s_cbranch_scc0 .LBB46_1519
; %bb.1517:
	global_load_b64 v[2:3], v[0:1], off
	s_mov_b32 s1, 0
	s_wait_loadcnt 0x0
	v_cvt_f32_f64_e32 v8, v[2:3]
	s_branch .LBB46_1520
.LBB46_1518:
	s_mov_b32 s1, -1
                                        ; implicit-def: $vgpr8
	s_branch .LBB46_1523
.LBB46_1519:
	s_mov_b32 s1, -1
                                        ; implicit-def: $vgpr8
.LBB46_1520:
	s_delay_alu instid0(SALU_CYCLE_1)
	s_and_not1_b32 vcc_lo, exec_lo, s1
	s_cbranch_vccnz .LBB46_1522
; %bb.1521:
	s_wait_loadcnt 0x0
	global_load_b32 v8, v[0:1], off
.LBB46_1522:
	s_mov_b32 s1, 0
.LBB46_1523:
	s_delay_alu instid0(SALU_CYCLE_1)
	s_and_not1_b32 vcc_lo, exec_lo, s1
	s_cbranch_vccnz .LBB46_1525
; %bb.1524:
	global_load_u16 v2, v[0:1], off
	s_wait_loadcnt 0x0
	v_cvt_f32_f16_e32 v8, v2
.LBB46_1525:
	s_mov_b32 s1, 0
.LBB46_1526:
	s_delay_alu instid0(SALU_CYCLE_1)
	s_and_not1_b32 vcc_lo, exec_lo, s1
	s_cbranch_vccnz .LBB46_1546
; %bb.1527:
	s_cmp_lt_i32 s0, 2
	s_cbranch_scc1 .LBB46_1531
; %bb.1528:
	s_cmp_lt_i32 s0, 3
	s_cbranch_scc1 .LBB46_1532
; %bb.1529:
	s_cmp_gt_i32 s0, 3
	s_cbranch_scc0 .LBB46_1533
; %bb.1530:
	global_load_b64 v[2:3], v[0:1], off
	s_mov_b32 s1, 0
	s_wait_loadcnt 0x0
	v_xor_b32_e32 v8, v2, v3
	v_cls_i32_e32 v9, v3
	s_delay_alu instid0(VALU_DEP_2) | instskip(NEXT) | instid1(VALU_DEP_1)
	v_ashrrev_i32_e32 v8, 31, v8
	v_add_nc_u32_e32 v8, 32, v8
	s_delay_alu instid0(VALU_DEP_1) | instskip(NEXT) | instid1(VALU_DEP_1)
	v_add_min_u32_e64 v8, v9, -1, v8
	v_lshlrev_b64_e32 v[2:3], v8, v[2:3]
	s_delay_alu instid0(VALU_DEP_1) | instskip(NEXT) | instid1(VALU_DEP_1)
	v_min_u32_e32 v2, 1, v2
	v_dual_sub_nc_u32 v3, 32, v8 :: v_dual_bitop2_b32 v2, v3, v2 bitop3:0x54
	s_delay_alu instid0(VALU_DEP_1) | instskip(NEXT) | instid1(VALU_DEP_1)
	v_cvt_f32_i32_e32 v2, v2
	v_ldexp_f32 v8, v2, v3
	s_branch .LBB46_1534
.LBB46_1531:
	s_mov_b32 s1, -1
                                        ; implicit-def: $vgpr8
	s_branch .LBB46_1540
.LBB46_1532:
	s_mov_b32 s1, -1
                                        ; implicit-def: $vgpr8
	s_branch .LBB46_1537
.LBB46_1533:
	s_mov_b32 s1, -1
                                        ; implicit-def: $vgpr8
.LBB46_1534:
	s_delay_alu instid0(SALU_CYCLE_1)
	s_and_not1_b32 vcc_lo, exec_lo, s1
	s_cbranch_vccnz .LBB46_1536
; %bb.1535:
	global_load_b32 v2, v[0:1], off
	s_wait_loadcnt 0x0
	v_cvt_f32_i32_e32 v8, v2
.LBB46_1536:
	s_mov_b32 s1, 0
.LBB46_1537:
	s_delay_alu instid0(SALU_CYCLE_1)
	s_and_not1_b32 vcc_lo, exec_lo, s1
	s_cbranch_vccnz .LBB46_1539
; %bb.1538:
	global_load_i16 v2, v[0:1], off
	s_wait_loadcnt 0x0
	v_cvt_f32_i32_e32 v8, v2
.LBB46_1539:
	s_mov_b32 s1, 0
.LBB46_1540:
	s_delay_alu instid0(SALU_CYCLE_1)
	s_and_not1_b32 vcc_lo, exec_lo, s1
	s_cbranch_vccnz .LBB46_1546
; %bb.1541:
	s_cmp_gt_i32 s0, 0
	s_mov_b32 s0, 0
	s_cbranch_scc0 .LBB46_1543
; %bb.1542:
	global_load_i8 v2, v[0:1], off
	s_wait_loadcnt 0x0
	v_cvt_f32_i32_e32 v8, v2
	s_branch .LBB46_1544
.LBB46_1543:
	s_mov_b32 s0, -1
                                        ; implicit-def: $vgpr8
.LBB46_1544:
	s_delay_alu instid0(SALU_CYCLE_1)
	s_and_not1_b32 vcc_lo, exec_lo, s0
	s_cbranch_vccnz .LBB46_1546
; %bb.1545:
	global_load_u8 v0, v[0:1], off
	s_wait_loadcnt 0x0
	v_cvt_f32_ubyte0_e32 v8, v0
.LBB46_1546:
	s_mov_b32 s6, -1
.LBB46_1547:
	s_delay_alu instid0(SALU_CYCLE_1)
	s_and_not1_b32 vcc_lo, exec_lo, s6
	s_cbranch_vccnz .LBB46_1981
; %bb.1548:
	s_wait_xcnt 0x0
	v_mul_lo_u32 v0, s2, v4
	s_wait_loadcnt 0x0
	v_cmp_eq_f32_e64 s0, 0x7f800000, v5
	s_and_b32 s13, s8, 0xff
	s_delay_alu instid0(SALU_CYCLE_1) | instskip(SKIP_1) | instid1(VALU_DEP_1)
	s_cmp_lt_i32 s13, 11
	v_ashrrev_i32_e32 v1, 31, v0
	v_add_nc_u64_e32 v[2:3], s[4:5], v[0:1]
	s_cbranch_scc1 .LBB46_1626
; %bb.1549:
	s_and_b32 s3, 0xffff, s13
	s_mov_b32 s8, -1
	s_mov_b32 s6, 0
	s_cmp_gt_i32 s3, 25
	s_mov_b32 s7, 0
	s_mov_b32 s1, 0
	s_cbranch_scc0 .LBB46_1582
; %bb.1550:
	s_cmp_gt_i32 s3, 28
	s_cbranch_scc0 .LBB46_1565
; %bb.1551:
	s_cmp_gt_i32 s3, 43
	;; [unrolled: 3-line block ×3, first 2 shown]
	s_cbranch_scc0 .LBB46_1555
; %bb.1553:
	s_mov_b32 s1, -1
	s_mov_b32 s8, 0
	s_cmp_eq_u32 s3, 46
	s_cbranch_scc0 .LBB46_1555
; %bb.1554:
	v_cndmask_b32_e64 v1, 0, 1.0, s0
	s_mov_b32 s1, 0
	s_mov_b32 s7, -1
	s_delay_alu instid0(VALU_DEP_1) | instskip(NEXT) | instid1(VALU_DEP_1)
	v_bfe_u32 v4, v1, 16, 1
	v_add3_u32 v1, v1, v4, 0x7fff
	s_delay_alu instid0(VALU_DEP_1)
	v_lshrrev_b32_e32 v1, 16, v1
	global_store_b32 v[2:3], v1, off
.LBB46_1555:
	s_and_b32 vcc_lo, exec_lo, s8
	s_cbranch_vccz .LBB46_1560
; %bb.1556:
	s_cmp_eq_u32 s3, 44
	s_mov_b32 s1, -1
	s_cbranch_scc0 .LBB46_1560
; %bb.1557:
	v_cndmask_b32_e64 v5, 0, 1.0, s0
	s_mov_b32 s7, exec_lo
	s_wait_xcnt 0x0
	s_delay_alu instid0(VALU_DEP_1) | instskip(NEXT) | instid1(VALU_DEP_1)
	v_dual_mov_b32 v4, 0xff :: v_dual_lshrrev_b32 v1, 23, v5
	v_cmpx_ne_u32_e32 0xff, v1
; %bb.1558:
	v_and_b32_e32 v4, 0x400000, v5
	v_and_or_b32 v5, 0x3fffff, v5, v1
	s_delay_alu instid0(VALU_DEP_2) | instskip(NEXT) | instid1(VALU_DEP_2)
	v_cmp_ne_u32_e32 vcc_lo, 0, v4
	v_cmp_ne_u32_e64 s1, 0, v5
	s_and_b32 s1, vcc_lo, s1
	s_delay_alu instid0(SALU_CYCLE_1) | instskip(NEXT) | instid1(VALU_DEP_1)
	v_cndmask_b32_e64 v4, 0, 1, s1
	v_add_nc_u32_e32 v4, v1, v4
; %bb.1559:
	s_or_b32 exec_lo, exec_lo, s7
	s_mov_b32 s1, 0
	s_mov_b32 s7, -1
	global_store_b8 v[2:3], v4, off
.LBB46_1560:
	s_mov_b32 s8, 0
.LBB46_1561:
	s_delay_alu instid0(SALU_CYCLE_1)
	s_and_b32 vcc_lo, exec_lo, s8
	s_cbranch_vccz .LBB46_1564
; %bb.1562:
	s_cmp_eq_u32 s3, 29
	s_mov_b32 s1, -1
	s_cbranch_scc0 .LBB46_1564
; %bb.1563:
	s_mov_b32 s1, 0
	s_wait_xcnt 0x0
	v_cndmask_b32_e64 v4, 0, 1, s0
	v_mov_b32_e32 v5, s1
	s_mov_b32 s7, -1
	global_store_b64 v[2:3], v[4:5], off
.LBB46_1564:
	s_mov_b32 s8, 0
.LBB46_1565:
	s_delay_alu instid0(SALU_CYCLE_1)
	s_and_b32 vcc_lo, exec_lo, s8
	s_cbranch_vccz .LBB46_1581
; %bb.1566:
	s_cmp_lt_i32 s3, 27
	s_mov_b32 s7, -1
	s_cbranch_scc1 .LBB46_1572
; %bb.1567:
	s_cmp_gt_i32 s3, 27
	s_cbranch_scc0 .LBB46_1569
; %bb.1568:
	s_wait_xcnt 0x0
	v_cndmask_b32_e64 v1, 0, 1, s0
	s_mov_b32 s7, 0
	global_store_b32 v[2:3], v1, off
.LBB46_1569:
	s_and_not1_b32 vcc_lo, exec_lo, s7
	s_cbranch_vccnz .LBB46_1571
; %bb.1570:
	s_wait_xcnt 0x0
	v_cndmask_b32_e64 v1, 0, 1, s0
	global_store_b16 v[2:3], v1, off
.LBB46_1571:
	s_mov_b32 s7, 0
.LBB46_1572:
	s_delay_alu instid0(SALU_CYCLE_1)
	s_and_not1_b32 vcc_lo, exec_lo, s7
	s_cbranch_vccnz .LBB46_1580
; %bb.1573:
	s_wait_xcnt 0x0
	v_cndmask_b32_e64 v4, 0, 1.0, s0
	v_mov_b32_e32 v5, 0x80
	s_mov_b32 s7, exec_lo
	s_delay_alu instid0(VALU_DEP_2)
	v_cmpx_gt_u32_e32 0x43800000, v4
	s_cbranch_execz .LBB46_1579
; %bb.1574:
	s_mov_b32 s8, 0
	s_mov_b32 s10, exec_lo
                                        ; implicit-def: $vgpr1
	v_cmpx_lt_u32_e32 0x3bffffff, v4
	s_xor_b32 s10, exec_lo, s10
	s_cbranch_execz .LBB46_2028
; %bb.1575:
	v_bfe_u32 v1, v4, 20, 1
	s_mov_b32 s8, exec_lo
	s_delay_alu instid0(VALU_DEP_1) | instskip(NEXT) | instid1(VALU_DEP_1)
	v_add3_u32 v1, v4, v1, 0x487ffff
                                        ; implicit-def: $vgpr4
	v_lshrrev_b32_e32 v1, 20, v1
	s_and_not1_saveexec_b32 s10, s10
	s_cbranch_execnz .LBB46_2029
.LBB46_1576:
	s_or_b32 exec_lo, exec_lo, s10
	v_mov_b32_e32 v5, 0
	s_and_saveexec_b32 s10, s8
.LBB46_1577:
	v_mov_b32_e32 v5, v1
.LBB46_1578:
	s_or_b32 exec_lo, exec_lo, s10
.LBB46_1579:
	s_delay_alu instid0(SALU_CYCLE_1)
	s_or_b32 exec_lo, exec_lo, s7
	global_store_b8 v[2:3], v5, off
.LBB46_1580:
	s_mov_b32 s7, -1
.LBB46_1581:
	s_mov_b32 s8, 0
.LBB46_1582:
	s_delay_alu instid0(SALU_CYCLE_1)
	s_and_b32 vcc_lo, exec_lo, s8
	s_cbranch_vccz .LBB46_1622
; %bb.1583:
	s_cmp_gt_i32 s3, 22
	s_mov_b32 s6, -1
	s_cbranch_scc0 .LBB46_1615
; %bb.1584:
	s_cmp_lt_i32 s3, 24
	s_cbranch_scc1 .LBB46_1604
; %bb.1585:
	s_cmp_gt_i32 s3, 24
	s_cbranch_scc0 .LBB46_1593
; %bb.1586:
	s_wait_xcnt 0x0
	v_cndmask_b32_e64 v4, 0, 1.0, s0
	v_mov_b32_e32 v5, 0x80
	s_mov_b32 s6, exec_lo
	s_delay_alu instid0(VALU_DEP_2)
	v_cmpx_gt_u32_e32 0x47800000, v4
	s_cbranch_execz .LBB46_1592
; %bb.1587:
	s_mov_b32 s7, 0
	s_mov_b32 s8, exec_lo
                                        ; implicit-def: $vgpr1
	v_cmpx_lt_u32_e32 0x37ffffff, v4
	s_xor_b32 s8, exec_lo, s8
	s_cbranch_execz .LBB46_2031
; %bb.1588:
	v_bfe_u32 v1, v4, 21, 1
	s_mov_b32 s7, exec_lo
	s_delay_alu instid0(VALU_DEP_1) | instskip(NEXT) | instid1(VALU_DEP_1)
	v_add3_u32 v1, v4, v1, 0x88fffff
                                        ; implicit-def: $vgpr4
	v_lshrrev_b32_e32 v1, 21, v1
	s_and_not1_saveexec_b32 s8, s8
	s_cbranch_execnz .LBB46_2032
.LBB46_1589:
	s_or_b32 exec_lo, exec_lo, s8
	v_mov_b32_e32 v5, 0
	s_and_saveexec_b32 s8, s7
.LBB46_1590:
	v_mov_b32_e32 v5, v1
.LBB46_1591:
	s_or_b32 exec_lo, exec_lo, s8
.LBB46_1592:
	s_delay_alu instid0(SALU_CYCLE_1)
	s_or_b32 exec_lo, exec_lo, s6
	s_mov_b32 s6, 0
	global_store_b8 v[2:3], v5, off
.LBB46_1593:
	s_and_b32 vcc_lo, exec_lo, s6
	s_cbranch_vccz .LBB46_1603
; %bb.1594:
	s_wait_xcnt 0x0
	v_cndmask_b32_e64 v4, 0, 1.0, s0
	s_mov_b32 s6, exec_lo
                                        ; implicit-def: $vgpr1
	s_delay_alu instid0(VALU_DEP_1)
	v_cmpx_gt_u32_e32 0x43f00000, v4
	s_xor_b32 s6, exec_lo, s6
	s_cbranch_execz .LBB46_1600
; %bb.1595:
	s_mov_b32 s7, exec_lo
                                        ; implicit-def: $vgpr1
	v_cmpx_lt_u32_e32 0x3c7fffff, v4
	s_xor_b32 s7, exec_lo, s7
; %bb.1596:
	v_bfe_u32 v1, v4, 20, 1
	s_delay_alu instid0(VALU_DEP_1) | instskip(NEXT) | instid1(VALU_DEP_1)
	v_add3_u32 v1, v4, v1, 0x407ffff
	v_and_b32_e32 v4, 0xff00000, v1
	v_lshrrev_b32_e32 v1, 20, v1
	s_delay_alu instid0(VALU_DEP_2) | instskip(NEXT) | instid1(VALU_DEP_2)
	v_cmp_ne_u32_e32 vcc_lo, 0x7f00000, v4
                                        ; implicit-def: $vgpr4
	v_cndmask_b32_e32 v1, 0x7e, v1, vcc_lo
; %bb.1597:
	s_and_not1_saveexec_b32 s7, s7
; %bb.1598:
	v_add_f32_e32 v1, 0x46800000, v4
; %bb.1599:
	s_or_b32 exec_lo, exec_lo, s7
                                        ; implicit-def: $vgpr4
.LBB46_1600:
	s_and_not1_saveexec_b32 s6, s6
; %bb.1601:
	v_mov_b32_e32 v1, 0x7f
	v_cmp_lt_u32_e32 vcc_lo, 0x7f800000, v4
	s_delay_alu instid0(VALU_DEP_2)
	v_cndmask_b32_e32 v1, 0x7e, v1, vcc_lo
; %bb.1602:
	s_or_b32 exec_lo, exec_lo, s6
	global_store_b8 v[2:3], v1, off
.LBB46_1603:
	s_mov_b32 s6, 0
.LBB46_1604:
	s_delay_alu instid0(SALU_CYCLE_1)
	s_and_not1_b32 vcc_lo, exec_lo, s6
	s_cbranch_vccnz .LBB46_1614
; %bb.1605:
	s_wait_xcnt 0x0
	v_cndmask_b32_e64 v4, 0, 1.0, s0
	s_mov_b32 s6, exec_lo
                                        ; implicit-def: $vgpr1
	s_delay_alu instid0(VALU_DEP_1)
	v_cmpx_gt_u32_e32 0x47800000, v4
	s_xor_b32 s6, exec_lo, s6
	s_cbranch_execz .LBB46_1611
; %bb.1606:
	s_mov_b32 s7, exec_lo
                                        ; implicit-def: $vgpr1
	v_cmpx_lt_u32_e32 0x387fffff, v4
	s_xor_b32 s7, exec_lo, s7
; %bb.1607:
	v_bfe_u32 v1, v4, 21, 1
	s_delay_alu instid0(VALU_DEP_1) | instskip(NEXT) | instid1(VALU_DEP_1)
	v_add3_u32 v1, v4, v1, 0x80fffff
                                        ; implicit-def: $vgpr4
	v_lshrrev_b32_e32 v1, 21, v1
; %bb.1608:
	s_and_not1_saveexec_b32 s7, s7
; %bb.1609:
	v_add_f32_e32 v1, 0x43000000, v4
; %bb.1610:
	s_or_b32 exec_lo, exec_lo, s7
                                        ; implicit-def: $vgpr4
.LBB46_1611:
	s_and_not1_saveexec_b32 s6, s6
; %bb.1612:
	v_mov_b32_e32 v1, 0x7f
	v_cmp_lt_u32_e32 vcc_lo, 0x7f800000, v4
	s_delay_alu instid0(VALU_DEP_2)
	v_cndmask_b32_e32 v1, 0x7c, v1, vcc_lo
; %bb.1613:
	s_or_b32 exec_lo, exec_lo, s6
	global_store_b8 v[2:3], v1, off
.LBB46_1614:
	s_mov_b32 s6, 0
	s_mov_b32 s7, -1
.LBB46_1615:
	s_and_not1_b32 vcc_lo, exec_lo, s6
	s_mov_b32 s6, 0
	s_cbranch_vccnz .LBB46_1622
; %bb.1616:
	s_cmp_gt_i32 s3, 14
	s_mov_b32 s6, -1
	s_cbranch_scc0 .LBB46_1620
; %bb.1617:
	s_cmp_eq_u32 s3, 15
	s_mov_b32 s1, -1
	s_cbranch_scc0 .LBB46_1619
; %bb.1618:
	s_wait_xcnt 0x0
	v_cndmask_b32_e64 v1, 0, 1.0, s0
	s_mov_b32 s1, 0
	s_mov_b32 s7, -1
	s_delay_alu instid0(VALU_DEP_1) | instskip(NEXT) | instid1(VALU_DEP_1)
	v_bfe_u32 v4, v1, 16, 1
	v_add3_u32 v1, v1, v4, 0x7fff
	global_store_d16_hi_b16 v[2:3], v1, off
.LBB46_1619:
	s_mov_b32 s6, 0
.LBB46_1620:
	s_delay_alu instid0(SALU_CYCLE_1)
	s_and_b32 vcc_lo, exec_lo, s6
	s_mov_b32 s6, 0
	s_cbranch_vccz .LBB46_1622
; %bb.1621:
	s_cmp_lg_u32 s3, 11
	s_mov_b32 s6, -1
	s_cselect_b32 s1, -1, 0
.LBB46_1622:
	s_delay_alu instid0(SALU_CYCLE_1)
	s_and_b32 vcc_lo, exec_lo, s1
	s_cbranch_vccnz .LBB46_2030
; %bb.1623:
	s_and_not1_b32 vcc_lo, exec_lo, s6
	s_cbranch_vccnz .LBB46_1625
.LBB46_1624:
	s_wait_xcnt 0x0
	v_cndmask_b32_e64 v1, 0, 1, s0
	s_mov_b32 s7, -1
	global_store_b8 v[2:3], v1, off
.LBB46_1625:
	s_mov_b32 s1, 0
	s_branch .LBB46_1627
.LBB46_1626:
	s_mov_b32 s1, -1
	s_mov_b32 s7, 0
.LBB46_1627:
	s_and_b32 vcc_lo, exec_lo, s1
	s_cbranch_vccz .LBB46_1666
; %bb.1628:
	s_and_b32 s1, 0xffff, s13
	s_mov_b32 s3, -1
	s_cmp_lt_i32 s1, 5
	s_cbranch_scc1 .LBB46_1649
; %bb.1629:
	s_cmp_lt_i32 s1, 8
	s_cbranch_scc1 .LBB46_1639
; %bb.1630:
	;; [unrolled: 3-line block ×3, first 2 shown]
	s_cmp_gt_i32 s1, 9
	s_cbranch_scc0 .LBB46_1633
; %bb.1632:
	s_wait_xcnt 0x0
	v_cndmask_b32_e64 v1, 0, 1, s0
	v_mov_b32_e32 v12, 0
	s_mov_b32 s3, 0
	s_delay_alu instid0(VALU_DEP_2) | instskip(NEXT) | instid1(VALU_DEP_2)
	v_cvt_f64_u32_e32 v[10:11], v1
	v_mov_b32_e32 v13, v12
	global_store_b128 v[2:3], v[10:13], off
.LBB46_1633:
	s_and_not1_b32 vcc_lo, exec_lo, s3
	s_cbranch_vccnz .LBB46_1635
; %bb.1634:
	s_wait_xcnt 0x0
	v_cndmask_b32_e64 v4, 0, 1.0, s0
	v_mov_b32_e32 v5, 0
	global_store_b64 v[2:3], v[4:5], off
.LBB46_1635:
	s_mov_b32 s3, 0
.LBB46_1636:
	s_delay_alu instid0(SALU_CYCLE_1)
	s_and_not1_b32 vcc_lo, exec_lo, s3
	s_cbranch_vccnz .LBB46_1638
; %bb.1637:
	s_wait_xcnt 0x0
	v_cndmask_b32_e64 v1, 0, 1.0, s0
	s_delay_alu instid0(VALU_DEP_1) | instskip(NEXT) | instid1(VALU_DEP_1)
	v_cvt_f16_f32_e32 v1, v1
	v_and_b32_e32 v1, 0xffff, v1
	global_store_b32 v[2:3], v1, off
.LBB46_1638:
	s_mov_b32 s3, 0
.LBB46_1639:
	s_delay_alu instid0(SALU_CYCLE_1)
	s_and_not1_b32 vcc_lo, exec_lo, s3
	s_cbranch_vccnz .LBB46_1648
; %bb.1640:
	s_cmp_lt_i32 s1, 6
	s_mov_b32 s3, -1
	s_cbranch_scc1 .LBB46_1646
; %bb.1641:
	s_cmp_gt_i32 s1, 6
	s_cbranch_scc0 .LBB46_1643
; %bb.1642:
	s_wait_xcnt 0x0
	v_cndmask_b32_e64 v1, 0, 1, s0
	s_mov_b32 s3, 0
	s_delay_alu instid0(VALU_DEP_1)
	v_cvt_f64_u32_e32 v[4:5], v1
	global_store_b64 v[2:3], v[4:5], off
.LBB46_1643:
	s_and_not1_b32 vcc_lo, exec_lo, s3
	s_cbranch_vccnz .LBB46_1645
; %bb.1644:
	s_wait_xcnt 0x0
	v_cndmask_b32_e64 v1, 0, 1.0, s0
	global_store_b32 v[2:3], v1, off
.LBB46_1645:
	s_mov_b32 s3, 0
.LBB46_1646:
	s_delay_alu instid0(SALU_CYCLE_1)
	s_and_not1_b32 vcc_lo, exec_lo, s3
	s_cbranch_vccnz .LBB46_1648
; %bb.1647:
	s_wait_xcnt 0x0
	v_cndmask_b32_e64 v1, 0, 1.0, s0
	s_delay_alu instid0(VALU_DEP_1)
	v_cvt_f16_f32_e32 v1, v1
	global_store_b16 v[2:3], v1, off
.LBB46_1648:
	s_mov_b32 s3, 0
.LBB46_1649:
	s_delay_alu instid0(SALU_CYCLE_1)
	s_and_not1_b32 vcc_lo, exec_lo, s3
	s_cbranch_vccnz .LBB46_1665
; %bb.1650:
	s_cmp_lt_i32 s1, 2
	s_mov_b32 s3, -1
	s_cbranch_scc1 .LBB46_1660
; %bb.1651:
	s_cmp_lt_i32 s1, 3
	s_cbranch_scc1 .LBB46_1657
; %bb.1652:
	s_cmp_gt_i32 s1, 3
	s_cbranch_scc0 .LBB46_1654
; %bb.1653:
	s_mov_b32 s3, 0
	s_wait_xcnt 0x0
	v_cndmask_b32_e64 v4, 0, 1, s0
	v_mov_b32_e32 v5, s3
	global_store_b64 v[2:3], v[4:5], off
.LBB46_1654:
	s_and_not1_b32 vcc_lo, exec_lo, s3
	s_cbranch_vccnz .LBB46_1656
; %bb.1655:
	s_wait_xcnt 0x0
	v_cndmask_b32_e64 v1, 0, 1, s0
	global_store_b32 v[2:3], v1, off
.LBB46_1656:
	s_mov_b32 s3, 0
.LBB46_1657:
	s_delay_alu instid0(SALU_CYCLE_1)
	s_and_not1_b32 vcc_lo, exec_lo, s3
	s_cbranch_vccnz .LBB46_1659
; %bb.1658:
	s_wait_xcnt 0x0
	v_cndmask_b32_e64 v1, 0, 1, s0
	global_store_b16 v[2:3], v1, off
.LBB46_1659:
	s_mov_b32 s3, 0
.LBB46_1660:
	s_delay_alu instid0(SALU_CYCLE_1)
	s_and_not1_b32 vcc_lo, exec_lo, s3
	s_cbranch_vccnz .LBB46_1665
; %bb.1661:
	s_wait_xcnt 0x0
	v_cndmask_b32_e64 v1, 0, 1, s0
	s_cmp_gt_i32 s1, 0
	s_mov_b32 s0, -1
	s_cbranch_scc0 .LBB46_1663
; %bb.1662:
	s_mov_b32 s0, 0
	global_store_b8 v[2:3], v1, off
.LBB46_1663:
	s_and_not1_b32 vcc_lo, exec_lo, s0
	s_cbranch_vccnz .LBB46_1665
; %bb.1664:
	global_store_b8 v[2:3], v1, off
.LBB46_1665:
	s_mov_b32 s7, -1
.LBB46_1666:
	s_delay_alu instid0(SALU_CYCLE_1)
	s_and_not1_b32 vcc_lo, exec_lo, s7
	s_cbranch_vccnz .LBB46_1981
; %bb.1667:
	s_lshl_b32 s2, s2, 7
	v_cmp_eq_f32_e64 s0, 0x7f800000, v6
	v_add_nc_u32_e32 v0, s2, v0
	s_cmp_lt_i32 s13, 11
	s_wait_xcnt 0x0
	s_delay_alu instid0(VALU_DEP_1) | instskip(NEXT) | instid1(VALU_DEP_1)
	v_ashrrev_i32_e32 v1, 31, v0
	v_add_nc_u64_e32 v[2:3], s[4:5], v[0:1]
	s_cbranch_scc1 .LBB46_1745
; %bb.1668:
	s_and_b32 s3, 0xffff, s13
	s_mov_b32 s8, -1
	s_mov_b32 s6, 0
	s_cmp_gt_i32 s3, 25
	s_mov_b32 s7, 0
	s_mov_b32 s1, 0
	s_cbranch_scc0 .LBB46_1701
; %bb.1669:
	s_cmp_gt_i32 s3, 28
	s_cbranch_scc0 .LBB46_1684
; %bb.1670:
	s_cmp_gt_i32 s3, 43
	;; [unrolled: 3-line block ×3, first 2 shown]
	s_cbranch_scc0 .LBB46_1674
; %bb.1672:
	s_mov_b32 s1, -1
	s_mov_b32 s8, 0
	s_cmp_eq_u32 s3, 46
	s_cbranch_scc0 .LBB46_1674
; %bb.1673:
	v_cndmask_b32_e64 v1, 0, 1.0, s0
	s_mov_b32 s1, 0
	s_mov_b32 s7, -1
	s_delay_alu instid0(VALU_DEP_1) | instskip(NEXT) | instid1(VALU_DEP_1)
	v_bfe_u32 v4, v1, 16, 1
	v_add3_u32 v1, v1, v4, 0x7fff
	s_delay_alu instid0(VALU_DEP_1)
	v_lshrrev_b32_e32 v1, 16, v1
	global_store_b32 v[2:3], v1, off
.LBB46_1674:
	s_and_b32 vcc_lo, exec_lo, s8
	s_cbranch_vccz .LBB46_1679
; %bb.1675:
	s_cmp_eq_u32 s3, 44
	s_mov_b32 s1, -1
	s_cbranch_scc0 .LBB46_1679
; %bb.1676:
	v_cndmask_b32_e64 v5, 0, 1.0, s0
	s_mov_b32 s7, exec_lo
	s_wait_xcnt 0x0
	s_delay_alu instid0(VALU_DEP_1) | instskip(NEXT) | instid1(VALU_DEP_1)
	v_dual_mov_b32 v4, 0xff :: v_dual_lshrrev_b32 v1, 23, v5
	v_cmpx_ne_u32_e32 0xff, v1
; %bb.1677:
	v_and_b32_e32 v4, 0x400000, v5
	v_and_or_b32 v5, 0x3fffff, v5, v1
	s_delay_alu instid0(VALU_DEP_2) | instskip(NEXT) | instid1(VALU_DEP_2)
	v_cmp_ne_u32_e32 vcc_lo, 0, v4
	v_cmp_ne_u32_e64 s1, 0, v5
	s_and_b32 s1, vcc_lo, s1
	s_delay_alu instid0(SALU_CYCLE_1) | instskip(NEXT) | instid1(VALU_DEP_1)
	v_cndmask_b32_e64 v4, 0, 1, s1
	v_add_nc_u32_e32 v4, v1, v4
; %bb.1678:
	s_or_b32 exec_lo, exec_lo, s7
	s_mov_b32 s1, 0
	s_mov_b32 s7, -1
	global_store_b8 v[2:3], v4, off
.LBB46_1679:
	s_mov_b32 s8, 0
.LBB46_1680:
	s_delay_alu instid0(SALU_CYCLE_1)
	s_and_b32 vcc_lo, exec_lo, s8
	s_cbranch_vccz .LBB46_1683
; %bb.1681:
	s_cmp_eq_u32 s3, 29
	s_mov_b32 s1, -1
	s_cbranch_scc0 .LBB46_1683
; %bb.1682:
	s_mov_b32 s1, 0
	s_wait_xcnt 0x0
	v_cndmask_b32_e64 v4, 0, 1, s0
	v_mov_b32_e32 v5, s1
	s_mov_b32 s7, -1
	global_store_b64 v[2:3], v[4:5], off
.LBB46_1683:
	s_mov_b32 s8, 0
.LBB46_1684:
	s_delay_alu instid0(SALU_CYCLE_1)
	s_and_b32 vcc_lo, exec_lo, s8
	s_cbranch_vccz .LBB46_1700
; %bb.1685:
	s_cmp_lt_i32 s3, 27
	s_mov_b32 s7, -1
	s_cbranch_scc1 .LBB46_1691
; %bb.1686:
	s_cmp_gt_i32 s3, 27
	s_cbranch_scc0 .LBB46_1688
; %bb.1687:
	s_wait_xcnt 0x0
	v_cndmask_b32_e64 v1, 0, 1, s0
	s_mov_b32 s7, 0
	global_store_b32 v[2:3], v1, off
.LBB46_1688:
	s_and_not1_b32 vcc_lo, exec_lo, s7
	s_cbranch_vccnz .LBB46_1690
; %bb.1689:
	s_wait_xcnt 0x0
	v_cndmask_b32_e64 v1, 0, 1, s0
	global_store_b16 v[2:3], v1, off
.LBB46_1690:
	s_mov_b32 s7, 0
.LBB46_1691:
	s_delay_alu instid0(SALU_CYCLE_1)
	s_and_not1_b32 vcc_lo, exec_lo, s7
	s_cbranch_vccnz .LBB46_1699
; %bb.1692:
	s_wait_xcnt 0x0
	v_cndmask_b32_e64 v4, 0, 1.0, s0
	v_mov_b32_e32 v5, 0x80
	s_mov_b32 s7, exec_lo
	s_delay_alu instid0(VALU_DEP_2)
	v_cmpx_gt_u32_e32 0x43800000, v4
	s_cbranch_execz .LBB46_1698
; %bb.1693:
	s_mov_b32 s8, 0
	s_mov_b32 s10, exec_lo
                                        ; implicit-def: $vgpr1
	v_cmpx_lt_u32_e32 0x3bffffff, v4
	s_xor_b32 s10, exec_lo, s10
	s_cbranch_execz .LBB46_2033
; %bb.1694:
	v_bfe_u32 v1, v4, 20, 1
	s_mov_b32 s8, exec_lo
	s_delay_alu instid0(VALU_DEP_1) | instskip(NEXT) | instid1(VALU_DEP_1)
	v_add3_u32 v1, v4, v1, 0x487ffff
                                        ; implicit-def: $vgpr4
	v_lshrrev_b32_e32 v1, 20, v1
	s_and_not1_saveexec_b32 s10, s10
	s_cbranch_execnz .LBB46_2034
.LBB46_1695:
	s_or_b32 exec_lo, exec_lo, s10
	v_mov_b32_e32 v5, 0
	s_and_saveexec_b32 s10, s8
.LBB46_1696:
	v_mov_b32_e32 v5, v1
.LBB46_1697:
	s_or_b32 exec_lo, exec_lo, s10
.LBB46_1698:
	s_delay_alu instid0(SALU_CYCLE_1)
	s_or_b32 exec_lo, exec_lo, s7
	global_store_b8 v[2:3], v5, off
.LBB46_1699:
	s_mov_b32 s7, -1
.LBB46_1700:
	s_mov_b32 s8, 0
.LBB46_1701:
	s_delay_alu instid0(SALU_CYCLE_1)
	s_and_b32 vcc_lo, exec_lo, s8
	s_cbranch_vccz .LBB46_1741
; %bb.1702:
	s_cmp_gt_i32 s3, 22
	s_mov_b32 s6, -1
	s_cbranch_scc0 .LBB46_1734
; %bb.1703:
	s_cmp_lt_i32 s3, 24
	s_cbranch_scc1 .LBB46_1723
; %bb.1704:
	s_cmp_gt_i32 s3, 24
	s_cbranch_scc0 .LBB46_1712
; %bb.1705:
	s_wait_xcnt 0x0
	v_cndmask_b32_e64 v4, 0, 1.0, s0
	v_mov_b32_e32 v5, 0x80
	s_mov_b32 s6, exec_lo
	s_delay_alu instid0(VALU_DEP_2)
	v_cmpx_gt_u32_e32 0x47800000, v4
	s_cbranch_execz .LBB46_1711
; %bb.1706:
	s_mov_b32 s7, 0
	s_mov_b32 s8, exec_lo
                                        ; implicit-def: $vgpr1
	v_cmpx_lt_u32_e32 0x37ffffff, v4
	s_xor_b32 s8, exec_lo, s8
	s_cbranch_execz .LBB46_2036
; %bb.1707:
	v_bfe_u32 v1, v4, 21, 1
	s_mov_b32 s7, exec_lo
	s_delay_alu instid0(VALU_DEP_1) | instskip(NEXT) | instid1(VALU_DEP_1)
	v_add3_u32 v1, v4, v1, 0x88fffff
                                        ; implicit-def: $vgpr4
	v_lshrrev_b32_e32 v1, 21, v1
	s_and_not1_saveexec_b32 s8, s8
	s_cbranch_execnz .LBB46_2037
.LBB46_1708:
	s_or_b32 exec_lo, exec_lo, s8
	v_mov_b32_e32 v5, 0
	s_and_saveexec_b32 s8, s7
.LBB46_1709:
	v_mov_b32_e32 v5, v1
.LBB46_1710:
	s_or_b32 exec_lo, exec_lo, s8
.LBB46_1711:
	s_delay_alu instid0(SALU_CYCLE_1)
	s_or_b32 exec_lo, exec_lo, s6
	s_mov_b32 s6, 0
	global_store_b8 v[2:3], v5, off
.LBB46_1712:
	s_and_b32 vcc_lo, exec_lo, s6
	s_cbranch_vccz .LBB46_1722
; %bb.1713:
	s_wait_xcnt 0x0
	v_cndmask_b32_e64 v4, 0, 1.0, s0
	s_mov_b32 s6, exec_lo
                                        ; implicit-def: $vgpr1
	s_delay_alu instid0(VALU_DEP_1)
	v_cmpx_gt_u32_e32 0x43f00000, v4
	s_xor_b32 s6, exec_lo, s6
	s_cbranch_execz .LBB46_1719
; %bb.1714:
	s_mov_b32 s7, exec_lo
                                        ; implicit-def: $vgpr1
	v_cmpx_lt_u32_e32 0x3c7fffff, v4
	s_xor_b32 s7, exec_lo, s7
; %bb.1715:
	v_bfe_u32 v1, v4, 20, 1
	s_delay_alu instid0(VALU_DEP_1) | instskip(NEXT) | instid1(VALU_DEP_1)
	v_add3_u32 v1, v4, v1, 0x407ffff
	v_and_b32_e32 v4, 0xff00000, v1
	v_lshrrev_b32_e32 v1, 20, v1
	s_delay_alu instid0(VALU_DEP_2) | instskip(NEXT) | instid1(VALU_DEP_2)
	v_cmp_ne_u32_e32 vcc_lo, 0x7f00000, v4
                                        ; implicit-def: $vgpr4
	v_cndmask_b32_e32 v1, 0x7e, v1, vcc_lo
; %bb.1716:
	s_and_not1_saveexec_b32 s7, s7
; %bb.1717:
	v_add_f32_e32 v1, 0x46800000, v4
; %bb.1718:
	s_or_b32 exec_lo, exec_lo, s7
                                        ; implicit-def: $vgpr4
.LBB46_1719:
	s_and_not1_saveexec_b32 s6, s6
; %bb.1720:
	v_mov_b32_e32 v1, 0x7f
	v_cmp_lt_u32_e32 vcc_lo, 0x7f800000, v4
	s_delay_alu instid0(VALU_DEP_2)
	v_cndmask_b32_e32 v1, 0x7e, v1, vcc_lo
; %bb.1721:
	s_or_b32 exec_lo, exec_lo, s6
	global_store_b8 v[2:3], v1, off
.LBB46_1722:
	s_mov_b32 s6, 0
.LBB46_1723:
	s_delay_alu instid0(SALU_CYCLE_1)
	s_and_not1_b32 vcc_lo, exec_lo, s6
	s_cbranch_vccnz .LBB46_1733
; %bb.1724:
	s_wait_xcnt 0x0
	v_cndmask_b32_e64 v4, 0, 1.0, s0
	s_mov_b32 s6, exec_lo
                                        ; implicit-def: $vgpr1
	s_delay_alu instid0(VALU_DEP_1)
	v_cmpx_gt_u32_e32 0x47800000, v4
	s_xor_b32 s6, exec_lo, s6
	s_cbranch_execz .LBB46_1730
; %bb.1725:
	s_mov_b32 s7, exec_lo
                                        ; implicit-def: $vgpr1
	v_cmpx_lt_u32_e32 0x387fffff, v4
	s_xor_b32 s7, exec_lo, s7
; %bb.1726:
	v_bfe_u32 v1, v4, 21, 1
	s_delay_alu instid0(VALU_DEP_1) | instskip(NEXT) | instid1(VALU_DEP_1)
	v_add3_u32 v1, v4, v1, 0x80fffff
                                        ; implicit-def: $vgpr4
	v_lshrrev_b32_e32 v1, 21, v1
; %bb.1727:
	s_and_not1_saveexec_b32 s7, s7
; %bb.1728:
	v_add_f32_e32 v1, 0x43000000, v4
; %bb.1729:
	s_or_b32 exec_lo, exec_lo, s7
                                        ; implicit-def: $vgpr4
.LBB46_1730:
	s_and_not1_saveexec_b32 s6, s6
; %bb.1731:
	v_mov_b32_e32 v1, 0x7f
	v_cmp_lt_u32_e32 vcc_lo, 0x7f800000, v4
	s_delay_alu instid0(VALU_DEP_2)
	v_cndmask_b32_e32 v1, 0x7c, v1, vcc_lo
; %bb.1732:
	s_or_b32 exec_lo, exec_lo, s6
	global_store_b8 v[2:3], v1, off
.LBB46_1733:
	s_mov_b32 s6, 0
	s_mov_b32 s7, -1
.LBB46_1734:
	s_and_not1_b32 vcc_lo, exec_lo, s6
	s_mov_b32 s6, 0
	s_cbranch_vccnz .LBB46_1741
; %bb.1735:
	s_cmp_gt_i32 s3, 14
	s_mov_b32 s6, -1
	s_cbranch_scc0 .LBB46_1739
; %bb.1736:
	s_cmp_eq_u32 s3, 15
	s_mov_b32 s1, -1
	s_cbranch_scc0 .LBB46_1738
; %bb.1737:
	s_wait_xcnt 0x0
	v_cndmask_b32_e64 v1, 0, 1.0, s0
	s_mov_b32 s1, 0
	s_mov_b32 s7, -1
	s_delay_alu instid0(VALU_DEP_1) | instskip(NEXT) | instid1(VALU_DEP_1)
	v_bfe_u32 v4, v1, 16, 1
	v_add3_u32 v1, v1, v4, 0x7fff
	global_store_d16_hi_b16 v[2:3], v1, off
.LBB46_1738:
	s_mov_b32 s6, 0
.LBB46_1739:
	s_delay_alu instid0(SALU_CYCLE_1)
	s_and_b32 vcc_lo, exec_lo, s6
	s_mov_b32 s6, 0
	s_cbranch_vccz .LBB46_1741
; %bb.1740:
	s_cmp_lg_u32 s3, 11
	s_mov_b32 s6, -1
	s_cselect_b32 s1, -1, 0
.LBB46_1741:
	s_delay_alu instid0(SALU_CYCLE_1)
	s_and_b32 vcc_lo, exec_lo, s1
	s_cbranch_vccnz .LBB46_2035
; %bb.1742:
	s_and_not1_b32 vcc_lo, exec_lo, s6
	s_cbranch_vccnz .LBB46_1744
.LBB46_1743:
	s_wait_xcnt 0x0
	v_cndmask_b32_e64 v1, 0, 1, s0
	s_mov_b32 s7, -1
	global_store_b8 v[2:3], v1, off
.LBB46_1744:
	s_mov_b32 s1, 0
	s_branch .LBB46_1746
.LBB46_1745:
	s_mov_b32 s1, -1
	s_mov_b32 s7, 0
.LBB46_1746:
	s_and_b32 vcc_lo, exec_lo, s1
	s_cbranch_vccz .LBB46_1785
; %bb.1747:
	s_and_b32 s1, 0xffff, s13
	s_mov_b32 s3, -1
	s_cmp_lt_i32 s1, 5
	s_cbranch_scc1 .LBB46_1768
; %bb.1748:
	s_cmp_lt_i32 s1, 8
	s_cbranch_scc1 .LBB46_1758
; %bb.1749:
	;; [unrolled: 3-line block ×3, first 2 shown]
	s_cmp_gt_i32 s1, 9
	s_cbranch_scc0 .LBB46_1752
; %bb.1751:
	s_wait_xcnt 0x0
	v_cndmask_b32_e64 v1, 0, 1, s0
	v_mov_b32_e32 v12, 0
	s_mov_b32 s3, 0
	s_delay_alu instid0(VALU_DEP_2) | instskip(NEXT) | instid1(VALU_DEP_2)
	v_cvt_f64_u32_e32 v[10:11], v1
	v_mov_b32_e32 v13, v12
	global_store_b128 v[2:3], v[10:13], off
.LBB46_1752:
	s_and_not1_b32 vcc_lo, exec_lo, s3
	s_cbranch_vccnz .LBB46_1754
; %bb.1753:
	s_wait_xcnt 0x0
	v_cndmask_b32_e64 v4, 0, 1.0, s0
	v_mov_b32_e32 v5, 0
	global_store_b64 v[2:3], v[4:5], off
.LBB46_1754:
	s_mov_b32 s3, 0
.LBB46_1755:
	s_delay_alu instid0(SALU_CYCLE_1)
	s_and_not1_b32 vcc_lo, exec_lo, s3
	s_cbranch_vccnz .LBB46_1757
; %bb.1756:
	s_wait_xcnt 0x0
	v_cndmask_b32_e64 v1, 0, 1.0, s0
	s_delay_alu instid0(VALU_DEP_1) | instskip(NEXT) | instid1(VALU_DEP_1)
	v_cvt_f16_f32_e32 v1, v1
	v_and_b32_e32 v1, 0xffff, v1
	global_store_b32 v[2:3], v1, off
.LBB46_1757:
	s_mov_b32 s3, 0
.LBB46_1758:
	s_delay_alu instid0(SALU_CYCLE_1)
	s_and_not1_b32 vcc_lo, exec_lo, s3
	s_cbranch_vccnz .LBB46_1767
; %bb.1759:
	s_cmp_lt_i32 s1, 6
	s_mov_b32 s3, -1
	s_cbranch_scc1 .LBB46_1765
; %bb.1760:
	s_cmp_gt_i32 s1, 6
	s_cbranch_scc0 .LBB46_1762
; %bb.1761:
	s_wait_xcnt 0x0
	v_cndmask_b32_e64 v1, 0, 1, s0
	s_mov_b32 s3, 0
	s_delay_alu instid0(VALU_DEP_1)
	v_cvt_f64_u32_e32 v[4:5], v1
	global_store_b64 v[2:3], v[4:5], off
.LBB46_1762:
	s_and_not1_b32 vcc_lo, exec_lo, s3
	s_cbranch_vccnz .LBB46_1764
; %bb.1763:
	s_wait_xcnt 0x0
	v_cndmask_b32_e64 v1, 0, 1.0, s0
	global_store_b32 v[2:3], v1, off
.LBB46_1764:
	s_mov_b32 s3, 0
.LBB46_1765:
	s_delay_alu instid0(SALU_CYCLE_1)
	s_and_not1_b32 vcc_lo, exec_lo, s3
	s_cbranch_vccnz .LBB46_1767
; %bb.1766:
	s_wait_xcnt 0x0
	v_cndmask_b32_e64 v1, 0, 1.0, s0
	s_delay_alu instid0(VALU_DEP_1)
	v_cvt_f16_f32_e32 v1, v1
	global_store_b16 v[2:3], v1, off
.LBB46_1767:
	s_mov_b32 s3, 0
.LBB46_1768:
	s_delay_alu instid0(SALU_CYCLE_1)
	s_and_not1_b32 vcc_lo, exec_lo, s3
	s_cbranch_vccnz .LBB46_1784
; %bb.1769:
	s_cmp_lt_i32 s1, 2
	s_mov_b32 s3, -1
	s_cbranch_scc1 .LBB46_1779
; %bb.1770:
	s_cmp_lt_i32 s1, 3
	s_cbranch_scc1 .LBB46_1776
; %bb.1771:
	s_cmp_gt_i32 s1, 3
	s_cbranch_scc0 .LBB46_1773
; %bb.1772:
	s_mov_b32 s3, 0
	s_wait_xcnt 0x0
	v_cndmask_b32_e64 v4, 0, 1, s0
	v_mov_b32_e32 v5, s3
	global_store_b64 v[2:3], v[4:5], off
.LBB46_1773:
	s_and_not1_b32 vcc_lo, exec_lo, s3
	s_cbranch_vccnz .LBB46_1775
; %bb.1774:
	s_wait_xcnt 0x0
	v_cndmask_b32_e64 v1, 0, 1, s0
	global_store_b32 v[2:3], v1, off
.LBB46_1775:
	s_mov_b32 s3, 0
.LBB46_1776:
	s_delay_alu instid0(SALU_CYCLE_1)
	s_and_not1_b32 vcc_lo, exec_lo, s3
	s_cbranch_vccnz .LBB46_1778
; %bb.1777:
	s_wait_xcnt 0x0
	v_cndmask_b32_e64 v1, 0, 1, s0
	global_store_b16 v[2:3], v1, off
.LBB46_1778:
	s_mov_b32 s3, 0
.LBB46_1779:
	s_delay_alu instid0(SALU_CYCLE_1)
	s_and_not1_b32 vcc_lo, exec_lo, s3
	s_cbranch_vccnz .LBB46_1784
; %bb.1780:
	s_wait_xcnt 0x0
	v_cndmask_b32_e64 v1, 0, 1, s0
	s_cmp_gt_i32 s1, 0
	s_mov_b32 s0, -1
	s_cbranch_scc0 .LBB46_1782
; %bb.1781:
	s_mov_b32 s0, 0
	global_store_b8 v[2:3], v1, off
.LBB46_1782:
	s_and_not1_b32 vcc_lo, exec_lo, s0
	s_cbranch_vccnz .LBB46_1784
; %bb.1783:
	global_store_b8 v[2:3], v1, off
.LBB46_1784:
	s_mov_b32 s7, -1
.LBB46_1785:
	s_delay_alu instid0(SALU_CYCLE_1)
	s_and_not1_b32 vcc_lo, exec_lo, s7
	s_cbranch_vccnz .LBB46_1981
; %bb.1786:
	v_add_nc_u32_e32 v0, s2, v0
	v_cmp_eq_f32_e64 s0, 0x7f800000, v7
	s_cmp_lt_i32 s13, 11
	s_wait_xcnt 0x0
	v_ashrrev_i32_e32 v1, 31, v0
	s_delay_alu instid0(VALU_DEP_1)
	v_add_nc_u64_e32 v[2:3], s[4:5], v[0:1]
	s_cbranch_scc1 .LBB46_1864
; %bb.1787:
	s_and_b32 s3, 0xffff, s13
	s_mov_b32 s8, -1
	s_mov_b32 s6, 0
	s_cmp_gt_i32 s3, 25
	s_mov_b32 s7, 0
	s_mov_b32 s1, 0
	s_cbranch_scc0 .LBB46_1820
; %bb.1788:
	s_cmp_gt_i32 s3, 28
	s_cbranch_scc0 .LBB46_1803
; %bb.1789:
	s_cmp_gt_i32 s3, 43
	;; [unrolled: 3-line block ×3, first 2 shown]
	s_cbranch_scc0 .LBB46_1793
; %bb.1791:
	s_mov_b32 s1, -1
	s_mov_b32 s8, 0
	s_cmp_eq_u32 s3, 46
	s_cbranch_scc0 .LBB46_1793
; %bb.1792:
	v_cndmask_b32_e64 v1, 0, 1.0, s0
	s_mov_b32 s1, 0
	s_mov_b32 s7, -1
	s_delay_alu instid0(VALU_DEP_1) | instskip(NEXT) | instid1(VALU_DEP_1)
	v_bfe_u32 v4, v1, 16, 1
	v_add3_u32 v1, v1, v4, 0x7fff
	s_delay_alu instid0(VALU_DEP_1)
	v_lshrrev_b32_e32 v1, 16, v1
	global_store_b32 v[2:3], v1, off
.LBB46_1793:
	s_and_b32 vcc_lo, exec_lo, s8
	s_cbranch_vccz .LBB46_1798
; %bb.1794:
	s_cmp_eq_u32 s3, 44
	s_mov_b32 s1, -1
	s_cbranch_scc0 .LBB46_1798
; %bb.1795:
	v_cndmask_b32_e64 v5, 0, 1.0, s0
	s_mov_b32 s7, exec_lo
	s_wait_xcnt 0x0
	s_delay_alu instid0(VALU_DEP_1) | instskip(NEXT) | instid1(VALU_DEP_1)
	v_dual_mov_b32 v4, 0xff :: v_dual_lshrrev_b32 v1, 23, v5
	v_cmpx_ne_u32_e32 0xff, v1
; %bb.1796:
	v_and_b32_e32 v4, 0x400000, v5
	v_and_or_b32 v5, 0x3fffff, v5, v1
	s_delay_alu instid0(VALU_DEP_2) | instskip(NEXT) | instid1(VALU_DEP_2)
	v_cmp_ne_u32_e32 vcc_lo, 0, v4
	v_cmp_ne_u32_e64 s1, 0, v5
	s_and_b32 s1, vcc_lo, s1
	s_delay_alu instid0(SALU_CYCLE_1) | instskip(NEXT) | instid1(VALU_DEP_1)
	v_cndmask_b32_e64 v4, 0, 1, s1
	v_add_nc_u32_e32 v4, v1, v4
; %bb.1797:
	s_or_b32 exec_lo, exec_lo, s7
	s_mov_b32 s1, 0
	s_mov_b32 s7, -1
	global_store_b8 v[2:3], v4, off
.LBB46_1798:
	s_mov_b32 s8, 0
.LBB46_1799:
	s_delay_alu instid0(SALU_CYCLE_1)
	s_and_b32 vcc_lo, exec_lo, s8
	s_cbranch_vccz .LBB46_1802
; %bb.1800:
	s_cmp_eq_u32 s3, 29
	s_mov_b32 s1, -1
	s_cbranch_scc0 .LBB46_1802
; %bb.1801:
	s_mov_b32 s1, 0
	s_wait_xcnt 0x0
	v_cndmask_b32_e64 v4, 0, 1, s0
	v_mov_b32_e32 v5, s1
	s_mov_b32 s7, -1
	global_store_b64 v[2:3], v[4:5], off
.LBB46_1802:
	s_mov_b32 s8, 0
.LBB46_1803:
	s_delay_alu instid0(SALU_CYCLE_1)
	s_and_b32 vcc_lo, exec_lo, s8
	s_cbranch_vccz .LBB46_1819
; %bb.1804:
	s_cmp_lt_i32 s3, 27
	s_mov_b32 s7, -1
	s_cbranch_scc1 .LBB46_1810
; %bb.1805:
	s_cmp_gt_i32 s3, 27
	s_cbranch_scc0 .LBB46_1807
; %bb.1806:
	s_wait_xcnt 0x0
	v_cndmask_b32_e64 v1, 0, 1, s0
	s_mov_b32 s7, 0
	global_store_b32 v[2:3], v1, off
.LBB46_1807:
	s_and_not1_b32 vcc_lo, exec_lo, s7
	s_cbranch_vccnz .LBB46_1809
; %bb.1808:
	s_wait_xcnt 0x0
	v_cndmask_b32_e64 v1, 0, 1, s0
	global_store_b16 v[2:3], v1, off
.LBB46_1809:
	s_mov_b32 s7, 0
.LBB46_1810:
	s_delay_alu instid0(SALU_CYCLE_1)
	s_and_not1_b32 vcc_lo, exec_lo, s7
	s_cbranch_vccnz .LBB46_1818
; %bb.1811:
	s_wait_xcnt 0x0
	v_cndmask_b32_e64 v4, 0, 1.0, s0
	v_mov_b32_e32 v5, 0x80
	s_mov_b32 s7, exec_lo
	s_delay_alu instid0(VALU_DEP_2)
	v_cmpx_gt_u32_e32 0x43800000, v4
	s_cbranch_execz .LBB46_1817
; %bb.1812:
	s_mov_b32 s8, 0
	s_mov_b32 s10, exec_lo
                                        ; implicit-def: $vgpr1
	v_cmpx_lt_u32_e32 0x3bffffff, v4
	s_xor_b32 s10, exec_lo, s10
	s_cbranch_execz .LBB46_2038
; %bb.1813:
	v_bfe_u32 v1, v4, 20, 1
	s_mov_b32 s8, exec_lo
	s_delay_alu instid0(VALU_DEP_1) | instskip(NEXT) | instid1(VALU_DEP_1)
	v_add3_u32 v1, v4, v1, 0x487ffff
                                        ; implicit-def: $vgpr4
	v_lshrrev_b32_e32 v1, 20, v1
	s_and_not1_saveexec_b32 s10, s10
	s_cbranch_execnz .LBB46_2039
.LBB46_1814:
	s_or_b32 exec_lo, exec_lo, s10
	v_mov_b32_e32 v5, 0
	s_and_saveexec_b32 s10, s8
.LBB46_1815:
	v_mov_b32_e32 v5, v1
.LBB46_1816:
	s_or_b32 exec_lo, exec_lo, s10
.LBB46_1817:
	s_delay_alu instid0(SALU_CYCLE_1)
	s_or_b32 exec_lo, exec_lo, s7
	global_store_b8 v[2:3], v5, off
.LBB46_1818:
	s_mov_b32 s7, -1
.LBB46_1819:
	s_mov_b32 s8, 0
.LBB46_1820:
	s_delay_alu instid0(SALU_CYCLE_1)
	s_and_b32 vcc_lo, exec_lo, s8
	s_cbranch_vccz .LBB46_1860
; %bb.1821:
	s_cmp_gt_i32 s3, 22
	s_mov_b32 s6, -1
	s_cbranch_scc0 .LBB46_1853
; %bb.1822:
	s_cmp_lt_i32 s3, 24
	s_cbranch_scc1 .LBB46_1842
; %bb.1823:
	s_cmp_gt_i32 s3, 24
	s_cbranch_scc0 .LBB46_1831
; %bb.1824:
	s_wait_xcnt 0x0
	v_cndmask_b32_e64 v4, 0, 1.0, s0
	v_mov_b32_e32 v5, 0x80
	s_mov_b32 s6, exec_lo
	s_delay_alu instid0(VALU_DEP_2)
	v_cmpx_gt_u32_e32 0x47800000, v4
	s_cbranch_execz .LBB46_1830
; %bb.1825:
	s_mov_b32 s7, 0
	s_mov_b32 s8, exec_lo
                                        ; implicit-def: $vgpr1
	v_cmpx_lt_u32_e32 0x37ffffff, v4
	s_xor_b32 s8, exec_lo, s8
	s_cbranch_execz .LBB46_2041
; %bb.1826:
	v_bfe_u32 v1, v4, 21, 1
	s_mov_b32 s7, exec_lo
	s_delay_alu instid0(VALU_DEP_1) | instskip(NEXT) | instid1(VALU_DEP_1)
	v_add3_u32 v1, v4, v1, 0x88fffff
                                        ; implicit-def: $vgpr4
	v_lshrrev_b32_e32 v1, 21, v1
	s_and_not1_saveexec_b32 s8, s8
	s_cbranch_execnz .LBB46_2042
.LBB46_1827:
	s_or_b32 exec_lo, exec_lo, s8
	v_mov_b32_e32 v5, 0
	s_and_saveexec_b32 s8, s7
.LBB46_1828:
	v_mov_b32_e32 v5, v1
.LBB46_1829:
	s_or_b32 exec_lo, exec_lo, s8
.LBB46_1830:
	s_delay_alu instid0(SALU_CYCLE_1)
	s_or_b32 exec_lo, exec_lo, s6
	s_mov_b32 s6, 0
	global_store_b8 v[2:3], v5, off
.LBB46_1831:
	s_and_b32 vcc_lo, exec_lo, s6
	s_cbranch_vccz .LBB46_1841
; %bb.1832:
	s_wait_xcnt 0x0
	v_cndmask_b32_e64 v4, 0, 1.0, s0
	s_mov_b32 s6, exec_lo
                                        ; implicit-def: $vgpr1
	s_delay_alu instid0(VALU_DEP_1)
	v_cmpx_gt_u32_e32 0x43f00000, v4
	s_xor_b32 s6, exec_lo, s6
	s_cbranch_execz .LBB46_1838
; %bb.1833:
	s_mov_b32 s7, exec_lo
                                        ; implicit-def: $vgpr1
	v_cmpx_lt_u32_e32 0x3c7fffff, v4
	s_xor_b32 s7, exec_lo, s7
; %bb.1834:
	v_bfe_u32 v1, v4, 20, 1
	s_delay_alu instid0(VALU_DEP_1) | instskip(NEXT) | instid1(VALU_DEP_1)
	v_add3_u32 v1, v4, v1, 0x407ffff
	v_and_b32_e32 v4, 0xff00000, v1
	v_lshrrev_b32_e32 v1, 20, v1
	s_delay_alu instid0(VALU_DEP_2) | instskip(NEXT) | instid1(VALU_DEP_2)
	v_cmp_ne_u32_e32 vcc_lo, 0x7f00000, v4
                                        ; implicit-def: $vgpr4
	v_cndmask_b32_e32 v1, 0x7e, v1, vcc_lo
; %bb.1835:
	s_and_not1_saveexec_b32 s7, s7
; %bb.1836:
	v_add_f32_e32 v1, 0x46800000, v4
; %bb.1837:
	s_or_b32 exec_lo, exec_lo, s7
                                        ; implicit-def: $vgpr4
.LBB46_1838:
	s_and_not1_saveexec_b32 s6, s6
; %bb.1839:
	v_mov_b32_e32 v1, 0x7f
	v_cmp_lt_u32_e32 vcc_lo, 0x7f800000, v4
	s_delay_alu instid0(VALU_DEP_2)
	v_cndmask_b32_e32 v1, 0x7e, v1, vcc_lo
; %bb.1840:
	s_or_b32 exec_lo, exec_lo, s6
	global_store_b8 v[2:3], v1, off
.LBB46_1841:
	s_mov_b32 s6, 0
.LBB46_1842:
	s_delay_alu instid0(SALU_CYCLE_1)
	s_and_not1_b32 vcc_lo, exec_lo, s6
	s_cbranch_vccnz .LBB46_1852
; %bb.1843:
	s_wait_xcnt 0x0
	v_cndmask_b32_e64 v4, 0, 1.0, s0
	s_mov_b32 s6, exec_lo
                                        ; implicit-def: $vgpr1
	s_delay_alu instid0(VALU_DEP_1)
	v_cmpx_gt_u32_e32 0x47800000, v4
	s_xor_b32 s6, exec_lo, s6
	s_cbranch_execz .LBB46_1849
; %bb.1844:
	s_mov_b32 s7, exec_lo
                                        ; implicit-def: $vgpr1
	v_cmpx_lt_u32_e32 0x387fffff, v4
	s_xor_b32 s7, exec_lo, s7
; %bb.1845:
	v_bfe_u32 v1, v4, 21, 1
	s_delay_alu instid0(VALU_DEP_1) | instskip(NEXT) | instid1(VALU_DEP_1)
	v_add3_u32 v1, v4, v1, 0x80fffff
                                        ; implicit-def: $vgpr4
	v_lshrrev_b32_e32 v1, 21, v1
; %bb.1846:
	s_and_not1_saveexec_b32 s7, s7
; %bb.1847:
	v_add_f32_e32 v1, 0x43000000, v4
; %bb.1848:
	s_or_b32 exec_lo, exec_lo, s7
                                        ; implicit-def: $vgpr4
.LBB46_1849:
	s_and_not1_saveexec_b32 s6, s6
; %bb.1850:
	v_mov_b32_e32 v1, 0x7f
	v_cmp_lt_u32_e32 vcc_lo, 0x7f800000, v4
	s_delay_alu instid0(VALU_DEP_2)
	v_cndmask_b32_e32 v1, 0x7c, v1, vcc_lo
; %bb.1851:
	s_or_b32 exec_lo, exec_lo, s6
	global_store_b8 v[2:3], v1, off
.LBB46_1852:
	s_mov_b32 s6, 0
	s_mov_b32 s7, -1
.LBB46_1853:
	s_and_not1_b32 vcc_lo, exec_lo, s6
	s_mov_b32 s6, 0
	s_cbranch_vccnz .LBB46_1860
; %bb.1854:
	s_cmp_gt_i32 s3, 14
	s_mov_b32 s6, -1
	s_cbranch_scc0 .LBB46_1858
; %bb.1855:
	s_cmp_eq_u32 s3, 15
	s_mov_b32 s1, -1
	s_cbranch_scc0 .LBB46_1857
; %bb.1856:
	s_wait_xcnt 0x0
	v_cndmask_b32_e64 v1, 0, 1.0, s0
	s_mov_b32 s1, 0
	s_mov_b32 s7, -1
	s_delay_alu instid0(VALU_DEP_1) | instskip(NEXT) | instid1(VALU_DEP_1)
	v_bfe_u32 v4, v1, 16, 1
	v_add3_u32 v1, v1, v4, 0x7fff
	global_store_d16_hi_b16 v[2:3], v1, off
.LBB46_1857:
	s_mov_b32 s6, 0
.LBB46_1858:
	s_delay_alu instid0(SALU_CYCLE_1)
	s_and_b32 vcc_lo, exec_lo, s6
	s_mov_b32 s6, 0
	s_cbranch_vccz .LBB46_1860
; %bb.1859:
	s_cmp_lg_u32 s3, 11
	s_mov_b32 s6, -1
	s_cselect_b32 s1, -1, 0
.LBB46_1860:
	s_delay_alu instid0(SALU_CYCLE_1)
	s_and_b32 vcc_lo, exec_lo, s1
	s_cbranch_vccnz .LBB46_2040
; %bb.1861:
	s_and_not1_b32 vcc_lo, exec_lo, s6
	s_cbranch_vccnz .LBB46_1863
.LBB46_1862:
	s_wait_xcnt 0x0
	v_cndmask_b32_e64 v1, 0, 1, s0
	s_mov_b32 s7, -1
	global_store_b8 v[2:3], v1, off
.LBB46_1863:
	s_mov_b32 s1, 0
	s_branch .LBB46_1865
.LBB46_1864:
	s_mov_b32 s1, -1
	s_mov_b32 s7, 0
.LBB46_1865:
	s_and_b32 vcc_lo, exec_lo, s1
	s_cbranch_vccz .LBB46_1904
; %bb.1866:
	s_and_b32 s1, 0xffff, s13
	s_mov_b32 s3, -1
	s_cmp_lt_i32 s1, 5
	s_cbranch_scc1 .LBB46_1887
; %bb.1867:
	s_cmp_lt_i32 s1, 8
	s_cbranch_scc1 .LBB46_1877
; %bb.1868:
	;; [unrolled: 3-line block ×3, first 2 shown]
	s_cmp_gt_i32 s1, 9
	s_cbranch_scc0 .LBB46_1871
; %bb.1870:
	s_wait_xcnt 0x0
	v_cndmask_b32_e64 v1, 0, 1, s0
	v_mov_b32_e32 v6, 0
	s_mov_b32 s3, 0
	s_delay_alu instid0(VALU_DEP_2) | instskip(NEXT) | instid1(VALU_DEP_2)
	v_cvt_f64_u32_e32 v[4:5], v1
	v_mov_b32_e32 v7, v6
	global_store_b128 v[2:3], v[4:7], off
.LBB46_1871:
	s_and_not1_b32 vcc_lo, exec_lo, s3
	s_cbranch_vccnz .LBB46_1873
; %bb.1872:
	s_wait_xcnt 0x0
	v_cndmask_b32_e64 v4, 0, 1.0, s0
	v_mov_b32_e32 v5, 0
	global_store_b64 v[2:3], v[4:5], off
.LBB46_1873:
	s_mov_b32 s3, 0
.LBB46_1874:
	s_delay_alu instid0(SALU_CYCLE_1)
	s_and_not1_b32 vcc_lo, exec_lo, s3
	s_cbranch_vccnz .LBB46_1876
; %bb.1875:
	s_wait_xcnt 0x0
	v_cndmask_b32_e64 v1, 0, 1.0, s0
	s_delay_alu instid0(VALU_DEP_1) | instskip(NEXT) | instid1(VALU_DEP_1)
	v_cvt_f16_f32_e32 v1, v1
	v_and_b32_e32 v1, 0xffff, v1
	global_store_b32 v[2:3], v1, off
.LBB46_1876:
	s_mov_b32 s3, 0
.LBB46_1877:
	s_delay_alu instid0(SALU_CYCLE_1)
	s_and_not1_b32 vcc_lo, exec_lo, s3
	s_cbranch_vccnz .LBB46_1886
; %bb.1878:
	s_cmp_lt_i32 s1, 6
	s_mov_b32 s3, -1
	s_cbranch_scc1 .LBB46_1884
; %bb.1879:
	s_cmp_gt_i32 s1, 6
	s_cbranch_scc0 .LBB46_1881
; %bb.1880:
	s_wait_xcnt 0x0
	v_cndmask_b32_e64 v1, 0, 1, s0
	s_mov_b32 s3, 0
	s_delay_alu instid0(VALU_DEP_1)
	v_cvt_f64_u32_e32 v[4:5], v1
	global_store_b64 v[2:3], v[4:5], off
.LBB46_1881:
	s_and_not1_b32 vcc_lo, exec_lo, s3
	s_cbranch_vccnz .LBB46_1883
; %bb.1882:
	s_wait_xcnt 0x0
	v_cndmask_b32_e64 v1, 0, 1.0, s0
	global_store_b32 v[2:3], v1, off
.LBB46_1883:
	s_mov_b32 s3, 0
.LBB46_1884:
	s_delay_alu instid0(SALU_CYCLE_1)
	s_and_not1_b32 vcc_lo, exec_lo, s3
	s_cbranch_vccnz .LBB46_1886
; %bb.1885:
	s_wait_xcnt 0x0
	v_cndmask_b32_e64 v1, 0, 1.0, s0
	s_delay_alu instid0(VALU_DEP_1)
	v_cvt_f16_f32_e32 v1, v1
	global_store_b16 v[2:3], v1, off
.LBB46_1886:
	s_mov_b32 s3, 0
.LBB46_1887:
	s_delay_alu instid0(SALU_CYCLE_1)
	s_and_not1_b32 vcc_lo, exec_lo, s3
	s_cbranch_vccnz .LBB46_1903
; %bb.1888:
	s_cmp_lt_i32 s1, 2
	s_mov_b32 s3, -1
	s_cbranch_scc1 .LBB46_1898
; %bb.1889:
	s_cmp_lt_i32 s1, 3
	s_cbranch_scc1 .LBB46_1895
; %bb.1890:
	s_cmp_gt_i32 s1, 3
	s_cbranch_scc0 .LBB46_1892
; %bb.1891:
	s_mov_b32 s3, 0
	s_wait_xcnt 0x0
	v_cndmask_b32_e64 v4, 0, 1, s0
	v_mov_b32_e32 v5, s3
	global_store_b64 v[2:3], v[4:5], off
.LBB46_1892:
	s_and_not1_b32 vcc_lo, exec_lo, s3
	s_cbranch_vccnz .LBB46_1894
; %bb.1893:
	s_wait_xcnt 0x0
	v_cndmask_b32_e64 v1, 0, 1, s0
	global_store_b32 v[2:3], v1, off
.LBB46_1894:
	s_mov_b32 s3, 0
.LBB46_1895:
	s_delay_alu instid0(SALU_CYCLE_1)
	s_and_not1_b32 vcc_lo, exec_lo, s3
	s_cbranch_vccnz .LBB46_1897
; %bb.1896:
	s_wait_xcnt 0x0
	v_cndmask_b32_e64 v1, 0, 1, s0
	global_store_b16 v[2:3], v1, off
.LBB46_1897:
	s_mov_b32 s3, 0
.LBB46_1898:
	s_delay_alu instid0(SALU_CYCLE_1)
	s_and_not1_b32 vcc_lo, exec_lo, s3
	s_cbranch_vccnz .LBB46_1903
; %bb.1899:
	s_wait_xcnt 0x0
	v_cndmask_b32_e64 v1, 0, 1, s0
	s_cmp_gt_i32 s1, 0
	s_mov_b32 s0, -1
	s_cbranch_scc0 .LBB46_1901
; %bb.1900:
	s_mov_b32 s0, 0
	global_store_b8 v[2:3], v1, off
.LBB46_1901:
	s_and_not1_b32 vcc_lo, exec_lo, s0
	s_cbranch_vccnz .LBB46_1903
; %bb.1902:
	global_store_b8 v[2:3], v1, off
.LBB46_1903:
	s_mov_b32 s7, -1
.LBB46_1904:
	s_delay_alu instid0(SALU_CYCLE_1)
	s_and_not1_b32 vcc_lo, exec_lo, s7
	s_cbranch_vccnz .LBB46_1981
; %bb.1905:
	v_add_nc_u32_e32 v0, s2, v0
	v_cmp_eq_f32_e64 s1, 0x7f800000, v8
	s_cmp_lt_i32 s13, 11
	s_wait_xcnt 0x0
	v_ashrrev_i32_e32 v1, 31, v0
	s_delay_alu instid0(VALU_DEP_1)
	v_add_nc_u64_e32 v[0:1], s[4:5], v[0:1]
	s_cbranch_scc1 .LBB46_2026
; %bb.1906:
	s_and_b32 s2, 0xffff, s13
	s_mov_b32 s4, -1
	s_mov_b32 s3, 0
	s_cmp_gt_i32 s2, 25
	s_mov_b32 s0, 0
	s_cbranch_scc0 .LBB46_1939
; %bb.1907:
	s_cmp_gt_i32 s2, 28
	s_cbranch_scc0 .LBB46_1923
; %bb.1908:
	s_cmp_gt_i32 s2, 43
	;; [unrolled: 3-line block ×3, first 2 shown]
	s_cbranch_scc0 .LBB46_1913
; %bb.1910:
	s_cmp_eq_u32 s2, 46
	s_mov_b32 s0, -1
	s_cbranch_scc0 .LBB46_1912
; %bb.1911:
	v_cndmask_b32_e64 v2, 0, 1.0, s1
	s_mov_b32 s0, 0
	s_delay_alu instid0(VALU_DEP_1) | instskip(NEXT) | instid1(VALU_DEP_1)
	v_bfe_u32 v3, v2, 16, 1
	v_add3_u32 v2, v2, v3, 0x7fff
	s_delay_alu instid0(VALU_DEP_1)
	v_lshrrev_b32_e32 v2, 16, v2
	global_store_b32 v[0:1], v2, off
.LBB46_1912:
	s_mov_b32 s4, 0
.LBB46_1913:
	s_delay_alu instid0(SALU_CYCLE_1)
	s_and_b32 vcc_lo, exec_lo, s4
	s_cbranch_vccz .LBB46_1918
; %bb.1914:
	s_cmp_eq_u32 s2, 44
	s_mov_b32 s0, -1
	s_cbranch_scc0 .LBB46_1918
; %bb.1915:
	v_cndmask_b32_e64 v4, 0, 1.0, s1
	s_mov_b32 s4, exec_lo
	s_wait_xcnt 0x0
	s_delay_alu instid0(VALU_DEP_1) | instskip(NEXT) | instid1(VALU_DEP_1)
	v_dual_mov_b32 v3, 0xff :: v_dual_lshrrev_b32 v2, 23, v4
	v_cmpx_ne_u32_e32 0xff, v2
; %bb.1916:
	v_and_b32_e32 v3, 0x400000, v4
	v_and_or_b32 v4, 0x3fffff, v4, v2
	s_delay_alu instid0(VALU_DEP_2) | instskip(NEXT) | instid1(VALU_DEP_2)
	v_cmp_ne_u32_e32 vcc_lo, 0, v3
	v_cmp_ne_u32_e64 s0, 0, v4
	s_and_b32 s0, vcc_lo, s0
	s_delay_alu instid0(SALU_CYCLE_1) | instskip(NEXT) | instid1(VALU_DEP_1)
	v_cndmask_b32_e64 v3, 0, 1, s0
	v_add_nc_u32_e32 v3, v2, v3
; %bb.1917:
	s_or_b32 exec_lo, exec_lo, s4
	s_mov_b32 s0, 0
	global_store_b8 v[0:1], v3, off
.LBB46_1918:
	s_mov_b32 s4, 0
.LBB46_1919:
	s_delay_alu instid0(SALU_CYCLE_1)
	s_and_b32 vcc_lo, exec_lo, s4
	s_cbranch_vccz .LBB46_1922
; %bb.1920:
	s_cmp_eq_u32 s2, 29
	s_mov_b32 s0, -1
	s_cbranch_scc0 .LBB46_1922
; %bb.1921:
	s_mov_b32 s0, 0
	s_wait_xcnt 0x0
	v_cndmask_b32_e64 v2, 0, 1, s1
	v_mov_b32_e32 v3, s0
	global_store_b64 v[0:1], v[2:3], off
.LBB46_1922:
	s_mov_b32 s4, 0
.LBB46_1923:
	s_delay_alu instid0(SALU_CYCLE_1)
	s_and_b32 vcc_lo, exec_lo, s4
	s_cbranch_vccz .LBB46_1938
; %bb.1924:
	s_cmp_lt_i32 s2, 27
	s_mov_b32 s4, -1
	s_cbranch_scc1 .LBB46_1930
; %bb.1925:
	s_wait_xcnt 0x0
	v_cndmask_b32_e64 v2, 0, 1, s1
	s_cmp_gt_i32 s2, 27
	s_cbranch_scc0 .LBB46_1927
; %bb.1926:
	s_mov_b32 s4, 0
	global_store_b32 v[0:1], v2, off
.LBB46_1927:
	s_and_not1_b32 vcc_lo, exec_lo, s4
	s_cbranch_vccnz .LBB46_1929
; %bb.1928:
	global_store_b16 v[0:1], v2, off
.LBB46_1929:
	s_mov_b32 s4, 0
.LBB46_1930:
	s_delay_alu instid0(SALU_CYCLE_1)
	s_and_not1_b32 vcc_lo, exec_lo, s4
	s_cbranch_vccnz .LBB46_1938
; %bb.1931:
	s_wait_xcnt 0x0
	v_cndmask_b32_e64 v3, 0, 1.0, s1
	v_mov_b32_e32 v4, 0x80
	s_mov_b32 s4, exec_lo
	s_delay_alu instid0(VALU_DEP_2)
	v_cmpx_gt_u32_e32 0x43800000, v3
	s_cbranch_execz .LBB46_1937
; %bb.1932:
	s_mov_b32 s5, 0
	s_mov_b32 s6, exec_lo
                                        ; implicit-def: $vgpr2
	v_cmpx_lt_u32_e32 0x3bffffff, v3
	s_xor_b32 s6, exec_lo, s6
	s_cbranch_execz .LBB46_2043
; %bb.1933:
	v_bfe_u32 v2, v3, 20, 1
	s_mov_b32 s5, exec_lo
	s_delay_alu instid0(VALU_DEP_1) | instskip(NEXT) | instid1(VALU_DEP_1)
	v_add3_u32 v2, v3, v2, 0x487ffff
                                        ; implicit-def: $vgpr3
	v_lshrrev_b32_e32 v2, 20, v2
	s_and_not1_saveexec_b32 s6, s6
	s_cbranch_execnz .LBB46_2044
.LBB46_1934:
	s_or_b32 exec_lo, exec_lo, s6
	v_mov_b32_e32 v4, 0
	s_and_saveexec_b32 s6, s5
.LBB46_1935:
	v_mov_b32_e32 v4, v2
.LBB46_1936:
	s_or_b32 exec_lo, exec_lo, s6
.LBB46_1937:
	s_delay_alu instid0(SALU_CYCLE_1)
	s_or_b32 exec_lo, exec_lo, s4
	global_store_b8 v[0:1], v4, off
.LBB46_1938:
	s_mov_b32 s4, 0
.LBB46_1939:
	s_delay_alu instid0(SALU_CYCLE_1)
	s_and_b32 vcc_lo, exec_lo, s4
	s_cbranch_vccz .LBB46_1979
; %bb.1940:
	s_cmp_gt_i32 s2, 22
	s_mov_b32 s3, -1
	s_cbranch_scc0 .LBB46_1972
; %bb.1941:
	s_cmp_lt_i32 s2, 24
	s_cbranch_scc1 .LBB46_1961
; %bb.1942:
	s_cmp_gt_i32 s2, 24
	s_cbranch_scc0 .LBB46_1950
; %bb.1943:
	s_wait_xcnt 0x0
	v_cndmask_b32_e64 v3, 0, 1.0, s1
	v_mov_b32_e32 v4, 0x80
	s_mov_b32 s3, exec_lo
	s_delay_alu instid0(VALU_DEP_2)
	v_cmpx_gt_u32_e32 0x47800000, v3
	s_cbranch_execz .LBB46_1949
; %bb.1944:
	s_mov_b32 s4, 0
	s_mov_b32 s5, exec_lo
                                        ; implicit-def: $vgpr2
	v_cmpx_lt_u32_e32 0x37ffffff, v3
	s_xor_b32 s5, exec_lo, s5
	s_cbranch_execz .LBB46_2046
; %bb.1945:
	v_bfe_u32 v2, v3, 21, 1
	s_mov_b32 s4, exec_lo
	s_delay_alu instid0(VALU_DEP_1) | instskip(NEXT) | instid1(VALU_DEP_1)
	v_add3_u32 v2, v3, v2, 0x88fffff
                                        ; implicit-def: $vgpr3
	v_lshrrev_b32_e32 v2, 21, v2
	s_and_not1_saveexec_b32 s5, s5
	s_cbranch_execnz .LBB46_2047
.LBB46_1946:
	s_or_b32 exec_lo, exec_lo, s5
	v_mov_b32_e32 v4, 0
	s_and_saveexec_b32 s5, s4
.LBB46_1947:
	v_mov_b32_e32 v4, v2
.LBB46_1948:
	s_or_b32 exec_lo, exec_lo, s5
.LBB46_1949:
	s_delay_alu instid0(SALU_CYCLE_1)
	s_or_b32 exec_lo, exec_lo, s3
	s_mov_b32 s3, 0
	global_store_b8 v[0:1], v4, off
.LBB46_1950:
	s_and_b32 vcc_lo, exec_lo, s3
	s_cbranch_vccz .LBB46_1960
; %bb.1951:
	s_wait_xcnt 0x0
	v_cndmask_b32_e64 v3, 0, 1.0, s1
	s_mov_b32 s3, exec_lo
                                        ; implicit-def: $vgpr2
	s_delay_alu instid0(VALU_DEP_1)
	v_cmpx_gt_u32_e32 0x43f00000, v3
	s_xor_b32 s3, exec_lo, s3
	s_cbranch_execz .LBB46_1957
; %bb.1952:
	s_mov_b32 s4, exec_lo
                                        ; implicit-def: $vgpr2
	v_cmpx_lt_u32_e32 0x3c7fffff, v3
	s_xor_b32 s4, exec_lo, s4
; %bb.1953:
	v_bfe_u32 v2, v3, 20, 1
	s_delay_alu instid0(VALU_DEP_1) | instskip(NEXT) | instid1(VALU_DEP_1)
	v_add3_u32 v2, v3, v2, 0x407ffff
	v_and_b32_e32 v3, 0xff00000, v2
	v_lshrrev_b32_e32 v2, 20, v2
	s_delay_alu instid0(VALU_DEP_2) | instskip(NEXT) | instid1(VALU_DEP_2)
	v_cmp_ne_u32_e32 vcc_lo, 0x7f00000, v3
                                        ; implicit-def: $vgpr3
	v_cndmask_b32_e32 v2, 0x7e, v2, vcc_lo
; %bb.1954:
	s_and_not1_saveexec_b32 s4, s4
; %bb.1955:
	v_add_f32_e32 v2, 0x46800000, v3
; %bb.1956:
	s_or_b32 exec_lo, exec_lo, s4
                                        ; implicit-def: $vgpr3
.LBB46_1957:
	s_and_not1_saveexec_b32 s3, s3
; %bb.1958:
	v_mov_b32_e32 v2, 0x7f
	v_cmp_lt_u32_e32 vcc_lo, 0x7f800000, v3
	s_delay_alu instid0(VALU_DEP_2)
	v_cndmask_b32_e32 v2, 0x7e, v2, vcc_lo
; %bb.1959:
	s_or_b32 exec_lo, exec_lo, s3
	global_store_b8 v[0:1], v2, off
.LBB46_1960:
	s_mov_b32 s3, 0
.LBB46_1961:
	s_delay_alu instid0(SALU_CYCLE_1)
	s_and_not1_b32 vcc_lo, exec_lo, s3
	s_cbranch_vccnz .LBB46_1971
; %bb.1962:
	s_wait_xcnt 0x0
	v_cndmask_b32_e64 v3, 0, 1.0, s1
	s_mov_b32 s3, exec_lo
                                        ; implicit-def: $vgpr2
	s_delay_alu instid0(VALU_DEP_1)
	v_cmpx_gt_u32_e32 0x47800000, v3
	s_xor_b32 s3, exec_lo, s3
	s_cbranch_execz .LBB46_1968
; %bb.1963:
	s_mov_b32 s4, exec_lo
                                        ; implicit-def: $vgpr2
	v_cmpx_lt_u32_e32 0x387fffff, v3
	s_xor_b32 s4, exec_lo, s4
; %bb.1964:
	v_bfe_u32 v2, v3, 21, 1
	s_delay_alu instid0(VALU_DEP_1) | instskip(NEXT) | instid1(VALU_DEP_1)
	v_add3_u32 v2, v3, v2, 0x80fffff
                                        ; implicit-def: $vgpr3
	v_lshrrev_b32_e32 v2, 21, v2
; %bb.1965:
	s_and_not1_saveexec_b32 s4, s4
; %bb.1966:
	v_add_f32_e32 v2, 0x43000000, v3
; %bb.1967:
	s_or_b32 exec_lo, exec_lo, s4
                                        ; implicit-def: $vgpr3
.LBB46_1968:
	s_and_not1_saveexec_b32 s3, s3
; %bb.1969:
	v_mov_b32_e32 v2, 0x7f
	v_cmp_lt_u32_e32 vcc_lo, 0x7f800000, v3
	s_delay_alu instid0(VALU_DEP_2)
	v_cndmask_b32_e32 v2, 0x7c, v2, vcc_lo
; %bb.1970:
	s_or_b32 exec_lo, exec_lo, s3
	global_store_b8 v[0:1], v2, off
.LBB46_1971:
	s_mov_b32 s3, 0
.LBB46_1972:
	s_delay_alu instid0(SALU_CYCLE_1)
	s_and_not1_b32 vcc_lo, exec_lo, s3
	s_mov_b32 s3, 0
	s_cbranch_vccnz .LBB46_1979
; %bb.1973:
	s_cmp_gt_i32 s2, 14
	s_mov_b32 s3, -1
	s_cbranch_scc0 .LBB46_1977
; %bb.1974:
	s_cmp_eq_u32 s2, 15
	s_mov_b32 s0, -1
	s_cbranch_scc0 .LBB46_1976
; %bb.1975:
	s_wait_xcnt 0x0
	v_cndmask_b32_e64 v2, 0, 1.0, s1
	s_mov_b32 s0, 0
	s_delay_alu instid0(VALU_DEP_1) | instskip(NEXT) | instid1(VALU_DEP_1)
	v_bfe_u32 v3, v2, 16, 1
	v_add3_u32 v2, v2, v3, 0x7fff
	global_store_d16_hi_b16 v[0:1], v2, off
.LBB46_1976:
	s_mov_b32 s3, 0
.LBB46_1977:
	s_delay_alu instid0(SALU_CYCLE_1)
	s_and_b32 vcc_lo, exec_lo, s3
	s_mov_b32 s3, 0
	s_cbranch_vccz .LBB46_1979
; %bb.1978:
	s_cmp_lg_u32 s2, 11
	s_mov_b32 s3, -1
	s_cselect_b32 s0, -1, 0
.LBB46_1979:
	s_delay_alu instid0(SALU_CYCLE_1)
	s_and_b32 vcc_lo, exec_lo, s0
	s_cbranch_vccnz .LBB46_2045
.LBB46_1980:
	s_mov_b32 s0, 0
	s_branch .LBB46_1982
.LBB46_1981:
	s_mov_b32 s0, 0
	s_mov_b32 s3, 0
                                        ; implicit-def: $sgpr1
                                        ; implicit-def: $sgpr13
                                        ; implicit-def: $vgpr0_vgpr1
.LBB46_1982:
	s_and_not1_b32 s2, s12, exec_lo
	s_and_b32 s4, s9, exec_lo
	s_and_b32 s0, s0, exec_lo
	;; [unrolled: 1-line block ×3, first 2 shown]
	s_or_b32 s12, s2, s4
.LBB46_1983:
	s_wait_xcnt 0x0
	s_or_b32 exec_lo, exec_lo, s11
	s_and_saveexec_b32 s2, s12
	s_cbranch_execz .LBB46_1986
; %bb.1984:
	; divergent unreachable
	s_or_b32 exec_lo, exec_lo, s2
	s_and_saveexec_b32 s2, s9
	s_delay_alu instid0(SALU_CYCLE_1)
	s_xor_b32 s2, exec_lo, s2
	s_cbranch_execnz .LBB46_1987
.LBB46_1985:
	s_or_b32 exec_lo, exec_lo, s2
	s_and_saveexec_b32 s2, s0
	s_cbranch_execnz .LBB46_1988
	s_branch .LBB46_2025
.LBB46_1986:
	s_or_b32 exec_lo, exec_lo, s2
	s_and_saveexec_b32 s2, s9
	s_delay_alu instid0(SALU_CYCLE_1)
	s_xor_b32 s2, exec_lo, s2
	s_cbranch_execz .LBB46_1985
.LBB46_1987:
	s_wait_loadcnt 0x0
	v_cndmask_b32_e64 v2, 0, 1, s1
	global_store_b8 v[0:1], v2, off
	s_wait_xcnt 0x0
	s_or_b32 exec_lo, exec_lo, s2
	s_and_saveexec_b32 s2, s0
	s_cbranch_execz .LBB46_2025
.LBB46_1988:
	s_sext_i32_i16 s2, s13
	s_mov_b32 s0, -1
	s_cmp_lt_i32 s2, 5
	s_cbranch_scc1 .LBB46_2009
; %bb.1989:
	s_cmp_lt_i32 s2, 8
	s_cbranch_scc1 .LBB46_1999
; %bb.1990:
	;; [unrolled: 3-line block ×3, first 2 shown]
	s_cmp_gt_i32 s2, 9
	s_cbranch_scc0 .LBB46_1993
; %bb.1992:
	s_wait_loadcnt 0x0
	v_cndmask_b32_e64 v2, 0, 1, s1
	v_mov_b32_e32 v4, 0
	s_mov_b32 s0, 0
	s_delay_alu instid0(VALU_DEP_2) | instskip(NEXT) | instid1(VALU_DEP_2)
	v_cvt_f64_u32_e32 v[2:3], v2
	v_mov_b32_e32 v5, v4
	global_store_b128 v[0:1], v[2:5], off
.LBB46_1993:
	s_and_not1_b32 vcc_lo, exec_lo, s0
	s_cbranch_vccnz .LBB46_1995
; %bb.1994:
	s_wait_loadcnt 0x0
	v_cndmask_b32_e64 v2, 0, 1.0, s1
	v_mov_b32_e32 v3, 0
	global_store_b64 v[0:1], v[2:3], off
.LBB46_1995:
	s_mov_b32 s0, 0
.LBB46_1996:
	s_delay_alu instid0(SALU_CYCLE_1)
	s_and_not1_b32 vcc_lo, exec_lo, s0
	s_cbranch_vccnz .LBB46_1998
; %bb.1997:
	s_wait_loadcnt 0x0
	v_cndmask_b32_e64 v2, 0, 1.0, s1
	s_delay_alu instid0(VALU_DEP_1) | instskip(NEXT) | instid1(VALU_DEP_1)
	v_cvt_f16_f32_e32 v2, v2
	v_and_b32_e32 v2, 0xffff, v2
	global_store_b32 v[0:1], v2, off
.LBB46_1998:
	s_mov_b32 s0, 0
.LBB46_1999:
	s_delay_alu instid0(SALU_CYCLE_1)
	s_and_not1_b32 vcc_lo, exec_lo, s0
	s_cbranch_vccnz .LBB46_2008
; %bb.2000:
	s_sext_i32_i16 s2, s13
	s_mov_b32 s0, -1
	s_cmp_lt_i32 s2, 6
	s_cbranch_scc1 .LBB46_2006
; %bb.2001:
	s_cmp_gt_i32 s2, 6
	s_cbranch_scc0 .LBB46_2003
; %bb.2002:
	s_wait_loadcnt 0x0
	v_cndmask_b32_e64 v2, 0, 1, s1
	s_mov_b32 s0, 0
	s_delay_alu instid0(VALU_DEP_1)
	v_cvt_f64_u32_e32 v[2:3], v2
	global_store_b64 v[0:1], v[2:3], off
.LBB46_2003:
	s_and_not1_b32 vcc_lo, exec_lo, s0
	s_cbranch_vccnz .LBB46_2005
; %bb.2004:
	s_wait_loadcnt 0x0
	v_cndmask_b32_e64 v2, 0, 1.0, s1
	global_store_b32 v[0:1], v2, off
.LBB46_2005:
	s_mov_b32 s0, 0
.LBB46_2006:
	s_delay_alu instid0(SALU_CYCLE_1)
	s_and_not1_b32 vcc_lo, exec_lo, s0
	s_cbranch_vccnz .LBB46_2008
; %bb.2007:
	s_wait_loadcnt 0x0
	v_cndmask_b32_e64 v2, 0, 1.0, s1
	s_delay_alu instid0(VALU_DEP_1)
	v_cvt_f16_f32_e32 v2, v2
	global_store_b16 v[0:1], v2, off
.LBB46_2008:
	s_mov_b32 s0, 0
.LBB46_2009:
	s_delay_alu instid0(SALU_CYCLE_1)
	s_and_not1_b32 vcc_lo, exec_lo, s0
	s_cbranch_vccnz .LBB46_2025
; %bb.2010:
	s_sext_i32_i16 s2, s13
	s_mov_b32 s0, -1
	s_cmp_lt_i32 s2, 2
	s_cbranch_scc1 .LBB46_2020
; %bb.2011:
	s_cmp_lt_i32 s2, 3
	s_cbranch_scc1 .LBB46_2017
; %bb.2012:
	s_cmp_gt_i32 s2, 3
	s_cbranch_scc0 .LBB46_2014
; %bb.2013:
	s_mov_b32 s0, 0
	s_wait_loadcnt 0x0
	v_cndmask_b32_e64 v2, 0, 1, s1
	v_mov_b32_e32 v3, s0
	global_store_b64 v[0:1], v[2:3], off
.LBB46_2014:
	s_and_not1_b32 vcc_lo, exec_lo, s0
	s_cbranch_vccnz .LBB46_2016
; %bb.2015:
	s_wait_loadcnt 0x0
	v_cndmask_b32_e64 v2, 0, 1, s1
	global_store_b32 v[0:1], v2, off
.LBB46_2016:
	s_mov_b32 s0, 0
.LBB46_2017:
	s_delay_alu instid0(SALU_CYCLE_1)
	s_and_not1_b32 vcc_lo, exec_lo, s0
	s_cbranch_vccnz .LBB46_2019
; %bb.2018:
	s_wait_loadcnt 0x0
	v_cndmask_b32_e64 v2, 0, 1, s1
	global_store_b16 v[0:1], v2, off
.LBB46_2019:
	s_mov_b32 s0, 0
.LBB46_2020:
	s_delay_alu instid0(SALU_CYCLE_1)
	s_and_not1_b32 vcc_lo, exec_lo, s0
	s_cbranch_vccnz .LBB46_2025
; %bb.2021:
	s_wait_loadcnt 0x0
	v_cndmask_b32_e64 v2, 0, 1, s1
	s_sext_i32_i16 s0, s13
	s_delay_alu instid0(SALU_CYCLE_1)
	s_cmp_gt_i32 s0, 0
	s_mov_b32 s0, -1
	s_cbranch_scc0 .LBB46_2023
; %bb.2022:
	s_mov_b32 s0, 0
	global_store_b8 v[0:1], v2, off
.LBB46_2023:
	s_and_not1_b32 vcc_lo, exec_lo, s0
	s_cbranch_vccnz .LBB46_2025
; %bb.2024:
	global_store_b8 v[0:1], v2, off
	s_endpgm
.LBB46_2025:
	s_endpgm
.LBB46_2026:
	s_mov_b32 s3, 0
	s_mov_b32 s0, -1
	s_branch .LBB46_1982
.LBB46_2027:
	s_or_b32 s9, s9, exec_lo
	s_trap 2
	s_cbranch_execz .LBB46_1496
	s_branch .LBB46_1497
.LBB46_2028:
	s_and_not1_saveexec_b32 s10, s10
	s_cbranch_execz .LBB46_1576
.LBB46_2029:
	v_add_f32_e32 v1, 0x46000000, v4
	s_and_not1_b32 s8, s8, exec_lo
	s_delay_alu instid0(VALU_DEP_1) | instskip(NEXT) | instid1(VALU_DEP_1)
	v_and_b32_e32 v1, 0xff, v1
	v_cmp_ne_u32_e32 vcc_lo, 0, v1
	s_and_b32 s14, vcc_lo, exec_lo
	s_delay_alu instid0(SALU_CYCLE_1)
	s_or_b32 s8, s8, s14
	s_or_b32 exec_lo, exec_lo, s10
	v_mov_b32_e32 v5, 0
	s_and_saveexec_b32 s10, s8
	s_cbranch_execnz .LBB46_1577
	s_branch .LBB46_1578
.LBB46_2030:
	s_or_b32 s9, s9, exec_lo
	s_trap 2
	s_cbranch_execz .LBB46_1624
	s_branch .LBB46_1625
.LBB46_2031:
	s_and_not1_saveexec_b32 s8, s8
	s_cbranch_execz .LBB46_1589
.LBB46_2032:
	v_add_f32_e32 v1, 0x42800000, v4
	s_and_not1_b32 s7, s7, exec_lo
	s_delay_alu instid0(VALU_DEP_1) | instskip(NEXT) | instid1(VALU_DEP_1)
	v_and_b32_e32 v1, 0xff, v1
	v_cmp_ne_u32_e32 vcc_lo, 0, v1
	s_and_b32 s10, vcc_lo, exec_lo
	s_delay_alu instid0(SALU_CYCLE_1)
	s_or_b32 s7, s7, s10
	s_or_b32 exec_lo, exec_lo, s8
	v_mov_b32_e32 v5, 0
	s_and_saveexec_b32 s8, s7
	s_cbranch_execnz .LBB46_1590
	s_branch .LBB46_1591
.LBB46_2033:
	s_and_not1_saveexec_b32 s10, s10
	s_cbranch_execz .LBB46_1695
.LBB46_2034:
	v_add_f32_e32 v1, 0x46000000, v4
	s_and_not1_b32 s8, s8, exec_lo
	s_delay_alu instid0(VALU_DEP_1) | instskip(NEXT) | instid1(VALU_DEP_1)
	v_and_b32_e32 v1, 0xff, v1
	v_cmp_ne_u32_e32 vcc_lo, 0, v1
	s_and_b32 s14, vcc_lo, exec_lo
	s_delay_alu instid0(SALU_CYCLE_1)
	s_or_b32 s8, s8, s14
	s_or_b32 exec_lo, exec_lo, s10
	v_mov_b32_e32 v5, 0
	s_and_saveexec_b32 s10, s8
	s_cbranch_execnz .LBB46_1696
	s_branch .LBB46_1697
.LBB46_2035:
	s_or_b32 s9, s9, exec_lo
	s_trap 2
	s_cbranch_execz .LBB46_1743
	s_branch .LBB46_1744
.LBB46_2036:
	s_and_not1_saveexec_b32 s8, s8
	s_cbranch_execz .LBB46_1708
.LBB46_2037:
	v_add_f32_e32 v1, 0x42800000, v4
	s_and_not1_b32 s7, s7, exec_lo
	s_delay_alu instid0(VALU_DEP_1) | instskip(NEXT) | instid1(VALU_DEP_1)
	v_and_b32_e32 v1, 0xff, v1
	v_cmp_ne_u32_e32 vcc_lo, 0, v1
	s_and_b32 s10, vcc_lo, exec_lo
	s_delay_alu instid0(SALU_CYCLE_1)
	s_or_b32 s7, s7, s10
	s_or_b32 exec_lo, exec_lo, s8
	v_mov_b32_e32 v5, 0
	s_and_saveexec_b32 s8, s7
	s_cbranch_execnz .LBB46_1709
	s_branch .LBB46_1710
.LBB46_2038:
	s_and_not1_saveexec_b32 s10, s10
	s_cbranch_execz .LBB46_1814
.LBB46_2039:
	v_add_f32_e32 v1, 0x46000000, v4
	s_and_not1_b32 s8, s8, exec_lo
	s_delay_alu instid0(VALU_DEP_1) | instskip(NEXT) | instid1(VALU_DEP_1)
	v_and_b32_e32 v1, 0xff, v1
	v_cmp_ne_u32_e32 vcc_lo, 0, v1
	s_and_b32 s14, vcc_lo, exec_lo
	s_delay_alu instid0(SALU_CYCLE_1)
	s_or_b32 s8, s8, s14
	s_or_b32 exec_lo, exec_lo, s10
	v_mov_b32_e32 v5, 0
	s_and_saveexec_b32 s10, s8
	s_cbranch_execnz .LBB46_1815
	s_branch .LBB46_1816
.LBB46_2040:
	s_or_b32 s9, s9, exec_lo
	s_trap 2
	s_cbranch_execz .LBB46_1862
	s_branch .LBB46_1863
.LBB46_2041:
	s_and_not1_saveexec_b32 s8, s8
	s_cbranch_execz .LBB46_1827
.LBB46_2042:
	v_add_f32_e32 v1, 0x42800000, v4
	s_and_not1_b32 s7, s7, exec_lo
	s_delay_alu instid0(VALU_DEP_1) | instskip(NEXT) | instid1(VALU_DEP_1)
	v_and_b32_e32 v1, 0xff, v1
	v_cmp_ne_u32_e32 vcc_lo, 0, v1
	s_and_b32 s10, vcc_lo, exec_lo
	s_delay_alu instid0(SALU_CYCLE_1)
	s_or_b32 s7, s7, s10
	s_or_b32 exec_lo, exec_lo, s8
	v_mov_b32_e32 v5, 0
	s_and_saveexec_b32 s8, s7
	s_cbranch_execnz .LBB46_1828
	s_branch .LBB46_1829
.LBB46_2043:
	s_and_not1_saveexec_b32 s6, s6
	s_cbranch_execz .LBB46_1934
.LBB46_2044:
	v_add_f32_e32 v2, 0x46000000, v3
	s_and_not1_b32 s5, s5, exec_lo
	s_delay_alu instid0(VALU_DEP_1) | instskip(NEXT) | instid1(VALU_DEP_1)
	v_and_b32_e32 v2, 0xff, v2
	v_cmp_ne_u32_e32 vcc_lo, 0, v2
	s_and_b32 s7, vcc_lo, exec_lo
	s_delay_alu instid0(SALU_CYCLE_1)
	s_or_b32 s5, s5, s7
	s_or_b32 exec_lo, exec_lo, s6
	v_mov_b32_e32 v4, 0
	s_and_saveexec_b32 s6, s5
	s_cbranch_execnz .LBB46_1935
	s_branch .LBB46_1936
.LBB46_2045:
	s_mov_b32 s3, 0
	s_or_b32 s9, s9, exec_lo
	s_trap 2
	s_branch .LBB46_1980
.LBB46_2046:
	s_and_not1_saveexec_b32 s5, s5
	s_cbranch_execz .LBB46_1946
.LBB46_2047:
	v_add_f32_e32 v2, 0x42800000, v3
	s_and_not1_b32 s4, s4, exec_lo
	s_delay_alu instid0(VALU_DEP_1) | instskip(NEXT) | instid1(VALU_DEP_1)
	v_and_b32_e32 v2, 0xff, v2
	v_cmp_ne_u32_e32 vcc_lo, 0, v2
	s_and_b32 s6, vcc_lo, exec_lo
	s_delay_alu instid0(SALU_CYCLE_1)
	s_or_b32 s4, s4, s6
	s_or_b32 exec_lo, exec_lo, s5
	v_mov_b32_e32 v4, 0
	s_and_saveexec_b32 s5, s4
	s_cbranch_execnz .LBB46_1947
	s_branch .LBB46_1948
	.section	.rodata,"a",@progbits
	.p2align	6, 0x0
	.amdhsa_kernel _ZN2at6native32elementwise_kernel_manual_unrollILi128ELi4EZNS0_15gpu_kernel_implIZZZNS0_12_GLOBAL__N_120isposinf_kernel_implERNS_18TensorIteratorBaseEENKUlvE_clEvENKUlvE0_clEvEUlfE_EEvS5_RKT_EUlibE_EEviT1_
		.amdhsa_group_segment_fixed_size 0
		.amdhsa_private_segment_fixed_size 0
		.amdhsa_kernarg_size 40
		.amdhsa_user_sgpr_count 2
		.amdhsa_user_sgpr_dispatch_ptr 0
		.amdhsa_user_sgpr_queue_ptr 0
		.amdhsa_user_sgpr_kernarg_segment_ptr 1
		.amdhsa_user_sgpr_dispatch_id 0
		.amdhsa_user_sgpr_kernarg_preload_length 0
		.amdhsa_user_sgpr_kernarg_preload_offset 0
		.amdhsa_user_sgpr_private_segment_size 0
		.amdhsa_wavefront_size32 1
		.amdhsa_uses_dynamic_stack 0
		.amdhsa_enable_private_segment 0
		.amdhsa_system_sgpr_workgroup_id_x 1
		.amdhsa_system_sgpr_workgroup_id_y 0
		.amdhsa_system_sgpr_workgroup_id_z 0
		.amdhsa_system_sgpr_workgroup_info 0
		.amdhsa_system_vgpr_workitem_id 0
		.amdhsa_next_free_vgpr 14
		.amdhsa_next_free_sgpr 27
		.amdhsa_named_barrier_count 0
		.amdhsa_reserve_vcc 1
		.amdhsa_float_round_mode_32 0
		.amdhsa_float_round_mode_16_64 0
		.amdhsa_float_denorm_mode_32 3
		.amdhsa_float_denorm_mode_16_64 3
		.amdhsa_fp16_overflow 0
		.amdhsa_memory_ordered 1
		.amdhsa_forward_progress 1
		.amdhsa_inst_pref_size 255
		.amdhsa_round_robin_scheduling 0
		.amdhsa_exception_fp_ieee_invalid_op 0
		.amdhsa_exception_fp_denorm_src 0
		.amdhsa_exception_fp_ieee_div_zero 0
		.amdhsa_exception_fp_ieee_overflow 0
		.amdhsa_exception_fp_ieee_underflow 0
		.amdhsa_exception_fp_ieee_inexact 0
		.amdhsa_exception_int_div_zero 0
	.end_amdhsa_kernel
	.section	.text._ZN2at6native32elementwise_kernel_manual_unrollILi128ELi4EZNS0_15gpu_kernel_implIZZZNS0_12_GLOBAL__N_120isposinf_kernel_implERNS_18TensorIteratorBaseEENKUlvE_clEvENKUlvE0_clEvEUlfE_EEvS5_RKT_EUlibE_EEviT1_,"axG",@progbits,_ZN2at6native32elementwise_kernel_manual_unrollILi128ELi4EZNS0_15gpu_kernel_implIZZZNS0_12_GLOBAL__N_120isposinf_kernel_implERNS_18TensorIteratorBaseEENKUlvE_clEvENKUlvE0_clEvEUlfE_EEvS5_RKT_EUlibE_EEviT1_,comdat
.Lfunc_end46:
	.size	_ZN2at6native32elementwise_kernel_manual_unrollILi128ELi4EZNS0_15gpu_kernel_implIZZZNS0_12_GLOBAL__N_120isposinf_kernel_implERNS_18TensorIteratorBaseEENKUlvE_clEvENKUlvE0_clEvEUlfE_EEvS5_RKT_EUlibE_EEviT1_, .Lfunc_end46-_ZN2at6native32elementwise_kernel_manual_unrollILi128ELi4EZNS0_15gpu_kernel_implIZZZNS0_12_GLOBAL__N_120isposinf_kernel_implERNS_18TensorIteratorBaseEENKUlvE_clEvENKUlvE0_clEvEUlfE_EEvS5_RKT_EUlibE_EEviT1_
                                        ; -- End function
	.set _ZN2at6native32elementwise_kernel_manual_unrollILi128ELi4EZNS0_15gpu_kernel_implIZZZNS0_12_GLOBAL__N_120isposinf_kernel_implERNS_18TensorIteratorBaseEENKUlvE_clEvENKUlvE0_clEvEUlfE_EEvS5_RKT_EUlibE_EEviT1_.num_vgpr, 14
	.set _ZN2at6native32elementwise_kernel_manual_unrollILi128ELi4EZNS0_15gpu_kernel_implIZZZNS0_12_GLOBAL__N_120isposinf_kernel_implERNS_18TensorIteratorBaseEENKUlvE_clEvENKUlvE0_clEvEUlfE_EEvS5_RKT_EUlibE_EEviT1_.num_agpr, 0
	.set _ZN2at6native32elementwise_kernel_manual_unrollILi128ELi4EZNS0_15gpu_kernel_implIZZZNS0_12_GLOBAL__N_120isposinf_kernel_implERNS_18TensorIteratorBaseEENKUlvE_clEvENKUlvE0_clEvEUlfE_EEvS5_RKT_EUlibE_EEviT1_.numbered_sgpr, 27
	.set _ZN2at6native32elementwise_kernel_manual_unrollILi128ELi4EZNS0_15gpu_kernel_implIZZZNS0_12_GLOBAL__N_120isposinf_kernel_implERNS_18TensorIteratorBaseEENKUlvE_clEvENKUlvE0_clEvEUlfE_EEvS5_RKT_EUlibE_EEviT1_.num_named_barrier, 0
	.set _ZN2at6native32elementwise_kernel_manual_unrollILi128ELi4EZNS0_15gpu_kernel_implIZZZNS0_12_GLOBAL__N_120isposinf_kernel_implERNS_18TensorIteratorBaseEENKUlvE_clEvENKUlvE0_clEvEUlfE_EEvS5_RKT_EUlibE_EEviT1_.private_seg_size, 0
	.set _ZN2at6native32elementwise_kernel_manual_unrollILi128ELi4EZNS0_15gpu_kernel_implIZZZNS0_12_GLOBAL__N_120isposinf_kernel_implERNS_18TensorIteratorBaseEENKUlvE_clEvENKUlvE0_clEvEUlfE_EEvS5_RKT_EUlibE_EEviT1_.uses_vcc, 1
	.set _ZN2at6native32elementwise_kernel_manual_unrollILi128ELi4EZNS0_15gpu_kernel_implIZZZNS0_12_GLOBAL__N_120isposinf_kernel_implERNS_18TensorIteratorBaseEENKUlvE_clEvENKUlvE0_clEvEUlfE_EEvS5_RKT_EUlibE_EEviT1_.uses_flat_scratch, 0
	.set _ZN2at6native32elementwise_kernel_manual_unrollILi128ELi4EZNS0_15gpu_kernel_implIZZZNS0_12_GLOBAL__N_120isposinf_kernel_implERNS_18TensorIteratorBaseEENKUlvE_clEvENKUlvE0_clEvEUlfE_EEvS5_RKT_EUlibE_EEviT1_.has_dyn_sized_stack, 0
	.set _ZN2at6native32elementwise_kernel_manual_unrollILi128ELi4EZNS0_15gpu_kernel_implIZZZNS0_12_GLOBAL__N_120isposinf_kernel_implERNS_18TensorIteratorBaseEENKUlvE_clEvENKUlvE0_clEvEUlfE_EEvS5_RKT_EUlibE_EEviT1_.has_recursion, 0
	.set _ZN2at6native32elementwise_kernel_manual_unrollILi128ELi4EZNS0_15gpu_kernel_implIZZZNS0_12_GLOBAL__N_120isposinf_kernel_implERNS_18TensorIteratorBaseEENKUlvE_clEvENKUlvE0_clEvEUlfE_EEvS5_RKT_EUlibE_EEviT1_.has_indirect_call, 0
	.section	.AMDGPU.csdata,"",@progbits
; Kernel info:
; codeLenInByte = 35804
; TotalNumSgprs: 29
; NumVgprs: 14
; ScratchSize: 0
; MemoryBound: 1
; FloatMode: 240
; IeeeMode: 1
; LDSByteSize: 0 bytes/workgroup (compile time only)
; SGPRBlocks: 0
; VGPRBlocks: 0
; NumSGPRsForWavesPerEU: 29
; NumVGPRsForWavesPerEU: 14
; NamedBarCnt: 0
; Occupancy: 16
; WaveLimiterHint : 0
; COMPUTE_PGM_RSRC2:SCRATCH_EN: 0
; COMPUTE_PGM_RSRC2:USER_SGPR: 2
; COMPUTE_PGM_RSRC2:TRAP_HANDLER: 0
; COMPUTE_PGM_RSRC2:TGID_X_EN: 1
; COMPUTE_PGM_RSRC2:TGID_Y_EN: 0
; COMPUTE_PGM_RSRC2:TGID_Z_EN: 0
; COMPUTE_PGM_RSRC2:TIDIG_COMP_CNT: 0
	.section	.text._ZN2at6native32elementwise_kernel_manual_unrollILi128ELi4EZNS0_15gpu_kernel_implIZZZNS0_12_GLOBAL__N_120isposinf_kernel_implERNS_18TensorIteratorBaseEENKUlvE_clEvENKUlvE0_clEvEUlfE_EEvS5_RKT_EUlibE0_EEviT1_,"axG",@progbits,_ZN2at6native32elementwise_kernel_manual_unrollILi128ELi4EZNS0_15gpu_kernel_implIZZZNS0_12_GLOBAL__N_120isposinf_kernel_implERNS_18TensorIteratorBaseEENKUlvE_clEvENKUlvE0_clEvEUlfE_EEvS5_RKT_EUlibE0_EEviT1_,comdat
	.globl	_ZN2at6native32elementwise_kernel_manual_unrollILi128ELi4EZNS0_15gpu_kernel_implIZZZNS0_12_GLOBAL__N_120isposinf_kernel_implERNS_18TensorIteratorBaseEENKUlvE_clEvENKUlvE0_clEvEUlfE_EEvS5_RKT_EUlibE0_EEviT1_ ; -- Begin function _ZN2at6native32elementwise_kernel_manual_unrollILi128ELi4EZNS0_15gpu_kernel_implIZZZNS0_12_GLOBAL__N_120isposinf_kernel_implERNS_18TensorIteratorBaseEENKUlvE_clEvENKUlvE0_clEvEUlfE_EEvS5_RKT_EUlibE0_EEviT1_
	.p2align	8
	.type	_ZN2at6native32elementwise_kernel_manual_unrollILi128ELi4EZNS0_15gpu_kernel_implIZZZNS0_12_GLOBAL__N_120isposinf_kernel_implERNS_18TensorIteratorBaseEENKUlvE_clEvENKUlvE0_clEvEUlfE_EEvS5_RKT_EUlibE0_EEviT1_,@function
_ZN2at6native32elementwise_kernel_manual_unrollILi128ELi4EZNS0_15gpu_kernel_implIZZZNS0_12_GLOBAL__N_120isposinf_kernel_implERNS_18TensorIteratorBaseEENKUlvE_clEvENKUlvE0_clEvEUlfE_EEvS5_RKT_EUlibE0_EEviT1_: ; @_ZN2at6native32elementwise_kernel_manual_unrollILi128ELi4EZNS0_15gpu_kernel_implIZZZNS0_12_GLOBAL__N_120isposinf_kernel_implERNS_18TensorIteratorBaseEENKUlvE_clEvENKUlvE0_clEvEUlfE_EEvS5_RKT_EUlibE0_EEviT1_
; %bb.0:
	s_clause 0x1
	s_load_b32 s28, s[0:1], 0x8
	s_load_b32 s36, s[0:1], 0x0
	s_bfe_u32 s2, ttmp6, 0x4000c
	s_and_b32 s3, ttmp6, 15
	s_add_co_i32 s2, s2, 1
	s_getreg_b32 s4, hwreg(HW_REG_IB_STS2, 6, 4)
	s_mul_i32 s2, ttmp9, s2
	s_mov_b32 s30, 0
	s_add_co_i32 s3, s3, s2
	s_cmp_eq_u32 s4, 0
	s_mov_b32 s24, -1
	s_cselect_b32 s2, ttmp9, s3
	s_mov_b32 s8, 0
	v_lshl_or_b32 v0, s2, 9, v0
	s_add_nc_u64 s[2:3], s[0:1], 8
	s_wait_xcnt 0x0
	s_mov_b32 s0, exec_lo
	s_delay_alu instid0(VALU_DEP_1) | instskip(SKIP_2) | instid1(SALU_CYCLE_1)
	v_or_b32_e32 v9, 0x180, v0
	s_wait_kmcnt 0x0
	s_add_co_i32 s29, s28, -1
	s_cmp_gt_u32 s29, 1
	s_cselect_b32 s31, -1, 0
	v_cmpx_le_i32_e64 s36, v9
	s_xor_b32 s33, exec_lo, s0
	s_cbranch_execz .LBB47_1096
; %bb.1:
	v_mov_b32_e32 v1, 0
	s_clause 0x3
	s_load_b128 s[12:15], s[2:3], 0x4
	s_load_b64 s[18:19], s[2:3], 0x14
	s_load_b128 s[8:11], s[2:3], 0xc4
	s_load_b128 s[4:7], s[2:3], 0x148
	s_cmp_lg_u32 s28, 0
	s_mov_b32 s17, 0
	s_cselect_b32 s38, -1, 0
	global_load_u16 v1, v1, s[2:3] offset:345
	s_min_u32 s37, s29, 15
	s_cmp_gt_u32 s28, 1
	s_add_nc_u64 s[22:23], s[2:3], 0xc4
	s_cselect_b32 s35, -1, 0
	s_mov_b32 s21, s17
	s_mov_b32 s39, s17
	s_mov_b32 s40, exec_lo
	s_wait_kmcnt 0x0
	s_mov_b32 s16, s13
	s_mov_b32 s20, s18
	;; [unrolled: 1-line block ×3, first 2 shown]
	s_wait_loadcnt 0x0
	v_readfirstlane_b32 s34, v1
	s_and_b32 s0, 0xffff, s34
	s_delay_alu instid0(SALU_CYCLE_1)
	s_lshr_b32 s13, s0, 8
	v_cmpx_gt_i32_e64 s36, v0
	s_cbranch_execz .LBB47_267
; %bb.2:
	s_and_not1_b32 vcc_lo, exec_lo, s31
	s_cbranch_vccnz .LBB47_8
; %bb.3:
	s_and_not1_b32 vcc_lo, exec_lo, s38
	s_cbranch_vccnz .LBB47_9
; %bb.4:
	s_add_co_i32 s1, s37, 1
	s_cmp_eq_u32 s29, 2
	s_cbranch_scc1 .LBB47_10
; %bb.5:
	v_dual_mov_b32 v2, 0 :: v_dual_mov_b32 v4, 0
	v_mov_b32_e32 v1, v0
	s_and_b32 s0, s1, 28
	s_mov_b32 s18, 0
	s_mov_b64 s[24:25], s[2:3]
	s_mov_b64 s[26:27], s[22:23]
.LBB47_6:                               ; =>This Inner Loop Header: Depth=1
	s_clause 0x1
	s_load_b256 s[44:51], s[24:25], 0x4
	s_load_b128 s[60:63], s[24:25], 0x24
	s_load_b256 s[52:59], s[26:27], 0x0
	s_add_co_i32 s18, s18, 4
	s_wait_xcnt 0x0
	s_add_nc_u64 s[24:25], s[24:25], 48
	s_cmp_lg_u32 s0, s18
	s_add_nc_u64 s[26:27], s[26:27], 32
	s_wait_kmcnt 0x0
	v_mul_hi_u32 v3, s45, v1
	s_delay_alu instid0(VALU_DEP_1) | instskip(NEXT) | instid1(VALU_DEP_1)
	v_add_nc_u32_e32 v3, v1, v3
	v_lshrrev_b32_e32 v3, s46, v3
	s_delay_alu instid0(VALU_DEP_1) | instskip(NEXT) | instid1(VALU_DEP_1)
	v_mul_hi_u32 v5, s48, v3
	v_add_nc_u32_e32 v5, v3, v5
	s_delay_alu instid0(VALU_DEP_1) | instskip(NEXT) | instid1(VALU_DEP_1)
	v_lshrrev_b32_e32 v5, s49, v5
	v_mul_hi_u32 v6, s51, v5
	s_delay_alu instid0(VALU_DEP_1) | instskip(SKIP_1) | instid1(VALU_DEP_1)
	v_add_nc_u32_e32 v6, v5, v6
	v_mul_lo_u32 v7, v3, s44
	v_sub_nc_u32_e32 v1, v1, v7
	v_mul_lo_u32 v7, v5, s47
	s_delay_alu instid0(VALU_DEP_4) | instskip(NEXT) | instid1(VALU_DEP_3)
	v_lshrrev_b32_e32 v6, s60, v6
	v_mad_u32 v4, v1, s53, v4
	v_mad_u32 v1, v1, s52, v2
	s_delay_alu instid0(VALU_DEP_4) | instskip(NEXT) | instid1(VALU_DEP_4)
	v_sub_nc_u32_e32 v2, v3, v7
	v_mul_hi_u32 v8, s62, v6
	v_mul_lo_u32 v3, v6, s50
	s_delay_alu instid0(VALU_DEP_3) | instskip(SKIP_1) | instid1(VALU_DEP_3)
	v_mad_u32 v4, v2, s55, v4
	v_mad_u32 v2, v2, s54, v1
	v_dual_add_nc_u32 v7, v6, v8 :: v_dual_sub_nc_u32 v3, v5, v3
	s_delay_alu instid0(VALU_DEP_1) | instskip(NEXT) | instid1(VALU_DEP_2)
	v_lshrrev_b32_e32 v1, s63, v7
	v_mad_u32 v4, v3, s57, v4
	s_delay_alu instid0(VALU_DEP_4) | instskip(NEXT) | instid1(VALU_DEP_3)
	v_mad_u32 v2, v3, s56, v2
	v_mul_lo_u32 v5, v1, s61
	s_delay_alu instid0(VALU_DEP_1) | instskip(NEXT) | instid1(VALU_DEP_1)
	v_sub_nc_u32_e32 v3, v6, v5
	v_mad_u32 v4, v3, s59, v4
	s_delay_alu instid0(VALU_DEP_4)
	v_mad_u32 v2, v3, s58, v2
	s_cbranch_scc1 .LBB47_6
; %bb.7:
	s_delay_alu instid0(VALU_DEP_2)
	v_mov_b32_e32 v3, v4
	s_and_b32 s18, s1, 3
	s_mov_b32 s1, 0
	s_cmp_eq_u32 s18, 0
	s_cbranch_scc0 .LBB47_11
	s_branch .LBB47_14
.LBB47_8:
                                        ; implicit-def: $vgpr4
                                        ; implicit-def: $vgpr2
	s_branch .LBB47_15
.LBB47_9:
	v_dual_mov_b32 v4, 0 :: v_dual_mov_b32 v2, 0
	s_branch .LBB47_14
.LBB47_10:
	v_mov_b64_e32 v[2:3], 0
	v_mov_b32_e32 v1, v0
	s_mov_b32 s0, 0
                                        ; implicit-def: $vgpr4
	s_and_b32 s18, s1, 3
	s_mov_b32 s1, 0
	s_cmp_eq_u32 s18, 0
	s_cbranch_scc1 .LBB47_14
.LBB47_11:
	s_lshl_b32 s24, s0, 3
	s_mov_b32 s25, s1
	s_mul_u64 s[26:27], s[0:1], 12
	s_add_nc_u64 s[24:25], s[2:3], s[24:25]
	s_delay_alu instid0(SALU_CYCLE_1)
	s_add_nc_u64 s[0:1], s[24:25], 0xc4
	s_add_nc_u64 s[24:25], s[2:3], s[26:27]
.LBB47_12:                              ; =>This Inner Loop Header: Depth=1
	s_load_b96 s[44:46], s[24:25], 0x4
	s_load_b64 s[26:27], s[0:1], 0x0
	s_add_co_i32 s18, s18, -1
	s_wait_xcnt 0x0
	s_add_nc_u64 s[24:25], s[24:25], 12
	s_cmp_lg_u32 s18, 0
	s_add_nc_u64 s[0:1], s[0:1], 8
	s_wait_kmcnt 0x0
	v_mul_hi_u32 v4, s45, v1
	s_delay_alu instid0(VALU_DEP_1) | instskip(NEXT) | instid1(VALU_DEP_1)
	v_add_nc_u32_e32 v4, v1, v4
	v_lshrrev_b32_e32 v4, s46, v4
	s_delay_alu instid0(VALU_DEP_1) | instskip(NEXT) | instid1(VALU_DEP_1)
	v_mul_lo_u32 v5, v4, s44
	v_sub_nc_u32_e32 v1, v1, v5
	s_delay_alu instid0(VALU_DEP_1)
	v_mad_u32 v3, v1, s27, v3
	v_mad_u32 v2, v1, s26, v2
	v_mov_b32_e32 v1, v4
	s_cbranch_scc1 .LBB47_12
; %bb.13:
	s_delay_alu instid0(VALU_DEP_3)
	v_mov_b32_e32 v4, v3
.LBB47_14:
	s_cbranch_execnz .LBB47_17
.LBB47_15:
	v_mov_b32_e32 v1, 0
	s_and_not1_b32 vcc_lo, exec_lo, s35
	s_delay_alu instid0(VALU_DEP_1) | instskip(NEXT) | instid1(VALU_DEP_1)
	v_mul_u64_e32 v[2:3], s[16:17], v[0:1]
	v_add_nc_u32_e32 v2, v0, v3
	s_delay_alu instid0(VALU_DEP_1) | instskip(NEXT) | instid1(VALU_DEP_1)
	v_lshrrev_b32_e32 v6, s14, v2
	v_mul_lo_u32 v2, v6, s12
	s_delay_alu instid0(VALU_DEP_1) | instskip(NEXT) | instid1(VALU_DEP_1)
	v_sub_nc_u32_e32 v2, v0, v2
	v_mul_lo_u32 v4, v2, s9
	v_mul_lo_u32 v2, v2, s8
	s_cbranch_vccnz .LBB47_17
; %bb.16:
	v_mov_b32_e32 v7, v1
	s_delay_alu instid0(VALU_DEP_1) | instskip(NEXT) | instid1(VALU_DEP_1)
	v_mul_u64_e32 v[8:9], s[20:21], v[6:7]
	v_add_nc_u32_e32 v1, v6, v9
	s_delay_alu instid0(VALU_DEP_1) | instskip(NEXT) | instid1(VALU_DEP_1)
	v_lshrrev_b32_e32 v1, s19, v1
	v_mul_lo_u32 v1, v1, s15
	s_delay_alu instid0(VALU_DEP_1) | instskip(NEXT) | instid1(VALU_DEP_1)
	v_sub_nc_u32_e32 v1, v6, v1
	v_mad_u32 v2, v1, s10, v2
	v_mad_u32 v4, v1, s11, v4
.LBB47_17:
	v_mov_b32_e32 v5, 0
	s_and_b32 s0, 0xffff, s13
	s_delay_alu instid0(SALU_CYCLE_1) | instskip(NEXT) | instid1(VALU_DEP_1)
	s_cmp_lt_i32 s0, 11
	v_add_nc_u64_e32 v[4:5], s[6:7], v[4:5]
	s_cbranch_scc1 .LBB47_24
; %bb.18:
	s_cmp_gt_i32 s0, 25
	s_cbranch_scc0 .LBB47_33
; %bb.19:
	s_cmp_gt_i32 s0, 28
	s_cbranch_scc0 .LBB47_36
	;; [unrolled: 3-line block ×4, first 2 shown]
; %bb.22:
	s_cmp_eq_u32 s0, 46
	s_mov_b32 s18, 0
	s_cbranch_scc0 .LBB47_42
; %bb.23:
	global_load_b32 v1, v[4:5], off
	s_mov_b32 s1, -1
	s_mov_b32 s24, 0
	s_wait_loadcnt 0x0
	v_lshlrev_b32_e32 v1, 16, v1
	s_branch .LBB47_44
.LBB47_24:
	s_mov_b32 s24, 0
	s_mov_b32 s1, 0
                                        ; implicit-def: $vgpr1
	s_cbranch_execnz .LBB47_217
.LBB47_25:
	s_and_not1_b32 vcc_lo, exec_lo, s1
	s_cbranch_vccnz .LBB47_264
.LBB47_26:
	v_mov_b32_e32 v3, 0
	s_wait_loadcnt 0x0
	s_delay_alu instid0(VALU_DEP_2) | instskip(SKIP_1) | instid1(SALU_CYCLE_1)
	v_cmp_eq_f32_e64 s0, 0x7f800000, v1
	s_and_b32 s18, s34, 0xff
	s_cmp_lt_i32 s18, 11
	v_add_nc_u64_e32 v[2:3], s[4:5], v[2:3]
	s_cbranch_scc1 .LBB47_34
; %bb.27:
	s_and_b32 s25, 0xffff, s18
	s_delay_alu instid0(SALU_CYCLE_1)
	s_cmp_gt_i32 s25, 25
	s_cbranch_scc0 .LBB47_37
; %bb.28:
	s_cmp_gt_i32 s25, 28
	s_cbranch_scc0 .LBB47_39
; %bb.29:
	;; [unrolled: 3-line block ×4, first 2 shown]
	s_mov_b32 s27, 0
	s_mov_b32 s1, -1
	s_cmp_eq_u32 s25, 46
	s_mov_b32 s26, 0
	s_cbranch_scc0 .LBB47_48
; %bb.32:
	v_cndmask_b32_e64 v1, 0, 1.0, s0
	s_mov_b32 s26, -1
	s_mov_b32 s1, 0
	s_delay_alu instid0(VALU_DEP_1) | instskip(NEXT) | instid1(VALU_DEP_1)
	v_bfe_u32 v4, v1, 16, 1
	v_add3_u32 v1, v1, v4, 0x7fff
	s_delay_alu instid0(VALU_DEP_1)
	v_lshrrev_b32_e32 v1, 16, v1
	global_store_b32 v[2:3], v1, off
	s_branch .LBB47_48
.LBB47_33:
	s_mov_b32 s24, 0
	s_mov_b32 s1, 0
                                        ; implicit-def: $vgpr1
	s_cbranch_execnz .LBB47_182
	s_branch .LBB47_216
.LBB47_34:
	s_mov_b32 s1, 0
	s_mov_b32 s26, 0
	s_cbranch_execnz .LBB47_117
.LBB47_35:
	s_and_not1_b32 vcc_lo, exec_lo, s26
	s_cbranch_vccz .LBB47_155
	s_branch .LBB47_265
.LBB47_36:
	s_mov_b32 s18, -1
	s_mov_b32 s24, 0
	s_mov_b32 s1, 0
                                        ; implicit-def: $vgpr1
	s_branch .LBB47_163
.LBB47_37:
	s_mov_b32 s27, -1
	s_mov_b32 s1, 0
	s_mov_b32 s26, 0
	s_branch .LBB47_75
.LBB47_38:
	s_mov_b32 s18, -1
	s_mov_b32 s24, 0
	s_mov_b32 s1, 0
                                        ; implicit-def: $vgpr1
	s_branch .LBB47_158
.LBB47_39:
	s_mov_b32 s27, -1
	s_mov_b32 s1, 0
	s_mov_b32 s26, 0
	s_branch .LBB47_58
.LBB47_40:
	s_mov_b32 s18, -1
	s_mov_b32 s24, 0
	s_branch .LBB47_43
.LBB47_41:
	s_mov_b32 s27, -1
	s_mov_b32 s1, 0
	s_mov_b32 s26, 0
	s_branch .LBB47_54
.LBB47_42:
	s_mov_b32 s24, -1
.LBB47_43:
	s_mov_b32 s1, 0
                                        ; implicit-def: $vgpr1
.LBB47_44:
	s_and_b32 vcc_lo, exec_lo, s18
	s_cbranch_vccz .LBB47_157
; %bb.45:
	s_cmp_eq_u32 s0, 44
	s_cbranch_scc0 .LBB47_156
; %bb.46:
	global_load_u8 v1, v[4:5], off
	s_mov_b32 s24, 0
	s_mov_b32 s1, -1
	s_wait_loadcnt 0x0
	v_lshlrev_b32_e32 v3, 23, v1
	v_cmp_ne_u32_e32 vcc_lo, 0xff, v1
	s_delay_alu instid0(VALU_DEP_2) | instskip(SKIP_1) | instid1(VALU_DEP_2)
	v_cndmask_b32_e32 v3, 0x7f800001, v3, vcc_lo
	v_cmp_ne_u32_e32 vcc_lo, 0, v1
	v_cndmask_b32_e32 v1, 0x400000, v3, vcc_lo
	s_branch .LBB47_157
.LBB47_47:
	s_mov_b32 s27, -1
	s_mov_b32 s1, 0
	s_mov_b32 s26, 0
.LBB47_48:
	s_and_b32 vcc_lo, exec_lo, s27
	s_cbranch_vccz .LBB47_53
; %bb.49:
	s_cmp_eq_u32 s25, 44
	s_mov_b32 s1, -1
	s_cbranch_scc0 .LBB47_53
; %bb.50:
	v_cndmask_b32_e64 v5, 0, 1.0, s0
	s_mov_b32 s26, exec_lo
	s_wait_xcnt 0x0
	s_delay_alu instid0(VALU_DEP_1) | instskip(NEXT) | instid1(VALU_DEP_1)
	v_dual_mov_b32 v4, 0xff :: v_dual_lshrrev_b32 v1, 23, v5
	v_cmpx_ne_u32_e32 0xff, v1
; %bb.51:
	v_and_b32_e32 v4, 0x400000, v5
	v_and_or_b32 v5, 0x3fffff, v5, v1
	s_delay_alu instid0(VALU_DEP_2) | instskip(NEXT) | instid1(VALU_DEP_2)
	v_cmp_ne_u32_e32 vcc_lo, 0, v4
	v_cmp_ne_u32_e64 s1, 0, v5
	s_and_b32 s1, vcc_lo, s1
	s_delay_alu instid0(SALU_CYCLE_1) | instskip(NEXT) | instid1(VALU_DEP_1)
	v_cndmask_b32_e64 v4, 0, 1, s1
	v_add_nc_u32_e32 v4, v1, v4
; %bb.52:
	s_or_b32 exec_lo, exec_lo, s26
	s_mov_b32 s26, -1
	s_mov_b32 s1, 0
	global_store_b8 v[2:3], v4, off
.LBB47_53:
	s_mov_b32 s27, 0
.LBB47_54:
	s_delay_alu instid0(SALU_CYCLE_1)
	s_and_b32 vcc_lo, exec_lo, s27
	s_cbranch_vccz .LBB47_57
; %bb.55:
	s_cmp_eq_u32 s25, 29
	s_mov_b32 s1, -1
	s_cbranch_scc0 .LBB47_57
; %bb.56:
	s_mov_b32 s1, 0
	s_wait_xcnt 0x0
	v_cndmask_b32_e64 v4, 0, 1, s0
	v_mov_b32_e32 v5, s1
	s_mov_b32 s26, -1
	s_mov_b32 s27, 0
	global_store_b64 v[2:3], v[4:5], off
	s_branch .LBB47_58
.LBB47_57:
	s_mov_b32 s27, 0
.LBB47_58:
	s_delay_alu instid0(SALU_CYCLE_1)
	s_and_b32 vcc_lo, exec_lo, s27
	s_cbranch_vccz .LBB47_74
; %bb.59:
	s_cmp_lt_i32 s25, 27
	s_mov_b32 s26, -1
	s_cbranch_scc1 .LBB47_65
; %bb.60:
	s_cmp_gt_i32 s25, 27
	s_cbranch_scc0 .LBB47_62
; %bb.61:
	s_wait_xcnt 0x0
	v_cndmask_b32_e64 v1, 0, 1, s0
	s_mov_b32 s26, 0
	global_store_b32 v[2:3], v1, off
.LBB47_62:
	s_and_not1_b32 vcc_lo, exec_lo, s26
	s_cbranch_vccnz .LBB47_64
; %bb.63:
	s_wait_xcnt 0x0
	v_cndmask_b32_e64 v1, 0, 1, s0
	global_store_b16 v[2:3], v1, off
.LBB47_64:
	s_mov_b32 s26, 0
.LBB47_65:
	s_delay_alu instid0(SALU_CYCLE_1)
	s_and_not1_b32 vcc_lo, exec_lo, s26
	s_cbranch_vccnz .LBB47_73
; %bb.66:
	s_wait_xcnt 0x0
	v_cndmask_b32_e64 v4, 0, 1.0, s0
	v_mov_b32_e32 v5, 0x80
	s_mov_b32 s26, exec_lo
	s_delay_alu instid0(VALU_DEP_2)
	v_cmpx_gt_u32_e32 0x43800000, v4
	s_cbranch_execz .LBB47_72
; %bb.67:
	s_mov_b32 s27, 0
	s_mov_b32 s39, exec_lo
                                        ; implicit-def: $vgpr1
	v_cmpx_lt_u32_e32 0x3bffffff, v4
	s_xor_b32 s39, exec_lo, s39
	s_cbranch_execz .LBB47_310
; %bb.68:
	v_bfe_u32 v1, v4, 20, 1
	s_mov_b32 s27, exec_lo
	s_delay_alu instid0(VALU_DEP_1) | instskip(NEXT) | instid1(VALU_DEP_1)
	v_add3_u32 v1, v4, v1, 0x487ffff
                                        ; implicit-def: $vgpr4
	v_lshrrev_b32_e32 v1, 20, v1
	s_and_not1_saveexec_b32 s39, s39
	s_cbranch_execnz .LBB47_311
.LBB47_69:
	s_or_b32 exec_lo, exec_lo, s39
	v_mov_b32_e32 v5, 0
	s_and_saveexec_b32 s39, s27
.LBB47_70:
	v_mov_b32_e32 v5, v1
.LBB47_71:
	s_or_b32 exec_lo, exec_lo, s39
.LBB47_72:
	s_delay_alu instid0(SALU_CYCLE_1)
	s_or_b32 exec_lo, exec_lo, s26
	global_store_b8 v[2:3], v5, off
.LBB47_73:
	s_mov_b32 s26, -1
.LBB47_74:
	s_mov_b32 s27, 0
.LBB47_75:
	s_delay_alu instid0(SALU_CYCLE_1)
	s_and_b32 vcc_lo, exec_lo, s27
	s_cbranch_vccz .LBB47_116
; %bb.76:
	s_cmp_gt_i32 s25, 22
	s_mov_b32 s27, -1
	s_cbranch_scc0 .LBB47_108
; %bb.77:
	s_cmp_lt_i32 s25, 24
	s_mov_b32 s26, -1
	s_cbranch_scc1 .LBB47_97
; %bb.78:
	s_cmp_gt_i32 s25, 24
	s_cbranch_scc0 .LBB47_86
; %bb.79:
	s_wait_xcnt 0x0
	v_cndmask_b32_e64 v4, 0, 1.0, s0
	v_mov_b32_e32 v5, 0x80
	s_mov_b32 s26, exec_lo
	s_delay_alu instid0(VALU_DEP_2)
	v_cmpx_gt_u32_e32 0x47800000, v4
	s_cbranch_execz .LBB47_85
; %bb.80:
	s_mov_b32 s27, 0
	s_mov_b32 s39, exec_lo
                                        ; implicit-def: $vgpr1
	v_cmpx_lt_u32_e32 0x37ffffff, v4
	s_xor_b32 s39, exec_lo, s39
	s_cbranch_execz .LBB47_314
; %bb.81:
	v_bfe_u32 v1, v4, 21, 1
	s_mov_b32 s27, exec_lo
	s_delay_alu instid0(VALU_DEP_1) | instskip(NEXT) | instid1(VALU_DEP_1)
	v_add3_u32 v1, v4, v1, 0x88fffff
                                        ; implicit-def: $vgpr4
	v_lshrrev_b32_e32 v1, 21, v1
	s_and_not1_saveexec_b32 s39, s39
	s_cbranch_execnz .LBB47_315
.LBB47_82:
	s_or_b32 exec_lo, exec_lo, s39
	v_mov_b32_e32 v5, 0
	s_and_saveexec_b32 s39, s27
.LBB47_83:
	v_mov_b32_e32 v5, v1
.LBB47_84:
	s_or_b32 exec_lo, exec_lo, s39
.LBB47_85:
	s_delay_alu instid0(SALU_CYCLE_1)
	s_or_b32 exec_lo, exec_lo, s26
	s_mov_b32 s26, 0
	global_store_b8 v[2:3], v5, off
.LBB47_86:
	s_and_b32 vcc_lo, exec_lo, s26
	s_cbranch_vccz .LBB47_96
; %bb.87:
	s_wait_xcnt 0x0
	v_cndmask_b32_e64 v4, 0, 1.0, s0
	s_mov_b32 s26, exec_lo
                                        ; implicit-def: $vgpr1
	s_delay_alu instid0(VALU_DEP_1)
	v_cmpx_gt_u32_e32 0x43f00000, v4
	s_xor_b32 s26, exec_lo, s26
	s_cbranch_execz .LBB47_93
; %bb.88:
	s_mov_b32 s27, exec_lo
                                        ; implicit-def: $vgpr1
	v_cmpx_lt_u32_e32 0x3c7fffff, v4
	s_xor_b32 s27, exec_lo, s27
; %bb.89:
	v_bfe_u32 v1, v4, 20, 1
	s_delay_alu instid0(VALU_DEP_1) | instskip(NEXT) | instid1(VALU_DEP_1)
	v_add3_u32 v1, v4, v1, 0x407ffff
	v_and_b32_e32 v4, 0xff00000, v1
	v_lshrrev_b32_e32 v1, 20, v1
	s_delay_alu instid0(VALU_DEP_2) | instskip(NEXT) | instid1(VALU_DEP_2)
	v_cmp_ne_u32_e32 vcc_lo, 0x7f00000, v4
                                        ; implicit-def: $vgpr4
	v_cndmask_b32_e32 v1, 0x7e, v1, vcc_lo
; %bb.90:
	s_and_not1_saveexec_b32 s27, s27
; %bb.91:
	v_add_f32_e32 v1, 0x46800000, v4
; %bb.92:
	s_or_b32 exec_lo, exec_lo, s27
                                        ; implicit-def: $vgpr4
.LBB47_93:
	s_and_not1_saveexec_b32 s26, s26
; %bb.94:
	v_mov_b32_e32 v1, 0x7f
	v_cmp_lt_u32_e32 vcc_lo, 0x7f800000, v4
	s_delay_alu instid0(VALU_DEP_2)
	v_cndmask_b32_e32 v1, 0x7e, v1, vcc_lo
; %bb.95:
	s_or_b32 exec_lo, exec_lo, s26
	global_store_b8 v[2:3], v1, off
.LBB47_96:
	s_mov_b32 s26, 0
.LBB47_97:
	s_delay_alu instid0(SALU_CYCLE_1)
	s_and_not1_b32 vcc_lo, exec_lo, s26
	s_cbranch_vccnz .LBB47_107
; %bb.98:
	s_wait_xcnt 0x0
	v_cndmask_b32_e64 v4, 0, 1.0, s0
	s_mov_b32 s26, exec_lo
                                        ; implicit-def: $vgpr1
	s_delay_alu instid0(VALU_DEP_1)
	v_cmpx_gt_u32_e32 0x47800000, v4
	s_xor_b32 s26, exec_lo, s26
	s_cbranch_execz .LBB47_104
; %bb.99:
	s_mov_b32 s27, exec_lo
                                        ; implicit-def: $vgpr1
	v_cmpx_lt_u32_e32 0x387fffff, v4
	s_xor_b32 s27, exec_lo, s27
; %bb.100:
	v_bfe_u32 v1, v4, 21, 1
	s_delay_alu instid0(VALU_DEP_1) | instskip(NEXT) | instid1(VALU_DEP_1)
	v_add3_u32 v1, v4, v1, 0x80fffff
                                        ; implicit-def: $vgpr4
	v_lshrrev_b32_e32 v1, 21, v1
; %bb.101:
	s_and_not1_saveexec_b32 s27, s27
; %bb.102:
	v_add_f32_e32 v1, 0x43000000, v4
; %bb.103:
	s_or_b32 exec_lo, exec_lo, s27
                                        ; implicit-def: $vgpr4
.LBB47_104:
	s_and_not1_saveexec_b32 s26, s26
; %bb.105:
	v_mov_b32_e32 v1, 0x7f
	v_cmp_lt_u32_e32 vcc_lo, 0x7f800000, v4
	s_delay_alu instid0(VALU_DEP_2)
	v_cndmask_b32_e32 v1, 0x7c, v1, vcc_lo
; %bb.106:
	s_or_b32 exec_lo, exec_lo, s26
	global_store_b8 v[2:3], v1, off
.LBB47_107:
	s_mov_b32 s27, 0
	s_mov_b32 s26, -1
.LBB47_108:
	s_and_not1_b32 vcc_lo, exec_lo, s27
	s_cbranch_vccnz .LBB47_116
; %bb.109:
	s_cmp_gt_i32 s25, 14
	s_mov_b32 s27, -1
	s_cbranch_scc0 .LBB47_113
; %bb.110:
	s_cmp_eq_u32 s25, 15
	s_mov_b32 s1, -1
	s_cbranch_scc0 .LBB47_112
; %bb.111:
	s_wait_xcnt 0x0
	v_cndmask_b32_e64 v1, 0, 1.0, s0
	s_mov_b32 s26, -1
	s_mov_b32 s1, 0
	s_delay_alu instid0(VALU_DEP_1) | instskip(NEXT) | instid1(VALU_DEP_1)
	v_bfe_u32 v4, v1, 16, 1
	v_add3_u32 v1, v1, v4, 0x7fff
	global_store_d16_hi_b16 v[2:3], v1, off
.LBB47_112:
	s_mov_b32 s27, 0
.LBB47_113:
	s_delay_alu instid0(SALU_CYCLE_1)
	s_and_b32 vcc_lo, exec_lo, s27
	s_cbranch_vccz .LBB47_116
; %bb.114:
	s_cmp_eq_u32 s25, 11
	s_mov_b32 s1, -1
	s_cbranch_scc0 .LBB47_116
; %bb.115:
	s_wait_xcnt 0x0
	v_cndmask_b32_e64 v1, 0, 1, s0
	s_mov_b32 s26, -1
	s_mov_b32 s1, 0
	global_store_b8 v[2:3], v1, off
.LBB47_116:
	s_branch .LBB47_35
.LBB47_117:
	s_and_b32 s18, 0xffff, s18
	s_mov_b32 s25, -1
	s_cmp_lt_i32 s18, 5
	s_cbranch_scc1 .LBB47_138
; %bb.118:
	s_cmp_lt_i32 s18, 8
	s_cbranch_scc1 .LBB47_128
; %bb.119:
	;; [unrolled: 3-line block ×3, first 2 shown]
	s_cmp_gt_i32 s18, 9
	s_cbranch_scc0 .LBB47_122
; %bb.121:
	s_wait_xcnt 0x0
	v_cndmask_b32_e64 v1, 0, 1, s0
	v_mov_b32_e32 v6, 0
	s_mov_b32 s25, 0
	s_delay_alu instid0(VALU_DEP_2) | instskip(NEXT) | instid1(VALU_DEP_2)
	v_cvt_f64_u32_e32 v[4:5], v1
	v_mov_b32_e32 v7, v6
	global_store_b128 v[2:3], v[4:7], off
.LBB47_122:
	s_and_not1_b32 vcc_lo, exec_lo, s25
	s_cbranch_vccnz .LBB47_124
; %bb.123:
	s_wait_xcnt 0x0
	v_cndmask_b32_e64 v4, 0, 1.0, s0
	v_mov_b32_e32 v5, 0
	global_store_b64 v[2:3], v[4:5], off
.LBB47_124:
	s_mov_b32 s25, 0
.LBB47_125:
	s_delay_alu instid0(SALU_CYCLE_1)
	s_and_not1_b32 vcc_lo, exec_lo, s25
	s_cbranch_vccnz .LBB47_127
; %bb.126:
	s_wait_xcnt 0x0
	v_cndmask_b32_e64 v1, 0, 1.0, s0
	s_delay_alu instid0(VALU_DEP_1) | instskip(NEXT) | instid1(VALU_DEP_1)
	v_cvt_f16_f32_e32 v1, v1
	v_and_b32_e32 v1, 0xffff, v1
	global_store_b32 v[2:3], v1, off
.LBB47_127:
	s_mov_b32 s25, 0
.LBB47_128:
	s_delay_alu instid0(SALU_CYCLE_1)
	s_and_not1_b32 vcc_lo, exec_lo, s25
	s_cbranch_vccnz .LBB47_137
; %bb.129:
	s_cmp_lt_i32 s18, 6
	s_mov_b32 s25, -1
	s_cbranch_scc1 .LBB47_135
; %bb.130:
	s_cmp_gt_i32 s18, 6
	s_cbranch_scc0 .LBB47_132
; %bb.131:
	s_wait_xcnt 0x0
	v_cndmask_b32_e64 v1, 0, 1, s0
	s_mov_b32 s25, 0
	s_delay_alu instid0(VALU_DEP_1)
	v_cvt_f64_u32_e32 v[4:5], v1
	global_store_b64 v[2:3], v[4:5], off
.LBB47_132:
	s_and_not1_b32 vcc_lo, exec_lo, s25
	s_cbranch_vccnz .LBB47_134
; %bb.133:
	s_wait_xcnt 0x0
	v_cndmask_b32_e64 v1, 0, 1.0, s0
	global_store_b32 v[2:3], v1, off
.LBB47_134:
	s_mov_b32 s25, 0
.LBB47_135:
	s_delay_alu instid0(SALU_CYCLE_1)
	s_and_not1_b32 vcc_lo, exec_lo, s25
	s_cbranch_vccnz .LBB47_137
; %bb.136:
	s_wait_xcnt 0x0
	v_cndmask_b32_e64 v1, 0, 1.0, s0
	s_delay_alu instid0(VALU_DEP_1)
	v_cvt_f16_f32_e32 v1, v1
	global_store_b16 v[2:3], v1, off
.LBB47_137:
	s_mov_b32 s25, 0
.LBB47_138:
	s_delay_alu instid0(SALU_CYCLE_1)
	s_and_not1_b32 vcc_lo, exec_lo, s25
	s_cbranch_vccnz .LBB47_154
; %bb.139:
	s_cmp_lt_i32 s18, 2
	s_mov_b32 s25, -1
	s_cbranch_scc1 .LBB47_149
; %bb.140:
	s_cmp_lt_i32 s18, 3
	s_cbranch_scc1 .LBB47_146
; %bb.141:
	s_cmp_gt_i32 s18, 3
	s_cbranch_scc0 .LBB47_143
; %bb.142:
	s_mov_b32 s25, 0
	s_wait_xcnt 0x0
	v_cndmask_b32_e64 v4, 0, 1, s0
	v_mov_b32_e32 v5, s25
	global_store_b64 v[2:3], v[4:5], off
.LBB47_143:
	s_and_not1_b32 vcc_lo, exec_lo, s25
	s_cbranch_vccnz .LBB47_145
; %bb.144:
	s_wait_xcnt 0x0
	v_cndmask_b32_e64 v1, 0, 1, s0
	global_store_b32 v[2:3], v1, off
.LBB47_145:
	s_mov_b32 s25, 0
.LBB47_146:
	s_delay_alu instid0(SALU_CYCLE_1)
	s_and_not1_b32 vcc_lo, exec_lo, s25
	s_cbranch_vccnz .LBB47_148
; %bb.147:
	s_wait_xcnt 0x0
	v_cndmask_b32_e64 v1, 0, 1, s0
	global_store_b16 v[2:3], v1, off
.LBB47_148:
	s_mov_b32 s25, 0
.LBB47_149:
	s_delay_alu instid0(SALU_CYCLE_1)
	s_and_not1_b32 vcc_lo, exec_lo, s25
	s_cbranch_vccnz .LBB47_154
; %bb.150:
	s_cmp_gt_i32 s18, 0
	s_mov_b32 s18, -1
	s_cbranch_scc0 .LBB47_152
; %bb.151:
	s_wait_xcnt 0x0
	v_cndmask_b32_e64 v1, 0, 1, s0
	s_mov_b32 s18, 0
	global_store_b8 v[2:3], v1, off
.LBB47_152:
	s_and_not1_b32 vcc_lo, exec_lo, s18
	s_cbranch_vccnz .LBB47_154
; %bb.153:
	s_wait_xcnt 0x0
	v_cndmask_b32_e64 v1, 0, 1, s0
	global_store_b8 v[2:3], v1, off
.LBB47_154:
.LBB47_155:
	v_add_nc_u32_e32 v0, 0x80, v0
	s_mov_b32 s0, -1
	s_branch .LBB47_266
.LBB47_156:
	s_mov_b32 s24, -1
                                        ; implicit-def: $vgpr1
.LBB47_157:
	s_mov_b32 s18, 0
.LBB47_158:
	s_delay_alu instid0(SALU_CYCLE_1)
	s_and_b32 vcc_lo, exec_lo, s18
	s_cbranch_vccz .LBB47_162
; %bb.159:
	s_cmp_eq_u32 s0, 29
	s_cbranch_scc0 .LBB47_161
; %bb.160:
	global_load_b64 v[6:7], v[4:5], off
	s_mov_b32 s1, -1
	s_mov_b32 s24, 0
	s_mov_b32 s18, 0
	s_wait_loadcnt 0x0
	v_clz_i32_u32_e32 v1, v7
	s_delay_alu instid0(VALU_DEP_1) | instskip(NEXT) | instid1(VALU_DEP_1)
	v_min_u32_e32 v1, 32, v1
	v_lshlrev_b64_e32 v[6:7], v1, v[6:7]
	v_sub_nc_u32_e32 v1, 32, v1
	s_delay_alu instid0(VALU_DEP_2) | instskip(NEXT) | instid1(VALU_DEP_1)
	v_min_u32_e32 v3, 1, v6
	v_or_b32_e32 v3, v7, v3
	s_delay_alu instid0(VALU_DEP_1) | instskip(NEXT) | instid1(VALU_DEP_1)
	v_cvt_f32_u32_e32 v3, v3
	v_ldexp_f32 v1, v3, v1
	s_branch .LBB47_163
.LBB47_161:
	s_mov_b32 s24, -1
                                        ; implicit-def: $vgpr1
.LBB47_162:
	s_mov_b32 s18, 0
.LBB47_163:
	s_delay_alu instid0(SALU_CYCLE_1)
	s_and_b32 vcc_lo, exec_lo, s18
	s_cbranch_vccz .LBB47_181
; %bb.164:
	s_cmp_lt_i32 s0, 27
	s_cbranch_scc1 .LBB47_167
; %bb.165:
	s_cmp_gt_i32 s0, 27
	s_cbranch_scc0 .LBB47_168
; %bb.166:
	global_load_b32 v1, v[4:5], off
	s_mov_b32 s1, 0
	s_wait_loadcnt 0x0
	v_cvt_f32_u32_e32 v1, v1
	s_branch .LBB47_169
.LBB47_167:
	s_mov_b32 s1, -1
                                        ; implicit-def: $vgpr1
	s_branch .LBB47_172
.LBB47_168:
	s_mov_b32 s1, -1
                                        ; implicit-def: $vgpr1
.LBB47_169:
	s_delay_alu instid0(SALU_CYCLE_1)
	s_and_not1_b32 vcc_lo, exec_lo, s1
	s_cbranch_vccnz .LBB47_171
; %bb.170:
	global_load_u16 v1, v[4:5], off
	s_wait_loadcnt 0x0
	v_cvt_f32_u32_e32 v1, v1
.LBB47_171:
	s_mov_b32 s1, 0
.LBB47_172:
	s_delay_alu instid0(SALU_CYCLE_1)
	s_and_not1_b32 vcc_lo, exec_lo, s1
	s_cbranch_vccnz .LBB47_180
; %bb.173:
	global_load_u8 v3, v[4:5], off
	s_mov_b32 s1, 0
	s_mov_b32 s18, exec_lo
	s_wait_loadcnt 0x0
	v_cmpx_lt_i16_e32 0x7f, v3
	s_xor_b32 s18, exec_lo, s18
	s_cbranch_execz .LBB47_193
; %bb.174:
	s_mov_b32 s1, -1
	s_mov_b32 s25, exec_lo
	v_cmpx_eq_u16_e32 0x80, v3
; %bb.175:
	s_xor_b32 s1, exec_lo, -1
; %bb.176:
	s_or_b32 exec_lo, exec_lo, s25
	s_delay_alu instid0(SALU_CYCLE_1)
	s_and_b32 s1, s1, exec_lo
	s_or_saveexec_b32 s18, s18
	v_mov_b32_e32 v1, 0x7f800001
	s_xor_b32 exec_lo, exec_lo, s18
	s_cbranch_execnz .LBB47_194
.LBB47_177:
	s_or_b32 exec_lo, exec_lo, s18
	s_and_saveexec_b32 s18, s1
	s_cbranch_execz .LBB47_179
.LBB47_178:
	v_and_b32_e32 v1, 0xffff, v3
	s_delay_alu instid0(VALU_DEP_1) | instskip(SKIP_1) | instid1(VALU_DEP_2)
	v_and_b32_e32 v6, 7, v1
	v_bfe_u32 v9, v1, 3, 4
	v_clz_i32_u32_e32 v7, v6
	s_delay_alu instid0(VALU_DEP_2) | instskip(NEXT) | instid1(VALU_DEP_2)
	v_cmp_eq_u32_e32 vcc_lo, 0, v9
	v_min_u32_e32 v7, 32, v7
	s_delay_alu instid0(VALU_DEP_1) | instskip(NEXT) | instid1(VALU_DEP_1)
	v_subrev_nc_u32_e32 v8, 28, v7
	v_dual_lshlrev_b32 v1, v8, v1 :: v_dual_sub_nc_u32 v7, 29, v7
	s_delay_alu instid0(VALU_DEP_1) | instskip(NEXT) | instid1(VALU_DEP_1)
	v_dual_lshlrev_b32 v3, 24, v3 :: v_dual_bitop2_b32 v1, 7, v1 bitop3:0x40
	v_dual_cndmask_b32 v1, v6, v1, vcc_lo :: v_dual_cndmask_b32 v7, v9, v7, vcc_lo
	s_delay_alu instid0(VALU_DEP_2) | instskip(NEXT) | instid1(VALU_DEP_2)
	v_and_b32_e32 v3, 0x80000000, v3
	v_lshlrev_b32_e32 v1, 20, v1
	s_delay_alu instid0(VALU_DEP_3) | instskip(NEXT) | instid1(VALU_DEP_1)
	v_lshl_add_u32 v6, v7, 23, 0x3b800000
	v_or3_b32 v1, v3, v6, v1
.LBB47_179:
	s_or_b32 exec_lo, exec_lo, s18
.LBB47_180:
	s_mov_b32 s1, -1
.LBB47_181:
	s_branch .LBB47_216
.LBB47_182:
	s_cmp_gt_i32 s0, 22
	s_cbranch_scc0 .LBB47_192
; %bb.183:
	s_cmp_lt_i32 s0, 24
	s_cbranch_scc1 .LBB47_195
; %bb.184:
	s_cmp_gt_i32 s0, 24
	s_cbranch_scc0 .LBB47_196
; %bb.185:
	global_load_u8 v3, v[4:5], off
	s_mov_b32 s1, 0
	s_mov_b32 s18, exec_lo
	s_wait_loadcnt 0x0
	v_cmpx_lt_i16_e32 0x7f, v3
	s_xor_b32 s18, exec_lo, s18
	s_cbranch_execz .LBB47_208
; %bb.186:
	s_mov_b32 s1, -1
	s_mov_b32 s25, exec_lo
	v_cmpx_eq_u16_e32 0x80, v3
; %bb.187:
	s_xor_b32 s1, exec_lo, -1
; %bb.188:
	s_or_b32 exec_lo, exec_lo, s25
	s_delay_alu instid0(SALU_CYCLE_1)
	s_and_b32 s1, s1, exec_lo
	s_or_saveexec_b32 s18, s18
	v_mov_b32_e32 v1, 0x7f800001
	s_xor_b32 exec_lo, exec_lo, s18
	s_cbranch_execnz .LBB47_209
.LBB47_189:
	s_or_b32 exec_lo, exec_lo, s18
	s_and_saveexec_b32 s18, s1
	s_cbranch_execz .LBB47_191
.LBB47_190:
	v_and_b32_e32 v1, 0xffff, v3
	s_delay_alu instid0(VALU_DEP_1) | instskip(SKIP_1) | instid1(VALU_DEP_2)
	v_and_b32_e32 v6, 3, v1
	v_bfe_u32 v9, v1, 2, 5
	v_clz_i32_u32_e32 v7, v6
	s_delay_alu instid0(VALU_DEP_2) | instskip(NEXT) | instid1(VALU_DEP_2)
	v_cmp_eq_u32_e32 vcc_lo, 0, v9
	v_min_u32_e32 v7, 32, v7
	s_delay_alu instid0(VALU_DEP_1) | instskip(NEXT) | instid1(VALU_DEP_1)
	v_subrev_nc_u32_e32 v8, 29, v7
	v_dual_lshlrev_b32 v1, v8, v1 :: v_dual_sub_nc_u32 v7, 30, v7
	s_delay_alu instid0(VALU_DEP_1) | instskip(NEXT) | instid1(VALU_DEP_1)
	v_dual_lshlrev_b32 v3, 24, v3 :: v_dual_bitop2_b32 v1, 3, v1 bitop3:0x40
	v_dual_cndmask_b32 v1, v6, v1, vcc_lo :: v_dual_cndmask_b32 v7, v9, v7, vcc_lo
	s_delay_alu instid0(VALU_DEP_2) | instskip(NEXT) | instid1(VALU_DEP_2)
	v_and_b32_e32 v3, 0x80000000, v3
	v_lshlrev_b32_e32 v1, 21, v1
	s_delay_alu instid0(VALU_DEP_3) | instskip(NEXT) | instid1(VALU_DEP_1)
	v_lshl_add_u32 v6, v7, 23, 0x37800000
	v_or3_b32 v1, v3, v6, v1
.LBB47_191:
	s_or_b32 exec_lo, exec_lo, s18
	s_mov_b32 s1, 0
	s_branch .LBB47_197
.LBB47_192:
	s_mov_b32 s18, -1
                                        ; implicit-def: $vgpr1
	s_branch .LBB47_203
.LBB47_193:
	s_or_saveexec_b32 s18, s18
	v_mov_b32_e32 v1, 0x7f800001
	s_xor_b32 exec_lo, exec_lo, s18
	s_cbranch_execz .LBB47_177
.LBB47_194:
	v_cmp_ne_u16_e32 vcc_lo, 0, v3
	v_mov_b32_e32 v1, 0
	s_and_not1_b32 s1, s1, exec_lo
	s_and_b32 s25, vcc_lo, exec_lo
	s_delay_alu instid0(SALU_CYCLE_1)
	s_or_b32 s1, s1, s25
	s_or_b32 exec_lo, exec_lo, s18
	s_and_saveexec_b32 s18, s1
	s_cbranch_execnz .LBB47_178
	s_branch .LBB47_179
.LBB47_195:
	s_mov_b32 s1, -1
                                        ; implicit-def: $vgpr1
	s_branch .LBB47_200
.LBB47_196:
	s_mov_b32 s1, -1
                                        ; implicit-def: $vgpr1
.LBB47_197:
	s_delay_alu instid0(SALU_CYCLE_1)
	s_and_b32 vcc_lo, exec_lo, s1
	s_cbranch_vccz .LBB47_199
; %bb.198:
	global_load_u8 v1, v[4:5], off
	s_wait_loadcnt 0x0
	v_lshlrev_b32_e32 v1, 24, v1
	s_delay_alu instid0(VALU_DEP_1) | instskip(NEXT) | instid1(VALU_DEP_1)
	v_and_b32_e32 v3, 0x7f000000, v1
	v_clz_i32_u32_e32 v6, v3
	v_cmp_ne_u32_e32 vcc_lo, 0, v3
	v_add_nc_u32_e32 v8, 0x1000000, v3
	s_delay_alu instid0(VALU_DEP_3) | instskip(NEXT) | instid1(VALU_DEP_1)
	v_min_u32_e32 v6, 32, v6
	v_sub_nc_u32_e64 v6, v6, 4 clamp
	s_delay_alu instid0(VALU_DEP_1) | instskip(NEXT) | instid1(VALU_DEP_1)
	v_dual_lshlrev_b32 v7, v6, v3 :: v_dual_lshlrev_b32 v6, 23, v6
	v_lshrrev_b32_e32 v7, 4, v7
	s_delay_alu instid0(VALU_DEP_1) | instskip(NEXT) | instid1(VALU_DEP_1)
	v_dual_sub_nc_u32 v6, v7, v6 :: v_dual_ashrrev_i32 v7, 8, v8
	v_add_nc_u32_e32 v6, 0x3c000000, v6
	s_delay_alu instid0(VALU_DEP_1) | instskip(NEXT) | instid1(VALU_DEP_1)
	v_and_or_b32 v6, 0x7f800000, v7, v6
	v_cndmask_b32_e32 v3, 0, v6, vcc_lo
	s_delay_alu instid0(VALU_DEP_1)
	v_and_or_b32 v1, 0x80000000, v1, v3
.LBB47_199:
	s_mov_b32 s1, 0
.LBB47_200:
	s_delay_alu instid0(SALU_CYCLE_1)
	s_and_not1_b32 vcc_lo, exec_lo, s1
	s_cbranch_vccnz .LBB47_202
; %bb.201:
	global_load_u8 v1, v[4:5], off
	s_wait_loadcnt 0x0
	v_lshlrev_b32_e32 v3, 25, v1
	v_lshlrev_b16 v1, 8, v1
	s_delay_alu instid0(VALU_DEP_1) | instskip(SKIP_1) | instid1(VALU_DEP_2)
	v_and_or_b32 v7, 0x7f00, v1, 0.5
	v_bfe_i32 v1, v1, 0, 16
	v_add_f32_e32 v7, -0.5, v7
	v_lshrrev_b32_e32 v6, 4, v3
	v_cmp_gt_u32_e32 vcc_lo, 0x8000000, v3
	s_delay_alu instid0(VALU_DEP_2) | instskip(NEXT) | instid1(VALU_DEP_1)
	v_or_b32_e32 v6, 0x70000000, v6
	v_mul_f32_e32 v6, 0x7800000, v6
	s_delay_alu instid0(VALU_DEP_1) | instskip(NEXT) | instid1(VALU_DEP_1)
	v_cndmask_b32_e32 v3, v6, v7, vcc_lo
	v_and_or_b32 v1, 0x80000000, v1, v3
.LBB47_202:
	s_mov_b32 s18, 0
	s_mov_b32 s1, -1
.LBB47_203:
	s_and_not1_b32 vcc_lo, exec_lo, s18
	s_cbranch_vccnz .LBB47_216
; %bb.204:
	s_cmp_gt_i32 s0, 14
	s_cbranch_scc0 .LBB47_207
; %bb.205:
	s_cmp_eq_u32 s0, 15
	s_cbranch_scc0 .LBB47_210
; %bb.206:
	global_load_u16 v1, v[4:5], off
	s_mov_b32 s1, -1
	s_mov_b32 s24, 0
	s_wait_loadcnt 0x0
	v_lshlrev_b32_e32 v1, 16, v1
	s_branch .LBB47_211
.LBB47_207:
	s_mov_b32 s18, -1
                                        ; implicit-def: $vgpr1
	s_branch .LBB47_212
.LBB47_208:
	s_or_saveexec_b32 s18, s18
	v_mov_b32_e32 v1, 0x7f800001
	s_xor_b32 exec_lo, exec_lo, s18
	s_cbranch_execz .LBB47_189
.LBB47_209:
	v_cmp_ne_u16_e32 vcc_lo, 0, v3
	v_mov_b32_e32 v1, 0
	s_and_not1_b32 s1, s1, exec_lo
	s_and_b32 s25, vcc_lo, exec_lo
	s_delay_alu instid0(SALU_CYCLE_1)
	s_or_b32 s1, s1, s25
	s_or_b32 exec_lo, exec_lo, s18
	s_and_saveexec_b32 s18, s1
	s_cbranch_execnz .LBB47_190
	s_branch .LBB47_191
.LBB47_210:
	s_mov_b32 s24, -1
                                        ; implicit-def: $vgpr1
.LBB47_211:
	s_mov_b32 s18, 0
.LBB47_212:
	s_delay_alu instid0(SALU_CYCLE_1)
	s_and_b32 vcc_lo, exec_lo, s18
	s_cbranch_vccz .LBB47_216
; %bb.213:
	s_cmp_eq_u32 s0, 11
	s_cbranch_scc0 .LBB47_215
; %bb.214:
	global_load_u8 v1, v[4:5], off
	s_mov_b32 s24, 0
	s_mov_b32 s1, -1
	s_wait_loadcnt 0x0
	v_cmp_ne_u16_e32 vcc_lo, 0, v1
	v_cndmask_b32_e64 v1, 0, 1.0, vcc_lo
	s_branch .LBB47_216
.LBB47_215:
	s_mov_b32 s24, -1
                                        ; implicit-def: $vgpr1
.LBB47_216:
	s_branch .LBB47_25
.LBB47_217:
	s_cmp_lt_i32 s0, 5
	s_cbranch_scc1 .LBB47_222
; %bb.218:
	s_cmp_lt_i32 s0, 8
	s_cbranch_scc1 .LBB47_223
; %bb.219:
	;; [unrolled: 3-line block ×3, first 2 shown]
	s_cmp_gt_i32 s0, 9
	s_cbranch_scc0 .LBB47_225
; %bb.221:
	global_load_b64 v[6:7], v[4:5], off
	s_mov_b32 s1, 0
	s_wait_loadcnt 0x0
	v_cvt_f32_f64_e32 v1, v[6:7]
	s_branch .LBB47_226
.LBB47_222:
                                        ; implicit-def: $vgpr1
	s_branch .LBB47_244
.LBB47_223:
	s_mov_b32 s1, -1
                                        ; implicit-def: $vgpr1
	s_branch .LBB47_232
.LBB47_224:
	s_mov_b32 s1, -1
                                        ; implicit-def: $vgpr1
	s_branch .LBB47_229
.LBB47_225:
	s_mov_b32 s1, -1
                                        ; implicit-def: $vgpr1
.LBB47_226:
	s_delay_alu instid0(SALU_CYCLE_1)
	s_and_not1_b32 vcc_lo, exec_lo, s1
	s_cbranch_vccnz .LBB47_228
; %bb.227:
	global_load_b32 v1, v[4:5], off
.LBB47_228:
	s_mov_b32 s1, 0
.LBB47_229:
	s_delay_alu instid0(SALU_CYCLE_1)
	s_and_not1_b32 vcc_lo, exec_lo, s1
	s_cbranch_vccnz .LBB47_231
; %bb.230:
	s_wait_loadcnt 0x0
	global_load_b32 v1, v[4:5], off
	s_wait_loadcnt 0x0
	v_cvt_f32_f16_e32 v1, v1
.LBB47_231:
	s_mov_b32 s1, 0
.LBB47_232:
	s_delay_alu instid0(SALU_CYCLE_1)
	s_and_not1_b32 vcc_lo, exec_lo, s1
	s_cbranch_vccnz .LBB47_243
; %bb.233:
	s_cmp_lt_i32 s0, 6
	s_cbranch_scc1 .LBB47_236
; %bb.234:
	s_cmp_gt_i32 s0, 6
	s_cbranch_scc0 .LBB47_237
; %bb.235:
	global_load_b64 v[6:7], v[4:5], off
	s_mov_b32 s1, 0
	s_wait_loadcnt 0x0
	v_cvt_f32_f64_e32 v1, v[6:7]
	s_branch .LBB47_238
.LBB47_236:
	s_mov_b32 s1, -1
                                        ; implicit-def: $vgpr1
	s_branch .LBB47_241
.LBB47_237:
	s_mov_b32 s1, -1
                                        ; implicit-def: $vgpr1
.LBB47_238:
	s_delay_alu instid0(SALU_CYCLE_1)
	s_and_not1_b32 vcc_lo, exec_lo, s1
	s_cbranch_vccnz .LBB47_240
; %bb.239:
	s_wait_loadcnt 0x0
	global_load_b32 v1, v[4:5], off
.LBB47_240:
	s_mov_b32 s1, 0
.LBB47_241:
	s_delay_alu instid0(SALU_CYCLE_1)
	s_and_not1_b32 vcc_lo, exec_lo, s1
	s_cbranch_vccnz .LBB47_243
; %bb.242:
	s_wait_loadcnt 0x0
	global_load_u16 v1, v[4:5], off
	s_wait_loadcnt 0x0
	v_cvt_f32_f16_e32 v1, v1
.LBB47_243:
	s_cbranch_execnz .LBB47_263
.LBB47_244:
	s_cmp_lt_i32 s0, 2
	s_cbranch_scc1 .LBB47_248
; %bb.245:
	s_cmp_lt_i32 s0, 3
	s_cbranch_scc1 .LBB47_249
; %bb.246:
	s_cmp_gt_i32 s0, 3
	s_cbranch_scc0 .LBB47_250
; %bb.247:
	global_load_b64 v[6:7], v[4:5], off
	s_mov_b32 s1, 0
	s_wait_loadcnt 0x0
	v_xor_b32_e32 v1, v6, v7
	v_cls_i32_e32 v3, v7
	s_delay_alu instid0(VALU_DEP_2) | instskip(NEXT) | instid1(VALU_DEP_1)
	v_ashrrev_i32_e32 v1, 31, v1
	v_add_nc_u32_e32 v1, 32, v1
	s_delay_alu instid0(VALU_DEP_1) | instskip(NEXT) | instid1(VALU_DEP_1)
	v_add_min_u32_e64 v1, v3, -1, v1
	v_lshlrev_b64_e32 v[6:7], v1, v[6:7]
	v_sub_nc_u32_e32 v1, 32, v1
	s_delay_alu instid0(VALU_DEP_2) | instskip(NEXT) | instid1(VALU_DEP_1)
	v_min_u32_e32 v3, 1, v6
	v_or_b32_e32 v3, v7, v3
	s_delay_alu instid0(VALU_DEP_1) | instskip(NEXT) | instid1(VALU_DEP_1)
	v_cvt_f32_i32_e32 v3, v3
	v_ldexp_f32 v1, v3, v1
	s_branch .LBB47_251
.LBB47_248:
	s_mov_b32 s1, -1
                                        ; implicit-def: $vgpr1
	s_branch .LBB47_257
.LBB47_249:
	s_mov_b32 s1, -1
                                        ; implicit-def: $vgpr1
	s_branch .LBB47_254
.LBB47_250:
	s_mov_b32 s1, -1
                                        ; implicit-def: $vgpr1
.LBB47_251:
	s_delay_alu instid0(SALU_CYCLE_1)
	s_and_not1_b32 vcc_lo, exec_lo, s1
	s_cbranch_vccnz .LBB47_253
; %bb.252:
	s_wait_loadcnt 0x0
	global_load_b32 v1, v[4:5], off
	s_wait_loadcnt 0x0
	v_cvt_f32_i32_e32 v1, v1
.LBB47_253:
	s_mov_b32 s1, 0
.LBB47_254:
	s_delay_alu instid0(SALU_CYCLE_1)
	s_and_not1_b32 vcc_lo, exec_lo, s1
	s_cbranch_vccnz .LBB47_256
; %bb.255:
	s_wait_loadcnt 0x0
	global_load_i16 v1, v[4:5], off
	s_wait_loadcnt 0x0
	v_cvt_f32_i32_e32 v1, v1
.LBB47_256:
	s_mov_b32 s1, 0
.LBB47_257:
	s_delay_alu instid0(SALU_CYCLE_1)
	s_and_not1_b32 vcc_lo, exec_lo, s1
	s_cbranch_vccnz .LBB47_263
; %bb.258:
	s_cmp_gt_i32 s0, 0
	s_mov_b32 s0, 0
	s_cbranch_scc0 .LBB47_260
; %bb.259:
	s_wait_loadcnt 0x0
	global_load_i8 v1, v[4:5], off
	s_wait_loadcnt 0x0
	v_cvt_f32_i32_e32 v1, v1
	s_branch .LBB47_261
.LBB47_260:
	s_mov_b32 s0, -1
                                        ; implicit-def: $vgpr1
.LBB47_261:
	s_delay_alu instid0(SALU_CYCLE_1)
	s_and_not1_b32 vcc_lo, exec_lo, s0
	s_cbranch_vccnz .LBB47_263
; %bb.262:
	s_wait_loadcnt 0x0
	global_load_u8 v1, v[4:5], off
	s_wait_loadcnt 0x0
	v_cvt_f32_ubyte0_e32 v1, v1
.LBB47_263:
	s_branch .LBB47_26
.LBB47_264:
	s_mov_b32 s1, 0
.LBB47_265:
	s_mov_b32 s0, 0
                                        ; implicit-def: $vgpr0
.LBB47_266:
	s_and_b32 s18, s1, exec_lo
	s_and_b32 s39, s24, exec_lo
	s_or_not1_b32 s24, s0, exec_lo
.LBB47_267:
	s_wait_xcnt 0x0
	s_or_b32 exec_lo, exec_lo, s40
	s_mov_b32 s25, 0
	s_mov_b32 s0, 0
                                        ; implicit-def: $vgpr4_vgpr5
                                        ; implicit-def: $vgpr2
                                        ; implicit-def: $vgpr6
	s_and_saveexec_b32 s40, s24
	s_cbranch_execz .LBB47_275
; %bb.268:
	s_mov_b32 s0, -1
	s_mov_b32 s41, s39
	s_mov_b32 s42, s18
	s_mov_b32 s43, exec_lo
	v_cmpx_gt_i32_e64 s36, v0
	s_cbranch_execz .LBB47_546
; %bb.269:
	s_and_not1_b32 vcc_lo, exec_lo, s31
	s_cbranch_vccnz .LBB47_278
; %bb.270:
	s_and_not1_b32 vcc_lo, exec_lo, s38
	s_cbranch_vccnz .LBB47_279
; %bb.271:
	s_add_co_i32 s1, s37, 1
	s_cmp_eq_u32 s29, 2
	s_cbranch_scc1 .LBB47_280
; %bb.272:
	v_dual_mov_b32 v2, 0 :: v_dual_mov_b32 v4, 0
	s_wait_loadcnt 0x0
	v_mov_b32_e32 v1, v0
	s_and_b32 s0, s1, 28
	s_mov_b32 s41, 0
	s_mov_b64 s[24:25], s[2:3]
	s_mov_b64 s[26:27], s[22:23]
.LBB47_273:                             ; =>This Inner Loop Header: Depth=1
	s_clause 0x1
	s_load_b256 s[44:51], s[24:25], 0x4
	s_load_b128 s[60:63], s[24:25], 0x24
	s_load_b256 s[52:59], s[26:27], 0x0
	s_add_co_i32 s41, s41, 4
	s_wait_xcnt 0x0
	s_add_nc_u64 s[24:25], s[24:25], 48
	s_cmp_eq_u32 s0, s41
	s_add_nc_u64 s[26:27], s[26:27], 32
	s_wait_kmcnt 0x0
	v_mul_hi_u32 v3, s45, v1
	s_delay_alu instid0(VALU_DEP_1) | instskip(NEXT) | instid1(VALU_DEP_1)
	v_add_nc_u32_e32 v3, v1, v3
	v_lshrrev_b32_e32 v3, s46, v3
	s_delay_alu instid0(VALU_DEP_1) | instskip(NEXT) | instid1(VALU_DEP_1)
	v_mul_hi_u32 v5, s48, v3
	v_add_nc_u32_e32 v5, v3, v5
	s_delay_alu instid0(VALU_DEP_1) | instskip(NEXT) | instid1(VALU_DEP_1)
	v_lshrrev_b32_e32 v5, s49, v5
	v_mul_hi_u32 v6, s51, v5
	s_delay_alu instid0(VALU_DEP_1) | instskip(SKIP_1) | instid1(VALU_DEP_1)
	v_add_nc_u32_e32 v6, v5, v6
	v_mul_lo_u32 v7, v3, s44
	v_sub_nc_u32_e32 v1, v1, v7
	v_mul_lo_u32 v7, v5, s47
	s_delay_alu instid0(VALU_DEP_4) | instskip(NEXT) | instid1(VALU_DEP_3)
	v_lshrrev_b32_e32 v6, s60, v6
	v_mad_u32 v4, v1, s53, v4
	v_mad_u32 v1, v1, s52, v2
	s_delay_alu instid0(VALU_DEP_4) | instskip(NEXT) | instid1(VALU_DEP_4)
	v_sub_nc_u32_e32 v2, v3, v7
	v_mul_hi_u32 v8, s62, v6
	v_mul_lo_u32 v3, v6, s50
	s_delay_alu instid0(VALU_DEP_3) | instskip(SKIP_1) | instid1(VALU_DEP_3)
	v_mad_u32 v4, v2, s55, v4
	v_mad_u32 v2, v2, s54, v1
	v_dual_add_nc_u32 v7, v6, v8 :: v_dual_sub_nc_u32 v3, v5, v3
	s_delay_alu instid0(VALU_DEP_1) | instskip(NEXT) | instid1(VALU_DEP_2)
	v_lshrrev_b32_e32 v1, s63, v7
	v_mad_u32 v4, v3, s57, v4
	s_delay_alu instid0(VALU_DEP_4) | instskip(NEXT) | instid1(VALU_DEP_3)
	v_mad_u32 v2, v3, s56, v2
	v_mul_lo_u32 v5, v1, s61
	s_delay_alu instid0(VALU_DEP_1) | instskip(NEXT) | instid1(VALU_DEP_1)
	v_sub_nc_u32_e32 v3, v6, v5
	v_mad_u32 v4, v3, s59, v4
	s_delay_alu instid0(VALU_DEP_4)
	v_mad_u32 v2, v3, s58, v2
	s_cbranch_scc0 .LBB47_273
; %bb.274:
	s_delay_alu instid0(VALU_DEP_2)
	v_mov_b32_e32 v3, v4
	s_branch .LBB47_281
.LBB47_275:
	s_or_b32 exec_lo, exec_lo, s40
	s_mov_b32 s1, 0
	s_and_saveexec_b32 s6, s39
	s_cbranch_execnz .LBB47_928
.LBB47_276:
	s_or_b32 exec_lo, exec_lo, s6
	s_and_saveexec_b32 s6, s17
	s_delay_alu instid0(SALU_CYCLE_1)
	s_xor_b32 s6, exec_lo, s6
	s_cbranch_execz .LBB47_929
.LBB47_277:
	global_load_u8 v0, v[4:5], off
	s_or_b32 s0, s0, exec_lo
	s_wait_loadcnt 0x0
	v_cmp_ne_u16_e32 vcc_lo, 0, v0
	v_cndmask_b32_e64 v6, 0, 1.0, vcc_lo
	s_wait_xcnt 0x0
	s_or_b32 exec_lo, exec_lo, s6
	s_and_saveexec_b32 s6, s25
	s_cbranch_execz .LBB47_975
	s_branch .LBB47_930
.LBB47_278:
                                        ; implicit-def: $vgpr4
                                        ; implicit-def: $vgpr2
	s_and_not1_b32 vcc_lo, exec_lo, s0
	s_cbranch_vccnz .LBB47_288
	s_branch .LBB47_286
.LBB47_279:
	v_dual_mov_b32 v4, 0 :: v_dual_mov_b32 v2, 0
	s_branch .LBB47_285
.LBB47_280:
	v_mov_b64_e32 v[2:3], 0
	s_wait_loadcnt 0x0
	v_mov_b32_e32 v1, v0
	s_mov_b32 s0, 0
                                        ; implicit-def: $vgpr4
.LBB47_281:
	s_and_b32 s26, s1, 3
	s_mov_b32 s1, 0
	s_cmp_eq_u32 s26, 0
	s_cbranch_scc1 .LBB47_285
; %bb.282:
	s_lshl_b32 s24, s0, 3
	s_mov_b32 s25, s1
	s_mul_u64 s[44:45], s[0:1], 12
	s_add_nc_u64 s[24:25], s[2:3], s[24:25]
	s_delay_alu instid0(SALU_CYCLE_1)
	s_add_nc_u64 s[0:1], s[24:25], 0xc4
	s_add_nc_u64 s[24:25], s[2:3], s[44:45]
.LBB47_283:                             ; =>This Inner Loop Header: Depth=1
	s_load_b96 s[44:46], s[24:25], 0x4
	s_add_co_i32 s26, s26, -1
	s_wait_xcnt 0x0
	s_add_nc_u64 s[24:25], s[24:25], 12
	s_cmp_lg_u32 s26, 0
	s_wait_kmcnt 0x0
	v_mul_hi_u32 v4, s45, v1
	s_delay_alu instid0(VALU_DEP_1) | instskip(NEXT) | instid1(VALU_DEP_1)
	v_add_nc_u32_e32 v4, v1, v4
	v_lshrrev_b32_e32 v4, s46, v4
	s_load_b64 s[46:47], s[0:1], 0x0
	s_wait_xcnt 0x0
	s_add_nc_u64 s[0:1], s[0:1], 8
	s_delay_alu instid0(VALU_DEP_1) | instskip(NEXT) | instid1(VALU_DEP_1)
	v_mul_lo_u32 v5, v4, s44
	v_sub_nc_u32_e32 v1, v1, v5
	s_wait_kmcnt 0x0
	s_delay_alu instid0(VALU_DEP_1)
	v_mad_u32 v3, v1, s47, v3
	v_mad_u32 v2, v1, s46, v2
	v_mov_b32_e32 v1, v4
	s_cbranch_scc1 .LBB47_283
; %bb.284:
	s_delay_alu instid0(VALU_DEP_3)
	v_mov_b32_e32 v4, v3
.LBB47_285:
	s_cbranch_execnz .LBB47_288
.LBB47_286:
	s_wait_loadcnt 0x0
	v_mov_b32_e32 v1, 0
	s_and_not1_b32 vcc_lo, exec_lo, s35
	s_delay_alu instid0(VALU_DEP_1) | instskip(NEXT) | instid1(VALU_DEP_1)
	v_mul_u64_e32 v[2:3], s[16:17], v[0:1]
	v_add_nc_u32_e32 v2, v0, v3
	s_delay_alu instid0(VALU_DEP_1) | instskip(NEXT) | instid1(VALU_DEP_1)
	v_lshrrev_b32_e32 v6, s14, v2
	v_mul_lo_u32 v2, v6, s12
	s_delay_alu instid0(VALU_DEP_1) | instskip(NEXT) | instid1(VALU_DEP_1)
	v_sub_nc_u32_e32 v2, v0, v2
	v_mul_lo_u32 v4, v2, s9
	v_mul_lo_u32 v2, v2, s8
	s_cbranch_vccnz .LBB47_288
; %bb.287:
	v_mov_b32_e32 v7, v1
	s_delay_alu instid0(VALU_DEP_1) | instskip(NEXT) | instid1(VALU_DEP_1)
	v_mul_u64_e32 v[8:9], s[20:21], v[6:7]
	v_add_nc_u32_e32 v1, v6, v9
	s_delay_alu instid0(VALU_DEP_1) | instskip(NEXT) | instid1(VALU_DEP_1)
	v_lshrrev_b32_e32 v1, s19, v1
	v_mul_lo_u32 v1, v1, s15
	s_delay_alu instid0(VALU_DEP_1) | instskip(NEXT) | instid1(VALU_DEP_1)
	v_sub_nc_u32_e32 v1, v6, v1
	v_mad_u32 v2, v1, s10, v2
	v_mad_u32 v4, v1, s11, v4
.LBB47_288:
	v_mov_b32_e32 v5, 0
	s_and_b32 s0, 0xffff, s13
	s_delay_alu instid0(SALU_CYCLE_1) | instskip(NEXT) | instid1(VALU_DEP_1)
	s_cmp_lt_i32 s0, 11
	v_add_nc_u64_e32 v[4:5], s[6:7], v[4:5]
	s_cbranch_scc1 .LBB47_295
; %bb.289:
	s_cmp_gt_i32 s0, 25
	s_cbranch_scc0 .LBB47_304
; %bb.290:
	s_cmp_gt_i32 s0, 28
	s_cbranch_scc0 .LBB47_306
	;; [unrolled: 3-line block ×4, first 2 shown]
; %bb.293:
	s_cmp_eq_u32 s0, 46
	s_mov_b32 s25, 0
	s_cbranch_scc0 .LBB47_316
; %bb.294:
	s_wait_loadcnt 0x0
	global_load_b32 v1, v[4:5], off
	s_mov_b32 s1, -1
	s_mov_b32 s24, 0
	s_wait_loadcnt 0x0
	v_lshlrev_b32_e32 v1, 16, v1
	s_branch .LBB47_318
.LBB47_295:
	s_mov_b32 s1, 0
	s_mov_b32 s24, s39
                                        ; implicit-def: $vgpr1
	s_cbranch_execnz .LBB47_495
.LBB47_296:
	s_and_not1_b32 vcc_lo, exec_lo, s1
	s_cbranch_vccnz .LBB47_543
.LBB47_297:
	v_mov_b32_e32 v3, 0
	s_wait_loadcnt 0x0
	s_delay_alu instid0(VALU_DEP_2) | instskip(SKIP_1) | instid1(SALU_CYCLE_1)
	v_cmp_eq_f32_e64 s0, 0x7f800000, v1
	s_and_b32 s25, s34, 0xff
	s_cmp_lt_i32 s25, 11
	v_add_nc_u64_e32 v[2:3], s[4:5], v[2:3]
	s_cbranch_scc1 .LBB47_305
; %bb.298:
	s_and_b32 s26, 0xffff, s25
	s_delay_alu instid0(SALU_CYCLE_1)
	s_cmp_gt_i32 s26, 25
	s_cbranch_scc0 .LBB47_307
; %bb.299:
	s_cmp_gt_i32 s26, 28
	s_cbranch_scc0 .LBB47_309
; %bb.300:
	;; [unrolled: 3-line block ×4, first 2 shown]
	s_mov_b32 s41, 0
	s_mov_b32 s1, -1
	s_cmp_eq_u32 s26, 46
	s_mov_b32 s27, 0
	s_cbranch_scc0 .LBB47_322
; %bb.303:
	v_cndmask_b32_e64 v1, 0, 1.0, s0
	s_mov_b32 s27, -1
	s_mov_b32 s1, 0
	s_wait_xcnt 0x0
	s_delay_alu instid0(VALU_DEP_1) | instskip(NEXT) | instid1(VALU_DEP_1)
	v_bfe_u32 v4, v1, 16, 1
	v_add3_u32 v1, v1, v4, 0x7fff
	s_delay_alu instid0(VALU_DEP_1)
	v_lshrrev_b32_e32 v1, 16, v1
	global_store_b32 v[2:3], v1, off
	s_branch .LBB47_322
.LBB47_304:
	s_mov_b32 s25, -1
	s_mov_b32 s1, 0
	s_mov_b32 s24, s39
                                        ; implicit-def: $vgpr1
	s_branch .LBB47_459
.LBB47_305:
	s_mov_b32 s26, -1
	s_mov_b32 s27, 0
	s_mov_b32 s1, s18
	s_branch .LBB47_391
.LBB47_306:
	s_mov_b32 s25, -1
	s_mov_b32 s1, 0
	s_mov_b32 s24, s39
                                        ; implicit-def: $vgpr1
	s_branch .LBB47_440
.LBB47_307:
	s_mov_b32 s41, -1
	s_mov_b32 s27, 0
	s_mov_b32 s1, s18
	s_branch .LBB47_349
.LBB47_308:
	s_mov_b32 s25, -1
	s_mov_b32 s1, 0
	s_mov_b32 s24, s39
                                        ; implicit-def: $vgpr1
	s_branch .LBB47_435
.LBB47_309:
	s_mov_b32 s41, -1
	s_mov_b32 s27, 0
	s_mov_b32 s1, s18
	s_branch .LBB47_332
.LBB47_310:
	s_and_not1_saveexec_b32 s39, s39
	s_cbranch_execz .LBB47_69
.LBB47_311:
	v_add_f32_e32 v1, 0x46000000, v4
	s_and_not1_b32 s27, s27, exec_lo
	s_delay_alu instid0(VALU_DEP_1) | instskip(NEXT) | instid1(VALU_DEP_1)
	v_and_b32_e32 v1, 0xff, v1
	v_cmp_ne_u32_e32 vcc_lo, 0, v1
	s_and_b32 s41, vcc_lo, exec_lo
	s_delay_alu instid0(SALU_CYCLE_1)
	s_or_b32 s27, s27, s41
	s_or_b32 exec_lo, exec_lo, s39
	v_mov_b32_e32 v5, 0
	s_and_saveexec_b32 s39, s27
	s_cbranch_execnz .LBB47_70
	s_branch .LBB47_71
.LBB47_312:
	s_mov_b32 s25, -1
	s_mov_b32 s1, 0
	s_mov_b32 s24, s39
	s_branch .LBB47_317
.LBB47_313:
	s_mov_b32 s41, -1
	s_mov_b32 s27, 0
	s_mov_b32 s1, s18
	s_branch .LBB47_328
.LBB47_314:
	s_and_not1_saveexec_b32 s39, s39
	s_cbranch_execz .LBB47_82
.LBB47_315:
	v_add_f32_e32 v1, 0x42800000, v4
	s_and_not1_b32 s27, s27, exec_lo
	s_delay_alu instid0(VALU_DEP_1) | instskip(NEXT) | instid1(VALU_DEP_1)
	v_and_b32_e32 v1, 0xff, v1
	v_cmp_ne_u32_e32 vcc_lo, 0, v1
	s_and_b32 s41, vcc_lo, exec_lo
	s_delay_alu instid0(SALU_CYCLE_1)
	s_or_b32 s27, s27, s41
	s_or_b32 exec_lo, exec_lo, s39
	v_mov_b32_e32 v5, 0
	s_and_saveexec_b32 s39, s27
	s_cbranch_execnz .LBB47_83
	s_branch .LBB47_84
.LBB47_316:
	s_mov_b32 s24, -1
	s_mov_b32 s1, 0
.LBB47_317:
                                        ; implicit-def: $vgpr1
.LBB47_318:
	s_and_b32 vcc_lo, exec_lo, s25
	s_cbranch_vccz .LBB47_434
; %bb.319:
	s_cmp_eq_u32 s0, 44
	s_cbranch_scc0 .LBB47_433
; %bb.320:
	s_wait_loadcnt 0x0
	global_load_u8 v1, v[4:5], off
	s_mov_b32 s24, 0
	s_mov_b32 s1, -1
	s_wait_loadcnt 0x0
	v_lshlrev_b32_e32 v3, 23, v1
	v_cmp_ne_u32_e32 vcc_lo, 0xff, v1
	s_delay_alu instid0(VALU_DEP_2) | instskip(SKIP_1) | instid1(VALU_DEP_2)
	v_cndmask_b32_e32 v3, 0x7f800001, v3, vcc_lo
	v_cmp_ne_u32_e32 vcc_lo, 0, v1
	v_cndmask_b32_e32 v1, 0x400000, v3, vcc_lo
	s_branch .LBB47_434
.LBB47_321:
	s_mov_b32 s41, -1
	s_mov_b32 s27, 0
	s_mov_b32 s1, s18
.LBB47_322:
	s_and_b32 vcc_lo, exec_lo, s41
	s_cbranch_vccz .LBB47_327
; %bb.323:
	s_cmp_eq_u32 s26, 44
	s_mov_b32 s1, -1
	s_cbranch_scc0 .LBB47_327
; %bb.324:
	s_wait_xcnt 0x0
	v_cndmask_b32_e64 v5, 0, 1.0, s0
	s_mov_b32 s27, exec_lo
	s_delay_alu instid0(VALU_DEP_1) | instskip(NEXT) | instid1(VALU_DEP_1)
	v_dual_mov_b32 v4, 0xff :: v_dual_lshrrev_b32 v1, 23, v5
	v_cmpx_ne_u32_e32 0xff, v1
; %bb.325:
	v_and_b32_e32 v4, 0x400000, v5
	v_and_or_b32 v5, 0x3fffff, v5, v1
	s_delay_alu instid0(VALU_DEP_2) | instskip(NEXT) | instid1(VALU_DEP_2)
	v_cmp_ne_u32_e32 vcc_lo, 0, v4
	v_cmp_ne_u32_e64 s1, 0, v5
	s_and_b32 s1, vcc_lo, s1
	s_delay_alu instid0(SALU_CYCLE_1) | instskip(NEXT) | instid1(VALU_DEP_1)
	v_cndmask_b32_e64 v4, 0, 1, s1
	v_add_nc_u32_e32 v4, v1, v4
; %bb.326:
	s_or_b32 exec_lo, exec_lo, s27
	s_mov_b32 s27, -1
	s_mov_b32 s1, 0
	global_store_b8 v[2:3], v4, off
.LBB47_327:
	s_mov_b32 s41, 0
.LBB47_328:
	s_delay_alu instid0(SALU_CYCLE_1)
	s_and_b32 vcc_lo, exec_lo, s41
	s_cbranch_vccz .LBB47_331
; %bb.329:
	s_cmp_eq_u32 s26, 29
	s_mov_b32 s1, -1
	s_cbranch_scc0 .LBB47_331
; %bb.330:
	s_mov_b32 s1, 0
	s_wait_xcnt 0x0
	v_cndmask_b32_e64 v4, 0, 1, s0
	v_mov_b32_e32 v5, s1
	s_mov_b32 s27, -1
	s_mov_b32 s41, 0
	global_store_b64 v[2:3], v[4:5], off
	s_branch .LBB47_332
.LBB47_331:
	s_mov_b32 s41, 0
.LBB47_332:
	s_delay_alu instid0(SALU_CYCLE_1)
	s_and_b32 vcc_lo, exec_lo, s41
	s_cbranch_vccz .LBB47_348
; %bb.333:
	s_cmp_lt_i32 s26, 27
	s_mov_b32 s27, -1
	s_cbranch_scc1 .LBB47_339
; %bb.334:
	s_cmp_gt_i32 s26, 27
	s_cbranch_scc0 .LBB47_336
; %bb.335:
	s_wait_xcnt 0x0
	v_cndmask_b32_e64 v1, 0, 1, s0
	s_mov_b32 s27, 0
	global_store_b32 v[2:3], v1, off
.LBB47_336:
	s_and_not1_b32 vcc_lo, exec_lo, s27
	s_cbranch_vccnz .LBB47_338
; %bb.337:
	s_wait_xcnt 0x0
	v_cndmask_b32_e64 v1, 0, 1, s0
	global_store_b16 v[2:3], v1, off
.LBB47_338:
	s_mov_b32 s27, 0
.LBB47_339:
	s_delay_alu instid0(SALU_CYCLE_1)
	s_and_not1_b32 vcc_lo, exec_lo, s27
	s_cbranch_vccnz .LBB47_347
; %bb.340:
	s_wait_xcnt 0x0
	v_cndmask_b32_e64 v4, 0, 1.0, s0
	v_mov_b32_e32 v5, 0x80
	s_mov_b32 s27, exec_lo
	s_delay_alu instid0(VALU_DEP_2)
	v_cmpx_gt_u32_e32 0x43800000, v4
	s_cbranch_execz .LBB47_346
; %bb.341:
	s_mov_b32 s41, 0
	s_mov_b32 s42, exec_lo
                                        ; implicit-def: $vgpr1
	v_cmpx_lt_u32_e32 0x3bffffff, v4
	s_xor_b32 s42, exec_lo, s42
	s_cbranch_execz .LBB47_576
; %bb.342:
	v_bfe_u32 v1, v4, 20, 1
	s_mov_b32 s41, exec_lo
	s_delay_alu instid0(VALU_DEP_1) | instskip(NEXT) | instid1(VALU_DEP_1)
	v_add3_u32 v1, v4, v1, 0x487ffff
                                        ; implicit-def: $vgpr4
	v_lshrrev_b32_e32 v1, 20, v1
	s_and_not1_saveexec_b32 s42, s42
	s_cbranch_execnz .LBB47_577
.LBB47_343:
	s_or_b32 exec_lo, exec_lo, s42
	v_mov_b32_e32 v5, 0
	s_and_saveexec_b32 s42, s41
.LBB47_344:
	v_mov_b32_e32 v5, v1
.LBB47_345:
	s_or_b32 exec_lo, exec_lo, s42
.LBB47_346:
	s_delay_alu instid0(SALU_CYCLE_1)
	s_or_b32 exec_lo, exec_lo, s27
	global_store_b8 v[2:3], v5, off
.LBB47_347:
	s_mov_b32 s27, -1
.LBB47_348:
	s_mov_b32 s41, 0
.LBB47_349:
	s_delay_alu instid0(SALU_CYCLE_1)
	s_and_b32 vcc_lo, exec_lo, s41
	s_cbranch_vccz .LBB47_390
; %bb.350:
	s_cmp_gt_i32 s26, 22
	s_mov_b32 s41, -1
	s_cbranch_scc0 .LBB47_382
; %bb.351:
	s_cmp_lt_i32 s26, 24
	s_mov_b32 s27, -1
	s_cbranch_scc1 .LBB47_371
; %bb.352:
	s_cmp_gt_i32 s26, 24
	s_cbranch_scc0 .LBB47_360
; %bb.353:
	s_wait_xcnt 0x0
	v_cndmask_b32_e64 v4, 0, 1.0, s0
	v_mov_b32_e32 v5, 0x80
	s_mov_b32 s27, exec_lo
	s_delay_alu instid0(VALU_DEP_2)
	v_cmpx_gt_u32_e32 0x47800000, v4
	s_cbranch_execz .LBB47_359
; %bb.354:
	s_mov_b32 s41, 0
	s_mov_b32 s42, exec_lo
                                        ; implicit-def: $vgpr1
	v_cmpx_lt_u32_e32 0x37ffffff, v4
	s_xor_b32 s42, exec_lo, s42
	s_cbranch_execz .LBB47_579
; %bb.355:
	v_bfe_u32 v1, v4, 21, 1
	s_mov_b32 s41, exec_lo
	s_delay_alu instid0(VALU_DEP_1) | instskip(NEXT) | instid1(VALU_DEP_1)
	v_add3_u32 v1, v4, v1, 0x88fffff
                                        ; implicit-def: $vgpr4
	v_lshrrev_b32_e32 v1, 21, v1
	s_and_not1_saveexec_b32 s42, s42
	s_cbranch_execnz .LBB47_580
.LBB47_356:
	s_or_b32 exec_lo, exec_lo, s42
	v_mov_b32_e32 v5, 0
	s_and_saveexec_b32 s42, s41
.LBB47_357:
	v_mov_b32_e32 v5, v1
.LBB47_358:
	s_or_b32 exec_lo, exec_lo, s42
.LBB47_359:
	s_delay_alu instid0(SALU_CYCLE_1)
	s_or_b32 exec_lo, exec_lo, s27
	s_mov_b32 s27, 0
	global_store_b8 v[2:3], v5, off
.LBB47_360:
	s_and_b32 vcc_lo, exec_lo, s27
	s_cbranch_vccz .LBB47_370
; %bb.361:
	s_wait_xcnt 0x0
	v_cndmask_b32_e64 v4, 0, 1.0, s0
	s_mov_b32 s27, exec_lo
                                        ; implicit-def: $vgpr1
	s_delay_alu instid0(VALU_DEP_1)
	v_cmpx_gt_u32_e32 0x43f00000, v4
	s_xor_b32 s27, exec_lo, s27
	s_cbranch_execz .LBB47_367
; %bb.362:
	s_mov_b32 s41, exec_lo
                                        ; implicit-def: $vgpr1
	v_cmpx_lt_u32_e32 0x3c7fffff, v4
	s_xor_b32 s41, exec_lo, s41
; %bb.363:
	v_bfe_u32 v1, v4, 20, 1
	s_delay_alu instid0(VALU_DEP_1) | instskip(NEXT) | instid1(VALU_DEP_1)
	v_add3_u32 v1, v4, v1, 0x407ffff
	v_and_b32_e32 v4, 0xff00000, v1
	v_lshrrev_b32_e32 v1, 20, v1
	s_delay_alu instid0(VALU_DEP_2) | instskip(NEXT) | instid1(VALU_DEP_2)
	v_cmp_ne_u32_e32 vcc_lo, 0x7f00000, v4
                                        ; implicit-def: $vgpr4
	v_cndmask_b32_e32 v1, 0x7e, v1, vcc_lo
; %bb.364:
	s_and_not1_saveexec_b32 s41, s41
; %bb.365:
	v_add_f32_e32 v1, 0x46800000, v4
; %bb.366:
	s_or_b32 exec_lo, exec_lo, s41
                                        ; implicit-def: $vgpr4
.LBB47_367:
	s_and_not1_saveexec_b32 s27, s27
; %bb.368:
	v_mov_b32_e32 v1, 0x7f
	v_cmp_lt_u32_e32 vcc_lo, 0x7f800000, v4
	s_delay_alu instid0(VALU_DEP_2)
	v_cndmask_b32_e32 v1, 0x7e, v1, vcc_lo
; %bb.369:
	s_or_b32 exec_lo, exec_lo, s27
	global_store_b8 v[2:3], v1, off
.LBB47_370:
	s_mov_b32 s27, 0
.LBB47_371:
	s_delay_alu instid0(SALU_CYCLE_1)
	s_and_not1_b32 vcc_lo, exec_lo, s27
	s_cbranch_vccnz .LBB47_381
; %bb.372:
	s_wait_xcnt 0x0
	v_cndmask_b32_e64 v4, 0, 1.0, s0
	s_mov_b32 s27, exec_lo
                                        ; implicit-def: $vgpr1
	s_delay_alu instid0(VALU_DEP_1)
	v_cmpx_gt_u32_e32 0x47800000, v4
	s_xor_b32 s27, exec_lo, s27
	s_cbranch_execz .LBB47_378
; %bb.373:
	s_mov_b32 s41, exec_lo
                                        ; implicit-def: $vgpr1
	v_cmpx_lt_u32_e32 0x387fffff, v4
	s_xor_b32 s41, exec_lo, s41
; %bb.374:
	v_bfe_u32 v1, v4, 21, 1
	s_delay_alu instid0(VALU_DEP_1) | instskip(NEXT) | instid1(VALU_DEP_1)
	v_add3_u32 v1, v4, v1, 0x80fffff
                                        ; implicit-def: $vgpr4
	v_lshrrev_b32_e32 v1, 21, v1
; %bb.375:
	s_and_not1_saveexec_b32 s41, s41
; %bb.376:
	v_add_f32_e32 v1, 0x43000000, v4
; %bb.377:
	s_or_b32 exec_lo, exec_lo, s41
                                        ; implicit-def: $vgpr4
.LBB47_378:
	s_and_not1_saveexec_b32 s27, s27
; %bb.379:
	v_mov_b32_e32 v1, 0x7f
	v_cmp_lt_u32_e32 vcc_lo, 0x7f800000, v4
	s_delay_alu instid0(VALU_DEP_2)
	v_cndmask_b32_e32 v1, 0x7c, v1, vcc_lo
; %bb.380:
	s_or_b32 exec_lo, exec_lo, s27
	global_store_b8 v[2:3], v1, off
.LBB47_381:
	s_mov_b32 s41, 0
	s_mov_b32 s27, -1
.LBB47_382:
	s_and_not1_b32 vcc_lo, exec_lo, s41
	s_cbranch_vccnz .LBB47_390
; %bb.383:
	s_cmp_gt_i32 s26, 14
	s_mov_b32 s41, -1
	s_cbranch_scc0 .LBB47_387
; %bb.384:
	s_cmp_eq_u32 s26, 15
	s_mov_b32 s1, -1
	s_cbranch_scc0 .LBB47_386
; %bb.385:
	s_wait_xcnt 0x0
	v_cndmask_b32_e64 v1, 0, 1.0, s0
	s_mov_b32 s27, -1
	s_mov_b32 s1, 0
	s_delay_alu instid0(VALU_DEP_1) | instskip(NEXT) | instid1(VALU_DEP_1)
	v_bfe_u32 v4, v1, 16, 1
	v_add3_u32 v1, v1, v4, 0x7fff
	global_store_d16_hi_b16 v[2:3], v1, off
.LBB47_386:
	s_mov_b32 s41, 0
.LBB47_387:
	s_delay_alu instid0(SALU_CYCLE_1)
	s_and_b32 vcc_lo, exec_lo, s41
	s_cbranch_vccz .LBB47_390
; %bb.388:
	s_cmp_eq_u32 s26, 11
	s_mov_b32 s1, -1
	s_cbranch_scc0 .LBB47_390
; %bb.389:
	s_wait_xcnt 0x0
	v_cndmask_b32_e64 v1, 0, 1, s0
	s_mov_b32 s27, -1
	s_mov_b32 s1, 0
	global_store_b8 v[2:3], v1, off
.LBB47_390:
	s_mov_b32 s26, 0
.LBB47_391:
	s_delay_alu instid0(SALU_CYCLE_1)
	s_and_b32 vcc_lo, exec_lo, s26
	s_cbranch_vccz .LBB47_430
; %bb.392:
	s_and_b32 s25, 0xffff, s25
	s_mov_b32 s26, -1
	s_cmp_lt_i32 s25, 5
	s_cbranch_scc1 .LBB47_413
; %bb.393:
	s_cmp_lt_i32 s25, 8
	s_cbranch_scc1 .LBB47_403
; %bb.394:
	;; [unrolled: 3-line block ×3, first 2 shown]
	s_cmp_gt_i32 s25, 9
	s_cbranch_scc0 .LBB47_397
; %bb.396:
	s_wait_xcnt 0x0
	v_cndmask_b32_e64 v1, 0, 1, s0
	v_mov_b32_e32 v6, 0
	s_mov_b32 s26, 0
	s_delay_alu instid0(VALU_DEP_2) | instskip(NEXT) | instid1(VALU_DEP_2)
	v_cvt_f64_u32_e32 v[4:5], v1
	v_mov_b32_e32 v7, v6
	global_store_b128 v[2:3], v[4:7], off
.LBB47_397:
	s_and_not1_b32 vcc_lo, exec_lo, s26
	s_cbranch_vccnz .LBB47_399
; %bb.398:
	s_wait_xcnt 0x0
	v_cndmask_b32_e64 v4, 0, 1.0, s0
	v_mov_b32_e32 v5, 0
	global_store_b64 v[2:3], v[4:5], off
.LBB47_399:
	s_mov_b32 s26, 0
.LBB47_400:
	s_delay_alu instid0(SALU_CYCLE_1)
	s_and_not1_b32 vcc_lo, exec_lo, s26
	s_cbranch_vccnz .LBB47_402
; %bb.401:
	s_wait_xcnt 0x0
	v_cndmask_b32_e64 v1, 0, 1.0, s0
	s_delay_alu instid0(VALU_DEP_1) | instskip(NEXT) | instid1(VALU_DEP_1)
	v_cvt_f16_f32_e32 v1, v1
	v_and_b32_e32 v1, 0xffff, v1
	global_store_b32 v[2:3], v1, off
.LBB47_402:
	s_mov_b32 s26, 0
.LBB47_403:
	s_delay_alu instid0(SALU_CYCLE_1)
	s_and_not1_b32 vcc_lo, exec_lo, s26
	s_cbranch_vccnz .LBB47_412
; %bb.404:
	s_cmp_lt_i32 s25, 6
	s_mov_b32 s26, -1
	s_cbranch_scc1 .LBB47_410
; %bb.405:
	s_cmp_gt_i32 s25, 6
	s_cbranch_scc0 .LBB47_407
; %bb.406:
	s_wait_xcnt 0x0
	v_cndmask_b32_e64 v1, 0, 1, s0
	s_mov_b32 s26, 0
	s_delay_alu instid0(VALU_DEP_1)
	v_cvt_f64_u32_e32 v[4:5], v1
	global_store_b64 v[2:3], v[4:5], off
.LBB47_407:
	s_and_not1_b32 vcc_lo, exec_lo, s26
	s_cbranch_vccnz .LBB47_409
; %bb.408:
	s_wait_xcnt 0x0
	v_cndmask_b32_e64 v1, 0, 1.0, s0
	global_store_b32 v[2:3], v1, off
.LBB47_409:
	s_mov_b32 s26, 0
.LBB47_410:
	s_delay_alu instid0(SALU_CYCLE_1)
	s_and_not1_b32 vcc_lo, exec_lo, s26
	s_cbranch_vccnz .LBB47_412
; %bb.411:
	s_wait_xcnt 0x0
	v_cndmask_b32_e64 v1, 0, 1.0, s0
	s_delay_alu instid0(VALU_DEP_1)
	v_cvt_f16_f32_e32 v1, v1
	global_store_b16 v[2:3], v1, off
.LBB47_412:
	s_mov_b32 s26, 0
.LBB47_413:
	s_delay_alu instid0(SALU_CYCLE_1)
	s_and_not1_b32 vcc_lo, exec_lo, s26
	s_cbranch_vccnz .LBB47_429
; %bb.414:
	s_cmp_lt_i32 s25, 2
	s_mov_b32 s26, -1
	s_cbranch_scc1 .LBB47_424
; %bb.415:
	s_cmp_lt_i32 s25, 3
	s_cbranch_scc1 .LBB47_421
; %bb.416:
	s_cmp_gt_i32 s25, 3
	s_cbranch_scc0 .LBB47_418
; %bb.417:
	s_mov_b32 s26, 0
	s_wait_xcnt 0x0
	v_cndmask_b32_e64 v4, 0, 1, s0
	v_mov_b32_e32 v5, s26
	global_store_b64 v[2:3], v[4:5], off
.LBB47_418:
	s_and_not1_b32 vcc_lo, exec_lo, s26
	s_cbranch_vccnz .LBB47_420
; %bb.419:
	s_wait_xcnt 0x0
	v_cndmask_b32_e64 v1, 0, 1, s0
	global_store_b32 v[2:3], v1, off
.LBB47_420:
	s_mov_b32 s26, 0
.LBB47_421:
	s_delay_alu instid0(SALU_CYCLE_1)
	s_and_not1_b32 vcc_lo, exec_lo, s26
	s_cbranch_vccnz .LBB47_423
; %bb.422:
	s_wait_xcnt 0x0
	v_cndmask_b32_e64 v1, 0, 1, s0
	global_store_b16 v[2:3], v1, off
.LBB47_423:
	s_mov_b32 s26, 0
.LBB47_424:
	s_delay_alu instid0(SALU_CYCLE_1)
	s_and_not1_b32 vcc_lo, exec_lo, s26
	s_cbranch_vccnz .LBB47_429
; %bb.425:
	s_wait_xcnt 0x0
	v_cndmask_b32_e64 v1, 0, 1, s0
	s_cmp_gt_i32 s25, 0
	s_mov_b32 s0, -1
	s_cbranch_scc0 .LBB47_427
; %bb.426:
	s_mov_b32 s0, 0
	global_store_b8 v[2:3], v1, off
.LBB47_427:
	s_and_not1_b32 vcc_lo, exec_lo, s0
	s_cbranch_vccnz .LBB47_429
; %bb.428:
	global_store_b8 v[2:3], v1, off
.LBB47_429:
	s_mov_b32 s27, -1
.LBB47_430:
	s_delay_alu instid0(SALU_CYCLE_1)
	s_and_not1_b32 vcc_lo, exec_lo, s27
	s_cbranch_vccnz .LBB47_432
; %bb.431:
	v_add_nc_u32_e32 v0, 0x80, v0
	s_mov_b32 s0, -1
	s_branch .LBB47_545
.LBB47_432:
	s_mov_b32 s0, 0
	s_branch .LBB47_544
.LBB47_433:
	s_mov_b32 s24, -1
                                        ; implicit-def: $vgpr1
.LBB47_434:
	s_mov_b32 s25, 0
.LBB47_435:
	s_delay_alu instid0(SALU_CYCLE_1)
	s_and_b32 vcc_lo, exec_lo, s25
	s_cbranch_vccz .LBB47_439
; %bb.436:
	s_cmp_eq_u32 s0, 29
	s_cbranch_scc0 .LBB47_438
; %bb.437:
	global_load_b64 v[6:7], v[4:5], off
	s_mov_b32 s1, -1
	s_mov_b32 s24, 0
	s_mov_b32 s25, 0
	s_wait_loadcnt 0x0
	v_clz_i32_u32_e32 v1, v7
	s_delay_alu instid0(VALU_DEP_1) | instskip(NEXT) | instid1(VALU_DEP_1)
	v_min_u32_e32 v1, 32, v1
	v_lshlrev_b64_e32 v[6:7], v1, v[6:7]
	v_sub_nc_u32_e32 v1, 32, v1
	s_delay_alu instid0(VALU_DEP_2) | instskip(NEXT) | instid1(VALU_DEP_1)
	v_min_u32_e32 v3, 1, v6
	v_or_b32_e32 v3, v7, v3
	s_delay_alu instid0(VALU_DEP_1) | instskip(NEXT) | instid1(VALU_DEP_1)
	v_cvt_f32_u32_e32 v3, v3
	v_ldexp_f32 v1, v3, v1
	s_branch .LBB47_440
.LBB47_438:
	s_mov_b32 s24, -1
                                        ; implicit-def: $vgpr1
.LBB47_439:
	s_mov_b32 s25, 0
.LBB47_440:
	s_delay_alu instid0(SALU_CYCLE_1)
	s_and_b32 vcc_lo, exec_lo, s25
	s_cbranch_vccz .LBB47_458
; %bb.441:
	s_cmp_lt_i32 s0, 27
	s_cbranch_scc1 .LBB47_444
; %bb.442:
	s_cmp_gt_i32 s0, 27
	s_cbranch_scc0 .LBB47_445
; %bb.443:
	s_wait_loadcnt 0x0
	global_load_b32 v1, v[4:5], off
	s_mov_b32 s1, 0
	s_wait_loadcnt 0x0
	v_cvt_f32_u32_e32 v1, v1
	s_branch .LBB47_446
.LBB47_444:
	s_mov_b32 s1, -1
                                        ; implicit-def: $vgpr1
	s_branch .LBB47_449
.LBB47_445:
	s_mov_b32 s1, -1
                                        ; implicit-def: $vgpr1
.LBB47_446:
	s_delay_alu instid0(SALU_CYCLE_1)
	s_and_not1_b32 vcc_lo, exec_lo, s1
	s_cbranch_vccnz .LBB47_448
; %bb.447:
	s_wait_loadcnt 0x0
	global_load_u16 v1, v[4:5], off
	s_wait_loadcnt 0x0
	v_cvt_f32_u32_e32 v1, v1
.LBB47_448:
	s_mov_b32 s1, 0
.LBB47_449:
	s_delay_alu instid0(SALU_CYCLE_1)
	s_and_not1_b32 vcc_lo, exec_lo, s1
	s_cbranch_vccnz .LBB47_457
; %bb.450:
	global_load_u8 v3, v[4:5], off
	s_mov_b32 s1, 0
	s_mov_b32 s25, exec_lo
	s_wait_loadcnt 0x0
	v_cmpx_lt_i16_e32 0x7f, v3
	s_xor_b32 s25, exec_lo, s25
	s_cbranch_execz .LBB47_471
; %bb.451:
	s_mov_b32 s1, -1
	s_mov_b32 s26, exec_lo
	v_cmpx_eq_u16_e32 0x80, v3
; %bb.452:
	s_xor_b32 s1, exec_lo, -1
; %bb.453:
	s_or_b32 exec_lo, exec_lo, s26
	s_delay_alu instid0(SALU_CYCLE_1)
	s_and_b32 s1, s1, exec_lo
	s_or_saveexec_b32 s25, s25
	v_mov_b32_e32 v1, 0x7f800001
	s_xor_b32 exec_lo, exec_lo, s25
	s_cbranch_execnz .LBB47_472
.LBB47_454:
	s_or_b32 exec_lo, exec_lo, s25
	s_and_saveexec_b32 s25, s1
	s_cbranch_execz .LBB47_456
.LBB47_455:
	v_and_b32_e32 v1, 0xffff, v3
	s_delay_alu instid0(VALU_DEP_1) | instskip(SKIP_1) | instid1(VALU_DEP_2)
	v_and_b32_e32 v6, 7, v1
	v_bfe_u32 v9, v1, 3, 4
	v_clz_i32_u32_e32 v7, v6
	s_delay_alu instid0(VALU_DEP_2) | instskip(NEXT) | instid1(VALU_DEP_2)
	v_cmp_eq_u32_e32 vcc_lo, 0, v9
	v_min_u32_e32 v7, 32, v7
	s_delay_alu instid0(VALU_DEP_1) | instskip(NEXT) | instid1(VALU_DEP_1)
	v_subrev_nc_u32_e32 v8, 28, v7
	v_dual_lshlrev_b32 v1, v8, v1 :: v_dual_sub_nc_u32 v7, 29, v7
	s_delay_alu instid0(VALU_DEP_1) | instskip(NEXT) | instid1(VALU_DEP_1)
	v_dual_lshlrev_b32 v3, 24, v3 :: v_dual_bitop2_b32 v1, 7, v1 bitop3:0x40
	v_dual_cndmask_b32 v1, v6, v1, vcc_lo :: v_dual_cndmask_b32 v7, v9, v7, vcc_lo
	s_delay_alu instid0(VALU_DEP_2) | instskip(NEXT) | instid1(VALU_DEP_2)
	v_and_b32_e32 v3, 0x80000000, v3
	v_lshlrev_b32_e32 v1, 20, v1
	s_delay_alu instid0(VALU_DEP_3) | instskip(NEXT) | instid1(VALU_DEP_1)
	v_lshl_add_u32 v6, v7, 23, 0x3b800000
	v_or3_b32 v1, v3, v6, v1
.LBB47_456:
	s_or_b32 exec_lo, exec_lo, s25
.LBB47_457:
	s_mov_b32 s1, -1
.LBB47_458:
	s_mov_b32 s25, 0
.LBB47_459:
	s_delay_alu instid0(SALU_CYCLE_1)
	s_and_b32 vcc_lo, exec_lo, s25
	s_cbranch_vccz .LBB47_494
; %bb.460:
	s_cmp_gt_i32 s0, 22
	s_cbranch_scc0 .LBB47_470
; %bb.461:
	s_cmp_lt_i32 s0, 24
	s_cbranch_scc1 .LBB47_473
; %bb.462:
	s_cmp_gt_i32 s0, 24
	s_cbranch_scc0 .LBB47_474
; %bb.463:
	global_load_u8 v3, v[4:5], off
	s_mov_b32 s1, 0
	s_mov_b32 s25, exec_lo
	s_wait_loadcnt 0x0
	v_cmpx_lt_i16_e32 0x7f, v3
	s_xor_b32 s25, exec_lo, s25
	s_cbranch_execz .LBB47_486
; %bb.464:
	s_mov_b32 s1, -1
	s_mov_b32 s26, exec_lo
	v_cmpx_eq_u16_e32 0x80, v3
; %bb.465:
	s_xor_b32 s1, exec_lo, -1
; %bb.466:
	s_or_b32 exec_lo, exec_lo, s26
	s_delay_alu instid0(SALU_CYCLE_1)
	s_and_b32 s1, s1, exec_lo
	s_or_saveexec_b32 s25, s25
	v_mov_b32_e32 v1, 0x7f800001
	s_xor_b32 exec_lo, exec_lo, s25
	s_cbranch_execnz .LBB47_487
.LBB47_467:
	s_or_b32 exec_lo, exec_lo, s25
	s_and_saveexec_b32 s25, s1
	s_cbranch_execz .LBB47_469
.LBB47_468:
	v_and_b32_e32 v1, 0xffff, v3
	s_delay_alu instid0(VALU_DEP_1) | instskip(SKIP_1) | instid1(VALU_DEP_2)
	v_and_b32_e32 v6, 3, v1
	v_bfe_u32 v9, v1, 2, 5
	v_clz_i32_u32_e32 v7, v6
	s_delay_alu instid0(VALU_DEP_2) | instskip(NEXT) | instid1(VALU_DEP_2)
	v_cmp_eq_u32_e32 vcc_lo, 0, v9
	v_min_u32_e32 v7, 32, v7
	s_delay_alu instid0(VALU_DEP_1) | instskip(NEXT) | instid1(VALU_DEP_1)
	v_subrev_nc_u32_e32 v8, 29, v7
	v_dual_lshlrev_b32 v1, v8, v1 :: v_dual_sub_nc_u32 v7, 30, v7
	s_delay_alu instid0(VALU_DEP_1) | instskip(NEXT) | instid1(VALU_DEP_1)
	v_dual_lshlrev_b32 v3, 24, v3 :: v_dual_bitop2_b32 v1, 3, v1 bitop3:0x40
	v_dual_cndmask_b32 v1, v6, v1, vcc_lo :: v_dual_cndmask_b32 v7, v9, v7, vcc_lo
	s_delay_alu instid0(VALU_DEP_2) | instskip(NEXT) | instid1(VALU_DEP_2)
	v_and_b32_e32 v3, 0x80000000, v3
	v_lshlrev_b32_e32 v1, 21, v1
	s_delay_alu instid0(VALU_DEP_3) | instskip(NEXT) | instid1(VALU_DEP_1)
	v_lshl_add_u32 v6, v7, 23, 0x37800000
	v_or3_b32 v1, v3, v6, v1
.LBB47_469:
	s_or_b32 exec_lo, exec_lo, s25
	s_mov_b32 s1, 0
	s_branch .LBB47_475
.LBB47_470:
	s_mov_b32 s25, -1
                                        ; implicit-def: $vgpr1
	s_branch .LBB47_481
.LBB47_471:
	s_or_saveexec_b32 s25, s25
	v_mov_b32_e32 v1, 0x7f800001
	s_xor_b32 exec_lo, exec_lo, s25
	s_cbranch_execz .LBB47_454
.LBB47_472:
	v_cmp_ne_u16_e32 vcc_lo, 0, v3
	v_mov_b32_e32 v1, 0
	s_and_not1_b32 s1, s1, exec_lo
	s_and_b32 s26, vcc_lo, exec_lo
	s_delay_alu instid0(SALU_CYCLE_1)
	s_or_b32 s1, s1, s26
	s_or_b32 exec_lo, exec_lo, s25
	s_and_saveexec_b32 s25, s1
	s_cbranch_execnz .LBB47_455
	s_branch .LBB47_456
.LBB47_473:
	s_mov_b32 s1, -1
                                        ; implicit-def: $vgpr1
	s_branch .LBB47_478
.LBB47_474:
	s_mov_b32 s1, -1
                                        ; implicit-def: $vgpr1
.LBB47_475:
	s_delay_alu instid0(SALU_CYCLE_1)
	s_and_b32 vcc_lo, exec_lo, s1
	s_cbranch_vccz .LBB47_477
; %bb.476:
	s_wait_loadcnt 0x0
	global_load_u8 v1, v[4:5], off
	s_wait_loadcnt 0x0
	v_lshlrev_b32_e32 v1, 24, v1
	s_delay_alu instid0(VALU_DEP_1) | instskip(NEXT) | instid1(VALU_DEP_1)
	v_and_b32_e32 v3, 0x7f000000, v1
	v_clz_i32_u32_e32 v6, v3
	v_cmp_ne_u32_e32 vcc_lo, 0, v3
	v_add_nc_u32_e32 v8, 0x1000000, v3
	s_delay_alu instid0(VALU_DEP_3) | instskip(NEXT) | instid1(VALU_DEP_1)
	v_min_u32_e32 v6, 32, v6
	v_sub_nc_u32_e64 v6, v6, 4 clamp
	s_delay_alu instid0(VALU_DEP_1) | instskip(NEXT) | instid1(VALU_DEP_1)
	v_dual_lshlrev_b32 v7, v6, v3 :: v_dual_lshlrev_b32 v6, 23, v6
	v_lshrrev_b32_e32 v7, 4, v7
	s_delay_alu instid0(VALU_DEP_1) | instskip(NEXT) | instid1(VALU_DEP_1)
	v_dual_sub_nc_u32 v6, v7, v6 :: v_dual_ashrrev_i32 v7, 8, v8
	v_add_nc_u32_e32 v6, 0x3c000000, v6
	s_delay_alu instid0(VALU_DEP_1) | instskip(NEXT) | instid1(VALU_DEP_1)
	v_and_or_b32 v6, 0x7f800000, v7, v6
	v_cndmask_b32_e32 v3, 0, v6, vcc_lo
	s_delay_alu instid0(VALU_DEP_1)
	v_and_or_b32 v1, 0x80000000, v1, v3
.LBB47_477:
	s_mov_b32 s1, 0
.LBB47_478:
	s_delay_alu instid0(SALU_CYCLE_1)
	s_and_not1_b32 vcc_lo, exec_lo, s1
	s_cbranch_vccnz .LBB47_480
; %bb.479:
	s_wait_loadcnt 0x0
	global_load_u8 v1, v[4:5], off
	s_wait_loadcnt 0x0
	v_lshlrev_b32_e32 v3, 25, v1
	v_lshlrev_b16 v1, 8, v1
	s_delay_alu instid0(VALU_DEP_1) | instskip(SKIP_1) | instid1(VALU_DEP_2)
	v_and_or_b32 v7, 0x7f00, v1, 0.5
	v_bfe_i32 v1, v1, 0, 16
	v_add_f32_e32 v7, -0.5, v7
	v_lshrrev_b32_e32 v6, 4, v3
	v_cmp_gt_u32_e32 vcc_lo, 0x8000000, v3
	s_delay_alu instid0(VALU_DEP_2) | instskip(NEXT) | instid1(VALU_DEP_1)
	v_or_b32_e32 v6, 0x70000000, v6
	v_mul_f32_e32 v6, 0x7800000, v6
	s_delay_alu instid0(VALU_DEP_1) | instskip(NEXT) | instid1(VALU_DEP_1)
	v_cndmask_b32_e32 v3, v6, v7, vcc_lo
	v_and_or_b32 v1, 0x80000000, v1, v3
.LBB47_480:
	s_mov_b32 s25, 0
	s_mov_b32 s1, -1
.LBB47_481:
	s_and_not1_b32 vcc_lo, exec_lo, s25
	s_cbranch_vccnz .LBB47_494
; %bb.482:
	s_cmp_gt_i32 s0, 14
	s_cbranch_scc0 .LBB47_485
; %bb.483:
	s_cmp_eq_u32 s0, 15
	s_cbranch_scc0 .LBB47_488
; %bb.484:
	s_wait_loadcnt 0x0
	global_load_u16 v1, v[4:5], off
	s_mov_b32 s1, -1
	s_mov_b32 s24, 0
	s_wait_loadcnt 0x0
	v_lshlrev_b32_e32 v1, 16, v1
	s_branch .LBB47_489
.LBB47_485:
	s_mov_b32 s25, -1
                                        ; implicit-def: $vgpr1
	s_branch .LBB47_490
.LBB47_486:
	s_or_saveexec_b32 s25, s25
	v_mov_b32_e32 v1, 0x7f800001
	s_xor_b32 exec_lo, exec_lo, s25
	s_cbranch_execz .LBB47_467
.LBB47_487:
	v_cmp_ne_u16_e32 vcc_lo, 0, v3
	v_mov_b32_e32 v1, 0
	s_and_not1_b32 s1, s1, exec_lo
	s_and_b32 s26, vcc_lo, exec_lo
	s_delay_alu instid0(SALU_CYCLE_1)
	s_or_b32 s1, s1, s26
	s_or_b32 exec_lo, exec_lo, s25
	s_and_saveexec_b32 s25, s1
	s_cbranch_execnz .LBB47_468
	s_branch .LBB47_469
.LBB47_488:
	s_mov_b32 s24, -1
                                        ; implicit-def: $vgpr1
.LBB47_489:
	s_mov_b32 s25, 0
.LBB47_490:
	s_delay_alu instid0(SALU_CYCLE_1)
	s_and_b32 vcc_lo, exec_lo, s25
	s_cbranch_vccz .LBB47_494
; %bb.491:
	s_cmp_eq_u32 s0, 11
	s_cbranch_scc0 .LBB47_493
; %bb.492:
	s_wait_loadcnt 0x0
	global_load_u8 v1, v[4:5], off
	s_mov_b32 s24, 0
	s_mov_b32 s1, -1
	s_wait_loadcnt 0x0
	v_cmp_ne_u16_e32 vcc_lo, 0, v1
	v_cndmask_b32_e64 v1, 0, 1.0, vcc_lo
	s_branch .LBB47_494
.LBB47_493:
	s_mov_b32 s24, -1
                                        ; implicit-def: $vgpr1
.LBB47_494:
	s_branch .LBB47_296
.LBB47_495:
	s_cmp_lt_i32 s0, 5
	s_cbranch_scc1 .LBB47_500
; %bb.496:
	s_cmp_lt_i32 s0, 8
	s_cbranch_scc1 .LBB47_501
; %bb.497:
	;; [unrolled: 3-line block ×3, first 2 shown]
	s_cmp_gt_i32 s0, 9
	s_cbranch_scc0 .LBB47_503
; %bb.499:
	global_load_b64 v[6:7], v[4:5], off
	s_mov_b32 s1, 0
	s_wait_loadcnt 0x0
	v_cvt_f32_f64_e32 v1, v[6:7]
	s_branch .LBB47_504
.LBB47_500:
	s_mov_b32 s1, -1
                                        ; implicit-def: $vgpr1
	s_branch .LBB47_522
.LBB47_501:
	s_mov_b32 s1, -1
                                        ; implicit-def: $vgpr1
	s_branch .LBB47_510
.LBB47_502:
	s_mov_b32 s1, -1
                                        ; implicit-def: $vgpr1
	s_branch .LBB47_507
.LBB47_503:
	s_mov_b32 s1, -1
                                        ; implicit-def: $vgpr1
.LBB47_504:
	s_delay_alu instid0(SALU_CYCLE_1)
	s_and_not1_b32 vcc_lo, exec_lo, s1
	s_cbranch_vccnz .LBB47_506
; %bb.505:
	s_wait_loadcnt 0x0
	global_load_b32 v1, v[4:5], off
.LBB47_506:
	s_mov_b32 s1, 0
.LBB47_507:
	s_delay_alu instid0(SALU_CYCLE_1)
	s_and_not1_b32 vcc_lo, exec_lo, s1
	s_cbranch_vccnz .LBB47_509
; %bb.508:
	s_wait_loadcnt 0x0
	global_load_b32 v1, v[4:5], off
	s_wait_loadcnt 0x0
	v_cvt_f32_f16_e32 v1, v1
.LBB47_509:
	s_mov_b32 s1, 0
.LBB47_510:
	s_delay_alu instid0(SALU_CYCLE_1)
	s_and_not1_b32 vcc_lo, exec_lo, s1
	s_cbranch_vccnz .LBB47_521
; %bb.511:
	s_cmp_lt_i32 s0, 6
	s_cbranch_scc1 .LBB47_514
; %bb.512:
	s_cmp_gt_i32 s0, 6
	s_cbranch_scc0 .LBB47_515
; %bb.513:
	global_load_b64 v[6:7], v[4:5], off
	s_mov_b32 s1, 0
	s_wait_loadcnt 0x0
	v_cvt_f32_f64_e32 v1, v[6:7]
	s_branch .LBB47_516
.LBB47_514:
	s_mov_b32 s1, -1
                                        ; implicit-def: $vgpr1
	s_branch .LBB47_519
.LBB47_515:
	s_mov_b32 s1, -1
                                        ; implicit-def: $vgpr1
.LBB47_516:
	s_delay_alu instid0(SALU_CYCLE_1)
	s_and_not1_b32 vcc_lo, exec_lo, s1
	s_cbranch_vccnz .LBB47_518
; %bb.517:
	s_wait_loadcnt 0x0
	global_load_b32 v1, v[4:5], off
.LBB47_518:
	s_mov_b32 s1, 0
.LBB47_519:
	s_delay_alu instid0(SALU_CYCLE_1)
	s_and_not1_b32 vcc_lo, exec_lo, s1
	s_cbranch_vccnz .LBB47_521
; %bb.520:
	s_wait_loadcnt 0x0
	global_load_u16 v1, v[4:5], off
	s_wait_loadcnt 0x0
	v_cvt_f32_f16_e32 v1, v1
.LBB47_521:
	s_mov_b32 s1, 0
.LBB47_522:
	s_delay_alu instid0(SALU_CYCLE_1)
	s_and_not1_b32 vcc_lo, exec_lo, s1
	s_cbranch_vccnz .LBB47_542
; %bb.523:
	s_cmp_lt_i32 s0, 2
	s_cbranch_scc1 .LBB47_527
; %bb.524:
	s_cmp_lt_i32 s0, 3
	s_cbranch_scc1 .LBB47_528
; %bb.525:
	s_cmp_gt_i32 s0, 3
	s_cbranch_scc0 .LBB47_529
; %bb.526:
	global_load_b64 v[6:7], v[4:5], off
	s_mov_b32 s1, 0
	s_wait_loadcnt 0x0
	v_xor_b32_e32 v1, v6, v7
	v_cls_i32_e32 v3, v7
	s_delay_alu instid0(VALU_DEP_2) | instskip(NEXT) | instid1(VALU_DEP_1)
	v_ashrrev_i32_e32 v1, 31, v1
	v_add_nc_u32_e32 v1, 32, v1
	s_delay_alu instid0(VALU_DEP_1) | instskip(NEXT) | instid1(VALU_DEP_1)
	v_add_min_u32_e64 v1, v3, -1, v1
	v_lshlrev_b64_e32 v[6:7], v1, v[6:7]
	v_sub_nc_u32_e32 v1, 32, v1
	s_delay_alu instid0(VALU_DEP_2) | instskip(NEXT) | instid1(VALU_DEP_1)
	v_min_u32_e32 v3, 1, v6
	v_or_b32_e32 v3, v7, v3
	s_delay_alu instid0(VALU_DEP_1) | instskip(NEXT) | instid1(VALU_DEP_1)
	v_cvt_f32_i32_e32 v3, v3
	v_ldexp_f32 v1, v3, v1
	s_branch .LBB47_530
.LBB47_527:
	s_mov_b32 s1, -1
                                        ; implicit-def: $vgpr1
	s_branch .LBB47_536
.LBB47_528:
	s_mov_b32 s1, -1
                                        ; implicit-def: $vgpr1
	s_branch .LBB47_533
.LBB47_529:
	s_mov_b32 s1, -1
                                        ; implicit-def: $vgpr1
.LBB47_530:
	s_delay_alu instid0(SALU_CYCLE_1)
	s_and_not1_b32 vcc_lo, exec_lo, s1
	s_cbranch_vccnz .LBB47_532
; %bb.531:
	s_wait_loadcnt 0x0
	global_load_b32 v1, v[4:5], off
	s_wait_loadcnt 0x0
	v_cvt_f32_i32_e32 v1, v1
.LBB47_532:
	s_mov_b32 s1, 0
.LBB47_533:
	s_delay_alu instid0(SALU_CYCLE_1)
	s_and_not1_b32 vcc_lo, exec_lo, s1
	s_cbranch_vccnz .LBB47_535
; %bb.534:
	s_wait_loadcnt 0x0
	global_load_i16 v1, v[4:5], off
	s_wait_loadcnt 0x0
	v_cvt_f32_i32_e32 v1, v1
.LBB47_535:
	s_mov_b32 s1, 0
.LBB47_536:
	s_delay_alu instid0(SALU_CYCLE_1)
	s_and_not1_b32 vcc_lo, exec_lo, s1
	s_cbranch_vccnz .LBB47_542
; %bb.537:
	s_cmp_gt_i32 s0, 0
	s_mov_b32 s0, 0
	s_cbranch_scc0 .LBB47_539
; %bb.538:
	s_wait_loadcnt 0x0
	global_load_i8 v1, v[4:5], off
	s_wait_loadcnt 0x0
	v_cvt_f32_i32_e32 v1, v1
	s_branch .LBB47_540
.LBB47_539:
	s_mov_b32 s0, -1
                                        ; implicit-def: $vgpr1
.LBB47_540:
	s_delay_alu instid0(SALU_CYCLE_1)
	s_and_not1_b32 vcc_lo, exec_lo, s0
	s_cbranch_vccnz .LBB47_542
; %bb.541:
	s_wait_loadcnt 0x0
	global_load_u8 v1, v[4:5], off
	s_wait_loadcnt 0x0
	v_cvt_f32_ubyte0_e32 v1, v1
.LBB47_542:
	s_branch .LBB47_297
.LBB47_543:
	s_mov_b32 s0, 0
	s_mov_b32 s1, s18
.LBB47_544:
                                        ; implicit-def: $vgpr0
.LBB47_545:
	s_and_not1_b32 s25, s18, exec_lo
	s_and_b32 s1, s1, exec_lo
	s_and_not1_b32 s26, s39, exec_lo
	s_and_b32 s24, s24, exec_lo
	s_or_b32 s42, s25, s1
	s_or_b32 s41, s26, s24
	s_or_not1_b32 s0, s0, exec_lo
.LBB47_546:
	s_wait_xcnt 0x0
	s_or_b32 exec_lo, exec_lo, s43
	s_mov_b32 s1, 0
	s_mov_b32 s24, 0
	;; [unrolled: 1-line block ×3, first 2 shown]
                                        ; implicit-def: $vgpr4_vgpr5
                                        ; implicit-def: $vgpr2
                                        ; implicit-def: $vgpr6
	s_and_saveexec_b32 s43, s0
	s_cbranch_execz .LBB47_927
; %bb.547:
	s_mov_b32 s25, -1
	s_mov_b32 s26, s41
	s_mov_b32 s27, s42
	s_mov_b32 s44, exec_lo
	v_cmpx_gt_i32_e64 s36, v0
	s_cbranch_execz .LBB47_824
; %bb.548:
	s_and_not1_b32 vcc_lo, exec_lo, s31
	s_cbranch_vccnz .LBB47_554
; %bb.549:
	s_and_not1_b32 vcc_lo, exec_lo, s38
	s_cbranch_vccnz .LBB47_555
; %bb.550:
	s_add_co_i32 s1, s37, 1
	s_cmp_eq_u32 s29, 2
	s_cbranch_scc1 .LBB47_556
; %bb.551:
	v_dual_mov_b32 v2, 0 :: v_dual_mov_b32 v4, 0
	s_wait_loadcnt 0x0
	v_mov_b32_e32 v1, v0
	s_and_b32 s0, s1, 28
	s_mov_b32 s45, 0
	s_mov_b64 s[24:25], s[2:3]
	s_mov_b64 s[26:27], s[22:23]
.LBB47_552:                             ; =>This Inner Loop Header: Depth=1
	s_clause 0x1
	s_load_b256 s[48:55], s[24:25], 0x4
	s_load_b128 s[64:67], s[24:25], 0x24
	s_load_b256 s[56:63], s[26:27], 0x0
	s_add_co_i32 s45, s45, 4
	s_wait_xcnt 0x0
	s_add_nc_u64 s[24:25], s[24:25], 48
	s_cmp_eq_u32 s0, s45
	s_add_nc_u64 s[26:27], s[26:27], 32
	s_wait_kmcnt 0x0
	v_mul_hi_u32 v3, s49, v1
	s_delay_alu instid0(VALU_DEP_1) | instskip(NEXT) | instid1(VALU_DEP_1)
	v_add_nc_u32_e32 v3, v1, v3
	v_lshrrev_b32_e32 v3, s50, v3
	s_delay_alu instid0(VALU_DEP_1) | instskip(NEXT) | instid1(VALU_DEP_1)
	v_mul_hi_u32 v5, s52, v3
	v_add_nc_u32_e32 v5, v3, v5
	s_delay_alu instid0(VALU_DEP_1) | instskip(NEXT) | instid1(VALU_DEP_1)
	v_lshrrev_b32_e32 v5, s53, v5
	v_mul_hi_u32 v6, s55, v5
	s_delay_alu instid0(VALU_DEP_1) | instskip(SKIP_1) | instid1(VALU_DEP_1)
	v_add_nc_u32_e32 v6, v5, v6
	v_mul_lo_u32 v7, v3, s48
	v_sub_nc_u32_e32 v1, v1, v7
	v_mul_lo_u32 v7, v5, s51
	s_delay_alu instid0(VALU_DEP_4) | instskip(NEXT) | instid1(VALU_DEP_3)
	v_lshrrev_b32_e32 v6, s64, v6
	v_mad_u32 v4, v1, s57, v4
	v_mad_u32 v1, v1, s56, v2
	s_delay_alu instid0(VALU_DEP_4) | instskip(NEXT) | instid1(VALU_DEP_4)
	v_sub_nc_u32_e32 v2, v3, v7
	v_mul_hi_u32 v8, s66, v6
	v_mul_lo_u32 v3, v6, s54
	s_delay_alu instid0(VALU_DEP_3) | instskip(SKIP_1) | instid1(VALU_DEP_3)
	v_mad_u32 v4, v2, s59, v4
	v_mad_u32 v2, v2, s58, v1
	v_dual_add_nc_u32 v7, v6, v8 :: v_dual_sub_nc_u32 v3, v5, v3
	s_delay_alu instid0(VALU_DEP_1) | instskip(NEXT) | instid1(VALU_DEP_2)
	v_lshrrev_b32_e32 v1, s67, v7
	v_mad_u32 v4, v3, s61, v4
	s_delay_alu instid0(VALU_DEP_4) | instskip(NEXT) | instid1(VALU_DEP_3)
	v_mad_u32 v2, v3, s60, v2
	v_mul_lo_u32 v5, v1, s65
	s_delay_alu instid0(VALU_DEP_1) | instskip(NEXT) | instid1(VALU_DEP_1)
	v_sub_nc_u32_e32 v3, v6, v5
	v_mad_u32 v4, v3, s63, v4
	s_delay_alu instid0(VALU_DEP_4)
	v_mad_u32 v2, v3, s62, v2
	s_cbranch_scc0 .LBB47_552
; %bb.553:
	s_delay_alu instid0(VALU_DEP_2)
	v_mov_b32_e32 v3, v4
	s_branch .LBB47_557
.LBB47_554:
	s_mov_b32 s0, -1
                                        ; implicit-def: $vgpr4
                                        ; implicit-def: $vgpr2
	s_branch .LBB47_562
.LBB47_555:
	v_dual_mov_b32 v4, 0 :: v_dual_mov_b32 v2, 0
	s_branch .LBB47_561
.LBB47_556:
	v_mov_b64_e32 v[2:3], 0
	s_wait_loadcnt 0x0
	v_mov_b32_e32 v1, v0
	s_mov_b32 s0, 0
                                        ; implicit-def: $vgpr4
.LBB47_557:
	s_and_b32 s26, s1, 3
	s_mov_b32 s1, 0
	s_cmp_eq_u32 s26, 0
	s_cbranch_scc1 .LBB47_561
; %bb.558:
	s_lshl_b32 s24, s0, 3
	s_mov_b32 s25, s1
	s_mul_u64 s[46:47], s[0:1], 12
	s_add_nc_u64 s[24:25], s[2:3], s[24:25]
	s_delay_alu instid0(SALU_CYCLE_1)
	s_add_nc_u64 s[0:1], s[24:25], 0xc4
	s_add_nc_u64 s[24:25], s[2:3], s[46:47]
.LBB47_559:                             ; =>This Inner Loop Header: Depth=1
	s_load_b96 s[48:50], s[24:25], 0x4
	s_load_b64 s[46:47], s[0:1], 0x0
	s_add_co_i32 s26, s26, -1
	s_wait_xcnt 0x0
	s_add_nc_u64 s[24:25], s[24:25], 12
	s_cmp_lg_u32 s26, 0
	s_add_nc_u64 s[0:1], s[0:1], 8
	s_wait_kmcnt 0x0
	v_mul_hi_u32 v4, s49, v1
	s_delay_alu instid0(VALU_DEP_1) | instskip(NEXT) | instid1(VALU_DEP_1)
	v_add_nc_u32_e32 v4, v1, v4
	v_lshrrev_b32_e32 v4, s50, v4
	s_delay_alu instid0(VALU_DEP_1) | instskip(NEXT) | instid1(VALU_DEP_1)
	v_mul_lo_u32 v5, v4, s48
	v_sub_nc_u32_e32 v1, v1, v5
	s_delay_alu instid0(VALU_DEP_1)
	v_mad_u32 v3, v1, s47, v3
	v_mad_u32 v2, v1, s46, v2
	v_mov_b32_e32 v1, v4
	s_cbranch_scc1 .LBB47_559
; %bb.560:
	s_delay_alu instid0(VALU_DEP_3)
	v_mov_b32_e32 v4, v3
.LBB47_561:
	s_mov_b32 s0, 0
.LBB47_562:
	s_delay_alu instid0(SALU_CYCLE_1)
	s_and_not1_b32 vcc_lo, exec_lo, s0
	s_cbranch_vccnz .LBB47_565
; %bb.563:
	s_wait_loadcnt 0x0
	v_mov_b32_e32 v1, 0
	s_and_not1_b32 vcc_lo, exec_lo, s35
	s_delay_alu instid0(VALU_DEP_1) | instskip(NEXT) | instid1(VALU_DEP_1)
	v_mul_u64_e32 v[2:3], s[16:17], v[0:1]
	v_add_nc_u32_e32 v2, v0, v3
	s_delay_alu instid0(VALU_DEP_1) | instskip(NEXT) | instid1(VALU_DEP_1)
	v_lshrrev_b32_e32 v6, s14, v2
	v_mul_lo_u32 v2, v6, s12
	s_delay_alu instid0(VALU_DEP_1) | instskip(NEXT) | instid1(VALU_DEP_1)
	v_sub_nc_u32_e32 v2, v0, v2
	v_mul_lo_u32 v4, v2, s9
	v_mul_lo_u32 v2, v2, s8
	s_cbranch_vccnz .LBB47_565
; %bb.564:
	v_mov_b32_e32 v7, v1
	s_delay_alu instid0(VALU_DEP_1) | instskip(NEXT) | instid1(VALU_DEP_1)
	v_mul_u64_e32 v[8:9], s[20:21], v[6:7]
	v_add_nc_u32_e32 v1, v6, v9
	s_delay_alu instid0(VALU_DEP_1) | instskip(NEXT) | instid1(VALU_DEP_1)
	v_lshrrev_b32_e32 v1, s19, v1
	v_mul_lo_u32 v1, v1, s15
	s_delay_alu instid0(VALU_DEP_1) | instskip(NEXT) | instid1(VALU_DEP_1)
	v_sub_nc_u32_e32 v1, v6, v1
	v_mad_u32 v2, v1, s10, v2
	v_mad_u32 v4, v1, s11, v4
.LBB47_565:
	v_mov_b32_e32 v5, 0
	s_and_b32 s0, 0xffff, s13
	s_delay_alu instid0(SALU_CYCLE_1) | instskip(NEXT) | instid1(VALU_DEP_1)
	s_cmp_lt_i32 s0, 11
	v_add_nc_u64_e32 v[4:5], s[6:7], v[4:5]
	s_cbranch_scc1 .LBB47_572
; %bb.566:
	s_cmp_gt_i32 s0, 25
	s_cbranch_scc0 .LBB47_573
; %bb.567:
	s_cmp_gt_i32 s0, 28
	s_cbranch_scc0 .LBB47_574
	;; [unrolled: 3-line block ×4, first 2 shown]
; %bb.570:
	s_cmp_eq_u32 s0, 46
	s_mov_b32 s25, 0
	s_cbranch_scc0 .LBB47_581
; %bb.571:
	s_wait_loadcnt 0x0
	global_load_b32 v1, v[4:5], off
	s_mov_b32 s1, -1
	s_mov_b32 s24, 0
	s_wait_loadcnt 0x0
	v_lshlrev_b32_e32 v1, 16, v1
	s_branch .LBB47_583
.LBB47_572:
	s_mov_b32 s25, -1
	s_mov_b32 s1, 0
	s_mov_b32 s24, s41
                                        ; implicit-def: $vgpr1
	s_branch .LBB47_648
.LBB47_573:
	s_mov_b32 s25, -1
	s_mov_b32 s1, 0
	s_mov_b32 s24, s41
                                        ; implicit-def: $vgpr1
	s_branch .LBB47_612
.LBB47_574:
	s_mov_b32 s25, -1
	s_mov_b32 s1, 0
	s_mov_b32 s24, s41
                                        ; implicit-def: $vgpr1
	s_branch .LBB47_593
.LBB47_575:
	s_mov_b32 s25, -1
	s_mov_b32 s1, 0
	s_mov_b32 s24, s41
                                        ; implicit-def: $vgpr1
	s_branch .LBB47_588
.LBB47_576:
	s_and_not1_saveexec_b32 s42, s42
	s_cbranch_execz .LBB47_343
.LBB47_577:
	v_add_f32_e32 v1, 0x46000000, v4
	s_and_not1_b32 s41, s41, exec_lo
	s_delay_alu instid0(VALU_DEP_1) | instskip(NEXT) | instid1(VALU_DEP_1)
	v_and_b32_e32 v1, 0xff, v1
	v_cmp_ne_u32_e32 vcc_lo, 0, v1
	s_and_b32 s44, vcc_lo, exec_lo
	s_delay_alu instid0(SALU_CYCLE_1)
	s_or_b32 s41, s41, s44
	s_or_b32 exec_lo, exec_lo, s42
	v_mov_b32_e32 v5, 0
	s_and_saveexec_b32 s42, s41
	s_cbranch_execnz .LBB47_344
	s_branch .LBB47_345
.LBB47_578:
	s_mov_b32 s25, -1
	s_mov_b32 s1, 0
	s_mov_b32 s24, s41
	s_branch .LBB47_582
.LBB47_579:
	s_and_not1_saveexec_b32 s42, s42
	s_cbranch_execz .LBB47_356
.LBB47_580:
	v_add_f32_e32 v1, 0x42800000, v4
	s_and_not1_b32 s41, s41, exec_lo
	s_delay_alu instid0(VALU_DEP_1) | instskip(NEXT) | instid1(VALU_DEP_1)
	v_and_b32_e32 v1, 0xff, v1
	v_cmp_ne_u32_e32 vcc_lo, 0, v1
	s_and_b32 s44, vcc_lo, exec_lo
	s_delay_alu instid0(SALU_CYCLE_1)
	s_or_b32 s41, s41, s44
	s_or_b32 exec_lo, exec_lo, s42
	v_mov_b32_e32 v5, 0
	s_and_saveexec_b32 s42, s41
	s_cbranch_execnz .LBB47_357
	s_branch .LBB47_358
.LBB47_581:
	s_mov_b32 s24, -1
	s_mov_b32 s1, 0
.LBB47_582:
                                        ; implicit-def: $vgpr1
.LBB47_583:
	s_and_b32 vcc_lo, exec_lo, s25
	s_cbranch_vccz .LBB47_587
; %bb.584:
	s_cmp_eq_u32 s0, 44
	s_cbranch_scc0 .LBB47_586
; %bb.585:
	s_wait_loadcnt 0x0
	global_load_u8 v1, v[4:5], off
	s_mov_b32 s24, 0
	s_mov_b32 s1, -1
	s_wait_loadcnt 0x0
	v_lshlrev_b32_e32 v3, 23, v1
	v_cmp_ne_u32_e32 vcc_lo, 0xff, v1
	s_delay_alu instid0(VALU_DEP_2) | instskip(SKIP_1) | instid1(VALU_DEP_2)
	v_cndmask_b32_e32 v3, 0x7f800001, v3, vcc_lo
	v_cmp_ne_u32_e32 vcc_lo, 0, v1
	v_cndmask_b32_e32 v1, 0x400000, v3, vcc_lo
	s_branch .LBB47_587
.LBB47_586:
	s_mov_b32 s24, -1
                                        ; implicit-def: $vgpr1
.LBB47_587:
	s_mov_b32 s25, 0
.LBB47_588:
	s_delay_alu instid0(SALU_CYCLE_1)
	s_and_b32 vcc_lo, exec_lo, s25
	s_cbranch_vccz .LBB47_592
; %bb.589:
	s_cmp_eq_u32 s0, 29
	s_cbranch_scc0 .LBB47_591
; %bb.590:
	global_load_b64 v[6:7], v[4:5], off
	s_mov_b32 s1, -1
	s_mov_b32 s24, 0
	s_mov_b32 s25, 0
	s_wait_loadcnt 0x0
	v_clz_i32_u32_e32 v1, v7
	s_delay_alu instid0(VALU_DEP_1) | instskip(NEXT) | instid1(VALU_DEP_1)
	v_min_u32_e32 v1, 32, v1
	v_lshlrev_b64_e32 v[6:7], v1, v[6:7]
	v_sub_nc_u32_e32 v1, 32, v1
	s_delay_alu instid0(VALU_DEP_2) | instskip(NEXT) | instid1(VALU_DEP_1)
	v_min_u32_e32 v3, 1, v6
	v_or_b32_e32 v3, v7, v3
	s_delay_alu instid0(VALU_DEP_1) | instskip(NEXT) | instid1(VALU_DEP_1)
	v_cvt_f32_u32_e32 v3, v3
	v_ldexp_f32 v1, v3, v1
	s_branch .LBB47_593
.LBB47_591:
	s_mov_b32 s24, -1
                                        ; implicit-def: $vgpr1
.LBB47_592:
	s_mov_b32 s25, 0
.LBB47_593:
	s_delay_alu instid0(SALU_CYCLE_1)
	s_and_b32 vcc_lo, exec_lo, s25
	s_cbranch_vccz .LBB47_611
; %bb.594:
	s_cmp_lt_i32 s0, 27
	s_cbranch_scc1 .LBB47_597
; %bb.595:
	s_cmp_gt_i32 s0, 27
	s_cbranch_scc0 .LBB47_598
; %bb.596:
	s_wait_loadcnt 0x0
	global_load_b32 v1, v[4:5], off
	s_mov_b32 s1, 0
	s_wait_loadcnt 0x0
	v_cvt_f32_u32_e32 v1, v1
	s_branch .LBB47_599
.LBB47_597:
	s_mov_b32 s1, -1
                                        ; implicit-def: $vgpr1
	s_branch .LBB47_602
.LBB47_598:
	s_mov_b32 s1, -1
                                        ; implicit-def: $vgpr1
.LBB47_599:
	s_delay_alu instid0(SALU_CYCLE_1)
	s_and_not1_b32 vcc_lo, exec_lo, s1
	s_cbranch_vccnz .LBB47_601
; %bb.600:
	s_wait_loadcnt 0x0
	global_load_u16 v1, v[4:5], off
	s_wait_loadcnt 0x0
	v_cvt_f32_u32_e32 v1, v1
.LBB47_601:
	s_mov_b32 s1, 0
.LBB47_602:
	s_delay_alu instid0(SALU_CYCLE_1)
	s_and_not1_b32 vcc_lo, exec_lo, s1
	s_cbranch_vccnz .LBB47_610
; %bb.603:
	global_load_u8 v3, v[4:5], off
	s_mov_b32 s1, 0
	s_mov_b32 s25, exec_lo
	s_wait_loadcnt 0x0
	v_cmpx_lt_i16_e32 0x7f, v3
	s_xor_b32 s25, exec_lo, s25
	s_cbranch_execz .LBB47_624
; %bb.604:
	s_mov_b32 s1, -1
	s_mov_b32 s26, exec_lo
	v_cmpx_eq_u16_e32 0x80, v3
; %bb.605:
	s_xor_b32 s1, exec_lo, -1
; %bb.606:
	s_or_b32 exec_lo, exec_lo, s26
	s_delay_alu instid0(SALU_CYCLE_1)
	s_and_b32 s1, s1, exec_lo
	s_or_saveexec_b32 s25, s25
	v_mov_b32_e32 v1, 0x7f800001
	s_xor_b32 exec_lo, exec_lo, s25
	s_cbranch_execnz .LBB47_625
.LBB47_607:
	s_or_b32 exec_lo, exec_lo, s25
	s_and_saveexec_b32 s25, s1
	s_cbranch_execz .LBB47_609
.LBB47_608:
	v_and_b32_e32 v1, 0xffff, v3
	s_delay_alu instid0(VALU_DEP_1) | instskip(SKIP_1) | instid1(VALU_DEP_2)
	v_and_b32_e32 v6, 7, v1
	v_bfe_u32 v9, v1, 3, 4
	v_clz_i32_u32_e32 v7, v6
	s_delay_alu instid0(VALU_DEP_2) | instskip(NEXT) | instid1(VALU_DEP_2)
	v_cmp_eq_u32_e32 vcc_lo, 0, v9
	v_min_u32_e32 v7, 32, v7
	s_delay_alu instid0(VALU_DEP_1) | instskip(NEXT) | instid1(VALU_DEP_1)
	v_subrev_nc_u32_e32 v8, 28, v7
	v_dual_lshlrev_b32 v1, v8, v1 :: v_dual_sub_nc_u32 v7, 29, v7
	s_delay_alu instid0(VALU_DEP_1) | instskip(NEXT) | instid1(VALU_DEP_1)
	v_dual_lshlrev_b32 v3, 24, v3 :: v_dual_bitop2_b32 v1, 7, v1 bitop3:0x40
	v_dual_cndmask_b32 v1, v6, v1, vcc_lo :: v_dual_cndmask_b32 v7, v9, v7, vcc_lo
	s_delay_alu instid0(VALU_DEP_2) | instskip(NEXT) | instid1(VALU_DEP_2)
	v_and_b32_e32 v3, 0x80000000, v3
	v_lshlrev_b32_e32 v1, 20, v1
	s_delay_alu instid0(VALU_DEP_3) | instskip(NEXT) | instid1(VALU_DEP_1)
	v_lshl_add_u32 v6, v7, 23, 0x3b800000
	v_or3_b32 v1, v3, v6, v1
.LBB47_609:
	s_or_b32 exec_lo, exec_lo, s25
.LBB47_610:
	s_mov_b32 s1, -1
.LBB47_611:
	s_mov_b32 s25, 0
.LBB47_612:
	s_delay_alu instid0(SALU_CYCLE_1)
	s_and_b32 vcc_lo, exec_lo, s25
	s_cbranch_vccz .LBB47_647
; %bb.613:
	s_cmp_gt_i32 s0, 22
	s_cbranch_scc0 .LBB47_623
; %bb.614:
	s_cmp_lt_i32 s0, 24
	s_cbranch_scc1 .LBB47_626
; %bb.615:
	s_cmp_gt_i32 s0, 24
	s_cbranch_scc0 .LBB47_627
; %bb.616:
	global_load_u8 v3, v[4:5], off
	s_mov_b32 s1, 0
	s_mov_b32 s25, exec_lo
	s_wait_loadcnt 0x0
	v_cmpx_lt_i16_e32 0x7f, v3
	s_xor_b32 s25, exec_lo, s25
	s_cbranch_execz .LBB47_639
; %bb.617:
	s_mov_b32 s1, -1
	s_mov_b32 s26, exec_lo
	v_cmpx_eq_u16_e32 0x80, v3
; %bb.618:
	s_xor_b32 s1, exec_lo, -1
; %bb.619:
	s_or_b32 exec_lo, exec_lo, s26
	s_delay_alu instid0(SALU_CYCLE_1)
	s_and_b32 s1, s1, exec_lo
	s_or_saveexec_b32 s25, s25
	v_mov_b32_e32 v1, 0x7f800001
	s_xor_b32 exec_lo, exec_lo, s25
	s_cbranch_execnz .LBB47_640
.LBB47_620:
	s_or_b32 exec_lo, exec_lo, s25
	s_and_saveexec_b32 s25, s1
	s_cbranch_execz .LBB47_622
.LBB47_621:
	v_and_b32_e32 v1, 0xffff, v3
	s_delay_alu instid0(VALU_DEP_1) | instskip(SKIP_1) | instid1(VALU_DEP_2)
	v_and_b32_e32 v6, 3, v1
	v_bfe_u32 v9, v1, 2, 5
	v_clz_i32_u32_e32 v7, v6
	s_delay_alu instid0(VALU_DEP_2) | instskip(NEXT) | instid1(VALU_DEP_2)
	v_cmp_eq_u32_e32 vcc_lo, 0, v9
	v_min_u32_e32 v7, 32, v7
	s_delay_alu instid0(VALU_DEP_1) | instskip(NEXT) | instid1(VALU_DEP_1)
	v_subrev_nc_u32_e32 v8, 29, v7
	v_dual_lshlrev_b32 v1, v8, v1 :: v_dual_sub_nc_u32 v7, 30, v7
	s_delay_alu instid0(VALU_DEP_1) | instskip(NEXT) | instid1(VALU_DEP_1)
	v_dual_lshlrev_b32 v3, 24, v3 :: v_dual_bitop2_b32 v1, 3, v1 bitop3:0x40
	v_dual_cndmask_b32 v1, v6, v1, vcc_lo :: v_dual_cndmask_b32 v7, v9, v7, vcc_lo
	s_delay_alu instid0(VALU_DEP_2) | instskip(NEXT) | instid1(VALU_DEP_2)
	v_and_b32_e32 v3, 0x80000000, v3
	v_lshlrev_b32_e32 v1, 21, v1
	s_delay_alu instid0(VALU_DEP_3) | instskip(NEXT) | instid1(VALU_DEP_1)
	v_lshl_add_u32 v6, v7, 23, 0x37800000
	v_or3_b32 v1, v3, v6, v1
.LBB47_622:
	s_or_b32 exec_lo, exec_lo, s25
	s_mov_b32 s1, 0
	s_branch .LBB47_628
.LBB47_623:
	s_mov_b32 s25, -1
                                        ; implicit-def: $vgpr1
	s_branch .LBB47_634
.LBB47_624:
	s_or_saveexec_b32 s25, s25
	v_mov_b32_e32 v1, 0x7f800001
	s_xor_b32 exec_lo, exec_lo, s25
	s_cbranch_execz .LBB47_607
.LBB47_625:
	v_cmp_ne_u16_e32 vcc_lo, 0, v3
	v_mov_b32_e32 v1, 0
	s_and_not1_b32 s1, s1, exec_lo
	s_and_b32 s26, vcc_lo, exec_lo
	s_delay_alu instid0(SALU_CYCLE_1)
	s_or_b32 s1, s1, s26
	s_or_b32 exec_lo, exec_lo, s25
	s_and_saveexec_b32 s25, s1
	s_cbranch_execnz .LBB47_608
	s_branch .LBB47_609
.LBB47_626:
	s_mov_b32 s1, -1
                                        ; implicit-def: $vgpr1
	s_branch .LBB47_631
.LBB47_627:
	s_mov_b32 s1, -1
                                        ; implicit-def: $vgpr1
.LBB47_628:
	s_delay_alu instid0(SALU_CYCLE_1)
	s_and_b32 vcc_lo, exec_lo, s1
	s_cbranch_vccz .LBB47_630
; %bb.629:
	s_wait_loadcnt 0x0
	global_load_u8 v1, v[4:5], off
	s_wait_loadcnt 0x0
	v_lshlrev_b32_e32 v1, 24, v1
	s_delay_alu instid0(VALU_DEP_1) | instskip(NEXT) | instid1(VALU_DEP_1)
	v_and_b32_e32 v3, 0x7f000000, v1
	v_clz_i32_u32_e32 v6, v3
	v_cmp_ne_u32_e32 vcc_lo, 0, v3
	v_add_nc_u32_e32 v8, 0x1000000, v3
	s_delay_alu instid0(VALU_DEP_3) | instskip(NEXT) | instid1(VALU_DEP_1)
	v_min_u32_e32 v6, 32, v6
	v_sub_nc_u32_e64 v6, v6, 4 clamp
	s_delay_alu instid0(VALU_DEP_1) | instskip(NEXT) | instid1(VALU_DEP_1)
	v_dual_lshlrev_b32 v7, v6, v3 :: v_dual_lshlrev_b32 v6, 23, v6
	v_lshrrev_b32_e32 v7, 4, v7
	s_delay_alu instid0(VALU_DEP_1) | instskip(NEXT) | instid1(VALU_DEP_1)
	v_dual_sub_nc_u32 v6, v7, v6 :: v_dual_ashrrev_i32 v7, 8, v8
	v_add_nc_u32_e32 v6, 0x3c000000, v6
	s_delay_alu instid0(VALU_DEP_1) | instskip(NEXT) | instid1(VALU_DEP_1)
	v_and_or_b32 v6, 0x7f800000, v7, v6
	v_cndmask_b32_e32 v3, 0, v6, vcc_lo
	s_delay_alu instid0(VALU_DEP_1)
	v_and_or_b32 v1, 0x80000000, v1, v3
.LBB47_630:
	s_mov_b32 s1, 0
.LBB47_631:
	s_delay_alu instid0(SALU_CYCLE_1)
	s_and_not1_b32 vcc_lo, exec_lo, s1
	s_cbranch_vccnz .LBB47_633
; %bb.632:
	s_wait_loadcnt 0x0
	global_load_u8 v1, v[4:5], off
	s_wait_loadcnt 0x0
	v_lshlrev_b32_e32 v3, 25, v1
	v_lshlrev_b16 v1, 8, v1
	s_delay_alu instid0(VALU_DEP_1) | instskip(SKIP_1) | instid1(VALU_DEP_2)
	v_and_or_b32 v7, 0x7f00, v1, 0.5
	v_bfe_i32 v1, v1, 0, 16
	v_add_f32_e32 v7, -0.5, v7
	v_lshrrev_b32_e32 v6, 4, v3
	v_cmp_gt_u32_e32 vcc_lo, 0x8000000, v3
	s_delay_alu instid0(VALU_DEP_2) | instskip(NEXT) | instid1(VALU_DEP_1)
	v_or_b32_e32 v6, 0x70000000, v6
	v_mul_f32_e32 v6, 0x7800000, v6
	s_delay_alu instid0(VALU_DEP_1) | instskip(NEXT) | instid1(VALU_DEP_1)
	v_cndmask_b32_e32 v3, v6, v7, vcc_lo
	v_and_or_b32 v1, 0x80000000, v1, v3
.LBB47_633:
	s_mov_b32 s25, 0
	s_mov_b32 s1, -1
.LBB47_634:
	s_and_not1_b32 vcc_lo, exec_lo, s25
	s_cbranch_vccnz .LBB47_647
; %bb.635:
	s_cmp_gt_i32 s0, 14
	s_cbranch_scc0 .LBB47_638
; %bb.636:
	s_cmp_eq_u32 s0, 15
	s_cbranch_scc0 .LBB47_641
; %bb.637:
	s_wait_loadcnt 0x0
	global_load_u16 v1, v[4:5], off
	s_mov_b32 s1, -1
	s_mov_b32 s24, 0
	s_wait_loadcnt 0x0
	v_lshlrev_b32_e32 v1, 16, v1
	s_branch .LBB47_642
.LBB47_638:
	s_mov_b32 s25, -1
                                        ; implicit-def: $vgpr1
	s_branch .LBB47_643
.LBB47_639:
	s_or_saveexec_b32 s25, s25
	v_mov_b32_e32 v1, 0x7f800001
	s_xor_b32 exec_lo, exec_lo, s25
	s_cbranch_execz .LBB47_620
.LBB47_640:
	v_cmp_ne_u16_e32 vcc_lo, 0, v3
	v_mov_b32_e32 v1, 0
	s_and_not1_b32 s1, s1, exec_lo
	s_and_b32 s26, vcc_lo, exec_lo
	s_delay_alu instid0(SALU_CYCLE_1)
	s_or_b32 s1, s1, s26
	s_or_b32 exec_lo, exec_lo, s25
	s_and_saveexec_b32 s25, s1
	s_cbranch_execnz .LBB47_621
	s_branch .LBB47_622
.LBB47_641:
	s_mov_b32 s24, -1
                                        ; implicit-def: $vgpr1
.LBB47_642:
	s_mov_b32 s25, 0
.LBB47_643:
	s_delay_alu instid0(SALU_CYCLE_1)
	s_and_b32 vcc_lo, exec_lo, s25
	s_cbranch_vccz .LBB47_647
; %bb.644:
	s_cmp_eq_u32 s0, 11
	s_cbranch_scc0 .LBB47_646
; %bb.645:
	s_wait_loadcnt 0x0
	global_load_u8 v1, v[4:5], off
	s_mov_b32 s24, 0
	s_mov_b32 s1, -1
	s_wait_loadcnt 0x0
	v_cmp_ne_u16_e32 vcc_lo, 0, v1
	v_cndmask_b32_e64 v1, 0, 1.0, vcc_lo
	s_branch .LBB47_647
.LBB47_646:
	s_mov_b32 s24, -1
                                        ; implicit-def: $vgpr1
.LBB47_647:
	s_mov_b32 s25, 0
.LBB47_648:
	s_delay_alu instid0(SALU_CYCLE_1)
	s_and_b32 vcc_lo, exec_lo, s25
	s_cbranch_vccz .LBB47_697
; %bb.649:
	s_cmp_lt_i32 s0, 5
	s_cbranch_scc1 .LBB47_654
; %bb.650:
	s_cmp_lt_i32 s0, 8
	s_cbranch_scc1 .LBB47_655
	;; [unrolled: 3-line block ×3, first 2 shown]
; %bb.652:
	s_cmp_gt_i32 s0, 9
	s_cbranch_scc0 .LBB47_657
; %bb.653:
	global_load_b64 v[6:7], v[4:5], off
	s_mov_b32 s1, 0
	s_wait_loadcnt 0x0
	v_cvt_f32_f64_e32 v1, v[6:7]
	s_branch .LBB47_658
.LBB47_654:
	s_mov_b32 s1, -1
                                        ; implicit-def: $vgpr1
	s_branch .LBB47_676
.LBB47_655:
	s_mov_b32 s1, -1
                                        ; implicit-def: $vgpr1
	s_branch .LBB47_664
.LBB47_656:
	s_mov_b32 s1, -1
                                        ; implicit-def: $vgpr1
	s_branch .LBB47_661
.LBB47_657:
	s_mov_b32 s1, -1
                                        ; implicit-def: $vgpr1
.LBB47_658:
	s_delay_alu instid0(SALU_CYCLE_1)
	s_and_not1_b32 vcc_lo, exec_lo, s1
	s_cbranch_vccnz .LBB47_660
; %bb.659:
	s_wait_loadcnt 0x0
	global_load_b32 v1, v[4:5], off
.LBB47_660:
	s_mov_b32 s1, 0
.LBB47_661:
	s_delay_alu instid0(SALU_CYCLE_1)
	s_and_not1_b32 vcc_lo, exec_lo, s1
	s_cbranch_vccnz .LBB47_663
; %bb.662:
	s_wait_loadcnt 0x0
	global_load_b32 v1, v[4:5], off
	s_wait_loadcnt 0x0
	v_cvt_f32_f16_e32 v1, v1
.LBB47_663:
	s_mov_b32 s1, 0
.LBB47_664:
	s_delay_alu instid0(SALU_CYCLE_1)
	s_and_not1_b32 vcc_lo, exec_lo, s1
	s_cbranch_vccnz .LBB47_675
; %bb.665:
	s_cmp_lt_i32 s0, 6
	s_cbranch_scc1 .LBB47_668
; %bb.666:
	s_cmp_gt_i32 s0, 6
	s_cbranch_scc0 .LBB47_669
; %bb.667:
	global_load_b64 v[6:7], v[4:5], off
	s_mov_b32 s1, 0
	s_wait_loadcnt 0x0
	v_cvt_f32_f64_e32 v1, v[6:7]
	s_branch .LBB47_670
.LBB47_668:
	s_mov_b32 s1, -1
                                        ; implicit-def: $vgpr1
	s_branch .LBB47_673
.LBB47_669:
	s_mov_b32 s1, -1
                                        ; implicit-def: $vgpr1
.LBB47_670:
	s_delay_alu instid0(SALU_CYCLE_1)
	s_and_not1_b32 vcc_lo, exec_lo, s1
	s_cbranch_vccnz .LBB47_672
; %bb.671:
	s_wait_loadcnt 0x0
	global_load_b32 v1, v[4:5], off
.LBB47_672:
	s_mov_b32 s1, 0
.LBB47_673:
	s_delay_alu instid0(SALU_CYCLE_1)
	s_and_not1_b32 vcc_lo, exec_lo, s1
	s_cbranch_vccnz .LBB47_675
; %bb.674:
	s_wait_loadcnt 0x0
	global_load_u16 v1, v[4:5], off
	s_wait_loadcnt 0x0
	v_cvt_f32_f16_e32 v1, v1
.LBB47_675:
	s_mov_b32 s1, 0
.LBB47_676:
	s_delay_alu instid0(SALU_CYCLE_1)
	s_and_not1_b32 vcc_lo, exec_lo, s1
	s_cbranch_vccnz .LBB47_696
; %bb.677:
	s_cmp_lt_i32 s0, 2
	s_cbranch_scc1 .LBB47_681
; %bb.678:
	s_cmp_lt_i32 s0, 3
	s_cbranch_scc1 .LBB47_682
; %bb.679:
	s_cmp_gt_i32 s0, 3
	s_cbranch_scc0 .LBB47_683
; %bb.680:
	global_load_b64 v[6:7], v[4:5], off
	s_mov_b32 s1, 0
	s_wait_loadcnt 0x0
	v_xor_b32_e32 v1, v6, v7
	v_cls_i32_e32 v3, v7
	s_delay_alu instid0(VALU_DEP_2) | instskip(NEXT) | instid1(VALU_DEP_1)
	v_ashrrev_i32_e32 v1, 31, v1
	v_add_nc_u32_e32 v1, 32, v1
	s_delay_alu instid0(VALU_DEP_1) | instskip(NEXT) | instid1(VALU_DEP_1)
	v_add_min_u32_e64 v1, v3, -1, v1
	v_lshlrev_b64_e32 v[6:7], v1, v[6:7]
	v_sub_nc_u32_e32 v1, 32, v1
	s_delay_alu instid0(VALU_DEP_2) | instskip(NEXT) | instid1(VALU_DEP_1)
	v_min_u32_e32 v3, 1, v6
	v_or_b32_e32 v3, v7, v3
	s_delay_alu instid0(VALU_DEP_1) | instskip(NEXT) | instid1(VALU_DEP_1)
	v_cvt_f32_i32_e32 v3, v3
	v_ldexp_f32 v1, v3, v1
	s_branch .LBB47_684
.LBB47_681:
	s_mov_b32 s1, -1
                                        ; implicit-def: $vgpr1
	s_branch .LBB47_690
.LBB47_682:
	s_mov_b32 s1, -1
                                        ; implicit-def: $vgpr1
	s_branch .LBB47_687
.LBB47_683:
	s_mov_b32 s1, -1
                                        ; implicit-def: $vgpr1
.LBB47_684:
	s_delay_alu instid0(SALU_CYCLE_1)
	s_and_not1_b32 vcc_lo, exec_lo, s1
	s_cbranch_vccnz .LBB47_686
; %bb.685:
	s_wait_loadcnt 0x0
	global_load_b32 v1, v[4:5], off
	s_wait_loadcnt 0x0
	v_cvt_f32_i32_e32 v1, v1
.LBB47_686:
	s_mov_b32 s1, 0
.LBB47_687:
	s_delay_alu instid0(SALU_CYCLE_1)
	s_and_not1_b32 vcc_lo, exec_lo, s1
	s_cbranch_vccnz .LBB47_689
; %bb.688:
	s_wait_loadcnt 0x0
	global_load_i16 v1, v[4:5], off
	s_wait_loadcnt 0x0
	v_cvt_f32_i32_e32 v1, v1
.LBB47_689:
	s_mov_b32 s1, 0
.LBB47_690:
	s_delay_alu instid0(SALU_CYCLE_1)
	s_and_not1_b32 vcc_lo, exec_lo, s1
	s_cbranch_vccnz .LBB47_696
; %bb.691:
	s_cmp_gt_i32 s0, 0
	s_mov_b32 s0, 0
	s_cbranch_scc0 .LBB47_693
; %bb.692:
	s_wait_loadcnt 0x0
	global_load_i8 v1, v[4:5], off
	s_wait_loadcnt 0x0
	v_cvt_f32_i32_e32 v1, v1
	s_branch .LBB47_694
.LBB47_693:
	s_mov_b32 s0, -1
                                        ; implicit-def: $vgpr1
.LBB47_694:
	s_delay_alu instid0(SALU_CYCLE_1)
	s_and_not1_b32 vcc_lo, exec_lo, s0
	s_cbranch_vccnz .LBB47_696
; %bb.695:
	s_wait_loadcnt 0x0
	global_load_u8 v1, v[4:5], off
	s_wait_loadcnt 0x0
	v_cvt_f32_ubyte0_e32 v1, v1
.LBB47_696:
	s_mov_b32 s1, -1
.LBB47_697:
	s_delay_alu instid0(SALU_CYCLE_1)
	s_and_not1_b32 vcc_lo, exec_lo, s1
	s_cbranch_vccnz .LBB47_705
; %bb.698:
	v_mov_b32_e32 v3, 0
	s_wait_loadcnt 0x0
	s_delay_alu instid0(VALU_DEP_2) | instskip(SKIP_1) | instid1(SALU_CYCLE_1)
	v_cmp_eq_f32_e64 s0, 0x7f800000, v1
	s_and_b32 s25, s34, 0xff
	s_cmp_lt_i32 s25, 11
	v_add_nc_u64_e32 v[2:3], s[4:5], v[2:3]
	s_cbranch_scc1 .LBB47_706
; %bb.699:
	s_and_b32 s26, 0xffff, s25
	s_delay_alu instid0(SALU_CYCLE_1)
	s_cmp_gt_i32 s26, 25
	s_cbranch_scc0 .LBB47_707
; %bb.700:
	s_cmp_gt_i32 s26, 28
	s_cbranch_scc0 .LBB47_708
; %bb.701:
	;; [unrolled: 3-line block ×4, first 2 shown]
	s_mov_b32 s45, 0
	s_mov_b32 s1, -1
	s_cmp_eq_u32 s26, 46
	s_mov_b32 s27, 0
	s_cbranch_scc0 .LBB47_711
; %bb.704:
	v_cndmask_b32_e64 v1, 0, 1.0, s0
	s_mov_b32 s27, -1
	s_mov_b32 s1, 0
	s_wait_xcnt 0x0
	s_delay_alu instid0(VALU_DEP_1) | instskip(NEXT) | instid1(VALU_DEP_1)
	v_bfe_u32 v4, v1, 16, 1
	v_add3_u32 v1, v1, v4, 0x7fff
	s_delay_alu instid0(VALU_DEP_1)
	v_lshrrev_b32_e32 v1, 16, v1
	global_store_b32 v[2:3], v1, off
	s_branch .LBB47_711
.LBB47_705:
	s_mov_b32 s0, 0
	s_mov_b32 s1, s42
	s_branch .LBB47_822
.LBB47_706:
	s_mov_b32 s26, -1
	s_mov_b32 s27, 0
	s_mov_b32 s1, s42
	s_branch .LBB47_780
.LBB47_707:
	s_mov_b32 s45, -1
	s_mov_b32 s27, 0
	s_mov_b32 s1, s42
	s_branch .LBB47_738
.LBB47_708:
	s_mov_b32 s45, -1
	s_mov_b32 s27, 0
	s_mov_b32 s1, s42
	s_branch .LBB47_721
.LBB47_709:
	s_mov_b32 s45, -1
	s_mov_b32 s27, 0
	s_mov_b32 s1, s42
	s_branch .LBB47_717
.LBB47_710:
	s_mov_b32 s45, -1
	s_mov_b32 s27, 0
	s_mov_b32 s1, s42
.LBB47_711:
	s_and_b32 vcc_lo, exec_lo, s45
	s_cbranch_vccz .LBB47_716
; %bb.712:
	s_cmp_eq_u32 s26, 44
	s_mov_b32 s1, -1
	s_cbranch_scc0 .LBB47_716
; %bb.713:
	s_wait_xcnt 0x0
	v_cndmask_b32_e64 v5, 0, 1.0, s0
	s_mov_b32 s27, exec_lo
	s_delay_alu instid0(VALU_DEP_1) | instskip(NEXT) | instid1(VALU_DEP_1)
	v_dual_mov_b32 v4, 0xff :: v_dual_lshrrev_b32 v1, 23, v5
	v_cmpx_ne_u32_e32 0xff, v1
; %bb.714:
	v_and_b32_e32 v4, 0x400000, v5
	v_and_or_b32 v5, 0x3fffff, v5, v1
	s_delay_alu instid0(VALU_DEP_2) | instskip(NEXT) | instid1(VALU_DEP_2)
	v_cmp_ne_u32_e32 vcc_lo, 0, v4
	v_cmp_ne_u32_e64 s1, 0, v5
	s_and_b32 s1, vcc_lo, s1
	s_delay_alu instid0(SALU_CYCLE_1) | instskip(NEXT) | instid1(VALU_DEP_1)
	v_cndmask_b32_e64 v4, 0, 1, s1
	v_add_nc_u32_e32 v4, v1, v4
; %bb.715:
	s_or_b32 exec_lo, exec_lo, s27
	s_mov_b32 s27, -1
	s_mov_b32 s1, 0
	global_store_b8 v[2:3], v4, off
.LBB47_716:
	s_mov_b32 s45, 0
.LBB47_717:
	s_delay_alu instid0(SALU_CYCLE_1)
	s_and_b32 vcc_lo, exec_lo, s45
	s_cbranch_vccz .LBB47_720
; %bb.718:
	s_cmp_eq_u32 s26, 29
	s_mov_b32 s1, -1
	s_cbranch_scc0 .LBB47_720
; %bb.719:
	s_mov_b32 s1, 0
	s_wait_xcnt 0x0
	v_cndmask_b32_e64 v4, 0, 1, s0
	v_mov_b32_e32 v5, s1
	s_mov_b32 s27, -1
	s_mov_b32 s45, 0
	global_store_b64 v[2:3], v[4:5], off
	s_branch .LBB47_721
.LBB47_720:
	s_mov_b32 s45, 0
.LBB47_721:
	s_delay_alu instid0(SALU_CYCLE_1)
	s_and_b32 vcc_lo, exec_lo, s45
	s_cbranch_vccz .LBB47_737
; %bb.722:
	s_cmp_lt_i32 s26, 27
	s_mov_b32 s27, -1
	s_cbranch_scc1 .LBB47_728
; %bb.723:
	s_cmp_gt_i32 s26, 27
	s_cbranch_scc0 .LBB47_725
; %bb.724:
	s_wait_xcnt 0x0
	v_cndmask_b32_e64 v1, 0, 1, s0
	s_mov_b32 s27, 0
	global_store_b32 v[2:3], v1, off
.LBB47_725:
	s_and_not1_b32 vcc_lo, exec_lo, s27
	s_cbranch_vccnz .LBB47_727
; %bb.726:
	s_wait_xcnt 0x0
	v_cndmask_b32_e64 v1, 0, 1, s0
	global_store_b16 v[2:3], v1, off
.LBB47_727:
	s_mov_b32 s27, 0
.LBB47_728:
	s_delay_alu instid0(SALU_CYCLE_1)
	s_and_not1_b32 vcc_lo, exec_lo, s27
	s_cbranch_vccnz .LBB47_736
; %bb.729:
	s_wait_xcnt 0x0
	v_cndmask_b32_e64 v4, 0, 1.0, s0
	v_mov_b32_e32 v5, 0x80
	s_mov_b32 s27, exec_lo
	s_delay_alu instid0(VALU_DEP_2)
	v_cmpx_gt_u32_e32 0x43800000, v4
	s_cbranch_execz .LBB47_735
; %bb.730:
	s_mov_b32 s45, 0
	s_mov_b32 s46, exec_lo
                                        ; implicit-def: $vgpr1
	v_cmpx_lt_u32_e32 0x3bffffff, v4
	s_xor_b32 s46, exec_lo, s46
	s_cbranch_execz .LBB47_854
; %bb.731:
	v_bfe_u32 v1, v4, 20, 1
	s_mov_b32 s45, exec_lo
	s_delay_alu instid0(VALU_DEP_1) | instskip(NEXT) | instid1(VALU_DEP_1)
	v_add3_u32 v1, v4, v1, 0x487ffff
                                        ; implicit-def: $vgpr4
	v_lshrrev_b32_e32 v1, 20, v1
	s_and_not1_saveexec_b32 s46, s46
	s_cbranch_execnz .LBB47_855
.LBB47_732:
	s_or_b32 exec_lo, exec_lo, s46
	v_mov_b32_e32 v5, 0
	s_and_saveexec_b32 s46, s45
.LBB47_733:
	v_mov_b32_e32 v5, v1
.LBB47_734:
	s_or_b32 exec_lo, exec_lo, s46
.LBB47_735:
	s_delay_alu instid0(SALU_CYCLE_1)
	s_or_b32 exec_lo, exec_lo, s27
	global_store_b8 v[2:3], v5, off
.LBB47_736:
	s_mov_b32 s27, -1
.LBB47_737:
	s_mov_b32 s45, 0
.LBB47_738:
	s_delay_alu instid0(SALU_CYCLE_1)
	s_and_b32 vcc_lo, exec_lo, s45
	s_cbranch_vccz .LBB47_779
; %bb.739:
	s_cmp_gt_i32 s26, 22
	s_mov_b32 s45, -1
	s_cbranch_scc0 .LBB47_771
; %bb.740:
	s_cmp_lt_i32 s26, 24
	s_mov_b32 s27, -1
	s_cbranch_scc1 .LBB47_760
; %bb.741:
	s_cmp_gt_i32 s26, 24
	s_cbranch_scc0 .LBB47_749
; %bb.742:
	s_wait_xcnt 0x0
	v_cndmask_b32_e64 v4, 0, 1.0, s0
	v_mov_b32_e32 v5, 0x80
	s_mov_b32 s27, exec_lo
	s_delay_alu instid0(VALU_DEP_2)
	v_cmpx_gt_u32_e32 0x47800000, v4
	s_cbranch_execz .LBB47_748
; %bb.743:
	s_mov_b32 s45, 0
	s_mov_b32 s46, exec_lo
                                        ; implicit-def: $vgpr1
	v_cmpx_lt_u32_e32 0x37ffffff, v4
	s_xor_b32 s46, exec_lo, s46
	s_cbranch_execz .LBB47_857
; %bb.744:
	v_bfe_u32 v1, v4, 21, 1
	s_mov_b32 s45, exec_lo
	s_delay_alu instid0(VALU_DEP_1) | instskip(NEXT) | instid1(VALU_DEP_1)
	v_add3_u32 v1, v4, v1, 0x88fffff
                                        ; implicit-def: $vgpr4
	v_lshrrev_b32_e32 v1, 21, v1
	s_and_not1_saveexec_b32 s46, s46
	s_cbranch_execnz .LBB47_858
.LBB47_745:
	s_or_b32 exec_lo, exec_lo, s46
	v_mov_b32_e32 v5, 0
	s_and_saveexec_b32 s46, s45
.LBB47_746:
	v_mov_b32_e32 v5, v1
.LBB47_747:
	s_or_b32 exec_lo, exec_lo, s46
.LBB47_748:
	s_delay_alu instid0(SALU_CYCLE_1)
	s_or_b32 exec_lo, exec_lo, s27
	s_mov_b32 s27, 0
	global_store_b8 v[2:3], v5, off
.LBB47_749:
	s_and_b32 vcc_lo, exec_lo, s27
	s_cbranch_vccz .LBB47_759
; %bb.750:
	s_wait_xcnt 0x0
	v_cndmask_b32_e64 v4, 0, 1.0, s0
	s_mov_b32 s27, exec_lo
                                        ; implicit-def: $vgpr1
	s_delay_alu instid0(VALU_DEP_1)
	v_cmpx_gt_u32_e32 0x43f00000, v4
	s_xor_b32 s27, exec_lo, s27
	s_cbranch_execz .LBB47_756
; %bb.751:
	s_mov_b32 s45, exec_lo
                                        ; implicit-def: $vgpr1
	v_cmpx_lt_u32_e32 0x3c7fffff, v4
	s_xor_b32 s45, exec_lo, s45
; %bb.752:
	v_bfe_u32 v1, v4, 20, 1
	s_delay_alu instid0(VALU_DEP_1) | instskip(NEXT) | instid1(VALU_DEP_1)
	v_add3_u32 v1, v4, v1, 0x407ffff
	v_and_b32_e32 v4, 0xff00000, v1
	v_lshrrev_b32_e32 v1, 20, v1
	s_delay_alu instid0(VALU_DEP_2) | instskip(NEXT) | instid1(VALU_DEP_2)
	v_cmp_ne_u32_e32 vcc_lo, 0x7f00000, v4
                                        ; implicit-def: $vgpr4
	v_cndmask_b32_e32 v1, 0x7e, v1, vcc_lo
; %bb.753:
	s_and_not1_saveexec_b32 s45, s45
; %bb.754:
	v_add_f32_e32 v1, 0x46800000, v4
; %bb.755:
	s_or_b32 exec_lo, exec_lo, s45
                                        ; implicit-def: $vgpr4
.LBB47_756:
	s_and_not1_saveexec_b32 s27, s27
; %bb.757:
	v_mov_b32_e32 v1, 0x7f
	v_cmp_lt_u32_e32 vcc_lo, 0x7f800000, v4
	s_delay_alu instid0(VALU_DEP_2)
	v_cndmask_b32_e32 v1, 0x7e, v1, vcc_lo
; %bb.758:
	s_or_b32 exec_lo, exec_lo, s27
	global_store_b8 v[2:3], v1, off
.LBB47_759:
	s_mov_b32 s27, 0
.LBB47_760:
	s_delay_alu instid0(SALU_CYCLE_1)
	s_and_not1_b32 vcc_lo, exec_lo, s27
	s_cbranch_vccnz .LBB47_770
; %bb.761:
	s_wait_xcnt 0x0
	v_cndmask_b32_e64 v4, 0, 1.0, s0
	s_mov_b32 s27, exec_lo
                                        ; implicit-def: $vgpr1
	s_delay_alu instid0(VALU_DEP_1)
	v_cmpx_gt_u32_e32 0x47800000, v4
	s_xor_b32 s27, exec_lo, s27
	s_cbranch_execz .LBB47_767
; %bb.762:
	s_mov_b32 s45, exec_lo
                                        ; implicit-def: $vgpr1
	v_cmpx_lt_u32_e32 0x387fffff, v4
	s_xor_b32 s45, exec_lo, s45
; %bb.763:
	v_bfe_u32 v1, v4, 21, 1
	s_delay_alu instid0(VALU_DEP_1) | instskip(NEXT) | instid1(VALU_DEP_1)
	v_add3_u32 v1, v4, v1, 0x80fffff
                                        ; implicit-def: $vgpr4
	v_lshrrev_b32_e32 v1, 21, v1
; %bb.764:
	s_and_not1_saveexec_b32 s45, s45
; %bb.765:
	v_add_f32_e32 v1, 0x43000000, v4
; %bb.766:
	s_or_b32 exec_lo, exec_lo, s45
                                        ; implicit-def: $vgpr4
.LBB47_767:
	s_and_not1_saveexec_b32 s27, s27
; %bb.768:
	v_mov_b32_e32 v1, 0x7f
	v_cmp_lt_u32_e32 vcc_lo, 0x7f800000, v4
	s_delay_alu instid0(VALU_DEP_2)
	v_cndmask_b32_e32 v1, 0x7c, v1, vcc_lo
; %bb.769:
	s_or_b32 exec_lo, exec_lo, s27
	global_store_b8 v[2:3], v1, off
.LBB47_770:
	s_mov_b32 s45, 0
	s_mov_b32 s27, -1
.LBB47_771:
	s_and_not1_b32 vcc_lo, exec_lo, s45
	s_cbranch_vccnz .LBB47_779
; %bb.772:
	s_cmp_gt_i32 s26, 14
	s_mov_b32 s45, -1
	s_cbranch_scc0 .LBB47_776
; %bb.773:
	s_cmp_eq_u32 s26, 15
	s_mov_b32 s1, -1
	s_cbranch_scc0 .LBB47_775
; %bb.774:
	s_wait_xcnt 0x0
	v_cndmask_b32_e64 v1, 0, 1.0, s0
	s_mov_b32 s27, -1
	s_mov_b32 s1, 0
	s_delay_alu instid0(VALU_DEP_1) | instskip(NEXT) | instid1(VALU_DEP_1)
	v_bfe_u32 v4, v1, 16, 1
	v_add3_u32 v1, v1, v4, 0x7fff
	global_store_d16_hi_b16 v[2:3], v1, off
.LBB47_775:
	s_mov_b32 s45, 0
.LBB47_776:
	s_delay_alu instid0(SALU_CYCLE_1)
	s_and_b32 vcc_lo, exec_lo, s45
	s_cbranch_vccz .LBB47_779
; %bb.777:
	s_cmp_eq_u32 s26, 11
	s_mov_b32 s1, -1
	s_cbranch_scc0 .LBB47_779
; %bb.778:
	s_wait_xcnt 0x0
	v_cndmask_b32_e64 v1, 0, 1, s0
	s_mov_b32 s27, -1
	s_mov_b32 s1, 0
	global_store_b8 v[2:3], v1, off
.LBB47_779:
	s_mov_b32 s26, 0
.LBB47_780:
	s_delay_alu instid0(SALU_CYCLE_1)
	s_and_b32 vcc_lo, exec_lo, s26
	s_cbranch_vccz .LBB47_819
; %bb.781:
	s_and_b32 s25, 0xffff, s25
	s_mov_b32 s26, -1
	s_cmp_lt_i32 s25, 5
	s_cbranch_scc1 .LBB47_802
; %bb.782:
	s_cmp_lt_i32 s25, 8
	s_cbranch_scc1 .LBB47_792
; %bb.783:
	;; [unrolled: 3-line block ×3, first 2 shown]
	s_cmp_gt_i32 s25, 9
	s_cbranch_scc0 .LBB47_786
; %bb.785:
	s_wait_xcnt 0x0
	v_cndmask_b32_e64 v1, 0, 1, s0
	v_mov_b32_e32 v6, 0
	s_mov_b32 s26, 0
	s_delay_alu instid0(VALU_DEP_2) | instskip(NEXT) | instid1(VALU_DEP_2)
	v_cvt_f64_u32_e32 v[4:5], v1
	v_mov_b32_e32 v7, v6
	global_store_b128 v[2:3], v[4:7], off
.LBB47_786:
	s_and_not1_b32 vcc_lo, exec_lo, s26
	s_cbranch_vccnz .LBB47_788
; %bb.787:
	s_wait_xcnt 0x0
	v_cndmask_b32_e64 v4, 0, 1.0, s0
	v_mov_b32_e32 v5, 0
	global_store_b64 v[2:3], v[4:5], off
.LBB47_788:
	s_mov_b32 s26, 0
.LBB47_789:
	s_delay_alu instid0(SALU_CYCLE_1)
	s_and_not1_b32 vcc_lo, exec_lo, s26
	s_cbranch_vccnz .LBB47_791
; %bb.790:
	s_wait_xcnt 0x0
	v_cndmask_b32_e64 v1, 0, 1.0, s0
	s_delay_alu instid0(VALU_DEP_1) | instskip(NEXT) | instid1(VALU_DEP_1)
	v_cvt_f16_f32_e32 v1, v1
	v_and_b32_e32 v1, 0xffff, v1
	global_store_b32 v[2:3], v1, off
.LBB47_791:
	s_mov_b32 s26, 0
.LBB47_792:
	s_delay_alu instid0(SALU_CYCLE_1)
	s_and_not1_b32 vcc_lo, exec_lo, s26
	s_cbranch_vccnz .LBB47_801
; %bb.793:
	s_cmp_lt_i32 s25, 6
	s_mov_b32 s26, -1
	s_cbranch_scc1 .LBB47_799
; %bb.794:
	s_cmp_gt_i32 s25, 6
	s_cbranch_scc0 .LBB47_796
; %bb.795:
	s_wait_xcnt 0x0
	v_cndmask_b32_e64 v1, 0, 1, s0
	s_mov_b32 s26, 0
	s_delay_alu instid0(VALU_DEP_1)
	v_cvt_f64_u32_e32 v[4:5], v1
	global_store_b64 v[2:3], v[4:5], off
.LBB47_796:
	s_and_not1_b32 vcc_lo, exec_lo, s26
	s_cbranch_vccnz .LBB47_798
; %bb.797:
	s_wait_xcnt 0x0
	v_cndmask_b32_e64 v1, 0, 1.0, s0
	global_store_b32 v[2:3], v1, off
.LBB47_798:
	s_mov_b32 s26, 0
.LBB47_799:
	s_delay_alu instid0(SALU_CYCLE_1)
	s_and_not1_b32 vcc_lo, exec_lo, s26
	s_cbranch_vccnz .LBB47_801
; %bb.800:
	s_wait_xcnt 0x0
	v_cndmask_b32_e64 v1, 0, 1.0, s0
	s_delay_alu instid0(VALU_DEP_1)
	v_cvt_f16_f32_e32 v1, v1
	global_store_b16 v[2:3], v1, off
.LBB47_801:
	s_mov_b32 s26, 0
.LBB47_802:
	s_delay_alu instid0(SALU_CYCLE_1)
	s_and_not1_b32 vcc_lo, exec_lo, s26
	s_cbranch_vccnz .LBB47_818
; %bb.803:
	s_cmp_lt_i32 s25, 2
	s_mov_b32 s26, -1
	s_cbranch_scc1 .LBB47_813
; %bb.804:
	s_cmp_lt_i32 s25, 3
	s_cbranch_scc1 .LBB47_810
; %bb.805:
	s_cmp_gt_i32 s25, 3
	s_cbranch_scc0 .LBB47_807
; %bb.806:
	s_mov_b32 s26, 0
	s_wait_xcnt 0x0
	v_cndmask_b32_e64 v4, 0, 1, s0
	v_mov_b32_e32 v5, s26
	global_store_b64 v[2:3], v[4:5], off
.LBB47_807:
	s_and_not1_b32 vcc_lo, exec_lo, s26
	s_cbranch_vccnz .LBB47_809
; %bb.808:
	s_wait_xcnt 0x0
	v_cndmask_b32_e64 v1, 0, 1, s0
	global_store_b32 v[2:3], v1, off
.LBB47_809:
	s_mov_b32 s26, 0
.LBB47_810:
	s_delay_alu instid0(SALU_CYCLE_1)
	s_and_not1_b32 vcc_lo, exec_lo, s26
	s_cbranch_vccnz .LBB47_812
; %bb.811:
	s_wait_xcnt 0x0
	v_cndmask_b32_e64 v1, 0, 1, s0
	global_store_b16 v[2:3], v1, off
.LBB47_812:
	s_mov_b32 s26, 0
.LBB47_813:
	s_delay_alu instid0(SALU_CYCLE_1)
	s_and_not1_b32 vcc_lo, exec_lo, s26
	s_cbranch_vccnz .LBB47_818
; %bb.814:
	s_wait_xcnt 0x0
	v_cndmask_b32_e64 v1, 0, 1, s0
	s_cmp_gt_i32 s25, 0
	s_mov_b32 s0, -1
	s_cbranch_scc0 .LBB47_816
; %bb.815:
	s_mov_b32 s0, 0
	global_store_b8 v[2:3], v1, off
.LBB47_816:
	s_and_not1_b32 vcc_lo, exec_lo, s0
	s_cbranch_vccnz .LBB47_818
; %bb.817:
	global_store_b8 v[2:3], v1, off
.LBB47_818:
	s_mov_b32 s27, -1
.LBB47_819:
	s_delay_alu instid0(SALU_CYCLE_1)
	s_and_not1_b32 vcc_lo, exec_lo, s27
	s_cbranch_vccnz .LBB47_821
; %bb.820:
	v_add_nc_u32_e32 v0, 0x80, v0
	s_mov_b32 s0, -1
	s_branch .LBB47_823
.LBB47_821:
	s_mov_b32 s0, 0
.LBB47_822:
                                        ; implicit-def: $vgpr0
.LBB47_823:
	s_and_not1_b32 s25, s42, exec_lo
	s_and_b32 s1, s1, exec_lo
	s_and_not1_b32 s26, s41, exec_lo
	s_and_b32 s24, s24, exec_lo
	s_or_b32 s27, s25, s1
	s_or_b32 s26, s26, s24
	s_or_not1_b32 s25, s0, exec_lo
.LBB47_824:
	s_wait_xcnt 0x0
	s_or_b32 exec_lo, exec_lo, s44
	s_mov_b32 s0, 0
	s_mov_b32 s1, 0
	;; [unrolled: 1-line block ×3, first 2 shown]
                                        ; implicit-def: $vgpr4_vgpr5
                                        ; implicit-def: $vgpr2
                                        ; implicit-def: $vgpr6
	s_and_saveexec_b32 s44, s25
	s_cbranch_execz .LBB47_926
; %bb.825:
	v_cmp_gt_i32_e32 vcc_lo, s36, v0
	s_mov_b32 s45, s26
	s_mov_b32 s25, 0
                                        ; implicit-def: $vgpr4_vgpr5
                                        ; implicit-def: $vgpr2
                                        ; implicit-def: $vgpr6
	s_and_saveexec_b32 s36, vcc_lo
	s_cbranch_execz .LBB47_925
; %bb.826:
	s_and_not1_b32 vcc_lo, exec_lo, s31
	s_cbranch_vccnz .LBB47_832
; %bb.827:
	s_and_not1_b32 vcc_lo, exec_lo, s38
	s_cbranch_vccnz .LBB47_833
; %bb.828:
	s_add_co_i32 s37, s37, 1
	s_cmp_eq_u32 s29, 2
	s_cbranch_scc1 .LBB47_834
; %bb.829:
	v_dual_mov_b32 v2, 0 :: v_dual_mov_b32 v4, 0
	s_wait_loadcnt 0x0
	v_mov_b32_e32 v1, v0
	s_and_b32 s0, s37, 28
	s_mov_b64 s[24:25], s[2:3]
.LBB47_830:                             ; =>This Inner Loop Header: Depth=1
	s_clause 0x1
	s_load_b256 s[48:55], s[24:25], 0x4
	s_load_b128 s[64:67], s[24:25], 0x24
	s_load_b256 s[56:63], s[22:23], 0x0
	s_add_co_i32 s1, s1, 4
	s_wait_xcnt 0x0
	s_add_nc_u64 s[24:25], s[24:25], 48
	s_cmp_eq_u32 s0, s1
	s_add_nc_u64 s[22:23], s[22:23], 32
	s_wait_kmcnt 0x0
	v_mul_hi_u32 v3, s49, v1
	s_delay_alu instid0(VALU_DEP_1) | instskip(NEXT) | instid1(VALU_DEP_1)
	v_add_nc_u32_e32 v3, v1, v3
	v_lshrrev_b32_e32 v3, s50, v3
	s_delay_alu instid0(VALU_DEP_1) | instskip(NEXT) | instid1(VALU_DEP_1)
	v_mul_hi_u32 v5, s52, v3
	v_add_nc_u32_e32 v5, v3, v5
	s_delay_alu instid0(VALU_DEP_1) | instskip(NEXT) | instid1(VALU_DEP_1)
	v_lshrrev_b32_e32 v5, s53, v5
	v_mul_hi_u32 v6, s55, v5
	s_delay_alu instid0(VALU_DEP_1) | instskip(SKIP_1) | instid1(VALU_DEP_1)
	v_add_nc_u32_e32 v6, v5, v6
	v_mul_lo_u32 v7, v3, s48
	v_sub_nc_u32_e32 v1, v1, v7
	v_mul_lo_u32 v7, v5, s51
	s_delay_alu instid0(VALU_DEP_4) | instskip(NEXT) | instid1(VALU_DEP_3)
	v_lshrrev_b32_e32 v6, s64, v6
	v_mad_u32 v4, v1, s57, v4
	v_mad_u32 v1, v1, s56, v2
	s_delay_alu instid0(VALU_DEP_4) | instskip(NEXT) | instid1(VALU_DEP_4)
	v_sub_nc_u32_e32 v2, v3, v7
	v_mul_hi_u32 v8, s66, v6
	v_mul_lo_u32 v3, v6, s54
	s_delay_alu instid0(VALU_DEP_3) | instskip(SKIP_1) | instid1(VALU_DEP_3)
	v_mad_u32 v4, v2, s59, v4
	v_mad_u32 v2, v2, s58, v1
	v_dual_add_nc_u32 v7, v6, v8 :: v_dual_sub_nc_u32 v3, v5, v3
	s_delay_alu instid0(VALU_DEP_1) | instskip(NEXT) | instid1(VALU_DEP_2)
	v_lshrrev_b32_e32 v1, s67, v7
	v_mad_u32 v4, v3, s61, v4
	s_delay_alu instid0(VALU_DEP_4) | instskip(NEXT) | instid1(VALU_DEP_3)
	v_mad_u32 v2, v3, s60, v2
	v_mul_lo_u32 v5, v1, s65
	s_delay_alu instid0(VALU_DEP_1) | instskip(NEXT) | instid1(VALU_DEP_1)
	v_sub_nc_u32_e32 v3, v6, v5
	v_mad_u32 v4, v3, s63, v4
	s_delay_alu instid0(VALU_DEP_4)
	v_mad_u32 v2, v3, s62, v2
	s_cbranch_scc0 .LBB47_830
; %bb.831:
	s_delay_alu instid0(VALU_DEP_2)
	v_mov_b32_e32 v3, v4
	s_branch .LBB47_835
.LBB47_832:
	s_mov_b32 s0, -1
                                        ; implicit-def: $vgpr4
                                        ; implicit-def: $vgpr2
	s_branch .LBB47_840
.LBB47_833:
	v_dual_mov_b32 v4, 0 :: v_dual_mov_b32 v2, 0
	s_branch .LBB47_839
.LBB47_834:
	v_mov_b64_e32 v[2:3], 0
	s_wait_loadcnt 0x0
	v_mov_b32_e32 v1, v0
                                        ; implicit-def: $vgpr4
.LBB47_835:
	s_and_b32 s24, s37, 3
	s_mov_b32 s1, 0
	s_cmp_eq_u32 s24, 0
	s_cbranch_scc1 .LBB47_839
; %bb.836:
	s_lshl_b32 s22, s0, 3
	s_mov_b32 s23, s1
	s_mul_u64 s[46:47], s[0:1], 12
	s_add_nc_u64 s[22:23], s[2:3], s[22:23]
	s_delay_alu instid0(SALU_CYCLE_1)
	s_add_nc_u64 s[0:1], s[22:23], 0xc4
	s_add_nc_u64 s[22:23], s[2:3], s[46:47]
.LBB47_837:                             ; =>This Inner Loop Header: Depth=1
	s_load_b96 s[48:50], s[22:23], 0x4
	s_load_b64 s[46:47], s[0:1], 0x0
	s_add_co_i32 s24, s24, -1
	s_wait_xcnt 0x0
	s_add_nc_u64 s[22:23], s[22:23], 12
	s_cmp_lg_u32 s24, 0
	s_add_nc_u64 s[0:1], s[0:1], 8
	s_wait_kmcnt 0x0
	v_mul_hi_u32 v4, s49, v1
	s_delay_alu instid0(VALU_DEP_1) | instskip(NEXT) | instid1(VALU_DEP_1)
	v_add_nc_u32_e32 v4, v1, v4
	v_lshrrev_b32_e32 v4, s50, v4
	s_delay_alu instid0(VALU_DEP_1) | instskip(NEXT) | instid1(VALU_DEP_1)
	v_mul_lo_u32 v5, v4, s48
	v_sub_nc_u32_e32 v1, v1, v5
	s_delay_alu instid0(VALU_DEP_1)
	v_mad_u32 v3, v1, s47, v3
	v_mad_u32 v2, v1, s46, v2
	v_mov_b32_e32 v1, v4
	s_cbranch_scc1 .LBB47_837
; %bb.838:
	s_delay_alu instid0(VALU_DEP_3)
	v_mov_b32_e32 v4, v3
.LBB47_839:
	s_mov_b32 s0, 0
.LBB47_840:
	s_delay_alu instid0(SALU_CYCLE_1)
	s_and_not1_b32 vcc_lo, exec_lo, s0
	s_cbranch_vccnz .LBB47_843
; %bb.841:
	s_wait_loadcnt 0x0
	v_mov_b32_e32 v1, 0
	s_and_not1_b32 vcc_lo, exec_lo, s35
	s_delay_alu instid0(VALU_DEP_1) | instskip(NEXT) | instid1(VALU_DEP_1)
	v_mul_u64_e32 v[2:3], s[16:17], v[0:1]
	v_add_nc_u32_e32 v2, v0, v3
	s_delay_alu instid0(VALU_DEP_1) | instskip(NEXT) | instid1(VALU_DEP_1)
	v_lshrrev_b32_e32 v6, s14, v2
	v_mul_lo_u32 v2, v6, s12
	s_delay_alu instid0(VALU_DEP_1) | instskip(NEXT) | instid1(VALU_DEP_1)
	v_sub_nc_u32_e32 v0, v0, v2
	v_mul_lo_u32 v4, v0, s9
	v_mul_lo_u32 v2, v0, s8
	s_cbranch_vccnz .LBB47_843
; %bb.842:
	v_mov_b32_e32 v7, v1
	s_delay_alu instid0(VALU_DEP_1) | instskip(NEXT) | instid1(VALU_DEP_1)
	v_mul_u64_e32 v[0:1], s[20:21], v[6:7]
	v_add_nc_u32_e32 v0, v6, v1
	s_delay_alu instid0(VALU_DEP_1) | instskip(NEXT) | instid1(VALU_DEP_1)
	v_lshrrev_b32_e32 v0, s19, v0
	v_mul_lo_u32 v0, v0, s15
	s_delay_alu instid0(VALU_DEP_1) | instskip(NEXT) | instid1(VALU_DEP_1)
	v_sub_nc_u32_e32 v0, v6, v0
	v_mad_u32 v2, v0, s10, v2
	v_mad_u32 v4, v0, s11, v4
.LBB47_843:
	v_mov_b32_e32 v5, 0
	s_and_b32 s0, 0xffff, s13
	s_delay_alu instid0(SALU_CYCLE_1) | instskip(NEXT) | instid1(VALU_DEP_1)
	s_cmp_lt_i32 s0, 11
	v_add_nc_u64_e32 v[4:5], s[6:7], v[4:5]
	s_cbranch_scc1 .LBB47_850
; %bb.844:
	s_cmp_gt_i32 s0, 25
	s_mov_b32 s6, 0
	s_cbranch_scc0 .LBB47_851
; %bb.845:
	s_cmp_gt_i32 s0, 28
	s_cbranch_scc0 .LBB47_852
; %bb.846:
	s_cmp_gt_i32 s0, 43
	;; [unrolled: 3-line block ×3, first 2 shown]
	s_cbranch_scc0 .LBB47_856
; %bb.848:
	s_cmp_eq_u32 s0, 46
	s_mov_b32 s8, 0
	s_cbranch_scc0 .LBB47_859
; %bb.849:
	global_load_b32 v0, v[4:5], off
	s_mov_b32 s1, 0
	s_mov_b32 s7, -1
	s_wait_loadcnt 0x0
	v_lshlrev_b32_e32 v6, 16, v0
	s_branch .LBB47_861
.LBB47_850:
	s_mov_b32 s0, -1
	s_mov_b32 s7, 0
	s_mov_b32 s6, 0
	;; [unrolled: 1-line block ×3, first 2 shown]
                                        ; implicit-def: $vgpr6
	s_branch .LBB47_924
.LBB47_851:
	s_mov_b32 s8, -1
	s_mov_b32 s7, 0
	s_mov_b32 s1, s26
                                        ; implicit-def: $vgpr6
	s_branch .LBB47_890
.LBB47_852:
	s_mov_b32 s8, -1
	s_mov_b32 s7, 0
	s_mov_b32 s1, s26
                                        ; implicit-def: $vgpr6
	s_branch .LBB47_871
.LBB47_853:
	s_mov_b32 s8, -1
	s_mov_b32 s7, 0
	s_mov_b32 s1, s26
                                        ; implicit-def: $vgpr6
	s_branch .LBB47_866
.LBB47_854:
	s_and_not1_saveexec_b32 s46, s46
	s_cbranch_execz .LBB47_732
.LBB47_855:
	v_add_f32_e32 v1, 0x46000000, v4
	s_and_not1_b32 s45, s45, exec_lo
	s_delay_alu instid0(VALU_DEP_1) | instskip(NEXT) | instid1(VALU_DEP_1)
	v_and_b32_e32 v1, 0xff, v1
	v_cmp_ne_u32_e32 vcc_lo, 0, v1
	s_and_b32 s47, vcc_lo, exec_lo
	s_delay_alu instid0(SALU_CYCLE_1)
	s_or_b32 s45, s45, s47
	s_or_b32 exec_lo, exec_lo, s46
	v_mov_b32_e32 v5, 0
	s_and_saveexec_b32 s46, s45
	s_cbranch_execnz .LBB47_733
	s_branch .LBB47_734
.LBB47_856:
	s_mov_b32 s8, -1
	s_mov_b32 s7, 0
	s_mov_b32 s1, s26
	s_branch .LBB47_860
.LBB47_857:
	s_and_not1_saveexec_b32 s46, s46
	s_cbranch_execz .LBB47_745
.LBB47_858:
	v_add_f32_e32 v1, 0x42800000, v4
	s_and_not1_b32 s45, s45, exec_lo
	s_delay_alu instid0(VALU_DEP_1) | instskip(NEXT) | instid1(VALU_DEP_1)
	v_and_b32_e32 v1, 0xff, v1
	v_cmp_ne_u32_e32 vcc_lo, 0, v1
	s_and_b32 s47, vcc_lo, exec_lo
	s_delay_alu instid0(SALU_CYCLE_1)
	s_or_b32 s45, s45, s47
	s_or_b32 exec_lo, exec_lo, s46
	v_mov_b32_e32 v5, 0
	s_and_saveexec_b32 s46, s45
	s_cbranch_execnz .LBB47_746
	s_branch .LBB47_747
.LBB47_859:
	s_mov_b32 s1, -1
	s_mov_b32 s7, 0
.LBB47_860:
                                        ; implicit-def: $vgpr6
.LBB47_861:
	s_and_b32 vcc_lo, exec_lo, s8
	s_cbranch_vccz .LBB47_865
; %bb.862:
	s_cmp_eq_u32 s0, 44
	s_cbranch_scc0 .LBB47_864
; %bb.863:
	global_load_u8 v0, v[4:5], off
	s_mov_b32 s1, 0
	s_mov_b32 s7, -1
	s_wait_loadcnt 0x0
	v_lshlrev_b32_e32 v1, 23, v0
	v_cmp_ne_u32_e32 vcc_lo, 0xff, v0
	s_delay_alu instid0(VALU_DEP_2) | instskip(SKIP_1) | instid1(VALU_DEP_2)
	v_cndmask_b32_e32 v1, 0x7f800001, v1, vcc_lo
	v_cmp_ne_u32_e32 vcc_lo, 0, v0
	v_cndmask_b32_e32 v6, 0x400000, v1, vcc_lo
	s_branch .LBB47_865
.LBB47_864:
	s_mov_b32 s1, -1
                                        ; implicit-def: $vgpr6
.LBB47_865:
	s_mov_b32 s8, 0
.LBB47_866:
	s_delay_alu instid0(SALU_CYCLE_1)
	s_and_b32 vcc_lo, exec_lo, s8
	s_cbranch_vccz .LBB47_870
; %bb.867:
	s_cmp_eq_u32 s0, 29
	s_cbranch_scc0 .LBB47_869
; %bb.868:
	s_wait_loadcnt 0x0
	global_load_b64 v[0:1], v[4:5], off
	s_mov_b32 s1, 0
	s_mov_b32 s7, -1
	s_mov_b32 s8, 0
	s_wait_loadcnt 0x0
	v_clz_i32_u32_e32 v3, v1
	s_delay_alu instid0(VALU_DEP_1) | instskip(NEXT) | instid1(VALU_DEP_1)
	v_min_u32_e32 v3, 32, v3
	v_lshlrev_b64_e32 v[0:1], v3, v[0:1]
	s_delay_alu instid0(VALU_DEP_1) | instskip(NEXT) | instid1(VALU_DEP_1)
	v_min_u32_e32 v0, 1, v0
	v_dual_sub_nc_u32 v1, 32, v3 :: v_dual_bitop2_b32 v0, v1, v0 bitop3:0x54
	s_delay_alu instid0(VALU_DEP_1) | instskip(NEXT) | instid1(VALU_DEP_1)
	v_cvt_f32_u32_e32 v0, v0
	v_ldexp_f32 v6, v0, v1
	s_branch .LBB47_871
.LBB47_869:
	s_mov_b32 s1, -1
                                        ; implicit-def: $vgpr6
.LBB47_870:
	s_mov_b32 s8, 0
.LBB47_871:
	s_delay_alu instid0(SALU_CYCLE_1)
	s_and_b32 vcc_lo, exec_lo, s8
	s_cbranch_vccz .LBB47_889
; %bb.872:
	s_cmp_lt_i32 s0, 27
	s_cbranch_scc1 .LBB47_875
; %bb.873:
	s_cmp_gt_i32 s0, 27
	s_cbranch_scc0 .LBB47_876
; %bb.874:
	global_load_b32 v0, v[4:5], off
	s_mov_b32 s7, 0
	s_wait_loadcnt 0x0
	v_cvt_f32_u32_e32 v6, v0
	s_branch .LBB47_877
.LBB47_875:
	s_mov_b32 s7, -1
                                        ; implicit-def: $vgpr6
	s_branch .LBB47_880
.LBB47_876:
	s_mov_b32 s7, -1
                                        ; implicit-def: $vgpr6
.LBB47_877:
	s_delay_alu instid0(SALU_CYCLE_1)
	s_and_not1_b32 vcc_lo, exec_lo, s7
	s_cbranch_vccnz .LBB47_879
; %bb.878:
	global_load_u16 v0, v[4:5], off
	s_wait_loadcnt 0x0
	v_cvt_f32_u32_e32 v6, v0
.LBB47_879:
	s_mov_b32 s7, 0
.LBB47_880:
	s_delay_alu instid0(SALU_CYCLE_1)
	s_and_not1_b32 vcc_lo, exec_lo, s7
	s_cbranch_vccnz .LBB47_888
; %bb.881:
	global_load_u8 v0, v[4:5], off
	s_mov_b32 s7, 0
	s_mov_b32 s8, exec_lo
	s_wait_loadcnt 0x0
	v_cmpx_lt_i16_e32 0x7f, v0
	s_xor_b32 s8, exec_lo, s8
	s_cbranch_execz .LBB47_902
; %bb.882:
	s_mov_b32 s7, -1
	s_mov_b32 s9, exec_lo
	v_cmpx_eq_u16_e32 0x80, v0
; %bb.883:
	s_xor_b32 s7, exec_lo, -1
; %bb.884:
	s_or_b32 exec_lo, exec_lo, s9
	s_delay_alu instid0(SALU_CYCLE_1)
	s_and_b32 s7, s7, exec_lo
	s_or_saveexec_b32 s8, s8
	v_mov_b32_e32 v6, 0x7f800001
	s_xor_b32 exec_lo, exec_lo, s8
	s_cbranch_execnz .LBB47_903
.LBB47_885:
	s_or_b32 exec_lo, exec_lo, s8
	s_and_saveexec_b32 s8, s7
	s_cbranch_execz .LBB47_887
.LBB47_886:
	v_and_b32_e32 v1, 0xffff, v0
	s_delay_alu instid0(VALU_DEP_1) | instskip(SKIP_1) | instid1(VALU_DEP_2)
	v_and_b32_e32 v3, 7, v1
	v_bfe_u32 v8, v1, 3, 4
	v_clz_i32_u32_e32 v6, v3
	s_delay_alu instid0(VALU_DEP_2) | instskip(NEXT) | instid1(VALU_DEP_2)
	v_cmp_eq_u32_e32 vcc_lo, 0, v8
	v_min_u32_e32 v6, 32, v6
	s_delay_alu instid0(VALU_DEP_1) | instskip(NEXT) | instid1(VALU_DEP_1)
	v_subrev_nc_u32_e32 v7, 28, v6
	v_dual_lshlrev_b32 v1, v7, v1 :: v_dual_sub_nc_u32 v6, 29, v6
	s_delay_alu instid0(VALU_DEP_1) | instskip(NEXT) | instid1(VALU_DEP_1)
	v_dual_lshlrev_b32 v0, 24, v0 :: v_dual_bitop2_b32 v1, 7, v1 bitop3:0x40
	v_dual_cndmask_b32 v6, v8, v6 :: v_dual_cndmask_b32 v1, v3, v1
	s_delay_alu instid0(VALU_DEP_2) | instskip(NEXT) | instid1(VALU_DEP_2)
	v_and_b32_e32 v0, 0x80000000, v0
	v_lshl_add_u32 v3, v6, 23, 0x3b800000
	s_delay_alu instid0(VALU_DEP_3) | instskip(NEXT) | instid1(VALU_DEP_1)
	v_lshlrev_b32_e32 v1, 20, v1
	v_or3_b32 v6, v0, v3, v1
.LBB47_887:
	s_or_b32 exec_lo, exec_lo, s8
.LBB47_888:
	s_mov_b32 s7, -1
.LBB47_889:
	s_mov_b32 s8, 0
.LBB47_890:
	s_delay_alu instid0(SALU_CYCLE_1)
	s_and_b32 vcc_lo, exec_lo, s8
	s_cbranch_vccz .LBB47_923
; %bb.891:
	s_cmp_gt_i32 s0, 22
	s_cbranch_scc0 .LBB47_901
; %bb.892:
	s_cmp_lt_i32 s0, 24
	s_cbranch_scc1 .LBB47_904
; %bb.893:
	s_cmp_gt_i32 s0, 24
	s_cbranch_scc0 .LBB47_905
; %bb.894:
	global_load_u8 v0, v[4:5], off
	s_mov_b32 s7, exec_lo
	s_wait_loadcnt 0x0
	v_cmpx_lt_i16_e32 0x7f, v0
	s_xor_b32 s7, exec_lo, s7
	s_cbranch_execz .LBB47_917
; %bb.895:
	s_mov_b32 s6, -1
	s_mov_b32 s8, exec_lo
	v_cmpx_eq_u16_e32 0x80, v0
; %bb.896:
	s_xor_b32 s6, exec_lo, -1
; %bb.897:
	s_or_b32 exec_lo, exec_lo, s8
	s_delay_alu instid0(SALU_CYCLE_1)
	s_and_b32 s6, s6, exec_lo
	s_or_saveexec_b32 s7, s7
	v_mov_b32_e32 v6, 0x7f800001
	s_xor_b32 exec_lo, exec_lo, s7
	s_cbranch_execnz .LBB47_918
.LBB47_898:
	s_or_b32 exec_lo, exec_lo, s7
	s_and_saveexec_b32 s7, s6
	s_cbranch_execz .LBB47_900
.LBB47_899:
	v_and_b32_e32 v1, 0xffff, v0
	s_delay_alu instid0(VALU_DEP_1) | instskip(SKIP_1) | instid1(VALU_DEP_2)
	v_and_b32_e32 v3, 3, v1
	v_bfe_u32 v8, v1, 2, 5
	v_clz_i32_u32_e32 v6, v3
	s_delay_alu instid0(VALU_DEP_2) | instskip(NEXT) | instid1(VALU_DEP_2)
	v_cmp_eq_u32_e32 vcc_lo, 0, v8
	v_min_u32_e32 v6, 32, v6
	s_delay_alu instid0(VALU_DEP_1) | instskip(NEXT) | instid1(VALU_DEP_1)
	v_subrev_nc_u32_e32 v7, 29, v6
	v_dual_lshlrev_b32 v1, v7, v1 :: v_dual_sub_nc_u32 v6, 30, v6
	s_delay_alu instid0(VALU_DEP_1) | instskip(NEXT) | instid1(VALU_DEP_1)
	v_dual_lshlrev_b32 v0, 24, v0 :: v_dual_bitop2_b32 v1, 3, v1 bitop3:0x40
	v_dual_cndmask_b32 v6, v8, v6 :: v_dual_cndmask_b32 v1, v3, v1
	s_delay_alu instid0(VALU_DEP_2) | instskip(NEXT) | instid1(VALU_DEP_2)
	v_and_b32_e32 v0, 0x80000000, v0
	v_lshl_add_u32 v3, v6, 23, 0x37800000
	s_delay_alu instid0(VALU_DEP_3) | instskip(NEXT) | instid1(VALU_DEP_1)
	v_lshlrev_b32_e32 v1, 21, v1
	v_or3_b32 v6, v0, v3, v1
.LBB47_900:
	s_or_b32 exec_lo, exec_lo, s7
	s_mov_b32 s6, 0
	s_branch .LBB47_906
.LBB47_901:
	s_mov_b32 s6, -1
                                        ; implicit-def: $vgpr6
	s_branch .LBB47_912
.LBB47_902:
	s_or_saveexec_b32 s8, s8
	v_mov_b32_e32 v6, 0x7f800001
	s_xor_b32 exec_lo, exec_lo, s8
	s_cbranch_execz .LBB47_885
.LBB47_903:
	v_cmp_ne_u16_e32 vcc_lo, 0, v0
	v_mov_b32_e32 v6, 0
	s_and_not1_b32 s7, s7, exec_lo
	s_and_b32 s9, vcc_lo, exec_lo
	s_delay_alu instid0(SALU_CYCLE_1)
	s_or_b32 s7, s7, s9
	s_or_b32 exec_lo, exec_lo, s8
	s_and_saveexec_b32 s8, s7
	s_cbranch_execnz .LBB47_886
	s_branch .LBB47_887
.LBB47_904:
	s_mov_b32 s6, -1
                                        ; implicit-def: $vgpr6
	s_branch .LBB47_909
.LBB47_905:
	s_mov_b32 s6, -1
                                        ; implicit-def: $vgpr6
.LBB47_906:
	s_delay_alu instid0(SALU_CYCLE_1)
	s_and_b32 vcc_lo, exec_lo, s6
	s_cbranch_vccz .LBB47_908
; %bb.907:
	global_load_u8 v0, v[4:5], off
	s_wait_loadcnt 0x0
	v_lshlrev_b32_e32 v0, 24, v0
	s_delay_alu instid0(VALU_DEP_1) | instskip(NEXT) | instid1(VALU_DEP_1)
	v_and_b32_e32 v1, 0x7f000000, v0
	v_clz_i32_u32_e32 v3, v1
	v_add_nc_u32_e32 v7, 0x1000000, v1
	v_cmp_ne_u32_e32 vcc_lo, 0, v1
	s_delay_alu instid0(VALU_DEP_3) | instskip(NEXT) | instid1(VALU_DEP_1)
	v_min_u32_e32 v3, 32, v3
	v_sub_nc_u32_e64 v3, v3, 4 clamp
	s_delay_alu instid0(VALU_DEP_1) | instskip(NEXT) | instid1(VALU_DEP_1)
	v_dual_lshlrev_b32 v6, v3, v1 :: v_dual_lshlrev_b32 v3, 23, v3
	v_lshrrev_b32_e32 v6, 4, v6
	s_delay_alu instid0(VALU_DEP_1) | instskip(SKIP_1) | instid1(VALU_DEP_2)
	v_sub_nc_u32_e32 v3, v6, v3
	v_ashrrev_i32_e32 v6, 8, v7
	v_add_nc_u32_e32 v3, 0x3c000000, v3
	s_delay_alu instid0(VALU_DEP_1) | instskip(NEXT) | instid1(VALU_DEP_1)
	v_and_or_b32 v3, 0x7f800000, v6, v3
	v_cndmask_b32_e32 v1, 0, v3, vcc_lo
	s_delay_alu instid0(VALU_DEP_1)
	v_and_or_b32 v6, 0x80000000, v0, v1
.LBB47_908:
	s_mov_b32 s6, 0
.LBB47_909:
	s_delay_alu instid0(SALU_CYCLE_1)
	s_and_not1_b32 vcc_lo, exec_lo, s6
	s_cbranch_vccnz .LBB47_911
; %bb.910:
	global_load_u8 v0, v[4:5], off
	s_wait_loadcnt 0x0
	v_lshlrev_b32_e32 v1, 25, v0
	v_lshlrev_b16 v0, 8, v0
	s_delay_alu instid0(VALU_DEP_1) | instskip(SKIP_1) | instid1(VALU_DEP_2)
	v_and_or_b32 v6, 0x7f00, v0, 0.5
	v_bfe_i32 v0, v0, 0, 16
	v_dual_add_f32 v6, -0.5, v6 :: v_dual_lshrrev_b32 v3, 4, v1
	v_cmp_gt_u32_e32 vcc_lo, 0x8000000, v1
	s_delay_alu instid0(VALU_DEP_2) | instskip(NEXT) | instid1(VALU_DEP_1)
	v_or_b32_e32 v3, 0x70000000, v3
	v_mul_f32_e32 v3, 0x7800000, v3
	s_delay_alu instid0(VALU_DEP_1) | instskip(NEXT) | instid1(VALU_DEP_1)
	v_cndmask_b32_e32 v1, v3, v6, vcc_lo
	v_and_or_b32 v6, 0x80000000, v0, v1
.LBB47_911:
	s_mov_b32 s6, 0
	s_mov_b32 s7, -1
.LBB47_912:
	s_and_not1_b32 vcc_lo, exec_lo, s6
	s_mov_b32 s6, 0
	s_cbranch_vccnz .LBB47_923
; %bb.913:
	s_cmp_gt_i32 s0, 14
	s_cbranch_scc0 .LBB47_916
; %bb.914:
	s_cmp_eq_u32 s0, 15
	s_cbranch_scc0 .LBB47_919
; %bb.915:
	global_load_u16 v0, v[4:5], off
	s_mov_b32 s1, 0
	s_mov_b32 s7, -1
	s_wait_loadcnt 0x0
	v_lshlrev_b32_e32 v6, 16, v0
	s_branch .LBB47_921
.LBB47_916:
	s_mov_b32 s6, -1
	s_branch .LBB47_920
.LBB47_917:
	s_or_saveexec_b32 s7, s7
	v_mov_b32_e32 v6, 0x7f800001
	s_xor_b32 exec_lo, exec_lo, s7
	s_cbranch_execz .LBB47_898
.LBB47_918:
	v_cmp_ne_u16_e32 vcc_lo, 0, v0
	v_mov_b32_e32 v6, 0
	s_and_not1_b32 s6, s6, exec_lo
	s_and_b32 s8, vcc_lo, exec_lo
	s_delay_alu instid0(SALU_CYCLE_1)
	s_or_b32 s6, s6, s8
	s_or_b32 exec_lo, exec_lo, s7
	s_and_saveexec_b32 s7, s6
	s_cbranch_execnz .LBB47_899
	s_branch .LBB47_900
.LBB47_919:
	s_mov_b32 s1, -1
.LBB47_920:
                                        ; implicit-def: $vgpr6
.LBB47_921:
	s_and_b32 vcc_lo, exec_lo, s6
	s_mov_b32 s6, 0
	s_cbranch_vccz .LBB47_923
; %bb.922:
	s_cmp_lg_u32 s0, 11
	s_mov_b32 s6, -1
	s_cselect_b32 s0, -1, 0
	s_and_not1_b32 s1, s1, exec_lo
	s_and_b32 s0, s0, exec_lo
	s_delay_alu instid0(SALU_CYCLE_1)
	s_or_b32 s1, s1, s0
.LBB47_923:
	s_mov_b32 s0, 0
.LBB47_924:
	s_and_b32 s24, s7, exec_lo
	s_and_not1_b32 s7, s26, exec_lo
	s_and_b32 s1, s1, exec_lo
	s_and_b32 s25, s0, exec_lo
	s_and_b32 s0, s6, exec_lo
	s_or_b32 s45, s7, s1
.LBB47_925:
	s_wait_xcnt 0x0
	s_or_b32 exec_lo, exec_lo, s36
	s_delay_alu instid0(SALU_CYCLE_1)
	s_and_not1_b32 s6, s26, exec_lo
	s_and_b32 s7, s45, exec_lo
	s_and_b32 s24, s24, exec_lo
	;; [unrolled: 1-line block ×4, first 2 shown]
	s_or_b32 s26, s6, s7
.LBB47_926:
	s_or_b32 exec_lo, exec_lo, s44
	s_delay_alu instid0(SALU_CYCLE_1)
	s_and_not1_b32 s6, s42, exec_lo
	s_and_b32 s7, s27, exec_lo
	s_and_b32 s25, s24, exec_lo
	s_or_b32 s42, s6, s7
	s_and_not1_b32 s6, s41, exec_lo
	s_and_b32 s7, s26, exec_lo
	s_and_b32 s24, s1, exec_lo
	;; [unrolled: 1-line block ×3, first 2 shown]
	s_or_b32 s41, s6, s7
.LBB47_927:
	s_or_b32 exec_lo, exec_lo, s43
	s_delay_alu instid0(SALU_CYCLE_1)
	s_and_not1_b32 s0, s18, exec_lo
	s_and_b32 s6, s42, exec_lo
	s_and_b32 s7, s41, exec_lo
	s_or_b32 s18, s0, s6
	s_and_not1_b32 s6, s39, exec_lo
	s_and_b32 s0, s25, exec_lo
	s_and_b32 s25, s24, exec_lo
	;; [unrolled: 1-line block ×3, first 2 shown]
	s_or_b32 s39, s6, s7
	s_or_b32 exec_lo, exec_lo, s40
	s_mov_b32 s1, 0
	s_and_saveexec_b32 s6, s39
	s_cbranch_execz .LBB47_276
.LBB47_928:
	s_mov_b32 s1, exec_lo
	s_and_not1_b32 s17, s17, exec_lo
	s_trap 2
	s_or_b32 exec_lo, exec_lo, s6
	s_and_saveexec_b32 s6, s17
	s_delay_alu instid0(SALU_CYCLE_1)
	s_xor_b32 s6, exec_lo, s6
	s_cbranch_execnz .LBB47_277
.LBB47_929:
	s_or_b32 exec_lo, exec_lo, s6
	s_and_saveexec_b32 s6, s25
	s_cbranch_execz .LBB47_975
.LBB47_930:
	s_sext_i32_i16 s7, s13
	s_delay_alu instid0(SALU_CYCLE_1)
	s_cmp_lt_i32 s7, 5
	s_cbranch_scc1 .LBB47_935
; %bb.931:
	s_cmp_lt_i32 s7, 8
	s_cbranch_scc1 .LBB47_936
; %bb.932:
	;; [unrolled: 3-line block ×3, first 2 shown]
	s_cmp_gt_i32 s7, 9
	s_cbranch_scc0 .LBB47_938
; %bb.934:
	s_wait_loadcnt 0x0
	global_load_b64 v[0:1], v[4:5], off
	s_mov_b32 s7, 0
	s_wait_loadcnt 0x0
	v_cvt_f32_f64_e32 v6, v[0:1]
	s_branch .LBB47_939
.LBB47_935:
                                        ; implicit-def: $vgpr6
	s_branch .LBB47_956
.LBB47_936:
                                        ; implicit-def: $vgpr6
	s_branch .LBB47_945
.LBB47_937:
	s_mov_b32 s7, -1
                                        ; implicit-def: $vgpr6
	s_branch .LBB47_942
.LBB47_938:
	s_mov_b32 s7, -1
                                        ; implicit-def: $vgpr6
.LBB47_939:
	s_delay_alu instid0(SALU_CYCLE_1)
	s_and_not1_b32 vcc_lo, exec_lo, s7
	s_cbranch_vccnz .LBB47_941
; %bb.940:
	global_load_b32 v6, v[4:5], off
.LBB47_941:
	s_mov_b32 s7, 0
.LBB47_942:
	s_delay_alu instid0(SALU_CYCLE_1)
	s_and_not1_b32 vcc_lo, exec_lo, s7
	s_cbranch_vccnz .LBB47_944
; %bb.943:
	global_load_b32 v0, v[4:5], off
	s_wait_loadcnt 0x0
	v_cvt_f32_f16_e32 v6, v0
.LBB47_944:
	s_cbranch_execnz .LBB47_955
.LBB47_945:
	s_sext_i32_i16 s7, s13
	s_delay_alu instid0(SALU_CYCLE_1)
	s_cmp_lt_i32 s7, 6
	s_cbranch_scc1 .LBB47_948
; %bb.946:
	s_cmp_gt_i32 s7, 6
	s_cbranch_scc0 .LBB47_949
; %bb.947:
	s_wait_loadcnt 0x0
	global_load_b64 v[0:1], v[4:5], off
	s_mov_b32 s7, 0
	s_wait_loadcnt 0x0
	v_cvt_f32_f64_e32 v6, v[0:1]
	s_branch .LBB47_950
.LBB47_948:
	s_mov_b32 s7, -1
                                        ; implicit-def: $vgpr6
	s_branch .LBB47_953
.LBB47_949:
	s_mov_b32 s7, -1
                                        ; implicit-def: $vgpr6
.LBB47_950:
	s_delay_alu instid0(SALU_CYCLE_1)
	s_and_not1_b32 vcc_lo, exec_lo, s7
	s_cbranch_vccnz .LBB47_952
; %bb.951:
	s_wait_loadcnt 0x0
	global_load_b32 v6, v[4:5], off
.LBB47_952:
	s_mov_b32 s7, 0
.LBB47_953:
	s_delay_alu instid0(SALU_CYCLE_1)
	s_and_not1_b32 vcc_lo, exec_lo, s7
	s_cbranch_vccnz .LBB47_955
; %bb.954:
	global_load_u16 v0, v[4:5], off
	s_wait_loadcnt 0x0
	v_cvt_f32_f16_e32 v6, v0
.LBB47_955:
	s_cbranch_execnz .LBB47_974
.LBB47_956:
	s_sext_i32_i16 s7, s13
	s_delay_alu instid0(SALU_CYCLE_1)
	s_cmp_lt_i32 s7, 2
	s_cbranch_scc1 .LBB47_960
; %bb.957:
	s_cmp_lt_i32 s7, 3
	s_cbranch_scc1 .LBB47_961
; %bb.958:
	s_cmp_gt_i32 s7, 3
	s_cbranch_scc0 .LBB47_962
; %bb.959:
	s_wait_loadcnt 0x0
	global_load_b64 v[0:1], v[4:5], off
	s_mov_b32 s7, 0
	s_wait_loadcnt 0x0
	v_xor_b32_e32 v3, v0, v1
	v_cls_i32_e32 v6, v1
	s_delay_alu instid0(VALU_DEP_2) | instskip(NEXT) | instid1(VALU_DEP_1)
	v_ashrrev_i32_e32 v3, 31, v3
	v_add_nc_u32_e32 v3, 32, v3
	s_delay_alu instid0(VALU_DEP_1) | instskip(NEXT) | instid1(VALU_DEP_1)
	v_add_min_u32_e64 v3, v6, -1, v3
	v_lshlrev_b64_e32 v[0:1], v3, v[0:1]
	s_delay_alu instid0(VALU_DEP_1) | instskip(NEXT) | instid1(VALU_DEP_1)
	v_min_u32_e32 v0, 1, v0
	v_dual_sub_nc_u32 v1, 32, v3 :: v_dual_bitop2_b32 v0, v1, v0 bitop3:0x54
	s_delay_alu instid0(VALU_DEP_1) | instskip(NEXT) | instid1(VALU_DEP_1)
	v_cvt_f32_i32_e32 v0, v0
	v_ldexp_f32 v6, v0, v1
	s_branch .LBB47_963
.LBB47_960:
                                        ; implicit-def: $vgpr6
	s_branch .LBB47_969
.LBB47_961:
	s_mov_b32 s7, -1
                                        ; implicit-def: $vgpr6
	s_branch .LBB47_966
.LBB47_962:
	s_mov_b32 s7, -1
                                        ; implicit-def: $vgpr6
.LBB47_963:
	s_delay_alu instid0(SALU_CYCLE_1)
	s_and_not1_b32 vcc_lo, exec_lo, s7
	s_cbranch_vccnz .LBB47_965
; %bb.964:
	global_load_b32 v0, v[4:5], off
	s_wait_loadcnt 0x0
	v_cvt_f32_i32_e32 v6, v0
.LBB47_965:
	s_mov_b32 s7, 0
.LBB47_966:
	s_delay_alu instid0(SALU_CYCLE_1)
	s_and_not1_b32 vcc_lo, exec_lo, s7
	s_cbranch_vccnz .LBB47_968
; %bb.967:
	global_load_i16 v0, v[4:5], off
	s_wait_loadcnt 0x0
	v_cvt_f32_i32_e32 v6, v0
.LBB47_968:
	s_cbranch_execnz .LBB47_974
.LBB47_969:
	s_sext_i32_i16 s7, s13
	s_delay_alu instid0(SALU_CYCLE_1)
	s_cmp_gt_i32 s7, 0
	s_mov_b32 s7, 0
	s_cbranch_scc0 .LBB47_971
; %bb.970:
	global_load_i8 v0, v[4:5], off
	s_wait_loadcnt 0x0
	v_cvt_f32_i32_e32 v6, v0
	s_branch .LBB47_972
.LBB47_971:
	s_mov_b32 s7, -1
                                        ; implicit-def: $vgpr6
.LBB47_972:
	s_delay_alu instid0(SALU_CYCLE_1)
	s_and_not1_b32 vcc_lo, exec_lo, s7
	s_cbranch_vccnz .LBB47_974
; %bb.973:
	global_load_u8 v0, v[4:5], off
	s_wait_loadcnt 0x0
	v_cvt_f32_ubyte0_e32 v6, v0
.LBB47_974:
	s_or_b32 s0, s0, exec_lo
.LBB47_975:
	s_wait_xcnt 0x0
	s_or_b32 exec_lo, exec_lo, s6
	s_mov_b32 s10, 0
	s_mov_b32 s9, 0
                                        ; implicit-def: $sgpr6
                                        ; implicit-def: $sgpr7
                                        ; implicit-def: $vgpr0_vgpr1
	s_and_saveexec_b32 s8, s0
	s_cbranch_execz .LBB47_983
; %bb.976:
	v_mov_b32_e32 v3, 0
	s_wait_loadcnt 0x0
	s_delay_alu instid0(VALU_DEP_2) | instskip(SKIP_1) | instid1(SALU_CYCLE_1)
	v_cmp_eq_f32_e64 s6, 0x7f800000, v6
	s_and_b32 s7, s34, 0xff
	s_cmp_lt_i32 s7, 11
	v_add_nc_u64_e32 v[0:1], s[4:5], v[2:3]
	s_cbranch_scc1 .LBB47_986
; %bb.977:
	s_and_b32 s4, 0xffff, s7
	s_mov_b32 s5, -1
	s_cmp_gt_i32 s4, 25
	s_mov_b32 s0, s18
	s_cbranch_scc0 .LBB47_1014
; %bb.978:
	s_cmp_gt_i32 s4, 28
	s_mov_b32 s0, s18
	s_cbranch_scc0 .LBB47_998
; %bb.979:
	;; [unrolled: 4-line block ×4, first 2 shown]
	s_cmp_eq_u32 s4, 46
	s_mov_b32 s0, -1
	s_cbranch_scc0 .LBB47_987
; %bb.982:
	v_cndmask_b32_e64 v2, 0, 1.0, s6
	s_mov_b32 s0, 0
	s_mov_b32 s5, 0
	s_delay_alu instid0(VALU_DEP_1) | instskip(NEXT) | instid1(VALU_DEP_1)
	v_bfe_u32 v3, v2, 16, 1
	v_add3_u32 v2, v2, v3, 0x7fff
	s_delay_alu instid0(VALU_DEP_1)
	v_lshrrev_b32_e32 v2, 16, v2
	global_store_b32 v[0:1], v2, off
	s_branch .LBB47_988
.LBB47_983:
	s_or_b32 exec_lo, exec_lo, s8
	s_and_saveexec_b32 s0, s18
	s_cbranch_execnz .LBB47_1056
.LBB47_984:
	s_or_b32 exec_lo, exec_lo, s0
	s_and_saveexec_b32 s0, s10
	s_delay_alu instid0(SALU_CYCLE_1)
	s_xor_b32 s0, exec_lo, s0
	s_cbranch_execz .LBB47_1057
.LBB47_985:
	v_cndmask_b32_e64 v2, 0, 1, s6
	s_wait_loadcnt 0x0
	global_store_b8 v[0:1], v2, off
	s_wait_xcnt 0x0
	s_or_b32 exec_lo, exec_lo, s0
	s_and_saveexec_b32 s0, s9
	s_delay_alu instid0(SALU_CYCLE_1)
	s_xor_b32 s0, exec_lo, s0
	s_cbranch_execz .LBB47_1095
	s_branch .LBB47_1058
.LBB47_986:
	s_mov_b32 s5, -1
	s_mov_b32 s0, s18
	s_branch .LBB47_1055
.LBB47_987:
	s_mov_b32 s5, 0
.LBB47_988:
	s_delay_alu instid0(SALU_CYCLE_1)
	s_and_b32 vcc_lo, exec_lo, s5
	s_cbranch_vccz .LBB47_993
; %bb.989:
	s_cmp_eq_u32 s4, 44
	s_mov_b32 s0, -1
	s_cbranch_scc0 .LBB47_993
; %bb.990:
	v_cndmask_b32_e64 v4, 0, 1.0, s6
	s_mov_b32 s5, exec_lo
	s_wait_xcnt 0x0
	s_delay_alu instid0(VALU_DEP_1) | instskip(NEXT) | instid1(VALU_DEP_1)
	v_dual_mov_b32 v3, 0xff :: v_dual_lshrrev_b32 v2, 23, v4
	v_cmpx_ne_u32_e32 0xff, v2
; %bb.991:
	v_and_b32_e32 v3, 0x400000, v4
	v_and_or_b32 v4, 0x3fffff, v4, v2
	s_delay_alu instid0(VALU_DEP_2) | instskip(NEXT) | instid1(VALU_DEP_2)
	v_cmp_ne_u32_e32 vcc_lo, 0, v3
	v_cmp_ne_u32_e64 s0, 0, v4
	s_and_b32 s0, vcc_lo, s0
	s_delay_alu instid0(SALU_CYCLE_1) | instskip(NEXT) | instid1(VALU_DEP_1)
	v_cndmask_b32_e64 v3, 0, 1, s0
	v_add_nc_u32_e32 v3, v2, v3
; %bb.992:
	s_or_b32 exec_lo, exec_lo, s5
	s_mov_b32 s0, 0
	global_store_b8 v[0:1], v3, off
.LBB47_993:
	s_mov_b32 s5, 0
.LBB47_994:
	s_delay_alu instid0(SALU_CYCLE_1)
	s_and_b32 vcc_lo, exec_lo, s5
	s_cbranch_vccz .LBB47_997
; %bb.995:
	s_cmp_eq_u32 s4, 29
	s_mov_b32 s0, -1
	s_cbranch_scc0 .LBB47_997
; %bb.996:
	s_mov_b32 s0, 0
	s_wait_xcnt 0x0
	v_cndmask_b32_e64 v2, 0, 1, s6
	v_mov_b32_e32 v3, s0
	s_mov_b32 s5, 0
	global_store_b64 v[0:1], v[2:3], off
	s_branch .LBB47_998
.LBB47_997:
	s_mov_b32 s5, 0
.LBB47_998:
	s_delay_alu instid0(SALU_CYCLE_1)
	s_and_b32 vcc_lo, exec_lo, s5
	s_cbranch_vccz .LBB47_1013
; %bb.999:
	s_cmp_lt_i32 s4, 27
	s_mov_b32 s5, -1
	s_cbranch_scc1 .LBB47_1005
; %bb.1000:
	s_cmp_gt_i32 s4, 27
	s_cbranch_scc0 .LBB47_1002
; %bb.1001:
	s_wait_xcnt 0x0
	v_cndmask_b32_e64 v2, 0, 1, s6
	s_mov_b32 s5, 0
	global_store_b32 v[0:1], v2, off
.LBB47_1002:
	s_and_not1_b32 vcc_lo, exec_lo, s5
	s_cbranch_vccnz .LBB47_1004
; %bb.1003:
	s_wait_xcnt 0x0
	v_cndmask_b32_e64 v2, 0, 1, s6
	global_store_b16 v[0:1], v2, off
.LBB47_1004:
	s_mov_b32 s5, 0
.LBB47_1005:
	s_delay_alu instid0(SALU_CYCLE_1)
	s_and_not1_b32 vcc_lo, exec_lo, s5
	s_cbranch_vccnz .LBB47_1013
; %bb.1006:
	s_wait_xcnt 0x0
	v_cndmask_b32_e64 v3, 0, 1.0, s6
	v_mov_b32_e32 v4, 0x80
	s_mov_b32 s5, exec_lo
	s_delay_alu instid0(VALU_DEP_2)
	v_cmpx_gt_u32_e32 0x43800000, v3
	s_cbranch_execz .LBB47_1012
; %bb.1007:
	s_mov_b32 s10, exec_lo
                                        ; implicit-def: $vgpr2
	v_cmpx_lt_u32_e32 0x3bffffff, v3
	s_xor_b32 s10, exec_lo, s10
	s_cbranch_execz .LBB47_1170
; %bb.1008:
	v_bfe_u32 v2, v3, 20, 1
	s_mov_b32 s9, exec_lo
	s_delay_alu instid0(VALU_DEP_1) | instskip(NEXT) | instid1(VALU_DEP_1)
	v_add3_u32 v2, v3, v2, 0x487ffff
                                        ; implicit-def: $vgpr3
	v_lshrrev_b32_e32 v2, 20, v2
	s_and_not1_saveexec_b32 s10, s10
	s_cbranch_execnz .LBB47_1171
.LBB47_1009:
	s_or_b32 exec_lo, exec_lo, s10
	v_mov_b32_e32 v4, 0
	s_and_saveexec_b32 s10, s9
.LBB47_1010:
	v_mov_b32_e32 v4, v2
.LBB47_1011:
	s_or_b32 exec_lo, exec_lo, s10
.LBB47_1012:
	s_delay_alu instid0(SALU_CYCLE_1)
	s_or_b32 exec_lo, exec_lo, s5
	global_store_b8 v[0:1], v4, off
.LBB47_1013:
	s_mov_b32 s5, 0
.LBB47_1014:
	s_delay_alu instid0(SALU_CYCLE_1)
	s_and_b32 vcc_lo, exec_lo, s5
	s_mov_b32 s5, 0
	s_cbranch_vccz .LBB47_1054
; %bb.1015:
	s_cmp_gt_i32 s4, 22
	s_mov_b32 s9, -1
	s_cbranch_scc0 .LBB47_1047
; %bb.1016:
	s_cmp_lt_i32 s4, 24
	s_cbranch_scc1 .LBB47_1036
; %bb.1017:
	s_cmp_gt_i32 s4, 24
	s_cbranch_scc0 .LBB47_1025
; %bb.1018:
	s_wait_xcnt 0x0
	v_cndmask_b32_e64 v3, 0, 1.0, s6
	v_mov_b32_e32 v4, 0x80
	s_mov_b32 s9, exec_lo
	s_delay_alu instid0(VALU_DEP_2)
	v_cmpx_gt_u32_e32 0x47800000, v3
	s_cbranch_execz .LBB47_1024
; %bb.1019:
	s_mov_b32 s10, 0
	s_mov_b32 s11, exec_lo
                                        ; implicit-def: $vgpr2
	v_cmpx_lt_u32_e32 0x37ffffff, v3
	s_xor_b32 s11, exec_lo, s11
	s_cbranch_execz .LBB47_1296
; %bb.1020:
	v_bfe_u32 v2, v3, 21, 1
	s_mov_b32 s10, exec_lo
	s_delay_alu instid0(VALU_DEP_1) | instskip(NEXT) | instid1(VALU_DEP_1)
	v_add3_u32 v2, v3, v2, 0x88fffff
                                        ; implicit-def: $vgpr3
	v_lshrrev_b32_e32 v2, 21, v2
	s_and_not1_saveexec_b32 s11, s11
	s_cbranch_execnz .LBB47_1297
.LBB47_1021:
	s_or_b32 exec_lo, exec_lo, s11
	v_mov_b32_e32 v4, 0
	s_and_saveexec_b32 s11, s10
.LBB47_1022:
	v_mov_b32_e32 v4, v2
.LBB47_1023:
	s_or_b32 exec_lo, exec_lo, s11
.LBB47_1024:
	s_delay_alu instid0(SALU_CYCLE_1)
	s_or_b32 exec_lo, exec_lo, s9
	s_mov_b32 s9, 0
	global_store_b8 v[0:1], v4, off
.LBB47_1025:
	s_and_b32 vcc_lo, exec_lo, s9
	s_cbranch_vccz .LBB47_1035
; %bb.1026:
	s_wait_xcnt 0x0
	v_cndmask_b32_e64 v3, 0, 1.0, s6
	s_mov_b32 s9, exec_lo
                                        ; implicit-def: $vgpr2
	s_delay_alu instid0(VALU_DEP_1)
	v_cmpx_gt_u32_e32 0x43f00000, v3
	s_xor_b32 s9, exec_lo, s9
	s_cbranch_execz .LBB47_1032
; %bb.1027:
	s_mov_b32 s10, exec_lo
                                        ; implicit-def: $vgpr2
	v_cmpx_lt_u32_e32 0x3c7fffff, v3
	s_xor_b32 s10, exec_lo, s10
; %bb.1028:
	v_bfe_u32 v2, v3, 20, 1
	s_delay_alu instid0(VALU_DEP_1) | instskip(NEXT) | instid1(VALU_DEP_1)
	v_add3_u32 v2, v3, v2, 0x407ffff
	v_and_b32_e32 v3, 0xff00000, v2
	v_lshrrev_b32_e32 v2, 20, v2
	s_delay_alu instid0(VALU_DEP_2) | instskip(NEXT) | instid1(VALU_DEP_2)
	v_cmp_ne_u32_e32 vcc_lo, 0x7f00000, v3
                                        ; implicit-def: $vgpr3
	v_cndmask_b32_e32 v2, 0x7e, v2, vcc_lo
; %bb.1029:
	s_and_not1_saveexec_b32 s10, s10
; %bb.1030:
	v_add_f32_e32 v2, 0x46800000, v3
; %bb.1031:
	s_or_b32 exec_lo, exec_lo, s10
                                        ; implicit-def: $vgpr3
.LBB47_1032:
	s_and_not1_saveexec_b32 s9, s9
; %bb.1033:
	v_mov_b32_e32 v2, 0x7f
	v_cmp_lt_u32_e32 vcc_lo, 0x7f800000, v3
	s_delay_alu instid0(VALU_DEP_2)
	v_cndmask_b32_e32 v2, 0x7e, v2, vcc_lo
; %bb.1034:
	s_or_b32 exec_lo, exec_lo, s9
	global_store_b8 v[0:1], v2, off
.LBB47_1035:
	s_mov_b32 s9, 0
.LBB47_1036:
	s_delay_alu instid0(SALU_CYCLE_1)
	s_and_not1_b32 vcc_lo, exec_lo, s9
	s_cbranch_vccnz .LBB47_1046
; %bb.1037:
	s_wait_xcnt 0x0
	v_cndmask_b32_e64 v3, 0, 1.0, s6
	s_mov_b32 s9, exec_lo
                                        ; implicit-def: $vgpr2
	s_delay_alu instid0(VALU_DEP_1)
	v_cmpx_gt_u32_e32 0x47800000, v3
	s_xor_b32 s9, exec_lo, s9
	s_cbranch_execz .LBB47_1043
; %bb.1038:
	s_mov_b32 s10, exec_lo
                                        ; implicit-def: $vgpr2
	v_cmpx_lt_u32_e32 0x387fffff, v3
	s_xor_b32 s10, exec_lo, s10
; %bb.1039:
	v_bfe_u32 v2, v3, 21, 1
	s_delay_alu instid0(VALU_DEP_1) | instskip(NEXT) | instid1(VALU_DEP_1)
	v_add3_u32 v2, v3, v2, 0x80fffff
                                        ; implicit-def: $vgpr3
	v_lshrrev_b32_e32 v2, 21, v2
; %bb.1040:
	s_and_not1_saveexec_b32 s10, s10
; %bb.1041:
	v_add_f32_e32 v2, 0x43000000, v3
; %bb.1042:
	s_or_b32 exec_lo, exec_lo, s10
                                        ; implicit-def: $vgpr3
.LBB47_1043:
	s_and_not1_saveexec_b32 s9, s9
; %bb.1044:
	v_mov_b32_e32 v2, 0x7f
	v_cmp_lt_u32_e32 vcc_lo, 0x7f800000, v3
	s_delay_alu instid0(VALU_DEP_2)
	v_cndmask_b32_e32 v2, 0x7c, v2, vcc_lo
; %bb.1045:
	s_or_b32 exec_lo, exec_lo, s9
	global_store_b8 v[0:1], v2, off
.LBB47_1046:
	s_mov_b32 s9, 0
.LBB47_1047:
	s_delay_alu instid0(SALU_CYCLE_1)
	s_and_not1_b32 vcc_lo, exec_lo, s9
	s_mov_b32 s10, 0
	s_cbranch_vccnz .LBB47_1055
; %bb.1048:
	s_cmp_gt_i32 s4, 14
	s_mov_b32 s9, -1
	s_cbranch_scc0 .LBB47_1052
; %bb.1049:
	s_cmp_eq_u32 s4, 15
	s_mov_b32 s0, -1
	s_cbranch_scc0 .LBB47_1051
; %bb.1050:
	s_wait_xcnt 0x0
	v_cndmask_b32_e64 v2, 0, 1.0, s6
	s_mov_b32 s0, 0
	s_delay_alu instid0(VALU_DEP_1) | instskip(NEXT) | instid1(VALU_DEP_1)
	v_bfe_u32 v3, v2, 16, 1
	v_add3_u32 v2, v2, v3, 0x7fff
	global_store_d16_hi_b16 v[0:1], v2, off
.LBB47_1051:
	s_mov_b32 s9, 0
.LBB47_1052:
	s_delay_alu instid0(SALU_CYCLE_1)
	s_and_b32 vcc_lo, exec_lo, s9
	s_cbranch_vccz .LBB47_1055
; %bb.1053:
	s_cmp_lg_u32 s4, 11
	s_mov_b32 s10, -1
	s_cselect_b32 s4, -1, 0
	s_and_not1_b32 s0, s0, exec_lo
	s_and_b32 s4, s4, exec_lo
	s_delay_alu instid0(SALU_CYCLE_1)
	s_or_b32 s0, s0, s4
	s_branch .LBB47_1055
.LBB47_1054:
	s_mov_b32 s10, 0
.LBB47_1055:
	s_and_not1_b32 s4, s18, exec_lo
	s_and_b32 s0, s0, exec_lo
	s_and_b32 s9, s5, exec_lo
	;; [unrolled: 1-line block ×3, first 2 shown]
	s_or_b32 s18, s4, s0
	s_wait_xcnt 0x0
	s_or_b32 exec_lo, exec_lo, s8
	s_and_saveexec_b32 s0, s18
	s_cbranch_execz .LBB47_984
.LBB47_1056:
	s_or_b32 s1, s1, exec_lo
	s_and_not1_b32 s10, s10, exec_lo
	s_trap 2
	s_or_b32 exec_lo, exec_lo, s0
	s_and_saveexec_b32 s0, s10
	s_delay_alu instid0(SALU_CYCLE_1)
	s_xor_b32 s0, exec_lo, s0
	s_cbranch_execnz .LBB47_985
.LBB47_1057:
	s_or_b32 exec_lo, exec_lo, s0
	s_and_saveexec_b32 s0, s9
	s_delay_alu instid0(SALU_CYCLE_1)
	s_xor_b32 s0, exec_lo, s0
	s_cbranch_execz .LBB47_1095
.LBB47_1058:
	s_sext_i32_i16 s5, s7
	s_mov_b32 s4, -1
	s_cmp_lt_i32 s5, 5
	s_cbranch_scc1 .LBB47_1079
; %bb.1059:
	s_cmp_lt_i32 s5, 8
	s_cbranch_scc1 .LBB47_1069
; %bb.1060:
	;; [unrolled: 3-line block ×3, first 2 shown]
	s_cmp_gt_i32 s5, 9
	s_cbranch_scc0 .LBB47_1063
; %bb.1062:
	v_cndmask_b32_e64 v2, 0, 1, s6
	v_mov_b32_e32 v4, 0
	s_mov_b32 s4, 0
	s_delay_alu instid0(VALU_DEP_2) | instskip(NEXT) | instid1(VALU_DEP_2)
	v_cvt_f64_u32_e32 v[2:3], v2
	v_mov_b32_e32 v5, v4
	s_wait_loadcnt 0x0
	global_store_b128 v[0:1], v[2:5], off
.LBB47_1063:
	s_and_not1_b32 vcc_lo, exec_lo, s4
	s_cbranch_vccnz .LBB47_1065
; %bb.1064:
	s_wait_xcnt 0x0
	v_cndmask_b32_e64 v2, 0, 1.0, s6
	v_mov_b32_e32 v3, 0
	s_wait_loadcnt 0x0
	global_store_b64 v[0:1], v[2:3], off
.LBB47_1065:
	s_mov_b32 s4, 0
.LBB47_1066:
	s_delay_alu instid0(SALU_CYCLE_1)
	s_and_not1_b32 vcc_lo, exec_lo, s4
	s_cbranch_vccnz .LBB47_1068
; %bb.1067:
	s_wait_xcnt 0x0
	v_cndmask_b32_e64 v2, 0, 1.0, s6
	s_delay_alu instid0(VALU_DEP_1) | instskip(NEXT) | instid1(VALU_DEP_1)
	v_cvt_f16_f32_e32 v2, v2
	v_and_b32_e32 v2, 0xffff, v2
	s_wait_loadcnt 0x0
	global_store_b32 v[0:1], v2, off
.LBB47_1068:
	s_mov_b32 s4, 0
.LBB47_1069:
	s_delay_alu instid0(SALU_CYCLE_1)
	s_and_not1_b32 vcc_lo, exec_lo, s4
	s_cbranch_vccnz .LBB47_1078
; %bb.1070:
	s_sext_i32_i16 s5, s7
	s_mov_b32 s4, -1
	s_cmp_lt_i32 s5, 6
	s_cbranch_scc1 .LBB47_1076
; %bb.1071:
	s_cmp_gt_i32 s5, 6
	s_cbranch_scc0 .LBB47_1073
; %bb.1072:
	s_wait_xcnt 0x0
	v_cndmask_b32_e64 v2, 0, 1, s6
	s_mov_b32 s4, 0
	s_delay_alu instid0(VALU_DEP_1)
	v_cvt_f64_u32_e32 v[2:3], v2
	s_wait_loadcnt 0x0
	global_store_b64 v[0:1], v[2:3], off
.LBB47_1073:
	s_and_not1_b32 vcc_lo, exec_lo, s4
	s_cbranch_vccnz .LBB47_1075
; %bb.1074:
	s_wait_xcnt 0x0
	v_cndmask_b32_e64 v2, 0, 1.0, s6
	s_wait_loadcnt 0x0
	global_store_b32 v[0:1], v2, off
.LBB47_1075:
	s_mov_b32 s4, 0
.LBB47_1076:
	s_delay_alu instid0(SALU_CYCLE_1)
	s_and_not1_b32 vcc_lo, exec_lo, s4
	s_cbranch_vccnz .LBB47_1078
; %bb.1077:
	s_wait_xcnt 0x0
	v_cndmask_b32_e64 v2, 0, 1.0, s6
	s_delay_alu instid0(VALU_DEP_1)
	v_cvt_f16_f32_e32 v2, v2
	s_wait_loadcnt 0x0
	global_store_b16 v[0:1], v2, off
.LBB47_1078:
	s_mov_b32 s4, 0
.LBB47_1079:
	s_delay_alu instid0(SALU_CYCLE_1)
	s_and_not1_b32 vcc_lo, exec_lo, s4
	s_cbranch_vccnz .LBB47_1095
; %bb.1080:
	s_sext_i32_i16 s5, s7
	s_mov_b32 s4, -1
	s_cmp_lt_i32 s5, 2
	s_cbranch_scc1 .LBB47_1090
; %bb.1081:
	s_cmp_lt_i32 s5, 3
	s_cbranch_scc1 .LBB47_1087
; %bb.1082:
	s_cmp_gt_i32 s5, 3
	s_cbranch_scc0 .LBB47_1084
; %bb.1083:
	s_mov_b32 s4, 0
	s_wait_xcnt 0x0
	v_cndmask_b32_e64 v2, 0, 1, s6
	v_mov_b32_e32 v3, s4
	s_wait_loadcnt 0x0
	global_store_b64 v[0:1], v[2:3], off
.LBB47_1084:
	s_and_not1_b32 vcc_lo, exec_lo, s4
	s_cbranch_vccnz .LBB47_1086
; %bb.1085:
	s_wait_xcnt 0x0
	v_cndmask_b32_e64 v2, 0, 1, s6
	s_wait_loadcnt 0x0
	global_store_b32 v[0:1], v2, off
.LBB47_1086:
	s_mov_b32 s4, 0
.LBB47_1087:
	s_delay_alu instid0(SALU_CYCLE_1)
	s_and_not1_b32 vcc_lo, exec_lo, s4
	s_cbranch_vccnz .LBB47_1089
; %bb.1088:
	s_wait_xcnt 0x0
	v_cndmask_b32_e64 v2, 0, 1, s6
	s_wait_loadcnt 0x0
	global_store_b16 v[0:1], v2, off
.LBB47_1089:
	s_mov_b32 s4, 0
.LBB47_1090:
	s_delay_alu instid0(SALU_CYCLE_1)
	s_and_not1_b32 vcc_lo, exec_lo, s4
	s_cbranch_vccnz .LBB47_1095
; %bb.1091:
	s_sext_i32_i16 s4, s7
	s_delay_alu instid0(SALU_CYCLE_1)
	s_cmp_gt_i32 s4, 0
	s_mov_b32 s4, -1
	s_cbranch_scc0 .LBB47_1093
; %bb.1092:
	s_wait_xcnt 0x0
	v_cndmask_b32_e64 v2, 0, 1, s6
	s_mov_b32 s4, 0
	s_wait_loadcnt 0x0
	global_store_b8 v[0:1], v2, off
.LBB47_1093:
	s_and_not1_b32 vcc_lo, exec_lo, s4
	s_cbranch_vccnz .LBB47_1095
; %bb.1094:
	s_wait_xcnt 0x0
	v_cndmask_b32_e64 v2, 0, 1, s6
	s_wait_loadcnt 0x0
	global_store_b8 v[0:1], v2, off
.LBB47_1095:
	s_wait_xcnt 0x0
	s_or_b32 exec_lo, exec_lo, s0
	s_delay_alu instid0(SALU_CYCLE_1)
	s_and_b32 s8, s1, exec_lo
                                        ; implicit-def: $vgpr9
                                        ; implicit-def: $vgpr0
.LBB47_1096:
	s_or_saveexec_b32 s9, s33
	s_mov_b32 s0, 0
                                        ; implicit-def: $sgpr1
                                        ; implicit-def: $vgpr2_vgpr3
                                        ; implicit-def: $sgpr6
	s_xor_b32 exec_lo, exec_lo, s9
	s_cbranch_execz .LBB47_2108
; %bb.1097:
	s_wait_loadcnt 0x0
	v_cndmask_b32_e64 v1, 0, 1, s31
	s_and_not1_b32 vcc_lo, exec_lo, s31
	s_cbranch_vccnz .LBB47_1103
; %bb.1098:
	s_cmp_lg_u32 s28, 0
	s_mov_b32 s10, 0
	s_cbranch_scc0 .LBB47_1104
; %bb.1099:
	s_min_u32 s1, s29, 15
	s_delay_alu instid0(SALU_CYCLE_1)
	s_add_co_i32 s1, s1, 1
	s_cmp_eq_u32 s29, 2
	s_cbranch_scc1 .LBB47_1105
; %bb.1100:
	v_dual_mov_b32 v6, 0 :: v_dual_mov_b32 v14, 0
	v_mov_b32_e32 v2, v0
	s_and_b32 s0, s1, 28
	s_add_nc_u64 s[4:5], s[2:3], 0xc4
	s_mov_b32 s11, 0
	s_mov_b64 s[6:7], s[2:3]
.LBB47_1101:                            ; =>This Inner Loop Header: Depth=1
	s_clause 0x1
	s_load_b256 s[12:19], s[6:7], 0x4
	s_load_b128 s[36:39], s[6:7], 0x24
	s_load_b256 s[20:27], s[4:5], 0x0
	s_add_co_i32 s11, s11, 4
	s_wait_xcnt 0x0
	s_add_nc_u64 s[6:7], s[6:7], 48
	s_cmp_lg_u32 s0, s11
	s_add_nc_u64 s[4:5], s[4:5], 32
	s_wait_kmcnt 0x0
	v_mul_hi_u32 v3, s13, v2
	s_delay_alu instid0(VALU_DEP_1) | instskip(NEXT) | instid1(VALU_DEP_1)
	v_add_nc_u32_e32 v3, v2, v3
	v_lshrrev_b32_e32 v3, s14, v3
	s_delay_alu instid0(VALU_DEP_1) | instskip(NEXT) | instid1(VALU_DEP_1)
	v_mul_hi_u32 v4, s16, v3
	v_add_nc_u32_e32 v4, v3, v4
	s_delay_alu instid0(VALU_DEP_1) | instskip(NEXT) | instid1(VALU_DEP_1)
	v_lshrrev_b32_e32 v4, s17, v4
	v_mul_hi_u32 v5, s19, v4
	s_delay_alu instid0(VALU_DEP_1) | instskip(SKIP_1) | instid1(VALU_DEP_1)
	v_add_nc_u32_e32 v5, v4, v5
	v_mul_lo_u32 v7, v3, s12
	v_sub_nc_u32_e32 v2, v2, v7
	v_mul_lo_u32 v7, v4, s15
	s_delay_alu instid0(VALU_DEP_4) | instskip(NEXT) | instid1(VALU_DEP_3)
	v_lshrrev_b32_e32 v5, s36, v5
	v_mad_u32 v10, v2, s21, v14
	v_mad_u32 v2, v2, s20, v6
	s_delay_alu instid0(VALU_DEP_4) | instskip(NEXT) | instid1(VALU_DEP_4)
	v_sub_nc_u32_e32 v3, v3, v7
	v_mul_hi_u32 v8, s38, v5
	v_mul_lo_u32 v6, v5, s18
	s_delay_alu instid0(VALU_DEP_1) | instskip(NEXT) | instid1(VALU_DEP_4)
	v_dual_add_nc_u32 v7, v5, v8 :: v_dual_sub_nc_u32 v4, v4, v6
	v_mad_u32 v8, v3, s23, v10
	v_mad_u32 v3, v3, s22, v2
	s_delay_alu instid0(VALU_DEP_3) | instskip(NEXT) | instid1(VALU_DEP_1)
	v_lshrrev_b32_e32 v2, s39, v7
	v_mul_lo_u32 v6, v2, s37
	s_delay_alu instid0(VALU_DEP_4) | instskip(NEXT) | instid1(VALU_DEP_4)
	v_mad_u32 v7, v4, s25, v8
	v_mad_u32 v3, v4, s24, v3
	s_delay_alu instid0(VALU_DEP_3) | instskip(NEXT) | instid1(VALU_DEP_1)
	v_sub_nc_u32_e32 v4, v5, v6
	v_mad_u32 v14, v4, s27, v7
	s_delay_alu instid0(VALU_DEP_3)
	v_mad_u32 v6, v4, s26, v3
	s_cbranch_scc1 .LBB47_1101
; %bb.1102:
	s_delay_alu instid0(VALU_DEP_2)
	v_mov_b32_e32 v7, v14
	s_and_b32 s6, s1, 3
	s_mov_b32 s1, 0
	s_cmp_eq_u32 s6, 0
	s_cbranch_scc0 .LBB47_1106
	s_branch .LBB47_1109
.LBB47_1103:
	s_mov_b32 s10, -1
                                        ; implicit-def: $vgpr14
                                        ; implicit-def: $vgpr6
	s_branch .LBB47_1109
.LBB47_1104:
	v_dual_mov_b32 v14, 0 :: v_dual_mov_b32 v6, 0
	s_branch .LBB47_1109
.LBB47_1105:
	v_mov_b64_e32 v[6:7], 0
	v_mov_b32_e32 v2, v0
                                        ; implicit-def: $vgpr14
	s_and_b32 s6, s1, 3
	s_mov_b32 s1, 0
	s_cmp_eq_u32 s6, 0
	s_cbranch_scc1 .LBB47_1109
.LBB47_1106:
	s_lshl_b32 s4, s0, 3
	s_mov_b32 s5, s1
	s_mul_u64 s[12:13], s[0:1], 12
	s_add_nc_u64 s[4:5], s[2:3], s[4:5]
	s_delay_alu instid0(SALU_CYCLE_1)
	s_add_nc_u64 s[0:1], s[4:5], 0xc4
	s_add_nc_u64 s[4:5], s[2:3], s[12:13]
.LBB47_1107:                            ; =>This Inner Loop Header: Depth=1
	s_load_b96 s[12:14], s[4:5], 0x4
	s_add_co_i32 s6, s6, -1
	s_wait_xcnt 0x0
	s_add_nc_u64 s[4:5], s[4:5], 12
	s_cmp_lg_u32 s6, 0
	s_wait_kmcnt 0x0
	v_mul_hi_u32 v3, s13, v2
	s_delay_alu instid0(VALU_DEP_1) | instskip(NEXT) | instid1(VALU_DEP_1)
	v_add_nc_u32_e32 v3, v2, v3
	v_lshrrev_b32_e32 v3, s14, v3
	s_load_b64 s[14:15], s[0:1], 0x0
	s_wait_xcnt 0x0
	s_add_nc_u64 s[0:1], s[0:1], 8
	s_delay_alu instid0(VALU_DEP_1) | instskip(NEXT) | instid1(VALU_DEP_1)
	v_mul_lo_u32 v4, v3, s12
	v_sub_nc_u32_e32 v2, v2, v4
	s_wait_kmcnt 0x0
	s_delay_alu instid0(VALU_DEP_1)
	v_mad_u32 v7, v2, s15, v7
	v_mad_u32 v6, v2, s14, v6
	v_mov_b32_e32 v2, v3
	s_cbranch_scc1 .LBB47_1107
; %bb.1108:
	s_delay_alu instid0(VALU_DEP_3)
	v_mov_b32_e32 v14, v7
.LBB47_1109:
	s_and_not1_b32 vcc_lo, exec_lo, s10
	s_cbranch_vccnz .LBB47_1112
; %bb.1110:
	s_clause 0x1
	s_load_b96 s[4:6], s[2:3], 0x4
	s_load_b64 s[0:1], s[2:3], 0xc4
	s_cmp_lt_u32 s28, 2
	s_wait_kmcnt 0x0
	v_mul_hi_u32 v2, s5, v0
	s_delay_alu instid0(VALU_DEP_1) | instskip(NEXT) | instid1(VALU_DEP_1)
	v_add_nc_u32_e32 v2, v0, v2
	v_lshrrev_b32_e32 v2, s6, v2
	s_delay_alu instid0(VALU_DEP_1) | instskip(NEXT) | instid1(VALU_DEP_1)
	v_mul_lo_u32 v3, v2, s4
	v_sub_nc_u32_e32 v3, v0, v3
	s_delay_alu instid0(VALU_DEP_1)
	v_mul_lo_u32 v14, v3, s1
	v_mul_lo_u32 v6, v3, s0
	s_cbranch_scc1 .LBB47_1112
; %bb.1111:
	s_clause 0x1
	s_load_b96 s[4:6], s[2:3], 0x10
	s_load_b64 s[0:1], s[2:3], 0xcc
	s_wait_kmcnt 0x0
	v_mul_hi_u32 v3, s5, v2
	s_delay_alu instid0(VALU_DEP_1) | instskip(NEXT) | instid1(VALU_DEP_1)
	v_add_nc_u32_e32 v3, v2, v3
	v_lshrrev_b32_e32 v3, s6, v3
	s_delay_alu instid0(VALU_DEP_1) | instskip(NEXT) | instid1(VALU_DEP_1)
	v_mul_lo_u32 v3, v3, s4
	v_sub_nc_u32_e32 v2, v2, v3
	s_delay_alu instid0(VALU_DEP_1)
	v_mad_u32 v6, v2, s0, v6
	v_mad_u32 v14, v2, s1, v14
.LBB47_1112:
	v_cmp_ne_u32_e32 vcc_lo, 1, v1
	v_add_nc_u32_e32 v2, 0x80, v0
	s_cbranch_vccnz .LBB47_1118
; %bb.1113:
	s_cmp_lg_u32 s28, 0
	s_mov_b32 s10, 0
	s_cbranch_scc0 .LBB47_1119
; %bb.1114:
	s_min_u32 s1, s29, 15
	s_delay_alu instid0(SALU_CYCLE_1)
	s_add_co_i32 s1, s1, 1
	s_cmp_eq_u32 s29, 2
	s_cbranch_scc1 .LBB47_1120
; %bb.1115:
	v_dual_mov_b32 v4, 0 :: v_dual_mov_b32 v12, 0
	v_mov_b32_e32 v3, v2
	s_and_b32 s0, s1, 28
	s_add_nc_u64 s[4:5], s[2:3], 0xc4
	s_mov_b32 s11, 0
	s_mov_b64 s[6:7], s[2:3]
.LBB47_1116:                            ; =>This Inner Loop Header: Depth=1
	s_clause 0x1
	s_load_b256 s[12:19], s[6:7], 0x4
	s_load_b128 s[36:39], s[6:7], 0x24
	s_load_b256 s[20:27], s[4:5], 0x0
	s_add_co_i32 s11, s11, 4
	s_wait_xcnt 0x0
	s_add_nc_u64 s[6:7], s[6:7], 48
	s_cmp_lg_u32 s0, s11
	s_add_nc_u64 s[4:5], s[4:5], 32
	s_wait_kmcnt 0x0
	v_mul_hi_u32 v5, s13, v3
	s_delay_alu instid0(VALU_DEP_1) | instskip(NEXT) | instid1(VALU_DEP_1)
	v_add_nc_u32_e32 v5, v3, v5
	v_lshrrev_b32_e32 v5, s14, v5
	s_delay_alu instid0(VALU_DEP_1) | instskip(NEXT) | instid1(VALU_DEP_1)
	v_mul_hi_u32 v7, s16, v5
	v_add_nc_u32_e32 v7, v5, v7
	s_delay_alu instid0(VALU_DEP_1) | instskip(NEXT) | instid1(VALU_DEP_1)
	v_lshrrev_b32_e32 v7, s17, v7
	v_mul_hi_u32 v8, s19, v7
	s_delay_alu instid0(VALU_DEP_1) | instskip(SKIP_1) | instid1(VALU_DEP_1)
	v_add_nc_u32_e32 v8, v7, v8
	v_mul_lo_u32 v10, v5, s12
	v_sub_nc_u32_e32 v3, v3, v10
	v_mul_lo_u32 v10, v7, s15
	s_delay_alu instid0(VALU_DEP_4) | instskip(NEXT) | instid1(VALU_DEP_3)
	v_lshrrev_b32_e32 v8, s36, v8
	v_mad_u32 v12, v3, s21, v12
	v_mad_u32 v3, v3, s20, v4
	s_delay_alu instid0(VALU_DEP_4) | instskip(NEXT) | instid1(VALU_DEP_4)
	v_sub_nc_u32_e32 v4, v5, v10
	v_mul_hi_u32 v11, s38, v8
	v_mul_lo_u32 v5, v8, s18
	s_delay_alu instid0(VALU_DEP_1) | instskip(NEXT) | instid1(VALU_DEP_4)
	v_dual_add_nc_u32 v10, v8, v11 :: v_dual_sub_nc_u32 v5, v7, v5
	v_mad_u32 v11, v4, s23, v12
	v_mad_u32 v4, v4, s22, v3
	s_delay_alu instid0(VALU_DEP_3) | instskip(NEXT) | instid1(VALU_DEP_1)
	v_lshrrev_b32_e32 v3, s39, v10
	v_mul_lo_u32 v7, v3, s37
	s_delay_alu instid0(VALU_DEP_4) | instskip(NEXT) | instid1(VALU_DEP_4)
	v_mad_u32 v10, v5, s25, v11
	v_mad_u32 v4, v5, s24, v4
	s_delay_alu instid0(VALU_DEP_3) | instskip(NEXT) | instid1(VALU_DEP_1)
	v_sub_nc_u32_e32 v5, v8, v7
	v_mad_u32 v12, v5, s27, v10
	s_delay_alu instid0(VALU_DEP_3)
	v_mad_u32 v4, v5, s26, v4
	s_cbranch_scc1 .LBB47_1116
; %bb.1117:
	s_delay_alu instid0(VALU_DEP_2)
	v_mov_b32_e32 v5, v12
	s_and_b32 s6, s1, 3
	s_mov_b32 s1, 0
	s_cmp_eq_u32 s6, 0
	s_cbranch_scc0 .LBB47_1121
	s_branch .LBB47_1124
.LBB47_1118:
	s_mov_b32 s10, -1
                                        ; implicit-def: $vgpr12
                                        ; implicit-def: $vgpr4
	s_branch .LBB47_1124
.LBB47_1119:
	v_dual_mov_b32 v12, 0 :: v_dual_mov_b32 v4, 0
	s_branch .LBB47_1124
.LBB47_1120:
	v_mov_b64_e32 v[4:5], 0
	v_mov_b32_e32 v3, v2
	s_mov_b32 s0, 0
                                        ; implicit-def: $vgpr12
	s_and_b32 s6, s1, 3
	s_mov_b32 s1, 0
	s_cmp_eq_u32 s6, 0
	s_cbranch_scc1 .LBB47_1124
.LBB47_1121:
	s_lshl_b32 s4, s0, 3
	s_mov_b32 s5, s1
	s_mul_u64 s[12:13], s[0:1], 12
	s_add_nc_u64 s[4:5], s[2:3], s[4:5]
	s_delay_alu instid0(SALU_CYCLE_1)
	s_add_nc_u64 s[0:1], s[4:5], 0xc4
	s_add_nc_u64 s[4:5], s[2:3], s[12:13]
.LBB47_1122:                            ; =>This Inner Loop Header: Depth=1
	s_load_b96 s[12:14], s[4:5], 0x4
	s_add_co_i32 s6, s6, -1
	s_wait_xcnt 0x0
	s_add_nc_u64 s[4:5], s[4:5], 12
	s_cmp_lg_u32 s6, 0
	s_wait_kmcnt 0x0
	v_mul_hi_u32 v7, s13, v3
	s_delay_alu instid0(VALU_DEP_1) | instskip(NEXT) | instid1(VALU_DEP_1)
	v_add_nc_u32_e32 v7, v3, v7
	v_lshrrev_b32_e32 v7, s14, v7
	s_load_b64 s[14:15], s[0:1], 0x0
	s_wait_xcnt 0x0
	s_add_nc_u64 s[0:1], s[0:1], 8
	s_delay_alu instid0(VALU_DEP_1) | instskip(NEXT) | instid1(VALU_DEP_1)
	v_mul_lo_u32 v8, v7, s12
	v_sub_nc_u32_e32 v3, v3, v8
	s_wait_kmcnt 0x0
	s_delay_alu instid0(VALU_DEP_1)
	v_mad_u32 v5, v3, s15, v5
	v_mad_u32 v4, v3, s14, v4
	v_mov_b32_e32 v3, v7
	s_cbranch_scc1 .LBB47_1122
; %bb.1123:
	s_delay_alu instid0(VALU_DEP_3)
	v_mov_b32_e32 v12, v5
.LBB47_1124:
	s_and_not1_b32 vcc_lo, exec_lo, s10
	s_cbranch_vccnz .LBB47_1127
; %bb.1125:
	s_clause 0x1
	s_load_b96 s[4:6], s[2:3], 0x4
	s_load_b64 s[0:1], s[2:3], 0xc4
	s_cmp_lt_u32 s28, 2
	s_wait_kmcnt 0x0
	v_mul_hi_u32 v3, s5, v2
	s_delay_alu instid0(VALU_DEP_1) | instskip(NEXT) | instid1(VALU_DEP_1)
	v_add_nc_u32_e32 v3, v2, v3
	v_lshrrev_b32_e32 v3, s6, v3
	s_delay_alu instid0(VALU_DEP_1) | instskip(NEXT) | instid1(VALU_DEP_1)
	v_mul_lo_u32 v4, v3, s4
	v_sub_nc_u32_e32 v2, v2, v4
	s_delay_alu instid0(VALU_DEP_1)
	v_mul_lo_u32 v12, v2, s1
	v_mul_lo_u32 v4, v2, s0
	s_cbranch_scc1 .LBB47_1127
; %bb.1126:
	s_clause 0x1
	s_load_b96 s[4:6], s[2:3], 0x10
	s_load_b64 s[0:1], s[2:3], 0xcc
	s_wait_kmcnt 0x0
	v_mul_hi_u32 v2, s5, v3
	s_delay_alu instid0(VALU_DEP_1) | instskip(NEXT) | instid1(VALU_DEP_1)
	v_add_nc_u32_e32 v2, v3, v2
	v_lshrrev_b32_e32 v2, s6, v2
	s_delay_alu instid0(VALU_DEP_1) | instskip(NEXT) | instid1(VALU_DEP_1)
	v_mul_lo_u32 v2, v2, s4
	v_sub_nc_u32_e32 v2, v3, v2
	s_delay_alu instid0(VALU_DEP_1)
	v_mad_u32 v4, v2, s0, v4
	v_mad_u32 v12, v2, s1, v12
.LBB47_1127:
	v_cmp_ne_u32_e32 vcc_lo, 1, v1
	v_add_nc_u32_e32 v0, 0x100, v0
	s_cbranch_vccnz .LBB47_1133
; %bb.1128:
	s_cmp_lg_u32 s28, 0
	s_mov_b32 s10, 0
	s_cbranch_scc0 .LBB47_1134
; %bb.1129:
	s_min_u32 s1, s29, 15
	s_delay_alu instid0(SALU_CYCLE_1)
	s_add_co_i32 s1, s1, 1
	s_cmp_eq_u32 s29, 2
	s_cbranch_scc1 .LBB47_1135
; %bb.1130:
	v_dual_mov_b32 v2, 0 :: v_dual_mov_b32 v10, 0
	v_mov_b32_e32 v5, v0
	s_and_b32 s0, s1, 28
	s_add_nc_u64 s[4:5], s[2:3], 0xc4
	s_mov_b32 s11, 0
	s_mov_b64 s[6:7], s[2:3]
.LBB47_1131:                            ; =>This Inner Loop Header: Depth=1
	s_clause 0x1
	s_load_b256 s[12:19], s[6:7], 0x4
	s_load_b128 s[36:39], s[6:7], 0x24
	s_load_b256 s[20:27], s[4:5], 0x0
	s_add_co_i32 s11, s11, 4
	s_wait_xcnt 0x0
	s_add_nc_u64 s[6:7], s[6:7], 48
	s_cmp_lg_u32 s0, s11
	s_add_nc_u64 s[4:5], s[4:5], 32
	s_wait_kmcnt 0x0
	v_mul_hi_u32 v3, s13, v5
	s_delay_alu instid0(VALU_DEP_1) | instskip(NEXT) | instid1(VALU_DEP_1)
	v_add_nc_u32_e32 v3, v5, v3
	v_lshrrev_b32_e32 v3, s14, v3
	s_delay_alu instid0(VALU_DEP_1) | instskip(NEXT) | instid1(VALU_DEP_1)
	v_mul_hi_u32 v7, s16, v3
	v_add_nc_u32_e32 v7, v3, v7
	s_delay_alu instid0(VALU_DEP_1) | instskip(NEXT) | instid1(VALU_DEP_1)
	v_lshrrev_b32_e32 v7, s17, v7
	v_mul_hi_u32 v8, s19, v7
	s_delay_alu instid0(VALU_DEP_1) | instskip(NEXT) | instid1(VALU_DEP_1)
	v_add_nc_u32_e32 v8, v7, v8
	v_lshrrev_b32_e32 v8, s36, v8
	v_mul_lo_u32 v11, v3, s12
	s_delay_alu instid0(VALU_DEP_2) | instskip(NEXT) | instid1(VALU_DEP_2)
	v_mul_hi_u32 v13, s38, v8
	v_sub_nc_u32_e32 v5, v5, v11
	s_delay_alu instid0(VALU_DEP_1) | instskip(SKIP_1) | instid1(VALU_DEP_4)
	v_mad_u32 v10, v5, s21, v10
	v_mad_u32 v2, v5, s20, v2
	v_add_nc_u32_e32 v5, v8, v13
	s_delay_alu instid0(VALU_DEP_1) | instskip(SKIP_1) | instid1(VALU_DEP_1)
	v_lshrrev_b32_e32 v5, s39, v5
	v_mul_lo_u32 v11, v7, s15
	v_sub_nc_u32_e32 v3, v3, v11
	v_mul_lo_u32 v11, v8, s18
	s_delay_alu instid0(VALU_DEP_2) | instskip(SKIP_1) | instid1(VALU_DEP_3)
	v_mad_u32 v10, v3, s23, v10
	v_mad_u32 v2, v3, s22, v2
	v_sub_nc_u32_e32 v3, v7, v11
	v_mul_lo_u32 v7, v5, s37
	s_delay_alu instid0(VALU_DEP_2) | instskip(NEXT) | instid1(VALU_DEP_4)
	v_mad_u32 v10, v3, s25, v10
	v_mad_u32 v2, v3, s24, v2
	s_delay_alu instid0(VALU_DEP_3) | instskip(NEXT) | instid1(VALU_DEP_1)
	v_sub_nc_u32_e32 v3, v8, v7
	v_mad_u32 v10, v3, s27, v10
	s_delay_alu instid0(VALU_DEP_3)
	v_mad_u32 v2, v3, s26, v2
	s_cbranch_scc1 .LBB47_1131
; %bb.1132:
	s_delay_alu instid0(VALU_DEP_2)
	v_mov_b32_e32 v3, v10
	s_and_b32 s6, s1, 3
	s_mov_b32 s1, 0
	s_cmp_eq_u32 s6, 0
	s_cbranch_scc0 .LBB47_1136
	s_branch .LBB47_1139
.LBB47_1133:
	s_mov_b32 s10, -1
                                        ; implicit-def: $vgpr10
                                        ; implicit-def: $vgpr2
	s_branch .LBB47_1139
.LBB47_1134:
	v_dual_mov_b32 v10, 0 :: v_dual_mov_b32 v2, 0
	s_branch .LBB47_1139
.LBB47_1135:
	v_mov_b64_e32 v[2:3], 0
	v_mov_b32_e32 v5, v0
	s_mov_b32 s0, 0
                                        ; implicit-def: $vgpr10
	s_and_b32 s6, s1, 3
	s_mov_b32 s1, 0
	s_cmp_eq_u32 s6, 0
	s_cbranch_scc1 .LBB47_1139
.LBB47_1136:
	s_lshl_b32 s4, s0, 3
	s_mov_b32 s5, s1
	s_mul_u64 s[12:13], s[0:1], 12
	s_add_nc_u64 s[4:5], s[2:3], s[4:5]
	s_delay_alu instid0(SALU_CYCLE_1)
	s_add_nc_u64 s[0:1], s[4:5], 0xc4
	s_add_nc_u64 s[4:5], s[2:3], s[12:13]
.LBB47_1137:                            ; =>This Inner Loop Header: Depth=1
	s_load_b96 s[12:14], s[4:5], 0x4
	s_add_co_i32 s6, s6, -1
	s_wait_xcnt 0x0
	s_add_nc_u64 s[4:5], s[4:5], 12
	s_cmp_lg_u32 s6, 0
	s_wait_kmcnt 0x0
	v_mul_hi_u32 v7, s13, v5
	s_delay_alu instid0(VALU_DEP_1) | instskip(NEXT) | instid1(VALU_DEP_1)
	v_add_nc_u32_e32 v7, v5, v7
	v_lshrrev_b32_e32 v7, s14, v7
	s_load_b64 s[14:15], s[0:1], 0x0
	s_wait_xcnt 0x0
	s_add_nc_u64 s[0:1], s[0:1], 8
	s_delay_alu instid0(VALU_DEP_1) | instskip(NEXT) | instid1(VALU_DEP_1)
	v_mul_lo_u32 v8, v7, s12
	v_sub_nc_u32_e32 v5, v5, v8
	s_wait_kmcnt 0x0
	s_delay_alu instid0(VALU_DEP_1)
	v_mad_u32 v3, v5, s15, v3
	v_mad_u32 v2, v5, s14, v2
	v_mov_b32_e32 v5, v7
	s_cbranch_scc1 .LBB47_1137
; %bb.1138:
	s_delay_alu instid0(VALU_DEP_3)
	v_mov_b32_e32 v10, v3
.LBB47_1139:
	s_and_not1_b32 vcc_lo, exec_lo, s10
	s_cbranch_vccnz .LBB47_1142
; %bb.1140:
	s_clause 0x1
	s_load_b96 s[4:6], s[2:3], 0x4
	s_load_b64 s[0:1], s[2:3], 0xc4
	s_cmp_lt_u32 s28, 2
	s_wait_kmcnt 0x0
	v_mul_hi_u32 v2, s5, v0
	s_delay_alu instid0(VALU_DEP_1) | instskip(NEXT) | instid1(VALU_DEP_1)
	v_add_nc_u32_e32 v2, v0, v2
	v_lshrrev_b32_e32 v3, s6, v2
	s_delay_alu instid0(VALU_DEP_1) | instskip(NEXT) | instid1(VALU_DEP_1)
	v_mul_lo_u32 v2, v3, s4
	v_sub_nc_u32_e32 v0, v0, v2
	s_delay_alu instid0(VALU_DEP_1)
	v_mul_lo_u32 v10, v0, s1
	v_mul_lo_u32 v2, v0, s0
	s_cbranch_scc1 .LBB47_1142
; %bb.1141:
	s_clause 0x1
	s_load_b96 s[4:6], s[2:3], 0x10
	s_load_b64 s[0:1], s[2:3], 0xcc
	s_wait_kmcnt 0x0
	v_mul_hi_u32 v0, s5, v3
	s_delay_alu instid0(VALU_DEP_1) | instskip(NEXT) | instid1(VALU_DEP_1)
	v_add_nc_u32_e32 v0, v3, v0
	v_lshrrev_b32_e32 v0, s6, v0
	s_delay_alu instid0(VALU_DEP_1) | instskip(NEXT) | instid1(VALU_DEP_1)
	v_mul_lo_u32 v0, v0, s4
	v_sub_nc_u32_e32 v0, v3, v0
	s_delay_alu instid0(VALU_DEP_1)
	v_mad_u32 v2, v0, s0, v2
	v_mad_u32 v10, v0, s1, v10
.LBB47_1142:
	v_cmp_ne_u32_e32 vcc_lo, 1, v1
	s_cbranch_vccnz .LBB47_1148
; %bb.1143:
	s_cmp_lg_u32 s28, 0
	s_mov_b32 s10, 0
	s_cbranch_scc0 .LBB47_1149
; %bb.1144:
	s_min_u32 s1, s29, 15
	s_delay_alu instid0(SALU_CYCLE_1)
	s_add_co_i32 s1, s1, 1
	s_cmp_eq_u32 s29, 2
	s_cbranch_scc1 .LBB47_1150
; %bb.1145:
	v_dual_mov_b32 v0, 0 :: v_dual_mov_b32 v8, 0
	v_mov_b32_e32 v3, v9
	s_and_b32 s0, s1, 28
	s_add_nc_u64 s[4:5], s[2:3], 0xc4
	s_mov_b32 s11, 0
	s_mov_b64 s[6:7], s[2:3]
.LBB47_1146:                            ; =>This Inner Loop Header: Depth=1
	s_clause 0x1
	s_load_b256 s[12:19], s[6:7], 0x4
	s_load_b128 s[36:39], s[6:7], 0x24
	s_load_b256 s[20:27], s[4:5], 0x0
	s_add_co_i32 s11, s11, 4
	s_wait_xcnt 0x0
	s_add_nc_u64 s[6:7], s[6:7], 48
	s_cmp_lg_u32 s0, s11
	s_add_nc_u64 s[4:5], s[4:5], 32
	s_wait_kmcnt 0x0
	v_mul_hi_u32 v1, s13, v3
	s_delay_alu instid0(VALU_DEP_1) | instskip(NEXT) | instid1(VALU_DEP_1)
	v_add_nc_u32_e32 v1, v3, v1
	v_lshrrev_b32_e32 v1, s14, v1
	s_delay_alu instid0(VALU_DEP_1) | instskip(NEXT) | instid1(VALU_DEP_1)
	v_mul_lo_u32 v11, v1, s12
	v_sub_nc_u32_e32 v3, v3, v11
	v_mul_hi_u32 v5, s16, v1
	s_delay_alu instid0(VALU_DEP_2) | instskip(SKIP_1) | instid1(VALU_DEP_3)
	v_mad_u32 v8, v3, s21, v8
	v_mad_u32 v0, v3, s20, v0
	v_add_nc_u32_e32 v5, v1, v5
	s_delay_alu instid0(VALU_DEP_1) | instskip(NEXT) | instid1(VALU_DEP_1)
	v_lshrrev_b32_e32 v5, s17, v5
	v_mul_lo_u32 v11, v5, s15
	s_delay_alu instid0(VALU_DEP_1) | instskip(SKIP_1) | instid1(VALU_DEP_2)
	v_sub_nc_u32_e32 v1, v1, v11
	v_mul_hi_u32 v7, s19, v5
	v_mad_u32 v8, v1, s23, v8
	v_mad_u32 v0, v1, s22, v0
	s_delay_alu instid0(VALU_DEP_3) | instskip(NEXT) | instid1(VALU_DEP_1)
	v_add_nc_u32_e32 v7, v5, v7
	v_lshrrev_b32_e32 v7, s36, v7
	s_delay_alu instid0(VALU_DEP_1) | instskip(SKIP_1) | instid1(VALU_DEP_1)
	v_mul_hi_u32 v13, s38, v7
	v_mul_lo_u32 v11, v7, s18
	v_dual_add_nc_u32 v3, v7, v13 :: v_dual_sub_nc_u32 v1, v5, v11
	s_delay_alu instid0(VALU_DEP_1) | instskip(NEXT) | instid1(VALU_DEP_2)
	v_lshrrev_b32_e32 v3, s39, v3
	v_mad_u32 v8, v1, s25, v8
	v_mad_u32 v0, v1, s24, v0
	s_delay_alu instid0(VALU_DEP_3) | instskip(NEXT) | instid1(VALU_DEP_1)
	v_mul_lo_u32 v5, v3, s37
	v_sub_nc_u32_e32 v1, v7, v5
	s_delay_alu instid0(VALU_DEP_1) | instskip(NEXT) | instid1(VALU_DEP_4)
	v_mad_u32 v8, v1, s27, v8
	v_mad_u32 v0, v1, s26, v0
	s_cbranch_scc1 .LBB47_1146
; %bb.1147:
	s_delay_alu instid0(VALU_DEP_2)
	v_mov_b32_e32 v1, v8
	s_and_b32 s6, s1, 3
	s_mov_b32 s1, 0
	s_cmp_eq_u32 s6, 0
	s_cbranch_scc0 .LBB47_1151
	s_branch .LBB47_1154
.LBB47_1148:
	s_mov_b32 s10, -1
                                        ; implicit-def: $vgpr8
                                        ; implicit-def: $vgpr0
	s_branch .LBB47_1154
.LBB47_1149:
	v_dual_mov_b32 v8, 0 :: v_dual_mov_b32 v0, 0
	s_branch .LBB47_1154
.LBB47_1150:
	v_mov_b64_e32 v[0:1], 0
	v_mov_b32_e32 v3, v9
	s_mov_b32 s0, 0
                                        ; implicit-def: $vgpr8
	s_and_b32 s6, s1, 3
	s_mov_b32 s1, 0
	s_cmp_eq_u32 s6, 0
	s_cbranch_scc1 .LBB47_1154
.LBB47_1151:
	s_lshl_b32 s4, s0, 3
	s_mov_b32 s5, s1
	s_mul_u64 s[12:13], s[0:1], 12
	s_add_nc_u64 s[4:5], s[2:3], s[4:5]
	s_delay_alu instid0(SALU_CYCLE_1)
	s_add_nc_u64 s[0:1], s[4:5], 0xc4
	s_add_nc_u64 s[4:5], s[2:3], s[12:13]
.LBB47_1152:                            ; =>This Inner Loop Header: Depth=1
	s_load_b96 s[12:14], s[4:5], 0x4
	s_add_co_i32 s6, s6, -1
	s_wait_xcnt 0x0
	s_add_nc_u64 s[4:5], s[4:5], 12
	s_cmp_lg_u32 s6, 0
	s_wait_kmcnt 0x0
	v_mul_hi_u32 v5, s13, v3
	s_delay_alu instid0(VALU_DEP_1) | instskip(NEXT) | instid1(VALU_DEP_1)
	v_add_nc_u32_e32 v5, v3, v5
	v_lshrrev_b32_e32 v5, s14, v5
	s_load_b64 s[14:15], s[0:1], 0x0
	s_wait_xcnt 0x0
	s_add_nc_u64 s[0:1], s[0:1], 8
	s_delay_alu instid0(VALU_DEP_1) | instskip(NEXT) | instid1(VALU_DEP_1)
	v_mul_lo_u32 v7, v5, s12
	v_sub_nc_u32_e32 v3, v3, v7
	s_wait_kmcnt 0x0
	s_delay_alu instid0(VALU_DEP_1)
	v_mad_u32 v1, v3, s15, v1
	v_mad_u32 v0, v3, s14, v0
	v_mov_b32_e32 v3, v5
	s_cbranch_scc1 .LBB47_1152
; %bb.1153:
	s_delay_alu instid0(VALU_DEP_3)
	v_mov_b32_e32 v8, v1
.LBB47_1154:
	s_and_not1_b32 vcc_lo, exec_lo, s10
	s_cbranch_vccnz .LBB47_1157
; %bb.1155:
	s_clause 0x1
	s_load_b96 s[4:6], s[2:3], 0x4
	s_load_b64 s[0:1], s[2:3], 0xc4
	s_cmp_lt_u32 s28, 2
	s_wait_kmcnt 0x0
	v_mul_hi_u32 v0, s5, v9
	s_delay_alu instid0(VALU_DEP_1) | instskip(NEXT) | instid1(VALU_DEP_1)
	v_add_nc_u32_e32 v0, v9, v0
	v_lshrrev_b32_e32 v1, s6, v0
	s_delay_alu instid0(VALU_DEP_1) | instskip(NEXT) | instid1(VALU_DEP_1)
	v_mul_lo_u32 v0, v1, s4
	v_sub_nc_u32_e32 v0, v9, v0
	s_delay_alu instid0(VALU_DEP_1)
	v_mul_lo_u32 v8, v0, s1
	v_mul_lo_u32 v0, v0, s0
	s_cbranch_scc1 .LBB47_1157
; %bb.1156:
	s_clause 0x1
	s_load_b96 s[4:6], s[2:3], 0x10
	s_load_b64 s[0:1], s[2:3], 0xcc
	s_wait_kmcnt 0x0
	v_mul_hi_u32 v3, s5, v1
	s_delay_alu instid0(VALU_DEP_1) | instskip(NEXT) | instid1(VALU_DEP_1)
	v_add_nc_u32_e32 v3, v1, v3
	v_lshrrev_b32_e32 v3, s6, v3
	s_delay_alu instid0(VALU_DEP_1) | instskip(NEXT) | instid1(VALU_DEP_1)
	v_mul_lo_u32 v3, v3, s4
	v_sub_nc_u32_e32 v1, v1, v3
	s_delay_alu instid0(VALU_DEP_1)
	v_mad_u32 v0, v1, s0, v0
	v_mad_u32 v8, v1, s1, v8
.LBB47_1157:
	v_mov_b32_e32 v15, 0
	s_load_b128 s[4:7], s[2:3], 0x148
	global_load_u8 v1, v15, s[2:3] offset:346
	s_wait_kmcnt 0x0
	v_add_nc_u64_e32 v[14:15], s[6:7], v[14:15]
	s_wait_loadcnt 0x0
	v_and_b32_e32 v3, 0xffff, v1
	v_readfirstlane_b32 s0, v1
	s_delay_alu instid0(VALU_DEP_2)
	v_cmp_gt_i32_e32 vcc_lo, 11, v3
	s_cbranch_vccnz .LBB47_1164
; %bb.1158:
	s_and_b32 s1, 0xffff, s0
	s_mov_b32 s11, 0
	s_cmp_gt_i32 s1, 25
	s_cbranch_scc0 .LBB47_1166
; %bb.1159:
	s_cmp_gt_i32 s1, 28
	s_cbranch_scc0 .LBB47_1167
; %bb.1160:
	;; [unrolled: 3-line block ×4, first 2 shown]
	s_cmp_eq_u32 s1, 46
	s_mov_b32 s13, 0
	s_cbranch_scc0 .LBB47_1172
; %bb.1163:
	global_load_b32 v1, v[14:15], off
	s_mov_b32 s10, 0
	s_mov_b32 s12, -1
	s_wait_loadcnt 0x0
	v_lshlrev_b32_e32 v1, 16, v1
	s_branch .LBB47_1174
.LBB47_1164:
	s_mov_b32 s12, 0
	s_mov_b32 s10, s8
                                        ; implicit-def: $vgpr1
	s_cbranch_execnz .LBB47_1237
.LBB47_1165:
	s_and_not1_b32 vcc_lo, exec_lo, s12
	s_cbranch_vccz .LBB47_1282
	s_branch .LBB47_2106
.LBB47_1166:
	s_mov_b32 s12, 0
	s_mov_b32 s10, 0
                                        ; implicit-def: $vgpr1
	s_cbranch_execnz .LBB47_1202
	s_branch .LBB47_1233
.LBB47_1167:
	s_mov_b32 s13, -1
	s_mov_b32 s12, 0
	s_mov_b32 s10, 0
                                        ; implicit-def: $vgpr1
	s_branch .LBB47_1183
.LBB47_1168:
	s_mov_b32 s12, 0
	s_mov_b32 s10, 0
                                        ; implicit-def: $vgpr1
	s_cbranch_execnz .LBB47_1179
	s_branch .LBB47_1182
.LBB47_1169:
	s_mov_b32 s13, -1
	s_mov_b32 s12, 0
	s_mov_b32 s10, 0
	s_branch .LBB47_1173
.LBB47_1170:
	s_and_not1_saveexec_b32 s10, s10
	s_cbranch_execz .LBB47_1009
.LBB47_1171:
	v_add_f32_e32 v2, 0x46000000, v3
	s_and_not1_b32 s9, s9, exec_lo
	s_delay_alu instid0(VALU_DEP_1) | instskip(NEXT) | instid1(VALU_DEP_1)
	v_and_b32_e32 v2, 0xff, v2
	v_cmp_ne_u32_e32 vcc_lo, 0, v2
	s_and_b32 s11, vcc_lo, exec_lo
	s_delay_alu instid0(SALU_CYCLE_1)
	s_or_b32 s9, s9, s11
	s_or_b32 exec_lo, exec_lo, s10
	v_mov_b32_e32 v4, 0
	s_and_saveexec_b32 s10, s9
	s_cbranch_execnz .LBB47_1010
	s_branch .LBB47_1011
.LBB47_1172:
	s_mov_b32 s10, -1
	s_mov_b32 s12, 0
.LBB47_1173:
                                        ; implicit-def: $vgpr1
.LBB47_1174:
	s_and_b32 vcc_lo, exec_lo, s13
	s_cbranch_vccz .LBB47_1177
; %bb.1175:
	s_cmp_eq_u32 s1, 44
	s_cbranch_scc0 .LBB47_1178
; %bb.1176:
	global_load_u8 v1, v[14:15], off
	s_mov_b32 s10, 0
	s_mov_b32 s12, -1
	s_wait_loadcnt 0x0
	v_lshlrev_b32_e32 v3, 23, v1
	v_cmp_ne_u32_e32 vcc_lo, 0xff, v1
	s_delay_alu instid0(VALU_DEP_2) | instskip(SKIP_1) | instid1(VALU_DEP_2)
	v_cndmask_b32_e32 v3, 0x7f800001, v3, vcc_lo
	v_cmp_ne_u32_e32 vcc_lo, 0, v1
	v_cndmask_b32_e32 v1, 0x400000, v3, vcc_lo
.LBB47_1177:
	s_branch .LBB47_1182
.LBB47_1178:
	s_mov_b32 s10, -1
                                        ; implicit-def: $vgpr1
	s_branch .LBB47_1182
.LBB47_1179:
	s_cmp_eq_u32 s1, 29
	s_cbranch_scc0 .LBB47_1181
; %bb.1180:
	global_load_b64 v[16:17], v[14:15], off
	s_mov_b32 s10, 0
	s_mov_b32 s12, -1
	s_mov_b32 s13, 0
	s_wait_loadcnt 0x0
	v_clz_i32_u32_e32 v1, v17
	s_delay_alu instid0(VALU_DEP_1) | instskip(NEXT) | instid1(VALU_DEP_1)
	v_min_u32_e32 v1, 32, v1
	v_lshlrev_b64_e32 v[16:17], v1, v[16:17]
	v_sub_nc_u32_e32 v1, 32, v1
	s_delay_alu instid0(VALU_DEP_2) | instskip(NEXT) | instid1(VALU_DEP_1)
	v_min_u32_e32 v3, 1, v16
	v_or_b32_e32 v3, v17, v3
	s_delay_alu instid0(VALU_DEP_1) | instskip(NEXT) | instid1(VALU_DEP_1)
	v_cvt_f32_u32_e32 v3, v3
	v_ldexp_f32 v1, v3, v1
	s_branch .LBB47_1183
.LBB47_1181:
	s_mov_b32 s10, -1
                                        ; implicit-def: $vgpr1
.LBB47_1182:
	s_mov_b32 s13, 0
.LBB47_1183:
	s_delay_alu instid0(SALU_CYCLE_1)
	s_and_b32 vcc_lo, exec_lo, s13
	s_cbranch_vccz .LBB47_1201
; %bb.1184:
	s_cmp_lt_i32 s1, 27
	s_cbranch_scc1 .LBB47_1187
; %bb.1185:
	s_cmp_gt_i32 s1, 27
	s_cbranch_scc0 .LBB47_1188
; %bb.1186:
	global_load_b32 v1, v[14:15], off
	s_mov_b32 s12, 0
	s_wait_loadcnt 0x0
	v_cvt_f32_u32_e32 v1, v1
	s_branch .LBB47_1189
.LBB47_1187:
	s_mov_b32 s12, -1
                                        ; implicit-def: $vgpr1
	s_branch .LBB47_1192
.LBB47_1188:
	s_mov_b32 s12, -1
                                        ; implicit-def: $vgpr1
.LBB47_1189:
	s_delay_alu instid0(SALU_CYCLE_1)
	s_and_not1_b32 vcc_lo, exec_lo, s12
	s_cbranch_vccnz .LBB47_1191
; %bb.1190:
	global_load_u16 v1, v[14:15], off
	s_wait_loadcnt 0x0
	v_cvt_f32_u32_e32 v1, v1
.LBB47_1191:
	s_mov_b32 s12, 0
.LBB47_1192:
	s_delay_alu instid0(SALU_CYCLE_1)
	s_and_not1_b32 vcc_lo, exec_lo, s12
	s_cbranch_vccnz .LBB47_1200
; %bb.1193:
	global_load_u8 v3, v[14:15], off
	s_mov_b32 s12, 0
	s_mov_b32 s13, exec_lo
	s_wait_loadcnt 0x0
	v_cmpx_lt_i16_e32 0x7f, v3
	s_xor_b32 s13, exec_lo, s13
	s_cbranch_execz .LBB47_1213
; %bb.1194:
	s_mov_b32 s12, -1
	s_mov_b32 s14, exec_lo
	v_cmpx_eq_u16_e32 0x80, v3
; %bb.1195:
	s_xor_b32 s12, exec_lo, -1
; %bb.1196:
	s_or_b32 exec_lo, exec_lo, s14
	s_delay_alu instid0(SALU_CYCLE_1)
	s_and_b32 s12, s12, exec_lo
	s_or_saveexec_b32 s13, s13
	v_mov_b32_e32 v1, 0x7f800001
	s_xor_b32 exec_lo, exec_lo, s13
	s_cbranch_execnz .LBB47_1214
.LBB47_1197:
	s_or_b32 exec_lo, exec_lo, s13
	s_and_saveexec_b32 s13, s12
	s_cbranch_execz .LBB47_1199
.LBB47_1198:
	v_and_b32_e32 v1, 0xffff, v3
	s_delay_alu instid0(VALU_DEP_1) | instskip(SKIP_1) | instid1(VALU_DEP_2)
	v_and_b32_e32 v5, 7, v1
	v_bfe_u32 v11, v1, 3, 4
	v_clz_i32_u32_e32 v7, v5
	s_delay_alu instid0(VALU_DEP_2) | instskip(NEXT) | instid1(VALU_DEP_2)
	v_cmp_eq_u32_e32 vcc_lo, 0, v11
	v_min_u32_e32 v7, 32, v7
	s_delay_alu instid0(VALU_DEP_1) | instskip(NEXT) | instid1(VALU_DEP_1)
	v_subrev_nc_u32_e32 v9, 28, v7
	v_dual_lshlrev_b32 v1, v9, v1 :: v_dual_sub_nc_u32 v7, 29, v7
	s_delay_alu instid0(VALU_DEP_1) | instskip(NEXT) | instid1(VALU_DEP_1)
	v_dual_lshlrev_b32 v3, 24, v3 :: v_dual_bitop2_b32 v1, 7, v1 bitop3:0x40
	v_dual_cndmask_b32 v1, v5, v1, vcc_lo :: v_dual_cndmask_b32 v7, v11, v7, vcc_lo
	s_delay_alu instid0(VALU_DEP_2) | instskip(NEXT) | instid1(VALU_DEP_2)
	v_and_b32_e32 v3, 0x80000000, v3
	v_lshlrev_b32_e32 v1, 20, v1
	s_delay_alu instid0(VALU_DEP_3) | instskip(NEXT) | instid1(VALU_DEP_1)
	v_lshl_add_u32 v5, v7, 23, 0x3b800000
	v_or3_b32 v1, v3, v5, v1
.LBB47_1199:
	s_or_b32 exec_lo, exec_lo, s13
.LBB47_1200:
	s_mov_b32 s12, -1
.LBB47_1201:
	s_branch .LBB47_1233
.LBB47_1202:
	s_cmp_gt_i32 s1, 22
	s_cbranch_scc0 .LBB47_1212
; %bb.1203:
	s_cmp_lt_i32 s1, 24
	s_cbranch_scc1 .LBB47_1215
; %bb.1204:
	s_cmp_gt_i32 s1, 24
	s_cbranch_scc0 .LBB47_1216
; %bb.1205:
	global_load_u8 v3, v[14:15], off
	s_mov_b32 s12, exec_lo
	s_wait_loadcnt 0x0
	v_cmpx_lt_i16_e32 0x7f, v3
	s_xor_b32 s12, exec_lo, s12
	s_cbranch_execz .LBB47_1227
; %bb.1206:
	s_mov_b32 s11, -1
	s_mov_b32 s13, exec_lo
	v_cmpx_eq_u16_e32 0x80, v3
; %bb.1207:
	s_xor_b32 s11, exec_lo, -1
; %bb.1208:
	s_or_b32 exec_lo, exec_lo, s13
	s_delay_alu instid0(SALU_CYCLE_1)
	s_and_b32 s11, s11, exec_lo
	s_or_saveexec_b32 s12, s12
	v_mov_b32_e32 v1, 0x7f800001
	s_xor_b32 exec_lo, exec_lo, s12
	s_cbranch_execnz .LBB47_1228
.LBB47_1209:
	s_or_b32 exec_lo, exec_lo, s12
	s_and_saveexec_b32 s12, s11
	s_cbranch_execz .LBB47_1211
.LBB47_1210:
	v_and_b32_e32 v1, 0xffff, v3
	s_delay_alu instid0(VALU_DEP_1) | instskip(SKIP_1) | instid1(VALU_DEP_2)
	v_and_b32_e32 v5, 3, v1
	v_bfe_u32 v11, v1, 2, 5
	v_clz_i32_u32_e32 v7, v5
	s_delay_alu instid0(VALU_DEP_2) | instskip(NEXT) | instid1(VALU_DEP_2)
	v_cmp_eq_u32_e32 vcc_lo, 0, v11
	v_min_u32_e32 v7, 32, v7
	s_delay_alu instid0(VALU_DEP_1) | instskip(NEXT) | instid1(VALU_DEP_1)
	v_subrev_nc_u32_e32 v9, 29, v7
	v_dual_lshlrev_b32 v1, v9, v1 :: v_dual_sub_nc_u32 v7, 30, v7
	s_delay_alu instid0(VALU_DEP_1) | instskip(NEXT) | instid1(VALU_DEP_1)
	v_dual_lshlrev_b32 v3, 24, v3 :: v_dual_bitop2_b32 v1, 3, v1 bitop3:0x40
	v_dual_cndmask_b32 v1, v5, v1, vcc_lo :: v_dual_cndmask_b32 v7, v11, v7, vcc_lo
	s_delay_alu instid0(VALU_DEP_2) | instskip(NEXT) | instid1(VALU_DEP_2)
	v_and_b32_e32 v3, 0x80000000, v3
	v_lshlrev_b32_e32 v1, 21, v1
	s_delay_alu instid0(VALU_DEP_3) | instskip(NEXT) | instid1(VALU_DEP_1)
	v_lshl_add_u32 v5, v7, 23, 0x37800000
	v_or3_b32 v1, v3, v5, v1
.LBB47_1211:
	s_or_b32 exec_lo, exec_lo, s12
	s_mov_b32 s11, 0
	s_branch .LBB47_1217
.LBB47_1212:
                                        ; implicit-def: $vgpr1
	s_mov_b32 s11, 0
	s_branch .LBB47_1223
.LBB47_1213:
	s_or_saveexec_b32 s13, s13
	v_mov_b32_e32 v1, 0x7f800001
	s_xor_b32 exec_lo, exec_lo, s13
	s_cbranch_execz .LBB47_1197
.LBB47_1214:
	v_cmp_ne_u16_e32 vcc_lo, 0, v3
	v_mov_b32_e32 v1, 0
	s_and_not1_b32 s12, s12, exec_lo
	s_and_b32 s14, vcc_lo, exec_lo
	s_delay_alu instid0(SALU_CYCLE_1)
	s_or_b32 s12, s12, s14
	s_or_b32 exec_lo, exec_lo, s13
	s_and_saveexec_b32 s13, s12
	s_cbranch_execnz .LBB47_1198
	s_branch .LBB47_1199
.LBB47_1215:
	s_mov_b32 s11, -1
                                        ; implicit-def: $vgpr1
	s_branch .LBB47_1220
.LBB47_1216:
	s_mov_b32 s11, -1
                                        ; implicit-def: $vgpr1
.LBB47_1217:
	s_delay_alu instid0(SALU_CYCLE_1)
	s_and_b32 vcc_lo, exec_lo, s11
	s_cbranch_vccz .LBB47_1219
; %bb.1218:
	global_load_u8 v1, v[14:15], off
	s_wait_loadcnt 0x0
	v_lshlrev_b32_e32 v1, 24, v1
	s_delay_alu instid0(VALU_DEP_1) | instskip(NEXT) | instid1(VALU_DEP_1)
	v_and_b32_e32 v3, 0x7f000000, v1
	v_clz_i32_u32_e32 v5, v3
	v_add_nc_u32_e32 v9, 0x1000000, v3
	v_cmp_ne_u32_e32 vcc_lo, 0, v3
	s_delay_alu instid0(VALU_DEP_3) | instskip(NEXT) | instid1(VALU_DEP_1)
	v_min_u32_e32 v5, 32, v5
	v_sub_nc_u32_e64 v5, v5, 4 clamp
	s_delay_alu instid0(VALU_DEP_1) | instskip(NEXT) | instid1(VALU_DEP_1)
	v_dual_lshlrev_b32 v7, v5, v3 :: v_dual_lshlrev_b32 v5, 23, v5
	v_lshrrev_b32_e32 v7, 4, v7
	s_delay_alu instid0(VALU_DEP_1) | instskip(SKIP_1) | instid1(VALU_DEP_2)
	v_sub_nc_u32_e32 v5, v7, v5
	v_ashrrev_i32_e32 v7, 8, v9
	v_add_nc_u32_e32 v5, 0x3c000000, v5
	s_delay_alu instid0(VALU_DEP_1) | instskip(NEXT) | instid1(VALU_DEP_1)
	v_and_or_b32 v5, 0x7f800000, v7, v5
	v_cndmask_b32_e32 v3, 0, v5, vcc_lo
	s_delay_alu instid0(VALU_DEP_1)
	v_and_or_b32 v1, 0x80000000, v1, v3
.LBB47_1219:
	s_mov_b32 s11, 0
.LBB47_1220:
	s_delay_alu instid0(SALU_CYCLE_1)
	s_and_not1_b32 vcc_lo, exec_lo, s11
	s_cbranch_vccnz .LBB47_1222
; %bb.1221:
	global_load_u8 v1, v[14:15], off
	s_wait_loadcnt 0x0
	v_lshlrev_b32_e32 v3, 25, v1
	v_lshlrev_b16 v1, 8, v1
	s_delay_alu instid0(VALU_DEP_1) | instskip(SKIP_1) | instid1(VALU_DEP_2)
	v_and_or_b32 v7, 0x7f00, v1, 0.5
	v_bfe_i32 v1, v1, 0, 16
	v_add_f32_e32 v7, -0.5, v7
	v_lshrrev_b32_e32 v5, 4, v3
	v_cmp_gt_u32_e32 vcc_lo, 0x8000000, v3
	s_delay_alu instid0(VALU_DEP_2) | instskip(NEXT) | instid1(VALU_DEP_1)
	v_or_b32_e32 v5, 0x70000000, v5
	v_mul_f32_e32 v5, 0x7800000, v5
	s_delay_alu instid0(VALU_DEP_1) | instskip(NEXT) | instid1(VALU_DEP_1)
	v_cndmask_b32_e32 v3, v5, v7, vcc_lo
	v_and_or_b32 v1, 0x80000000, v1, v3
.LBB47_1222:
	s_mov_b32 s12, -1
	s_mov_b32 s11, 0
	s_cbranch_execnz .LBB47_1233
.LBB47_1223:
	s_cmp_gt_i32 s1, 14
	s_cbranch_scc0 .LBB47_1226
; %bb.1224:
	s_cmp_eq_u32 s1, 15
	s_cbranch_scc0 .LBB47_1229
; %bb.1225:
	global_load_u16 v1, v[14:15], off
	s_mov_b32 s10, 0
	s_mov_b32 s12, -1
	s_wait_loadcnt 0x0
	v_lshlrev_b32_e32 v1, 16, v1
	s_branch .LBB47_1231
.LBB47_1226:
	s_mov_b32 s11, -1
	s_branch .LBB47_1230
.LBB47_1227:
	s_or_saveexec_b32 s12, s12
	v_mov_b32_e32 v1, 0x7f800001
	s_xor_b32 exec_lo, exec_lo, s12
	s_cbranch_execz .LBB47_1209
.LBB47_1228:
	v_cmp_ne_u16_e32 vcc_lo, 0, v3
	v_mov_b32_e32 v1, 0
	s_and_not1_b32 s11, s11, exec_lo
	s_and_b32 s13, vcc_lo, exec_lo
	s_delay_alu instid0(SALU_CYCLE_1)
	s_or_b32 s11, s11, s13
	s_or_b32 exec_lo, exec_lo, s12
	s_and_saveexec_b32 s12, s11
	s_cbranch_execnz .LBB47_1210
	s_branch .LBB47_1211
.LBB47_1229:
	s_mov_b32 s10, -1
.LBB47_1230:
                                        ; implicit-def: $vgpr1
.LBB47_1231:
	s_and_b32 vcc_lo, exec_lo, s11
	s_mov_b32 s11, 0
	s_cbranch_vccz .LBB47_1233
; %bb.1232:
	s_cmp_lg_u32 s1, 11
	s_mov_b32 s11, -1
	s_cselect_b32 s10, -1, 0
.LBB47_1233:
	s_delay_alu instid0(SALU_CYCLE_1)
	s_and_b32 vcc_lo, exec_lo, s10
	s_mov_b32 s10, s8
	s_cbranch_vccnz .LBB47_1294
; %bb.1234:
	s_and_not1_b32 vcc_lo, exec_lo, s11
	s_cbranch_vccnz .LBB47_1236
.LBB47_1235:
	global_load_u8 v1, v[14:15], off
	s_mov_b32 s12, -1
	s_wait_loadcnt 0x0
	v_cmp_ne_u16_e32 vcc_lo, 0, v1
	v_cndmask_b32_e64 v1, 0, 1.0, vcc_lo
.LBB47_1236:
	s_branch .LBB47_1165
.LBB47_1237:
	s_and_b32 s1, 0xffff, s0
	s_delay_alu instid0(SALU_CYCLE_1)
	s_cmp_lt_i32 s1, 5
	s_cbranch_scc1 .LBB47_1242
; %bb.1238:
	s_cmp_lt_i32 s1, 8
	s_cbranch_scc1 .LBB47_1243
; %bb.1239:
	;; [unrolled: 3-line block ×3, first 2 shown]
	s_cmp_gt_i32 s1, 9
	s_cbranch_scc0 .LBB47_1245
; %bb.1241:
	global_load_b64 v[16:17], v[14:15], off
	s_mov_b32 s11, 0
	s_wait_loadcnt 0x0
	v_cvt_f32_f64_e32 v1, v[16:17]
	s_branch .LBB47_1246
.LBB47_1242:
                                        ; implicit-def: $vgpr1
	s_branch .LBB47_1263
.LBB47_1243:
                                        ; implicit-def: $vgpr1
	s_branch .LBB47_1252
.LBB47_1244:
	s_mov_b32 s11, -1
                                        ; implicit-def: $vgpr1
	s_branch .LBB47_1249
.LBB47_1245:
	s_mov_b32 s11, -1
                                        ; implicit-def: $vgpr1
.LBB47_1246:
	s_delay_alu instid0(SALU_CYCLE_1)
	s_and_not1_b32 vcc_lo, exec_lo, s11
	s_cbranch_vccnz .LBB47_1248
; %bb.1247:
	global_load_b32 v1, v[14:15], off
.LBB47_1248:
	s_mov_b32 s11, 0
.LBB47_1249:
	s_delay_alu instid0(SALU_CYCLE_1)
	s_and_not1_b32 vcc_lo, exec_lo, s11
	s_cbranch_vccnz .LBB47_1251
; %bb.1250:
	s_wait_loadcnt 0x0
	global_load_b32 v1, v[14:15], off
	s_wait_loadcnt 0x0
	v_cvt_f32_f16_e32 v1, v1
.LBB47_1251:
	s_cbranch_execnz .LBB47_1262
.LBB47_1252:
	s_cmp_lt_i32 s1, 6
	s_cbranch_scc1 .LBB47_1255
; %bb.1253:
	s_cmp_gt_i32 s1, 6
	s_cbranch_scc0 .LBB47_1256
; %bb.1254:
	global_load_b64 v[16:17], v[14:15], off
	s_mov_b32 s11, 0
	s_wait_loadcnt 0x0
	v_cvt_f32_f64_e32 v1, v[16:17]
	s_branch .LBB47_1257
.LBB47_1255:
	s_mov_b32 s11, -1
                                        ; implicit-def: $vgpr1
	s_branch .LBB47_1260
.LBB47_1256:
	s_mov_b32 s11, -1
                                        ; implicit-def: $vgpr1
.LBB47_1257:
	s_delay_alu instid0(SALU_CYCLE_1)
	s_and_not1_b32 vcc_lo, exec_lo, s11
	s_cbranch_vccnz .LBB47_1259
; %bb.1258:
	s_wait_loadcnt 0x0
	global_load_b32 v1, v[14:15], off
.LBB47_1259:
	s_mov_b32 s11, 0
.LBB47_1260:
	s_delay_alu instid0(SALU_CYCLE_1)
	s_and_not1_b32 vcc_lo, exec_lo, s11
	s_cbranch_vccnz .LBB47_1262
; %bb.1261:
	s_wait_loadcnt 0x0
	global_load_u16 v1, v[14:15], off
	s_wait_loadcnt 0x0
	v_cvt_f32_f16_e32 v1, v1
.LBB47_1262:
	s_cbranch_execnz .LBB47_1281
.LBB47_1263:
	s_cmp_lt_i32 s1, 2
	s_cbranch_scc1 .LBB47_1267
; %bb.1264:
	s_cmp_lt_i32 s1, 3
	s_cbranch_scc1 .LBB47_1268
; %bb.1265:
	s_cmp_gt_i32 s1, 3
	s_cbranch_scc0 .LBB47_1269
; %bb.1266:
	global_load_b64 v[16:17], v[14:15], off
	s_mov_b32 s11, 0
	s_wait_loadcnt 0x0
	v_xor_b32_e32 v1, v16, v17
	v_cls_i32_e32 v3, v17
	s_delay_alu instid0(VALU_DEP_2) | instskip(NEXT) | instid1(VALU_DEP_1)
	v_ashrrev_i32_e32 v1, 31, v1
	v_add_nc_u32_e32 v1, 32, v1
	s_delay_alu instid0(VALU_DEP_1) | instskip(NEXT) | instid1(VALU_DEP_1)
	v_add_min_u32_e64 v1, v3, -1, v1
	v_lshlrev_b64_e32 v[16:17], v1, v[16:17]
	v_sub_nc_u32_e32 v1, 32, v1
	s_delay_alu instid0(VALU_DEP_2) | instskip(NEXT) | instid1(VALU_DEP_1)
	v_min_u32_e32 v3, 1, v16
	v_or_b32_e32 v3, v17, v3
	s_delay_alu instid0(VALU_DEP_1) | instskip(NEXT) | instid1(VALU_DEP_1)
	v_cvt_f32_i32_e32 v3, v3
	v_ldexp_f32 v1, v3, v1
	s_branch .LBB47_1270
.LBB47_1267:
                                        ; implicit-def: $vgpr1
	s_branch .LBB47_1276
.LBB47_1268:
	s_mov_b32 s11, -1
                                        ; implicit-def: $vgpr1
	s_branch .LBB47_1273
.LBB47_1269:
	s_mov_b32 s11, -1
                                        ; implicit-def: $vgpr1
.LBB47_1270:
	s_delay_alu instid0(SALU_CYCLE_1)
	s_and_not1_b32 vcc_lo, exec_lo, s11
	s_cbranch_vccnz .LBB47_1272
; %bb.1271:
	s_wait_loadcnt 0x0
	global_load_b32 v1, v[14:15], off
	s_wait_loadcnt 0x0
	v_cvt_f32_i32_e32 v1, v1
.LBB47_1272:
	s_mov_b32 s11, 0
.LBB47_1273:
	s_delay_alu instid0(SALU_CYCLE_1)
	s_and_not1_b32 vcc_lo, exec_lo, s11
	s_cbranch_vccnz .LBB47_1275
; %bb.1274:
	s_wait_loadcnt 0x0
	global_load_i16 v1, v[14:15], off
	s_wait_loadcnt 0x0
	v_cvt_f32_i32_e32 v1, v1
.LBB47_1275:
	s_cbranch_execnz .LBB47_1281
.LBB47_1276:
	s_cmp_gt_i32 s1, 0
	s_mov_b32 s1, 0
	s_cbranch_scc0 .LBB47_1278
; %bb.1277:
	s_wait_loadcnt 0x0
	global_load_i8 v1, v[14:15], off
	s_wait_loadcnt 0x0
	v_cvt_f32_i32_e32 v1, v1
	s_branch .LBB47_1279
.LBB47_1278:
	s_mov_b32 s1, -1
                                        ; implicit-def: $vgpr1
.LBB47_1279:
	s_delay_alu instid0(SALU_CYCLE_1)
	s_and_not1_b32 vcc_lo, exec_lo, s1
	s_cbranch_vccnz .LBB47_1281
; %bb.1280:
	s_wait_loadcnt 0x0
	global_load_u8 v1, v[14:15], off
	s_wait_loadcnt 0x0
	v_cvt_f32_ubyte0_e32 v1, v1
.LBB47_1281:
.LBB47_1282:
	v_mov_b32_e32 v13, 0
	s_and_b32 s0, 0xffff, s0
	s_delay_alu instid0(SALU_CYCLE_1) | instskip(NEXT) | instid1(VALU_DEP_1)
	s_cmp_lt_i32 s0, 11
	v_add_nc_u64_e32 v[12:13], s[6:7], v[12:13]
	s_cbranch_scc1 .LBB47_1289
; %bb.1283:
	s_cmp_gt_i32 s0, 25
	s_mov_b32 s11, 0
	s_cbranch_scc0 .LBB47_1291
; %bb.1284:
	s_cmp_gt_i32 s0, 28
	s_cbranch_scc0 .LBB47_1292
; %bb.1285:
	s_cmp_gt_i32 s0, 43
	;; [unrolled: 3-line block ×3, first 2 shown]
	s_cbranch_scc0 .LBB47_1295
; %bb.1287:
	s_cmp_eq_u32 s0, 46
	s_mov_b32 s13, 0
	s_cbranch_scc0 .LBB47_1298
; %bb.1288:
	global_load_b32 v3, v[12:13], off
	s_mov_b32 s1, 0
	s_mov_b32 s12, -1
	s_wait_loadcnt 0x0
	v_lshlrev_b32_e32 v3, 16, v3
	s_branch .LBB47_1300
.LBB47_1289:
	s_mov_b32 s12, 0
                                        ; implicit-def: $vgpr3
	s_cbranch_execnz .LBB47_1365
.LBB47_1290:
	s_and_not1_b32 vcc_lo, exec_lo, s12
	s_cbranch_vccnz .LBB47_2106
	s_branch .LBB47_1412
.LBB47_1291:
	s_mov_b32 s12, 0
	s_mov_b32 s1, 0
                                        ; implicit-def: $vgpr3
	s_cbranch_execnz .LBB47_1329
	s_branch .LBB47_1361
.LBB47_1292:
	s_mov_b32 s13, -1
	s_mov_b32 s12, 0
	s_mov_b32 s1, 0
                                        ; implicit-def: $vgpr3
	s_branch .LBB47_1310
.LBB47_1293:
	s_mov_b32 s13, -1
	s_mov_b32 s12, 0
	s_mov_b32 s1, 0
                                        ; implicit-def: $vgpr3
	s_branch .LBB47_1305
.LBB47_1294:
	s_or_b32 s10, s8, exec_lo
	s_trap 2
	s_cbranch_execz .LBB47_1235
	s_branch .LBB47_1236
.LBB47_1295:
	s_mov_b32 s13, -1
	s_mov_b32 s12, 0
	s_mov_b32 s1, 0
	s_branch .LBB47_1299
.LBB47_1296:
	s_and_not1_saveexec_b32 s11, s11
	s_cbranch_execz .LBB47_1021
.LBB47_1297:
	v_add_f32_e32 v2, 0x42800000, v3
	s_and_not1_b32 s10, s10, exec_lo
	s_delay_alu instid0(VALU_DEP_1) | instskip(NEXT) | instid1(VALU_DEP_1)
	v_and_b32_e32 v2, 0xff, v2
	v_cmp_ne_u32_e32 vcc_lo, 0, v2
	s_and_b32 s12, vcc_lo, exec_lo
	s_delay_alu instid0(SALU_CYCLE_1)
	s_or_b32 s10, s10, s12
	s_or_b32 exec_lo, exec_lo, s11
	v_mov_b32_e32 v4, 0
	s_and_saveexec_b32 s11, s10
	s_cbranch_execnz .LBB47_1022
	s_branch .LBB47_1023
.LBB47_1298:
	s_mov_b32 s1, -1
	s_mov_b32 s12, 0
.LBB47_1299:
                                        ; implicit-def: $vgpr3
.LBB47_1300:
	s_and_b32 vcc_lo, exec_lo, s13
	s_cbranch_vccz .LBB47_1304
; %bb.1301:
	s_cmp_eq_u32 s0, 44
	s_cbranch_scc0 .LBB47_1303
; %bb.1302:
	global_load_u8 v3, v[12:13], off
	s_mov_b32 s1, 0
	s_mov_b32 s12, -1
	s_wait_loadcnt 0x0
	v_lshlrev_b32_e32 v5, 23, v3
	v_cmp_ne_u32_e32 vcc_lo, 0xff, v3
	s_delay_alu instid0(VALU_DEP_2) | instskip(SKIP_1) | instid1(VALU_DEP_2)
	v_cndmask_b32_e32 v5, 0x7f800001, v5, vcc_lo
	v_cmp_ne_u32_e32 vcc_lo, 0, v3
	v_cndmask_b32_e32 v3, 0x400000, v5, vcc_lo
	s_branch .LBB47_1304
.LBB47_1303:
	s_mov_b32 s1, -1
                                        ; implicit-def: $vgpr3
.LBB47_1304:
	s_mov_b32 s13, 0
.LBB47_1305:
	s_delay_alu instid0(SALU_CYCLE_1)
	s_and_b32 vcc_lo, exec_lo, s13
	s_cbranch_vccz .LBB47_1309
; %bb.1306:
	s_cmp_eq_u32 s0, 29
	s_cbranch_scc0 .LBB47_1308
; %bb.1307:
	global_load_b64 v[14:15], v[12:13], off
	s_mov_b32 s1, 0
	s_mov_b32 s12, -1
	s_mov_b32 s13, 0
	s_wait_loadcnt 0x0
	v_clz_i32_u32_e32 v3, v15
	s_delay_alu instid0(VALU_DEP_1) | instskip(NEXT) | instid1(VALU_DEP_1)
	v_min_u32_e32 v3, 32, v3
	v_lshlrev_b64_e32 v[14:15], v3, v[14:15]
	v_sub_nc_u32_e32 v3, 32, v3
	s_delay_alu instid0(VALU_DEP_2) | instskip(NEXT) | instid1(VALU_DEP_1)
	v_min_u32_e32 v5, 1, v14
	v_or_b32_e32 v5, v15, v5
	s_delay_alu instid0(VALU_DEP_1) | instskip(NEXT) | instid1(VALU_DEP_1)
	v_cvt_f32_u32_e32 v5, v5
	v_ldexp_f32 v3, v5, v3
	s_branch .LBB47_1310
.LBB47_1308:
	s_mov_b32 s1, -1
                                        ; implicit-def: $vgpr3
.LBB47_1309:
	s_mov_b32 s13, 0
.LBB47_1310:
	s_delay_alu instid0(SALU_CYCLE_1)
	s_and_b32 vcc_lo, exec_lo, s13
	s_cbranch_vccz .LBB47_1328
; %bb.1311:
	s_cmp_lt_i32 s0, 27
	s_cbranch_scc1 .LBB47_1314
; %bb.1312:
	s_cmp_gt_i32 s0, 27
	s_cbranch_scc0 .LBB47_1315
; %bb.1313:
	global_load_b32 v3, v[12:13], off
	s_mov_b32 s12, 0
	s_wait_loadcnt 0x0
	v_cvt_f32_u32_e32 v3, v3
	s_branch .LBB47_1316
.LBB47_1314:
	s_mov_b32 s12, -1
                                        ; implicit-def: $vgpr3
	s_branch .LBB47_1319
.LBB47_1315:
	s_mov_b32 s12, -1
                                        ; implicit-def: $vgpr3
.LBB47_1316:
	s_delay_alu instid0(SALU_CYCLE_1)
	s_and_not1_b32 vcc_lo, exec_lo, s12
	s_cbranch_vccnz .LBB47_1318
; %bb.1317:
	global_load_u16 v3, v[12:13], off
	s_wait_loadcnt 0x0
	v_cvt_f32_u32_e32 v3, v3
.LBB47_1318:
	s_mov_b32 s12, 0
.LBB47_1319:
	s_delay_alu instid0(SALU_CYCLE_1)
	s_and_not1_b32 vcc_lo, exec_lo, s12
	s_cbranch_vccnz .LBB47_1327
; %bb.1320:
	global_load_u8 v5, v[12:13], off
	s_mov_b32 s12, 0
	s_mov_b32 s13, exec_lo
	s_wait_loadcnt 0x0
	v_cmpx_lt_i16_e32 0x7f, v5
	s_xor_b32 s13, exec_lo, s13
	s_cbranch_execz .LBB47_1340
; %bb.1321:
	s_mov_b32 s12, -1
	s_mov_b32 s14, exec_lo
	v_cmpx_eq_u16_e32 0x80, v5
; %bb.1322:
	s_xor_b32 s12, exec_lo, -1
; %bb.1323:
	s_or_b32 exec_lo, exec_lo, s14
	s_delay_alu instid0(SALU_CYCLE_1)
	s_and_b32 s12, s12, exec_lo
	s_or_saveexec_b32 s13, s13
	v_mov_b32_e32 v3, 0x7f800001
	s_xor_b32 exec_lo, exec_lo, s13
	s_cbranch_execnz .LBB47_1341
.LBB47_1324:
	s_or_b32 exec_lo, exec_lo, s13
	s_and_saveexec_b32 s13, s12
	s_cbranch_execz .LBB47_1326
.LBB47_1325:
	v_and_b32_e32 v3, 0xffff, v5
	s_delay_alu instid0(VALU_DEP_1) | instskip(SKIP_1) | instid1(VALU_DEP_2)
	v_and_b32_e32 v7, 7, v3
	v_bfe_u32 v14, v3, 3, 4
	v_clz_i32_u32_e32 v9, v7
	s_delay_alu instid0(VALU_DEP_2) | instskip(NEXT) | instid1(VALU_DEP_2)
	v_cmp_eq_u32_e32 vcc_lo, 0, v14
	v_min_u32_e32 v9, 32, v9
	s_delay_alu instid0(VALU_DEP_1) | instskip(NEXT) | instid1(VALU_DEP_1)
	v_subrev_nc_u32_e32 v11, 28, v9
	v_dual_lshlrev_b32 v3, v11, v3 :: v_dual_sub_nc_u32 v9, 29, v9
	s_delay_alu instid0(VALU_DEP_1) | instskip(NEXT) | instid1(VALU_DEP_1)
	v_dual_lshlrev_b32 v5, 24, v5 :: v_dual_bitop2_b32 v3, 7, v3 bitop3:0x40
	v_dual_cndmask_b32 v3, v7, v3, vcc_lo :: v_dual_cndmask_b32 v9, v14, v9, vcc_lo
	s_delay_alu instid0(VALU_DEP_2) | instskip(NEXT) | instid1(VALU_DEP_2)
	v_and_b32_e32 v5, 0x80000000, v5
	v_lshlrev_b32_e32 v3, 20, v3
	s_delay_alu instid0(VALU_DEP_3) | instskip(NEXT) | instid1(VALU_DEP_1)
	v_lshl_add_u32 v7, v9, 23, 0x3b800000
	v_or3_b32 v3, v5, v7, v3
.LBB47_1326:
	s_or_b32 exec_lo, exec_lo, s13
.LBB47_1327:
	s_mov_b32 s12, -1
.LBB47_1328:
	s_branch .LBB47_1361
.LBB47_1329:
	s_cmp_gt_i32 s0, 22
	s_cbranch_scc0 .LBB47_1339
; %bb.1330:
	s_cmp_lt_i32 s0, 24
	s_cbranch_scc1 .LBB47_1342
; %bb.1331:
	s_cmp_gt_i32 s0, 24
	s_cbranch_scc0 .LBB47_1343
; %bb.1332:
	global_load_u8 v5, v[12:13], off
	s_mov_b32 s12, exec_lo
	s_wait_loadcnt 0x0
	v_cmpx_lt_i16_e32 0x7f, v5
	s_xor_b32 s12, exec_lo, s12
	s_cbranch_execz .LBB47_1355
; %bb.1333:
	s_mov_b32 s11, -1
	s_mov_b32 s13, exec_lo
	v_cmpx_eq_u16_e32 0x80, v5
; %bb.1334:
	s_xor_b32 s11, exec_lo, -1
; %bb.1335:
	s_or_b32 exec_lo, exec_lo, s13
	s_delay_alu instid0(SALU_CYCLE_1)
	s_and_b32 s11, s11, exec_lo
	s_or_saveexec_b32 s12, s12
	v_mov_b32_e32 v3, 0x7f800001
	s_xor_b32 exec_lo, exec_lo, s12
	s_cbranch_execnz .LBB47_1356
.LBB47_1336:
	s_or_b32 exec_lo, exec_lo, s12
	s_and_saveexec_b32 s12, s11
	s_cbranch_execz .LBB47_1338
.LBB47_1337:
	v_and_b32_e32 v3, 0xffff, v5
	s_delay_alu instid0(VALU_DEP_1) | instskip(SKIP_1) | instid1(VALU_DEP_2)
	v_and_b32_e32 v7, 3, v3
	v_bfe_u32 v14, v3, 2, 5
	v_clz_i32_u32_e32 v9, v7
	s_delay_alu instid0(VALU_DEP_2) | instskip(NEXT) | instid1(VALU_DEP_2)
	v_cmp_eq_u32_e32 vcc_lo, 0, v14
	v_min_u32_e32 v9, 32, v9
	s_delay_alu instid0(VALU_DEP_1) | instskip(NEXT) | instid1(VALU_DEP_1)
	v_subrev_nc_u32_e32 v11, 29, v9
	v_dual_lshlrev_b32 v3, v11, v3 :: v_dual_sub_nc_u32 v9, 30, v9
	s_delay_alu instid0(VALU_DEP_1) | instskip(NEXT) | instid1(VALU_DEP_1)
	v_dual_lshlrev_b32 v5, 24, v5 :: v_dual_bitop2_b32 v3, 3, v3 bitop3:0x40
	v_dual_cndmask_b32 v3, v7, v3, vcc_lo :: v_dual_cndmask_b32 v9, v14, v9, vcc_lo
	s_delay_alu instid0(VALU_DEP_2) | instskip(NEXT) | instid1(VALU_DEP_2)
	v_and_b32_e32 v5, 0x80000000, v5
	v_lshlrev_b32_e32 v3, 21, v3
	s_delay_alu instid0(VALU_DEP_3) | instskip(NEXT) | instid1(VALU_DEP_1)
	v_lshl_add_u32 v7, v9, 23, 0x37800000
	v_or3_b32 v3, v5, v7, v3
.LBB47_1338:
	s_or_b32 exec_lo, exec_lo, s12
	s_mov_b32 s11, 0
	s_branch .LBB47_1344
.LBB47_1339:
	s_mov_b32 s11, -1
                                        ; implicit-def: $vgpr3
	s_branch .LBB47_1350
.LBB47_1340:
	s_or_saveexec_b32 s13, s13
	v_mov_b32_e32 v3, 0x7f800001
	s_xor_b32 exec_lo, exec_lo, s13
	s_cbranch_execz .LBB47_1324
.LBB47_1341:
	v_cmp_ne_u16_e32 vcc_lo, 0, v5
	v_mov_b32_e32 v3, 0
	s_and_not1_b32 s12, s12, exec_lo
	s_and_b32 s14, vcc_lo, exec_lo
	s_delay_alu instid0(SALU_CYCLE_1)
	s_or_b32 s12, s12, s14
	s_or_b32 exec_lo, exec_lo, s13
	s_and_saveexec_b32 s13, s12
	s_cbranch_execnz .LBB47_1325
	s_branch .LBB47_1326
.LBB47_1342:
	s_mov_b32 s11, -1
                                        ; implicit-def: $vgpr3
	s_branch .LBB47_1347
.LBB47_1343:
	s_mov_b32 s11, -1
                                        ; implicit-def: $vgpr3
.LBB47_1344:
	s_delay_alu instid0(SALU_CYCLE_1)
	s_and_b32 vcc_lo, exec_lo, s11
	s_cbranch_vccz .LBB47_1346
; %bb.1345:
	global_load_u8 v3, v[12:13], off
	s_wait_loadcnt 0x0
	v_lshlrev_b32_e32 v3, 24, v3
	s_delay_alu instid0(VALU_DEP_1) | instskip(NEXT) | instid1(VALU_DEP_1)
	v_and_b32_e32 v5, 0x7f000000, v3
	v_clz_i32_u32_e32 v7, v5
	v_add_nc_u32_e32 v11, 0x1000000, v5
	v_cmp_ne_u32_e32 vcc_lo, 0, v5
	s_delay_alu instid0(VALU_DEP_3) | instskip(NEXT) | instid1(VALU_DEP_1)
	v_min_u32_e32 v7, 32, v7
	v_sub_nc_u32_e64 v7, v7, 4 clamp
	s_delay_alu instid0(VALU_DEP_1) | instskip(NEXT) | instid1(VALU_DEP_1)
	v_dual_lshlrev_b32 v9, v7, v5 :: v_dual_lshlrev_b32 v7, 23, v7
	v_lshrrev_b32_e32 v9, 4, v9
	s_delay_alu instid0(VALU_DEP_1) | instskip(SKIP_1) | instid1(VALU_DEP_2)
	v_sub_nc_u32_e32 v7, v9, v7
	v_ashrrev_i32_e32 v9, 8, v11
	v_add_nc_u32_e32 v7, 0x3c000000, v7
	s_delay_alu instid0(VALU_DEP_1) | instskip(NEXT) | instid1(VALU_DEP_1)
	v_and_or_b32 v7, 0x7f800000, v9, v7
	v_cndmask_b32_e32 v5, 0, v7, vcc_lo
	s_delay_alu instid0(VALU_DEP_1)
	v_and_or_b32 v3, 0x80000000, v3, v5
.LBB47_1346:
	s_mov_b32 s11, 0
.LBB47_1347:
	s_delay_alu instid0(SALU_CYCLE_1)
	s_and_not1_b32 vcc_lo, exec_lo, s11
	s_cbranch_vccnz .LBB47_1349
; %bb.1348:
	global_load_u8 v3, v[12:13], off
	s_wait_loadcnt 0x0
	v_lshlrev_b32_e32 v5, 25, v3
	v_lshlrev_b16 v3, 8, v3
	s_delay_alu instid0(VALU_DEP_1) | instskip(SKIP_1) | instid1(VALU_DEP_2)
	v_and_or_b32 v9, 0x7f00, v3, 0.5
	v_bfe_i32 v3, v3, 0, 16
	v_add_f32_e32 v9, -0.5, v9
	v_lshrrev_b32_e32 v7, 4, v5
	v_cmp_gt_u32_e32 vcc_lo, 0x8000000, v5
	s_delay_alu instid0(VALU_DEP_2) | instskip(NEXT) | instid1(VALU_DEP_1)
	v_or_b32_e32 v7, 0x70000000, v7
	v_mul_f32_e32 v7, 0x7800000, v7
	s_delay_alu instid0(VALU_DEP_1) | instskip(NEXT) | instid1(VALU_DEP_1)
	v_cndmask_b32_e32 v5, v7, v9, vcc_lo
	v_and_or_b32 v3, 0x80000000, v3, v5
.LBB47_1349:
	s_mov_b32 s11, 0
	s_mov_b32 s12, -1
.LBB47_1350:
	s_and_not1_b32 vcc_lo, exec_lo, s11
	s_mov_b32 s11, 0
	s_cbranch_vccnz .LBB47_1361
; %bb.1351:
	s_cmp_gt_i32 s0, 14
	s_cbranch_scc0 .LBB47_1354
; %bb.1352:
	s_cmp_eq_u32 s0, 15
	s_cbranch_scc0 .LBB47_1357
; %bb.1353:
	global_load_u16 v3, v[12:13], off
	s_mov_b32 s1, 0
	s_mov_b32 s12, -1
	s_wait_loadcnt 0x0
	v_lshlrev_b32_e32 v3, 16, v3
	s_branch .LBB47_1359
.LBB47_1354:
	s_mov_b32 s11, -1
	s_branch .LBB47_1358
.LBB47_1355:
	s_or_saveexec_b32 s12, s12
	v_mov_b32_e32 v3, 0x7f800001
	s_xor_b32 exec_lo, exec_lo, s12
	s_cbranch_execz .LBB47_1336
.LBB47_1356:
	v_cmp_ne_u16_e32 vcc_lo, 0, v5
	v_mov_b32_e32 v3, 0
	s_and_not1_b32 s11, s11, exec_lo
	s_and_b32 s13, vcc_lo, exec_lo
	s_delay_alu instid0(SALU_CYCLE_1)
	s_or_b32 s11, s11, s13
	s_or_b32 exec_lo, exec_lo, s12
	s_and_saveexec_b32 s12, s11
	s_cbranch_execnz .LBB47_1337
	s_branch .LBB47_1338
.LBB47_1357:
	s_mov_b32 s1, -1
.LBB47_1358:
                                        ; implicit-def: $vgpr3
.LBB47_1359:
	s_and_b32 vcc_lo, exec_lo, s11
	s_mov_b32 s11, 0
	s_cbranch_vccz .LBB47_1361
; %bb.1360:
	s_cmp_lg_u32 s0, 11
	s_mov_b32 s11, -1
	s_cselect_b32 s1, -1, 0
.LBB47_1361:
	s_delay_alu instid0(SALU_CYCLE_1)
	s_and_b32 vcc_lo, exec_lo, s1
	s_cbranch_vccnz .LBB47_1424
; %bb.1362:
	s_and_not1_b32 vcc_lo, exec_lo, s11
	s_cbranch_vccnz .LBB47_1364
.LBB47_1363:
	global_load_u8 v3, v[12:13], off
	s_mov_b32 s12, -1
	s_wait_loadcnt 0x0
	v_cmp_ne_u16_e32 vcc_lo, 0, v3
	v_cndmask_b32_e64 v3, 0, 1.0, vcc_lo
.LBB47_1364:
	s_branch .LBB47_1290
.LBB47_1365:
	s_cmp_lt_i32 s0, 5
	s_cbranch_scc1 .LBB47_1370
; %bb.1366:
	s_cmp_lt_i32 s0, 8
	s_cbranch_scc1 .LBB47_1371
; %bb.1367:
	;; [unrolled: 3-line block ×3, first 2 shown]
	s_cmp_gt_i32 s0, 9
	s_cbranch_scc0 .LBB47_1373
; %bb.1369:
	global_load_b64 v[14:15], v[12:13], off
	s_mov_b32 s1, 0
	s_wait_loadcnt 0x0
	v_cvt_f32_f64_e32 v3, v[14:15]
	s_branch .LBB47_1374
.LBB47_1370:
                                        ; implicit-def: $vgpr3
	s_branch .LBB47_1392
.LBB47_1371:
	s_mov_b32 s1, -1
                                        ; implicit-def: $vgpr3
	s_branch .LBB47_1380
.LBB47_1372:
	s_mov_b32 s1, -1
                                        ; implicit-def: $vgpr3
	s_branch .LBB47_1377
.LBB47_1373:
	s_mov_b32 s1, -1
                                        ; implicit-def: $vgpr3
.LBB47_1374:
	s_delay_alu instid0(SALU_CYCLE_1)
	s_and_not1_b32 vcc_lo, exec_lo, s1
	s_cbranch_vccnz .LBB47_1376
; %bb.1375:
	global_load_b32 v3, v[12:13], off
.LBB47_1376:
	s_mov_b32 s1, 0
.LBB47_1377:
	s_delay_alu instid0(SALU_CYCLE_1)
	s_and_not1_b32 vcc_lo, exec_lo, s1
	s_cbranch_vccnz .LBB47_1379
; %bb.1378:
	s_wait_loadcnt 0x0
	global_load_b32 v3, v[12:13], off
	s_wait_loadcnt 0x0
	v_cvt_f32_f16_e32 v3, v3
.LBB47_1379:
	s_mov_b32 s1, 0
.LBB47_1380:
	s_delay_alu instid0(SALU_CYCLE_1)
	s_and_not1_b32 vcc_lo, exec_lo, s1
	s_cbranch_vccnz .LBB47_1391
; %bb.1381:
	s_cmp_lt_i32 s0, 6
	s_cbranch_scc1 .LBB47_1384
; %bb.1382:
	s_cmp_gt_i32 s0, 6
	s_cbranch_scc0 .LBB47_1385
; %bb.1383:
	global_load_b64 v[14:15], v[12:13], off
	s_mov_b32 s1, 0
	s_wait_loadcnt 0x0
	v_cvt_f32_f64_e32 v3, v[14:15]
	s_branch .LBB47_1386
.LBB47_1384:
	s_mov_b32 s1, -1
                                        ; implicit-def: $vgpr3
	s_branch .LBB47_1389
.LBB47_1385:
	s_mov_b32 s1, -1
                                        ; implicit-def: $vgpr3
.LBB47_1386:
	s_delay_alu instid0(SALU_CYCLE_1)
	s_and_not1_b32 vcc_lo, exec_lo, s1
	s_cbranch_vccnz .LBB47_1388
; %bb.1387:
	s_wait_loadcnt 0x0
	global_load_b32 v3, v[12:13], off
.LBB47_1388:
	s_mov_b32 s1, 0
.LBB47_1389:
	s_delay_alu instid0(SALU_CYCLE_1)
	s_and_not1_b32 vcc_lo, exec_lo, s1
	s_cbranch_vccnz .LBB47_1391
; %bb.1390:
	s_wait_loadcnt 0x0
	global_load_u16 v3, v[12:13], off
	s_wait_loadcnt 0x0
	v_cvt_f32_f16_e32 v3, v3
.LBB47_1391:
	s_cbranch_execnz .LBB47_1411
.LBB47_1392:
	s_cmp_lt_i32 s0, 2
	s_cbranch_scc1 .LBB47_1396
; %bb.1393:
	s_cmp_lt_i32 s0, 3
	s_cbranch_scc1 .LBB47_1397
; %bb.1394:
	s_cmp_gt_i32 s0, 3
	s_cbranch_scc0 .LBB47_1398
; %bb.1395:
	global_load_b64 v[14:15], v[12:13], off
	s_mov_b32 s1, 0
	s_wait_loadcnt 0x0
	v_xor_b32_e32 v3, v14, v15
	v_cls_i32_e32 v5, v15
	s_delay_alu instid0(VALU_DEP_2) | instskip(NEXT) | instid1(VALU_DEP_1)
	v_ashrrev_i32_e32 v3, 31, v3
	v_add_nc_u32_e32 v3, 32, v3
	s_delay_alu instid0(VALU_DEP_1) | instskip(NEXT) | instid1(VALU_DEP_1)
	v_add_min_u32_e64 v3, v5, -1, v3
	v_lshlrev_b64_e32 v[14:15], v3, v[14:15]
	v_sub_nc_u32_e32 v3, 32, v3
	s_delay_alu instid0(VALU_DEP_2) | instskip(NEXT) | instid1(VALU_DEP_1)
	v_min_u32_e32 v5, 1, v14
	v_or_b32_e32 v5, v15, v5
	s_delay_alu instid0(VALU_DEP_1) | instskip(NEXT) | instid1(VALU_DEP_1)
	v_cvt_f32_i32_e32 v5, v5
	v_ldexp_f32 v3, v5, v3
	s_branch .LBB47_1399
.LBB47_1396:
	s_mov_b32 s1, -1
                                        ; implicit-def: $vgpr3
	s_branch .LBB47_1405
.LBB47_1397:
	s_mov_b32 s1, -1
                                        ; implicit-def: $vgpr3
	s_branch .LBB47_1402
.LBB47_1398:
	s_mov_b32 s1, -1
                                        ; implicit-def: $vgpr3
.LBB47_1399:
	s_delay_alu instid0(SALU_CYCLE_1)
	s_and_not1_b32 vcc_lo, exec_lo, s1
	s_cbranch_vccnz .LBB47_1401
; %bb.1400:
	s_wait_loadcnt 0x0
	global_load_b32 v3, v[12:13], off
	s_wait_loadcnt 0x0
	v_cvt_f32_i32_e32 v3, v3
.LBB47_1401:
	s_mov_b32 s1, 0
.LBB47_1402:
	s_delay_alu instid0(SALU_CYCLE_1)
	s_and_not1_b32 vcc_lo, exec_lo, s1
	s_cbranch_vccnz .LBB47_1404
; %bb.1403:
	s_wait_loadcnt 0x0
	global_load_i16 v3, v[12:13], off
	s_wait_loadcnt 0x0
	v_cvt_f32_i32_e32 v3, v3
.LBB47_1404:
	s_mov_b32 s1, 0
.LBB47_1405:
	s_delay_alu instid0(SALU_CYCLE_1)
	s_and_not1_b32 vcc_lo, exec_lo, s1
	s_cbranch_vccnz .LBB47_1411
; %bb.1406:
	s_cmp_gt_i32 s0, 0
	s_mov_b32 s1, 0
	s_cbranch_scc0 .LBB47_1408
; %bb.1407:
	s_wait_loadcnt 0x0
	global_load_i8 v3, v[12:13], off
	s_wait_loadcnt 0x0
	v_cvt_f32_i32_e32 v3, v3
	s_branch .LBB47_1409
.LBB47_1408:
	s_mov_b32 s1, -1
                                        ; implicit-def: $vgpr3
.LBB47_1409:
	s_delay_alu instid0(SALU_CYCLE_1)
	s_and_not1_b32 vcc_lo, exec_lo, s1
	s_cbranch_vccnz .LBB47_1411
; %bb.1410:
	s_wait_loadcnt 0x0
	global_load_u8 v3, v[12:13], off
	s_wait_loadcnt 0x0
	v_cvt_f32_ubyte0_e32 v3, v3
.LBB47_1411:
.LBB47_1412:
	v_mov_b32_e32 v11, 0
	s_cmp_lt_i32 s0, 11
	s_delay_alu instid0(VALU_DEP_1)
	v_add_nc_u64_e32 v[10:11], s[6:7], v[10:11]
	s_cbranch_scc1 .LBB47_1419
; %bb.1413:
	s_cmp_gt_i32 s0, 25
	s_mov_b32 s11, 0
	s_cbranch_scc0 .LBB47_1421
; %bb.1414:
	s_cmp_gt_i32 s0, 28
	s_cbranch_scc0 .LBB47_1422
; %bb.1415:
	s_cmp_gt_i32 s0, 43
	;; [unrolled: 3-line block ×3, first 2 shown]
	s_cbranch_scc0 .LBB47_1425
; %bb.1417:
	s_cmp_eq_u32 s0, 46
	s_mov_b32 s13, 0
	s_cbranch_scc0 .LBB47_1426
; %bb.1418:
	global_load_b32 v5, v[10:11], off
	s_mov_b32 s1, 0
	s_mov_b32 s12, -1
	s_wait_loadcnt 0x0
	s_wait_xcnt 0x1
	v_lshlrev_b32_e32 v12, 16, v5
	s_branch .LBB47_1428
.LBB47_1419:
	s_mov_b32 s12, 0
                                        ; implicit-def: $vgpr12
	s_cbranch_execnz .LBB47_1494
.LBB47_1420:
	s_and_not1_b32 vcc_lo, exec_lo, s12
	s_cbranch_vccnz .LBB47_2106
	s_branch .LBB47_1542
.LBB47_1421:
	s_mov_b32 s13, -1
	s_mov_b32 s12, 0
	s_mov_b32 s1, 0
                                        ; implicit-def: $vgpr12
	s_branch .LBB47_1457
.LBB47_1422:
	s_mov_b32 s13, -1
	s_mov_b32 s12, 0
	s_mov_b32 s1, 0
                                        ; implicit-def: $vgpr12
	s_branch .LBB47_1438
.LBB47_1423:
	s_mov_b32 s13, -1
	s_mov_b32 s12, 0
	s_mov_b32 s1, 0
                                        ; implicit-def: $vgpr12
	s_branch .LBB47_1433
.LBB47_1424:
	s_or_b32 s10, s10, exec_lo
	s_trap 2
	s_cbranch_execz .LBB47_1363
	s_branch .LBB47_1364
.LBB47_1425:
	s_mov_b32 s13, -1
	s_mov_b32 s12, 0
	s_mov_b32 s1, 0
	s_branch .LBB47_1427
.LBB47_1426:
	s_mov_b32 s1, -1
	s_mov_b32 s12, 0
.LBB47_1427:
                                        ; implicit-def: $vgpr12
.LBB47_1428:
	s_and_b32 vcc_lo, exec_lo, s13
	s_cbranch_vccz .LBB47_1432
; %bb.1429:
	s_cmp_eq_u32 s0, 44
	s_cbranch_scc0 .LBB47_1431
; %bb.1430:
	global_load_u8 v5, v[10:11], off
	s_mov_b32 s1, 0
	s_mov_b32 s12, -1
	s_wait_loadcnt 0x0
	v_lshlrev_b32_e32 v7, 23, v5
	v_cmp_ne_u32_e32 vcc_lo, 0xff, v5
	s_delay_alu instid0(VALU_DEP_2) | instskip(SKIP_2) | instid1(VALU_DEP_2)
	v_cndmask_b32_e32 v7, 0x7f800001, v7, vcc_lo
	v_cmp_ne_u32_e32 vcc_lo, 0, v5
	s_wait_xcnt 0x1
	v_cndmask_b32_e32 v12, 0x400000, v7, vcc_lo
	s_branch .LBB47_1432
.LBB47_1431:
	s_mov_b32 s1, -1
                                        ; implicit-def: $vgpr12
.LBB47_1432:
	s_mov_b32 s13, 0
.LBB47_1433:
	s_delay_alu instid0(SALU_CYCLE_1)
	s_and_b32 vcc_lo, exec_lo, s13
	s_cbranch_vccz .LBB47_1437
; %bb.1434:
	s_cmp_eq_u32 s0, 29
	s_cbranch_scc0 .LBB47_1436
; %bb.1435:
	global_load_b64 v[12:13], v[10:11], off
	s_mov_b32 s1, 0
	s_mov_b32 s12, -1
	s_mov_b32 s13, 0
	s_wait_loadcnt 0x0
	v_clz_i32_u32_e32 v5, v13
	s_delay_alu instid0(VALU_DEP_1) | instskip(NEXT) | instid1(VALU_DEP_1)
	v_min_u32_e32 v5, 32, v5
	v_lshlrev_b64_e32 v[12:13], v5, v[12:13]
	v_sub_nc_u32_e32 v5, 32, v5
	s_delay_alu instid0(VALU_DEP_2) | instskip(NEXT) | instid1(VALU_DEP_1)
	v_min_u32_e32 v7, 1, v12
	v_or_b32_e32 v7, v13, v7
	s_delay_alu instid0(VALU_DEP_1) | instskip(NEXT) | instid1(VALU_DEP_1)
	v_cvt_f32_u32_e32 v7, v7
	v_ldexp_f32 v12, v7, v5
	s_branch .LBB47_1438
.LBB47_1436:
	s_mov_b32 s1, -1
                                        ; implicit-def: $vgpr12
.LBB47_1437:
	s_mov_b32 s13, 0
.LBB47_1438:
	s_delay_alu instid0(SALU_CYCLE_1)
	s_and_b32 vcc_lo, exec_lo, s13
	s_cbranch_vccz .LBB47_1456
; %bb.1439:
	s_cmp_lt_i32 s0, 27
	s_cbranch_scc1 .LBB47_1442
; %bb.1440:
	s_cmp_gt_i32 s0, 27
	s_cbranch_scc0 .LBB47_1443
; %bb.1441:
	global_load_b32 v5, v[10:11], off
	s_mov_b32 s12, 0
	s_wait_loadcnt 0x0
	s_wait_xcnt 0x1
	v_cvt_f32_u32_e32 v12, v5
	s_branch .LBB47_1444
.LBB47_1442:
	s_mov_b32 s12, -1
                                        ; implicit-def: $vgpr12
	s_branch .LBB47_1447
.LBB47_1443:
	s_mov_b32 s12, -1
                                        ; implicit-def: $vgpr12
.LBB47_1444:
	s_delay_alu instid0(SALU_CYCLE_1)
	s_and_not1_b32 vcc_lo, exec_lo, s12
	s_cbranch_vccnz .LBB47_1446
; %bb.1445:
	global_load_u16 v5, v[10:11], off
	s_wait_loadcnt 0x0
	s_wait_xcnt 0x1
	v_cvt_f32_u32_e32 v12, v5
.LBB47_1446:
	s_mov_b32 s12, 0
.LBB47_1447:
	s_delay_alu instid0(SALU_CYCLE_1)
	s_and_not1_b32 vcc_lo, exec_lo, s12
	s_cbranch_vccnz .LBB47_1455
; %bb.1448:
	global_load_u8 v5, v[10:11], off
	s_mov_b32 s12, 0
	s_mov_b32 s13, exec_lo
	s_wait_loadcnt 0x0
	v_cmpx_lt_i16_e32 0x7f, v5
	s_xor_b32 s13, exec_lo, s13
	s_cbranch_execz .LBB47_1469
; %bb.1449:
	s_mov_b32 s12, -1
	s_mov_b32 s14, exec_lo
	v_cmpx_eq_u16_e32 0x80, v5
; %bb.1450:
	s_xor_b32 s12, exec_lo, -1
; %bb.1451:
	s_or_b32 exec_lo, exec_lo, s14
	s_delay_alu instid0(SALU_CYCLE_1)
	s_and_b32 s12, s12, exec_lo
	s_or_saveexec_b32 s13, s13
	v_mov_b32_e32 v12, 0x7f800001
	s_xor_b32 exec_lo, exec_lo, s13
	s_cbranch_execnz .LBB47_1470
.LBB47_1452:
	s_or_b32 exec_lo, exec_lo, s13
	s_and_saveexec_b32 s13, s12
	s_cbranch_execz .LBB47_1454
.LBB47_1453:
	v_and_b32_e32 v7, 0xffff, v5
	s_delay_alu instid0(VALU_DEP_1) | instskip(SKIP_1) | instid1(VALU_DEP_2)
	v_and_b32_e32 v9, 7, v7
	v_bfe_u32 v14, v7, 3, 4
	v_clz_i32_u32_e32 v12, v9
	s_delay_alu instid0(VALU_DEP_2) | instskip(NEXT) | instid1(VALU_DEP_2)
	v_cmp_eq_u32_e32 vcc_lo, 0, v14
	v_min_u32_e32 v12, 32, v12
	s_delay_alu instid0(VALU_DEP_1) | instskip(NEXT) | instid1(VALU_DEP_1)
	v_subrev_nc_u32_e32 v13, 28, v12
	v_dual_lshlrev_b32 v7, v13, v7 :: v_dual_sub_nc_u32 v12, 29, v12
	s_delay_alu instid0(VALU_DEP_1) | instskip(NEXT) | instid1(VALU_DEP_1)
	v_dual_lshlrev_b32 v5, 24, v5 :: v_dual_bitop2_b32 v7, 7, v7 bitop3:0x40
	v_dual_cndmask_b32 v12, v14, v12 :: v_dual_cndmask_b32 v7, v9, v7
	s_delay_alu instid0(VALU_DEP_2) | instskip(NEXT) | instid1(VALU_DEP_2)
	v_and_b32_e32 v5, 0x80000000, v5
	v_lshl_add_u32 v9, v12, 23, 0x3b800000
	s_delay_alu instid0(VALU_DEP_3) | instskip(NEXT) | instid1(VALU_DEP_1)
	v_lshlrev_b32_e32 v7, 20, v7
	v_or3_b32 v12, v5, v9, v7
.LBB47_1454:
	s_or_b32 exec_lo, exec_lo, s13
.LBB47_1455:
	s_mov_b32 s12, -1
.LBB47_1456:
	s_mov_b32 s13, 0
.LBB47_1457:
	s_delay_alu instid0(SALU_CYCLE_1)
	s_and_b32 vcc_lo, exec_lo, s13
	s_cbranch_vccz .LBB47_1490
; %bb.1458:
	s_cmp_gt_i32 s0, 22
	s_cbranch_scc0 .LBB47_1468
; %bb.1459:
	s_cmp_lt_i32 s0, 24
	s_cbranch_scc1 .LBB47_1471
; %bb.1460:
	s_cmp_gt_i32 s0, 24
	s_cbranch_scc0 .LBB47_1472
; %bb.1461:
	global_load_u8 v5, v[10:11], off
	s_mov_b32 s12, exec_lo
	s_wait_loadcnt 0x0
	v_cmpx_lt_i16_e32 0x7f, v5
	s_xor_b32 s12, exec_lo, s12
	s_cbranch_execz .LBB47_1484
; %bb.1462:
	s_mov_b32 s11, -1
	s_mov_b32 s13, exec_lo
	v_cmpx_eq_u16_e32 0x80, v5
; %bb.1463:
	s_xor_b32 s11, exec_lo, -1
; %bb.1464:
	s_or_b32 exec_lo, exec_lo, s13
	s_delay_alu instid0(SALU_CYCLE_1)
	s_and_b32 s11, s11, exec_lo
	s_or_saveexec_b32 s12, s12
	v_mov_b32_e32 v12, 0x7f800001
	s_xor_b32 exec_lo, exec_lo, s12
	s_cbranch_execnz .LBB47_1485
.LBB47_1465:
	s_or_b32 exec_lo, exec_lo, s12
	s_and_saveexec_b32 s12, s11
	s_cbranch_execz .LBB47_1467
.LBB47_1466:
	v_and_b32_e32 v7, 0xffff, v5
	s_delay_alu instid0(VALU_DEP_1) | instskip(SKIP_1) | instid1(VALU_DEP_2)
	v_and_b32_e32 v9, 3, v7
	v_bfe_u32 v14, v7, 2, 5
	v_clz_i32_u32_e32 v12, v9
	s_delay_alu instid0(VALU_DEP_2) | instskip(NEXT) | instid1(VALU_DEP_2)
	v_cmp_eq_u32_e32 vcc_lo, 0, v14
	v_min_u32_e32 v12, 32, v12
	s_delay_alu instid0(VALU_DEP_1) | instskip(NEXT) | instid1(VALU_DEP_1)
	v_subrev_nc_u32_e32 v13, 29, v12
	v_dual_lshlrev_b32 v7, v13, v7 :: v_dual_sub_nc_u32 v12, 30, v12
	s_delay_alu instid0(VALU_DEP_1) | instskip(NEXT) | instid1(VALU_DEP_1)
	v_dual_lshlrev_b32 v5, 24, v5 :: v_dual_bitop2_b32 v7, 3, v7 bitop3:0x40
	v_dual_cndmask_b32 v12, v14, v12 :: v_dual_cndmask_b32 v7, v9, v7
	s_delay_alu instid0(VALU_DEP_2) | instskip(NEXT) | instid1(VALU_DEP_2)
	v_and_b32_e32 v5, 0x80000000, v5
	v_lshl_add_u32 v9, v12, 23, 0x37800000
	s_delay_alu instid0(VALU_DEP_3) | instskip(NEXT) | instid1(VALU_DEP_1)
	v_lshlrev_b32_e32 v7, 21, v7
	v_or3_b32 v12, v5, v9, v7
.LBB47_1467:
	s_or_b32 exec_lo, exec_lo, s12
	s_mov_b32 s11, 0
	s_branch .LBB47_1473
.LBB47_1468:
	s_mov_b32 s11, -1
                                        ; implicit-def: $vgpr12
	s_branch .LBB47_1479
.LBB47_1469:
	s_or_saveexec_b32 s13, s13
	v_mov_b32_e32 v12, 0x7f800001
	s_xor_b32 exec_lo, exec_lo, s13
	s_cbranch_execz .LBB47_1452
.LBB47_1470:
	v_cmp_ne_u16_e32 vcc_lo, 0, v5
	v_mov_b32_e32 v12, 0
	s_and_not1_b32 s12, s12, exec_lo
	s_and_b32 s14, vcc_lo, exec_lo
	s_delay_alu instid0(SALU_CYCLE_1)
	s_or_b32 s12, s12, s14
	s_or_b32 exec_lo, exec_lo, s13
	s_and_saveexec_b32 s13, s12
	s_cbranch_execnz .LBB47_1453
	s_branch .LBB47_1454
.LBB47_1471:
	s_mov_b32 s11, -1
                                        ; implicit-def: $vgpr12
	s_branch .LBB47_1476
.LBB47_1472:
	s_mov_b32 s11, -1
                                        ; implicit-def: $vgpr12
.LBB47_1473:
	s_delay_alu instid0(SALU_CYCLE_1)
	s_and_b32 vcc_lo, exec_lo, s11
	s_cbranch_vccz .LBB47_1475
; %bb.1474:
	global_load_u8 v5, v[10:11], off
	s_wait_loadcnt 0x0
	v_lshlrev_b32_e32 v5, 24, v5
	s_delay_alu instid0(VALU_DEP_1) | instskip(NEXT) | instid1(VALU_DEP_1)
	v_and_b32_e32 v7, 0x7f000000, v5
	v_clz_i32_u32_e32 v9, v7
	s_wait_xcnt 0x1
	v_add_nc_u32_e32 v13, 0x1000000, v7
	v_cmp_ne_u32_e32 vcc_lo, 0, v7
	s_delay_alu instid0(VALU_DEP_3) | instskip(NEXT) | instid1(VALU_DEP_1)
	v_min_u32_e32 v9, 32, v9
	v_sub_nc_u32_e64 v9, v9, 4 clamp
	s_delay_alu instid0(VALU_DEP_1) | instskip(NEXT) | instid1(VALU_DEP_1)
	v_dual_lshlrev_b32 v12, v9, v7 :: v_dual_lshlrev_b32 v9, 23, v9
	v_lshrrev_b32_e32 v12, 4, v12
	s_delay_alu instid0(VALU_DEP_1) | instskip(SKIP_1) | instid1(VALU_DEP_2)
	v_sub_nc_u32_e32 v9, v12, v9
	v_ashrrev_i32_e32 v12, 8, v13
	v_add_nc_u32_e32 v9, 0x3c000000, v9
	s_delay_alu instid0(VALU_DEP_1) | instskip(NEXT) | instid1(VALU_DEP_1)
	v_and_or_b32 v9, 0x7f800000, v12, v9
	v_cndmask_b32_e32 v7, 0, v9, vcc_lo
	s_delay_alu instid0(VALU_DEP_1)
	v_and_or_b32 v12, 0x80000000, v5, v7
.LBB47_1475:
	s_mov_b32 s11, 0
.LBB47_1476:
	s_delay_alu instid0(SALU_CYCLE_1)
	s_and_not1_b32 vcc_lo, exec_lo, s11
	s_cbranch_vccnz .LBB47_1478
; %bb.1477:
	global_load_u8 v5, v[10:11], off
	s_wait_loadcnt 0x0
	v_lshlrev_b32_e32 v7, 25, v5
	v_lshlrev_b16 v5, 8, v5
	s_wait_xcnt 0x1
	s_delay_alu instid0(VALU_DEP_1) | instskip(SKIP_1) | instid1(VALU_DEP_2)
	v_and_or_b32 v12, 0x7f00, v5, 0.5
	v_bfe_i32 v5, v5, 0, 16
	v_dual_add_f32 v12, -0.5, v12 :: v_dual_lshrrev_b32 v9, 4, v7
	v_cmp_gt_u32_e32 vcc_lo, 0x8000000, v7
	s_delay_alu instid0(VALU_DEP_2) | instskip(NEXT) | instid1(VALU_DEP_1)
	v_or_b32_e32 v9, 0x70000000, v9
	v_mul_f32_e32 v9, 0x7800000, v9
	s_delay_alu instid0(VALU_DEP_1) | instskip(NEXT) | instid1(VALU_DEP_1)
	v_cndmask_b32_e32 v7, v9, v12, vcc_lo
	v_and_or_b32 v12, 0x80000000, v5, v7
.LBB47_1478:
	s_mov_b32 s11, 0
	s_mov_b32 s12, -1
.LBB47_1479:
	s_and_not1_b32 vcc_lo, exec_lo, s11
	s_mov_b32 s11, 0
	s_cbranch_vccnz .LBB47_1490
; %bb.1480:
	s_cmp_gt_i32 s0, 14
	s_cbranch_scc0 .LBB47_1483
; %bb.1481:
	s_cmp_eq_u32 s0, 15
	s_cbranch_scc0 .LBB47_1486
; %bb.1482:
	global_load_u16 v5, v[10:11], off
	s_mov_b32 s1, 0
	s_mov_b32 s12, -1
	s_wait_loadcnt 0x0
	s_wait_xcnt 0x1
	v_lshlrev_b32_e32 v12, 16, v5
	s_branch .LBB47_1488
.LBB47_1483:
	s_mov_b32 s11, -1
	s_branch .LBB47_1487
.LBB47_1484:
	s_or_saveexec_b32 s12, s12
	v_mov_b32_e32 v12, 0x7f800001
	s_xor_b32 exec_lo, exec_lo, s12
	s_cbranch_execz .LBB47_1465
.LBB47_1485:
	v_cmp_ne_u16_e32 vcc_lo, 0, v5
	v_mov_b32_e32 v12, 0
	s_and_not1_b32 s11, s11, exec_lo
	s_and_b32 s13, vcc_lo, exec_lo
	s_delay_alu instid0(SALU_CYCLE_1)
	s_or_b32 s11, s11, s13
	s_or_b32 exec_lo, exec_lo, s12
	s_and_saveexec_b32 s12, s11
	s_cbranch_execnz .LBB47_1466
	s_branch .LBB47_1467
.LBB47_1486:
	s_mov_b32 s1, -1
.LBB47_1487:
                                        ; implicit-def: $vgpr12
.LBB47_1488:
	s_and_b32 vcc_lo, exec_lo, s11
	s_mov_b32 s11, 0
	s_cbranch_vccz .LBB47_1490
; %bb.1489:
	s_cmp_lg_u32 s0, 11
	s_mov_b32 s11, -1
	s_cselect_b32 s1, -1, 0
.LBB47_1490:
	s_delay_alu instid0(SALU_CYCLE_1)
	s_and_b32 vcc_lo, exec_lo, s1
	s_cbranch_vccnz .LBB47_1553
; %bb.1491:
	s_and_not1_b32 vcc_lo, exec_lo, s11
	s_cbranch_vccnz .LBB47_1493
.LBB47_1492:
	global_load_u8 v5, v[10:11], off
	s_mov_b32 s12, -1
	s_wait_loadcnt 0x0
	v_cmp_ne_u16_e32 vcc_lo, 0, v5
	s_wait_xcnt 0x1
	v_cndmask_b32_e64 v12, 0, 1.0, vcc_lo
.LBB47_1493:
	s_branch .LBB47_1420
.LBB47_1494:
	s_cmp_lt_i32 s0, 5
	s_cbranch_scc1 .LBB47_1499
; %bb.1495:
	s_cmp_lt_i32 s0, 8
	s_cbranch_scc1 .LBB47_1500
; %bb.1496:
	;; [unrolled: 3-line block ×3, first 2 shown]
	s_cmp_gt_i32 s0, 9
	s_cbranch_scc0 .LBB47_1502
; %bb.1498:
	global_load_b64 v[12:13], v[10:11], off
	s_mov_b32 s1, 0
	s_wait_loadcnt 0x0
	v_cvt_f32_f64_e32 v12, v[12:13]
	s_branch .LBB47_1503
.LBB47_1499:
	s_mov_b32 s1, -1
                                        ; implicit-def: $vgpr12
	s_branch .LBB47_1521
.LBB47_1500:
	s_mov_b32 s1, -1
                                        ; implicit-def: $vgpr12
	s_branch .LBB47_1509
.LBB47_1501:
	s_mov_b32 s1, -1
                                        ; implicit-def: $vgpr12
	s_branch .LBB47_1506
.LBB47_1502:
	s_mov_b32 s1, -1
                                        ; implicit-def: $vgpr12
.LBB47_1503:
	s_delay_alu instid0(SALU_CYCLE_1)
	s_and_not1_b32 vcc_lo, exec_lo, s1
	s_cbranch_vccnz .LBB47_1505
; %bb.1504:
	global_load_b32 v12, v[10:11], off
.LBB47_1505:
	s_mov_b32 s1, 0
.LBB47_1506:
	s_delay_alu instid0(SALU_CYCLE_1)
	s_and_not1_b32 vcc_lo, exec_lo, s1
	s_cbranch_vccnz .LBB47_1508
; %bb.1507:
	global_load_b32 v5, v[10:11], off
	s_wait_loadcnt 0x0
	s_wait_xcnt 0x1
	v_cvt_f32_f16_e32 v12, v5
.LBB47_1508:
	s_mov_b32 s1, 0
.LBB47_1509:
	s_delay_alu instid0(SALU_CYCLE_1)
	s_and_not1_b32 vcc_lo, exec_lo, s1
	s_cbranch_vccnz .LBB47_1520
; %bb.1510:
	s_cmp_lt_i32 s0, 6
	s_cbranch_scc1 .LBB47_1513
; %bb.1511:
	s_cmp_gt_i32 s0, 6
	s_cbranch_scc0 .LBB47_1514
; %bb.1512:
	s_wait_loadcnt 0x0
	global_load_b64 v[12:13], v[10:11], off
	s_mov_b32 s1, 0
	s_wait_loadcnt 0x0
	v_cvt_f32_f64_e32 v12, v[12:13]
	s_branch .LBB47_1515
.LBB47_1513:
	s_mov_b32 s1, -1
                                        ; implicit-def: $vgpr12
	s_branch .LBB47_1518
.LBB47_1514:
	s_mov_b32 s1, -1
                                        ; implicit-def: $vgpr12
.LBB47_1515:
	s_delay_alu instid0(SALU_CYCLE_1)
	s_and_not1_b32 vcc_lo, exec_lo, s1
	s_cbranch_vccnz .LBB47_1517
; %bb.1516:
	s_wait_loadcnt 0x0
	global_load_b32 v12, v[10:11], off
.LBB47_1517:
	s_mov_b32 s1, 0
.LBB47_1518:
	s_delay_alu instid0(SALU_CYCLE_1)
	s_and_not1_b32 vcc_lo, exec_lo, s1
	s_cbranch_vccnz .LBB47_1520
; %bb.1519:
	global_load_u16 v5, v[10:11], off
	s_wait_loadcnt 0x0
	s_wait_xcnt 0x1
	v_cvt_f32_f16_e32 v12, v5
.LBB47_1520:
	s_mov_b32 s1, 0
.LBB47_1521:
	s_delay_alu instid0(SALU_CYCLE_1)
	s_and_not1_b32 vcc_lo, exec_lo, s1
	s_cbranch_vccnz .LBB47_1541
; %bb.1522:
	s_cmp_lt_i32 s0, 2
	s_cbranch_scc1 .LBB47_1526
; %bb.1523:
	s_cmp_lt_i32 s0, 3
	s_cbranch_scc1 .LBB47_1527
; %bb.1524:
	s_cmp_gt_i32 s0, 3
	s_cbranch_scc0 .LBB47_1528
; %bb.1525:
	s_wait_loadcnt 0x0
	global_load_b64 v[12:13], v[10:11], off
	s_mov_b32 s1, 0
	s_wait_loadcnt 0x0
	v_xor_b32_e32 v5, v12, v13
	v_cls_i32_e32 v7, v13
	s_delay_alu instid0(VALU_DEP_2) | instskip(NEXT) | instid1(VALU_DEP_1)
	v_ashrrev_i32_e32 v5, 31, v5
	v_add_nc_u32_e32 v5, 32, v5
	s_delay_alu instid0(VALU_DEP_1) | instskip(NEXT) | instid1(VALU_DEP_1)
	v_add_min_u32_e64 v5, v7, -1, v5
	v_lshlrev_b64_e32 v[12:13], v5, v[12:13]
	v_sub_nc_u32_e32 v5, 32, v5
	s_delay_alu instid0(VALU_DEP_2) | instskip(NEXT) | instid1(VALU_DEP_1)
	v_min_u32_e32 v7, 1, v12
	v_or_b32_e32 v7, v13, v7
	s_delay_alu instid0(VALU_DEP_1) | instskip(NEXT) | instid1(VALU_DEP_1)
	v_cvt_f32_i32_e32 v7, v7
	v_ldexp_f32 v12, v7, v5
	s_branch .LBB47_1529
.LBB47_1526:
	s_mov_b32 s1, -1
                                        ; implicit-def: $vgpr12
	s_branch .LBB47_1535
.LBB47_1527:
	s_mov_b32 s1, -1
                                        ; implicit-def: $vgpr12
	s_branch .LBB47_1532
.LBB47_1528:
	s_mov_b32 s1, -1
                                        ; implicit-def: $vgpr12
.LBB47_1529:
	s_delay_alu instid0(SALU_CYCLE_1)
	s_and_not1_b32 vcc_lo, exec_lo, s1
	s_cbranch_vccnz .LBB47_1531
; %bb.1530:
	global_load_b32 v5, v[10:11], off
	s_wait_loadcnt 0x0
	s_wait_xcnt 0x1
	v_cvt_f32_i32_e32 v12, v5
.LBB47_1531:
	s_mov_b32 s1, 0
.LBB47_1532:
	s_delay_alu instid0(SALU_CYCLE_1)
	s_and_not1_b32 vcc_lo, exec_lo, s1
	s_cbranch_vccnz .LBB47_1534
; %bb.1533:
	global_load_i16 v5, v[10:11], off
	s_wait_loadcnt 0x0
	s_wait_xcnt 0x1
	v_cvt_f32_i32_e32 v12, v5
.LBB47_1534:
	s_mov_b32 s1, 0
.LBB47_1535:
	s_delay_alu instid0(SALU_CYCLE_1)
	s_and_not1_b32 vcc_lo, exec_lo, s1
	s_cbranch_vccnz .LBB47_1541
; %bb.1536:
	s_cmp_gt_i32 s0, 0
	s_mov_b32 s1, 0
	s_cbranch_scc0 .LBB47_1538
; %bb.1537:
	global_load_i8 v5, v[10:11], off
	s_wait_loadcnt 0x0
	s_wait_xcnt 0x1
	v_cvt_f32_i32_e32 v12, v5
	s_branch .LBB47_1539
.LBB47_1538:
	s_mov_b32 s1, -1
                                        ; implicit-def: $vgpr12
.LBB47_1539:
	s_delay_alu instid0(SALU_CYCLE_1)
	s_and_not1_b32 vcc_lo, exec_lo, s1
	s_cbranch_vccnz .LBB47_1541
; %bb.1540:
	global_load_u8 v5, v[10:11], off
	s_wait_loadcnt 0x0
	s_wait_xcnt 0x1
	v_cvt_f32_ubyte0_e32 v12, v5
.LBB47_1541:
.LBB47_1542:
	v_mov_b32_e32 v9, 0
	s_cmp_lt_i32 s0, 11
	s_delay_alu instid0(VALU_DEP_1)
	v_add_nc_u64_e32 v[8:9], s[6:7], v[8:9]
	s_cbranch_scc1 .LBB47_1549
; %bb.1543:
	s_cmp_gt_i32 s0, 25
	s_mov_b32 s6, 0
	s_cbranch_scc0 .LBB47_1550
; %bb.1544:
	s_cmp_gt_i32 s0, 28
	s_cbranch_scc0 .LBB47_1551
; %bb.1545:
	s_cmp_gt_i32 s0, 43
	;; [unrolled: 3-line block ×3, first 2 shown]
	s_cbranch_scc0 .LBB47_1554
; %bb.1547:
	s_cmp_eq_u32 s0, 46
	s_mov_b32 s11, 0
	s_cbranch_scc0 .LBB47_1555
; %bb.1548:
	global_load_b32 v5, v[8:9], off
	s_mov_b32 s1, 0
	s_mov_b32 s7, -1
	s_wait_loadcnt 0x0
	s_wait_xcnt 0x1
	v_lshlrev_b32_e32 v10, 16, v5
	s_branch .LBB47_1557
.LBB47_1549:
	s_mov_b32 s1, -1
	s_mov_b32 s7, 0
                                        ; implicit-def: $vgpr10
	s_branch .LBB47_1623
.LBB47_1550:
	s_mov_b32 s11, -1
	s_mov_b32 s7, 0
	s_mov_b32 s1, 0
                                        ; implicit-def: $vgpr10
	s_branch .LBB47_1586
.LBB47_1551:
	s_mov_b32 s11, -1
	s_mov_b32 s7, 0
	s_mov_b32 s1, 0
                                        ; implicit-def: $vgpr10
	s_branch .LBB47_1567
.LBB47_1552:
	s_mov_b32 s11, -1
	s_mov_b32 s7, 0
	s_mov_b32 s1, 0
                                        ; implicit-def: $vgpr10
	s_branch .LBB47_1562
.LBB47_1553:
	s_or_b32 s10, s10, exec_lo
	s_trap 2
	s_cbranch_execz .LBB47_1492
	s_branch .LBB47_1493
.LBB47_1554:
	s_mov_b32 s11, -1
	s_mov_b32 s7, 0
	s_mov_b32 s1, 0
	s_branch .LBB47_1556
.LBB47_1555:
	s_mov_b32 s1, -1
	s_mov_b32 s7, 0
.LBB47_1556:
                                        ; implicit-def: $vgpr10
.LBB47_1557:
	s_and_b32 vcc_lo, exec_lo, s11
	s_cbranch_vccz .LBB47_1561
; %bb.1558:
	s_cmp_eq_u32 s0, 44
	s_cbranch_scc0 .LBB47_1560
; %bb.1559:
	global_load_u8 v5, v[8:9], off
	s_mov_b32 s1, 0
	s_mov_b32 s7, -1
	s_wait_loadcnt 0x0
	v_lshlrev_b32_e32 v7, 23, v5
	v_cmp_ne_u32_e32 vcc_lo, 0xff, v5
	s_delay_alu instid0(VALU_DEP_2) | instskip(SKIP_2) | instid1(VALU_DEP_2)
	v_cndmask_b32_e32 v7, 0x7f800001, v7, vcc_lo
	v_cmp_ne_u32_e32 vcc_lo, 0, v5
	s_wait_xcnt 0x1
	v_cndmask_b32_e32 v10, 0x400000, v7, vcc_lo
	s_branch .LBB47_1561
.LBB47_1560:
	s_mov_b32 s1, -1
                                        ; implicit-def: $vgpr10
.LBB47_1561:
	s_mov_b32 s11, 0
.LBB47_1562:
	s_delay_alu instid0(SALU_CYCLE_1)
	s_and_b32 vcc_lo, exec_lo, s11
	s_cbranch_vccz .LBB47_1566
; %bb.1563:
	s_cmp_eq_u32 s0, 29
	s_cbranch_scc0 .LBB47_1565
; %bb.1564:
	global_load_b64 v[10:11], v[8:9], off
	s_mov_b32 s1, 0
	s_mov_b32 s7, -1
	s_mov_b32 s11, 0
	s_wait_loadcnt 0x0
	v_clz_i32_u32_e32 v5, v11
	s_delay_alu instid0(VALU_DEP_1) | instskip(NEXT) | instid1(VALU_DEP_1)
	v_min_u32_e32 v5, 32, v5
	v_lshlrev_b64_e32 v[10:11], v5, v[10:11]
	v_sub_nc_u32_e32 v5, 32, v5
	s_delay_alu instid0(VALU_DEP_2) | instskip(NEXT) | instid1(VALU_DEP_1)
	v_min_u32_e32 v7, 1, v10
	v_or_b32_e32 v7, v11, v7
	s_delay_alu instid0(VALU_DEP_1) | instskip(NEXT) | instid1(VALU_DEP_1)
	v_cvt_f32_u32_e32 v7, v7
	v_ldexp_f32 v10, v7, v5
	s_branch .LBB47_1567
.LBB47_1565:
	s_mov_b32 s1, -1
                                        ; implicit-def: $vgpr10
.LBB47_1566:
	s_mov_b32 s11, 0
.LBB47_1567:
	s_delay_alu instid0(SALU_CYCLE_1)
	s_and_b32 vcc_lo, exec_lo, s11
	s_cbranch_vccz .LBB47_1585
; %bb.1568:
	s_cmp_lt_i32 s0, 27
	s_cbranch_scc1 .LBB47_1571
; %bb.1569:
	s_cmp_gt_i32 s0, 27
	s_cbranch_scc0 .LBB47_1572
; %bb.1570:
	global_load_b32 v5, v[8:9], off
	s_mov_b32 s7, 0
	s_wait_loadcnt 0x0
	s_wait_xcnt 0x1
	v_cvt_f32_u32_e32 v10, v5
	s_branch .LBB47_1573
.LBB47_1571:
	s_mov_b32 s7, -1
                                        ; implicit-def: $vgpr10
	s_branch .LBB47_1576
.LBB47_1572:
	s_mov_b32 s7, -1
                                        ; implicit-def: $vgpr10
.LBB47_1573:
	s_delay_alu instid0(SALU_CYCLE_1)
	s_and_not1_b32 vcc_lo, exec_lo, s7
	s_cbranch_vccnz .LBB47_1575
; %bb.1574:
	global_load_u16 v5, v[8:9], off
	s_wait_loadcnt 0x0
	s_wait_xcnt 0x1
	v_cvt_f32_u32_e32 v10, v5
.LBB47_1575:
	s_mov_b32 s7, 0
.LBB47_1576:
	s_delay_alu instid0(SALU_CYCLE_1)
	s_and_not1_b32 vcc_lo, exec_lo, s7
	s_cbranch_vccnz .LBB47_1584
; %bb.1577:
	global_load_u8 v5, v[8:9], off
	s_mov_b32 s7, 0
	s_mov_b32 s11, exec_lo
	s_wait_loadcnt 0x0
	v_cmpx_lt_i16_e32 0x7f, v5
	s_xor_b32 s11, exec_lo, s11
	s_cbranch_execz .LBB47_1598
; %bb.1578:
	s_mov_b32 s7, -1
	s_mov_b32 s12, exec_lo
	v_cmpx_eq_u16_e32 0x80, v5
; %bb.1579:
	s_xor_b32 s7, exec_lo, -1
; %bb.1580:
	s_or_b32 exec_lo, exec_lo, s12
	s_delay_alu instid0(SALU_CYCLE_1)
	s_and_b32 s7, s7, exec_lo
	s_or_saveexec_b32 s11, s11
	v_mov_b32_e32 v10, 0x7f800001
	s_xor_b32 exec_lo, exec_lo, s11
	s_cbranch_execnz .LBB47_1599
.LBB47_1581:
	s_or_b32 exec_lo, exec_lo, s11
	s_and_saveexec_b32 s11, s7
	s_cbranch_execz .LBB47_1583
.LBB47_1582:
	v_and_b32_e32 v7, 0xffff, v5
	s_delay_alu instid0(VALU_DEP_1) | instskip(SKIP_1) | instid1(VALU_DEP_2)
	v_dual_lshlrev_b32 v5, 24, v5 :: v_dual_bitop2_b32 v10, 7, v7 bitop3:0x40
	v_bfe_u32 v14, v7, 3, 4
	v_and_b32_e32 v5, 0x80000000, v5
	s_delay_alu instid0(VALU_DEP_3) | instskip(NEXT) | instid1(VALU_DEP_3)
	v_clz_i32_u32_e32 v11, v10
	v_cmp_eq_u32_e32 vcc_lo, 0, v14
	s_delay_alu instid0(VALU_DEP_2) | instskip(NEXT) | instid1(VALU_DEP_1)
	v_min_u32_e32 v11, 32, v11
	v_subrev_nc_u32_e32 v13, 28, v11
	v_sub_nc_u32_e32 v11, 29, v11
	s_delay_alu instid0(VALU_DEP_2) | instskip(NEXT) | instid1(VALU_DEP_2)
	v_lshlrev_b32_e32 v7, v13, v7
	v_cndmask_b32_e32 v11, v14, v11, vcc_lo
	s_delay_alu instid0(VALU_DEP_2) | instskip(NEXT) | instid1(VALU_DEP_1)
	v_and_b32_e32 v7, 7, v7
	v_cndmask_b32_e32 v7, v10, v7, vcc_lo
	s_delay_alu instid0(VALU_DEP_3) | instskip(NEXT) | instid1(VALU_DEP_2)
	v_lshl_add_u32 v10, v11, 23, 0x3b800000
	v_lshlrev_b32_e32 v7, 20, v7
	s_delay_alu instid0(VALU_DEP_1)
	v_or3_b32 v10, v5, v10, v7
.LBB47_1583:
	s_or_b32 exec_lo, exec_lo, s11
.LBB47_1584:
	s_mov_b32 s7, -1
.LBB47_1585:
	s_mov_b32 s11, 0
.LBB47_1586:
	s_delay_alu instid0(SALU_CYCLE_1)
	s_and_b32 vcc_lo, exec_lo, s11
	s_cbranch_vccz .LBB47_1619
; %bb.1587:
	s_cmp_gt_i32 s0, 22
	s_cbranch_scc0 .LBB47_1597
; %bb.1588:
	s_cmp_lt_i32 s0, 24
	s_cbranch_scc1 .LBB47_1600
; %bb.1589:
	s_cmp_gt_i32 s0, 24
	s_cbranch_scc0 .LBB47_1601
; %bb.1590:
	global_load_u8 v5, v[8:9], off
	s_mov_b32 s7, exec_lo
	s_wait_loadcnt 0x0
	v_cmpx_lt_i16_e32 0x7f, v5
	s_xor_b32 s7, exec_lo, s7
	s_cbranch_execz .LBB47_1613
; %bb.1591:
	s_mov_b32 s6, -1
	s_mov_b32 s11, exec_lo
	v_cmpx_eq_u16_e32 0x80, v5
; %bb.1592:
	s_xor_b32 s6, exec_lo, -1
; %bb.1593:
	s_or_b32 exec_lo, exec_lo, s11
	s_delay_alu instid0(SALU_CYCLE_1)
	s_and_b32 s6, s6, exec_lo
	s_or_saveexec_b32 s7, s7
	v_mov_b32_e32 v10, 0x7f800001
	s_xor_b32 exec_lo, exec_lo, s7
	s_cbranch_execnz .LBB47_1614
.LBB47_1594:
	s_or_b32 exec_lo, exec_lo, s7
	s_and_saveexec_b32 s7, s6
	s_cbranch_execz .LBB47_1596
.LBB47_1595:
	v_and_b32_e32 v7, 0xffff, v5
	s_delay_alu instid0(VALU_DEP_1) | instskip(SKIP_1) | instid1(VALU_DEP_2)
	v_dual_lshlrev_b32 v5, 24, v5 :: v_dual_bitop2_b32 v10, 3, v7 bitop3:0x40
	v_bfe_u32 v14, v7, 2, 5
	v_and_b32_e32 v5, 0x80000000, v5
	s_delay_alu instid0(VALU_DEP_3) | instskip(NEXT) | instid1(VALU_DEP_3)
	v_clz_i32_u32_e32 v11, v10
	v_cmp_eq_u32_e32 vcc_lo, 0, v14
	s_delay_alu instid0(VALU_DEP_2) | instskip(NEXT) | instid1(VALU_DEP_1)
	v_min_u32_e32 v11, 32, v11
	v_subrev_nc_u32_e32 v13, 29, v11
	v_sub_nc_u32_e32 v11, 30, v11
	s_delay_alu instid0(VALU_DEP_2) | instskip(NEXT) | instid1(VALU_DEP_2)
	v_lshlrev_b32_e32 v7, v13, v7
	v_cndmask_b32_e32 v11, v14, v11, vcc_lo
	s_delay_alu instid0(VALU_DEP_2) | instskip(NEXT) | instid1(VALU_DEP_1)
	v_and_b32_e32 v7, 3, v7
	v_cndmask_b32_e32 v7, v10, v7, vcc_lo
	s_delay_alu instid0(VALU_DEP_3) | instskip(NEXT) | instid1(VALU_DEP_2)
	v_lshl_add_u32 v10, v11, 23, 0x37800000
	v_lshlrev_b32_e32 v7, 21, v7
	s_delay_alu instid0(VALU_DEP_1)
	v_or3_b32 v10, v5, v10, v7
.LBB47_1596:
	s_or_b32 exec_lo, exec_lo, s7
	s_mov_b32 s6, 0
	s_branch .LBB47_1602
.LBB47_1597:
	s_mov_b32 s6, -1
                                        ; implicit-def: $vgpr10
	s_branch .LBB47_1608
.LBB47_1598:
	s_or_saveexec_b32 s11, s11
	v_mov_b32_e32 v10, 0x7f800001
	s_xor_b32 exec_lo, exec_lo, s11
	s_cbranch_execz .LBB47_1581
.LBB47_1599:
	v_cmp_ne_u16_e32 vcc_lo, 0, v5
	v_mov_b32_e32 v10, 0
	s_and_not1_b32 s7, s7, exec_lo
	s_and_b32 s12, vcc_lo, exec_lo
	s_delay_alu instid0(SALU_CYCLE_1)
	s_or_b32 s7, s7, s12
	s_or_b32 exec_lo, exec_lo, s11
	s_and_saveexec_b32 s11, s7
	s_cbranch_execnz .LBB47_1582
	s_branch .LBB47_1583
.LBB47_1600:
	s_mov_b32 s6, -1
                                        ; implicit-def: $vgpr10
	s_branch .LBB47_1605
.LBB47_1601:
	s_mov_b32 s6, -1
                                        ; implicit-def: $vgpr10
.LBB47_1602:
	s_delay_alu instid0(SALU_CYCLE_1)
	s_and_b32 vcc_lo, exec_lo, s6
	s_cbranch_vccz .LBB47_1604
; %bb.1603:
	global_load_u8 v5, v[8:9], off
	s_wait_loadcnt 0x0
	v_lshlrev_b32_e32 v5, 24, v5
	s_delay_alu instid0(VALU_DEP_1) | instskip(SKIP_1) | instid1(VALU_DEP_1)
	v_and_b32_e32 v7, 0x7f000000, v5
	s_wait_xcnt 0x1
	v_clz_i32_u32_e32 v10, v7
	v_add_nc_u32_e32 v13, 0x1000000, v7
	v_cmp_ne_u32_e32 vcc_lo, 0, v7
	s_delay_alu instid0(VALU_DEP_3) | instskip(NEXT) | instid1(VALU_DEP_1)
	v_min_u32_e32 v10, 32, v10
	v_sub_nc_u32_e64 v10, v10, 4 clamp
	s_delay_alu instid0(VALU_DEP_1) | instskip(NEXT) | instid1(VALU_DEP_1)
	v_dual_lshlrev_b32 v11, v10, v7 :: v_dual_lshlrev_b32 v10, 23, v10
	v_lshrrev_b32_e32 v11, 4, v11
	s_delay_alu instid0(VALU_DEP_1) | instskip(NEXT) | instid1(VALU_DEP_1)
	v_dual_sub_nc_u32 v10, v11, v10 :: v_dual_ashrrev_i32 v11, 8, v13
	v_add_nc_u32_e32 v10, 0x3c000000, v10
	s_delay_alu instid0(VALU_DEP_1) | instskip(NEXT) | instid1(VALU_DEP_1)
	v_and_or_b32 v10, 0x7f800000, v11, v10
	v_cndmask_b32_e32 v7, 0, v10, vcc_lo
	s_delay_alu instid0(VALU_DEP_1)
	v_and_or_b32 v10, 0x80000000, v5, v7
.LBB47_1604:
	s_mov_b32 s6, 0
.LBB47_1605:
	s_delay_alu instid0(SALU_CYCLE_1)
	s_and_not1_b32 vcc_lo, exec_lo, s6
	s_cbranch_vccnz .LBB47_1607
; %bb.1606:
	global_load_u8 v5, v[8:9], off
	s_wait_loadcnt 0x0
	v_lshlrev_b32_e32 v7, 25, v5
	v_lshlrev_b16 v5, 8, v5
	s_wait_xcnt 0x1
	s_delay_alu instid0(VALU_DEP_1) | instskip(SKIP_1) | instid1(VALU_DEP_2)
	v_and_or_b32 v11, 0x7f00, v5, 0.5
	v_bfe_i32 v5, v5, 0, 16
	v_add_f32_e32 v11, -0.5, v11
	v_lshrrev_b32_e32 v10, 4, v7
	v_cmp_gt_u32_e32 vcc_lo, 0x8000000, v7
	s_delay_alu instid0(VALU_DEP_2) | instskip(NEXT) | instid1(VALU_DEP_1)
	v_or_b32_e32 v10, 0x70000000, v10
	v_mul_f32_e32 v10, 0x7800000, v10
	s_delay_alu instid0(VALU_DEP_1) | instskip(NEXT) | instid1(VALU_DEP_1)
	v_cndmask_b32_e32 v7, v10, v11, vcc_lo
	v_and_or_b32 v10, 0x80000000, v5, v7
.LBB47_1607:
	s_mov_b32 s6, 0
	s_mov_b32 s7, -1
.LBB47_1608:
	s_and_not1_b32 vcc_lo, exec_lo, s6
	s_mov_b32 s6, 0
	s_cbranch_vccnz .LBB47_1619
; %bb.1609:
	s_cmp_gt_i32 s0, 14
	s_cbranch_scc0 .LBB47_1612
; %bb.1610:
	s_cmp_eq_u32 s0, 15
	s_cbranch_scc0 .LBB47_1615
; %bb.1611:
	global_load_u16 v5, v[8:9], off
	s_mov_b32 s1, 0
	s_mov_b32 s7, -1
	s_wait_loadcnt 0x0
	s_wait_xcnt 0x1
	v_lshlrev_b32_e32 v10, 16, v5
	s_branch .LBB47_1617
.LBB47_1612:
	s_mov_b32 s6, -1
	s_branch .LBB47_1616
.LBB47_1613:
	s_or_saveexec_b32 s7, s7
	v_mov_b32_e32 v10, 0x7f800001
	s_xor_b32 exec_lo, exec_lo, s7
	s_cbranch_execz .LBB47_1594
.LBB47_1614:
	v_cmp_ne_u16_e32 vcc_lo, 0, v5
	v_mov_b32_e32 v10, 0
	s_and_not1_b32 s6, s6, exec_lo
	s_and_b32 s11, vcc_lo, exec_lo
	s_delay_alu instid0(SALU_CYCLE_1)
	s_or_b32 s6, s6, s11
	s_or_b32 exec_lo, exec_lo, s7
	s_and_saveexec_b32 s7, s6
	s_cbranch_execnz .LBB47_1595
	s_branch .LBB47_1596
.LBB47_1615:
	s_mov_b32 s1, -1
.LBB47_1616:
                                        ; implicit-def: $vgpr10
.LBB47_1617:
	s_and_b32 vcc_lo, exec_lo, s6
	s_mov_b32 s6, 0
	s_cbranch_vccz .LBB47_1619
; %bb.1618:
	s_cmp_lg_u32 s0, 11
	s_mov_b32 s6, -1
	s_cselect_b32 s1, -1, 0
.LBB47_1619:
	s_delay_alu instid0(SALU_CYCLE_1)
	s_and_b32 vcc_lo, exec_lo, s1
	s_cbranch_vccnz .LBB47_2152
; %bb.1620:
	s_and_not1_b32 vcc_lo, exec_lo, s6
	s_cbranch_vccnz .LBB47_1622
.LBB47_1621:
	global_load_u8 v5, v[8:9], off
	s_mov_b32 s7, -1
	s_wait_loadcnt 0x0
	v_cmp_ne_u16_e32 vcc_lo, 0, v5
	s_wait_xcnt 0x1
	v_cndmask_b32_e64 v10, 0, 1.0, vcc_lo
.LBB47_1622:
	s_mov_b32 s1, 0
.LBB47_1623:
	s_delay_alu instid0(SALU_CYCLE_1)
	s_and_b32 vcc_lo, exec_lo, s1
	s_cbranch_vccz .LBB47_1672
; %bb.1624:
	s_cmp_lt_i32 s0, 5
	s_cbranch_scc1 .LBB47_1629
; %bb.1625:
	s_cmp_lt_i32 s0, 8
	s_cbranch_scc1 .LBB47_1630
	;; [unrolled: 3-line block ×3, first 2 shown]
; %bb.1627:
	s_cmp_gt_i32 s0, 9
	s_cbranch_scc0 .LBB47_1632
; %bb.1628:
	global_load_b64 v[10:11], v[8:9], off
	s_mov_b32 s1, 0
	s_wait_loadcnt 0x0
	v_cvt_f32_f64_e32 v10, v[10:11]
	s_branch .LBB47_1633
.LBB47_1629:
	s_mov_b32 s1, -1
                                        ; implicit-def: $vgpr10
	s_branch .LBB47_1651
.LBB47_1630:
	s_mov_b32 s1, -1
                                        ; implicit-def: $vgpr10
	s_branch .LBB47_1639
.LBB47_1631:
	s_mov_b32 s1, -1
                                        ; implicit-def: $vgpr10
	s_branch .LBB47_1636
.LBB47_1632:
	s_mov_b32 s1, -1
                                        ; implicit-def: $vgpr10
.LBB47_1633:
	s_delay_alu instid0(SALU_CYCLE_1)
	s_and_not1_b32 vcc_lo, exec_lo, s1
	s_cbranch_vccnz .LBB47_1635
; %bb.1634:
	global_load_b32 v10, v[8:9], off
.LBB47_1635:
	s_mov_b32 s1, 0
.LBB47_1636:
	s_delay_alu instid0(SALU_CYCLE_1)
	s_and_not1_b32 vcc_lo, exec_lo, s1
	s_cbranch_vccnz .LBB47_1638
; %bb.1637:
	global_load_b32 v5, v[8:9], off
	s_wait_loadcnt 0x0
	s_wait_xcnt 0x1
	v_cvt_f32_f16_e32 v10, v5
.LBB47_1638:
	s_mov_b32 s1, 0
.LBB47_1639:
	s_delay_alu instid0(SALU_CYCLE_1)
	s_and_not1_b32 vcc_lo, exec_lo, s1
	s_cbranch_vccnz .LBB47_1650
; %bb.1640:
	s_cmp_lt_i32 s0, 6
	s_cbranch_scc1 .LBB47_1643
; %bb.1641:
	s_cmp_gt_i32 s0, 6
	s_cbranch_scc0 .LBB47_1644
; %bb.1642:
	s_wait_loadcnt 0x0
	global_load_b64 v[10:11], v[8:9], off
	s_mov_b32 s1, 0
	s_wait_loadcnt 0x0
	v_cvt_f32_f64_e32 v10, v[10:11]
	s_branch .LBB47_1645
.LBB47_1643:
	s_mov_b32 s1, -1
                                        ; implicit-def: $vgpr10
	s_branch .LBB47_1648
.LBB47_1644:
	s_mov_b32 s1, -1
                                        ; implicit-def: $vgpr10
.LBB47_1645:
	s_delay_alu instid0(SALU_CYCLE_1)
	s_and_not1_b32 vcc_lo, exec_lo, s1
	s_cbranch_vccnz .LBB47_1647
; %bb.1646:
	s_wait_loadcnt 0x0
	global_load_b32 v10, v[8:9], off
.LBB47_1647:
	s_mov_b32 s1, 0
.LBB47_1648:
	s_delay_alu instid0(SALU_CYCLE_1)
	s_and_not1_b32 vcc_lo, exec_lo, s1
	s_cbranch_vccnz .LBB47_1650
; %bb.1649:
	global_load_u16 v5, v[8:9], off
	s_wait_loadcnt 0x0
	s_wait_xcnt 0x1
	v_cvt_f32_f16_e32 v10, v5
.LBB47_1650:
	s_mov_b32 s1, 0
.LBB47_1651:
	s_delay_alu instid0(SALU_CYCLE_1)
	s_and_not1_b32 vcc_lo, exec_lo, s1
	s_cbranch_vccnz .LBB47_1671
; %bb.1652:
	s_cmp_lt_i32 s0, 2
	s_cbranch_scc1 .LBB47_1656
; %bb.1653:
	s_cmp_lt_i32 s0, 3
	s_cbranch_scc1 .LBB47_1657
; %bb.1654:
	s_cmp_gt_i32 s0, 3
	s_cbranch_scc0 .LBB47_1658
; %bb.1655:
	s_wait_loadcnt 0x0
	global_load_b64 v[10:11], v[8:9], off
	s_mov_b32 s1, 0
	s_wait_loadcnt 0x0
	v_xor_b32_e32 v5, v10, v11
	v_cls_i32_e32 v7, v11
	s_delay_alu instid0(VALU_DEP_2) | instskip(NEXT) | instid1(VALU_DEP_1)
	v_ashrrev_i32_e32 v5, 31, v5
	v_add_nc_u32_e32 v5, 32, v5
	s_delay_alu instid0(VALU_DEP_1) | instskip(NEXT) | instid1(VALU_DEP_1)
	v_add_min_u32_e64 v5, v7, -1, v5
	v_lshlrev_b64_e32 v[10:11], v5, v[10:11]
	v_sub_nc_u32_e32 v5, 32, v5
	s_delay_alu instid0(VALU_DEP_2) | instskip(NEXT) | instid1(VALU_DEP_1)
	v_min_u32_e32 v7, 1, v10
	v_or_b32_e32 v7, v11, v7
	s_delay_alu instid0(VALU_DEP_1) | instskip(NEXT) | instid1(VALU_DEP_1)
	v_cvt_f32_i32_e32 v7, v7
	v_ldexp_f32 v10, v7, v5
	s_branch .LBB47_1659
.LBB47_1656:
	s_mov_b32 s1, -1
                                        ; implicit-def: $vgpr10
	s_branch .LBB47_1665
.LBB47_1657:
	s_mov_b32 s1, -1
                                        ; implicit-def: $vgpr10
	s_branch .LBB47_1662
.LBB47_1658:
	s_mov_b32 s1, -1
                                        ; implicit-def: $vgpr10
.LBB47_1659:
	s_delay_alu instid0(SALU_CYCLE_1)
	s_and_not1_b32 vcc_lo, exec_lo, s1
	s_cbranch_vccnz .LBB47_1661
; %bb.1660:
	global_load_b32 v5, v[8:9], off
	s_wait_loadcnt 0x0
	s_wait_xcnt 0x1
	v_cvt_f32_i32_e32 v10, v5
.LBB47_1661:
	s_mov_b32 s1, 0
.LBB47_1662:
	s_delay_alu instid0(SALU_CYCLE_1)
	s_and_not1_b32 vcc_lo, exec_lo, s1
	s_cbranch_vccnz .LBB47_1664
; %bb.1663:
	global_load_i16 v5, v[8:9], off
	s_wait_loadcnt 0x0
	s_wait_xcnt 0x1
	v_cvt_f32_i32_e32 v10, v5
.LBB47_1664:
	s_mov_b32 s1, 0
.LBB47_1665:
	s_delay_alu instid0(SALU_CYCLE_1)
	s_and_not1_b32 vcc_lo, exec_lo, s1
	s_cbranch_vccnz .LBB47_1671
; %bb.1666:
	s_cmp_gt_i32 s0, 0
	s_mov_b32 s0, 0
	s_cbranch_scc0 .LBB47_1668
; %bb.1667:
	global_load_i8 v5, v[8:9], off
	s_wait_loadcnt 0x0
	s_wait_xcnt 0x1
	v_cvt_f32_i32_e32 v10, v5
	s_branch .LBB47_1669
.LBB47_1668:
	s_mov_b32 s0, -1
                                        ; implicit-def: $vgpr10
.LBB47_1669:
	s_delay_alu instid0(SALU_CYCLE_1)
	s_and_not1_b32 vcc_lo, exec_lo, s0
	s_cbranch_vccnz .LBB47_1671
; %bb.1670:
	global_load_u8 v5, v[8:9], off
	s_wait_loadcnt 0x0
	s_wait_xcnt 0x1
	v_cvt_f32_ubyte0_e32 v10, v5
.LBB47_1671:
	s_mov_b32 s7, -1
.LBB47_1672:
	s_delay_alu instid0(SALU_CYCLE_1)
	s_and_not1_b32 vcc_lo, exec_lo, s7
	s_cbranch_vccnz .LBB47_2106
; %bb.1673:
	v_mov_b32_e32 v7, 0
	s_wait_loadcnt 0x0
	v_cmp_eq_f32_e64 s0, 0x7f800000, v1
	global_load_u8 v5, v7, s[2:3] offset:345
	s_wait_xcnt 0x0
	v_add_nc_u64_e32 v[6:7], s[4:5], v[6:7]
	s_wait_loadcnt 0x0
	v_and_b32_e32 v8, 0xffff, v5
	v_readfirstlane_b32 s6, v5
	s_delay_alu instid0(VALU_DEP_2)
	v_cmp_gt_i32_e32 vcc_lo, 11, v8
	s_cbranch_vccnz .LBB47_1751
; %bb.1674:
	s_and_b32 s2, 0xffff, s6
	s_mov_b32 s11, -1
	s_mov_b32 s3, 0
	s_cmp_gt_i32 s2, 25
	s_mov_b32 s7, 0
	s_mov_b32 s1, 0
	s_cbranch_scc0 .LBB47_1707
; %bb.1675:
	s_cmp_gt_i32 s2, 28
	s_cbranch_scc0 .LBB47_1690
; %bb.1676:
	s_cmp_gt_i32 s2, 43
	;; [unrolled: 3-line block ×3, first 2 shown]
	s_cbranch_scc0 .LBB47_1680
; %bb.1678:
	s_mov_b32 s1, -1
	s_mov_b32 s11, 0
	s_cmp_eq_u32 s2, 46
	s_cbranch_scc0 .LBB47_1680
; %bb.1679:
	v_cndmask_b32_e64 v1, 0, 1.0, s0
	s_mov_b32 s1, 0
	s_mov_b32 s7, -1
	s_delay_alu instid0(VALU_DEP_1) | instskip(NEXT) | instid1(VALU_DEP_1)
	v_bfe_u32 v5, v1, 16, 1
	v_add3_u32 v1, v1, v5, 0x7fff
	s_delay_alu instid0(VALU_DEP_1)
	v_lshrrev_b32_e32 v1, 16, v1
	global_store_b32 v[6:7], v1, off
.LBB47_1680:
	s_and_b32 vcc_lo, exec_lo, s11
	s_cbranch_vccz .LBB47_1685
; %bb.1681:
	s_cmp_eq_u32 s2, 44
	s_mov_b32 s1, -1
	s_cbranch_scc0 .LBB47_1685
; %bb.1682:
	v_cndmask_b32_e64 v8, 0, 1.0, s0
	v_mov_b32_e32 v5, 0xff
	s_mov_b32 s7, exec_lo
	s_wait_xcnt 0x0
	s_delay_alu instid0(VALU_DEP_2) | instskip(NEXT) | instid1(VALU_DEP_1)
	v_lshrrev_b32_e32 v1, 23, v8
	v_cmpx_ne_u32_e32 0xff, v1
; %bb.1683:
	v_and_b32_e32 v5, 0x400000, v8
	v_and_or_b32 v8, 0x3fffff, v8, v1
	s_delay_alu instid0(VALU_DEP_2) | instskip(NEXT) | instid1(VALU_DEP_2)
	v_cmp_ne_u32_e32 vcc_lo, 0, v5
	v_cmp_ne_u32_e64 s1, 0, v8
	s_and_b32 s1, vcc_lo, s1
	s_delay_alu instid0(SALU_CYCLE_1) | instskip(NEXT) | instid1(VALU_DEP_1)
	v_cndmask_b32_e64 v5, 0, 1, s1
	v_add_nc_u32_e32 v5, v1, v5
; %bb.1684:
	s_or_b32 exec_lo, exec_lo, s7
	s_mov_b32 s1, 0
	s_mov_b32 s7, -1
	global_store_b8 v[6:7], v5, off
.LBB47_1685:
	s_mov_b32 s11, 0
.LBB47_1686:
	s_delay_alu instid0(SALU_CYCLE_1)
	s_and_b32 vcc_lo, exec_lo, s11
	s_cbranch_vccz .LBB47_1689
; %bb.1687:
	s_cmp_eq_u32 s2, 29
	s_mov_b32 s1, -1
	s_cbranch_scc0 .LBB47_1689
; %bb.1688:
	s_mov_b32 s1, 0
	v_cndmask_b32_e64 v8, 0, 1, s0
	v_mov_b32_e32 v9, s1
	s_mov_b32 s7, -1
	global_store_b64 v[6:7], v[8:9], off
.LBB47_1689:
	s_mov_b32 s11, 0
.LBB47_1690:
	s_delay_alu instid0(SALU_CYCLE_1)
	s_and_b32 vcc_lo, exec_lo, s11
	s_cbranch_vccz .LBB47_1706
; %bb.1691:
	s_cmp_lt_i32 s2, 27
	s_mov_b32 s7, -1
	s_cbranch_scc1 .LBB47_1697
; %bb.1692:
	s_cmp_gt_i32 s2, 27
	s_cbranch_scc0 .LBB47_1694
; %bb.1693:
	s_wait_xcnt 0x0
	v_cndmask_b32_e64 v1, 0, 1, s0
	s_mov_b32 s7, 0
	global_store_b32 v[6:7], v1, off
.LBB47_1694:
	s_and_not1_b32 vcc_lo, exec_lo, s7
	s_cbranch_vccnz .LBB47_1696
; %bb.1695:
	s_wait_xcnt 0x0
	v_cndmask_b32_e64 v1, 0, 1, s0
	global_store_b16 v[6:7], v1, off
.LBB47_1696:
	s_mov_b32 s7, 0
.LBB47_1697:
	s_delay_alu instid0(SALU_CYCLE_1)
	s_and_not1_b32 vcc_lo, exec_lo, s7
	s_cbranch_vccnz .LBB47_1705
; %bb.1698:
	s_wait_xcnt 0x0
	v_cndmask_b32_e64 v5, 0, 1.0, s0
	v_mov_b32_e32 v8, 0x80
	s_mov_b32 s7, exec_lo
	s_delay_alu instid0(VALU_DEP_2)
	v_cmpx_gt_u32_e32 0x43800000, v5
	s_cbranch_execz .LBB47_1704
; %bb.1699:
	s_mov_b32 s11, 0
	s_mov_b32 s12, exec_lo
                                        ; implicit-def: $vgpr1
	v_cmpx_lt_u32_e32 0x3bffffff, v5
	s_xor_b32 s12, exec_lo, s12
	s_cbranch_execz .LBB47_2153
; %bb.1700:
	v_bfe_u32 v1, v5, 20, 1
	s_mov_b32 s11, exec_lo
	s_delay_alu instid0(VALU_DEP_1) | instskip(NEXT) | instid1(VALU_DEP_1)
	v_add3_u32 v1, v5, v1, 0x487ffff
                                        ; implicit-def: $vgpr5
	v_lshrrev_b32_e32 v1, 20, v1
	s_and_not1_saveexec_b32 s12, s12
	s_cbranch_execnz .LBB47_2154
.LBB47_1701:
	s_or_b32 exec_lo, exec_lo, s12
	v_mov_b32_e32 v8, 0
	s_and_saveexec_b32 s12, s11
.LBB47_1702:
	v_mov_b32_e32 v8, v1
.LBB47_1703:
	s_or_b32 exec_lo, exec_lo, s12
.LBB47_1704:
	s_delay_alu instid0(SALU_CYCLE_1)
	s_or_b32 exec_lo, exec_lo, s7
	global_store_b8 v[6:7], v8, off
.LBB47_1705:
	s_mov_b32 s7, -1
.LBB47_1706:
	s_mov_b32 s11, 0
.LBB47_1707:
	s_delay_alu instid0(SALU_CYCLE_1)
	s_and_b32 vcc_lo, exec_lo, s11
	s_cbranch_vccz .LBB47_1747
; %bb.1708:
	s_cmp_gt_i32 s2, 22
	s_mov_b32 s3, -1
	s_cbranch_scc0 .LBB47_1740
; %bb.1709:
	s_cmp_lt_i32 s2, 24
	s_cbranch_scc1 .LBB47_1729
; %bb.1710:
	s_cmp_gt_i32 s2, 24
	s_cbranch_scc0 .LBB47_1718
; %bb.1711:
	s_wait_xcnt 0x0
	v_cndmask_b32_e64 v5, 0, 1.0, s0
	v_mov_b32_e32 v8, 0x80
	s_mov_b32 s3, exec_lo
	s_delay_alu instid0(VALU_DEP_2)
	v_cmpx_gt_u32_e32 0x47800000, v5
	s_cbranch_execz .LBB47_1717
; %bb.1712:
	s_mov_b32 s7, 0
	s_mov_b32 s11, exec_lo
                                        ; implicit-def: $vgpr1
	v_cmpx_lt_u32_e32 0x37ffffff, v5
	s_xor_b32 s11, exec_lo, s11
	s_cbranch_execz .LBB47_2156
; %bb.1713:
	v_bfe_u32 v1, v5, 21, 1
	s_mov_b32 s7, exec_lo
	s_delay_alu instid0(VALU_DEP_1) | instskip(NEXT) | instid1(VALU_DEP_1)
	v_add3_u32 v1, v5, v1, 0x88fffff
                                        ; implicit-def: $vgpr5
	v_lshrrev_b32_e32 v1, 21, v1
	s_and_not1_saveexec_b32 s11, s11
	s_cbranch_execnz .LBB47_2157
.LBB47_1714:
	s_or_b32 exec_lo, exec_lo, s11
	v_mov_b32_e32 v8, 0
	s_and_saveexec_b32 s11, s7
.LBB47_1715:
	v_mov_b32_e32 v8, v1
.LBB47_1716:
	s_or_b32 exec_lo, exec_lo, s11
.LBB47_1717:
	s_delay_alu instid0(SALU_CYCLE_1)
	s_or_b32 exec_lo, exec_lo, s3
	s_mov_b32 s3, 0
	global_store_b8 v[6:7], v8, off
.LBB47_1718:
	s_and_b32 vcc_lo, exec_lo, s3
	s_cbranch_vccz .LBB47_1728
; %bb.1719:
	s_wait_xcnt 0x0
	v_cndmask_b32_e64 v5, 0, 1.0, s0
	s_mov_b32 s3, exec_lo
                                        ; implicit-def: $vgpr1
	s_delay_alu instid0(VALU_DEP_1)
	v_cmpx_gt_u32_e32 0x43f00000, v5
	s_xor_b32 s3, exec_lo, s3
	s_cbranch_execz .LBB47_1725
; %bb.1720:
	s_mov_b32 s7, exec_lo
                                        ; implicit-def: $vgpr1
	v_cmpx_lt_u32_e32 0x3c7fffff, v5
	s_xor_b32 s7, exec_lo, s7
; %bb.1721:
	v_bfe_u32 v1, v5, 20, 1
	s_delay_alu instid0(VALU_DEP_1) | instskip(NEXT) | instid1(VALU_DEP_1)
	v_add3_u32 v1, v5, v1, 0x407ffff
	v_and_b32_e32 v5, 0xff00000, v1
	v_lshrrev_b32_e32 v1, 20, v1
	s_delay_alu instid0(VALU_DEP_2) | instskip(NEXT) | instid1(VALU_DEP_2)
	v_cmp_ne_u32_e32 vcc_lo, 0x7f00000, v5
                                        ; implicit-def: $vgpr5
	v_cndmask_b32_e32 v1, 0x7e, v1, vcc_lo
; %bb.1722:
	s_and_not1_saveexec_b32 s7, s7
; %bb.1723:
	v_add_f32_e32 v1, 0x46800000, v5
; %bb.1724:
	s_or_b32 exec_lo, exec_lo, s7
                                        ; implicit-def: $vgpr5
.LBB47_1725:
	s_and_not1_saveexec_b32 s3, s3
; %bb.1726:
	v_mov_b32_e32 v1, 0x7f
	v_cmp_lt_u32_e32 vcc_lo, 0x7f800000, v5
	s_delay_alu instid0(VALU_DEP_2)
	v_cndmask_b32_e32 v1, 0x7e, v1, vcc_lo
; %bb.1727:
	s_or_b32 exec_lo, exec_lo, s3
	global_store_b8 v[6:7], v1, off
.LBB47_1728:
	s_mov_b32 s3, 0
.LBB47_1729:
	s_delay_alu instid0(SALU_CYCLE_1)
	s_and_not1_b32 vcc_lo, exec_lo, s3
	s_cbranch_vccnz .LBB47_1739
; %bb.1730:
	s_wait_xcnt 0x0
	v_cndmask_b32_e64 v5, 0, 1.0, s0
	s_mov_b32 s3, exec_lo
                                        ; implicit-def: $vgpr1
	s_delay_alu instid0(VALU_DEP_1)
	v_cmpx_gt_u32_e32 0x47800000, v5
	s_xor_b32 s3, exec_lo, s3
	s_cbranch_execz .LBB47_1736
; %bb.1731:
	s_mov_b32 s7, exec_lo
                                        ; implicit-def: $vgpr1
	v_cmpx_lt_u32_e32 0x387fffff, v5
	s_xor_b32 s7, exec_lo, s7
; %bb.1732:
	v_bfe_u32 v1, v5, 21, 1
	s_delay_alu instid0(VALU_DEP_1) | instskip(NEXT) | instid1(VALU_DEP_1)
	v_add3_u32 v1, v5, v1, 0x80fffff
                                        ; implicit-def: $vgpr5
	v_lshrrev_b32_e32 v1, 21, v1
; %bb.1733:
	s_and_not1_saveexec_b32 s7, s7
; %bb.1734:
	v_add_f32_e32 v1, 0x43000000, v5
; %bb.1735:
	s_or_b32 exec_lo, exec_lo, s7
                                        ; implicit-def: $vgpr5
.LBB47_1736:
	s_and_not1_saveexec_b32 s3, s3
; %bb.1737:
	v_mov_b32_e32 v1, 0x7f
	v_cmp_lt_u32_e32 vcc_lo, 0x7f800000, v5
	s_delay_alu instid0(VALU_DEP_2)
	v_cndmask_b32_e32 v1, 0x7c, v1, vcc_lo
; %bb.1738:
	s_or_b32 exec_lo, exec_lo, s3
	global_store_b8 v[6:7], v1, off
.LBB47_1739:
	s_mov_b32 s3, 0
	s_mov_b32 s7, -1
.LBB47_1740:
	s_and_not1_b32 vcc_lo, exec_lo, s3
	s_mov_b32 s3, 0
	s_cbranch_vccnz .LBB47_1747
; %bb.1741:
	s_cmp_gt_i32 s2, 14
	s_mov_b32 s3, -1
	s_cbranch_scc0 .LBB47_1745
; %bb.1742:
	s_cmp_eq_u32 s2, 15
	s_mov_b32 s1, -1
	s_cbranch_scc0 .LBB47_1744
; %bb.1743:
	s_wait_xcnt 0x0
	v_cndmask_b32_e64 v1, 0, 1.0, s0
	s_mov_b32 s1, 0
	s_mov_b32 s7, -1
	s_delay_alu instid0(VALU_DEP_1) | instskip(NEXT) | instid1(VALU_DEP_1)
	v_bfe_u32 v5, v1, 16, 1
	v_add3_u32 v1, v1, v5, 0x7fff
	global_store_d16_hi_b16 v[6:7], v1, off
.LBB47_1744:
	s_mov_b32 s3, 0
.LBB47_1745:
	s_delay_alu instid0(SALU_CYCLE_1)
	s_and_b32 vcc_lo, exec_lo, s3
	s_mov_b32 s3, 0
	s_cbranch_vccz .LBB47_1747
; %bb.1746:
	s_cmp_lg_u32 s2, 11
	s_mov_b32 s3, -1
	s_cselect_b32 s1, -1, 0
.LBB47_1747:
	s_delay_alu instid0(SALU_CYCLE_1)
	s_and_b32 vcc_lo, exec_lo, s1
	s_cbranch_vccnz .LBB47_2155
; %bb.1748:
	s_and_not1_b32 vcc_lo, exec_lo, s3
	s_cbranch_vccnz .LBB47_1750
.LBB47_1749:
	s_wait_xcnt 0x0
	v_cndmask_b32_e64 v1, 0, 1, s0
	s_mov_b32 s7, -1
	global_store_b8 v[6:7], v1, off
.LBB47_1750:
	s_mov_b32 s1, 0
	s_branch .LBB47_1752
.LBB47_1751:
	s_mov_b32 s1, -1
	s_mov_b32 s7, 0
.LBB47_1752:
	s_and_b32 vcc_lo, exec_lo, s1
	s_cbranch_vccz .LBB47_1791
; %bb.1753:
	s_and_b32 s1, 0xffff, s6
	s_mov_b32 s2, -1
	s_cmp_lt_i32 s1, 5
	s_cbranch_scc1 .LBB47_1774
; %bb.1754:
	s_cmp_lt_i32 s1, 8
	s_cbranch_scc1 .LBB47_1764
; %bb.1755:
	;; [unrolled: 3-line block ×3, first 2 shown]
	s_cmp_gt_i32 s1, 9
	s_cbranch_scc0 .LBB47_1758
; %bb.1757:
	s_wait_xcnt 0x0
	v_cndmask_b32_e64 v1, 0, 1, s0
	v_mov_b32_e32 v16, 0
	s_mov_b32 s2, 0
	s_delay_alu instid0(VALU_DEP_2) | instskip(NEXT) | instid1(VALU_DEP_2)
	v_cvt_f64_u32_e32 v[14:15], v1
	v_mov_b32_e32 v17, v16
	global_store_b128 v[6:7], v[14:17], off
.LBB47_1758:
	s_and_not1_b32 vcc_lo, exec_lo, s2
	s_cbranch_vccnz .LBB47_1760
; %bb.1759:
	s_wait_xcnt 0x0
	v_cndmask_b32_e64 v8, 0, 1.0, s0
	v_mov_b32_e32 v9, 0
	global_store_b64 v[6:7], v[8:9], off
.LBB47_1760:
	s_mov_b32 s2, 0
.LBB47_1761:
	s_delay_alu instid0(SALU_CYCLE_1)
	s_and_not1_b32 vcc_lo, exec_lo, s2
	s_cbranch_vccnz .LBB47_1763
; %bb.1762:
	s_wait_xcnt 0x0
	v_cndmask_b32_e64 v1, 0, 1.0, s0
	s_delay_alu instid0(VALU_DEP_1) | instskip(NEXT) | instid1(VALU_DEP_1)
	v_cvt_f16_f32_e32 v1, v1
	v_and_b32_e32 v1, 0xffff, v1
	global_store_b32 v[6:7], v1, off
.LBB47_1763:
	s_mov_b32 s2, 0
.LBB47_1764:
	s_delay_alu instid0(SALU_CYCLE_1)
	s_and_not1_b32 vcc_lo, exec_lo, s2
	s_cbranch_vccnz .LBB47_1773
; %bb.1765:
	s_cmp_lt_i32 s1, 6
	s_mov_b32 s2, -1
	s_cbranch_scc1 .LBB47_1771
; %bb.1766:
	s_cmp_gt_i32 s1, 6
	s_cbranch_scc0 .LBB47_1768
; %bb.1767:
	s_wait_xcnt 0x0
	v_cndmask_b32_e64 v1, 0, 1, s0
	s_mov_b32 s2, 0
	s_delay_alu instid0(VALU_DEP_1)
	v_cvt_f64_u32_e32 v[8:9], v1
	global_store_b64 v[6:7], v[8:9], off
.LBB47_1768:
	s_and_not1_b32 vcc_lo, exec_lo, s2
	s_cbranch_vccnz .LBB47_1770
; %bb.1769:
	s_wait_xcnt 0x0
	v_cndmask_b32_e64 v1, 0, 1.0, s0
	global_store_b32 v[6:7], v1, off
.LBB47_1770:
	s_mov_b32 s2, 0
.LBB47_1771:
	s_delay_alu instid0(SALU_CYCLE_1)
	s_and_not1_b32 vcc_lo, exec_lo, s2
	s_cbranch_vccnz .LBB47_1773
; %bb.1772:
	s_wait_xcnt 0x0
	v_cndmask_b32_e64 v1, 0, 1.0, s0
	s_delay_alu instid0(VALU_DEP_1)
	v_cvt_f16_f32_e32 v1, v1
	global_store_b16 v[6:7], v1, off
.LBB47_1773:
	s_mov_b32 s2, 0
.LBB47_1774:
	s_delay_alu instid0(SALU_CYCLE_1)
	s_and_not1_b32 vcc_lo, exec_lo, s2
	s_cbranch_vccnz .LBB47_1790
; %bb.1775:
	s_cmp_lt_i32 s1, 2
	s_mov_b32 s2, -1
	s_cbranch_scc1 .LBB47_1785
; %bb.1776:
	s_cmp_lt_i32 s1, 3
	s_cbranch_scc1 .LBB47_1782
; %bb.1777:
	s_cmp_gt_i32 s1, 3
	s_cbranch_scc0 .LBB47_1779
; %bb.1778:
	s_mov_b32 s2, 0
	s_wait_xcnt 0x0
	v_cndmask_b32_e64 v8, 0, 1, s0
	v_mov_b32_e32 v9, s2
	global_store_b64 v[6:7], v[8:9], off
.LBB47_1779:
	s_and_not1_b32 vcc_lo, exec_lo, s2
	s_cbranch_vccnz .LBB47_1781
; %bb.1780:
	s_wait_xcnt 0x0
	v_cndmask_b32_e64 v1, 0, 1, s0
	global_store_b32 v[6:7], v1, off
.LBB47_1781:
	s_mov_b32 s2, 0
.LBB47_1782:
	s_delay_alu instid0(SALU_CYCLE_1)
	s_and_not1_b32 vcc_lo, exec_lo, s2
	s_cbranch_vccnz .LBB47_1784
; %bb.1783:
	s_wait_xcnt 0x0
	v_cndmask_b32_e64 v1, 0, 1, s0
	global_store_b16 v[6:7], v1, off
.LBB47_1784:
	s_mov_b32 s2, 0
.LBB47_1785:
	s_delay_alu instid0(SALU_CYCLE_1)
	s_and_not1_b32 vcc_lo, exec_lo, s2
	s_cbranch_vccnz .LBB47_1790
; %bb.1786:
	s_wait_xcnt 0x0
	v_cndmask_b32_e64 v1, 0, 1, s0
	s_cmp_gt_i32 s1, 0
	s_mov_b32 s0, -1
	s_cbranch_scc0 .LBB47_1788
; %bb.1787:
	s_mov_b32 s0, 0
	global_store_b8 v[6:7], v1, off
.LBB47_1788:
	s_and_not1_b32 vcc_lo, exec_lo, s0
	s_cbranch_vccnz .LBB47_1790
; %bb.1789:
	global_store_b8 v[6:7], v1, off
.LBB47_1790:
	s_mov_b32 s7, -1
.LBB47_1791:
	s_delay_alu instid0(SALU_CYCLE_1)
	s_and_not1_b32 vcc_lo, exec_lo, s7
	s_cbranch_vccnz .LBB47_2106
; %bb.1792:
	s_wait_xcnt 0x0
	v_mov_b32_e32 v5, 0
	v_cmp_eq_f32_e64 s0, 0x7f800000, v3
	s_and_b32 s2, 0xffff, s6
	s_delay_alu instid0(SALU_CYCLE_1)
	s_cmp_lt_i32 s2, 11
	v_add_nc_u64_e32 v[4:5], s[4:5], v[4:5]
	s_cbranch_scc1 .LBB47_1870
; %bb.1793:
	s_mov_b32 s11, -1
	s_mov_b32 s3, 0
	s_cmp_gt_i32 s2, 25
	s_mov_b32 s7, 0
	s_mov_b32 s1, 0
	s_cbranch_scc0 .LBB47_1826
; %bb.1794:
	s_cmp_gt_i32 s2, 28
	s_cbranch_scc0 .LBB47_1809
; %bb.1795:
	s_cmp_gt_i32 s2, 43
	;; [unrolled: 3-line block ×3, first 2 shown]
	s_cbranch_scc0 .LBB47_1799
; %bb.1797:
	s_mov_b32 s1, -1
	s_mov_b32 s11, 0
	s_cmp_eq_u32 s2, 46
	s_cbranch_scc0 .LBB47_1799
; %bb.1798:
	v_cndmask_b32_e64 v1, 0, 1.0, s0
	s_mov_b32 s1, 0
	s_mov_b32 s7, -1
	s_delay_alu instid0(VALU_DEP_1) | instskip(NEXT) | instid1(VALU_DEP_1)
	v_bfe_u32 v3, v1, 16, 1
	v_add3_u32 v1, v1, v3, 0x7fff
	s_delay_alu instid0(VALU_DEP_1)
	v_lshrrev_b32_e32 v1, 16, v1
	global_store_b32 v[4:5], v1, off
.LBB47_1799:
	s_and_b32 vcc_lo, exec_lo, s11
	s_cbranch_vccz .LBB47_1804
; %bb.1800:
	s_cmp_eq_u32 s2, 44
	s_mov_b32 s1, -1
	s_cbranch_scc0 .LBB47_1804
; %bb.1801:
	v_cndmask_b32_e64 v6, 0, 1.0, s0
	v_mov_b32_e32 v3, 0xff
	s_mov_b32 s7, exec_lo
	s_wait_xcnt 0x0
	s_delay_alu instid0(VALU_DEP_2) | instskip(NEXT) | instid1(VALU_DEP_1)
	v_lshrrev_b32_e32 v1, 23, v6
	v_cmpx_ne_u32_e32 0xff, v1
; %bb.1802:
	v_and_b32_e32 v3, 0x400000, v6
	v_and_or_b32 v6, 0x3fffff, v6, v1
	s_delay_alu instid0(VALU_DEP_2) | instskip(NEXT) | instid1(VALU_DEP_2)
	v_cmp_ne_u32_e32 vcc_lo, 0, v3
	v_cmp_ne_u32_e64 s1, 0, v6
	s_and_b32 s1, vcc_lo, s1
	s_delay_alu instid0(SALU_CYCLE_1) | instskip(NEXT) | instid1(VALU_DEP_1)
	v_cndmask_b32_e64 v3, 0, 1, s1
	v_add_nc_u32_e32 v3, v1, v3
; %bb.1803:
	s_or_b32 exec_lo, exec_lo, s7
	s_mov_b32 s1, 0
	s_mov_b32 s7, -1
	global_store_b8 v[4:5], v3, off
.LBB47_1804:
	s_mov_b32 s11, 0
.LBB47_1805:
	s_delay_alu instid0(SALU_CYCLE_1)
	s_and_b32 vcc_lo, exec_lo, s11
	s_cbranch_vccz .LBB47_1808
; %bb.1806:
	s_cmp_eq_u32 s2, 29
	s_mov_b32 s1, -1
	s_cbranch_scc0 .LBB47_1808
; %bb.1807:
	s_mov_b32 s1, 0
	v_cndmask_b32_e64 v6, 0, 1, s0
	v_mov_b32_e32 v7, s1
	s_mov_b32 s7, -1
	global_store_b64 v[4:5], v[6:7], off
.LBB47_1808:
	s_mov_b32 s11, 0
.LBB47_1809:
	s_delay_alu instid0(SALU_CYCLE_1)
	s_and_b32 vcc_lo, exec_lo, s11
	s_cbranch_vccz .LBB47_1825
; %bb.1810:
	s_cmp_lt_i32 s2, 27
	s_mov_b32 s7, -1
	s_cbranch_scc1 .LBB47_1816
; %bb.1811:
	s_cmp_gt_i32 s2, 27
	s_cbranch_scc0 .LBB47_1813
; %bb.1812:
	s_wait_xcnt 0x0
	v_cndmask_b32_e64 v1, 0, 1, s0
	s_mov_b32 s7, 0
	global_store_b32 v[4:5], v1, off
.LBB47_1813:
	s_and_not1_b32 vcc_lo, exec_lo, s7
	s_cbranch_vccnz .LBB47_1815
; %bb.1814:
	s_wait_xcnt 0x0
	v_cndmask_b32_e64 v1, 0, 1, s0
	global_store_b16 v[4:5], v1, off
.LBB47_1815:
	s_mov_b32 s7, 0
.LBB47_1816:
	s_delay_alu instid0(SALU_CYCLE_1)
	s_and_not1_b32 vcc_lo, exec_lo, s7
	s_cbranch_vccnz .LBB47_1824
; %bb.1817:
	s_wait_xcnt 0x0
	v_cndmask_b32_e64 v3, 0, 1.0, s0
	v_mov_b32_e32 v6, 0x80
	s_mov_b32 s7, exec_lo
	s_delay_alu instid0(VALU_DEP_2)
	v_cmpx_gt_u32_e32 0x43800000, v3
	s_cbranch_execz .LBB47_1823
; %bb.1818:
	s_mov_b32 s11, 0
	s_mov_b32 s12, exec_lo
                                        ; implicit-def: $vgpr1
	v_cmpx_lt_u32_e32 0x3bffffff, v3
	s_xor_b32 s12, exec_lo, s12
	s_cbranch_execz .LBB47_2158
; %bb.1819:
	v_bfe_u32 v1, v3, 20, 1
	s_mov_b32 s11, exec_lo
	s_delay_alu instid0(VALU_DEP_1) | instskip(NEXT) | instid1(VALU_DEP_1)
	v_add3_u32 v1, v3, v1, 0x487ffff
                                        ; implicit-def: $vgpr3
	v_lshrrev_b32_e32 v1, 20, v1
	s_and_not1_saveexec_b32 s12, s12
	s_cbranch_execnz .LBB47_2159
.LBB47_1820:
	s_or_b32 exec_lo, exec_lo, s12
	v_mov_b32_e32 v6, 0
	s_and_saveexec_b32 s12, s11
.LBB47_1821:
	v_mov_b32_e32 v6, v1
.LBB47_1822:
	s_or_b32 exec_lo, exec_lo, s12
.LBB47_1823:
	s_delay_alu instid0(SALU_CYCLE_1)
	s_or_b32 exec_lo, exec_lo, s7
	global_store_b8 v[4:5], v6, off
.LBB47_1824:
	s_mov_b32 s7, -1
.LBB47_1825:
	s_mov_b32 s11, 0
.LBB47_1826:
	s_delay_alu instid0(SALU_CYCLE_1)
	s_and_b32 vcc_lo, exec_lo, s11
	s_cbranch_vccz .LBB47_1866
; %bb.1827:
	s_cmp_gt_i32 s2, 22
	s_mov_b32 s3, -1
	s_cbranch_scc0 .LBB47_1859
; %bb.1828:
	s_cmp_lt_i32 s2, 24
	s_cbranch_scc1 .LBB47_1848
; %bb.1829:
	s_cmp_gt_i32 s2, 24
	s_cbranch_scc0 .LBB47_1837
; %bb.1830:
	s_wait_xcnt 0x0
	v_cndmask_b32_e64 v3, 0, 1.0, s0
	v_mov_b32_e32 v6, 0x80
	s_mov_b32 s3, exec_lo
	s_delay_alu instid0(VALU_DEP_2)
	v_cmpx_gt_u32_e32 0x47800000, v3
	s_cbranch_execz .LBB47_1836
; %bb.1831:
	s_mov_b32 s7, 0
	s_mov_b32 s11, exec_lo
                                        ; implicit-def: $vgpr1
	v_cmpx_lt_u32_e32 0x37ffffff, v3
	s_xor_b32 s11, exec_lo, s11
	s_cbranch_execz .LBB47_2161
; %bb.1832:
	v_bfe_u32 v1, v3, 21, 1
	s_mov_b32 s7, exec_lo
	s_delay_alu instid0(VALU_DEP_1) | instskip(NEXT) | instid1(VALU_DEP_1)
	v_add3_u32 v1, v3, v1, 0x88fffff
                                        ; implicit-def: $vgpr3
	v_lshrrev_b32_e32 v1, 21, v1
	s_and_not1_saveexec_b32 s11, s11
	s_cbranch_execnz .LBB47_2162
.LBB47_1833:
	s_or_b32 exec_lo, exec_lo, s11
	v_mov_b32_e32 v6, 0
	s_and_saveexec_b32 s11, s7
.LBB47_1834:
	v_mov_b32_e32 v6, v1
.LBB47_1835:
	s_or_b32 exec_lo, exec_lo, s11
.LBB47_1836:
	s_delay_alu instid0(SALU_CYCLE_1)
	s_or_b32 exec_lo, exec_lo, s3
	s_mov_b32 s3, 0
	global_store_b8 v[4:5], v6, off
.LBB47_1837:
	s_and_b32 vcc_lo, exec_lo, s3
	s_cbranch_vccz .LBB47_1847
; %bb.1838:
	s_wait_xcnt 0x0
	v_cndmask_b32_e64 v3, 0, 1.0, s0
	s_mov_b32 s3, exec_lo
                                        ; implicit-def: $vgpr1
	s_delay_alu instid0(VALU_DEP_1)
	v_cmpx_gt_u32_e32 0x43f00000, v3
	s_xor_b32 s3, exec_lo, s3
	s_cbranch_execz .LBB47_1844
; %bb.1839:
	s_mov_b32 s7, exec_lo
                                        ; implicit-def: $vgpr1
	v_cmpx_lt_u32_e32 0x3c7fffff, v3
	s_xor_b32 s7, exec_lo, s7
; %bb.1840:
	v_bfe_u32 v1, v3, 20, 1
	s_delay_alu instid0(VALU_DEP_1) | instskip(NEXT) | instid1(VALU_DEP_1)
	v_add3_u32 v1, v3, v1, 0x407ffff
	v_and_b32_e32 v3, 0xff00000, v1
	v_lshrrev_b32_e32 v1, 20, v1
	s_delay_alu instid0(VALU_DEP_2) | instskip(NEXT) | instid1(VALU_DEP_2)
	v_cmp_ne_u32_e32 vcc_lo, 0x7f00000, v3
                                        ; implicit-def: $vgpr3
	v_cndmask_b32_e32 v1, 0x7e, v1, vcc_lo
; %bb.1841:
	s_and_not1_saveexec_b32 s7, s7
; %bb.1842:
	v_add_f32_e32 v1, 0x46800000, v3
; %bb.1843:
	s_or_b32 exec_lo, exec_lo, s7
                                        ; implicit-def: $vgpr3
.LBB47_1844:
	s_and_not1_saveexec_b32 s3, s3
; %bb.1845:
	v_mov_b32_e32 v1, 0x7f
	v_cmp_lt_u32_e32 vcc_lo, 0x7f800000, v3
	s_delay_alu instid0(VALU_DEP_2)
	v_cndmask_b32_e32 v1, 0x7e, v1, vcc_lo
; %bb.1846:
	s_or_b32 exec_lo, exec_lo, s3
	global_store_b8 v[4:5], v1, off
.LBB47_1847:
	s_mov_b32 s3, 0
.LBB47_1848:
	s_delay_alu instid0(SALU_CYCLE_1)
	s_and_not1_b32 vcc_lo, exec_lo, s3
	s_cbranch_vccnz .LBB47_1858
; %bb.1849:
	s_wait_xcnt 0x0
	v_cndmask_b32_e64 v3, 0, 1.0, s0
	s_mov_b32 s3, exec_lo
                                        ; implicit-def: $vgpr1
	s_delay_alu instid0(VALU_DEP_1)
	v_cmpx_gt_u32_e32 0x47800000, v3
	s_xor_b32 s3, exec_lo, s3
	s_cbranch_execz .LBB47_1855
; %bb.1850:
	s_mov_b32 s7, exec_lo
                                        ; implicit-def: $vgpr1
	v_cmpx_lt_u32_e32 0x387fffff, v3
	s_xor_b32 s7, exec_lo, s7
; %bb.1851:
	v_bfe_u32 v1, v3, 21, 1
	s_delay_alu instid0(VALU_DEP_1) | instskip(NEXT) | instid1(VALU_DEP_1)
	v_add3_u32 v1, v3, v1, 0x80fffff
                                        ; implicit-def: $vgpr3
	v_lshrrev_b32_e32 v1, 21, v1
; %bb.1852:
	s_and_not1_saveexec_b32 s7, s7
; %bb.1853:
	v_add_f32_e32 v1, 0x43000000, v3
; %bb.1854:
	s_or_b32 exec_lo, exec_lo, s7
                                        ; implicit-def: $vgpr3
.LBB47_1855:
	s_and_not1_saveexec_b32 s3, s3
; %bb.1856:
	v_mov_b32_e32 v1, 0x7f
	v_cmp_lt_u32_e32 vcc_lo, 0x7f800000, v3
	s_delay_alu instid0(VALU_DEP_2)
	v_cndmask_b32_e32 v1, 0x7c, v1, vcc_lo
; %bb.1857:
	s_or_b32 exec_lo, exec_lo, s3
	global_store_b8 v[4:5], v1, off
.LBB47_1858:
	s_mov_b32 s3, 0
	s_mov_b32 s7, -1
.LBB47_1859:
	s_and_not1_b32 vcc_lo, exec_lo, s3
	s_mov_b32 s3, 0
	s_cbranch_vccnz .LBB47_1866
; %bb.1860:
	s_cmp_gt_i32 s2, 14
	s_mov_b32 s3, -1
	s_cbranch_scc0 .LBB47_1864
; %bb.1861:
	s_cmp_eq_u32 s2, 15
	s_mov_b32 s1, -1
	s_cbranch_scc0 .LBB47_1863
; %bb.1862:
	s_wait_xcnt 0x0
	v_cndmask_b32_e64 v1, 0, 1.0, s0
	s_mov_b32 s1, 0
	s_mov_b32 s7, -1
	s_delay_alu instid0(VALU_DEP_1) | instskip(NEXT) | instid1(VALU_DEP_1)
	v_bfe_u32 v3, v1, 16, 1
	v_add3_u32 v1, v1, v3, 0x7fff
	global_store_d16_hi_b16 v[4:5], v1, off
.LBB47_1863:
	s_mov_b32 s3, 0
.LBB47_1864:
	s_delay_alu instid0(SALU_CYCLE_1)
	s_and_b32 vcc_lo, exec_lo, s3
	s_mov_b32 s3, 0
	s_cbranch_vccz .LBB47_1866
; %bb.1865:
	s_cmp_lg_u32 s2, 11
	s_mov_b32 s3, -1
	s_cselect_b32 s1, -1, 0
.LBB47_1866:
	s_delay_alu instid0(SALU_CYCLE_1)
	s_and_b32 vcc_lo, exec_lo, s1
	s_cbranch_vccnz .LBB47_2160
; %bb.1867:
	s_and_not1_b32 vcc_lo, exec_lo, s3
	s_cbranch_vccnz .LBB47_1869
.LBB47_1868:
	s_wait_xcnt 0x0
	v_cndmask_b32_e64 v1, 0, 1, s0
	s_mov_b32 s7, -1
	global_store_b8 v[4:5], v1, off
.LBB47_1869:
	s_mov_b32 s1, 0
	s_branch .LBB47_1871
.LBB47_1870:
	s_mov_b32 s1, -1
	s_mov_b32 s7, 0
.LBB47_1871:
	s_and_b32 vcc_lo, exec_lo, s1
	s_cbranch_vccz .LBB47_1910
; %bb.1872:
	s_cmp_lt_i32 s2, 5
	s_mov_b32 s1, -1
	s_cbranch_scc1 .LBB47_1893
; %bb.1873:
	s_cmp_lt_i32 s2, 8
	s_cbranch_scc1 .LBB47_1883
; %bb.1874:
	s_cmp_lt_i32 s2, 9
	s_cbranch_scc1 .LBB47_1880
; %bb.1875:
	s_cmp_gt_i32 s2, 9
	s_cbranch_scc0 .LBB47_1877
; %bb.1876:
	s_wait_xcnt 0x0
	v_cndmask_b32_e64 v1, 0, 1, s0
	v_mov_b32_e32 v8, 0
	s_mov_b32 s1, 0
	s_delay_alu instid0(VALU_DEP_2) | instskip(NEXT) | instid1(VALU_DEP_2)
	v_cvt_f64_u32_e32 v[6:7], v1
	v_mov_b32_e32 v9, v8
	global_store_b128 v[4:5], v[6:9], off
.LBB47_1877:
	s_and_not1_b32 vcc_lo, exec_lo, s1
	s_cbranch_vccnz .LBB47_1879
; %bb.1878:
	s_wait_xcnt 0x0
	v_cndmask_b32_e64 v6, 0, 1.0, s0
	v_mov_b32_e32 v7, 0
	global_store_b64 v[4:5], v[6:7], off
.LBB47_1879:
	s_mov_b32 s1, 0
.LBB47_1880:
	s_delay_alu instid0(SALU_CYCLE_1)
	s_and_not1_b32 vcc_lo, exec_lo, s1
	s_cbranch_vccnz .LBB47_1882
; %bb.1881:
	s_wait_xcnt 0x0
	v_cndmask_b32_e64 v1, 0, 1.0, s0
	s_delay_alu instid0(VALU_DEP_1) | instskip(NEXT) | instid1(VALU_DEP_1)
	v_cvt_f16_f32_e32 v1, v1
	v_and_b32_e32 v1, 0xffff, v1
	global_store_b32 v[4:5], v1, off
.LBB47_1882:
	s_mov_b32 s1, 0
.LBB47_1883:
	s_delay_alu instid0(SALU_CYCLE_1)
	s_and_not1_b32 vcc_lo, exec_lo, s1
	s_cbranch_vccnz .LBB47_1892
; %bb.1884:
	s_cmp_lt_i32 s2, 6
	s_mov_b32 s1, -1
	s_cbranch_scc1 .LBB47_1890
; %bb.1885:
	s_cmp_gt_i32 s2, 6
	s_cbranch_scc0 .LBB47_1887
; %bb.1886:
	s_wait_xcnt 0x0
	v_cndmask_b32_e64 v1, 0, 1, s0
	s_mov_b32 s1, 0
	s_delay_alu instid0(VALU_DEP_1)
	v_cvt_f64_u32_e32 v[6:7], v1
	global_store_b64 v[4:5], v[6:7], off
.LBB47_1887:
	s_and_not1_b32 vcc_lo, exec_lo, s1
	s_cbranch_vccnz .LBB47_1889
; %bb.1888:
	s_wait_xcnt 0x0
	v_cndmask_b32_e64 v1, 0, 1.0, s0
	global_store_b32 v[4:5], v1, off
.LBB47_1889:
	s_mov_b32 s1, 0
.LBB47_1890:
	s_delay_alu instid0(SALU_CYCLE_1)
	s_and_not1_b32 vcc_lo, exec_lo, s1
	s_cbranch_vccnz .LBB47_1892
; %bb.1891:
	s_wait_xcnt 0x0
	v_cndmask_b32_e64 v1, 0, 1.0, s0
	s_delay_alu instid0(VALU_DEP_1)
	v_cvt_f16_f32_e32 v1, v1
	global_store_b16 v[4:5], v1, off
.LBB47_1892:
	s_mov_b32 s1, 0
.LBB47_1893:
	s_delay_alu instid0(SALU_CYCLE_1)
	s_and_not1_b32 vcc_lo, exec_lo, s1
	s_cbranch_vccnz .LBB47_1909
; %bb.1894:
	s_cmp_lt_i32 s2, 2
	s_mov_b32 s1, -1
	s_cbranch_scc1 .LBB47_1904
; %bb.1895:
	s_cmp_lt_i32 s2, 3
	s_cbranch_scc1 .LBB47_1901
; %bb.1896:
	s_cmp_gt_i32 s2, 3
	s_cbranch_scc0 .LBB47_1898
; %bb.1897:
	s_mov_b32 s1, 0
	s_wait_xcnt 0x0
	v_cndmask_b32_e64 v6, 0, 1, s0
	v_mov_b32_e32 v7, s1
	global_store_b64 v[4:5], v[6:7], off
.LBB47_1898:
	s_and_not1_b32 vcc_lo, exec_lo, s1
	s_cbranch_vccnz .LBB47_1900
; %bb.1899:
	s_wait_xcnt 0x0
	v_cndmask_b32_e64 v1, 0, 1, s0
	global_store_b32 v[4:5], v1, off
.LBB47_1900:
	s_mov_b32 s1, 0
.LBB47_1901:
	s_delay_alu instid0(SALU_CYCLE_1)
	s_and_not1_b32 vcc_lo, exec_lo, s1
	s_cbranch_vccnz .LBB47_1903
; %bb.1902:
	s_wait_xcnt 0x0
	v_cndmask_b32_e64 v1, 0, 1, s0
	global_store_b16 v[4:5], v1, off
.LBB47_1903:
	s_mov_b32 s1, 0
.LBB47_1904:
	s_delay_alu instid0(SALU_CYCLE_1)
	s_and_not1_b32 vcc_lo, exec_lo, s1
	s_cbranch_vccnz .LBB47_1909
; %bb.1905:
	s_wait_xcnt 0x0
	v_cndmask_b32_e64 v1, 0, 1, s0
	s_cmp_gt_i32 s2, 0
	s_mov_b32 s0, -1
	s_cbranch_scc0 .LBB47_1907
; %bb.1906:
	s_mov_b32 s0, 0
	global_store_b8 v[4:5], v1, off
.LBB47_1907:
	s_and_not1_b32 vcc_lo, exec_lo, s0
	s_cbranch_vccnz .LBB47_1909
; %bb.1908:
	global_store_b8 v[4:5], v1, off
.LBB47_1909:
	s_mov_b32 s7, -1
.LBB47_1910:
	s_delay_alu instid0(SALU_CYCLE_1)
	s_and_not1_b32 vcc_lo, exec_lo, s7
	s_cbranch_vccnz .LBB47_2106
; %bb.1911:
	s_wait_xcnt 0x0
	v_mov_b32_e32 v3, 0
	v_cmp_eq_f32_e64 s0, 0x7f800000, v12
	s_cmp_lt_i32 s2, 11
	v_add_nc_u64_e32 v[2:3], s[4:5], v[2:3]
	s_cbranch_scc1 .LBB47_1989
; %bb.1912:
	s_mov_b32 s11, -1
	s_mov_b32 s3, 0
	s_cmp_gt_i32 s2, 25
	s_mov_b32 s7, 0
	s_mov_b32 s1, 0
	s_cbranch_scc0 .LBB47_1945
; %bb.1913:
	s_cmp_gt_i32 s2, 28
	s_cbranch_scc0 .LBB47_1928
; %bb.1914:
	s_cmp_gt_i32 s2, 43
	;; [unrolled: 3-line block ×3, first 2 shown]
	s_cbranch_scc0 .LBB47_1918
; %bb.1916:
	s_mov_b32 s1, -1
	s_mov_b32 s11, 0
	s_cmp_eq_u32 s2, 46
	s_cbranch_scc0 .LBB47_1918
; %bb.1917:
	v_cndmask_b32_e64 v1, 0, 1.0, s0
	s_mov_b32 s1, 0
	s_mov_b32 s7, -1
	s_delay_alu instid0(VALU_DEP_1) | instskip(NEXT) | instid1(VALU_DEP_1)
	v_bfe_u32 v4, v1, 16, 1
	v_add3_u32 v1, v1, v4, 0x7fff
	s_delay_alu instid0(VALU_DEP_1)
	v_lshrrev_b32_e32 v1, 16, v1
	global_store_b32 v[2:3], v1, off
.LBB47_1918:
	s_and_b32 vcc_lo, exec_lo, s11
	s_cbranch_vccz .LBB47_1923
; %bb.1919:
	s_cmp_eq_u32 s2, 44
	s_mov_b32 s1, -1
	s_cbranch_scc0 .LBB47_1923
; %bb.1920:
	v_cndmask_b32_e64 v5, 0, 1.0, s0
	s_mov_b32 s7, exec_lo
	s_wait_xcnt 0x0
	s_delay_alu instid0(VALU_DEP_1) | instskip(NEXT) | instid1(VALU_DEP_1)
	v_dual_mov_b32 v4, 0xff :: v_dual_lshrrev_b32 v1, 23, v5
	v_cmpx_ne_u32_e32 0xff, v1
; %bb.1921:
	v_and_b32_e32 v4, 0x400000, v5
	v_and_or_b32 v5, 0x3fffff, v5, v1
	s_delay_alu instid0(VALU_DEP_2) | instskip(NEXT) | instid1(VALU_DEP_2)
	v_cmp_ne_u32_e32 vcc_lo, 0, v4
	v_cmp_ne_u32_e64 s1, 0, v5
	s_and_b32 s1, vcc_lo, s1
	s_delay_alu instid0(SALU_CYCLE_1) | instskip(NEXT) | instid1(VALU_DEP_1)
	v_cndmask_b32_e64 v4, 0, 1, s1
	v_add_nc_u32_e32 v4, v1, v4
; %bb.1922:
	s_or_b32 exec_lo, exec_lo, s7
	s_mov_b32 s1, 0
	s_mov_b32 s7, -1
	global_store_b8 v[2:3], v4, off
.LBB47_1923:
	s_mov_b32 s11, 0
.LBB47_1924:
	s_delay_alu instid0(SALU_CYCLE_1)
	s_and_b32 vcc_lo, exec_lo, s11
	s_cbranch_vccz .LBB47_1927
; %bb.1925:
	s_cmp_eq_u32 s2, 29
	s_mov_b32 s1, -1
	s_cbranch_scc0 .LBB47_1927
; %bb.1926:
	s_mov_b32 s1, 0
	s_wait_xcnt 0x0
	v_cndmask_b32_e64 v4, 0, 1, s0
	v_mov_b32_e32 v5, s1
	s_mov_b32 s7, -1
	global_store_b64 v[2:3], v[4:5], off
.LBB47_1927:
	s_mov_b32 s11, 0
.LBB47_1928:
	s_delay_alu instid0(SALU_CYCLE_1)
	s_and_b32 vcc_lo, exec_lo, s11
	s_cbranch_vccz .LBB47_1944
; %bb.1929:
	s_cmp_lt_i32 s2, 27
	s_mov_b32 s7, -1
	s_cbranch_scc1 .LBB47_1935
; %bb.1930:
	s_cmp_gt_i32 s2, 27
	s_cbranch_scc0 .LBB47_1932
; %bb.1931:
	s_wait_xcnt 0x0
	v_cndmask_b32_e64 v1, 0, 1, s0
	s_mov_b32 s7, 0
	global_store_b32 v[2:3], v1, off
.LBB47_1932:
	s_and_not1_b32 vcc_lo, exec_lo, s7
	s_cbranch_vccnz .LBB47_1934
; %bb.1933:
	s_wait_xcnt 0x0
	v_cndmask_b32_e64 v1, 0, 1, s0
	global_store_b16 v[2:3], v1, off
.LBB47_1934:
	s_mov_b32 s7, 0
.LBB47_1935:
	s_delay_alu instid0(SALU_CYCLE_1)
	s_and_not1_b32 vcc_lo, exec_lo, s7
	s_cbranch_vccnz .LBB47_1943
; %bb.1936:
	s_wait_xcnt 0x0
	v_cndmask_b32_e64 v4, 0, 1.0, s0
	v_mov_b32_e32 v5, 0x80
	s_mov_b32 s7, exec_lo
	s_delay_alu instid0(VALU_DEP_2)
	v_cmpx_gt_u32_e32 0x43800000, v4
	s_cbranch_execz .LBB47_1942
; %bb.1937:
	s_mov_b32 s11, 0
	s_mov_b32 s12, exec_lo
                                        ; implicit-def: $vgpr1
	v_cmpx_lt_u32_e32 0x3bffffff, v4
	s_xor_b32 s12, exec_lo, s12
	s_cbranch_execz .LBB47_2163
; %bb.1938:
	v_bfe_u32 v1, v4, 20, 1
	s_mov_b32 s11, exec_lo
	s_delay_alu instid0(VALU_DEP_1) | instskip(NEXT) | instid1(VALU_DEP_1)
	v_add3_u32 v1, v4, v1, 0x487ffff
                                        ; implicit-def: $vgpr4
	v_lshrrev_b32_e32 v1, 20, v1
	s_and_not1_saveexec_b32 s12, s12
	s_cbranch_execnz .LBB47_2164
.LBB47_1939:
	s_or_b32 exec_lo, exec_lo, s12
	v_mov_b32_e32 v5, 0
	s_and_saveexec_b32 s12, s11
.LBB47_1940:
	v_mov_b32_e32 v5, v1
.LBB47_1941:
	s_or_b32 exec_lo, exec_lo, s12
.LBB47_1942:
	s_delay_alu instid0(SALU_CYCLE_1)
	s_or_b32 exec_lo, exec_lo, s7
	global_store_b8 v[2:3], v5, off
.LBB47_1943:
	s_mov_b32 s7, -1
.LBB47_1944:
	s_mov_b32 s11, 0
.LBB47_1945:
	s_delay_alu instid0(SALU_CYCLE_1)
	s_and_b32 vcc_lo, exec_lo, s11
	s_cbranch_vccz .LBB47_1985
; %bb.1946:
	s_cmp_gt_i32 s2, 22
	s_mov_b32 s3, -1
	s_cbranch_scc0 .LBB47_1978
; %bb.1947:
	s_cmp_lt_i32 s2, 24
	s_cbranch_scc1 .LBB47_1967
; %bb.1948:
	s_cmp_gt_i32 s2, 24
	s_cbranch_scc0 .LBB47_1956
; %bb.1949:
	s_wait_xcnt 0x0
	v_cndmask_b32_e64 v4, 0, 1.0, s0
	v_mov_b32_e32 v5, 0x80
	s_mov_b32 s3, exec_lo
	s_delay_alu instid0(VALU_DEP_2)
	v_cmpx_gt_u32_e32 0x47800000, v4
	s_cbranch_execz .LBB47_1955
; %bb.1950:
	s_mov_b32 s7, 0
	s_mov_b32 s11, exec_lo
                                        ; implicit-def: $vgpr1
	v_cmpx_lt_u32_e32 0x37ffffff, v4
	s_xor_b32 s11, exec_lo, s11
	s_cbranch_execz .LBB47_2166
; %bb.1951:
	v_bfe_u32 v1, v4, 21, 1
	s_mov_b32 s7, exec_lo
	s_delay_alu instid0(VALU_DEP_1) | instskip(NEXT) | instid1(VALU_DEP_1)
	v_add3_u32 v1, v4, v1, 0x88fffff
                                        ; implicit-def: $vgpr4
	v_lshrrev_b32_e32 v1, 21, v1
	s_and_not1_saveexec_b32 s11, s11
	s_cbranch_execnz .LBB47_2167
.LBB47_1952:
	s_or_b32 exec_lo, exec_lo, s11
	v_mov_b32_e32 v5, 0
	s_and_saveexec_b32 s11, s7
.LBB47_1953:
	v_mov_b32_e32 v5, v1
.LBB47_1954:
	s_or_b32 exec_lo, exec_lo, s11
.LBB47_1955:
	s_delay_alu instid0(SALU_CYCLE_1)
	s_or_b32 exec_lo, exec_lo, s3
	s_mov_b32 s3, 0
	global_store_b8 v[2:3], v5, off
.LBB47_1956:
	s_and_b32 vcc_lo, exec_lo, s3
	s_cbranch_vccz .LBB47_1966
; %bb.1957:
	s_wait_xcnt 0x0
	v_cndmask_b32_e64 v4, 0, 1.0, s0
	s_mov_b32 s3, exec_lo
                                        ; implicit-def: $vgpr1
	s_delay_alu instid0(VALU_DEP_1)
	v_cmpx_gt_u32_e32 0x43f00000, v4
	s_xor_b32 s3, exec_lo, s3
	s_cbranch_execz .LBB47_1963
; %bb.1958:
	s_mov_b32 s7, exec_lo
                                        ; implicit-def: $vgpr1
	v_cmpx_lt_u32_e32 0x3c7fffff, v4
	s_xor_b32 s7, exec_lo, s7
; %bb.1959:
	v_bfe_u32 v1, v4, 20, 1
	s_delay_alu instid0(VALU_DEP_1) | instskip(NEXT) | instid1(VALU_DEP_1)
	v_add3_u32 v1, v4, v1, 0x407ffff
	v_and_b32_e32 v4, 0xff00000, v1
	v_lshrrev_b32_e32 v1, 20, v1
	s_delay_alu instid0(VALU_DEP_2) | instskip(NEXT) | instid1(VALU_DEP_2)
	v_cmp_ne_u32_e32 vcc_lo, 0x7f00000, v4
                                        ; implicit-def: $vgpr4
	v_cndmask_b32_e32 v1, 0x7e, v1, vcc_lo
; %bb.1960:
	s_and_not1_saveexec_b32 s7, s7
; %bb.1961:
	v_add_f32_e32 v1, 0x46800000, v4
; %bb.1962:
	s_or_b32 exec_lo, exec_lo, s7
                                        ; implicit-def: $vgpr4
.LBB47_1963:
	s_and_not1_saveexec_b32 s3, s3
; %bb.1964:
	v_mov_b32_e32 v1, 0x7f
	v_cmp_lt_u32_e32 vcc_lo, 0x7f800000, v4
	s_delay_alu instid0(VALU_DEP_2)
	v_cndmask_b32_e32 v1, 0x7e, v1, vcc_lo
; %bb.1965:
	s_or_b32 exec_lo, exec_lo, s3
	global_store_b8 v[2:3], v1, off
.LBB47_1966:
	s_mov_b32 s3, 0
.LBB47_1967:
	s_delay_alu instid0(SALU_CYCLE_1)
	s_and_not1_b32 vcc_lo, exec_lo, s3
	s_cbranch_vccnz .LBB47_1977
; %bb.1968:
	s_wait_xcnt 0x0
	v_cndmask_b32_e64 v4, 0, 1.0, s0
	s_mov_b32 s3, exec_lo
                                        ; implicit-def: $vgpr1
	s_delay_alu instid0(VALU_DEP_1)
	v_cmpx_gt_u32_e32 0x47800000, v4
	s_xor_b32 s3, exec_lo, s3
	s_cbranch_execz .LBB47_1974
; %bb.1969:
	s_mov_b32 s7, exec_lo
                                        ; implicit-def: $vgpr1
	v_cmpx_lt_u32_e32 0x387fffff, v4
	s_xor_b32 s7, exec_lo, s7
; %bb.1970:
	v_bfe_u32 v1, v4, 21, 1
	s_delay_alu instid0(VALU_DEP_1) | instskip(NEXT) | instid1(VALU_DEP_1)
	v_add3_u32 v1, v4, v1, 0x80fffff
                                        ; implicit-def: $vgpr4
	v_lshrrev_b32_e32 v1, 21, v1
; %bb.1971:
	s_and_not1_saveexec_b32 s7, s7
; %bb.1972:
	v_add_f32_e32 v1, 0x43000000, v4
; %bb.1973:
	s_or_b32 exec_lo, exec_lo, s7
                                        ; implicit-def: $vgpr4
.LBB47_1974:
	s_and_not1_saveexec_b32 s3, s3
; %bb.1975:
	v_mov_b32_e32 v1, 0x7f
	v_cmp_lt_u32_e32 vcc_lo, 0x7f800000, v4
	s_delay_alu instid0(VALU_DEP_2)
	v_cndmask_b32_e32 v1, 0x7c, v1, vcc_lo
; %bb.1976:
	s_or_b32 exec_lo, exec_lo, s3
	global_store_b8 v[2:3], v1, off
.LBB47_1977:
	s_mov_b32 s3, 0
	s_mov_b32 s7, -1
.LBB47_1978:
	s_and_not1_b32 vcc_lo, exec_lo, s3
	s_mov_b32 s3, 0
	s_cbranch_vccnz .LBB47_1985
; %bb.1979:
	s_cmp_gt_i32 s2, 14
	s_mov_b32 s3, -1
	s_cbranch_scc0 .LBB47_1983
; %bb.1980:
	s_cmp_eq_u32 s2, 15
	s_mov_b32 s1, -1
	s_cbranch_scc0 .LBB47_1982
; %bb.1981:
	s_wait_xcnt 0x0
	v_cndmask_b32_e64 v1, 0, 1.0, s0
	s_mov_b32 s1, 0
	s_mov_b32 s7, -1
	s_delay_alu instid0(VALU_DEP_1) | instskip(NEXT) | instid1(VALU_DEP_1)
	v_bfe_u32 v4, v1, 16, 1
	v_add3_u32 v1, v1, v4, 0x7fff
	global_store_d16_hi_b16 v[2:3], v1, off
.LBB47_1982:
	s_mov_b32 s3, 0
.LBB47_1983:
	s_delay_alu instid0(SALU_CYCLE_1)
	s_and_b32 vcc_lo, exec_lo, s3
	s_mov_b32 s3, 0
	s_cbranch_vccz .LBB47_1985
; %bb.1984:
	s_cmp_lg_u32 s2, 11
	s_mov_b32 s3, -1
	s_cselect_b32 s1, -1, 0
.LBB47_1985:
	s_delay_alu instid0(SALU_CYCLE_1)
	s_and_b32 vcc_lo, exec_lo, s1
	s_cbranch_vccnz .LBB47_2165
; %bb.1986:
	s_and_not1_b32 vcc_lo, exec_lo, s3
	s_cbranch_vccnz .LBB47_1988
.LBB47_1987:
	s_wait_xcnt 0x0
	v_cndmask_b32_e64 v1, 0, 1, s0
	s_mov_b32 s7, -1
	global_store_b8 v[2:3], v1, off
.LBB47_1988:
	s_mov_b32 s1, 0
	s_branch .LBB47_1990
.LBB47_1989:
	s_mov_b32 s1, -1
	s_mov_b32 s7, 0
.LBB47_1990:
	s_and_b32 vcc_lo, exec_lo, s1
	s_cbranch_vccz .LBB47_2029
; %bb.1991:
	s_cmp_lt_i32 s2, 5
	s_mov_b32 s1, -1
	s_cbranch_scc1 .LBB47_2012
; %bb.1992:
	s_cmp_lt_i32 s2, 8
	s_cbranch_scc1 .LBB47_2002
; %bb.1993:
	s_cmp_lt_i32 s2, 9
	s_cbranch_scc1 .LBB47_1999
; %bb.1994:
	s_cmp_gt_i32 s2, 9
	s_cbranch_scc0 .LBB47_1996
; %bb.1995:
	s_wait_xcnt 0x0
	v_cndmask_b32_e64 v1, 0, 1, s0
	v_mov_b32_e32 v6, 0
	s_mov_b32 s1, 0
	s_delay_alu instid0(VALU_DEP_2) | instskip(NEXT) | instid1(VALU_DEP_2)
	v_cvt_f64_u32_e32 v[4:5], v1
	v_mov_b32_e32 v7, v6
	global_store_b128 v[2:3], v[4:7], off
.LBB47_1996:
	s_and_not1_b32 vcc_lo, exec_lo, s1
	s_cbranch_vccnz .LBB47_1998
; %bb.1997:
	s_wait_xcnt 0x0
	v_cndmask_b32_e64 v4, 0, 1.0, s0
	v_mov_b32_e32 v5, 0
	global_store_b64 v[2:3], v[4:5], off
.LBB47_1998:
	s_mov_b32 s1, 0
.LBB47_1999:
	s_delay_alu instid0(SALU_CYCLE_1)
	s_and_not1_b32 vcc_lo, exec_lo, s1
	s_cbranch_vccnz .LBB47_2001
; %bb.2000:
	s_wait_xcnt 0x0
	v_cndmask_b32_e64 v1, 0, 1.0, s0
	s_delay_alu instid0(VALU_DEP_1) | instskip(NEXT) | instid1(VALU_DEP_1)
	v_cvt_f16_f32_e32 v1, v1
	v_and_b32_e32 v1, 0xffff, v1
	global_store_b32 v[2:3], v1, off
.LBB47_2001:
	s_mov_b32 s1, 0
.LBB47_2002:
	s_delay_alu instid0(SALU_CYCLE_1)
	s_and_not1_b32 vcc_lo, exec_lo, s1
	s_cbranch_vccnz .LBB47_2011
; %bb.2003:
	s_cmp_lt_i32 s2, 6
	s_mov_b32 s1, -1
	s_cbranch_scc1 .LBB47_2009
; %bb.2004:
	s_cmp_gt_i32 s2, 6
	s_cbranch_scc0 .LBB47_2006
; %bb.2005:
	s_wait_xcnt 0x0
	v_cndmask_b32_e64 v1, 0, 1, s0
	s_mov_b32 s1, 0
	s_delay_alu instid0(VALU_DEP_1)
	v_cvt_f64_u32_e32 v[4:5], v1
	global_store_b64 v[2:3], v[4:5], off
.LBB47_2006:
	s_and_not1_b32 vcc_lo, exec_lo, s1
	s_cbranch_vccnz .LBB47_2008
; %bb.2007:
	s_wait_xcnt 0x0
	v_cndmask_b32_e64 v1, 0, 1.0, s0
	global_store_b32 v[2:3], v1, off
.LBB47_2008:
	s_mov_b32 s1, 0
.LBB47_2009:
	s_delay_alu instid0(SALU_CYCLE_1)
	s_and_not1_b32 vcc_lo, exec_lo, s1
	s_cbranch_vccnz .LBB47_2011
; %bb.2010:
	s_wait_xcnt 0x0
	v_cndmask_b32_e64 v1, 0, 1.0, s0
	s_delay_alu instid0(VALU_DEP_1)
	v_cvt_f16_f32_e32 v1, v1
	global_store_b16 v[2:3], v1, off
.LBB47_2011:
	s_mov_b32 s1, 0
.LBB47_2012:
	s_delay_alu instid0(SALU_CYCLE_1)
	s_and_not1_b32 vcc_lo, exec_lo, s1
	s_cbranch_vccnz .LBB47_2028
; %bb.2013:
	s_cmp_lt_i32 s2, 2
	s_mov_b32 s1, -1
	s_cbranch_scc1 .LBB47_2023
; %bb.2014:
	s_cmp_lt_i32 s2, 3
	s_cbranch_scc1 .LBB47_2020
; %bb.2015:
	s_cmp_gt_i32 s2, 3
	s_cbranch_scc0 .LBB47_2017
; %bb.2016:
	s_mov_b32 s1, 0
	s_wait_xcnt 0x0
	v_cndmask_b32_e64 v4, 0, 1, s0
	v_mov_b32_e32 v5, s1
	global_store_b64 v[2:3], v[4:5], off
.LBB47_2017:
	s_and_not1_b32 vcc_lo, exec_lo, s1
	s_cbranch_vccnz .LBB47_2019
; %bb.2018:
	s_wait_xcnt 0x0
	v_cndmask_b32_e64 v1, 0, 1, s0
	global_store_b32 v[2:3], v1, off
.LBB47_2019:
	s_mov_b32 s1, 0
.LBB47_2020:
	s_delay_alu instid0(SALU_CYCLE_1)
	s_and_not1_b32 vcc_lo, exec_lo, s1
	s_cbranch_vccnz .LBB47_2022
; %bb.2021:
	s_wait_xcnt 0x0
	v_cndmask_b32_e64 v1, 0, 1, s0
	global_store_b16 v[2:3], v1, off
.LBB47_2022:
	s_mov_b32 s1, 0
.LBB47_2023:
	s_delay_alu instid0(SALU_CYCLE_1)
	s_and_not1_b32 vcc_lo, exec_lo, s1
	s_cbranch_vccnz .LBB47_2028
; %bb.2024:
	s_cmp_gt_i32 s2, 0
	s_mov_b32 s1, -1
	s_cbranch_scc0 .LBB47_2026
; %bb.2025:
	s_wait_xcnt 0x0
	v_cndmask_b32_e64 v1, 0, 1, s0
	s_mov_b32 s1, 0
	global_store_b8 v[2:3], v1, off
.LBB47_2026:
	s_and_not1_b32 vcc_lo, exec_lo, s1
	s_cbranch_vccnz .LBB47_2028
; %bb.2027:
	s_wait_xcnt 0x0
	v_cndmask_b32_e64 v1, 0, 1, s0
	global_store_b8 v[2:3], v1, off
.LBB47_2028:
	s_mov_b32 s7, -1
.LBB47_2029:
	s_delay_alu instid0(SALU_CYCLE_1)
	s_and_not1_b32 vcc_lo, exec_lo, s7
	s_cbranch_vccnz .LBB47_2106
; %bb.2030:
	s_wait_xcnt 0x0
	v_mov_b32_e32 v1, 0
	v_cmp_eq_f32_e64 s1, 0x7f800000, v10
	s_cmp_lt_i32 s2, 11
	v_add_nc_u64_e32 v[2:3], s[4:5], v[0:1]
	s_cbranch_scc1 .LBB47_2151
; %bb.2031:
	s_mov_b32 s4, -1
	s_mov_b32 s3, 0
	s_cmp_gt_i32 s2, 25
	s_mov_b32 s0, 0
	s_cbranch_scc0 .LBB47_2064
; %bb.2032:
	s_cmp_gt_i32 s2, 28
	s_cbranch_scc0 .LBB47_2048
; %bb.2033:
	s_cmp_gt_i32 s2, 43
	;; [unrolled: 3-line block ×3, first 2 shown]
	s_cbranch_scc0 .LBB47_2038
; %bb.2035:
	s_cmp_eq_u32 s2, 46
	s_mov_b32 s0, -1
	s_cbranch_scc0 .LBB47_2037
; %bb.2036:
	v_cndmask_b32_e64 v0, 0, 1.0, s1
	s_mov_b32 s0, 0
	s_delay_alu instid0(VALU_DEP_1) | instskip(NEXT) | instid1(VALU_DEP_1)
	v_bfe_u32 v1, v0, 16, 1
	v_add3_u32 v0, v0, v1, 0x7fff
	s_delay_alu instid0(VALU_DEP_1)
	v_lshrrev_b32_e32 v0, 16, v0
	global_store_b32 v[2:3], v0, off
.LBB47_2037:
	s_mov_b32 s4, 0
.LBB47_2038:
	s_delay_alu instid0(SALU_CYCLE_1)
	s_and_b32 vcc_lo, exec_lo, s4
	s_cbranch_vccz .LBB47_2043
; %bb.2039:
	s_cmp_eq_u32 s2, 44
	s_mov_b32 s0, -1
	s_cbranch_scc0 .LBB47_2043
; %bb.2040:
	v_cndmask_b32_e64 v4, 0, 1.0, s1
	s_mov_b32 s4, exec_lo
	s_wait_xcnt 0x0
	s_delay_alu instid0(VALU_DEP_1) | instskip(NEXT) | instid1(VALU_DEP_1)
	v_dual_mov_b32 v1, 0xff :: v_dual_lshrrev_b32 v0, 23, v4
	v_cmpx_ne_u32_e32 0xff, v0
; %bb.2041:
	v_and_b32_e32 v1, 0x400000, v4
	v_and_or_b32 v4, 0x3fffff, v4, v0
	s_delay_alu instid0(VALU_DEP_2) | instskip(NEXT) | instid1(VALU_DEP_2)
	v_cmp_ne_u32_e32 vcc_lo, 0, v1
	v_cmp_ne_u32_e64 s0, 0, v4
	s_and_b32 s0, vcc_lo, s0
	s_delay_alu instid0(SALU_CYCLE_1) | instskip(NEXT) | instid1(VALU_DEP_1)
	v_cndmask_b32_e64 v1, 0, 1, s0
	v_add_nc_u32_e32 v1, v0, v1
; %bb.2042:
	s_or_b32 exec_lo, exec_lo, s4
	s_mov_b32 s0, 0
	global_store_b8 v[2:3], v1, off
.LBB47_2043:
	s_mov_b32 s4, 0
.LBB47_2044:
	s_delay_alu instid0(SALU_CYCLE_1)
	s_and_b32 vcc_lo, exec_lo, s4
	s_cbranch_vccz .LBB47_2047
; %bb.2045:
	s_cmp_eq_u32 s2, 29
	s_mov_b32 s0, -1
	s_cbranch_scc0 .LBB47_2047
; %bb.2046:
	s_mov_b32 s0, 0
	s_wait_xcnt 0x0
	v_cndmask_b32_e64 v0, 0, 1, s1
	v_mov_b32_e32 v1, s0
	global_store_b64 v[2:3], v[0:1], off
.LBB47_2047:
	s_mov_b32 s4, 0
.LBB47_2048:
	s_delay_alu instid0(SALU_CYCLE_1)
	s_and_b32 vcc_lo, exec_lo, s4
	s_cbranch_vccz .LBB47_2063
; %bb.2049:
	s_cmp_lt_i32 s2, 27
	s_mov_b32 s4, -1
	s_cbranch_scc1 .LBB47_2055
; %bb.2050:
	s_cmp_gt_i32 s2, 27
	s_cbranch_scc0 .LBB47_2052
; %bb.2051:
	s_wait_xcnt 0x0
	v_cndmask_b32_e64 v0, 0, 1, s1
	s_mov_b32 s4, 0
	global_store_b32 v[2:3], v0, off
.LBB47_2052:
	s_and_not1_b32 vcc_lo, exec_lo, s4
	s_cbranch_vccnz .LBB47_2054
; %bb.2053:
	s_wait_xcnt 0x0
	v_cndmask_b32_e64 v0, 0, 1, s1
	global_store_b16 v[2:3], v0, off
.LBB47_2054:
	s_mov_b32 s4, 0
.LBB47_2055:
	s_delay_alu instid0(SALU_CYCLE_1)
	s_and_not1_b32 vcc_lo, exec_lo, s4
	s_cbranch_vccnz .LBB47_2063
; %bb.2056:
	s_wait_xcnt 0x0
	v_cndmask_b32_e64 v1, 0, 1.0, s1
	v_mov_b32_e32 v4, 0x80
	s_mov_b32 s4, exec_lo
	s_delay_alu instid0(VALU_DEP_2)
	v_cmpx_gt_u32_e32 0x43800000, v1
	s_cbranch_execz .LBB47_2062
; %bb.2057:
	s_mov_b32 s5, 0
	s_mov_b32 s7, exec_lo
                                        ; implicit-def: $vgpr0
	v_cmpx_lt_u32_e32 0x3bffffff, v1
	s_xor_b32 s7, exec_lo, s7
	s_cbranch_execz .LBB47_2168
; %bb.2058:
	v_bfe_u32 v0, v1, 20, 1
	s_mov_b32 s5, exec_lo
	s_delay_alu instid0(VALU_DEP_1) | instskip(NEXT) | instid1(VALU_DEP_1)
	v_add3_u32 v0, v1, v0, 0x487ffff
                                        ; implicit-def: $vgpr1
	v_lshrrev_b32_e32 v0, 20, v0
	s_and_not1_saveexec_b32 s7, s7
	s_cbranch_execnz .LBB47_2169
.LBB47_2059:
	s_or_b32 exec_lo, exec_lo, s7
	v_mov_b32_e32 v4, 0
	s_and_saveexec_b32 s7, s5
.LBB47_2060:
	v_mov_b32_e32 v4, v0
.LBB47_2061:
	s_or_b32 exec_lo, exec_lo, s7
.LBB47_2062:
	s_delay_alu instid0(SALU_CYCLE_1)
	s_or_b32 exec_lo, exec_lo, s4
	global_store_b8 v[2:3], v4, off
.LBB47_2063:
	s_mov_b32 s4, 0
.LBB47_2064:
	s_delay_alu instid0(SALU_CYCLE_1)
	s_and_b32 vcc_lo, exec_lo, s4
	s_cbranch_vccz .LBB47_2104
; %bb.2065:
	s_cmp_gt_i32 s2, 22
	s_mov_b32 s3, -1
	s_cbranch_scc0 .LBB47_2097
; %bb.2066:
	s_cmp_lt_i32 s2, 24
	s_cbranch_scc1 .LBB47_2086
; %bb.2067:
	s_cmp_gt_i32 s2, 24
	s_cbranch_scc0 .LBB47_2075
; %bb.2068:
	s_wait_xcnt 0x0
	v_cndmask_b32_e64 v1, 0, 1.0, s1
	v_mov_b32_e32 v4, 0x80
	s_mov_b32 s3, exec_lo
	s_delay_alu instid0(VALU_DEP_2)
	v_cmpx_gt_u32_e32 0x47800000, v1
	s_cbranch_execz .LBB47_2074
; %bb.2069:
	s_mov_b32 s4, 0
	s_mov_b32 s5, exec_lo
                                        ; implicit-def: $vgpr0
	v_cmpx_lt_u32_e32 0x37ffffff, v1
	s_xor_b32 s5, exec_lo, s5
	s_cbranch_execz .LBB47_2171
; %bb.2070:
	v_bfe_u32 v0, v1, 21, 1
	s_mov_b32 s4, exec_lo
	s_delay_alu instid0(VALU_DEP_1) | instskip(NEXT) | instid1(VALU_DEP_1)
	v_add3_u32 v0, v1, v0, 0x88fffff
                                        ; implicit-def: $vgpr1
	v_lshrrev_b32_e32 v0, 21, v0
	s_and_not1_saveexec_b32 s5, s5
	s_cbranch_execnz .LBB47_2172
.LBB47_2071:
	s_or_b32 exec_lo, exec_lo, s5
	v_mov_b32_e32 v4, 0
	s_and_saveexec_b32 s5, s4
.LBB47_2072:
	v_mov_b32_e32 v4, v0
.LBB47_2073:
	s_or_b32 exec_lo, exec_lo, s5
.LBB47_2074:
	s_delay_alu instid0(SALU_CYCLE_1)
	s_or_b32 exec_lo, exec_lo, s3
	s_mov_b32 s3, 0
	global_store_b8 v[2:3], v4, off
.LBB47_2075:
	s_and_b32 vcc_lo, exec_lo, s3
	s_cbranch_vccz .LBB47_2085
; %bb.2076:
	s_wait_xcnt 0x0
	v_cndmask_b32_e64 v1, 0, 1.0, s1
	s_mov_b32 s3, exec_lo
                                        ; implicit-def: $vgpr0
	s_delay_alu instid0(VALU_DEP_1)
	v_cmpx_gt_u32_e32 0x43f00000, v1
	s_xor_b32 s3, exec_lo, s3
	s_cbranch_execz .LBB47_2082
; %bb.2077:
	s_mov_b32 s4, exec_lo
                                        ; implicit-def: $vgpr0
	v_cmpx_lt_u32_e32 0x3c7fffff, v1
	s_xor_b32 s4, exec_lo, s4
; %bb.2078:
	v_bfe_u32 v0, v1, 20, 1
	s_delay_alu instid0(VALU_DEP_1) | instskip(NEXT) | instid1(VALU_DEP_1)
	v_add3_u32 v0, v1, v0, 0x407ffff
	v_and_b32_e32 v1, 0xff00000, v0
	v_lshrrev_b32_e32 v0, 20, v0
	s_delay_alu instid0(VALU_DEP_2) | instskip(NEXT) | instid1(VALU_DEP_2)
	v_cmp_ne_u32_e32 vcc_lo, 0x7f00000, v1
                                        ; implicit-def: $vgpr1
	v_cndmask_b32_e32 v0, 0x7e, v0, vcc_lo
; %bb.2079:
	s_and_not1_saveexec_b32 s4, s4
; %bb.2080:
	v_add_f32_e32 v0, 0x46800000, v1
; %bb.2081:
	s_or_b32 exec_lo, exec_lo, s4
                                        ; implicit-def: $vgpr1
.LBB47_2082:
	s_and_not1_saveexec_b32 s3, s3
; %bb.2083:
	v_mov_b32_e32 v0, 0x7f
	v_cmp_lt_u32_e32 vcc_lo, 0x7f800000, v1
	s_delay_alu instid0(VALU_DEP_2)
	v_cndmask_b32_e32 v0, 0x7e, v0, vcc_lo
; %bb.2084:
	s_or_b32 exec_lo, exec_lo, s3
	global_store_b8 v[2:3], v0, off
.LBB47_2085:
	s_mov_b32 s3, 0
.LBB47_2086:
	s_delay_alu instid0(SALU_CYCLE_1)
	s_and_not1_b32 vcc_lo, exec_lo, s3
	s_cbranch_vccnz .LBB47_2096
; %bb.2087:
	s_wait_xcnt 0x0
	v_cndmask_b32_e64 v1, 0, 1.0, s1
	s_mov_b32 s3, exec_lo
                                        ; implicit-def: $vgpr0
	s_delay_alu instid0(VALU_DEP_1)
	v_cmpx_gt_u32_e32 0x47800000, v1
	s_xor_b32 s3, exec_lo, s3
	s_cbranch_execz .LBB47_2093
; %bb.2088:
	s_mov_b32 s4, exec_lo
                                        ; implicit-def: $vgpr0
	v_cmpx_lt_u32_e32 0x387fffff, v1
	s_xor_b32 s4, exec_lo, s4
; %bb.2089:
	v_bfe_u32 v0, v1, 21, 1
	s_delay_alu instid0(VALU_DEP_1) | instskip(NEXT) | instid1(VALU_DEP_1)
	v_add3_u32 v0, v1, v0, 0x80fffff
                                        ; implicit-def: $vgpr1
	v_lshrrev_b32_e32 v0, 21, v0
; %bb.2090:
	s_and_not1_saveexec_b32 s4, s4
; %bb.2091:
	v_add_f32_e32 v0, 0x43000000, v1
; %bb.2092:
	s_or_b32 exec_lo, exec_lo, s4
                                        ; implicit-def: $vgpr1
.LBB47_2093:
	s_and_not1_saveexec_b32 s3, s3
; %bb.2094:
	v_mov_b32_e32 v0, 0x7f
	v_cmp_lt_u32_e32 vcc_lo, 0x7f800000, v1
	s_delay_alu instid0(VALU_DEP_2)
	v_cndmask_b32_e32 v0, 0x7c, v0, vcc_lo
; %bb.2095:
	s_or_b32 exec_lo, exec_lo, s3
	global_store_b8 v[2:3], v0, off
.LBB47_2096:
	s_mov_b32 s3, 0
.LBB47_2097:
	s_delay_alu instid0(SALU_CYCLE_1)
	s_and_not1_b32 vcc_lo, exec_lo, s3
	s_mov_b32 s3, 0
	s_cbranch_vccnz .LBB47_2104
; %bb.2098:
	s_cmp_gt_i32 s2, 14
	s_mov_b32 s3, -1
	s_cbranch_scc0 .LBB47_2102
; %bb.2099:
	s_cmp_eq_u32 s2, 15
	s_mov_b32 s0, -1
	s_cbranch_scc0 .LBB47_2101
; %bb.2100:
	s_wait_xcnt 0x0
	v_cndmask_b32_e64 v0, 0, 1.0, s1
	s_mov_b32 s0, 0
	s_delay_alu instid0(VALU_DEP_1) | instskip(NEXT) | instid1(VALU_DEP_1)
	v_bfe_u32 v1, v0, 16, 1
	v_add3_u32 v0, v0, v1, 0x7fff
	global_store_d16_hi_b16 v[2:3], v0, off
.LBB47_2101:
	s_mov_b32 s3, 0
.LBB47_2102:
	s_delay_alu instid0(SALU_CYCLE_1)
	s_and_b32 vcc_lo, exec_lo, s3
	s_mov_b32 s3, 0
	s_cbranch_vccz .LBB47_2104
; %bb.2103:
	s_cmp_lg_u32 s2, 11
	s_mov_b32 s3, -1
	s_cselect_b32 s0, -1, 0
.LBB47_2104:
	s_delay_alu instid0(SALU_CYCLE_1)
	s_and_b32 vcc_lo, exec_lo, s0
	s_cbranch_vccnz .LBB47_2170
.LBB47_2105:
	s_mov_b32 s0, 0
	s_branch .LBB47_2107
.LBB47_2106:
	s_mov_b32 s0, 0
	s_mov_b32 s3, 0
                                        ; implicit-def: $sgpr1
                                        ; implicit-def: $vgpr2_vgpr3
                                        ; implicit-def: $sgpr6
.LBB47_2107:
	s_and_not1_b32 s2, s8, exec_lo
	s_and_b32 s4, s10, exec_lo
	s_and_b32 s0, s0, exec_lo
	;; [unrolled: 1-line block ×3, first 2 shown]
	s_or_b32 s8, s2, s4
.LBB47_2108:
	s_wait_xcnt 0x0
	s_or_b32 exec_lo, exec_lo, s9
	s_and_saveexec_b32 s2, s8
	s_cbranch_execz .LBB47_2111
; %bb.2109:
	; divergent unreachable
	s_or_b32 exec_lo, exec_lo, s2
	s_and_saveexec_b32 s2, s30
	s_delay_alu instid0(SALU_CYCLE_1)
	s_xor_b32 s2, exec_lo, s2
	s_cbranch_execnz .LBB47_2112
.LBB47_2110:
	s_or_b32 exec_lo, exec_lo, s2
	s_and_saveexec_b32 s2, s0
	s_cbranch_execnz .LBB47_2113
	s_branch .LBB47_2150
.LBB47_2111:
	s_or_b32 exec_lo, exec_lo, s2
	s_and_saveexec_b32 s2, s30
	s_delay_alu instid0(SALU_CYCLE_1)
	s_xor_b32 s2, exec_lo, s2
	s_cbranch_execz .LBB47_2110
.LBB47_2112:
	v_cndmask_b32_e64 v0, 0, 1, s1
	s_wait_loadcnt 0x0
	global_store_b8 v[2:3], v0, off
	s_wait_xcnt 0x0
	s_or_b32 exec_lo, exec_lo, s2
	s_and_saveexec_b32 s2, s0
	s_cbranch_execz .LBB47_2150
.LBB47_2113:
	s_sext_i32_i16 s2, s6
	s_mov_b32 s0, -1
	s_cmp_lt_i32 s2, 5
	s_cbranch_scc1 .LBB47_2134
; %bb.2114:
	s_cmp_lt_i32 s2, 8
	s_cbranch_scc1 .LBB47_2124
; %bb.2115:
	;; [unrolled: 3-line block ×3, first 2 shown]
	s_cmp_gt_i32 s2, 9
	s_cbranch_scc0 .LBB47_2118
; %bb.2117:
	v_cndmask_b32_e64 v0, 0, 1, s1
	s_wait_loadcnt 0x0
	v_mov_b32_e32 v6, 0
	s_mov_b32 s0, 0
	s_delay_alu instid0(VALU_DEP_2) | instskip(NEXT) | instid1(VALU_DEP_2)
	v_cvt_f64_u32_e32 v[4:5], v0
	v_mov_b32_e32 v7, v6
	global_store_b128 v[2:3], v[4:7], off
.LBB47_2118:
	s_and_not1_b32 vcc_lo, exec_lo, s0
	s_cbranch_vccnz .LBB47_2120
; %bb.2119:
	v_cndmask_b32_e64 v0, 0, 1.0, s1
	s_wait_loadcnt 0x0
	v_mov_b32_e32 v1, 0
	global_store_b64 v[2:3], v[0:1], off
.LBB47_2120:
	s_mov_b32 s0, 0
.LBB47_2121:
	s_delay_alu instid0(SALU_CYCLE_1)
	s_and_not1_b32 vcc_lo, exec_lo, s0
	s_cbranch_vccnz .LBB47_2123
; %bb.2122:
	s_wait_xcnt 0x0
	v_cndmask_b32_e64 v0, 0, 1.0, s1
	s_delay_alu instid0(VALU_DEP_1) | instskip(NEXT) | instid1(VALU_DEP_1)
	v_cvt_f16_f32_e32 v0, v0
	v_and_b32_e32 v0, 0xffff, v0
	s_wait_loadcnt 0x0
	global_store_b32 v[2:3], v0, off
.LBB47_2123:
	s_mov_b32 s0, 0
.LBB47_2124:
	s_delay_alu instid0(SALU_CYCLE_1)
	s_and_not1_b32 vcc_lo, exec_lo, s0
	s_cbranch_vccnz .LBB47_2133
; %bb.2125:
	s_sext_i32_i16 s2, s6
	s_mov_b32 s0, -1
	s_cmp_lt_i32 s2, 6
	s_cbranch_scc1 .LBB47_2131
; %bb.2126:
	s_cmp_gt_i32 s2, 6
	s_cbranch_scc0 .LBB47_2128
; %bb.2127:
	s_wait_xcnt 0x0
	v_cndmask_b32_e64 v0, 0, 1, s1
	s_mov_b32 s0, 0
	s_wait_loadcnt 0x0
	s_delay_alu instid0(VALU_DEP_1)
	v_cvt_f64_u32_e32 v[0:1], v0
	global_store_b64 v[2:3], v[0:1], off
.LBB47_2128:
	s_and_not1_b32 vcc_lo, exec_lo, s0
	s_cbranch_vccnz .LBB47_2130
; %bb.2129:
	s_wait_xcnt 0x0
	v_cndmask_b32_e64 v0, 0, 1.0, s1
	s_wait_loadcnt 0x0
	global_store_b32 v[2:3], v0, off
.LBB47_2130:
	s_mov_b32 s0, 0
.LBB47_2131:
	s_delay_alu instid0(SALU_CYCLE_1)
	s_and_not1_b32 vcc_lo, exec_lo, s0
	s_cbranch_vccnz .LBB47_2133
; %bb.2132:
	s_wait_xcnt 0x0
	v_cndmask_b32_e64 v0, 0, 1.0, s1
	s_delay_alu instid0(VALU_DEP_1)
	v_cvt_f16_f32_e32 v0, v0
	s_wait_loadcnt 0x0
	global_store_b16 v[2:3], v0, off
.LBB47_2133:
	s_mov_b32 s0, 0
.LBB47_2134:
	s_delay_alu instid0(SALU_CYCLE_1)
	s_and_not1_b32 vcc_lo, exec_lo, s0
	s_cbranch_vccnz .LBB47_2150
; %bb.2135:
	s_sext_i32_i16 s2, s6
	s_mov_b32 s0, -1
	s_cmp_lt_i32 s2, 2
	s_cbranch_scc1 .LBB47_2145
; %bb.2136:
	s_cmp_lt_i32 s2, 3
	s_cbranch_scc1 .LBB47_2142
; %bb.2137:
	s_cmp_gt_i32 s2, 3
	s_cbranch_scc0 .LBB47_2139
; %bb.2138:
	s_mov_b32 s0, 0
	s_wait_xcnt 0x0
	v_cndmask_b32_e64 v0, 0, 1, s1
	s_wait_loadcnt 0x0
	v_mov_b32_e32 v1, s0
	global_store_b64 v[2:3], v[0:1], off
.LBB47_2139:
	s_and_not1_b32 vcc_lo, exec_lo, s0
	s_cbranch_vccnz .LBB47_2141
; %bb.2140:
	s_wait_xcnt 0x0
	v_cndmask_b32_e64 v0, 0, 1, s1
	s_wait_loadcnt 0x0
	global_store_b32 v[2:3], v0, off
.LBB47_2141:
	s_mov_b32 s0, 0
.LBB47_2142:
	s_delay_alu instid0(SALU_CYCLE_1)
	s_and_not1_b32 vcc_lo, exec_lo, s0
	s_cbranch_vccnz .LBB47_2144
; %bb.2143:
	s_wait_xcnt 0x0
	v_cndmask_b32_e64 v0, 0, 1, s1
	s_wait_loadcnt 0x0
	global_store_b16 v[2:3], v0, off
.LBB47_2144:
	s_mov_b32 s0, 0
.LBB47_2145:
	s_delay_alu instid0(SALU_CYCLE_1)
	s_and_not1_b32 vcc_lo, exec_lo, s0
	s_cbranch_vccnz .LBB47_2150
; %bb.2146:
	s_sext_i32_i16 s0, s6
	s_delay_alu instid0(SALU_CYCLE_1)
	s_cmp_gt_i32 s0, 0
	s_mov_b32 s0, -1
	s_cbranch_scc0 .LBB47_2148
; %bb.2147:
	s_wait_xcnt 0x0
	v_cndmask_b32_e64 v0, 0, 1, s1
	s_mov_b32 s0, 0
	s_wait_loadcnt 0x0
	global_store_b8 v[2:3], v0, off
.LBB47_2148:
	s_and_not1_b32 vcc_lo, exec_lo, s0
	s_cbranch_vccnz .LBB47_2150
; %bb.2149:
	s_wait_xcnt 0x0
	v_cndmask_b32_e64 v0, 0, 1, s1
	s_wait_loadcnt 0x0
	global_store_b8 v[2:3], v0, off
	s_endpgm
.LBB47_2150:
	s_endpgm
.LBB47_2151:
	s_mov_b32 s3, 0
	s_mov_b32 s0, -1
	s_branch .LBB47_2107
.LBB47_2152:
	s_or_b32 s10, s10, exec_lo
	s_trap 2
	s_cbranch_execz .LBB47_1621
	s_branch .LBB47_1622
.LBB47_2153:
	s_and_not1_saveexec_b32 s12, s12
	s_cbranch_execz .LBB47_1701
.LBB47_2154:
	v_add_f32_e32 v1, 0x46000000, v5
	s_and_not1_b32 s11, s11, exec_lo
	s_delay_alu instid0(VALU_DEP_1) | instskip(NEXT) | instid1(VALU_DEP_1)
	v_and_b32_e32 v1, 0xff, v1
	v_cmp_ne_u32_e32 vcc_lo, 0, v1
	s_and_b32 s13, vcc_lo, exec_lo
	s_delay_alu instid0(SALU_CYCLE_1)
	s_or_b32 s11, s11, s13
	s_or_b32 exec_lo, exec_lo, s12
	v_mov_b32_e32 v8, 0
	s_and_saveexec_b32 s12, s11
	s_cbranch_execnz .LBB47_1702
	s_branch .LBB47_1703
.LBB47_2155:
	s_or_b32 s10, s10, exec_lo
	s_trap 2
	s_cbranch_execz .LBB47_1749
	s_branch .LBB47_1750
.LBB47_2156:
	s_and_not1_saveexec_b32 s11, s11
	s_cbranch_execz .LBB47_1714
.LBB47_2157:
	v_add_f32_e32 v1, 0x42800000, v5
	s_and_not1_b32 s7, s7, exec_lo
	s_delay_alu instid0(VALU_DEP_1) | instskip(NEXT) | instid1(VALU_DEP_1)
	v_and_b32_e32 v1, 0xff, v1
	v_cmp_ne_u32_e32 vcc_lo, 0, v1
	s_and_b32 s12, vcc_lo, exec_lo
	s_delay_alu instid0(SALU_CYCLE_1)
	s_or_b32 s7, s7, s12
	s_or_b32 exec_lo, exec_lo, s11
	v_mov_b32_e32 v8, 0
	s_and_saveexec_b32 s11, s7
	s_cbranch_execnz .LBB47_1715
	s_branch .LBB47_1716
.LBB47_2158:
	s_and_not1_saveexec_b32 s12, s12
	s_cbranch_execz .LBB47_1820
.LBB47_2159:
	v_add_f32_e32 v1, 0x46000000, v3
	s_and_not1_b32 s11, s11, exec_lo
	s_delay_alu instid0(VALU_DEP_1) | instskip(NEXT) | instid1(VALU_DEP_1)
	v_and_b32_e32 v1, 0xff, v1
	v_cmp_ne_u32_e32 vcc_lo, 0, v1
	s_and_b32 s13, vcc_lo, exec_lo
	s_delay_alu instid0(SALU_CYCLE_1)
	s_or_b32 s11, s11, s13
	s_or_b32 exec_lo, exec_lo, s12
	v_mov_b32_e32 v6, 0
	s_and_saveexec_b32 s12, s11
	s_cbranch_execnz .LBB47_1821
	s_branch .LBB47_1822
.LBB47_2160:
	s_or_b32 s10, s10, exec_lo
	s_trap 2
	s_cbranch_execz .LBB47_1868
	s_branch .LBB47_1869
.LBB47_2161:
	s_and_not1_saveexec_b32 s11, s11
	s_cbranch_execz .LBB47_1833
.LBB47_2162:
	v_add_f32_e32 v1, 0x42800000, v3
	s_and_not1_b32 s7, s7, exec_lo
	s_delay_alu instid0(VALU_DEP_1) | instskip(NEXT) | instid1(VALU_DEP_1)
	v_and_b32_e32 v1, 0xff, v1
	v_cmp_ne_u32_e32 vcc_lo, 0, v1
	s_and_b32 s12, vcc_lo, exec_lo
	s_delay_alu instid0(SALU_CYCLE_1)
	s_or_b32 s7, s7, s12
	s_or_b32 exec_lo, exec_lo, s11
	v_mov_b32_e32 v6, 0
	s_and_saveexec_b32 s11, s7
	s_cbranch_execnz .LBB47_1834
	s_branch .LBB47_1835
.LBB47_2163:
	s_and_not1_saveexec_b32 s12, s12
	s_cbranch_execz .LBB47_1939
.LBB47_2164:
	v_add_f32_e32 v1, 0x46000000, v4
	s_and_not1_b32 s11, s11, exec_lo
	s_delay_alu instid0(VALU_DEP_1) | instskip(NEXT) | instid1(VALU_DEP_1)
	v_and_b32_e32 v1, 0xff, v1
	v_cmp_ne_u32_e32 vcc_lo, 0, v1
	s_and_b32 s13, vcc_lo, exec_lo
	s_delay_alu instid0(SALU_CYCLE_1)
	s_or_b32 s11, s11, s13
	s_or_b32 exec_lo, exec_lo, s12
	v_mov_b32_e32 v5, 0
	s_and_saveexec_b32 s12, s11
	s_cbranch_execnz .LBB47_1940
	s_branch .LBB47_1941
.LBB47_2165:
	s_or_b32 s10, s10, exec_lo
	s_trap 2
	s_cbranch_execz .LBB47_1987
	s_branch .LBB47_1988
.LBB47_2166:
	s_and_not1_saveexec_b32 s11, s11
	s_cbranch_execz .LBB47_1952
.LBB47_2167:
	v_add_f32_e32 v1, 0x42800000, v4
	s_and_not1_b32 s7, s7, exec_lo
	s_delay_alu instid0(VALU_DEP_1) | instskip(NEXT) | instid1(VALU_DEP_1)
	v_and_b32_e32 v1, 0xff, v1
	v_cmp_ne_u32_e32 vcc_lo, 0, v1
	s_and_b32 s12, vcc_lo, exec_lo
	s_delay_alu instid0(SALU_CYCLE_1)
	s_or_b32 s7, s7, s12
	s_or_b32 exec_lo, exec_lo, s11
	v_mov_b32_e32 v5, 0
	s_and_saveexec_b32 s11, s7
	s_cbranch_execnz .LBB47_1953
	s_branch .LBB47_1954
.LBB47_2168:
	s_and_not1_saveexec_b32 s7, s7
	s_cbranch_execz .LBB47_2059
.LBB47_2169:
	v_add_f32_e32 v0, 0x46000000, v1
	s_and_not1_b32 s5, s5, exec_lo
	s_delay_alu instid0(VALU_DEP_1) | instskip(NEXT) | instid1(VALU_DEP_1)
	v_and_b32_e32 v0, 0xff, v0
	v_cmp_ne_u32_e32 vcc_lo, 0, v0
	s_and_b32 s11, vcc_lo, exec_lo
	s_delay_alu instid0(SALU_CYCLE_1)
	s_or_b32 s5, s5, s11
	s_or_b32 exec_lo, exec_lo, s7
	v_mov_b32_e32 v4, 0
	s_and_saveexec_b32 s7, s5
	s_cbranch_execnz .LBB47_2060
	s_branch .LBB47_2061
.LBB47_2170:
	s_mov_b32 s3, 0
	s_or_b32 s10, s10, exec_lo
	s_trap 2
	s_branch .LBB47_2105
.LBB47_2171:
	s_and_not1_saveexec_b32 s5, s5
	s_cbranch_execz .LBB47_2071
.LBB47_2172:
	v_add_f32_e32 v0, 0x42800000, v1
	s_and_not1_b32 s4, s4, exec_lo
	s_delay_alu instid0(VALU_DEP_1) | instskip(NEXT) | instid1(VALU_DEP_1)
	v_and_b32_e32 v0, 0xff, v0
	v_cmp_ne_u32_e32 vcc_lo, 0, v0
	s_and_b32 s7, vcc_lo, exec_lo
	s_delay_alu instid0(SALU_CYCLE_1)
	s_or_b32 s4, s4, s7
	s_or_b32 exec_lo, exec_lo, s5
	v_mov_b32_e32 v4, 0
	s_and_saveexec_b32 s5, s4
	s_cbranch_execnz .LBB47_2072
	s_branch .LBB47_2073
	.section	.rodata,"a",@progbits
	.p2align	6, 0x0
	.amdhsa_kernel _ZN2at6native32elementwise_kernel_manual_unrollILi128ELi4EZNS0_15gpu_kernel_implIZZZNS0_12_GLOBAL__N_120isposinf_kernel_implERNS_18TensorIteratorBaseEENKUlvE_clEvENKUlvE0_clEvEUlfE_EEvS5_RKT_EUlibE0_EEviT1_
		.amdhsa_group_segment_fixed_size 0
		.amdhsa_private_segment_fixed_size 0
		.amdhsa_kernarg_size 360
		.amdhsa_user_sgpr_count 2
		.amdhsa_user_sgpr_dispatch_ptr 0
		.amdhsa_user_sgpr_queue_ptr 0
		.amdhsa_user_sgpr_kernarg_segment_ptr 1
		.amdhsa_user_sgpr_dispatch_id 0
		.amdhsa_user_sgpr_kernarg_preload_length 0
		.amdhsa_user_sgpr_kernarg_preload_offset 0
		.amdhsa_user_sgpr_private_segment_size 0
		.amdhsa_wavefront_size32 1
		.amdhsa_uses_dynamic_stack 0
		.amdhsa_enable_private_segment 0
		.amdhsa_system_sgpr_workgroup_id_x 1
		.amdhsa_system_sgpr_workgroup_id_y 0
		.amdhsa_system_sgpr_workgroup_id_z 0
		.amdhsa_system_sgpr_workgroup_info 0
		.amdhsa_system_vgpr_workitem_id 0
		.amdhsa_next_free_vgpr 18
		.amdhsa_next_free_sgpr 68
		.amdhsa_named_barrier_count 0
		.amdhsa_reserve_vcc 1
		.amdhsa_float_round_mode_32 0
		.amdhsa_float_round_mode_16_64 0
		.amdhsa_float_denorm_mode_32 3
		.amdhsa_float_denorm_mode_16_64 3
		.amdhsa_fp16_overflow 0
		.amdhsa_memory_ordered 1
		.amdhsa_forward_progress 1
		.amdhsa_inst_pref_size 255
		.amdhsa_round_robin_scheduling 0
		.amdhsa_exception_fp_ieee_invalid_op 0
		.amdhsa_exception_fp_denorm_src 0
		.amdhsa_exception_fp_ieee_div_zero 0
		.amdhsa_exception_fp_ieee_overflow 0
		.amdhsa_exception_fp_ieee_underflow 0
		.amdhsa_exception_fp_ieee_inexact 0
		.amdhsa_exception_int_div_zero 0
	.end_amdhsa_kernel
	.section	.text._ZN2at6native32elementwise_kernel_manual_unrollILi128ELi4EZNS0_15gpu_kernel_implIZZZNS0_12_GLOBAL__N_120isposinf_kernel_implERNS_18TensorIteratorBaseEENKUlvE_clEvENKUlvE0_clEvEUlfE_EEvS5_RKT_EUlibE0_EEviT1_,"axG",@progbits,_ZN2at6native32elementwise_kernel_manual_unrollILi128ELi4EZNS0_15gpu_kernel_implIZZZNS0_12_GLOBAL__N_120isposinf_kernel_implERNS_18TensorIteratorBaseEENKUlvE_clEvENKUlvE0_clEvEUlfE_EEvS5_RKT_EUlibE0_EEviT1_,comdat
.Lfunc_end47:
	.size	_ZN2at6native32elementwise_kernel_manual_unrollILi128ELi4EZNS0_15gpu_kernel_implIZZZNS0_12_GLOBAL__N_120isposinf_kernel_implERNS_18TensorIteratorBaseEENKUlvE_clEvENKUlvE0_clEvEUlfE_EEvS5_RKT_EUlibE0_EEviT1_, .Lfunc_end47-_ZN2at6native32elementwise_kernel_manual_unrollILi128ELi4EZNS0_15gpu_kernel_implIZZZNS0_12_GLOBAL__N_120isposinf_kernel_implERNS_18TensorIteratorBaseEENKUlvE_clEvENKUlvE0_clEvEUlfE_EEvS5_RKT_EUlibE0_EEviT1_
                                        ; -- End function
	.set _ZN2at6native32elementwise_kernel_manual_unrollILi128ELi4EZNS0_15gpu_kernel_implIZZZNS0_12_GLOBAL__N_120isposinf_kernel_implERNS_18TensorIteratorBaseEENKUlvE_clEvENKUlvE0_clEvEUlfE_EEvS5_RKT_EUlibE0_EEviT1_.num_vgpr, 18
	.set _ZN2at6native32elementwise_kernel_manual_unrollILi128ELi4EZNS0_15gpu_kernel_implIZZZNS0_12_GLOBAL__N_120isposinf_kernel_implERNS_18TensorIteratorBaseEENKUlvE_clEvENKUlvE0_clEvEUlfE_EEvS5_RKT_EUlibE0_EEviT1_.num_agpr, 0
	.set _ZN2at6native32elementwise_kernel_manual_unrollILi128ELi4EZNS0_15gpu_kernel_implIZZZNS0_12_GLOBAL__N_120isposinf_kernel_implERNS_18TensorIteratorBaseEENKUlvE_clEvENKUlvE0_clEvEUlfE_EEvS5_RKT_EUlibE0_EEviT1_.numbered_sgpr, 68
	.set _ZN2at6native32elementwise_kernel_manual_unrollILi128ELi4EZNS0_15gpu_kernel_implIZZZNS0_12_GLOBAL__N_120isposinf_kernel_implERNS_18TensorIteratorBaseEENKUlvE_clEvENKUlvE0_clEvEUlfE_EEvS5_RKT_EUlibE0_EEviT1_.num_named_barrier, 0
	.set _ZN2at6native32elementwise_kernel_manual_unrollILi128ELi4EZNS0_15gpu_kernel_implIZZZNS0_12_GLOBAL__N_120isposinf_kernel_implERNS_18TensorIteratorBaseEENKUlvE_clEvENKUlvE0_clEvEUlfE_EEvS5_RKT_EUlibE0_EEviT1_.private_seg_size, 0
	.set _ZN2at6native32elementwise_kernel_manual_unrollILi128ELi4EZNS0_15gpu_kernel_implIZZZNS0_12_GLOBAL__N_120isposinf_kernel_implERNS_18TensorIteratorBaseEENKUlvE_clEvENKUlvE0_clEvEUlfE_EEvS5_RKT_EUlibE0_EEviT1_.uses_vcc, 1
	.set _ZN2at6native32elementwise_kernel_manual_unrollILi128ELi4EZNS0_15gpu_kernel_implIZZZNS0_12_GLOBAL__N_120isposinf_kernel_implERNS_18TensorIteratorBaseEENKUlvE_clEvENKUlvE0_clEvEUlfE_EEvS5_RKT_EUlibE0_EEviT1_.uses_flat_scratch, 0
	.set _ZN2at6native32elementwise_kernel_manual_unrollILi128ELi4EZNS0_15gpu_kernel_implIZZZNS0_12_GLOBAL__N_120isposinf_kernel_implERNS_18TensorIteratorBaseEENKUlvE_clEvENKUlvE0_clEvEUlfE_EEvS5_RKT_EUlibE0_EEviT1_.has_dyn_sized_stack, 0
	.set _ZN2at6native32elementwise_kernel_manual_unrollILi128ELi4EZNS0_15gpu_kernel_implIZZZNS0_12_GLOBAL__N_120isposinf_kernel_implERNS_18TensorIteratorBaseEENKUlvE_clEvENKUlvE0_clEvEUlfE_EEvS5_RKT_EUlibE0_EEviT1_.has_recursion, 0
	.set _ZN2at6native32elementwise_kernel_manual_unrollILi128ELi4EZNS0_15gpu_kernel_implIZZZNS0_12_GLOBAL__N_120isposinf_kernel_implERNS_18TensorIteratorBaseEENKUlvE_clEvENKUlvE0_clEvEUlfE_EEvS5_RKT_EUlibE0_EEviT1_.has_indirect_call, 0
	.section	.AMDGPU.csdata,"",@progbits
; Kernel info:
; codeLenInByte = 41820
; TotalNumSgprs: 70
; NumVgprs: 18
; ScratchSize: 0
; MemoryBound: 1
; FloatMode: 240
; IeeeMode: 1
; LDSByteSize: 0 bytes/workgroup (compile time only)
; SGPRBlocks: 0
; VGPRBlocks: 1
; NumSGPRsForWavesPerEU: 70
; NumVGPRsForWavesPerEU: 18
; NamedBarCnt: 0
; Occupancy: 16
; WaveLimiterHint : 1
; COMPUTE_PGM_RSRC2:SCRATCH_EN: 0
; COMPUTE_PGM_RSRC2:USER_SGPR: 2
; COMPUTE_PGM_RSRC2:TRAP_HANDLER: 0
; COMPUTE_PGM_RSRC2:TGID_X_EN: 1
; COMPUTE_PGM_RSRC2:TGID_Y_EN: 0
; COMPUTE_PGM_RSRC2:TGID_Z_EN: 0
; COMPUTE_PGM_RSRC2:TIDIG_COMP_CNT: 0
	.section	.text._ZN2at6native29vectorized_elementwise_kernelILi16EZZZNS0_12_GLOBAL__N_120isposinf_kernel_implERNS_18TensorIteratorBaseEENKUlvE_clEvENKUlvE1_clEvEUlN3c104HalfEE_St5arrayIPcLm2EEEEviT0_T1_,"axG",@progbits,_ZN2at6native29vectorized_elementwise_kernelILi16EZZZNS0_12_GLOBAL__N_120isposinf_kernel_implERNS_18TensorIteratorBaseEENKUlvE_clEvENKUlvE1_clEvEUlN3c104HalfEE_St5arrayIPcLm2EEEEviT0_T1_,comdat
	.globl	_ZN2at6native29vectorized_elementwise_kernelILi16EZZZNS0_12_GLOBAL__N_120isposinf_kernel_implERNS_18TensorIteratorBaseEENKUlvE_clEvENKUlvE1_clEvEUlN3c104HalfEE_St5arrayIPcLm2EEEEviT0_T1_ ; -- Begin function _ZN2at6native29vectorized_elementwise_kernelILi16EZZZNS0_12_GLOBAL__N_120isposinf_kernel_implERNS_18TensorIteratorBaseEENKUlvE_clEvENKUlvE1_clEvEUlN3c104HalfEE_St5arrayIPcLm2EEEEviT0_T1_
	.p2align	8
	.type	_ZN2at6native29vectorized_elementwise_kernelILi16EZZZNS0_12_GLOBAL__N_120isposinf_kernel_implERNS_18TensorIteratorBaseEENKUlvE_clEvENKUlvE1_clEvEUlN3c104HalfEE_St5arrayIPcLm2EEEEviT0_T1_,@function
_ZN2at6native29vectorized_elementwise_kernelILi16EZZZNS0_12_GLOBAL__N_120isposinf_kernel_implERNS_18TensorIteratorBaseEENKUlvE_clEvENKUlvE1_clEvEUlN3c104HalfEE_St5arrayIPcLm2EEEEviT0_T1_: ; @_ZN2at6native29vectorized_elementwise_kernelILi16EZZZNS0_12_GLOBAL__N_120isposinf_kernel_implERNS_18TensorIteratorBaseEENKUlvE_clEvENKUlvE1_clEvEUlN3c104HalfEE_St5arrayIPcLm2EEEEviT0_T1_
; %bb.0:
	s_clause 0x1
	s_load_b32 s3, s[0:1], 0x0
	s_load_b128 s[4:7], s[0:1], 0x8
	s_wait_xcnt 0x0
	s_bfe_u32 s0, ttmp6, 0x4000c
	s_and_b32 s1, ttmp6, 15
	s_add_co_i32 s0, s0, 1
	s_getreg_b32 s2, hwreg(HW_REG_IB_STS2, 6, 4)
	s_mul_i32 s0, ttmp9, s0
	s_delay_alu instid0(SALU_CYCLE_1) | instskip(SKIP_2) | instid1(SALU_CYCLE_1)
	s_add_co_i32 s1, s1, s0
	s_cmp_eq_u32 s2, 0
	s_cselect_b32 s0, ttmp9, s1
	s_lshl_b32 s2, s0, 12
	s_mov_b32 s0, -1
	s_wait_kmcnt 0x0
	s_sub_co_i32 s1, s3, s2
	s_delay_alu instid0(SALU_CYCLE_1)
	s_cmp_gt_i32 s1, 0xfff
	s_cbranch_scc0 .LBB48_2
; %bb.1:
	s_ashr_i32 s3, s2, 31
	v_lshlrev_b32_e32 v1, 5, v0
	s_lshl_b64 s[8:9], s[2:3], 1
	s_mov_b32 s0, 0
	s_add_nc_u64 s[8:9], s[6:7], s[8:9]
	s_clause 0x1
	global_load_b128 v[2:5], v1, s[8:9]
	global_load_b128 v[6:9], v1, s[8:9] offset:16
	s_wait_xcnt 0x0
	s_add_nc_u64 s[8:9], s[4:5], s[2:3]
	s_wait_loadcnt 0x1
	v_cmp_eq_f16_e32 vcc_lo, 0x7c00, v4
	s_wait_loadcnt 0x0
	v_dual_lshrrev_b32 v12, 16, v4 :: v_dual_lshrrev_b32 v13, 16, v7
	v_dual_lshrrev_b32 v1, 16, v3 :: v_dual_lshrrev_b32 v11, 16, v5
	v_cndmask_b32_e64 v4, 0, 1, vcc_lo
	v_cmp_eq_f16_e32 vcc_lo, 0x7c00, v5
	v_lshrrev_b32_e32 v10, 16, v2
	v_dual_lshrrev_b32 v14, 16, v6 :: v_dual_lshrrev_b32 v15, 16, v9
	v_cndmask_b32_e64 v5, 0, 1, vcc_lo
	v_cmp_eq_f16_e32 vcc_lo, 0x7c00, v2
	v_lshrrev_b32_e32 v16, 16, v8
	v_cndmask_b32_e64 v2, 0, 1, vcc_lo
	v_cmp_eq_f16_e32 vcc_lo, 0x7c00, v3
	v_cndmask_b32_e64 v3, 0, 1, vcc_lo
	v_cmp_eq_f16_e32 vcc_lo, 0x7c00, v8
	;; [unrolled: 2-line block ×7, first 2 shown]
	s_delay_alu instid0(VALU_DEP_2) | instskip(SKIP_2) | instid1(VALU_DEP_2)
	v_lshlrev_b16 v12, 8, v12
	v_cndmask_b32_e64 v11, 0, 1, vcc_lo
	v_cmp_eq_f16_e32 vcc_lo, 0x7c00, v10
	v_lshlrev_b16 v11, 8, v11
	v_cndmask_b32_e64 v10, 0, 1, vcc_lo
	v_cmp_eq_f16_e32 vcc_lo, 0x7c00, v1
	s_delay_alu instid0(VALU_DEP_3) | instskip(NEXT) | instid1(VALU_DEP_3)
	v_or_b32_e32 v5, v5, v11
	v_lshlrev_b16 v10, 8, v10
	v_cndmask_b32_e64 v1, 0, 1, vcc_lo
	v_cmp_eq_f16_e32 vcc_lo, 0x7c00, v16
	s_delay_alu instid0(VALU_DEP_4) | instskip(NEXT) | instid1(VALU_DEP_3)
	v_dual_lshlrev_b32 v5, 16, v5 :: v_dual_bitop2_b32 v4, v4, v12 bitop3:0x54
	v_lshlrev_b16 v1, 8, v1
	v_cndmask_b32_e64 v16, 0, 1, vcc_lo
	v_cmp_eq_f16_e32 vcc_lo, 0x7c00, v15
	s_delay_alu instid0(VALU_DEP_4) | instskip(NEXT) | instid1(VALU_DEP_4)
	v_and_b32_e32 v4, 0xffff, v4
	v_or_b32_e32 v1, v3, v1
	s_delay_alu instid0(VALU_DEP_4) | instskip(SKIP_2) | instid1(VALU_DEP_2)
	v_lshlrev_b16 v16, 8, v16
	v_cndmask_b32_e64 v15, 0, 1, vcc_lo
	v_cmp_eq_f16_e32 vcc_lo, 0x7c00, v14
	v_lshlrev_b16 v15, 8, v15
	v_cndmask_b32_e64 v14, 0, 1, vcc_lo
	v_cmp_eq_f16_e32 vcc_lo, 0x7c00, v13
	s_delay_alu instid0(VALU_DEP_2) | instskip(SKIP_1) | instid1(VALU_DEP_2)
	v_lshlrev_b16 v14, 8, v14
	v_cndmask_b32_e64 v13, 0, 1, vcc_lo
	v_or_b32_e32 v6, v6, v14
	s_delay_alu instid0(VALU_DEP_2) | instskip(NEXT) | instid1(VALU_DEP_2)
	v_lshlrev_b16 v13, 8, v13
	v_and_b32_e32 v6, 0xffff, v6
	s_delay_alu instid0(VALU_DEP_2) | instskip(SKIP_2) | instid1(VALU_DEP_3)
	v_or_b32_e32 v7, v7, v13
	v_or_b32_e32 v3, v8, v16
	;; [unrolled: 1-line block ×3, first 2 shown]
	v_lshlrev_b32_e32 v7, 16, v7
	s_delay_alu instid0(VALU_DEP_3) | instskip(NEXT) | instid1(VALU_DEP_3)
	v_and_b32_e32 v9, 0xffff, v3
	v_dual_lshlrev_b32 v8, 16, v8 :: v_dual_bitop2_b32 v2, v2, v10 bitop3:0x54
	v_lshlrev_b32_e32 v1, 16, v1
	v_or_b32_e32 v3, v4, v5
	v_or_b32_e32 v4, v6, v7
	s_delay_alu instid0(VALU_DEP_4) | instskip(SKIP_1) | instid1(VALU_DEP_1)
	v_or_b32_e32 v5, v9, v8
	v_and_b32_e32 v2, 0xffff, v2
	v_or_b32_e32 v2, v2, v1
	global_store_b128 v0, v[2:5], s[8:9] scale_offset
.LBB48_2:
	s_and_not1_b32 vcc_lo, exec_lo, s0
	s_cbranch_vccnz .LBB48_52
; %bb.3:
	v_cmp_gt_i32_e32 vcc_lo, s1, v0
	s_wait_xcnt 0x0
	v_dual_mov_b32 v3, v0 :: v_dual_bitop2_b32 v1, s2, v0 bitop3:0x54
	v_or_b32_e32 v2, 0x100, v0
	s_mov_b32 s8, 0
	s_mov_b32 s9, 0
	s_and_saveexec_b32 s3, vcc_lo
	s_cbranch_execz .LBB48_5
; %bb.4:
	global_load_u16 v3, v1, s[6:7] scale_offset
	s_wait_loadcnt 0x0
	v_cmp_eq_f16_e64 s0, 0x7c00, v3
	v_or_b32_e32 v3, 0x100, v0
	s_and_b32 s9, s0, exec_lo
.LBB48_5:
	s_wait_xcnt 0x0
	s_or_b32 exec_lo, exec_lo, s3
	s_delay_alu instid0(SALU_CYCLE_1)
	s_mov_b32 s3, exec_lo
	v_cmpx_gt_i32_e64 s1, v3
	s_cbranch_execz .LBB48_7
; %bb.6:
	v_add_nc_u32_e32 v4, s2, v3
	v_add_nc_u32_e32 v3, 0x100, v3
	global_load_u16 v4, v4, s[6:7] scale_offset
	s_wait_loadcnt 0x0
	v_cmp_eq_f16_e64 s0, 0x7c00, v4
	s_and_b32 s8, s0, exec_lo
.LBB48_7:
	s_wait_xcnt 0x0
	s_or_b32 exec_lo, exec_lo, s3
	s_mov_b32 s10, 0
	s_mov_b32 s11, 0
	s_mov_b32 s3, exec_lo
	v_cmpx_gt_i32_e64 s1, v3
	s_cbranch_execz .LBB48_9
; %bb.8:
	v_add_nc_u32_e32 v4, s2, v3
	v_add_nc_u32_e32 v3, 0x100, v3
	global_load_u16 v4, v4, s[6:7] scale_offset
	s_wait_loadcnt 0x0
	v_cmp_eq_f16_e64 s0, 0x7c00, v4
	s_and_b32 s11, s0, exec_lo
.LBB48_9:
	s_wait_xcnt 0x0
	s_or_b32 exec_lo, exec_lo, s3
	s_delay_alu instid0(SALU_CYCLE_1)
	s_mov_b32 s3, exec_lo
	v_cmpx_gt_i32_e64 s1, v3
	s_cbranch_execz .LBB48_11
; %bb.10:
	v_add_nc_u32_e32 v4, s2, v3
	v_add_nc_u32_e32 v3, 0x100, v3
	global_load_u16 v4, v4, s[6:7] scale_offset
	s_wait_loadcnt 0x0
	v_cmp_eq_f16_e64 s0, 0x7c00, v4
	s_and_b32 s10, s0, exec_lo
.LBB48_11:
	s_wait_xcnt 0x0
	s_or_b32 exec_lo, exec_lo, s3
	s_mov_b32 s12, 0
	s_mov_b32 s14, 0
	s_mov_b32 s3, exec_lo
	v_cmpx_gt_i32_e64 s1, v3
	s_cbranch_execz .LBB48_13
; %bb.12:
	v_add_nc_u32_e32 v4, s2, v3
	v_add_nc_u32_e32 v3, 0x100, v3
	global_load_u16 v4, v4, s[6:7] scale_offset
	s_wait_loadcnt 0x0
	v_cmp_eq_f16_e64 s0, 0x7c00, v4
	s_and_b32 s14, s0, exec_lo
.LBB48_13:
	;; [unrolled: 29-line block ×7, first 2 shown]
	s_wait_xcnt 0x0
	s_or_b32 exec_lo, exec_lo, s23
	s_delay_alu instid0(SALU_CYCLE_1)
	s_mov_b32 s23, exec_lo
	v_cmpx_gt_i32_e64 s1, v3
	s_cbranch_execz .LBB48_35
; %bb.34:
	v_add_nc_u32_e32 v3, s2, v3
	global_load_u16 v3, v3, s[6:7] scale_offset
	s_wait_loadcnt 0x0
	v_cmp_eq_f16_e64 s0, 0x7c00, v3
	s_and_b32 s19, s0, exec_lo
.LBB48_35:
	s_wait_xcnt 0x0
	s_or_b32 exec_lo, exec_lo, s23
	v_cndmask_b32_e64 v5, 0, 1, s14
	v_cndmask_b32_e64 v3, 0, 1, s9
	;; [unrolled: 1-line block ×3, first 2 shown]
	v_or_b32_e32 v10, 0x400, v0
	v_cndmask_b32_e64 v9, 0, 1, s12
	v_bitop3_b16 v5, v5, 0, 0xff00 bitop3:0xf8
	v_or_b32_e32 v6, 0x200, v0
	v_lshlrev_b16 v4, 8, v4
	v_cmp_gt_i32_e64 s0, s1, v10
	v_lshlrev_b16 v9, 8, v9
	v_and_b32_e32 v5, 0xffff, v5
	v_cndmask_b32_e32 v3, 0, v3, vcc_lo
	v_cndmask_b32_e64 v7, 0, 1, s11
	v_or_b32_e32 v10, 0xc00, v0
	v_or_b32_e32 v11, 0x500, v0
	s_delay_alu instid0(VALU_DEP_4) | instskip(SKIP_3) | instid1(VALU_DEP_4)
	v_dual_cndmask_b32 v5, 0, v5, s0 :: v_dual_bitop2_b32 v4, v3, v4 bitop3:0x54
	v_cmp_gt_i32_e64 s0, s1, v2
	v_cndmask_b32_e64 v12, 0, 1, s21
	v_cndmask_b32_e64 v8, 0, 1, s10
	v_bitop3_b16 v9, v5, v9, 0xff bitop3:0xec
	v_and_b32_e32 v4, 0xffff, v4
	v_cndmask_b32_e64 v13, 0, 1, s20
	v_cndmask_b32_e64 v14, 0, 1, s18
	v_lshlrev_b16 v8, 8, v8
	v_and_b32_e32 v9, 0xffff, v9
	v_cndmask_b32_e64 v3, v3, v4, s0
	v_cmp_gt_i32_e64 s0, s1, v6
	v_cndmask_b32_e64 v4, 0, 1, s17
	s_delay_alu instid0(VALU_DEP_3) | instskip(NEXT) | instid1(VALU_DEP_1)
	v_lshl_or_b32 v7, v7, 16, v3
	v_cndmask_b32_e64 v3, v3, v7, s0
	v_cmp_gt_i32_e64 s0, s1, v10
	v_lshlrev_b16 v7, 8, v13
	v_or_b32_e32 v10, 0x800, v0
	v_or_b32_e32 v13, 0xd00, v0
	s_delay_alu instid0(VALU_DEP_4) | instskip(SKIP_2) | instid1(VALU_DEP_2)
	v_cndmask_b32_e64 v6, 0, v12, s0
	v_cmp_gt_i32_e64 s0, s1, v11
	v_cndmask_b32_e64 v11, 0, 1, s15
	v_dual_cndmask_b32 v5, v5, v9, s0 :: v_dual_lshrrev_b32 v9, 16, v3
	s_delay_alu instid0(VALU_DEP_4) | instskip(SKIP_1) | instid1(VALU_DEP_3)
	v_bitop3_b16 v7, v6, v7, 0xff bitop3:0xec
	v_cmp_gt_i32_e64 s0, s1, v10
	v_bitop3_b16 v8, v9, v8, 0xff bitop3:0xec
	s_delay_alu instid0(VALU_DEP_4) | instskip(NEXT) | instid1(VALU_DEP_4)
	v_lshrrev_b32_e32 v12, 16, v5
	v_and_b32_e32 v7, 0xffff, v7
	v_cndmask_b32_e64 v9, 0, 1, s13
	s_delay_alu instid0(VALU_DEP_4) | instskip(NEXT) | instid1(VALU_DEP_4)
	v_lshlrev_b32_e32 v8, 16, v8
	v_bitop3_b16 v4, v4, v12, 0xff00 bitop3:0xf8
	v_cndmask_b32_e64 v10, 0, v11, s0
	v_cmp_gt_i32_e64 s0, s1, v13
	v_lshlrev_b16 v9, 8, v9
	v_or_b32_e32 v11, 0x900, v0
	v_lshlrev_b32_e32 v4, 16, v4
	v_cndmask_b32_e64 v13, 0, 1, s22
	v_and_or_b32 v8, 0xffff, v3, v8
	s_delay_alu instid0(VALU_DEP_3) | instskip(SKIP_2) | instid1(VALU_DEP_1)
	v_and_or_b32 v4, 0xffff, v5, v4
	v_cndmask_b32_e64 v6, v6, v7, s0
	v_or_b32_e32 v7, 0x600, v0
	v_cmp_gt_i32_e64 s0, s1, v7
	s_delay_alu instid0(VALU_DEP_1) | instskip(NEXT) | instid1(VALU_DEP_4)
	v_dual_cndmask_b32 v4, v5, v4, s0 :: v_dual_bitop2_b32 v9, v10, v9 bitop3:0x54
	v_lshrrev_b32_e32 v12, 16, v6
	v_cmp_gt_i32_e64 s0, s1, v11
	s_delay_alu instid0(VALU_DEP_3) | instskip(NEXT) | instid1(VALU_DEP_3)
	v_and_b32_e32 v9, 0xffff, v9
	v_bitop3_b16 v5, v13, v12, 0xff00 bitop3:0xf8
	v_or_b32_e32 v12, 0xa00, v0
	v_lshrrev_b32_e32 v11, 16, v4
	v_or_b32_e32 v13, 0xe00, v0
	v_dual_cndmask_b32 v7, v10, v9, s0 :: v_dual_lshlrev_b32 v9, 16, v14
	v_lshlrev_b32_e32 v5, 16, v5
	v_cmp_gt_i32_e64 s0, s1, v12
	v_cndmask_b32_e64 v10, 0, 1, s3
	s_delay_alu instid0(VALU_DEP_4) | instskip(NEXT) | instid1(VALU_DEP_4)
	v_and_or_b32 v9, 0x1ff, v7, v9
	v_and_or_b32 v5, 0xffff, v6, v5
	s_delay_alu instid0(VALU_DEP_3) | instskip(NEXT) | instid1(VALU_DEP_3)
	v_lshlrev_b16 v10, 8, v10
	v_cndmask_b32_e64 v7, v7, v9, s0
	v_cmp_gt_i32_e64 s0, s1, v13
	v_cndmask_b32_e64 v9, 0, 1, s16
	v_or_b32_e32 v13, 0x300, v0
	s_delay_alu instid0(VALU_DEP_3)
	v_cndmask_b32_e64 v12, v6, v5, s0
	v_cndmask_b32_e64 v5, 0, 1, s19
	v_bitop3_b16 v6, v11, v10, 0xff bitop3:0xec
	v_lshlrev_b16 v9, 8, v9
	v_cmp_gt_i32_e64 s0, s1, v13
	v_dual_lshrrev_b32 v11, 16, v12 :: v_dual_lshrrev_b32 v10, 16, v7
	v_lshlrev_b16 v5, 8, v5
	s_delay_alu instid0(VALU_DEP_2) | instskip(NEXT) | instid1(VALU_DEP_4)
	v_bitop3_b16 v9, v10, v9, 0xff bitop3:0xec
	v_dual_lshlrev_b32 v10, 16, v6 :: v_dual_cndmask_b32 v6, v3, v8, s0
	s_delay_alu instid0(VALU_DEP_3) | instskip(SKIP_2) | instid1(VALU_DEP_3)
	v_bitop3_b16 v5, v11, v5, 0xff bitop3:0xec
	v_or_b32_e32 v8, 0x700, v0
	v_or_b32_e32 v11, 0xf00, v0
	v_lshlrev_b32_e32 v5, 16, v5
	s_delay_alu instid0(VALU_DEP_3) | instskip(SKIP_4) | instid1(VALU_DEP_3)
	v_cmp_gt_i32_e64 s0, s1, v8
	v_lshlrev_b32_e32 v3, 16, v9
	v_and_or_b32 v9, 0xffff, v4, v10
	v_or_b32_e32 v10, 0xb00, v0
	v_and_or_b32 v13, 0xffff, v12, v5
	v_cndmask_b32_e64 v5, v4, v9, s0
	v_and_or_b32 v3, 0xffff, v7, v3
	s_delay_alu instid0(VALU_DEP_4) | instskip(NEXT) | instid1(VALU_DEP_1)
	v_cmp_gt_i32_e64 s0, s1, v10
	v_cndmask_b32_e64 v4, v7, v3, s0
	v_cmp_gt_i32_e64 s0, s1, v11
	s_delay_alu instid0(VALU_DEP_1)
	v_cndmask_b32_e64 v3, v12, v13, s0
	s_and_saveexec_b32 s0, vcc_lo
	s_cbranch_execnz .LBB48_53
; %bb.36:
	s_or_b32 exec_lo, exec_lo, s0
	s_delay_alu instid0(SALU_CYCLE_1)
	s_mov_b32 s0, exec_lo
	v_cmpx_gt_i32_e64 s1, v0
	s_cbranch_execnz .LBB48_54
.LBB48_37:
	s_or_b32 exec_lo, exec_lo, s0
	s_delay_alu instid0(SALU_CYCLE_1)
	s_mov_b32 s0, exec_lo
	v_cmpx_gt_i32_e64 s1, v0
	s_cbranch_execnz .LBB48_55
.LBB48_38:
	s_or_b32 exec_lo, exec_lo, s0
	s_delay_alu instid0(SALU_CYCLE_1)
	s_mov_b32 s0, exec_lo
	v_cmpx_gt_i32_e64 s1, v0
	s_cbranch_execnz .LBB48_56
.LBB48_39:
	s_or_b32 exec_lo, exec_lo, s0
	s_delay_alu instid0(SALU_CYCLE_1)
	s_mov_b32 s0, exec_lo
	v_cmpx_gt_i32_e64 s1, v0
	s_cbranch_execnz .LBB48_57
.LBB48_40:
	s_or_b32 exec_lo, exec_lo, s0
	s_delay_alu instid0(SALU_CYCLE_1)
	s_mov_b32 s0, exec_lo
	v_cmpx_gt_i32_e64 s1, v0
	s_cbranch_execnz .LBB48_58
.LBB48_41:
	s_or_b32 exec_lo, exec_lo, s0
	s_delay_alu instid0(SALU_CYCLE_1)
	s_mov_b32 s0, exec_lo
	v_cmpx_gt_i32_e64 s1, v0
	s_cbranch_execnz .LBB48_59
.LBB48_42:
	s_or_b32 exec_lo, exec_lo, s0
	s_delay_alu instid0(SALU_CYCLE_1)
	s_mov_b32 s0, exec_lo
	v_cmpx_gt_i32_e64 s1, v0
	s_cbranch_execnz .LBB48_60
.LBB48_43:
	s_or_b32 exec_lo, exec_lo, s0
	s_delay_alu instid0(SALU_CYCLE_1)
	s_mov_b32 s0, exec_lo
	v_cmpx_gt_i32_e64 s1, v0
	s_cbranch_execnz .LBB48_61
.LBB48_44:
	s_or_b32 exec_lo, exec_lo, s0
	s_delay_alu instid0(SALU_CYCLE_1)
	s_mov_b32 s0, exec_lo
	v_cmpx_gt_i32_e64 s1, v0
	s_cbranch_execnz .LBB48_62
.LBB48_45:
	s_or_b32 exec_lo, exec_lo, s0
	s_delay_alu instid0(SALU_CYCLE_1)
	s_mov_b32 s0, exec_lo
	v_cmpx_gt_i32_e64 s1, v0
	s_cbranch_execnz .LBB48_63
.LBB48_46:
	s_or_b32 exec_lo, exec_lo, s0
	s_delay_alu instid0(SALU_CYCLE_1)
	s_mov_b32 s0, exec_lo
	v_cmpx_gt_i32_e64 s1, v0
	s_cbranch_execnz .LBB48_64
.LBB48_47:
	s_or_b32 exec_lo, exec_lo, s0
	s_delay_alu instid0(SALU_CYCLE_1)
	s_mov_b32 s0, exec_lo
	v_cmpx_gt_i32_e64 s1, v0
	s_cbranch_execnz .LBB48_65
.LBB48_48:
	s_or_b32 exec_lo, exec_lo, s0
	s_delay_alu instid0(SALU_CYCLE_1)
	s_mov_b32 s0, exec_lo
	v_cmpx_gt_i32_e64 s1, v0
	s_cbranch_execnz .LBB48_66
.LBB48_49:
	s_or_b32 exec_lo, exec_lo, s0
	s_delay_alu instid0(SALU_CYCLE_1)
	s_mov_b32 s0, exec_lo
	v_cmpx_gt_i32_e64 s1, v0
	s_cbranch_execnz .LBB48_67
.LBB48_50:
	s_or_b32 exec_lo, exec_lo, s0
	s_delay_alu instid0(SALU_CYCLE_1)
	s_mov_b32 s0, exec_lo
	v_cmpx_gt_i32_e64 s1, v0
	s_cbranch_execz .LBB48_52
.LBB48_51:
	v_dual_lshrrev_b32 v1, 24, v3 :: v_dual_add_nc_u32 v0, s2, v0
	global_store_b8 v0, v1, s[4:5]
.LBB48_52:
	s_endpgm
.LBB48_53:
	v_mov_b32_e32 v0, v2
	global_store_b8 v1, v6, s[4:5]
	s_wait_xcnt 0x0
	s_or_b32 exec_lo, exec_lo, s0
	s_delay_alu instid0(SALU_CYCLE_1)
	s_mov_b32 s0, exec_lo
	v_cmpx_gt_i32_e64 s1, v0
	s_cbranch_execz .LBB48_37
.LBB48_54:
	v_dual_lshrrev_b32 v1, 8, v6 :: v_dual_add_nc_u32 v2, s2, v0
	v_add_nc_u32_e32 v0, 0x100, v0
	global_store_b8 v2, v1, s[4:5]
	s_wait_xcnt 0x0
	s_or_b32 exec_lo, exec_lo, s0
	s_delay_alu instid0(SALU_CYCLE_1)
	s_mov_b32 s0, exec_lo
	v_cmpx_gt_i32_e64 s1, v0
	s_cbranch_execz .LBB48_38
.LBB48_55:
	v_add_nc_u32_e32 v1, s2, v0
	v_add_nc_u32_e32 v0, 0x100, v0
	global_store_d16_hi_b8 v1, v6, s[4:5]
	s_wait_xcnt 0x0
	s_or_b32 exec_lo, exec_lo, s0
	s_delay_alu instid0(SALU_CYCLE_1)
	s_mov_b32 s0, exec_lo
	v_cmpx_gt_i32_e64 s1, v0
	s_cbranch_execz .LBB48_39
.LBB48_56:
	v_dual_lshrrev_b32 v1, 24, v6 :: v_dual_add_nc_u32 v2, s2, v0
	v_add_nc_u32_e32 v0, 0x100, v0
	global_store_b8 v2, v1, s[4:5]
	s_wait_xcnt 0x0
	s_or_b32 exec_lo, exec_lo, s0
	s_delay_alu instid0(SALU_CYCLE_1)
	s_mov_b32 s0, exec_lo
	v_cmpx_gt_i32_e64 s1, v0
	s_cbranch_execz .LBB48_40
.LBB48_57:
	v_add_nc_u32_e32 v1, s2, v0
	v_add_nc_u32_e32 v0, 0x100, v0
	global_store_b8 v1, v5, s[4:5]
	s_wait_xcnt 0x0
	s_or_b32 exec_lo, exec_lo, s0
	s_delay_alu instid0(SALU_CYCLE_1)
	s_mov_b32 s0, exec_lo
	v_cmpx_gt_i32_e64 s1, v0
	s_cbranch_execz .LBB48_41
.LBB48_58:
	v_dual_lshrrev_b32 v1, 8, v5 :: v_dual_add_nc_u32 v2, s2, v0
	v_add_nc_u32_e32 v0, 0x100, v0
	global_store_b8 v2, v1, s[4:5]
	s_wait_xcnt 0x0
	s_or_b32 exec_lo, exec_lo, s0
	s_delay_alu instid0(SALU_CYCLE_1)
	s_mov_b32 s0, exec_lo
	v_cmpx_gt_i32_e64 s1, v0
	s_cbranch_execz .LBB48_42
.LBB48_59:
	v_add_nc_u32_e32 v1, s2, v0
	v_add_nc_u32_e32 v0, 0x100, v0
	global_store_d16_hi_b8 v1, v5, s[4:5]
	s_wait_xcnt 0x0
	s_or_b32 exec_lo, exec_lo, s0
	s_delay_alu instid0(SALU_CYCLE_1)
	s_mov_b32 s0, exec_lo
	v_cmpx_gt_i32_e64 s1, v0
	s_cbranch_execz .LBB48_43
.LBB48_60:
	v_dual_lshrrev_b32 v1, 24, v5 :: v_dual_add_nc_u32 v2, s2, v0
	v_add_nc_u32_e32 v0, 0x100, v0
	global_store_b8 v2, v1, s[4:5]
	s_wait_xcnt 0x0
	s_or_b32 exec_lo, exec_lo, s0
	s_delay_alu instid0(SALU_CYCLE_1)
	s_mov_b32 s0, exec_lo
	v_cmpx_gt_i32_e64 s1, v0
	s_cbranch_execz .LBB48_44
.LBB48_61:
	v_add_nc_u32_e32 v1, s2, v0
	v_add_nc_u32_e32 v0, 0x100, v0
	global_store_b8 v1, v4, s[4:5]
	s_wait_xcnt 0x0
	s_or_b32 exec_lo, exec_lo, s0
	s_delay_alu instid0(SALU_CYCLE_1)
	s_mov_b32 s0, exec_lo
	v_cmpx_gt_i32_e64 s1, v0
	s_cbranch_execz .LBB48_45
.LBB48_62:
	v_lshrrev_b32_e32 v1, 8, v4
	v_add_nc_u32_e32 v2, s2, v0
	v_add_nc_u32_e32 v0, 0x100, v0
	global_store_b8 v2, v1, s[4:5]
	s_wait_xcnt 0x0
	s_or_b32 exec_lo, exec_lo, s0
	s_delay_alu instid0(SALU_CYCLE_1)
	s_mov_b32 s0, exec_lo
	v_cmpx_gt_i32_e64 s1, v0
	s_cbranch_execz .LBB48_46
.LBB48_63:
	v_add_nc_u32_e32 v1, s2, v0
	v_add_nc_u32_e32 v0, 0x100, v0
	global_store_d16_hi_b8 v1, v4, s[4:5]
	s_wait_xcnt 0x0
	s_or_b32 exec_lo, exec_lo, s0
	s_delay_alu instid0(SALU_CYCLE_1)
	s_mov_b32 s0, exec_lo
	v_cmpx_gt_i32_e64 s1, v0
	s_cbranch_execz .LBB48_47
.LBB48_64:
	v_lshrrev_b32_e32 v1, 24, v4
	v_add_nc_u32_e32 v2, s2, v0
	v_add_nc_u32_e32 v0, 0x100, v0
	global_store_b8 v2, v1, s[4:5]
	s_wait_xcnt 0x0
	s_or_b32 exec_lo, exec_lo, s0
	s_delay_alu instid0(SALU_CYCLE_1)
	s_mov_b32 s0, exec_lo
	v_cmpx_gt_i32_e64 s1, v0
	s_cbranch_execz .LBB48_48
.LBB48_65:
	v_add_nc_u32_e32 v1, s2, v0
	v_add_nc_u32_e32 v0, 0x100, v0
	global_store_b8 v1, v3, s[4:5]
	s_wait_xcnt 0x0
	s_or_b32 exec_lo, exec_lo, s0
	s_delay_alu instid0(SALU_CYCLE_1)
	s_mov_b32 s0, exec_lo
	v_cmpx_gt_i32_e64 s1, v0
	s_cbranch_execz .LBB48_49
.LBB48_66:
	v_dual_lshrrev_b32 v1, 8, v3 :: v_dual_add_nc_u32 v2, s2, v0
	v_add_nc_u32_e32 v0, 0x100, v0
	global_store_b8 v2, v1, s[4:5]
	s_wait_xcnt 0x0
	s_or_b32 exec_lo, exec_lo, s0
	s_delay_alu instid0(SALU_CYCLE_1)
	s_mov_b32 s0, exec_lo
	v_cmpx_gt_i32_e64 s1, v0
	s_cbranch_execz .LBB48_50
.LBB48_67:
	v_add_nc_u32_e32 v1, s2, v0
	v_add_nc_u32_e32 v0, 0x100, v0
	global_store_d16_hi_b8 v1, v3, s[4:5]
	s_wait_xcnt 0x0
	s_or_b32 exec_lo, exec_lo, s0
	s_delay_alu instid0(SALU_CYCLE_1)
	s_mov_b32 s0, exec_lo
	v_cmpx_gt_i32_e64 s1, v0
	s_cbranch_execnz .LBB48_51
	s_branch .LBB48_52
	.section	.rodata,"a",@progbits
	.p2align	6, 0x0
	.amdhsa_kernel _ZN2at6native29vectorized_elementwise_kernelILi16EZZZNS0_12_GLOBAL__N_120isposinf_kernel_implERNS_18TensorIteratorBaseEENKUlvE_clEvENKUlvE1_clEvEUlN3c104HalfEE_St5arrayIPcLm2EEEEviT0_T1_
		.amdhsa_group_segment_fixed_size 0
		.amdhsa_private_segment_fixed_size 0
		.amdhsa_kernarg_size 24
		.amdhsa_user_sgpr_count 2
		.amdhsa_user_sgpr_dispatch_ptr 0
		.amdhsa_user_sgpr_queue_ptr 0
		.amdhsa_user_sgpr_kernarg_segment_ptr 1
		.amdhsa_user_sgpr_dispatch_id 0
		.amdhsa_user_sgpr_kernarg_preload_length 0
		.amdhsa_user_sgpr_kernarg_preload_offset 0
		.amdhsa_user_sgpr_private_segment_size 0
		.amdhsa_wavefront_size32 1
		.amdhsa_uses_dynamic_stack 0
		.amdhsa_enable_private_segment 0
		.amdhsa_system_sgpr_workgroup_id_x 1
		.amdhsa_system_sgpr_workgroup_id_y 0
		.amdhsa_system_sgpr_workgroup_id_z 0
		.amdhsa_system_sgpr_workgroup_info 0
		.amdhsa_system_vgpr_workitem_id 0
		.amdhsa_next_free_vgpr 17
		.amdhsa_next_free_sgpr 24
		.amdhsa_named_barrier_count 0
		.amdhsa_reserve_vcc 1
		.amdhsa_float_round_mode_32 0
		.amdhsa_float_round_mode_16_64 0
		.amdhsa_float_denorm_mode_32 3
		.amdhsa_float_denorm_mode_16_64 3
		.amdhsa_fp16_overflow 0
		.amdhsa_memory_ordered 1
		.amdhsa_forward_progress 1
		.amdhsa_inst_pref_size 32
		.amdhsa_round_robin_scheduling 0
		.amdhsa_exception_fp_ieee_invalid_op 0
		.amdhsa_exception_fp_denorm_src 0
		.amdhsa_exception_fp_ieee_div_zero 0
		.amdhsa_exception_fp_ieee_overflow 0
		.amdhsa_exception_fp_ieee_underflow 0
		.amdhsa_exception_fp_ieee_inexact 0
		.amdhsa_exception_int_div_zero 0
	.end_amdhsa_kernel
	.section	.text._ZN2at6native29vectorized_elementwise_kernelILi16EZZZNS0_12_GLOBAL__N_120isposinf_kernel_implERNS_18TensorIteratorBaseEENKUlvE_clEvENKUlvE1_clEvEUlN3c104HalfEE_St5arrayIPcLm2EEEEviT0_T1_,"axG",@progbits,_ZN2at6native29vectorized_elementwise_kernelILi16EZZZNS0_12_GLOBAL__N_120isposinf_kernel_implERNS_18TensorIteratorBaseEENKUlvE_clEvENKUlvE1_clEvEUlN3c104HalfEE_St5arrayIPcLm2EEEEviT0_T1_,comdat
.Lfunc_end48:
	.size	_ZN2at6native29vectorized_elementwise_kernelILi16EZZZNS0_12_GLOBAL__N_120isposinf_kernel_implERNS_18TensorIteratorBaseEENKUlvE_clEvENKUlvE1_clEvEUlN3c104HalfEE_St5arrayIPcLm2EEEEviT0_T1_, .Lfunc_end48-_ZN2at6native29vectorized_elementwise_kernelILi16EZZZNS0_12_GLOBAL__N_120isposinf_kernel_implERNS_18TensorIteratorBaseEENKUlvE_clEvENKUlvE1_clEvEUlN3c104HalfEE_St5arrayIPcLm2EEEEviT0_T1_
                                        ; -- End function
	.set _ZN2at6native29vectorized_elementwise_kernelILi16EZZZNS0_12_GLOBAL__N_120isposinf_kernel_implERNS_18TensorIteratorBaseEENKUlvE_clEvENKUlvE1_clEvEUlN3c104HalfEE_St5arrayIPcLm2EEEEviT0_T1_.num_vgpr, 17
	.set _ZN2at6native29vectorized_elementwise_kernelILi16EZZZNS0_12_GLOBAL__N_120isposinf_kernel_implERNS_18TensorIteratorBaseEENKUlvE_clEvENKUlvE1_clEvEUlN3c104HalfEE_St5arrayIPcLm2EEEEviT0_T1_.num_agpr, 0
	.set _ZN2at6native29vectorized_elementwise_kernelILi16EZZZNS0_12_GLOBAL__N_120isposinf_kernel_implERNS_18TensorIteratorBaseEENKUlvE_clEvENKUlvE1_clEvEUlN3c104HalfEE_St5arrayIPcLm2EEEEviT0_T1_.numbered_sgpr, 24
	.set _ZN2at6native29vectorized_elementwise_kernelILi16EZZZNS0_12_GLOBAL__N_120isposinf_kernel_implERNS_18TensorIteratorBaseEENKUlvE_clEvENKUlvE1_clEvEUlN3c104HalfEE_St5arrayIPcLm2EEEEviT0_T1_.num_named_barrier, 0
	.set _ZN2at6native29vectorized_elementwise_kernelILi16EZZZNS0_12_GLOBAL__N_120isposinf_kernel_implERNS_18TensorIteratorBaseEENKUlvE_clEvENKUlvE1_clEvEUlN3c104HalfEE_St5arrayIPcLm2EEEEviT0_T1_.private_seg_size, 0
	.set _ZN2at6native29vectorized_elementwise_kernelILi16EZZZNS0_12_GLOBAL__N_120isposinf_kernel_implERNS_18TensorIteratorBaseEENKUlvE_clEvENKUlvE1_clEvEUlN3c104HalfEE_St5arrayIPcLm2EEEEviT0_T1_.uses_vcc, 1
	.set _ZN2at6native29vectorized_elementwise_kernelILi16EZZZNS0_12_GLOBAL__N_120isposinf_kernel_implERNS_18TensorIteratorBaseEENKUlvE_clEvENKUlvE1_clEvEUlN3c104HalfEE_St5arrayIPcLm2EEEEviT0_T1_.uses_flat_scratch, 0
	.set _ZN2at6native29vectorized_elementwise_kernelILi16EZZZNS0_12_GLOBAL__N_120isposinf_kernel_implERNS_18TensorIteratorBaseEENKUlvE_clEvENKUlvE1_clEvEUlN3c104HalfEE_St5arrayIPcLm2EEEEviT0_T1_.has_dyn_sized_stack, 0
	.set _ZN2at6native29vectorized_elementwise_kernelILi16EZZZNS0_12_GLOBAL__N_120isposinf_kernel_implERNS_18TensorIteratorBaseEENKUlvE_clEvENKUlvE1_clEvEUlN3c104HalfEE_St5arrayIPcLm2EEEEviT0_T1_.has_recursion, 0
	.set _ZN2at6native29vectorized_elementwise_kernelILi16EZZZNS0_12_GLOBAL__N_120isposinf_kernel_implERNS_18TensorIteratorBaseEENKUlvE_clEvENKUlvE1_clEvEUlN3c104HalfEE_St5arrayIPcLm2EEEEviT0_T1_.has_indirect_call, 0
	.section	.AMDGPU.csdata,"",@progbits
; Kernel info:
; codeLenInByte = 4020
; TotalNumSgprs: 26
; NumVgprs: 17
; ScratchSize: 0
; MemoryBound: 0
; FloatMode: 240
; IeeeMode: 1
; LDSByteSize: 0 bytes/workgroup (compile time only)
; SGPRBlocks: 0
; VGPRBlocks: 1
; NumSGPRsForWavesPerEU: 26
; NumVGPRsForWavesPerEU: 17
; NamedBarCnt: 0
; Occupancy: 16
; WaveLimiterHint : 0
; COMPUTE_PGM_RSRC2:SCRATCH_EN: 0
; COMPUTE_PGM_RSRC2:USER_SGPR: 2
; COMPUTE_PGM_RSRC2:TRAP_HANDLER: 0
; COMPUTE_PGM_RSRC2:TGID_X_EN: 1
; COMPUTE_PGM_RSRC2:TGID_Y_EN: 0
; COMPUTE_PGM_RSRC2:TGID_Z_EN: 0
; COMPUTE_PGM_RSRC2:TIDIG_COMP_CNT: 0
	.section	.text._ZN2at6native29vectorized_elementwise_kernelILi8EZZZNS0_12_GLOBAL__N_120isposinf_kernel_implERNS_18TensorIteratorBaseEENKUlvE_clEvENKUlvE1_clEvEUlN3c104HalfEE_St5arrayIPcLm2EEEEviT0_T1_,"axG",@progbits,_ZN2at6native29vectorized_elementwise_kernelILi8EZZZNS0_12_GLOBAL__N_120isposinf_kernel_implERNS_18TensorIteratorBaseEENKUlvE_clEvENKUlvE1_clEvEUlN3c104HalfEE_St5arrayIPcLm2EEEEviT0_T1_,comdat
	.globl	_ZN2at6native29vectorized_elementwise_kernelILi8EZZZNS0_12_GLOBAL__N_120isposinf_kernel_implERNS_18TensorIteratorBaseEENKUlvE_clEvENKUlvE1_clEvEUlN3c104HalfEE_St5arrayIPcLm2EEEEviT0_T1_ ; -- Begin function _ZN2at6native29vectorized_elementwise_kernelILi8EZZZNS0_12_GLOBAL__N_120isposinf_kernel_implERNS_18TensorIteratorBaseEENKUlvE_clEvENKUlvE1_clEvEUlN3c104HalfEE_St5arrayIPcLm2EEEEviT0_T1_
	.p2align	8
	.type	_ZN2at6native29vectorized_elementwise_kernelILi8EZZZNS0_12_GLOBAL__N_120isposinf_kernel_implERNS_18TensorIteratorBaseEENKUlvE_clEvENKUlvE1_clEvEUlN3c104HalfEE_St5arrayIPcLm2EEEEviT0_T1_,@function
_ZN2at6native29vectorized_elementwise_kernelILi8EZZZNS0_12_GLOBAL__N_120isposinf_kernel_implERNS_18TensorIteratorBaseEENKUlvE_clEvENKUlvE1_clEvEUlN3c104HalfEE_St5arrayIPcLm2EEEEviT0_T1_: ; @_ZN2at6native29vectorized_elementwise_kernelILi8EZZZNS0_12_GLOBAL__N_120isposinf_kernel_implERNS_18TensorIteratorBaseEENKUlvE_clEvENKUlvE1_clEvEUlN3c104HalfEE_St5arrayIPcLm2EEEEviT0_T1_
; %bb.0:
	s_clause 0x1
	s_load_b32 s3, s[0:1], 0x0
	s_load_b128 s[4:7], s[0:1], 0x8
	s_wait_xcnt 0x0
	s_bfe_u32 s0, ttmp6, 0x4000c
	s_and_b32 s1, ttmp6, 15
	s_add_co_i32 s0, s0, 1
	s_getreg_b32 s2, hwreg(HW_REG_IB_STS2, 6, 4)
	s_mul_i32 s0, ttmp9, s0
	s_delay_alu instid0(SALU_CYCLE_1) | instskip(SKIP_2) | instid1(SALU_CYCLE_1)
	s_add_co_i32 s1, s1, s0
	s_cmp_eq_u32 s2, 0
	s_cselect_b32 s0, ttmp9, s1
	s_lshl_b32 s2, s0, 12
	s_mov_b32 s0, -1
	s_wait_kmcnt 0x0
	s_sub_co_i32 s1, s3, s2
	s_delay_alu instid0(SALU_CYCLE_1)
	s_cmp_gt_i32 s1, 0xfff
	s_cbranch_scc0 .LBB49_2
; %bb.1:
	s_ashr_i32 s3, s2, 31
	s_mov_b32 s0, 0
	s_lshl_b64 s[8:9], s[2:3], 1
	s_delay_alu instid0(SALU_CYCLE_1)
	s_add_nc_u64 s[8:9], s[6:7], s[8:9]
	s_clause 0x1
	global_load_b128 v[2:5], v0, s[8:9] scale_offset
	global_load_b128 v[6:9], v0, s[8:9] offset:4096 scale_offset
	s_wait_xcnt 0x0
	s_add_nc_u64 s[8:9], s[4:5], s[2:3]
	s_wait_loadcnt 0x1
	v_cmp_eq_f16_e32 vcc_lo, 0x7c00, v2
	s_wait_loadcnt 0x0
	v_dual_lshrrev_b32 v11, 16, v9 :: v_dual_lshrrev_b32 v12, 16, v2
	v_dual_lshrrev_b32 v13, 16, v3 :: v_dual_lshrrev_b32 v14, 16, v4
	v_cndmask_b32_e64 v2, 0, 1, vcc_lo
	v_cmp_eq_f16_e32 vcc_lo, 0x7c00, v3
	v_dual_lshrrev_b32 v1, 16, v5 :: v_dual_lshrrev_b32 v10, 16, v7
	v_dual_lshrrev_b32 v15, 16, v6 :: v_dual_lshrrev_b32 v16, 16, v8
	v_cndmask_b32_e64 v3, 0, 1, vcc_lo
	v_cmp_eq_f16_e32 vcc_lo, 0x7c00, v4
	v_cndmask_b32_e64 v4, 0, 1, vcc_lo
	v_cmp_eq_f16_e32 vcc_lo, 0x7c00, v5
	;; [unrolled: 2-line block ×8, first 2 shown]
	s_delay_alu instid0(VALU_DEP_2) | instskip(SKIP_2) | instid1(VALU_DEP_2)
	v_lshlrev_b16 v12, 8, v12
	v_cndmask_b32_e64 v13, 0, 1, vcc_lo
	v_cmp_eq_f16_e32 vcc_lo, 0x7c00, v14
	v_lshlrev_b16 v13, 8, v13
	v_cndmask_b32_e64 v14, 0, 1, vcc_lo
	v_cmp_eq_f16_e32 vcc_lo, 0x7c00, v1
	s_delay_alu instid0(VALU_DEP_2) | instskip(SKIP_2) | instid1(VALU_DEP_2)
	v_lshlrev_b16 v14, 8, v14
	v_cndmask_b32_e64 v1, 0, 1, vcc_lo
	v_cmp_eq_f16_e32 vcc_lo, 0x7c00, v15
	v_lshlrev_b16 v1, 8, v1
	v_cndmask_b32_e64 v15, 0, 1, vcc_lo
	v_cmp_eq_f16_e32 vcc_lo, 0x7c00, v10
	s_delay_alu instid0(VALU_DEP_3) | instskip(NEXT) | instid1(VALU_DEP_3)
	v_or_b32_e32 v1, v5, v1
	v_lshlrev_b16 v15, 8, v15
	v_cndmask_b32_e64 v10, 0, 1, vcc_lo
	v_cmp_eq_f16_e32 vcc_lo, 0x7c00, v16
	s_delay_alu instid0(VALU_DEP_3) | instskip(NEXT) | instid1(VALU_DEP_3)
	v_or_b32_e32 v5, v6, v15
	v_lshlrev_b16 v10, 8, v10
	v_cndmask_b32_e64 v16, 0, 1, vcc_lo
	v_cmp_eq_f16_e32 vcc_lo, 0x7c00, v11
	s_delay_alu instid0(VALU_DEP_4) | instskip(NEXT) | instid1(VALU_DEP_4)
	v_and_b32_e32 v5, 0xffff, v5
	v_or_b32_e32 v6, v7, v10
	s_delay_alu instid0(VALU_DEP_4) | instskip(SKIP_1) | instid1(VALU_DEP_3)
	v_lshlrev_b16 v16, 8, v16
	v_cndmask_b32_e64 v11, 0, 1, vcc_lo
	v_dual_lshlrev_b32 v6, 16, v6 :: v_dual_bitop2_b32 v3, v3, v13 bitop3:0x54
	s_delay_alu instid0(VALU_DEP_3) | instskip(NEXT) | instid1(VALU_DEP_3)
	v_or_b32_e32 v7, v8, v16
	v_lshlrev_b16 v11, 8, v11
	s_delay_alu instid0(VALU_DEP_3) | instskip(NEXT) | instid1(VALU_DEP_3)
	v_dual_lshlrev_b32 v3, 16, v3 :: v_dual_bitop2_b32 v2, v2, v12 bitop3:0x54
	v_and_b32_e32 v7, 0xffff, v7
	s_delay_alu instid0(VALU_DEP_3) | instskip(NEXT) | instid1(VALU_DEP_3)
	v_or_b32_e32 v8, v9, v11
	v_and_b32_e32 v2, 0xffff, v2
	s_delay_alu instid0(VALU_DEP_2) | instskip(NEXT) | instid1(VALU_DEP_2)
	v_dual_lshlrev_b32 v8, 16, v8 :: v_dual_bitop2_b32 v4, v4, v14 bitop3:0x54
	v_dual_lshlrev_b32 v1, 16, v1 :: v_dual_bitop2_b32 v2, v2, v3 bitop3:0x54
	s_delay_alu instid0(VALU_DEP_2) | instskip(NEXT) | instid1(VALU_DEP_1)
	v_and_b32_e32 v4, 0xffff, v4
	v_or_b32_e32 v3, v4, v1
	v_or_b32_e32 v4, v5, v6
	;; [unrolled: 1-line block ×3, first 2 shown]
	s_clause 0x1
	global_store_b64 v0, v[2:3], s[8:9] scale_offset
	global_store_b64 v0, v[4:5], s[8:9] offset:2048 scale_offset
.LBB49_2:
	s_and_not1_b32 vcc_lo, exec_lo, s0
	s_cbranch_vccnz .LBB49_52
; %bb.3:
	v_cmp_gt_i32_e32 vcc_lo, s1, v0
	s_wait_xcnt 0x1
	v_dual_mov_b32 v3, v0 :: v_dual_bitop2_b32 v1, s2, v0 bitop3:0x54
	v_or_b32_e32 v2, 0x100, v0
	s_wait_xcnt 0x0
	s_mov_b32 s8, 0
	s_mov_b32 s9, 0
	s_and_saveexec_b32 s3, vcc_lo
	s_cbranch_execz .LBB49_5
; %bb.4:
	global_load_u16 v3, v1, s[6:7] scale_offset
	s_wait_loadcnt 0x0
	v_cmp_eq_f16_e64 s0, 0x7c00, v3
	v_or_b32_e32 v3, 0x100, v0
	s_and_b32 s9, s0, exec_lo
.LBB49_5:
	s_wait_xcnt 0x0
	s_or_b32 exec_lo, exec_lo, s3
	s_delay_alu instid0(SALU_CYCLE_1)
	s_mov_b32 s3, exec_lo
	v_cmpx_gt_i32_e64 s1, v3
	s_cbranch_execz .LBB49_7
; %bb.6:
	v_add_nc_u32_e32 v4, s2, v3
	v_add_nc_u32_e32 v3, 0x100, v3
	global_load_u16 v4, v4, s[6:7] scale_offset
	s_wait_loadcnt 0x0
	v_cmp_eq_f16_e64 s0, 0x7c00, v4
	s_and_b32 s8, s0, exec_lo
.LBB49_7:
	s_wait_xcnt 0x0
	s_or_b32 exec_lo, exec_lo, s3
	s_mov_b32 s10, 0
	s_mov_b32 s11, 0
	s_mov_b32 s3, exec_lo
	v_cmpx_gt_i32_e64 s1, v3
	s_cbranch_execz .LBB49_9
; %bb.8:
	v_add_nc_u32_e32 v4, s2, v3
	v_add_nc_u32_e32 v3, 0x100, v3
	global_load_u16 v4, v4, s[6:7] scale_offset
	s_wait_loadcnt 0x0
	v_cmp_eq_f16_e64 s0, 0x7c00, v4
	s_and_b32 s11, s0, exec_lo
.LBB49_9:
	s_wait_xcnt 0x0
	s_or_b32 exec_lo, exec_lo, s3
	s_delay_alu instid0(SALU_CYCLE_1)
	s_mov_b32 s3, exec_lo
	v_cmpx_gt_i32_e64 s1, v3
	s_cbranch_execz .LBB49_11
; %bb.10:
	v_add_nc_u32_e32 v4, s2, v3
	v_add_nc_u32_e32 v3, 0x100, v3
	global_load_u16 v4, v4, s[6:7] scale_offset
	s_wait_loadcnt 0x0
	v_cmp_eq_f16_e64 s0, 0x7c00, v4
	s_and_b32 s10, s0, exec_lo
.LBB49_11:
	s_wait_xcnt 0x0
	s_or_b32 exec_lo, exec_lo, s3
	s_mov_b32 s12, 0
	s_mov_b32 s14, 0
	s_mov_b32 s3, exec_lo
	v_cmpx_gt_i32_e64 s1, v3
	s_cbranch_execz .LBB49_13
; %bb.12:
	v_add_nc_u32_e32 v4, s2, v3
	v_add_nc_u32_e32 v3, 0x100, v3
	global_load_u16 v4, v4, s[6:7] scale_offset
	s_wait_loadcnt 0x0
	v_cmp_eq_f16_e64 s0, 0x7c00, v4
	s_and_b32 s14, s0, exec_lo
.LBB49_13:
	s_wait_xcnt 0x0
	s_or_b32 exec_lo, exec_lo, s3
	s_delay_alu instid0(SALU_CYCLE_1)
	s_mov_b32 s3, exec_lo
	v_cmpx_gt_i32_e64 s1, v3
	s_cbranch_execz .LBB49_15
; %bb.14:
	v_add_nc_u32_e32 v4, s2, v3
	v_add_nc_u32_e32 v3, 0x100, v3
	global_load_u16 v4, v4, s[6:7] scale_offset
	s_wait_loadcnt 0x0
	v_cmp_eq_f16_e64 s0, 0x7c00, v4
	s_and_b32 s12, s0, exec_lo
.LBB49_15:
	s_wait_xcnt 0x0
	s_or_b32 exec_lo, exec_lo, s3
	s_mov_b32 s3, 0
	s_mov_b32 s17, 0
	s_mov_b32 s13, exec_lo
	v_cmpx_gt_i32_e64 s1, v3
	s_cbranch_execz .LBB49_17
; %bb.16:
	v_add_nc_u32_e32 v4, s2, v3
	v_add_nc_u32_e32 v3, 0x100, v3
	global_load_u16 v4, v4, s[6:7] scale_offset
	s_wait_loadcnt 0x0
	v_cmp_eq_f16_e64 s0, 0x7c00, v4
	s_and_b32 s17, s0, exec_lo
.LBB49_17:
	s_wait_xcnt 0x0
	s_or_b32 exec_lo, exec_lo, s13
	s_delay_alu instid0(SALU_CYCLE_1)
	s_mov_b32 s13, exec_lo
	v_cmpx_gt_i32_e64 s1, v3
	s_cbranch_execz .LBB49_19
; %bb.18:
	v_add_nc_u32_e32 v4, s2, v3
	v_add_nc_u32_e32 v3, 0x100, v3
	global_load_u16 v4, v4, s[6:7] scale_offset
	s_wait_loadcnt 0x0
	v_cmp_eq_f16_e64 s0, 0x7c00, v4
	s_and_b32 s3, s0, exec_lo
.LBB49_19:
	s_wait_xcnt 0x0
	s_or_b32 exec_lo, exec_lo, s13
	s_mov_b32 s13, 0
	s_mov_b32 s15, 0
	s_mov_b32 s16, exec_lo
	v_cmpx_gt_i32_e64 s1, v3
	s_cbranch_execz .LBB49_21
; %bb.20:
	v_add_nc_u32_e32 v4, s2, v3
	v_add_nc_u32_e32 v3, 0x100, v3
	global_load_u16 v4, v4, s[6:7] scale_offset
	s_wait_loadcnt 0x0
	v_cmp_eq_f16_e64 s0, 0x7c00, v4
	s_and_b32 s15, s0, exec_lo
.LBB49_21:
	s_wait_xcnt 0x0
	s_or_b32 exec_lo, exec_lo, s16
	s_delay_alu instid0(SALU_CYCLE_1)
	s_mov_b32 s16, exec_lo
	v_cmpx_gt_i32_e64 s1, v3
	s_cbranch_execz .LBB49_23
; %bb.22:
	v_add_nc_u32_e32 v4, s2, v3
	v_add_nc_u32_e32 v3, 0x100, v3
	global_load_u16 v4, v4, s[6:7] scale_offset
	s_wait_loadcnt 0x0
	v_cmp_eq_f16_e64 s0, 0x7c00, v4
	s_and_b32 s13, s0, exec_lo
.LBB49_23:
	s_wait_xcnt 0x0
	s_or_b32 exec_lo, exec_lo, s16
	s_mov_b32 s16, 0
	s_mov_b32 s18, 0
	s_mov_b32 s19, exec_lo
	v_cmpx_gt_i32_e64 s1, v3
	s_cbranch_execz .LBB49_25
; %bb.24:
	v_add_nc_u32_e32 v4, s2, v3
	v_add_nc_u32_e32 v3, 0x100, v3
	global_load_u16 v4, v4, s[6:7] scale_offset
	s_wait_loadcnt 0x0
	v_cmp_eq_f16_e64 s0, 0x7c00, v4
	s_and_b32 s18, s0, exec_lo
.LBB49_25:
	s_wait_xcnt 0x0
	s_or_b32 exec_lo, exec_lo, s19
	s_delay_alu instid0(SALU_CYCLE_1)
	s_mov_b32 s19, exec_lo
	v_cmpx_gt_i32_e64 s1, v3
	s_cbranch_execz .LBB49_27
; %bb.26:
	v_add_nc_u32_e32 v4, s2, v3
	v_add_nc_u32_e32 v3, 0x100, v3
	global_load_u16 v4, v4, s[6:7] scale_offset
	s_wait_loadcnt 0x0
	v_cmp_eq_f16_e64 s0, 0x7c00, v4
	s_and_b32 s16, s0, exec_lo
.LBB49_27:
	s_wait_xcnt 0x0
	s_or_b32 exec_lo, exec_lo, s19
	s_mov_b32 s20, 0
	s_mov_b32 s21, 0
	s_mov_b32 s19, exec_lo
	v_cmpx_gt_i32_e64 s1, v3
	s_cbranch_execz .LBB49_29
; %bb.28:
	v_add_nc_u32_e32 v4, s2, v3
	v_add_nc_u32_e32 v3, 0x100, v3
	global_load_u16 v4, v4, s[6:7] scale_offset
	s_wait_loadcnt 0x0
	v_cmp_eq_f16_e64 s0, 0x7c00, v4
	s_and_b32 s21, s0, exec_lo
.LBB49_29:
	s_wait_xcnt 0x0
	s_or_b32 exec_lo, exec_lo, s19
	s_delay_alu instid0(SALU_CYCLE_1)
	s_mov_b32 s19, exec_lo
	v_cmpx_gt_i32_e64 s1, v3
	s_cbranch_execz .LBB49_31
; %bb.30:
	v_add_nc_u32_e32 v4, s2, v3
	v_add_nc_u32_e32 v3, 0x100, v3
	global_load_u16 v4, v4, s[6:7] scale_offset
	s_wait_loadcnt 0x0
	v_cmp_eq_f16_e64 s0, 0x7c00, v4
	s_and_b32 s20, s0, exec_lo
.LBB49_31:
	s_wait_xcnt 0x0
	s_or_b32 exec_lo, exec_lo, s19
	s_mov_b32 s19, 0
	s_mov_b32 s22, 0
	s_mov_b32 s23, exec_lo
	v_cmpx_gt_i32_e64 s1, v3
	s_cbranch_execz .LBB49_33
; %bb.32:
	v_add_nc_u32_e32 v4, s2, v3
	v_add_nc_u32_e32 v3, 0x100, v3
	global_load_u16 v4, v4, s[6:7] scale_offset
	s_wait_loadcnt 0x0
	v_cmp_eq_f16_e64 s0, 0x7c00, v4
	s_and_b32 s22, s0, exec_lo
.LBB49_33:
	s_wait_xcnt 0x0
	s_or_b32 exec_lo, exec_lo, s23
	s_delay_alu instid0(SALU_CYCLE_1)
	s_mov_b32 s23, exec_lo
	v_cmpx_gt_i32_e64 s1, v3
	s_cbranch_execz .LBB49_35
; %bb.34:
	v_add_nc_u32_e32 v3, s2, v3
	global_load_u16 v3, v3, s[6:7] scale_offset
	s_wait_loadcnt 0x0
	v_cmp_eq_f16_e64 s0, 0x7c00, v3
	s_and_b32 s19, s0, exec_lo
.LBB49_35:
	s_wait_xcnt 0x0
	s_or_b32 exec_lo, exec_lo, s23
	v_cndmask_b32_e64 v5, 0, 1, s14
	v_cndmask_b32_e64 v3, 0, 1, s9
	;; [unrolled: 1-line block ×3, first 2 shown]
	v_or_b32_e32 v10, 0x400, v0
	v_cndmask_b32_e64 v9, 0, 1, s12
	v_bitop3_b16 v5, v5, 0, 0xff00 bitop3:0xf8
	v_or_b32_e32 v6, 0x200, v0
	v_lshlrev_b16 v4, 8, v4
	v_cmp_gt_i32_e64 s0, s1, v10
	v_lshlrev_b16 v9, 8, v9
	v_and_b32_e32 v5, 0xffff, v5
	v_cndmask_b32_e32 v3, 0, v3, vcc_lo
	v_cndmask_b32_e64 v7, 0, 1, s11
	v_or_b32_e32 v10, 0xc00, v0
	v_or_b32_e32 v11, 0x500, v0
	s_delay_alu instid0(VALU_DEP_4) | instskip(SKIP_3) | instid1(VALU_DEP_4)
	v_dual_cndmask_b32 v5, 0, v5, s0 :: v_dual_bitop2_b32 v4, v3, v4 bitop3:0x54
	v_cmp_gt_i32_e64 s0, s1, v2
	v_cndmask_b32_e64 v12, 0, 1, s21
	v_cndmask_b32_e64 v8, 0, 1, s10
	v_bitop3_b16 v9, v5, v9, 0xff bitop3:0xec
	v_and_b32_e32 v4, 0xffff, v4
	v_cndmask_b32_e64 v13, 0, 1, s20
	v_cndmask_b32_e64 v14, 0, 1, s18
	v_lshlrev_b16 v8, 8, v8
	v_and_b32_e32 v9, 0xffff, v9
	v_cndmask_b32_e64 v3, v3, v4, s0
	v_cmp_gt_i32_e64 s0, s1, v6
	v_cndmask_b32_e64 v4, 0, 1, s17
	s_delay_alu instid0(VALU_DEP_3) | instskip(NEXT) | instid1(VALU_DEP_1)
	v_lshl_or_b32 v7, v7, 16, v3
	v_cndmask_b32_e64 v3, v3, v7, s0
	v_cmp_gt_i32_e64 s0, s1, v10
	v_lshlrev_b16 v7, 8, v13
	v_or_b32_e32 v10, 0x800, v0
	v_or_b32_e32 v13, 0xd00, v0
	s_delay_alu instid0(VALU_DEP_4) | instskip(SKIP_2) | instid1(VALU_DEP_2)
	v_cndmask_b32_e64 v6, 0, v12, s0
	v_cmp_gt_i32_e64 s0, s1, v11
	v_cndmask_b32_e64 v11, 0, 1, s15
	v_dual_cndmask_b32 v5, v5, v9, s0 :: v_dual_lshrrev_b32 v9, 16, v3
	s_delay_alu instid0(VALU_DEP_4) | instskip(SKIP_1) | instid1(VALU_DEP_3)
	v_bitop3_b16 v7, v6, v7, 0xff bitop3:0xec
	v_cmp_gt_i32_e64 s0, s1, v10
	v_bitop3_b16 v8, v9, v8, 0xff bitop3:0xec
	s_delay_alu instid0(VALU_DEP_4) | instskip(NEXT) | instid1(VALU_DEP_4)
	v_lshrrev_b32_e32 v12, 16, v5
	v_and_b32_e32 v7, 0xffff, v7
	v_cndmask_b32_e64 v9, 0, 1, s13
	s_delay_alu instid0(VALU_DEP_4) | instskip(NEXT) | instid1(VALU_DEP_4)
	v_lshlrev_b32_e32 v8, 16, v8
	v_bitop3_b16 v4, v4, v12, 0xff00 bitop3:0xf8
	v_cndmask_b32_e64 v10, 0, v11, s0
	v_cmp_gt_i32_e64 s0, s1, v13
	v_lshlrev_b16 v9, 8, v9
	v_or_b32_e32 v11, 0x900, v0
	v_lshlrev_b32_e32 v4, 16, v4
	v_cndmask_b32_e64 v13, 0, 1, s22
	v_and_or_b32 v8, 0xffff, v3, v8
	s_delay_alu instid0(VALU_DEP_3) | instskip(SKIP_2) | instid1(VALU_DEP_1)
	v_and_or_b32 v4, 0xffff, v5, v4
	v_cndmask_b32_e64 v6, v6, v7, s0
	v_or_b32_e32 v7, 0x600, v0
	v_cmp_gt_i32_e64 s0, s1, v7
	s_delay_alu instid0(VALU_DEP_1) | instskip(NEXT) | instid1(VALU_DEP_4)
	v_dual_cndmask_b32 v4, v5, v4, s0 :: v_dual_bitop2_b32 v9, v10, v9 bitop3:0x54
	v_lshrrev_b32_e32 v12, 16, v6
	v_cmp_gt_i32_e64 s0, s1, v11
	s_delay_alu instid0(VALU_DEP_3) | instskip(NEXT) | instid1(VALU_DEP_3)
	v_and_b32_e32 v9, 0xffff, v9
	v_bitop3_b16 v5, v13, v12, 0xff00 bitop3:0xf8
	v_or_b32_e32 v12, 0xa00, v0
	v_lshrrev_b32_e32 v11, 16, v4
	v_or_b32_e32 v13, 0xe00, v0
	v_dual_cndmask_b32 v7, v10, v9, s0 :: v_dual_lshlrev_b32 v9, 16, v14
	v_lshlrev_b32_e32 v5, 16, v5
	v_cmp_gt_i32_e64 s0, s1, v12
	v_cndmask_b32_e64 v10, 0, 1, s3
	s_delay_alu instid0(VALU_DEP_4) | instskip(NEXT) | instid1(VALU_DEP_4)
	v_and_or_b32 v9, 0x1ff, v7, v9
	v_and_or_b32 v5, 0xffff, v6, v5
	s_delay_alu instid0(VALU_DEP_3) | instskip(NEXT) | instid1(VALU_DEP_3)
	v_lshlrev_b16 v10, 8, v10
	v_cndmask_b32_e64 v7, v7, v9, s0
	v_cmp_gt_i32_e64 s0, s1, v13
	v_cndmask_b32_e64 v9, 0, 1, s16
	v_or_b32_e32 v13, 0x300, v0
	s_delay_alu instid0(VALU_DEP_3)
	v_cndmask_b32_e64 v12, v6, v5, s0
	v_cndmask_b32_e64 v5, 0, 1, s19
	v_bitop3_b16 v6, v11, v10, 0xff bitop3:0xec
	v_lshlrev_b16 v9, 8, v9
	v_cmp_gt_i32_e64 s0, s1, v13
	v_dual_lshrrev_b32 v11, 16, v12 :: v_dual_lshrrev_b32 v10, 16, v7
	v_lshlrev_b16 v5, 8, v5
	s_delay_alu instid0(VALU_DEP_2) | instskip(NEXT) | instid1(VALU_DEP_4)
	v_bitop3_b16 v9, v10, v9, 0xff bitop3:0xec
	v_dual_lshlrev_b32 v10, 16, v6 :: v_dual_cndmask_b32 v6, v3, v8, s0
	s_delay_alu instid0(VALU_DEP_3) | instskip(SKIP_2) | instid1(VALU_DEP_3)
	v_bitop3_b16 v5, v11, v5, 0xff bitop3:0xec
	v_or_b32_e32 v8, 0x700, v0
	v_or_b32_e32 v11, 0xf00, v0
	v_lshlrev_b32_e32 v5, 16, v5
	s_delay_alu instid0(VALU_DEP_3) | instskip(SKIP_4) | instid1(VALU_DEP_3)
	v_cmp_gt_i32_e64 s0, s1, v8
	v_lshlrev_b32_e32 v3, 16, v9
	v_and_or_b32 v9, 0xffff, v4, v10
	v_or_b32_e32 v10, 0xb00, v0
	v_and_or_b32 v13, 0xffff, v12, v5
	v_cndmask_b32_e64 v5, v4, v9, s0
	v_and_or_b32 v3, 0xffff, v7, v3
	s_delay_alu instid0(VALU_DEP_4) | instskip(NEXT) | instid1(VALU_DEP_1)
	v_cmp_gt_i32_e64 s0, s1, v10
	v_cndmask_b32_e64 v4, v7, v3, s0
	v_cmp_gt_i32_e64 s0, s1, v11
	s_delay_alu instid0(VALU_DEP_1)
	v_cndmask_b32_e64 v3, v12, v13, s0
	s_and_saveexec_b32 s0, vcc_lo
	s_cbranch_execnz .LBB49_53
; %bb.36:
	s_or_b32 exec_lo, exec_lo, s0
	s_delay_alu instid0(SALU_CYCLE_1)
	s_mov_b32 s0, exec_lo
	v_cmpx_gt_i32_e64 s1, v0
	s_cbranch_execnz .LBB49_54
.LBB49_37:
	s_or_b32 exec_lo, exec_lo, s0
	s_delay_alu instid0(SALU_CYCLE_1)
	s_mov_b32 s0, exec_lo
	v_cmpx_gt_i32_e64 s1, v0
	s_cbranch_execnz .LBB49_55
.LBB49_38:
	s_or_b32 exec_lo, exec_lo, s0
	s_delay_alu instid0(SALU_CYCLE_1)
	s_mov_b32 s0, exec_lo
	v_cmpx_gt_i32_e64 s1, v0
	s_cbranch_execnz .LBB49_56
.LBB49_39:
	s_or_b32 exec_lo, exec_lo, s0
	s_delay_alu instid0(SALU_CYCLE_1)
	s_mov_b32 s0, exec_lo
	v_cmpx_gt_i32_e64 s1, v0
	s_cbranch_execnz .LBB49_57
.LBB49_40:
	s_or_b32 exec_lo, exec_lo, s0
	s_delay_alu instid0(SALU_CYCLE_1)
	s_mov_b32 s0, exec_lo
	v_cmpx_gt_i32_e64 s1, v0
	s_cbranch_execnz .LBB49_58
.LBB49_41:
	s_or_b32 exec_lo, exec_lo, s0
	s_delay_alu instid0(SALU_CYCLE_1)
	s_mov_b32 s0, exec_lo
	v_cmpx_gt_i32_e64 s1, v0
	s_cbranch_execnz .LBB49_59
.LBB49_42:
	s_or_b32 exec_lo, exec_lo, s0
	s_delay_alu instid0(SALU_CYCLE_1)
	s_mov_b32 s0, exec_lo
	v_cmpx_gt_i32_e64 s1, v0
	s_cbranch_execnz .LBB49_60
.LBB49_43:
	s_or_b32 exec_lo, exec_lo, s0
	s_delay_alu instid0(SALU_CYCLE_1)
	s_mov_b32 s0, exec_lo
	v_cmpx_gt_i32_e64 s1, v0
	s_cbranch_execnz .LBB49_61
.LBB49_44:
	s_or_b32 exec_lo, exec_lo, s0
	s_delay_alu instid0(SALU_CYCLE_1)
	s_mov_b32 s0, exec_lo
	v_cmpx_gt_i32_e64 s1, v0
	s_cbranch_execnz .LBB49_62
.LBB49_45:
	s_or_b32 exec_lo, exec_lo, s0
	s_delay_alu instid0(SALU_CYCLE_1)
	s_mov_b32 s0, exec_lo
	v_cmpx_gt_i32_e64 s1, v0
	s_cbranch_execnz .LBB49_63
.LBB49_46:
	s_or_b32 exec_lo, exec_lo, s0
	s_delay_alu instid0(SALU_CYCLE_1)
	s_mov_b32 s0, exec_lo
	v_cmpx_gt_i32_e64 s1, v0
	s_cbranch_execnz .LBB49_64
.LBB49_47:
	s_or_b32 exec_lo, exec_lo, s0
	s_delay_alu instid0(SALU_CYCLE_1)
	s_mov_b32 s0, exec_lo
	v_cmpx_gt_i32_e64 s1, v0
	s_cbranch_execnz .LBB49_65
.LBB49_48:
	s_or_b32 exec_lo, exec_lo, s0
	s_delay_alu instid0(SALU_CYCLE_1)
	s_mov_b32 s0, exec_lo
	v_cmpx_gt_i32_e64 s1, v0
	s_cbranch_execnz .LBB49_66
.LBB49_49:
	s_or_b32 exec_lo, exec_lo, s0
	s_delay_alu instid0(SALU_CYCLE_1)
	s_mov_b32 s0, exec_lo
	v_cmpx_gt_i32_e64 s1, v0
	s_cbranch_execnz .LBB49_67
.LBB49_50:
	s_or_b32 exec_lo, exec_lo, s0
	s_delay_alu instid0(SALU_CYCLE_1)
	s_mov_b32 s0, exec_lo
	v_cmpx_gt_i32_e64 s1, v0
	s_cbranch_execz .LBB49_52
.LBB49_51:
	v_dual_lshrrev_b32 v1, 24, v3 :: v_dual_add_nc_u32 v0, s2, v0
	global_store_b8 v0, v1, s[4:5]
.LBB49_52:
	s_endpgm
.LBB49_53:
	v_mov_b32_e32 v0, v2
	global_store_b8 v1, v6, s[4:5]
	s_wait_xcnt 0x0
	s_or_b32 exec_lo, exec_lo, s0
	s_delay_alu instid0(SALU_CYCLE_1)
	s_mov_b32 s0, exec_lo
	v_cmpx_gt_i32_e64 s1, v0
	s_cbranch_execz .LBB49_37
.LBB49_54:
	v_dual_lshrrev_b32 v1, 8, v6 :: v_dual_add_nc_u32 v2, s2, v0
	v_add_nc_u32_e32 v0, 0x100, v0
	global_store_b8 v2, v1, s[4:5]
	s_wait_xcnt 0x0
	s_or_b32 exec_lo, exec_lo, s0
	s_delay_alu instid0(SALU_CYCLE_1)
	s_mov_b32 s0, exec_lo
	v_cmpx_gt_i32_e64 s1, v0
	s_cbranch_execz .LBB49_38
.LBB49_55:
	v_add_nc_u32_e32 v1, s2, v0
	v_add_nc_u32_e32 v0, 0x100, v0
	global_store_d16_hi_b8 v1, v6, s[4:5]
	s_wait_xcnt 0x0
	s_or_b32 exec_lo, exec_lo, s0
	s_delay_alu instid0(SALU_CYCLE_1)
	s_mov_b32 s0, exec_lo
	v_cmpx_gt_i32_e64 s1, v0
	s_cbranch_execz .LBB49_39
.LBB49_56:
	v_dual_lshrrev_b32 v1, 24, v6 :: v_dual_add_nc_u32 v2, s2, v0
	v_add_nc_u32_e32 v0, 0x100, v0
	global_store_b8 v2, v1, s[4:5]
	s_wait_xcnt 0x0
	s_or_b32 exec_lo, exec_lo, s0
	s_delay_alu instid0(SALU_CYCLE_1)
	s_mov_b32 s0, exec_lo
	v_cmpx_gt_i32_e64 s1, v0
	s_cbranch_execz .LBB49_40
.LBB49_57:
	v_add_nc_u32_e32 v1, s2, v0
	v_add_nc_u32_e32 v0, 0x100, v0
	global_store_b8 v1, v5, s[4:5]
	s_wait_xcnt 0x0
	s_or_b32 exec_lo, exec_lo, s0
	s_delay_alu instid0(SALU_CYCLE_1)
	s_mov_b32 s0, exec_lo
	v_cmpx_gt_i32_e64 s1, v0
	s_cbranch_execz .LBB49_41
.LBB49_58:
	v_dual_lshrrev_b32 v1, 8, v5 :: v_dual_add_nc_u32 v2, s2, v0
	v_add_nc_u32_e32 v0, 0x100, v0
	global_store_b8 v2, v1, s[4:5]
	s_wait_xcnt 0x0
	s_or_b32 exec_lo, exec_lo, s0
	s_delay_alu instid0(SALU_CYCLE_1)
	s_mov_b32 s0, exec_lo
	v_cmpx_gt_i32_e64 s1, v0
	s_cbranch_execz .LBB49_42
.LBB49_59:
	v_add_nc_u32_e32 v1, s2, v0
	v_add_nc_u32_e32 v0, 0x100, v0
	global_store_d16_hi_b8 v1, v5, s[4:5]
	s_wait_xcnt 0x0
	s_or_b32 exec_lo, exec_lo, s0
	s_delay_alu instid0(SALU_CYCLE_1)
	s_mov_b32 s0, exec_lo
	v_cmpx_gt_i32_e64 s1, v0
	s_cbranch_execz .LBB49_43
.LBB49_60:
	v_dual_lshrrev_b32 v1, 24, v5 :: v_dual_add_nc_u32 v2, s2, v0
	v_add_nc_u32_e32 v0, 0x100, v0
	global_store_b8 v2, v1, s[4:5]
	s_wait_xcnt 0x0
	s_or_b32 exec_lo, exec_lo, s0
	s_delay_alu instid0(SALU_CYCLE_1)
	s_mov_b32 s0, exec_lo
	v_cmpx_gt_i32_e64 s1, v0
	s_cbranch_execz .LBB49_44
.LBB49_61:
	v_add_nc_u32_e32 v1, s2, v0
	v_add_nc_u32_e32 v0, 0x100, v0
	global_store_b8 v1, v4, s[4:5]
	s_wait_xcnt 0x0
	s_or_b32 exec_lo, exec_lo, s0
	s_delay_alu instid0(SALU_CYCLE_1)
	s_mov_b32 s0, exec_lo
	v_cmpx_gt_i32_e64 s1, v0
	s_cbranch_execz .LBB49_45
.LBB49_62:
	v_lshrrev_b32_e32 v1, 8, v4
	v_add_nc_u32_e32 v2, s2, v0
	v_add_nc_u32_e32 v0, 0x100, v0
	global_store_b8 v2, v1, s[4:5]
	s_wait_xcnt 0x0
	s_or_b32 exec_lo, exec_lo, s0
	s_delay_alu instid0(SALU_CYCLE_1)
	s_mov_b32 s0, exec_lo
	v_cmpx_gt_i32_e64 s1, v0
	s_cbranch_execz .LBB49_46
.LBB49_63:
	v_add_nc_u32_e32 v1, s2, v0
	v_add_nc_u32_e32 v0, 0x100, v0
	global_store_d16_hi_b8 v1, v4, s[4:5]
	s_wait_xcnt 0x0
	s_or_b32 exec_lo, exec_lo, s0
	s_delay_alu instid0(SALU_CYCLE_1)
	s_mov_b32 s0, exec_lo
	v_cmpx_gt_i32_e64 s1, v0
	s_cbranch_execz .LBB49_47
.LBB49_64:
	v_lshrrev_b32_e32 v1, 24, v4
	v_add_nc_u32_e32 v2, s2, v0
	v_add_nc_u32_e32 v0, 0x100, v0
	global_store_b8 v2, v1, s[4:5]
	s_wait_xcnt 0x0
	s_or_b32 exec_lo, exec_lo, s0
	s_delay_alu instid0(SALU_CYCLE_1)
	s_mov_b32 s0, exec_lo
	v_cmpx_gt_i32_e64 s1, v0
	s_cbranch_execz .LBB49_48
.LBB49_65:
	v_add_nc_u32_e32 v1, s2, v0
	v_add_nc_u32_e32 v0, 0x100, v0
	global_store_b8 v1, v3, s[4:5]
	s_wait_xcnt 0x0
	s_or_b32 exec_lo, exec_lo, s0
	s_delay_alu instid0(SALU_CYCLE_1)
	s_mov_b32 s0, exec_lo
	v_cmpx_gt_i32_e64 s1, v0
	s_cbranch_execz .LBB49_49
.LBB49_66:
	v_dual_lshrrev_b32 v1, 8, v3 :: v_dual_add_nc_u32 v2, s2, v0
	v_add_nc_u32_e32 v0, 0x100, v0
	global_store_b8 v2, v1, s[4:5]
	s_wait_xcnt 0x0
	s_or_b32 exec_lo, exec_lo, s0
	s_delay_alu instid0(SALU_CYCLE_1)
	s_mov_b32 s0, exec_lo
	v_cmpx_gt_i32_e64 s1, v0
	s_cbranch_execz .LBB49_50
.LBB49_67:
	v_add_nc_u32_e32 v1, s2, v0
	v_add_nc_u32_e32 v0, 0x100, v0
	global_store_d16_hi_b8 v1, v3, s[4:5]
	s_wait_xcnt 0x0
	s_or_b32 exec_lo, exec_lo, s0
	s_delay_alu instid0(SALU_CYCLE_1)
	s_mov_b32 s0, exec_lo
	v_cmpx_gt_i32_e64 s1, v0
	s_cbranch_execnz .LBB49_51
	s_branch .LBB49_52
	.section	.rodata,"a",@progbits
	.p2align	6, 0x0
	.amdhsa_kernel _ZN2at6native29vectorized_elementwise_kernelILi8EZZZNS0_12_GLOBAL__N_120isposinf_kernel_implERNS_18TensorIteratorBaseEENKUlvE_clEvENKUlvE1_clEvEUlN3c104HalfEE_St5arrayIPcLm2EEEEviT0_T1_
		.amdhsa_group_segment_fixed_size 0
		.amdhsa_private_segment_fixed_size 0
		.amdhsa_kernarg_size 24
		.amdhsa_user_sgpr_count 2
		.amdhsa_user_sgpr_dispatch_ptr 0
		.amdhsa_user_sgpr_queue_ptr 0
		.amdhsa_user_sgpr_kernarg_segment_ptr 1
		.amdhsa_user_sgpr_dispatch_id 0
		.amdhsa_user_sgpr_kernarg_preload_length 0
		.amdhsa_user_sgpr_kernarg_preload_offset 0
		.amdhsa_user_sgpr_private_segment_size 0
		.amdhsa_wavefront_size32 1
		.amdhsa_uses_dynamic_stack 0
		.amdhsa_enable_private_segment 0
		.amdhsa_system_sgpr_workgroup_id_x 1
		.amdhsa_system_sgpr_workgroup_id_y 0
		.amdhsa_system_sgpr_workgroup_id_z 0
		.amdhsa_system_sgpr_workgroup_info 0
		.amdhsa_system_vgpr_workitem_id 0
		.amdhsa_next_free_vgpr 17
		.amdhsa_next_free_sgpr 24
		.amdhsa_named_barrier_count 0
		.amdhsa_reserve_vcc 1
		.amdhsa_float_round_mode_32 0
		.amdhsa_float_round_mode_16_64 0
		.amdhsa_float_denorm_mode_32 3
		.amdhsa_float_denorm_mode_16_64 3
		.amdhsa_fp16_overflow 0
		.amdhsa_memory_ordered 1
		.amdhsa_forward_progress 1
		.amdhsa_inst_pref_size 32
		.amdhsa_round_robin_scheduling 0
		.amdhsa_exception_fp_ieee_invalid_op 0
		.amdhsa_exception_fp_denorm_src 0
		.amdhsa_exception_fp_ieee_div_zero 0
		.amdhsa_exception_fp_ieee_overflow 0
		.amdhsa_exception_fp_ieee_underflow 0
		.amdhsa_exception_fp_ieee_inexact 0
		.amdhsa_exception_int_div_zero 0
	.end_amdhsa_kernel
	.section	.text._ZN2at6native29vectorized_elementwise_kernelILi8EZZZNS0_12_GLOBAL__N_120isposinf_kernel_implERNS_18TensorIteratorBaseEENKUlvE_clEvENKUlvE1_clEvEUlN3c104HalfEE_St5arrayIPcLm2EEEEviT0_T1_,"axG",@progbits,_ZN2at6native29vectorized_elementwise_kernelILi8EZZZNS0_12_GLOBAL__N_120isposinf_kernel_implERNS_18TensorIteratorBaseEENKUlvE_clEvENKUlvE1_clEvEUlN3c104HalfEE_St5arrayIPcLm2EEEEviT0_T1_,comdat
.Lfunc_end49:
	.size	_ZN2at6native29vectorized_elementwise_kernelILi8EZZZNS0_12_GLOBAL__N_120isposinf_kernel_implERNS_18TensorIteratorBaseEENKUlvE_clEvENKUlvE1_clEvEUlN3c104HalfEE_St5arrayIPcLm2EEEEviT0_T1_, .Lfunc_end49-_ZN2at6native29vectorized_elementwise_kernelILi8EZZZNS0_12_GLOBAL__N_120isposinf_kernel_implERNS_18TensorIteratorBaseEENKUlvE_clEvENKUlvE1_clEvEUlN3c104HalfEE_St5arrayIPcLm2EEEEviT0_T1_
                                        ; -- End function
	.set _ZN2at6native29vectorized_elementwise_kernelILi8EZZZNS0_12_GLOBAL__N_120isposinf_kernel_implERNS_18TensorIteratorBaseEENKUlvE_clEvENKUlvE1_clEvEUlN3c104HalfEE_St5arrayIPcLm2EEEEviT0_T1_.num_vgpr, 17
	.set _ZN2at6native29vectorized_elementwise_kernelILi8EZZZNS0_12_GLOBAL__N_120isposinf_kernel_implERNS_18TensorIteratorBaseEENKUlvE_clEvENKUlvE1_clEvEUlN3c104HalfEE_St5arrayIPcLm2EEEEviT0_T1_.num_agpr, 0
	.set _ZN2at6native29vectorized_elementwise_kernelILi8EZZZNS0_12_GLOBAL__N_120isposinf_kernel_implERNS_18TensorIteratorBaseEENKUlvE_clEvENKUlvE1_clEvEUlN3c104HalfEE_St5arrayIPcLm2EEEEviT0_T1_.numbered_sgpr, 24
	.set _ZN2at6native29vectorized_elementwise_kernelILi8EZZZNS0_12_GLOBAL__N_120isposinf_kernel_implERNS_18TensorIteratorBaseEENKUlvE_clEvENKUlvE1_clEvEUlN3c104HalfEE_St5arrayIPcLm2EEEEviT0_T1_.num_named_barrier, 0
	.set _ZN2at6native29vectorized_elementwise_kernelILi8EZZZNS0_12_GLOBAL__N_120isposinf_kernel_implERNS_18TensorIteratorBaseEENKUlvE_clEvENKUlvE1_clEvEUlN3c104HalfEE_St5arrayIPcLm2EEEEviT0_T1_.private_seg_size, 0
	.set _ZN2at6native29vectorized_elementwise_kernelILi8EZZZNS0_12_GLOBAL__N_120isposinf_kernel_implERNS_18TensorIteratorBaseEENKUlvE_clEvENKUlvE1_clEvEUlN3c104HalfEE_St5arrayIPcLm2EEEEviT0_T1_.uses_vcc, 1
	.set _ZN2at6native29vectorized_elementwise_kernelILi8EZZZNS0_12_GLOBAL__N_120isposinf_kernel_implERNS_18TensorIteratorBaseEENKUlvE_clEvENKUlvE1_clEvEUlN3c104HalfEE_St5arrayIPcLm2EEEEviT0_T1_.uses_flat_scratch, 0
	.set _ZN2at6native29vectorized_elementwise_kernelILi8EZZZNS0_12_GLOBAL__N_120isposinf_kernel_implERNS_18TensorIteratorBaseEENKUlvE_clEvENKUlvE1_clEvEUlN3c104HalfEE_St5arrayIPcLm2EEEEviT0_T1_.has_dyn_sized_stack, 0
	.set _ZN2at6native29vectorized_elementwise_kernelILi8EZZZNS0_12_GLOBAL__N_120isposinf_kernel_implERNS_18TensorIteratorBaseEENKUlvE_clEvENKUlvE1_clEvEUlN3c104HalfEE_St5arrayIPcLm2EEEEviT0_T1_.has_recursion, 0
	.set _ZN2at6native29vectorized_elementwise_kernelILi8EZZZNS0_12_GLOBAL__N_120isposinf_kernel_implERNS_18TensorIteratorBaseEENKUlvE_clEvENKUlvE1_clEvEUlN3c104HalfEE_St5arrayIPcLm2EEEEviT0_T1_.has_indirect_call, 0
	.section	.AMDGPU.csdata,"",@progbits
; Kernel info:
; codeLenInByte = 4056
; TotalNumSgprs: 26
; NumVgprs: 17
; ScratchSize: 0
; MemoryBound: 0
; FloatMode: 240
; IeeeMode: 1
; LDSByteSize: 0 bytes/workgroup (compile time only)
; SGPRBlocks: 0
; VGPRBlocks: 1
; NumSGPRsForWavesPerEU: 26
; NumVGPRsForWavesPerEU: 17
; NamedBarCnt: 0
; Occupancy: 16
; WaveLimiterHint : 1
; COMPUTE_PGM_RSRC2:SCRATCH_EN: 0
; COMPUTE_PGM_RSRC2:USER_SGPR: 2
; COMPUTE_PGM_RSRC2:TRAP_HANDLER: 0
; COMPUTE_PGM_RSRC2:TGID_X_EN: 1
; COMPUTE_PGM_RSRC2:TGID_Y_EN: 0
; COMPUTE_PGM_RSRC2:TGID_Z_EN: 0
; COMPUTE_PGM_RSRC2:TIDIG_COMP_CNT: 0
	.section	.text._ZN2at6native29vectorized_elementwise_kernelILi4EZZZNS0_12_GLOBAL__N_120isposinf_kernel_implERNS_18TensorIteratorBaseEENKUlvE_clEvENKUlvE1_clEvEUlN3c104HalfEE_St5arrayIPcLm2EEEEviT0_T1_,"axG",@progbits,_ZN2at6native29vectorized_elementwise_kernelILi4EZZZNS0_12_GLOBAL__N_120isposinf_kernel_implERNS_18TensorIteratorBaseEENKUlvE_clEvENKUlvE1_clEvEUlN3c104HalfEE_St5arrayIPcLm2EEEEviT0_T1_,comdat
	.globl	_ZN2at6native29vectorized_elementwise_kernelILi4EZZZNS0_12_GLOBAL__N_120isposinf_kernel_implERNS_18TensorIteratorBaseEENKUlvE_clEvENKUlvE1_clEvEUlN3c104HalfEE_St5arrayIPcLm2EEEEviT0_T1_ ; -- Begin function _ZN2at6native29vectorized_elementwise_kernelILi4EZZZNS0_12_GLOBAL__N_120isposinf_kernel_implERNS_18TensorIteratorBaseEENKUlvE_clEvENKUlvE1_clEvEUlN3c104HalfEE_St5arrayIPcLm2EEEEviT0_T1_
	.p2align	8
	.type	_ZN2at6native29vectorized_elementwise_kernelILi4EZZZNS0_12_GLOBAL__N_120isposinf_kernel_implERNS_18TensorIteratorBaseEENKUlvE_clEvENKUlvE1_clEvEUlN3c104HalfEE_St5arrayIPcLm2EEEEviT0_T1_,@function
_ZN2at6native29vectorized_elementwise_kernelILi4EZZZNS0_12_GLOBAL__N_120isposinf_kernel_implERNS_18TensorIteratorBaseEENKUlvE_clEvENKUlvE1_clEvEUlN3c104HalfEE_St5arrayIPcLm2EEEEviT0_T1_: ; @_ZN2at6native29vectorized_elementwise_kernelILi4EZZZNS0_12_GLOBAL__N_120isposinf_kernel_implERNS_18TensorIteratorBaseEENKUlvE_clEvENKUlvE1_clEvEUlN3c104HalfEE_St5arrayIPcLm2EEEEviT0_T1_
; %bb.0:
	s_clause 0x1
	s_load_b32 s3, s[0:1], 0x0
	s_load_b128 s[4:7], s[0:1], 0x8
	s_wait_xcnt 0x0
	s_bfe_u32 s0, ttmp6, 0x4000c
	s_and_b32 s1, ttmp6, 15
	s_add_co_i32 s0, s0, 1
	s_getreg_b32 s2, hwreg(HW_REG_IB_STS2, 6, 4)
	s_mul_i32 s0, ttmp9, s0
	s_delay_alu instid0(SALU_CYCLE_1) | instskip(SKIP_2) | instid1(SALU_CYCLE_1)
	s_add_co_i32 s1, s1, s0
	s_cmp_eq_u32 s2, 0
	s_cselect_b32 s0, ttmp9, s1
	s_lshl_b32 s2, s0, 12
	s_mov_b32 s0, -1
	s_wait_kmcnt 0x0
	s_sub_co_i32 s1, s3, s2
	s_delay_alu instid0(SALU_CYCLE_1)
	s_cmp_gt_i32 s1, 0xfff
	s_cbranch_scc0 .LBB50_2
; %bb.1:
	s_ashr_i32 s3, s2, 31
	s_mov_b32 s0, 0
	s_lshl_b64 s[8:9], s[2:3], 1
	s_delay_alu instid0(SALU_CYCLE_1)
	s_add_nc_u64 s[8:9], s[6:7], s[8:9]
	s_clause 0x3
	global_load_b64 v[2:3], v0, s[8:9] offset:2048 scale_offset
	global_load_b64 v[4:5], v0, s[8:9] offset:4096 scale_offset
	global_load_b64 v[6:7], v0, s[8:9] offset:6144 scale_offset
	global_load_b64 v[8:9], v0, s[8:9] scale_offset
	s_wait_xcnt 0x0
	s_add_nc_u64 s[8:9], s[4:5], s[2:3]
	s_wait_loadcnt 0x2
	v_dual_lshrrev_b32 v1, 16, v3 :: v_dual_lshrrev_b32 v10, 16, v5
	s_wait_loadcnt 0x0
	v_dual_lshrrev_b32 v11, 16, v7 :: v_dual_lshrrev_b32 v12, 16, v8
	v_cmp_eq_f16_e32 vcc_lo, 0x7c00, v8
	v_dual_lshrrev_b32 v13, 16, v9 :: v_dual_lshrrev_b32 v14, 16, v2
	v_dual_lshrrev_b32 v15, 16, v4 :: v_dual_lshrrev_b32 v16, 16, v6
	v_cndmask_b32_e64 v8, 0, 1, vcc_lo
	v_cmp_eq_f16_e32 vcc_lo, 0x7c00, v9
	v_cndmask_b32_e64 v9, 0, 1, vcc_lo
	v_cmp_eq_f16_e32 vcc_lo, 0x7c00, v2
	;; [unrolled: 2-line block ×9, first 2 shown]
	s_delay_alu instid0(VALU_DEP_2) | instskip(SKIP_2) | instid1(VALU_DEP_2)
	v_lshlrev_b16 v12, 8, v12
	v_cndmask_b32_e64 v13, 0, 1, vcc_lo
	v_cmp_eq_f16_e32 vcc_lo, 0x7c00, v14
	v_lshlrev_b16 v13, 8, v13
	v_cndmask_b32_e64 v14, 0, 1, vcc_lo
	v_cmp_eq_f16_e32 vcc_lo, 0x7c00, v1
	s_delay_alu instid0(VALU_DEP_2) | instskip(SKIP_2) | instid1(VALU_DEP_2)
	v_lshlrev_b16 v14, 8, v14
	v_cndmask_b32_e64 v1, 0, 1, vcc_lo
	v_cmp_eq_f16_e32 vcc_lo, 0x7c00, v15
	v_lshlrev_b16 v1, 8, v1
	v_cndmask_b32_e64 v15, 0, 1, vcc_lo
	v_cmp_eq_f16_e32 vcc_lo, 0x7c00, v10
	s_delay_alu instid0(VALU_DEP_3) | instskip(NEXT) | instid1(VALU_DEP_3)
	v_or_b32_e32 v1, v3, v1
	v_lshlrev_b16 v15, 8, v15
	v_cndmask_b32_e64 v10, 0, 1, vcc_lo
	v_cmp_eq_f16_e32 vcc_lo, 0x7c00, v16
	s_delay_alu instid0(VALU_DEP_3) | instskip(NEXT) | instid1(VALU_DEP_3)
	v_or_b32_e32 v3, v4, v15
	v_lshlrev_b16 v10, 8, v10
	v_cndmask_b32_e64 v16, 0, 1, vcc_lo
	v_cmp_eq_f16_e32 vcc_lo, 0x7c00, v11
	s_delay_alu instid0(VALU_DEP_4) | instskip(NEXT) | instid1(VALU_DEP_4)
	v_and_b32_e32 v3, 0xffff, v3
	v_or_b32_e32 v4, v5, v10
	s_delay_alu instid0(VALU_DEP_4) | instskip(SKIP_1) | instid1(VALU_DEP_3)
	v_lshlrev_b16 v16, 8, v16
	v_cndmask_b32_e64 v11, 0, 1, vcc_lo
	v_dual_lshlrev_b32 v4, 16, v4 :: v_dual_bitop2_b32 v9, v9, v13 bitop3:0x54
	s_delay_alu instid0(VALU_DEP_3) | instskip(NEXT) | instid1(VALU_DEP_3)
	v_or_b32_e32 v5, v6, v16
	v_lshlrev_b16 v11, 8, v11
	v_or_b32_e32 v2, v2, v14
	s_delay_alu instid0(VALU_DEP_3) | instskip(NEXT) | instid1(VALU_DEP_3)
	v_and_b32_e32 v5, 0xffff, v5
	v_or_b32_e32 v6, v7, v11
	s_delay_alu instid0(VALU_DEP_1) | instskip(SKIP_1) | instid1(VALU_DEP_2)
	v_dual_lshlrev_b32 v6, 16, v6 :: v_dual_bitop2_b32 v8, v8, v12 bitop3:0x54
	v_lshlrev_b32_e32 v1, 16, v1
	v_and_b32_e32 v7, 0xffff, v8
	v_lshlrev_b32_e32 v8, 16, v9
	v_and_b32_e32 v2, 0xffff, v2
	s_delay_alu instid0(VALU_DEP_2) | instskip(NEXT) | instid1(VALU_DEP_2)
	v_or_b32_e32 v7, v7, v8
	v_or_b32_e32 v1, v2, v1
	;; [unrolled: 1-line block ×4, first 2 shown]
	s_clause 0x3
	global_store_b32 v0, v7, s[8:9] scale_offset
	global_store_b32 v0, v1, s[8:9] offset:1024 scale_offset
	global_store_b32 v0, v2, s[8:9] offset:2048 scale_offset
	;; [unrolled: 1-line block ×3, first 2 shown]
.LBB50_2:
	s_and_not1_b32 vcc_lo, exec_lo, s0
	s_cbranch_vccnz .LBB50_52
; %bb.3:
	v_cmp_gt_i32_e32 vcc_lo, s1, v0
	s_wait_xcnt 0x0
	v_dual_mov_b32 v3, v0 :: v_dual_bitop2_b32 v1, s2, v0 bitop3:0x54
	v_or_b32_e32 v2, 0x100, v0
	s_mov_b32 s8, 0
	s_mov_b32 s9, 0
	s_and_saveexec_b32 s3, vcc_lo
	s_cbranch_execz .LBB50_5
; %bb.4:
	global_load_u16 v3, v1, s[6:7] scale_offset
	s_wait_loadcnt 0x0
	v_cmp_eq_f16_e64 s0, 0x7c00, v3
	v_or_b32_e32 v3, 0x100, v0
	s_and_b32 s9, s0, exec_lo
.LBB50_5:
	s_wait_xcnt 0x0
	s_or_b32 exec_lo, exec_lo, s3
	s_delay_alu instid0(SALU_CYCLE_1)
	s_mov_b32 s3, exec_lo
	v_cmpx_gt_i32_e64 s1, v3
	s_cbranch_execz .LBB50_7
; %bb.6:
	v_add_nc_u32_e32 v4, s2, v3
	v_add_nc_u32_e32 v3, 0x100, v3
	global_load_u16 v4, v4, s[6:7] scale_offset
	s_wait_loadcnt 0x0
	v_cmp_eq_f16_e64 s0, 0x7c00, v4
	s_and_b32 s8, s0, exec_lo
.LBB50_7:
	s_wait_xcnt 0x0
	s_or_b32 exec_lo, exec_lo, s3
	s_mov_b32 s10, 0
	s_mov_b32 s11, 0
	s_mov_b32 s3, exec_lo
	v_cmpx_gt_i32_e64 s1, v3
	s_cbranch_execz .LBB50_9
; %bb.8:
	v_add_nc_u32_e32 v4, s2, v3
	v_add_nc_u32_e32 v3, 0x100, v3
	global_load_u16 v4, v4, s[6:7] scale_offset
	s_wait_loadcnt 0x0
	v_cmp_eq_f16_e64 s0, 0x7c00, v4
	s_and_b32 s11, s0, exec_lo
.LBB50_9:
	s_wait_xcnt 0x0
	s_or_b32 exec_lo, exec_lo, s3
	s_delay_alu instid0(SALU_CYCLE_1)
	s_mov_b32 s3, exec_lo
	v_cmpx_gt_i32_e64 s1, v3
	s_cbranch_execz .LBB50_11
; %bb.10:
	v_add_nc_u32_e32 v4, s2, v3
	v_add_nc_u32_e32 v3, 0x100, v3
	global_load_u16 v4, v4, s[6:7] scale_offset
	s_wait_loadcnt 0x0
	v_cmp_eq_f16_e64 s0, 0x7c00, v4
	s_and_b32 s10, s0, exec_lo
.LBB50_11:
	s_wait_xcnt 0x0
	s_or_b32 exec_lo, exec_lo, s3
	s_mov_b32 s12, 0
	s_mov_b32 s14, 0
	s_mov_b32 s3, exec_lo
	v_cmpx_gt_i32_e64 s1, v3
	s_cbranch_execz .LBB50_13
; %bb.12:
	v_add_nc_u32_e32 v4, s2, v3
	v_add_nc_u32_e32 v3, 0x100, v3
	global_load_u16 v4, v4, s[6:7] scale_offset
	s_wait_loadcnt 0x0
	v_cmp_eq_f16_e64 s0, 0x7c00, v4
	s_and_b32 s14, s0, exec_lo
.LBB50_13:
	;; [unrolled: 29-line block ×7, first 2 shown]
	s_wait_xcnt 0x0
	s_or_b32 exec_lo, exec_lo, s23
	s_delay_alu instid0(SALU_CYCLE_1)
	s_mov_b32 s23, exec_lo
	v_cmpx_gt_i32_e64 s1, v3
	s_cbranch_execz .LBB50_35
; %bb.34:
	v_add_nc_u32_e32 v3, s2, v3
	global_load_u16 v3, v3, s[6:7] scale_offset
	s_wait_loadcnt 0x0
	v_cmp_eq_f16_e64 s0, 0x7c00, v3
	s_and_b32 s19, s0, exec_lo
.LBB50_35:
	s_wait_xcnt 0x0
	s_or_b32 exec_lo, exec_lo, s23
	v_cndmask_b32_e64 v5, 0, 1, s14
	v_cndmask_b32_e64 v3, 0, 1, s9
	;; [unrolled: 1-line block ×3, first 2 shown]
	v_or_b32_e32 v10, 0x400, v0
	v_cndmask_b32_e64 v9, 0, 1, s12
	v_bitop3_b16 v5, v5, 0, 0xff00 bitop3:0xf8
	v_or_b32_e32 v6, 0x200, v0
	v_lshlrev_b16 v4, 8, v4
	v_cmp_gt_i32_e64 s0, s1, v10
	v_lshlrev_b16 v9, 8, v9
	v_and_b32_e32 v5, 0xffff, v5
	v_cndmask_b32_e32 v3, 0, v3, vcc_lo
	v_cndmask_b32_e64 v7, 0, 1, s11
	v_or_b32_e32 v10, 0xc00, v0
	v_or_b32_e32 v11, 0x500, v0
	s_delay_alu instid0(VALU_DEP_4) | instskip(SKIP_3) | instid1(VALU_DEP_4)
	v_dual_cndmask_b32 v5, 0, v5, s0 :: v_dual_bitop2_b32 v4, v3, v4 bitop3:0x54
	v_cmp_gt_i32_e64 s0, s1, v2
	v_cndmask_b32_e64 v12, 0, 1, s21
	v_cndmask_b32_e64 v8, 0, 1, s10
	v_bitop3_b16 v9, v5, v9, 0xff bitop3:0xec
	v_and_b32_e32 v4, 0xffff, v4
	v_cndmask_b32_e64 v13, 0, 1, s20
	v_cndmask_b32_e64 v14, 0, 1, s18
	v_lshlrev_b16 v8, 8, v8
	v_and_b32_e32 v9, 0xffff, v9
	v_cndmask_b32_e64 v3, v3, v4, s0
	v_cmp_gt_i32_e64 s0, s1, v6
	v_cndmask_b32_e64 v4, 0, 1, s17
	s_delay_alu instid0(VALU_DEP_3) | instskip(NEXT) | instid1(VALU_DEP_1)
	v_lshl_or_b32 v7, v7, 16, v3
	v_cndmask_b32_e64 v3, v3, v7, s0
	v_cmp_gt_i32_e64 s0, s1, v10
	v_lshlrev_b16 v7, 8, v13
	v_or_b32_e32 v10, 0x800, v0
	v_or_b32_e32 v13, 0xd00, v0
	s_delay_alu instid0(VALU_DEP_4) | instskip(SKIP_2) | instid1(VALU_DEP_2)
	v_cndmask_b32_e64 v6, 0, v12, s0
	v_cmp_gt_i32_e64 s0, s1, v11
	v_cndmask_b32_e64 v11, 0, 1, s15
	v_dual_cndmask_b32 v5, v5, v9, s0 :: v_dual_lshrrev_b32 v9, 16, v3
	s_delay_alu instid0(VALU_DEP_4) | instskip(SKIP_1) | instid1(VALU_DEP_3)
	v_bitop3_b16 v7, v6, v7, 0xff bitop3:0xec
	v_cmp_gt_i32_e64 s0, s1, v10
	v_bitop3_b16 v8, v9, v8, 0xff bitop3:0xec
	s_delay_alu instid0(VALU_DEP_4) | instskip(NEXT) | instid1(VALU_DEP_4)
	v_lshrrev_b32_e32 v12, 16, v5
	v_and_b32_e32 v7, 0xffff, v7
	v_cndmask_b32_e64 v9, 0, 1, s13
	s_delay_alu instid0(VALU_DEP_4) | instskip(NEXT) | instid1(VALU_DEP_4)
	v_lshlrev_b32_e32 v8, 16, v8
	v_bitop3_b16 v4, v4, v12, 0xff00 bitop3:0xf8
	v_cndmask_b32_e64 v10, 0, v11, s0
	v_cmp_gt_i32_e64 s0, s1, v13
	v_lshlrev_b16 v9, 8, v9
	v_or_b32_e32 v11, 0x900, v0
	v_lshlrev_b32_e32 v4, 16, v4
	v_cndmask_b32_e64 v13, 0, 1, s22
	v_and_or_b32 v8, 0xffff, v3, v8
	s_delay_alu instid0(VALU_DEP_3) | instskip(SKIP_2) | instid1(VALU_DEP_1)
	v_and_or_b32 v4, 0xffff, v5, v4
	v_cndmask_b32_e64 v6, v6, v7, s0
	v_or_b32_e32 v7, 0x600, v0
	v_cmp_gt_i32_e64 s0, s1, v7
	s_delay_alu instid0(VALU_DEP_1) | instskip(NEXT) | instid1(VALU_DEP_4)
	v_dual_cndmask_b32 v4, v5, v4, s0 :: v_dual_bitop2_b32 v9, v10, v9 bitop3:0x54
	v_lshrrev_b32_e32 v12, 16, v6
	v_cmp_gt_i32_e64 s0, s1, v11
	s_delay_alu instid0(VALU_DEP_3) | instskip(NEXT) | instid1(VALU_DEP_3)
	v_and_b32_e32 v9, 0xffff, v9
	v_bitop3_b16 v5, v13, v12, 0xff00 bitop3:0xf8
	v_or_b32_e32 v12, 0xa00, v0
	v_lshrrev_b32_e32 v11, 16, v4
	v_or_b32_e32 v13, 0xe00, v0
	v_dual_cndmask_b32 v7, v10, v9, s0 :: v_dual_lshlrev_b32 v9, 16, v14
	v_lshlrev_b32_e32 v5, 16, v5
	v_cmp_gt_i32_e64 s0, s1, v12
	v_cndmask_b32_e64 v10, 0, 1, s3
	s_delay_alu instid0(VALU_DEP_4) | instskip(NEXT) | instid1(VALU_DEP_4)
	v_and_or_b32 v9, 0x1ff, v7, v9
	v_and_or_b32 v5, 0xffff, v6, v5
	s_delay_alu instid0(VALU_DEP_3) | instskip(NEXT) | instid1(VALU_DEP_3)
	v_lshlrev_b16 v10, 8, v10
	v_cndmask_b32_e64 v7, v7, v9, s0
	v_cmp_gt_i32_e64 s0, s1, v13
	v_cndmask_b32_e64 v9, 0, 1, s16
	v_or_b32_e32 v13, 0x300, v0
	s_delay_alu instid0(VALU_DEP_3)
	v_cndmask_b32_e64 v12, v6, v5, s0
	v_cndmask_b32_e64 v5, 0, 1, s19
	v_bitop3_b16 v6, v11, v10, 0xff bitop3:0xec
	v_lshlrev_b16 v9, 8, v9
	v_cmp_gt_i32_e64 s0, s1, v13
	v_dual_lshrrev_b32 v11, 16, v12 :: v_dual_lshrrev_b32 v10, 16, v7
	v_lshlrev_b16 v5, 8, v5
	s_delay_alu instid0(VALU_DEP_2) | instskip(NEXT) | instid1(VALU_DEP_4)
	v_bitop3_b16 v9, v10, v9, 0xff bitop3:0xec
	v_dual_lshlrev_b32 v10, 16, v6 :: v_dual_cndmask_b32 v6, v3, v8, s0
	s_delay_alu instid0(VALU_DEP_3) | instskip(SKIP_2) | instid1(VALU_DEP_3)
	v_bitop3_b16 v5, v11, v5, 0xff bitop3:0xec
	v_or_b32_e32 v8, 0x700, v0
	v_or_b32_e32 v11, 0xf00, v0
	v_lshlrev_b32_e32 v5, 16, v5
	s_delay_alu instid0(VALU_DEP_3) | instskip(SKIP_4) | instid1(VALU_DEP_3)
	v_cmp_gt_i32_e64 s0, s1, v8
	v_lshlrev_b32_e32 v3, 16, v9
	v_and_or_b32 v9, 0xffff, v4, v10
	v_or_b32_e32 v10, 0xb00, v0
	v_and_or_b32 v13, 0xffff, v12, v5
	v_cndmask_b32_e64 v5, v4, v9, s0
	v_and_or_b32 v3, 0xffff, v7, v3
	s_delay_alu instid0(VALU_DEP_4) | instskip(NEXT) | instid1(VALU_DEP_1)
	v_cmp_gt_i32_e64 s0, s1, v10
	v_cndmask_b32_e64 v4, v7, v3, s0
	v_cmp_gt_i32_e64 s0, s1, v11
	s_delay_alu instid0(VALU_DEP_1)
	v_cndmask_b32_e64 v3, v12, v13, s0
	s_and_saveexec_b32 s0, vcc_lo
	s_cbranch_execnz .LBB50_53
; %bb.36:
	s_or_b32 exec_lo, exec_lo, s0
	s_delay_alu instid0(SALU_CYCLE_1)
	s_mov_b32 s0, exec_lo
	v_cmpx_gt_i32_e64 s1, v0
	s_cbranch_execnz .LBB50_54
.LBB50_37:
	s_or_b32 exec_lo, exec_lo, s0
	s_delay_alu instid0(SALU_CYCLE_1)
	s_mov_b32 s0, exec_lo
	v_cmpx_gt_i32_e64 s1, v0
	s_cbranch_execnz .LBB50_55
.LBB50_38:
	s_or_b32 exec_lo, exec_lo, s0
	s_delay_alu instid0(SALU_CYCLE_1)
	s_mov_b32 s0, exec_lo
	v_cmpx_gt_i32_e64 s1, v0
	s_cbranch_execnz .LBB50_56
.LBB50_39:
	s_or_b32 exec_lo, exec_lo, s0
	s_delay_alu instid0(SALU_CYCLE_1)
	s_mov_b32 s0, exec_lo
	v_cmpx_gt_i32_e64 s1, v0
	s_cbranch_execnz .LBB50_57
.LBB50_40:
	s_or_b32 exec_lo, exec_lo, s0
	s_delay_alu instid0(SALU_CYCLE_1)
	s_mov_b32 s0, exec_lo
	v_cmpx_gt_i32_e64 s1, v0
	s_cbranch_execnz .LBB50_58
.LBB50_41:
	s_or_b32 exec_lo, exec_lo, s0
	s_delay_alu instid0(SALU_CYCLE_1)
	s_mov_b32 s0, exec_lo
	v_cmpx_gt_i32_e64 s1, v0
	s_cbranch_execnz .LBB50_59
.LBB50_42:
	s_or_b32 exec_lo, exec_lo, s0
	s_delay_alu instid0(SALU_CYCLE_1)
	s_mov_b32 s0, exec_lo
	v_cmpx_gt_i32_e64 s1, v0
	s_cbranch_execnz .LBB50_60
.LBB50_43:
	s_or_b32 exec_lo, exec_lo, s0
	s_delay_alu instid0(SALU_CYCLE_1)
	s_mov_b32 s0, exec_lo
	v_cmpx_gt_i32_e64 s1, v0
	s_cbranch_execnz .LBB50_61
.LBB50_44:
	s_or_b32 exec_lo, exec_lo, s0
	s_delay_alu instid0(SALU_CYCLE_1)
	s_mov_b32 s0, exec_lo
	v_cmpx_gt_i32_e64 s1, v0
	s_cbranch_execnz .LBB50_62
.LBB50_45:
	s_or_b32 exec_lo, exec_lo, s0
	s_delay_alu instid0(SALU_CYCLE_1)
	s_mov_b32 s0, exec_lo
	v_cmpx_gt_i32_e64 s1, v0
	s_cbranch_execnz .LBB50_63
.LBB50_46:
	s_or_b32 exec_lo, exec_lo, s0
	s_delay_alu instid0(SALU_CYCLE_1)
	s_mov_b32 s0, exec_lo
	v_cmpx_gt_i32_e64 s1, v0
	s_cbranch_execnz .LBB50_64
.LBB50_47:
	s_or_b32 exec_lo, exec_lo, s0
	s_delay_alu instid0(SALU_CYCLE_1)
	s_mov_b32 s0, exec_lo
	v_cmpx_gt_i32_e64 s1, v0
	s_cbranch_execnz .LBB50_65
.LBB50_48:
	s_or_b32 exec_lo, exec_lo, s0
	s_delay_alu instid0(SALU_CYCLE_1)
	s_mov_b32 s0, exec_lo
	v_cmpx_gt_i32_e64 s1, v0
	s_cbranch_execnz .LBB50_66
.LBB50_49:
	s_or_b32 exec_lo, exec_lo, s0
	s_delay_alu instid0(SALU_CYCLE_1)
	s_mov_b32 s0, exec_lo
	v_cmpx_gt_i32_e64 s1, v0
	s_cbranch_execnz .LBB50_67
.LBB50_50:
	s_or_b32 exec_lo, exec_lo, s0
	s_delay_alu instid0(SALU_CYCLE_1)
	s_mov_b32 s0, exec_lo
	v_cmpx_gt_i32_e64 s1, v0
	s_cbranch_execz .LBB50_52
.LBB50_51:
	v_dual_lshrrev_b32 v1, 24, v3 :: v_dual_add_nc_u32 v0, s2, v0
	global_store_b8 v0, v1, s[4:5]
.LBB50_52:
	s_endpgm
.LBB50_53:
	v_mov_b32_e32 v0, v2
	global_store_b8 v1, v6, s[4:5]
	s_wait_xcnt 0x0
	s_or_b32 exec_lo, exec_lo, s0
	s_delay_alu instid0(SALU_CYCLE_1)
	s_mov_b32 s0, exec_lo
	v_cmpx_gt_i32_e64 s1, v0
	s_cbranch_execz .LBB50_37
.LBB50_54:
	v_dual_lshrrev_b32 v1, 8, v6 :: v_dual_add_nc_u32 v2, s2, v0
	v_add_nc_u32_e32 v0, 0x100, v0
	global_store_b8 v2, v1, s[4:5]
	s_wait_xcnt 0x0
	s_or_b32 exec_lo, exec_lo, s0
	s_delay_alu instid0(SALU_CYCLE_1)
	s_mov_b32 s0, exec_lo
	v_cmpx_gt_i32_e64 s1, v0
	s_cbranch_execz .LBB50_38
.LBB50_55:
	v_add_nc_u32_e32 v1, s2, v0
	v_add_nc_u32_e32 v0, 0x100, v0
	global_store_d16_hi_b8 v1, v6, s[4:5]
	s_wait_xcnt 0x0
	s_or_b32 exec_lo, exec_lo, s0
	s_delay_alu instid0(SALU_CYCLE_1)
	s_mov_b32 s0, exec_lo
	v_cmpx_gt_i32_e64 s1, v0
	s_cbranch_execz .LBB50_39
.LBB50_56:
	v_dual_lshrrev_b32 v1, 24, v6 :: v_dual_add_nc_u32 v2, s2, v0
	v_add_nc_u32_e32 v0, 0x100, v0
	global_store_b8 v2, v1, s[4:5]
	s_wait_xcnt 0x0
	s_or_b32 exec_lo, exec_lo, s0
	s_delay_alu instid0(SALU_CYCLE_1)
	s_mov_b32 s0, exec_lo
	v_cmpx_gt_i32_e64 s1, v0
	s_cbranch_execz .LBB50_40
.LBB50_57:
	v_add_nc_u32_e32 v1, s2, v0
	v_add_nc_u32_e32 v0, 0x100, v0
	global_store_b8 v1, v5, s[4:5]
	s_wait_xcnt 0x0
	s_or_b32 exec_lo, exec_lo, s0
	s_delay_alu instid0(SALU_CYCLE_1)
	s_mov_b32 s0, exec_lo
	v_cmpx_gt_i32_e64 s1, v0
	s_cbranch_execz .LBB50_41
.LBB50_58:
	v_dual_lshrrev_b32 v1, 8, v5 :: v_dual_add_nc_u32 v2, s2, v0
	v_add_nc_u32_e32 v0, 0x100, v0
	global_store_b8 v2, v1, s[4:5]
	s_wait_xcnt 0x0
	s_or_b32 exec_lo, exec_lo, s0
	s_delay_alu instid0(SALU_CYCLE_1)
	s_mov_b32 s0, exec_lo
	v_cmpx_gt_i32_e64 s1, v0
	s_cbranch_execz .LBB50_42
.LBB50_59:
	v_add_nc_u32_e32 v1, s2, v0
	v_add_nc_u32_e32 v0, 0x100, v0
	global_store_d16_hi_b8 v1, v5, s[4:5]
	s_wait_xcnt 0x0
	s_or_b32 exec_lo, exec_lo, s0
	s_delay_alu instid0(SALU_CYCLE_1)
	s_mov_b32 s0, exec_lo
	v_cmpx_gt_i32_e64 s1, v0
	s_cbranch_execz .LBB50_43
.LBB50_60:
	v_dual_lshrrev_b32 v1, 24, v5 :: v_dual_add_nc_u32 v2, s2, v0
	v_add_nc_u32_e32 v0, 0x100, v0
	global_store_b8 v2, v1, s[4:5]
	s_wait_xcnt 0x0
	s_or_b32 exec_lo, exec_lo, s0
	s_delay_alu instid0(SALU_CYCLE_1)
	s_mov_b32 s0, exec_lo
	v_cmpx_gt_i32_e64 s1, v0
	s_cbranch_execz .LBB50_44
.LBB50_61:
	v_add_nc_u32_e32 v1, s2, v0
	v_add_nc_u32_e32 v0, 0x100, v0
	global_store_b8 v1, v4, s[4:5]
	s_wait_xcnt 0x0
	s_or_b32 exec_lo, exec_lo, s0
	s_delay_alu instid0(SALU_CYCLE_1)
	s_mov_b32 s0, exec_lo
	v_cmpx_gt_i32_e64 s1, v0
	s_cbranch_execz .LBB50_45
.LBB50_62:
	v_lshrrev_b32_e32 v1, 8, v4
	v_add_nc_u32_e32 v2, s2, v0
	v_add_nc_u32_e32 v0, 0x100, v0
	global_store_b8 v2, v1, s[4:5]
	s_wait_xcnt 0x0
	s_or_b32 exec_lo, exec_lo, s0
	s_delay_alu instid0(SALU_CYCLE_1)
	s_mov_b32 s0, exec_lo
	v_cmpx_gt_i32_e64 s1, v0
	s_cbranch_execz .LBB50_46
.LBB50_63:
	v_add_nc_u32_e32 v1, s2, v0
	v_add_nc_u32_e32 v0, 0x100, v0
	global_store_d16_hi_b8 v1, v4, s[4:5]
	s_wait_xcnt 0x0
	s_or_b32 exec_lo, exec_lo, s0
	s_delay_alu instid0(SALU_CYCLE_1)
	s_mov_b32 s0, exec_lo
	v_cmpx_gt_i32_e64 s1, v0
	s_cbranch_execz .LBB50_47
.LBB50_64:
	v_lshrrev_b32_e32 v1, 24, v4
	v_add_nc_u32_e32 v2, s2, v0
	v_add_nc_u32_e32 v0, 0x100, v0
	global_store_b8 v2, v1, s[4:5]
	s_wait_xcnt 0x0
	s_or_b32 exec_lo, exec_lo, s0
	s_delay_alu instid0(SALU_CYCLE_1)
	s_mov_b32 s0, exec_lo
	v_cmpx_gt_i32_e64 s1, v0
	s_cbranch_execz .LBB50_48
.LBB50_65:
	v_add_nc_u32_e32 v1, s2, v0
	v_add_nc_u32_e32 v0, 0x100, v0
	global_store_b8 v1, v3, s[4:5]
	s_wait_xcnt 0x0
	s_or_b32 exec_lo, exec_lo, s0
	s_delay_alu instid0(SALU_CYCLE_1)
	s_mov_b32 s0, exec_lo
	v_cmpx_gt_i32_e64 s1, v0
	s_cbranch_execz .LBB50_49
.LBB50_66:
	v_dual_lshrrev_b32 v1, 8, v3 :: v_dual_add_nc_u32 v2, s2, v0
	v_add_nc_u32_e32 v0, 0x100, v0
	global_store_b8 v2, v1, s[4:5]
	s_wait_xcnt 0x0
	s_or_b32 exec_lo, exec_lo, s0
	s_delay_alu instid0(SALU_CYCLE_1)
	s_mov_b32 s0, exec_lo
	v_cmpx_gt_i32_e64 s1, v0
	s_cbranch_execz .LBB50_50
.LBB50_67:
	v_add_nc_u32_e32 v1, s2, v0
	v_add_nc_u32_e32 v0, 0x100, v0
	global_store_d16_hi_b8 v1, v3, s[4:5]
	s_wait_xcnt 0x0
	s_or_b32 exec_lo, exec_lo, s0
	s_delay_alu instid0(SALU_CYCLE_1)
	s_mov_b32 s0, exec_lo
	v_cmpx_gt_i32_e64 s1, v0
	s_cbranch_execnz .LBB50_51
	s_branch .LBB50_52
	.section	.rodata,"a",@progbits
	.p2align	6, 0x0
	.amdhsa_kernel _ZN2at6native29vectorized_elementwise_kernelILi4EZZZNS0_12_GLOBAL__N_120isposinf_kernel_implERNS_18TensorIteratorBaseEENKUlvE_clEvENKUlvE1_clEvEUlN3c104HalfEE_St5arrayIPcLm2EEEEviT0_T1_
		.amdhsa_group_segment_fixed_size 0
		.amdhsa_private_segment_fixed_size 0
		.amdhsa_kernarg_size 24
		.amdhsa_user_sgpr_count 2
		.amdhsa_user_sgpr_dispatch_ptr 0
		.amdhsa_user_sgpr_queue_ptr 0
		.amdhsa_user_sgpr_kernarg_segment_ptr 1
		.amdhsa_user_sgpr_dispatch_id 0
		.amdhsa_user_sgpr_kernarg_preload_length 0
		.amdhsa_user_sgpr_kernarg_preload_offset 0
		.amdhsa_user_sgpr_private_segment_size 0
		.amdhsa_wavefront_size32 1
		.amdhsa_uses_dynamic_stack 0
		.amdhsa_enable_private_segment 0
		.amdhsa_system_sgpr_workgroup_id_x 1
		.amdhsa_system_sgpr_workgroup_id_y 0
		.amdhsa_system_sgpr_workgroup_id_z 0
		.amdhsa_system_sgpr_workgroup_info 0
		.amdhsa_system_vgpr_workitem_id 0
		.amdhsa_next_free_vgpr 17
		.amdhsa_next_free_sgpr 24
		.amdhsa_named_barrier_count 0
		.amdhsa_reserve_vcc 1
		.amdhsa_float_round_mode_32 0
		.amdhsa_float_round_mode_16_64 0
		.amdhsa_float_denorm_mode_32 3
		.amdhsa_float_denorm_mode_16_64 3
		.amdhsa_fp16_overflow 0
		.amdhsa_memory_ordered 1
		.amdhsa_forward_progress 1
		.amdhsa_inst_pref_size 32
		.amdhsa_round_robin_scheduling 0
		.amdhsa_exception_fp_ieee_invalid_op 0
		.amdhsa_exception_fp_denorm_src 0
		.amdhsa_exception_fp_ieee_div_zero 0
		.amdhsa_exception_fp_ieee_overflow 0
		.amdhsa_exception_fp_ieee_underflow 0
		.amdhsa_exception_fp_ieee_inexact 0
		.amdhsa_exception_int_div_zero 0
	.end_amdhsa_kernel
	.section	.text._ZN2at6native29vectorized_elementwise_kernelILi4EZZZNS0_12_GLOBAL__N_120isposinf_kernel_implERNS_18TensorIteratorBaseEENKUlvE_clEvENKUlvE1_clEvEUlN3c104HalfEE_St5arrayIPcLm2EEEEviT0_T1_,"axG",@progbits,_ZN2at6native29vectorized_elementwise_kernelILi4EZZZNS0_12_GLOBAL__N_120isposinf_kernel_implERNS_18TensorIteratorBaseEENKUlvE_clEvENKUlvE1_clEvEUlN3c104HalfEE_St5arrayIPcLm2EEEEviT0_T1_,comdat
.Lfunc_end50:
	.size	_ZN2at6native29vectorized_elementwise_kernelILi4EZZZNS0_12_GLOBAL__N_120isposinf_kernel_implERNS_18TensorIteratorBaseEENKUlvE_clEvENKUlvE1_clEvEUlN3c104HalfEE_St5arrayIPcLm2EEEEviT0_T1_, .Lfunc_end50-_ZN2at6native29vectorized_elementwise_kernelILi4EZZZNS0_12_GLOBAL__N_120isposinf_kernel_implERNS_18TensorIteratorBaseEENKUlvE_clEvENKUlvE1_clEvEUlN3c104HalfEE_St5arrayIPcLm2EEEEviT0_T1_
                                        ; -- End function
	.set _ZN2at6native29vectorized_elementwise_kernelILi4EZZZNS0_12_GLOBAL__N_120isposinf_kernel_implERNS_18TensorIteratorBaseEENKUlvE_clEvENKUlvE1_clEvEUlN3c104HalfEE_St5arrayIPcLm2EEEEviT0_T1_.num_vgpr, 17
	.set _ZN2at6native29vectorized_elementwise_kernelILi4EZZZNS0_12_GLOBAL__N_120isposinf_kernel_implERNS_18TensorIteratorBaseEENKUlvE_clEvENKUlvE1_clEvEUlN3c104HalfEE_St5arrayIPcLm2EEEEviT0_T1_.num_agpr, 0
	.set _ZN2at6native29vectorized_elementwise_kernelILi4EZZZNS0_12_GLOBAL__N_120isposinf_kernel_implERNS_18TensorIteratorBaseEENKUlvE_clEvENKUlvE1_clEvEUlN3c104HalfEE_St5arrayIPcLm2EEEEviT0_T1_.numbered_sgpr, 24
	.set _ZN2at6native29vectorized_elementwise_kernelILi4EZZZNS0_12_GLOBAL__N_120isposinf_kernel_implERNS_18TensorIteratorBaseEENKUlvE_clEvENKUlvE1_clEvEUlN3c104HalfEE_St5arrayIPcLm2EEEEviT0_T1_.num_named_barrier, 0
	.set _ZN2at6native29vectorized_elementwise_kernelILi4EZZZNS0_12_GLOBAL__N_120isposinf_kernel_implERNS_18TensorIteratorBaseEENKUlvE_clEvENKUlvE1_clEvEUlN3c104HalfEE_St5arrayIPcLm2EEEEviT0_T1_.private_seg_size, 0
	.set _ZN2at6native29vectorized_elementwise_kernelILi4EZZZNS0_12_GLOBAL__N_120isposinf_kernel_implERNS_18TensorIteratorBaseEENKUlvE_clEvENKUlvE1_clEvEUlN3c104HalfEE_St5arrayIPcLm2EEEEviT0_T1_.uses_vcc, 1
	.set _ZN2at6native29vectorized_elementwise_kernelILi4EZZZNS0_12_GLOBAL__N_120isposinf_kernel_implERNS_18TensorIteratorBaseEENKUlvE_clEvENKUlvE1_clEvEUlN3c104HalfEE_St5arrayIPcLm2EEEEviT0_T1_.uses_flat_scratch, 0
	.set _ZN2at6native29vectorized_elementwise_kernelILi4EZZZNS0_12_GLOBAL__N_120isposinf_kernel_implERNS_18TensorIteratorBaseEENKUlvE_clEvENKUlvE1_clEvEUlN3c104HalfEE_St5arrayIPcLm2EEEEviT0_T1_.has_dyn_sized_stack, 0
	.set _ZN2at6native29vectorized_elementwise_kernelILi4EZZZNS0_12_GLOBAL__N_120isposinf_kernel_implERNS_18TensorIteratorBaseEENKUlvE_clEvENKUlvE1_clEvEUlN3c104HalfEE_St5arrayIPcLm2EEEEviT0_T1_.has_recursion, 0
	.set _ZN2at6native29vectorized_elementwise_kernelILi4EZZZNS0_12_GLOBAL__N_120isposinf_kernel_implERNS_18TensorIteratorBaseEENKUlvE_clEvENKUlvE1_clEvEUlN3c104HalfEE_St5arrayIPcLm2EEEEviT0_T1_.has_indirect_call, 0
	.section	.AMDGPU.csdata,"",@progbits
; Kernel info:
; codeLenInByte = 4088
; TotalNumSgprs: 26
; NumVgprs: 17
; ScratchSize: 0
; MemoryBound: 0
; FloatMode: 240
; IeeeMode: 1
; LDSByteSize: 0 bytes/workgroup (compile time only)
; SGPRBlocks: 0
; VGPRBlocks: 1
; NumSGPRsForWavesPerEU: 26
; NumVGPRsForWavesPerEU: 17
; NamedBarCnt: 0
; Occupancy: 16
; WaveLimiterHint : 1
; COMPUTE_PGM_RSRC2:SCRATCH_EN: 0
; COMPUTE_PGM_RSRC2:USER_SGPR: 2
; COMPUTE_PGM_RSRC2:TRAP_HANDLER: 0
; COMPUTE_PGM_RSRC2:TGID_X_EN: 1
; COMPUTE_PGM_RSRC2:TGID_Y_EN: 0
; COMPUTE_PGM_RSRC2:TGID_Z_EN: 0
; COMPUTE_PGM_RSRC2:TIDIG_COMP_CNT: 0
	.section	.text._ZN2at6native29vectorized_elementwise_kernelILi2EZZZNS0_12_GLOBAL__N_120isposinf_kernel_implERNS_18TensorIteratorBaseEENKUlvE_clEvENKUlvE1_clEvEUlN3c104HalfEE_St5arrayIPcLm2EEEEviT0_T1_,"axG",@progbits,_ZN2at6native29vectorized_elementwise_kernelILi2EZZZNS0_12_GLOBAL__N_120isposinf_kernel_implERNS_18TensorIteratorBaseEENKUlvE_clEvENKUlvE1_clEvEUlN3c104HalfEE_St5arrayIPcLm2EEEEviT0_T1_,comdat
	.globl	_ZN2at6native29vectorized_elementwise_kernelILi2EZZZNS0_12_GLOBAL__N_120isposinf_kernel_implERNS_18TensorIteratorBaseEENKUlvE_clEvENKUlvE1_clEvEUlN3c104HalfEE_St5arrayIPcLm2EEEEviT0_T1_ ; -- Begin function _ZN2at6native29vectorized_elementwise_kernelILi2EZZZNS0_12_GLOBAL__N_120isposinf_kernel_implERNS_18TensorIteratorBaseEENKUlvE_clEvENKUlvE1_clEvEUlN3c104HalfEE_St5arrayIPcLm2EEEEviT0_T1_
	.p2align	8
	.type	_ZN2at6native29vectorized_elementwise_kernelILi2EZZZNS0_12_GLOBAL__N_120isposinf_kernel_implERNS_18TensorIteratorBaseEENKUlvE_clEvENKUlvE1_clEvEUlN3c104HalfEE_St5arrayIPcLm2EEEEviT0_T1_,@function
_ZN2at6native29vectorized_elementwise_kernelILi2EZZZNS0_12_GLOBAL__N_120isposinf_kernel_implERNS_18TensorIteratorBaseEENKUlvE_clEvENKUlvE1_clEvEUlN3c104HalfEE_St5arrayIPcLm2EEEEviT0_T1_: ; @_ZN2at6native29vectorized_elementwise_kernelILi2EZZZNS0_12_GLOBAL__N_120isposinf_kernel_implERNS_18TensorIteratorBaseEENKUlvE_clEvENKUlvE1_clEvEUlN3c104HalfEE_St5arrayIPcLm2EEEEviT0_T1_
; %bb.0:
	s_clause 0x1
	s_load_b32 s3, s[0:1], 0x0
	s_load_b128 s[4:7], s[0:1], 0x8
	s_wait_xcnt 0x0
	s_bfe_u32 s0, ttmp6, 0x4000c
	s_and_b32 s1, ttmp6, 15
	s_add_co_i32 s0, s0, 1
	s_getreg_b32 s2, hwreg(HW_REG_IB_STS2, 6, 4)
	s_mul_i32 s0, ttmp9, s0
	s_delay_alu instid0(SALU_CYCLE_1) | instskip(SKIP_2) | instid1(SALU_CYCLE_1)
	s_add_co_i32 s1, s1, s0
	s_cmp_eq_u32 s2, 0
	s_cselect_b32 s0, ttmp9, s1
	s_lshl_b32 s2, s0, 12
	s_mov_b32 s0, -1
	s_wait_kmcnt 0x0
	s_sub_co_i32 s1, s3, s2
	s_delay_alu instid0(SALU_CYCLE_1)
	s_cmp_gt_i32 s1, 0xfff
	s_cbranch_scc0 .LBB51_2
; %bb.1:
	s_ashr_i32 s3, s2, 31
	s_mov_b32 s0, 0
	s_lshl_b64 s[8:9], s[2:3], 1
	s_delay_alu instid0(SALU_CYCLE_1)
	s_add_nc_u64 s[8:9], s[6:7], s[8:9]
	s_clause 0x7
	global_load_b32 v1, v0, s[8:9] offset:3072 scale_offset
	global_load_b32 v2, v0, s[8:9] offset:5120 scale_offset
	;; [unrolled: 1-line block ×3, first 2 shown]
	global_load_b32 v4, v0, s[8:9] scale_offset
	global_load_b32 v5, v0, s[8:9] offset:1024 scale_offset
	global_load_b32 v6, v0, s[8:9] offset:6144 scale_offset
	;; [unrolled: 1-line block ×4, first 2 shown]
	s_wait_xcnt 0x0
	s_add_nc_u64 s[8:9], s[4:5], s[2:3]
	s_wait_loadcnt 0x6
	v_dual_lshrrev_b32 v9, 16, v1 :: v_dual_lshrrev_b32 v10, 16, v2
	s_wait_loadcnt 0x4
	v_dual_lshrrev_b32 v11, 16, v3 :: v_dual_lshrrev_b32 v12, 16, v4
	v_cmp_eq_f16_e32 vcc_lo, 0x7c00, v4
	s_wait_loadcnt 0x1
	v_dual_lshrrev_b32 v13, 16, v5 :: v_dual_lshrrev_b32 v15, 16, v7
	s_wait_loadcnt 0x0
	v_dual_lshrrev_b32 v16, 16, v6 :: v_dual_lshrrev_b32 v14, 16, v8
	v_cndmask_b32_e64 v4, 0, 1, vcc_lo
	v_cmp_eq_f16_e32 vcc_lo, 0x7c00, v5
	v_cndmask_b32_e64 v5, 0, 1, vcc_lo
	v_cmp_eq_f16_e32 vcc_lo, 0x7c00, v8
	;; [unrolled: 2-line block ×9, first 2 shown]
	s_delay_alu instid0(VALU_DEP_2) | instskip(SKIP_2) | instid1(VALU_DEP_3)
	v_lshlrev_b16 v12, 8, v12
	v_cndmask_b32_e64 v13, 0, 1, vcc_lo
	v_cmp_eq_f16_e32 vcc_lo, 0x7c00, v14
	v_or_b32_e32 v4, v4, v12
	s_delay_alu instid0(VALU_DEP_3) | instskip(SKIP_2) | instid1(VALU_DEP_3)
	v_lshlrev_b16 v13, 8, v13
	v_cndmask_b32_e64 v14, 0, 1, vcc_lo
	v_cmp_eq_f16_e32 vcc_lo, 0x7c00, v9
	v_or_b32_e32 v5, v5, v13
	s_delay_alu instid0(VALU_DEP_3) | instskip(SKIP_2) | instid1(VALU_DEP_3)
	;; [unrolled: 5-line block ×5, first 2 shown]
	v_lshlrev_b16 v10, 8, v10
	v_cndmask_b32_e64 v16, 0, 1, vcc_lo
	v_cmp_eq_f16_e32 vcc_lo, 0x7c00, v11
	v_or_b32_e32 v2, v2, v10
	s_delay_alu instid0(VALU_DEP_3) | instskip(SKIP_1) | instid1(VALU_DEP_2)
	v_lshlrev_b16 v16, 8, v16
	v_cndmask_b32_e64 v11, 0, 1, vcc_lo
	v_or_b32_e32 v6, v6, v16
	s_delay_alu instid0(VALU_DEP_2) | instskip(NEXT) | instid1(VALU_DEP_1)
	v_lshlrev_b16 v11, 8, v11
	v_or_b32_e32 v3, v3, v11
	s_clause 0x7
	global_store_b16 v0, v4, s[8:9] scale_offset
	global_store_b16 v0, v5, s[8:9] offset:512 scale_offset
	global_store_b16 v0, v8, s[8:9] offset:1024 scale_offset
	;; [unrolled: 1-line block ×7, first 2 shown]
.LBB51_2:
	s_and_not1_b32 vcc_lo, exec_lo, s0
	s_cbranch_vccnz .LBB51_52
; %bb.3:
	v_cmp_gt_i32_e32 vcc_lo, s1, v0
	s_wait_xcnt 0x0
	v_dual_mov_b32 v3, v0 :: v_dual_bitop2_b32 v1, s2, v0 bitop3:0x54
	v_or_b32_e32 v2, 0x100, v0
	s_mov_b32 s8, 0
	s_mov_b32 s9, 0
	s_and_saveexec_b32 s3, vcc_lo
	s_cbranch_execz .LBB51_5
; %bb.4:
	global_load_u16 v3, v1, s[6:7] scale_offset
	s_wait_loadcnt 0x0
	v_cmp_eq_f16_e64 s0, 0x7c00, v3
	v_or_b32_e32 v3, 0x100, v0
	s_and_b32 s9, s0, exec_lo
.LBB51_5:
	s_wait_xcnt 0x0
	s_or_b32 exec_lo, exec_lo, s3
	s_delay_alu instid0(SALU_CYCLE_1)
	s_mov_b32 s3, exec_lo
	v_cmpx_gt_i32_e64 s1, v3
	s_cbranch_execz .LBB51_7
; %bb.6:
	v_add_nc_u32_e32 v4, s2, v3
	v_add_nc_u32_e32 v3, 0x100, v3
	global_load_u16 v4, v4, s[6:7] scale_offset
	s_wait_loadcnt 0x0
	v_cmp_eq_f16_e64 s0, 0x7c00, v4
	s_and_b32 s8, s0, exec_lo
.LBB51_7:
	s_wait_xcnt 0x0
	s_or_b32 exec_lo, exec_lo, s3
	s_mov_b32 s10, 0
	s_mov_b32 s11, 0
	s_mov_b32 s3, exec_lo
	v_cmpx_gt_i32_e64 s1, v3
	s_cbranch_execz .LBB51_9
; %bb.8:
	v_add_nc_u32_e32 v4, s2, v3
	v_add_nc_u32_e32 v3, 0x100, v3
	global_load_u16 v4, v4, s[6:7] scale_offset
	s_wait_loadcnt 0x0
	v_cmp_eq_f16_e64 s0, 0x7c00, v4
	s_and_b32 s11, s0, exec_lo
.LBB51_9:
	s_wait_xcnt 0x0
	s_or_b32 exec_lo, exec_lo, s3
	s_delay_alu instid0(SALU_CYCLE_1)
	s_mov_b32 s3, exec_lo
	v_cmpx_gt_i32_e64 s1, v3
	s_cbranch_execz .LBB51_11
; %bb.10:
	v_add_nc_u32_e32 v4, s2, v3
	v_add_nc_u32_e32 v3, 0x100, v3
	global_load_u16 v4, v4, s[6:7] scale_offset
	s_wait_loadcnt 0x0
	v_cmp_eq_f16_e64 s0, 0x7c00, v4
	s_and_b32 s10, s0, exec_lo
.LBB51_11:
	s_wait_xcnt 0x0
	s_or_b32 exec_lo, exec_lo, s3
	s_mov_b32 s12, 0
	s_mov_b32 s14, 0
	s_mov_b32 s3, exec_lo
	v_cmpx_gt_i32_e64 s1, v3
	s_cbranch_execz .LBB51_13
; %bb.12:
	v_add_nc_u32_e32 v4, s2, v3
	v_add_nc_u32_e32 v3, 0x100, v3
	global_load_u16 v4, v4, s[6:7] scale_offset
	s_wait_loadcnt 0x0
	v_cmp_eq_f16_e64 s0, 0x7c00, v4
	s_and_b32 s14, s0, exec_lo
.LBB51_13:
	;; [unrolled: 29-line block ×7, first 2 shown]
	s_wait_xcnt 0x0
	s_or_b32 exec_lo, exec_lo, s23
	s_delay_alu instid0(SALU_CYCLE_1)
	s_mov_b32 s23, exec_lo
	v_cmpx_gt_i32_e64 s1, v3
	s_cbranch_execz .LBB51_35
; %bb.34:
	v_add_nc_u32_e32 v3, s2, v3
	global_load_u16 v3, v3, s[6:7] scale_offset
	s_wait_loadcnt 0x0
	v_cmp_eq_f16_e64 s0, 0x7c00, v3
	s_and_b32 s19, s0, exec_lo
.LBB51_35:
	s_wait_xcnt 0x0
	s_or_b32 exec_lo, exec_lo, s23
	v_cndmask_b32_e64 v5, 0, 1, s14
	v_cndmask_b32_e64 v3, 0, 1, s9
	;; [unrolled: 1-line block ×3, first 2 shown]
	v_or_b32_e32 v10, 0x400, v0
	v_cndmask_b32_e64 v9, 0, 1, s12
	v_bitop3_b16 v5, v5, 0, 0xff00 bitop3:0xf8
	v_or_b32_e32 v6, 0x200, v0
	v_lshlrev_b16 v4, 8, v4
	v_cmp_gt_i32_e64 s0, s1, v10
	v_lshlrev_b16 v9, 8, v9
	v_and_b32_e32 v5, 0xffff, v5
	v_cndmask_b32_e32 v3, 0, v3, vcc_lo
	v_cndmask_b32_e64 v7, 0, 1, s11
	v_or_b32_e32 v10, 0xc00, v0
	v_or_b32_e32 v11, 0x500, v0
	s_delay_alu instid0(VALU_DEP_4) | instskip(SKIP_3) | instid1(VALU_DEP_4)
	v_dual_cndmask_b32 v5, 0, v5, s0 :: v_dual_bitop2_b32 v4, v3, v4 bitop3:0x54
	v_cmp_gt_i32_e64 s0, s1, v2
	v_cndmask_b32_e64 v12, 0, 1, s21
	v_cndmask_b32_e64 v8, 0, 1, s10
	v_bitop3_b16 v9, v5, v9, 0xff bitop3:0xec
	v_and_b32_e32 v4, 0xffff, v4
	v_cndmask_b32_e64 v13, 0, 1, s20
	v_cndmask_b32_e64 v14, 0, 1, s18
	v_lshlrev_b16 v8, 8, v8
	v_and_b32_e32 v9, 0xffff, v9
	v_cndmask_b32_e64 v3, v3, v4, s0
	v_cmp_gt_i32_e64 s0, s1, v6
	v_cndmask_b32_e64 v4, 0, 1, s17
	s_delay_alu instid0(VALU_DEP_3) | instskip(NEXT) | instid1(VALU_DEP_1)
	v_lshl_or_b32 v7, v7, 16, v3
	v_cndmask_b32_e64 v3, v3, v7, s0
	v_cmp_gt_i32_e64 s0, s1, v10
	v_lshlrev_b16 v7, 8, v13
	v_or_b32_e32 v10, 0x800, v0
	v_or_b32_e32 v13, 0xd00, v0
	s_delay_alu instid0(VALU_DEP_4) | instskip(SKIP_2) | instid1(VALU_DEP_2)
	v_cndmask_b32_e64 v6, 0, v12, s0
	v_cmp_gt_i32_e64 s0, s1, v11
	v_cndmask_b32_e64 v11, 0, 1, s15
	v_dual_cndmask_b32 v5, v5, v9, s0 :: v_dual_lshrrev_b32 v9, 16, v3
	s_delay_alu instid0(VALU_DEP_4) | instskip(SKIP_1) | instid1(VALU_DEP_3)
	v_bitop3_b16 v7, v6, v7, 0xff bitop3:0xec
	v_cmp_gt_i32_e64 s0, s1, v10
	v_bitop3_b16 v8, v9, v8, 0xff bitop3:0xec
	s_delay_alu instid0(VALU_DEP_4) | instskip(NEXT) | instid1(VALU_DEP_4)
	v_lshrrev_b32_e32 v12, 16, v5
	v_and_b32_e32 v7, 0xffff, v7
	v_cndmask_b32_e64 v9, 0, 1, s13
	s_delay_alu instid0(VALU_DEP_4) | instskip(NEXT) | instid1(VALU_DEP_4)
	v_lshlrev_b32_e32 v8, 16, v8
	v_bitop3_b16 v4, v4, v12, 0xff00 bitop3:0xf8
	v_cndmask_b32_e64 v10, 0, v11, s0
	v_cmp_gt_i32_e64 s0, s1, v13
	v_lshlrev_b16 v9, 8, v9
	v_or_b32_e32 v11, 0x900, v0
	v_lshlrev_b32_e32 v4, 16, v4
	v_cndmask_b32_e64 v13, 0, 1, s22
	v_and_or_b32 v8, 0xffff, v3, v8
	s_delay_alu instid0(VALU_DEP_3) | instskip(SKIP_2) | instid1(VALU_DEP_1)
	v_and_or_b32 v4, 0xffff, v5, v4
	v_cndmask_b32_e64 v6, v6, v7, s0
	v_or_b32_e32 v7, 0x600, v0
	v_cmp_gt_i32_e64 s0, s1, v7
	s_delay_alu instid0(VALU_DEP_1) | instskip(NEXT) | instid1(VALU_DEP_4)
	v_dual_cndmask_b32 v4, v5, v4, s0 :: v_dual_bitop2_b32 v9, v10, v9 bitop3:0x54
	v_lshrrev_b32_e32 v12, 16, v6
	v_cmp_gt_i32_e64 s0, s1, v11
	s_delay_alu instid0(VALU_DEP_3) | instskip(NEXT) | instid1(VALU_DEP_3)
	v_and_b32_e32 v9, 0xffff, v9
	v_bitop3_b16 v5, v13, v12, 0xff00 bitop3:0xf8
	v_or_b32_e32 v12, 0xa00, v0
	v_lshrrev_b32_e32 v11, 16, v4
	v_or_b32_e32 v13, 0xe00, v0
	v_dual_cndmask_b32 v7, v10, v9, s0 :: v_dual_lshlrev_b32 v9, 16, v14
	v_lshlrev_b32_e32 v5, 16, v5
	v_cmp_gt_i32_e64 s0, s1, v12
	v_cndmask_b32_e64 v10, 0, 1, s3
	s_delay_alu instid0(VALU_DEP_4) | instskip(NEXT) | instid1(VALU_DEP_4)
	v_and_or_b32 v9, 0x1ff, v7, v9
	v_and_or_b32 v5, 0xffff, v6, v5
	s_delay_alu instid0(VALU_DEP_3) | instskip(NEXT) | instid1(VALU_DEP_3)
	v_lshlrev_b16 v10, 8, v10
	v_cndmask_b32_e64 v7, v7, v9, s0
	v_cmp_gt_i32_e64 s0, s1, v13
	v_cndmask_b32_e64 v9, 0, 1, s16
	v_or_b32_e32 v13, 0x300, v0
	s_delay_alu instid0(VALU_DEP_3)
	v_cndmask_b32_e64 v12, v6, v5, s0
	v_cndmask_b32_e64 v5, 0, 1, s19
	v_bitop3_b16 v6, v11, v10, 0xff bitop3:0xec
	v_lshlrev_b16 v9, 8, v9
	v_cmp_gt_i32_e64 s0, s1, v13
	v_dual_lshrrev_b32 v11, 16, v12 :: v_dual_lshrrev_b32 v10, 16, v7
	v_lshlrev_b16 v5, 8, v5
	s_delay_alu instid0(VALU_DEP_2) | instskip(NEXT) | instid1(VALU_DEP_4)
	v_bitop3_b16 v9, v10, v9, 0xff bitop3:0xec
	v_dual_lshlrev_b32 v10, 16, v6 :: v_dual_cndmask_b32 v6, v3, v8, s0
	s_delay_alu instid0(VALU_DEP_3) | instskip(SKIP_2) | instid1(VALU_DEP_3)
	v_bitop3_b16 v5, v11, v5, 0xff bitop3:0xec
	v_or_b32_e32 v8, 0x700, v0
	v_or_b32_e32 v11, 0xf00, v0
	v_lshlrev_b32_e32 v5, 16, v5
	s_delay_alu instid0(VALU_DEP_3) | instskip(SKIP_4) | instid1(VALU_DEP_3)
	v_cmp_gt_i32_e64 s0, s1, v8
	v_lshlrev_b32_e32 v3, 16, v9
	v_and_or_b32 v9, 0xffff, v4, v10
	v_or_b32_e32 v10, 0xb00, v0
	v_and_or_b32 v13, 0xffff, v12, v5
	v_cndmask_b32_e64 v5, v4, v9, s0
	v_and_or_b32 v3, 0xffff, v7, v3
	s_delay_alu instid0(VALU_DEP_4) | instskip(NEXT) | instid1(VALU_DEP_1)
	v_cmp_gt_i32_e64 s0, s1, v10
	v_cndmask_b32_e64 v4, v7, v3, s0
	v_cmp_gt_i32_e64 s0, s1, v11
	s_delay_alu instid0(VALU_DEP_1)
	v_cndmask_b32_e64 v3, v12, v13, s0
	s_and_saveexec_b32 s0, vcc_lo
	s_cbranch_execnz .LBB51_53
; %bb.36:
	s_or_b32 exec_lo, exec_lo, s0
	s_delay_alu instid0(SALU_CYCLE_1)
	s_mov_b32 s0, exec_lo
	v_cmpx_gt_i32_e64 s1, v0
	s_cbranch_execnz .LBB51_54
.LBB51_37:
	s_or_b32 exec_lo, exec_lo, s0
	s_delay_alu instid0(SALU_CYCLE_1)
	s_mov_b32 s0, exec_lo
	v_cmpx_gt_i32_e64 s1, v0
	s_cbranch_execnz .LBB51_55
.LBB51_38:
	s_or_b32 exec_lo, exec_lo, s0
	s_delay_alu instid0(SALU_CYCLE_1)
	s_mov_b32 s0, exec_lo
	v_cmpx_gt_i32_e64 s1, v0
	s_cbranch_execnz .LBB51_56
.LBB51_39:
	s_or_b32 exec_lo, exec_lo, s0
	s_delay_alu instid0(SALU_CYCLE_1)
	s_mov_b32 s0, exec_lo
	v_cmpx_gt_i32_e64 s1, v0
	s_cbranch_execnz .LBB51_57
.LBB51_40:
	s_or_b32 exec_lo, exec_lo, s0
	s_delay_alu instid0(SALU_CYCLE_1)
	s_mov_b32 s0, exec_lo
	v_cmpx_gt_i32_e64 s1, v0
	s_cbranch_execnz .LBB51_58
.LBB51_41:
	s_or_b32 exec_lo, exec_lo, s0
	s_delay_alu instid0(SALU_CYCLE_1)
	s_mov_b32 s0, exec_lo
	v_cmpx_gt_i32_e64 s1, v0
	s_cbranch_execnz .LBB51_59
.LBB51_42:
	s_or_b32 exec_lo, exec_lo, s0
	s_delay_alu instid0(SALU_CYCLE_1)
	s_mov_b32 s0, exec_lo
	v_cmpx_gt_i32_e64 s1, v0
	s_cbranch_execnz .LBB51_60
.LBB51_43:
	s_or_b32 exec_lo, exec_lo, s0
	s_delay_alu instid0(SALU_CYCLE_1)
	s_mov_b32 s0, exec_lo
	v_cmpx_gt_i32_e64 s1, v0
	s_cbranch_execnz .LBB51_61
.LBB51_44:
	s_or_b32 exec_lo, exec_lo, s0
	s_delay_alu instid0(SALU_CYCLE_1)
	s_mov_b32 s0, exec_lo
	v_cmpx_gt_i32_e64 s1, v0
	s_cbranch_execnz .LBB51_62
.LBB51_45:
	s_or_b32 exec_lo, exec_lo, s0
	s_delay_alu instid0(SALU_CYCLE_1)
	s_mov_b32 s0, exec_lo
	v_cmpx_gt_i32_e64 s1, v0
	s_cbranch_execnz .LBB51_63
.LBB51_46:
	s_or_b32 exec_lo, exec_lo, s0
	s_delay_alu instid0(SALU_CYCLE_1)
	s_mov_b32 s0, exec_lo
	v_cmpx_gt_i32_e64 s1, v0
	s_cbranch_execnz .LBB51_64
.LBB51_47:
	s_or_b32 exec_lo, exec_lo, s0
	s_delay_alu instid0(SALU_CYCLE_1)
	s_mov_b32 s0, exec_lo
	v_cmpx_gt_i32_e64 s1, v0
	s_cbranch_execnz .LBB51_65
.LBB51_48:
	s_or_b32 exec_lo, exec_lo, s0
	s_delay_alu instid0(SALU_CYCLE_1)
	s_mov_b32 s0, exec_lo
	v_cmpx_gt_i32_e64 s1, v0
	s_cbranch_execnz .LBB51_66
.LBB51_49:
	s_or_b32 exec_lo, exec_lo, s0
	s_delay_alu instid0(SALU_CYCLE_1)
	s_mov_b32 s0, exec_lo
	v_cmpx_gt_i32_e64 s1, v0
	s_cbranch_execnz .LBB51_67
.LBB51_50:
	s_or_b32 exec_lo, exec_lo, s0
	s_delay_alu instid0(SALU_CYCLE_1)
	s_mov_b32 s0, exec_lo
	v_cmpx_gt_i32_e64 s1, v0
	s_cbranch_execz .LBB51_52
.LBB51_51:
	v_dual_lshrrev_b32 v1, 24, v3 :: v_dual_add_nc_u32 v0, s2, v0
	global_store_b8 v0, v1, s[4:5]
.LBB51_52:
	s_endpgm
.LBB51_53:
	v_mov_b32_e32 v0, v2
	global_store_b8 v1, v6, s[4:5]
	s_wait_xcnt 0x0
	s_or_b32 exec_lo, exec_lo, s0
	s_delay_alu instid0(SALU_CYCLE_1)
	s_mov_b32 s0, exec_lo
	v_cmpx_gt_i32_e64 s1, v0
	s_cbranch_execz .LBB51_37
.LBB51_54:
	v_dual_lshrrev_b32 v1, 8, v6 :: v_dual_add_nc_u32 v2, s2, v0
	v_add_nc_u32_e32 v0, 0x100, v0
	global_store_b8 v2, v1, s[4:5]
	s_wait_xcnt 0x0
	s_or_b32 exec_lo, exec_lo, s0
	s_delay_alu instid0(SALU_CYCLE_1)
	s_mov_b32 s0, exec_lo
	v_cmpx_gt_i32_e64 s1, v0
	s_cbranch_execz .LBB51_38
.LBB51_55:
	v_add_nc_u32_e32 v1, s2, v0
	v_add_nc_u32_e32 v0, 0x100, v0
	global_store_d16_hi_b8 v1, v6, s[4:5]
	s_wait_xcnt 0x0
	s_or_b32 exec_lo, exec_lo, s0
	s_delay_alu instid0(SALU_CYCLE_1)
	s_mov_b32 s0, exec_lo
	v_cmpx_gt_i32_e64 s1, v0
	s_cbranch_execz .LBB51_39
.LBB51_56:
	v_dual_lshrrev_b32 v1, 24, v6 :: v_dual_add_nc_u32 v2, s2, v0
	v_add_nc_u32_e32 v0, 0x100, v0
	global_store_b8 v2, v1, s[4:5]
	s_wait_xcnt 0x0
	s_or_b32 exec_lo, exec_lo, s0
	s_delay_alu instid0(SALU_CYCLE_1)
	s_mov_b32 s0, exec_lo
	v_cmpx_gt_i32_e64 s1, v0
	s_cbranch_execz .LBB51_40
.LBB51_57:
	v_add_nc_u32_e32 v1, s2, v0
	v_add_nc_u32_e32 v0, 0x100, v0
	global_store_b8 v1, v5, s[4:5]
	s_wait_xcnt 0x0
	s_or_b32 exec_lo, exec_lo, s0
	s_delay_alu instid0(SALU_CYCLE_1)
	s_mov_b32 s0, exec_lo
	v_cmpx_gt_i32_e64 s1, v0
	s_cbranch_execz .LBB51_41
.LBB51_58:
	v_dual_lshrrev_b32 v1, 8, v5 :: v_dual_add_nc_u32 v2, s2, v0
	v_add_nc_u32_e32 v0, 0x100, v0
	global_store_b8 v2, v1, s[4:5]
	s_wait_xcnt 0x0
	s_or_b32 exec_lo, exec_lo, s0
	s_delay_alu instid0(SALU_CYCLE_1)
	s_mov_b32 s0, exec_lo
	v_cmpx_gt_i32_e64 s1, v0
	s_cbranch_execz .LBB51_42
.LBB51_59:
	v_add_nc_u32_e32 v1, s2, v0
	v_add_nc_u32_e32 v0, 0x100, v0
	global_store_d16_hi_b8 v1, v5, s[4:5]
	s_wait_xcnt 0x0
	s_or_b32 exec_lo, exec_lo, s0
	s_delay_alu instid0(SALU_CYCLE_1)
	s_mov_b32 s0, exec_lo
	v_cmpx_gt_i32_e64 s1, v0
	s_cbranch_execz .LBB51_43
.LBB51_60:
	v_dual_lshrrev_b32 v1, 24, v5 :: v_dual_add_nc_u32 v2, s2, v0
	v_add_nc_u32_e32 v0, 0x100, v0
	global_store_b8 v2, v1, s[4:5]
	s_wait_xcnt 0x0
	s_or_b32 exec_lo, exec_lo, s0
	s_delay_alu instid0(SALU_CYCLE_1)
	s_mov_b32 s0, exec_lo
	v_cmpx_gt_i32_e64 s1, v0
	s_cbranch_execz .LBB51_44
.LBB51_61:
	v_add_nc_u32_e32 v1, s2, v0
	v_add_nc_u32_e32 v0, 0x100, v0
	global_store_b8 v1, v4, s[4:5]
	s_wait_xcnt 0x0
	s_or_b32 exec_lo, exec_lo, s0
	s_delay_alu instid0(SALU_CYCLE_1)
	s_mov_b32 s0, exec_lo
	v_cmpx_gt_i32_e64 s1, v0
	s_cbranch_execz .LBB51_45
.LBB51_62:
	v_lshrrev_b32_e32 v1, 8, v4
	v_add_nc_u32_e32 v2, s2, v0
	v_add_nc_u32_e32 v0, 0x100, v0
	global_store_b8 v2, v1, s[4:5]
	s_wait_xcnt 0x0
	s_or_b32 exec_lo, exec_lo, s0
	s_delay_alu instid0(SALU_CYCLE_1)
	s_mov_b32 s0, exec_lo
	v_cmpx_gt_i32_e64 s1, v0
	s_cbranch_execz .LBB51_46
.LBB51_63:
	v_add_nc_u32_e32 v1, s2, v0
	v_add_nc_u32_e32 v0, 0x100, v0
	global_store_d16_hi_b8 v1, v4, s[4:5]
	s_wait_xcnt 0x0
	s_or_b32 exec_lo, exec_lo, s0
	s_delay_alu instid0(SALU_CYCLE_1)
	s_mov_b32 s0, exec_lo
	v_cmpx_gt_i32_e64 s1, v0
	s_cbranch_execz .LBB51_47
.LBB51_64:
	v_lshrrev_b32_e32 v1, 24, v4
	v_add_nc_u32_e32 v2, s2, v0
	v_add_nc_u32_e32 v0, 0x100, v0
	global_store_b8 v2, v1, s[4:5]
	s_wait_xcnt 0x0
	s_or_b32 exec_lo, exec_lo, s0
	s_delay_alu instid0(SALU_CYCLE_1)
	s_mov_b32 s0, exec_lo
	v_cmpx_gt_i32_e64 s1, v0
	s_cbranch_execz .LBB51_48
.LBB51_65:
	v_add_nc_u32_e32 v1, s2, v0
	v_add_nc_u32_e32 v0, 0x100, v0
	global_store_b8 v1, v3, s[4:5]
	s_wait_xcnt 0x0
	s_or_b32 exec_lo, exec_lo, s0
	s_delay_alu instid0(SALU_CYCLE_1)
	s_mov_b32 s0, exec_lo
	v_cmpx_gt_i32_e64 s1, v0
	s_cbranch_execz .LBB51_49
.LBB51_66:
	v_dual_lshrrev_b32 v1, 8, v3 :: v_dual_add_nc_u32 v2, s2, v0
	v_add_nc_u32_e32 v0, 0x100, v0
	global_store_b8 v2, v1, s[4:5]
	s_wait_xcnt 0x0
	s_or_b32 exec_lo, exec_lo, s0
	s_delay_alu instid0(SALU_CYCLE_1)
	s_mov_b32 s0, exec_lo
	v_cmpx_gt_i32_e64 s1, v0
	s_cbranch_execz .LBB51_50
.LBB51_67:
	v_add_nc_u32_e32 v1, s2, v0
	v_add_nc_u32_e32 v0, 0x100, v0
	global_store_d16_hi_b8 v1, v3, s[4:5]
	s_wait_xcnt 0x0
	s_or_b32 exec_lo, exec_lo, s0
	s_delay_alu instid0(SALU_CYCLE_1)
	s_mov_b32 s0, exec_lo
	v_cmpx_gt_i32_e64 s1, v0
	s_cbranch_execnz .LBB51_51
	s_branch .LBB51_52
	.section	.rodata,"a",@progbits
	.p2align	6, 0x0
	.amdhsa_kernel _ZN2at6native29vectorized_elementwise_kernelILi2EZZZNS0_12_GLOBAL__N_120isposinf_kernel_implERNS_18TensorIteratorBaseEENKUlvE_clEvENKUlvE1_clEvEUlN3c104HalfEE_St5arrayIPcLm2EEEEviT0_T1_
		.amdhsa_group_segment_fixed_size 0
		.amdhsa_private_segment_fixed_size 0
		.amdhsa_kernarg_size 24
		.amdhsa_user_sgpr_count 2
		.amdhsa_user_sgpr_dispatch_ptr 0
		.amdhsa_user_sgpr_queue_ptr 0
		.amdhsa_user_sgpr_kernarg_segment_ptr 1
		.amdhsa_user_sgpr_dispatch_id 0
		.amdhsa_user_sgpr_kernarg_preload_length 0
		.amdhsa_user_sgpr_kernarg_preload_offset 0
		.amdhsa_user_sgpr_private_segment_size 0
		.amdhsa_wavefront_size32 1
		.amdhsa_uses_dynamic_stack 0
		.amdhsa_enable_private_segment 0
		.amdhsa_system_sgpr_workgroup_id_x 1
		.amdhsa_system_sgpr_workgroup_id_y 0
		.amdhsa_system_sgpr_workgroup_id_z 0
		.amdhsa_system_sgpr_workgroup_info 0
		.amdhsa_system_vgpr_workitem_id 0
		.amdhsa_next_free_vgpr 17
		.amdhsa_next_free_sgpr 24
		.amdhsa_named_barrier_count 0
		.amdhsa_reserve_vcc 1
		.amdhsa_float_round_mode_32 0
		.amdhsa_float_round_mode_16_64 0
		.amdhsa_float_denorm_mode_32 3
		.amdhsa_float_denorm_mode_16_64 3
		.amdhsa_fp16_overflow 0
		.amdhsa_memory_ordered 1
		.amdhsa_forward_progress 1
		.amdhsa_inst_pref_size 33
		.amdhsa_round_robin_scheduling 0
		.amdhsa_exception_fp_ieee_invalid_op 0
		.amdhsa_exception_fp_denorm_src 0
		.amdhsa_exception_fp_ieee_div_zero 0
		.amdhsa_exception_fp_ieee_overflow 0
		.amdhsa_exception_fp_ieee_underflow 0
		.amdhsa_exception_fp_ieee_inexact 0
		.amdhsa_exception_int_div_zero 0
	.end_amdhsa_kernel
	.section	.text._ZN2at6native29vectorized_elementwise_kernelILi2EZZZNS0_12_GLOBAL__N_120isposinf_kernel_implERNS_18TensorIteratorBaseEENKUlvE_clEvENKUlvE1_clEvEUlN3c104HalfEE_St5arrayIPcLm2EEEEviT0_T1_,"axG",@progbits,_ZN2at6native29vectorized_elementwise_kernelILi2EZZZNS0_12_GLOBAL__N_120isposinf_kernel_implERNS_18TensorIteratorBaseEENKUlvE_clEvENKUlvE1_clEvEUlN3c104HalfEE_St5arrayIPcLm2EEEEviT0_T1_,comdat
.Lfunc_end51:
	.size	_ZN2at6native29vectorized_elementwise_kernelILi2EZZZNS0_12_GLOBAL__N_120isposinf_kernel_implERNS_18TensorIteratorBaseEENKUlvE_clEvENKUlvE1_clEvEUlN3c104HalfEE_St5arrayIPcLm2EEEEviT0_T1_, .Lfunc_end51-_ZN2at6native29vectorized_elementwise_kernelILi2EZZZNS0_12_GLOBAL__N_120isposinf_kernel_implERNS_18TensorIteratorBaseEENKUlvE_clEvENKUlvE1_clEvEUlN3c104HalfEE_St5arrayIPcLm2EEEEviT0_T1_
                                        ; -- End function
	.set _ZN2at6native29vectorized_elementwise_kernelILi2EZZZNS0_12_GLOBAL__N_120isposinf_kernel_implERNS_18TensorIteratorBaseEENKUlvE_clEvENKUlvE1_clEvEUlN3c104HalfEE_St5arrayIPcLm2EEEEviT0_T1_.num_vgpr, 17
	.set _ZN2at6native29vectorized_elementwise_kernelILi2EZZZNS0_12_GLOBAL__N_120isposinf_kernel_implERNS_18TensorIteratorBaseEENKUlvE_clEvENKUlvE1_clEvEUlN3c104HalfEE_St5arrayIPcLm2EEEEviT0_T1_.num_agpr, 0
	.set _ZN2at6native29vectorized_elementwise_kernelILi2EZZZNS0_12_GLOBAL__N_120isposinf_kernel_implERNS_18TensorIteratorBaseEENKUlvE_clEvENKUlvE1_clEvEUlN3c104HalfEE_St5arrayIPcLm2EEEEviT0_T1_.numbered_sgpr, 24
	.set _ZN2at6native29vectorized_elementwise_kernelILi2EZZZNS0_12_GLOBAL__N_120isposinf_kernel_implERNS_18TensorIteratorBaseEENKUlvE_clEvENKUlvE1_clEvEUlN3c104HalfEE_St5arrayIPcLm2EEEEviT0_T1_.num_named_barrier, 0
	.set _ZN2at6native29vectorized_elementwise_kernelILi2EZZZNS0_12_GLOBAL__N_120isposinf_kernel_implERNS_18TensorIteratorBaseEENKUlvE_clEvENKUlvE1_clEvEUlN3c104HalfEE_St5arrayIPcLm2EEEEviT0_T1_.private_seg_size, 0
	.set _ZN2at6native29vectorized_elementwise_kernelILi2EZZZNS0_12_GLOBAL__N_120isposinf_kernel_implERNS_18TensorIteratorBaseEENKUlvE_clEvENKUlvE1_clEvEUlN3c104HalfEE_St5arrayIPcLm2EEEEviT0_T1_.uses_vcc, 1
	.set _ZN2at6native29vectorized_elementwise_kernelILi2EZZZNS0_12_GLOBAL__N_120isposinf_kernel_implERNS_18TensorIteratorBaseEENKUlvE_clEvENKUlvE1_clEvEUlN3c104HalfEE_St5arrayIPcLm2EEEEviT0_T1_.uses_flat_scratch, 0
	.set _ZN2at6native29vectorized_elementwise_kernelILi2EZZZNS0_12_GLOBAL__N_120isposinf_kernel_implERNS_18TensorIteratorBaseEENKUlvE_clEvENKUlvE1_clEvEUlN3c104HalfEE_St5arrayIPcLm2EEEEviT0_T1_.has_dyn_sized_stack, 0
	.set _ZN2at6native29vectorized_elementwise_kernelILi2EZZZNS0_12_GLOBAL__N_120isposinf_kernel_implERNS_18TensorIteratorBaseEENKUlvE_clEvENKUlvE1_clEvEUlN3c104HalfEE_St5arrayIPcLm2EEEEviT0_T1_.has_recursion, 0
	.set _ZN2at6native29vectorized_elementwise_kernelILi2EZZZNS0_12_GLOBAL__N_120isposinf_kernel_implERNS_18TensorIteratorBaseEENKUlvE_clEvENKUlvE1_clEvEUlN3c104HalfEE_St5arrayIPcLm2EEEEviT0_T1_.has_indirect_call, 0
	.section	.AMDGPU.csdata,"",@progbits
; Kernel info:
; codeLenInByte = 4112
; TotalNumSgprs: 26
; NumVgprs: 17
; ScratchSize: 0
; MemoryBound: 0
; FloatMode: 240
; IeeeMode: 1
; LDSByteSize: 0 bytes/workgroup (compile time only)
; SGPRBlocks: 0
; VGPRBlocks: 1
; NumSGPRsForWavesPerEU: 26
; NumVGPRsForWavesPerEU: 17
; NamedBarCnt: 0
; Occupancy: 16
; WaveLimiterHint : 1
; COMPUTE_PGM_RSRC2:SCRATCH_EN: 0
; COMPUTE_PGM_RSRC2:USER_SGPR: 2
; COMPUTE_PGM_RSRC2:TRAP_HANDLER: 0
; COMPUTE_PGM_RSRC2:TGID_X_EN: 1
; COMPUTE_PGM_RSRC2:TGID_Y_EN: 0
; COMPUTE_PGM_RSRC2:TGID_Z_EN: 0
; COMPUTE_PGM_RSRC2:TIDIG_COMP_CNT: 0
	.section	.text._ZN2at6native27unrolled_elementwise_kernelIZZZNS0_12_GLOBAL__N_120isposinf_kernel_implERNS_18TensorIteratorBaseEENKUlvE_clEvENKUlvE1_clEvEUlN3c104HalfEE_St5arrayIPcLm2EELi4E23TrivialOffsetCalculatorILi1EjESE_NS0_6memory15LoadWithoutCastENSF_16StoreWithoutCastEEEviT_T0_T2_T3_T4_T5_,"axG",@progbits,_ZN2at6native27unrolled_elementwise_kernelIZZZNS0_12_GLOBAL__N_120isposinf_kernel_implERNS_18TensorIteratorBaseEENKUlvE_clEvENKUlvE1_clEvEUlN3c104HalfEE_St5arrayIPcLm2EELi4E23TrivialOffsetCalculatorILi1EjESE_NS0_6memory15LoadWithoutCastENSF_16StoreWithoutCastEEEviT_T0_T2_T3_T4_T5_,comdat
	.globl	_ZN2at6native27unrolled_elementwise_kernelIZZZNS0_12_GLOBAL__N_120isposinf_kernel_implERNS_18TensorIteratorBaseEENKUlvE_clEvENKUlvE1_clEvEUlN3c104HalfEE_St5arrayIPcLm2EELi4E23TrivialOffsetCalculatorILi1EjESE_NS0_6memory15LoadWithoutCastENSF_16StoreWithoutCastEEEviT_T0_T2_T3_T4_T5_ ; -- Begin function _ZN2at6native27unrolled_elementwise_kernelIZZZNS0_12_GLOBAL__N_120isposinf_kernel_implERNS_18TensorIteratorBaseEENKUlvE_clEvENKUlvE1_clEvEUlN3c104HalfEE_St5arrayIPcLm2EELi4E23TrivialOffsetCalculatorILi1EjESE_NS0_6memory15LoadWithoutCastENSF_16StoreWithoutCastEEEviT_T0_T2_T3_T4_T5_
	.p2align	8
	.type	_ZN2at6native27unrolled_elementwise_kernelIZZZNS0_12_GLOBAL__N_120isposinf_kernel_implERNS_18TensorIteratorBaseEENKUlvE_clEvENKUlvE1_clEvEUlN3c104HalfEE_St5arrayIPcLm2EELi4E23TrivialOffsetCalculatorILi1EjESE_NS0_6memory15LoadWithoutCastENSF_16StoreWithoutCastEEEviT_T0_T2_T3_T4_T5_,@function
_ZN2at6native27unrolled_elementwise_kernelIZZZNS0_12_GLOBAL__N_120isposinf_kernel_implERNS_18TensorIteratorBaseEENKUlvE_clEvENKUlvE1_clEvEUlN3c104HalfEE_St5arrayIPcLm2EELi4E23TrivialOffsetCalculatorILi1EjESE_NS0_6memory15LoadWithoutCastENSF_16StoreWithoutCastEEEviT_T0_T2_T3_T4_T5_: ; @_ZN2at6native27unrolled_elementwise_kernelIZZZNS0_12_GLOBAL__N_120isposinf_kernel_implERNS_18TensorIteratorBaseEENKUlvE_clEvENKUlvE1_clEvEUlN3c104HalfEE_St5arrayIPcLm2EELi4E23TrivialOffsetCalculatorILi1EjESE_NS0_6memory15LoadWithoutCastENSF_16StoreWithoutCastEEEviT_T0_T2_T3_T4_T5_
; %bb.0:
	s_clause 0x1
	s_load_b32 s2, s[0:1], 0x0
	s_load_b128 s[4:7], s[0:1], 0x8
	s_bfe_u32 s3, ttmp6, 0x4000c
	s_wait_xcnt 0x0
	s_and_b32 s0, ttmp6, 15
	s_add_co_i32 s3, s3, 1
	v_or_b32_e32 v1, 0x100, v0
	s_mul_i32 s1, ttmp9, s3
	s_getreg_b32 s3, hwreg(HW_REG_IB_STS2, 6, 4)
	s_add_co_i32 s0, s0, s1
	s_cmp_eq_u32 s3, 0
	s_mov_b32 s8, 0
	s_cselect_b32 s0, ttmp9, s0
	s_mov_b32 s3, 0
	s_lshl_b32 s1, s0, 10
	s_delay_alu instid0(SALU_CYCLE_1) | instskip(SKIP_2) | instid1(SALU_CYCLE_1)
	v_dual_mov_b32 v3, v0 :: v_dual_bitop2_b32 v2, s1, v0 bitop3:0x54
	s_wait_kmcnt 0x0
	s_sub_co_i32 s2, s2, s1
	v_cmp_gt_i32_e32 vcc_lo, s2, v0
	s_and_saveexec_b32 s9, vcc_lo
	s_cbranch_execz .LBB52_2
; %bb.1:
	global_load_u16 v3, v2, s[6:7] scale_offset
	s_wait_loadcnt 0x0
	v_cmp_eq_f16_e64 s0, 0x7c00, v3
	v_or_b32_e32 v3, 0x100, v0
	s_and_b32 s3, s0, exec_lo
.LBB52_2:
	s_or_b32 exec_lo, exec_lo, s9
	s_delay_alu instid0(SALU_CYCLE_1) | instskip(NEXT) | instid1(VALU_DEP_1)
	s_mov_b32 s9, exec_lo
	v_cmpx_gt_i32_e64 s2, v3
	s_cbranch_execz .LBB52_4
; %bb.3:
	v_add_nc_u32_e32 v4, s1, v3
	v_add_nc_u32_e32 v3, 0x100, v3
	global_load_u16 v4, v4, s[6:7] scale_offset
	s_wait_loadcnt 0x0
	v_cmp_eq_f16_e64 s0, 0x7c00, v4
	s_and_b32 s8, s0, exec_lo
.LBB52_4:
	s_or_b32 exec_lo, exec_lo, s9
	s_mov_b32 s9, 0
	s_mov_b32 s10, 0
	s_mov_b32 s11, exec_lo
	v_cmpx_gt_i32_e64 s2, v3
	s_cbranch_execz .LBB52_6
; %bb.5:
	v_add_nc_u32_e32 v4, s1, v3
	v_add_nc_u32_e32 v3, 0x100, v3
	global_load_u16 v4, v4, s[6:7] scale_offset
	s_wait_loadcnt 0x0
	v_cmp_eq_f16_e64 s0, 0x7c00, v4
	s_and_b32 s10, s0, exec_lo
.LBB52_6:
	s_or_b32 exec_lo, exec_lo, s11
	s_delay_alu instid0(SALU_CYCLE_1)
	s_mov_b32 s11, exec_lo
	v_cmpx_gt_i32_e64 s2, v3
	s_cbranch_execz .LBB52_8
; %bb.7:
	v_add_nc_u32_e32 v3, s1, v3
	global_load_u16 v3, v3, s[6:7] scale_offset
	s_wait_loadcnt 0x0
	v_cmp_eq_f16_e64 s0, 0x7c00, v3
	s_and_b32 s9, s0, exec_lo
.LBB52_8:
	s_or_b32 exec_lo, exec_lo, s11
	v_cndmask_b32_e64 v3, 0, 1, s3
	v_cndmask_b32_e64 v4, 0, 1, s8
	;; [unrolled: 1-line block ×3, first 2 shown]
	v_cmp_gt_i32_e64 s0, s2, v1
	s_delay_alu instid0(VALU_DEP_4) | instskip(NEXT) | instid1(VALU_DEP_4)
	v_cndmask_b32_e32 v3, 0, v3, vcc_lo
	v_lshlrev_b16 v4, 8, v4
	s_delay_alu instid0(VALU_DEP_1) | instskip(NEXT) | instid1(VALU_DEP_1)
	v_dual_lshlrev_b32 v5, 16, v5 :: v_dual_bitop2_b32 v4, v3, v4 bitop3:0x54
	v_and_b32_e32 v4, 0xffff, v4
	s_delay_alu instid0(VALU_DEP_1) | instskip(SKIP_1) | instid1(VALU_DEP_2)
	v_cndmask_b32_e64 v3, v3, v4, s0
	v_or_b32_e32 v4, 0x200, v0
	v_or_b32_e32 v5, v3, v5
	s_delay_alu instid0(VALU_DEP_2) | instskip(SKIP_1) | instid1(VALU_DEP_2)
	v_cmp_gt_i32_e64 s0, s2, v4
	v_cndmask_b32_e64 v4, 0, 1, s9
	v_cndmask_b32_e64 v3, v3, v5, s0
	s_delay_alu instid0(VALU_DEP_2) | instskip(NEXT) | instid1(VALU_DEP_2)
	v_lshlrev_b16 v4, 8, v4
	v_lshrrev_b32_e32 v5, 16, v3
	s_delay_alu instid0(VALU_DEP_1) | instskip(SKIP_1) | instid1(VALU_DEP_2)
	v_bitop3_b16 v4, v5, v4, 0xff bitop3:0xec
	v_or_b32_e32 v5, 0x300, v0
	v_lshlrev_b32_e32 v4, 16, v4
	s_delay_alu instid0(VALU_DEP_2) | instskip(NEXT) | instid1(VALU_DEP_2)
	v_cmp_gt_i32_e64 s0, s2, v5
	v_and_or_b32 v4, 0xffff, v3, v4
	s_delay_alu instid0(VALU_DEP_1)
	v_cndmask_b32_e64 v3, v3, v4, s0
	s_and_saveexec_b32 s0, vcc_lo
	s_cbranch_execnz .LBB52_13
; %bb.9:
	s_or_b32 exec_lo, exec_lo, s0
	s_delay_alu instid0(SALU_CYCLE_1)
	s_mov_b32 s0, exec_lo
	v_cmpx_gt_i32_e64 s2, v0
	s_cbranch_execnz .LBB52_14
.LBB52_10:
	s_or_b32 exec_lo, exec_lo, s0
	s_delay_alu instid0(SALU_CYCLE_1)
	s_mov_b32 s0, exec_lo
	v_cmpx_gt_i32_e64 s2, v0
	s_cbranch_execnz .LBB52_15
.LBB52_11:
	s_or_b32 exec_lo, exec_lo, s0
	s_delay_alu instid0(SALU_CYCLE_1)
	s_mov_b32 s0, exec_lo
	v_cmpx_gt_i32_e64 s2, v0
	s_cbranch_execnz .LBB52_16
.LBB52_12:
	s_endpgm
.LBB52_13:
	v_mov_b32_e32 v0, v1
	global_store_b8 v2, v3, s[4:5]
	s_wait_xcnt 0x0
	s_or_b32 exec_lo, exec_lo, s0
	s_delay_alu instid0(SALU_CYCLE_1)
	s_mov_b32 s0, exec_lo
	v_cmpx_gt_i32_e64 s2, v0
	s_cbranch_execz .LBB52_10
.LBB52_14:
	v_add_nc_u32_e32 v1, 0x100, v0
	v_dual_add_nc_u32 v2, s1, v0 :: v_dual_lshrrev_b32 v4, 8, v3
	s_delay_alu instid0(VALU_DEP_2) | instskip(SKIP_3) | instid1(SALU_CYCLE_1)
	v_mov_b32_e32 v0, v1
	global_store_b8 v2, v4, s[4:5]
	s_wait_xcnt 0x0
	s_or_b32 exec_lo, exec_lo, s0
	s_mov_b32 s0, exec_lo
	v_cmpx_gt_i32_e64 s2, v0
	s_cbranch_execz .LBB52_11
.LBB52_15:
	v_add_nc_u32_e32 v1, 0x100, v0
	s_delay_alu instid0(VALU_DEP_1) | instskip(SKIP_3) | instid1(SALU_CYCLE_1)
	v_dual_add_nc_u32 v2, s1, v0 :: v_dual_mov_b32 v0, v1
	global_store_d16_hi_b8 v2, v3, s[4:5]
	s_wait_xcnt 0x0
	s_or_b32 exec_lo, exec_lo, s0
	s_mov_b32 s0, exec_lo
	v_cmpx_gt_i32_e64 s2, v0
	s_cbranch_execz .LBB52_12
.LBB52_16:
	v_dual_add_nc_u32 v0, s1, v0 :: v_dual_lshrrev_b32 v1, 24, v3
	global_store_b8 v0, v1, s[4:5]
	s_endpgm
	.section	.rodata,"a",@progbits
	.p2align	6, 0x0
	.amdhsa_kernel _ZN2at6native27unrolled_elementwise_kernelIZZZNS0_12_GLOBAL__N_120isposinf_kernel_implERNS_18TensorIteratorBaseEENKUlvE_clEvENKUlvE1_clEvEUlN3c104HalfEE_St5arrayIPcLm2EELi4E23TrivialOffsetCalculatorILi1EjESE_NS0_6memory15LoadWithoutCastENSF_16StoreWithoutCastEEEviT_T0_T2_T3_T4_T5_
		.amdhsa_group_segment_fixed_size 0
		.amdhsa_private_segment_fixed_size 0
		.amdhsa_kernarg_size 28
		.amdhsa_user_sgpr_count 2
		.amdhsa_user_sgpr_dispatch_ptr 0
		.amdhsa_user_sgpr_queue_ptr 0
		.amdhsa_user_sgpr_kernarg_segment_ptr 1
		.amdhsa_user_sgpr_dispatch_id 0
		.amdhsa_user_sgpr_kernarg_preload_length 0
		.amdhsa_user_sgpr_kernarg_preload_offset 0
		.amdhsa_user_sgpr_private_segment_size 0
		.amdhsa_wavefront_size32 1
		.amdhsa_uses_dynamic_stack 0
		.amdhsa_enable_private_segment 0
		.amdhsa_system_sgpr_workgroup_id_x 1
		.amdhsa_system_sgpr_workgroup_id_y 0
		.amdhsa_system_sgpr_workgroup_id_z 0
		.amdhsa_system_sgpr_workgroup_info 0
		.amdhsa_system_vgpr_workitem_id 0
		.amdhsa_next_free_vgpr 6
		.amdhsa_next_free_sgpr 12
		.amdhsa_named_barrier_count 0
		.amdhsa_reserve_vcc 1
		.amdhsa_float_round_mode_32 0
		.amdhsa_float_round_mode_16_64 0
		.amdhsa_float_denorm_mode_32 3
		.amdhsa_float_denorm_mode_16_64 3
		.amdhsa_fp16_overflow 0
		.amdhsa_memory_ordered 1
		.amdhsa_forward_progress 1
		.amdhsa_inst_pref_size 7
		.amdhsa_round_robin_scheduling 0
		.amdhsa_exception_fp_ieee_invalid_op 0
		.amdhsa_exception_fp_denorm_src 0
		.amdhsa_exception_fp_ieee_div_zero 0
		.amdhsa_exception_fp_ieee_overflow 0
		.amdhsa_exception_fp_ieee_underflow 0
		.amdhsa_exception_fp_ieee_inexact 0
		.amdhsa_exception_int_div_zero 0
	.end_amdhsa_kernel
	.section	.text._ZN2at6native27unrolled_elementwise_kernelIZZZNS0_12_GLOBAL__N_120isposinf_kernel_implERNS_18TensorIteratorBaseEENKUlvE_clEvENKUlvE1_clEvEUlN3c104HalfEE_St5arrayIPcLm2EELi4E23TrivialOffsetCalculatorILi1EjESE_NS0_6memory15LoadWithoutCastENSF_16StoreWithoutCastEEEviT_T0_T2_T3_T4_T5_,"axG",@progbits,_ZN2at6native27unrolled_elementwise_kernelIZZZNS0_12_GLOBAL__N_120isposinf_kernel_implERNS_18TensorIteratorBaseEENKUlvE_clEvENKUlvE1_clEvEUlN3c104HalfEE_St5arrayIPcLm2EELi4E23TrivialOffsetCalculatorILi1EjESE_NS0_6memory15LoadWithoutCastENSF_16StoreWithoutCastEEEviT_T0_T2_T3_T4_T5_,comdat
.Lfunc_end52:
	.size	_ZN2at6native27unrolled_elementwise_kernelIZZZNS0_12_GLOBAL__N_120isposinf_kernel_implERNS_18TensorIteratorBaseEENKUlvE_clEvENKUlvE1_clEvEUlN3c104HalfEE_St5arrayIPcLm2EELi4E23TrivialOffsetCalculatorILi1EjESE_NS0_6memory15LoadWithoutCastENSF_16StoreWithoutCastEEEviT_T0_T2_T3_T4_T5_, .Lfunc_end52-_ZN2at6native27unrolled_elementwise_kernelIZZZNS0_12_GLOBAL__N_120isposinf_kernel_implERNS_18TensorIteratorBaseEENKUlvE_clEvENKUlvE1_clEvEUlN3c104HalfEE_St5arrayIPcLm2EELi4E23TrivialOffsetCalculatorILi1EjESE_NS0_6memory15LoadWithoutCastENSF_16StoreWithoutCastEEEviT_T0_T2_T3_T4_T5_
                                        ; -- End function
	.set _ZN2at6native27unrolled_elementwise_kernelIZZZNS0_12_GLOBAL__N_120isposinf_kernel_implERNS_18TensorIteratorBaseEENKUlvE_clEvENKUlvE1_clEvEUlN3c104HalfEE_St5arrayIPcLm2EELi4E23TrivialOffsetCalculatorILi1EjESE_NS0_6memory15LoadWithoutCastENSF_16StoreWithoutCastEEEviT_T0_T2_T3_T4_T5_.num_vgpr, 6
	.set _ZN2at6native27unrolled_elementwise_kernelIZZZNS0_12_GLOBAL__N_120isposinf_kernel_implERNS_18TensorIteratorBaseEENKUlvE_clEvENKUlvE1_clEvEUlN3c104HalfEE_St5arrayIPcLm2EELi4E23TrivialOffsetCalculatorILi1EjESE_NS0_6memory15LoadWithoutCastENSF_16StoreWithoutCastEEEviT_T0_T2_T3_T4_T5_.num_agpr, 0
	.set _ZN2at6native27unrolled_elementwise_kernelIZZZNS0_12_GLOBAL__N_120isposinf_kernel_implERNS_18TensorIteratorBaseEENKUlvE_clEvENKUlvE1_clEvEUlN3c104HalfEE_St5arrayIPcLm2EELi4E23TrivialOffsetCalculatorILi1EjESE_NS0_6memory15LoadWithoutCastENSF_16StoreWithoutCastEEEviT_T0_T2_T3_T4_T5_.numbered_sgpr, 12
	.set _ZN2at6native27unrolled_elementwise_kernelIZZZNS0_12_GLOBAL__N_120isposinf_kernel_implERNS_18TensorIteratorBaseEENKUlvE_clEvENKUlvE1_clEvEUlN3c104HalfEE_St5arrayIPcLm2EELi4E23TrivialOffsetCalculatorILi1EjESE_NS0_6memory15LoadWithoutCastENSF_16StoreWithoutCastEEEviT_T0_T2_T3_T4_T5_.num_named_barrier, 0
	.set _ZN2at6native27unrolled_elementwise_kernelIZZZNS0_12_GLOBAL__N_120isposinf_kernel_implERNS_18TensorIteratorBaseEENKUlvE_clEvENKUlvE1_clEvEUlN3c104HalfEE_St5arrayIPcLm2EELi4E23TrivialOffsetCalculatorILi1EjESE_NS0_6memory15LoadWithoutCastENSF_16StoreWithoutCastEEEviT_T0_T2_T3_T4_T5_.private_seg_size, 0
	.set _ZN2at6native27unrolled_elementwise_kernelIZZZNS0_12_GLOBAL__N_120isposinf_kernel_implERNS_18TensorIteratorBaseEENKUlvE_clEvENKUlvE1_clEvEUlN3c104HalfEE_St5arrayIPcLm2EELi4E23TrivialOffsetCalculatorILi1EjESE_NS0_6memory15LoadWithoutCastENSF_16StoreWithoutCastEEEviT_T0_T2_T3_T4_T5_.uses_vcc, 1
	.set _ZN2at6native27unrolled_elementwise_kernelIZZZNS0_12_GLOBAL__N_120isposinf_kernel_implERNS_18TensorIteratorBaseEENKUlvE_clEvENKUlvE1_clEvEUlN3c104HalfEE_St5arrayIPcLm2EELi4E23TrivialOffsetCalculatorILi1EjESE_NS0_6memory15LoadWithoutCastENSF_16StoreWithoutCastEEEviT_T0_T2_T3_T4_T5_.uses_flat_scratch, 0
	.set _ZN2at6native27unrolled_elementwise_kernelIZZZNS0_12_GLOBAL__N_120isposinf_kernel_implERNS_18TensorIteratorBaseEENKUlvE_clEvENKUlvE1_clEvEUlN3c104HalfEE_St5arrayIPcLm2EELi4E23TrivialOffsetCalculatorILi1EjESE_NS0_6memory15LoadWithoutCastENSF_16StoreWithoutCastEEEviT_T0_T2_T3_T4_T5_.has_dyn_sized_stack, 0
	.set _ZN2at6native27unrolled_elementwise_kernelIZZZNS0_12_GLOBAL__N_120isposinf_kernel_implERNS_18TensorIteratorBaseEENKUlvE_clEvENKUlvE1_clEvEUlN3c104HalfEE_St5arrayIPcLm2EELi4E23TrivialOffsetCalculatorILi1EjESE_NS0_6memory15LoadWithoutCastENSF_16StoreWithoutCastEEEviT_T0_T2_T3_T4_T5_.has_recursion, 0
	.set _ZN2at6native27unrolled_elementwise_kernelIZZZNS0_12_GLOBAL__N_120isposinf_kernel_implERNS_18TensorIteratorBaseEENKUlvE_clEvENKUlvE1_clEvEUlN3c104HalfEE_St5arrayIPcLm2EELi4E23TrivialOffsetCalculatorILi1EjESE_NS0_6memory15LoadWithoutCastENSF_16StoreWithoutCastEEEviT_T0_T2_T3_T4_T5_.has_indirect_call, 0
	.section	.AMDGPU.csdata,"",@progbits
; Kernel info:
; codeLenInByte = 844
; TotalNumSgprs: 14
; NumVgprs: 6
; ScratchSize: 0
; MemoryBound: 0
; FloatMode: 240
; IeeeMode: 1
; LDSByteSize: 0 bytes/workgroup (compile time only)
; SGPRBlocks: 0
; VGPRBlocks: 0
; NumSGPRsForWavesPerEU: 14
; NumVGPRsForWavesPerEU: 6
; NamedBarCnt: 0
; Occupancy: 16
; WaveLimiterHint : 0
; COMPUTE_PGM_RSRC2:SCRATCH_EN: 0
; COMPUTE_PGM_RSRC2:USER_SGPR: 2
; COMPUTE_PGM_RSRC2:TRAP_HANDLER: 0
; COMPUTE_PGM_RSRC2:TGID_X_EN: 1
; COMPUTE_PGM_RSRC2:TGID_Y_EN: 0
; COMPUTE_PGM_RSRC2:TGID_Z_EN: 0
; COMPUTE_PGM_RSRC2:TIDIG_COMP_CNT: 0
	.section	.text._ZN2at6native32elementwise_kernel_manual_unrollILi128ELi8EZNS0_22gpu_kernel_impl_nocastIZZZNS0_12_GLOBAL__N_120isposinf_kernel_implERNS_18TensorIteratorBaseEENKUlvE_clEvENKUlvE1_clEvEUlN3c104HalfEE_EEvS5_RKT_EUlibE_EEviT1_,"axG",@progbits,_ZN2at6native32elementwise_kernel_manual_unrollILi128ELi8EZNS0_22gpu_kernel_impl_nocastIZZZNS0_12_GLOBAL__N_120isposinf_kernel_implERNS_18TensorIteratorBaseEENKUlvE_clEvENKUlvE1_clEvEUlN3c104HalfEE_EEvS5_RKT_EUlibE_EEviT1_,comdat
	.globl	_ZN2at6native32elementwise_kernel_manual_unrollILi128ELi8EZNS0_22gpu_kernel_impl_nocastIZZZNS0_12_GLOBAL__N_120isposinf_kernel_implERNS_18TensorIteratorBaseEENKUlvE_clEvENKUlvE1_clEvEUlN3c104HalfEE_EEvS5_RKT_EUlibE_EEviT1_ ; -- Begin function _ZN2at6native32elementwise_kernel_manual_unrollILi128ELi8EZNS0_22gpu_kernel_impl_nocastIZZZNS0_12_GLOBAL__N_120isposinf_kernel_implERNS_18TensorIteratorBaseEENKUlvE_clEvENKUlvE1_clEvEUlN3c104HalfEE_EEvS5_RKT_EUlibE_EEviT1_
	.p2align	8
	.type	_ZN2at6native32elementwise_kernel_manual_unrollILi128ELi8EZNS0_22gpu_kernel_impl_nocastIZZZNS0_12_GLOBAL__N_120isposinf_kernel_implERNS_18TensorIteratorBaseEENKUlvE_clEvENKUlvE1_clEvEUlN3c104HalfEE_EEvS5_RKT_EUlibE_EEviT1_,@function
_ZN2at6native32elementwise_kernel_manual_unrollILi128ELi8EZNS0_22gpu_kernel_impl_nocastIZZZNS0_12_GLOBAL__N_120isposinf_kernel_implERNS_18TensorIteratorBaseEENKUlvE_clEvENKUlvE1_clEvEUlN3c104HalfEE_EEvS5_RKT_EUlibE_EEviT1_: ; @_ZN2at6native32elementwise_kernel_manual_unrollILi128ELi8EZNS0_22gpu_kernel_impl_nocastIZZZNS0_12_GLOBAL__N_120isposinf_kernel_implERNS_18TensorIteratorBaseEENKUlvE_clEvENKUlvE1_clEvEUlN3c104HalfEE_EEvS5_RKT_EUlibE_EEviT1_
; %bb.0:
	s_clause 0x1
	s_load_b32 s28, s[0:1], 0x8
	s_load_b32 s34, s[0:1], 0x0
	s_bfe_u32 s2, ttmp6, 0x4000c
	s_and_b32 s3, ttmp6, 15
	s_add_co_i32 s2, s2, 1
	s_getreg_b32 s4, hwreg(HW_REG_IB_STS2, 6, 4)
	s_mul_i32 s2, ttmp9, s2
	s_add_nc_u64 s[12:13], s[0:1], 8
	s_add_co_i32 s3, s3, s2
	s_cmp_eq_u32 s4, 0
	s_mov_b32 s17, 0
	s_cselect_b32 s2, ttmp9, s3
	s_wait_xcnt 0x0
	s_mov_b32 s0, exec_lo
	v_lshl_or_b32 v0, s2, 10, v0
	s_delay_alu instid0(VALU_DEP_1) | instskip(SKIP_2) | instid1(SALU_CYCLE_1)
	v_or_b32_e32 v16, 0x380, v0
	s_wait_kmcnt 0x0
	s_add_co_i32 s29, s28, -1
	s_cmp_gt_u32 s29, 1
	s_cselect_b32 s30, -1, 0
	v_cmpx_le_i32_e64 s34, v16
	s_xor_b32 s31, exec_lo, s0
	s_cbranch_execz .LBB53_7
; %bb.1:
	s_clause 0x3
	s_load_b128 s[4:7], s[12:13], 0x4
	s_load_b64 s[14:15], s[12:13], 0x14
	s_load_b128 s[8:11], s[12:13], 0xc4
	s_load_b128 s[0:3], s[12:13], 0x148
	s_cmp_lg_u32 s28, 0
	s_add_nc_u64 s[20:21], s[12:13], 0xc4
	s_cselect_b32 s36, -1, 0
	s_min_u32 s35, s29, 15
	s_cmp_gt_u32 s28, 1
	s_mov_b32 s19, s17
	s_cselect_b32 s33, -1, 0
	s_wait_kmcnt 0x0
	s_mov_b32 s16, s5
	s_mov_b32 s18, s14
	s_mov_b32 s5, exec_lo
	v_cmpx_gt_i32_e64 s34, v0
	s_cbranch_execz .LBB53_14
; %bb.2:
	s_and_not1_b32 vcc_lo, exec_lo, s30
	s_cbranch_vccnz .LBB53_21
; %bb.3:
	s_and_not1_b32 vcc_lo, exec_lo, s36
	s_cbranch_vccnz .LBB53_129
; %bb.4:
	s_add_co_i32 s14, s35, 1
	s_cmp_eq_u32 s29, 2
	s_cbranch_scc1 .LBB53_131
; %bb.5:
	v_dual_mov_b32 v2, 0 :: v_dual_mov_b32 v3, 0
	v_mov_b32_e32 v1, v0
	s_and_b32 s22, s14, 28
	s_mov_b32 s23, 0
	s_mov_b64 s[24:25], s[12:13]
	s_mov_b64 s[26:27], s[20:21]
.LBB53_6:                               ; =>This Inner Loop Header: Depth=1
	s_clause 0x1
	s_load_b256 s[40:47], s[24:25], 0x4
	s_load_b128 s[56:59], s[24:25], 0x24
	s_load_b256 s[48:55], s[26:27], 0x0
	s_add_co_i32 s23, s23, 4
	s_wait_xcnt 0x0
	s_add_nc_u64 s[24:25], s[24:25], 48
	s_cmp_lg_u32 s22, s23
	s_add_nc_u64 s[26:27], s[26:27], 32
	s_wait_kmcnt 0x0
	v_mul_hi_u32 v4, s41, v1
	s_delay_alu instid0(VALU_DEP_1) | instskip(NEXT) | instid1(VALU_DEP_1)
	v_add_nc_u32_e32 v4, v1, v4
	v_lshrrev_b32_e32 v4, s42, v4
	s_delay_alu instid0(VALU_DEP_1) | instskip(NEXT) | instid1(VALU_DEP_1)
	v_mul_hi_u32 v5, s44, v4
	v_add_nc_u32_e32 v5, v4, v5
	s_delay_alu instid0(VALU_DEP_1) | instskip(NEXT) | instid1(VALU_DEP_1)
	v_lshrrev_b32_e32 v5, s45, v5
	v_mul_hi_u32 v6, s47, v5
	s_delay_alu instid0(VALU_DEP_1) | instskip(SKIP_1) | instid1(VALU_DEP_1)
	v_add_nc_u32_e32 v6, v5, v6
	v_mul_lo_u32 v7, v4, s40
	v_sub_nc_u32_e32 v1, v1, v7
	v_mul_lo_u32 v7, v5, s43
	s_delay_alu instid0(VALU_DEP_4) | instskip(NEXT) | instid1(VALU_DEP_3)
	v_lshrrev_b32_e32 v6, s56, v6
	v_mad_u32 v3, v1, s49, v3
	v_mad_u32 v1, v1, s48, v2
	s_delay_alu instid0(VALU_DEP_4) | instskip(NEXT) | instid1(VALU_DEP_4)
	v_sub_nc_u32_e32 v2, v4, v7
	v_mul_hi_u32 v8, s58, v6
	v_mul_lo_u32 v4, v6, s46
	s_delay_alu instid0(VALU_DEP_3) | instskip(SKIP_1) | instid1(VALU_DEP_4)
	v_mad_u32 v3, v2, s51, v3
	v_mad_u32 v2, v2, s50, v1
	v_add_nc_u32_e32 v7, v6, v8
	s_delay_alu instid0(VALU_DEP_1) | instskip(NEXT) | instid1(VALU_DEP_1)
	v_dual_sub_nc_u32 v4, v5, v4 :: v_dual_lshrrev_b32 v1, s59, v7
	v_mad_u32 v3, v4, s53, v3
	s_delay_alu instid0(VALU_DEP_4) | instskip(NEXT) | instid1(VALU_DEP_3)
	v_mad_u32 v2, v4, s52, v2
	v_mul_lo_u32 v5, v1, s57
	s_delay_alu instid0(VALU_DEP_1) | instskip(NEXT) | instid1(VALU_DEP_1)
	v_sub_nc_u32_e32 v4, v6, v5
	v_mad_u32 v3, v4, s55, v3
	s_delay_alu instid0(VALU_DEP_4)
	v_mad_u32 v2, v4, s54, v2
	s_cbranch_scc1 .LBB53_6
	s_branch .LBB53_132
.LBB53_7:
	s_and_not1_saveexec_b32 s0, s31
	s_cbranch_execz .LBB53_221
.LBB53_8:
	v_cndmask_b32_e64 v14, 0, 1, s30
	s_and_not1_b32 vcc_lo, exec_lo, s30
	s_cbranch_vccnz .LBB53_20
; %bb.9:
	s_cmp_lg_u32 s28, 0
	s_mov_b32 s6, 0
	s_cbranch_scc0 .LBB53_23
; %bb.10:
	s_min_u32 s1, s29, 15
	s_delay_alu instid0(SALU_CYCLE_1)
	s_add_co_i32 s1, s1, 1
	s_cmp_eq_u32 s29, 2
	s_cbranch_scc1 .LBB53_24
; %bb.11:
	v_dual_mov_b32 v2, 0 :: v_dual_mov_b32 v3, 0
	v_mov_b32_e32 v1, v0
	s_and_b32 s0, s1, 28
	s_add_nc_u64 s[2:3], s[12:13], 0xc4
	s_mov_b32 s7, 0
	s_mov_b64 s[4:5], s[12:13]
.LBB53_12:                              ; =>This Inner Loop Header: Depth=1
	s_clause 0x1
	s_load_b256 s[16:23], s[4:5], 0x4
	s_load_b128 s[8:11], s[4:5], 0x24
	s_load_b256 s[36:43], s[2:3], 0x0
	s_add_co_i32 s7, s7, 4
	s_wait_xcnt 0x0
	s_add_nc_u64 s[4:5], s[4:5], 48
	s_cmp_lg_u32 s0, s7
	s_add_nc_u64 s[2:3], s[2:3], 32
	s_wait_kmcnt 0x0
	v_mul_hi_u32 v4, s17, v1
	s_delay_alu instid0(VALU_DEP_1) | instskip(NEXT) | instid1(VALU_DEP_1)
	v_add_nc_u32_e32 v4, v1, v4
	v_lshrrev_b32_e32 v4, s18, v4
	s_delay_alu instid0(VALU_DEP_1) | instskip(NEXT) | instid1(VALU_DEP_1)
	v_mul_hi_u32 v5, s20, v4
	v_add_nc_u32_e32 v5, v4, v5
	s_delay_alu instid0(VALU_DEP_1) | instskip(NEXT) | instid1(VALU_DEP_1)
	v_lshrrev_b32_e32 v5, s21, v5
	v_mul_hi_u32 v6, s23, v5
	s_delay_alu instid0(VALU_DEP_1) | instskip(SKIP_1) | instid1(VALU_DEP_1)
	v_add_nc_u32_e32 v6, v5, v6
	v_mul_lo_u32 v7, v4, s16
	v_sub_nc_u32_e32 v1, v1, v7
	v_mul_lo_u32 v7, v5, s19
	s_delay_alu instid0(VALU_DEP_4) | instskip(NEXT) | instid1(VALU_DEP_3)
	v_lshrrev_b32_e32 v6, s8, v6
	v_mad_u32 v3, v1, s37, v3
	v_mad_u32 v1, v1, s36, v2
	s_delay_alu instid0(VALU_DEP_4) | instskip(NEXT) | instid1(VALU_DEP_4)
	v_sub_nc_u32_e32 v2, v4, v7
	v_mul_hi_u32 v8, s10, v6
	v_mul_lo_u32 v4, v6, s22
	s_delay_alu instid0(VALU_DEP_3) | instskip(SKIP_1) | instid1(VALU_DEP_4)
	v_mad_u32 v3, v2, s39, v3
	v_mad_u32 v2, v2, s38, v1
	v_add_nc_u32_e32 v7, v6, v8
	s_delay_alu instid0(VALU_DEP_1) | instskip(NEXT) | instid1(VALU_DEP_1)
	v_dual_sub_nc_u32 v4, v5, v4 :: v_dual_lshrrev_b32 v1, s11, v7
	v_mad_u32 v3, v4, s41, v3
	s_delay_alu instid0(VALU_DEP_4) | instskip(NEXT) | instid1(VALU_DEP_3)
	v_mad_u32 v2, v4, s40, v2
	v_mul_lo_u32 v5, v1, s9
	s_delay_alu instid0(VALU_DEP_1) | instskip(NEXT) | instid1(VALU_DEP_1)
	v_sub_nc_u32_e32 v4, v6, v5
	v_mad_u32 v3, v4, s43, v3
	s_delay_alu instid0(VALU_DEP_4)
	v_mad_u32 v2, v4, s42, v2
	s_cbranch_scc1 .LBB53_12
; %bb.13:
	s_and_b32 s4, s1, 3
	s_mov_b32 s1, 0
	s_cmp_eq_u32 s4, 0
	s_cbranch_scc0 .LBB53_25
	s_branch .LBB53_27
.LBB53_14:
	s_or_b32 exec_lo, exec_lo, s5
	s_delay_alu instid0(SALU_CYCLE_1)
	s_mov_b32 s5, exec_lo
	v_cmpx_gt_i32_e64 s34, v0
	s_cbranch_execz .LBB53_139
.LBB53_15:
	s_and_not1_b32 vcc_lo, exec_lo, s30
	s_cbranch_vccnz .LBB53_22
; %bb.16:
	s_and_not1_b32 vcc_lo, exec_lo, s36
	s_cbranch_vccnz .LBB53_130
; %bb.17:
	s_add_co_i32 s14, s35, 1
	s_cmp_eq_u32 s29, 2
	s_cbranch_scc1 .LBB53_147
; %bb.18:
	v_dual_mov_b32 v2, 0 :: v_dual_mov_b32 v3, 0
	v_mov_b32_e32 v1, v0
	s_and_b32 s22, s14, 28
	s_mov_b32 s23, 0
	s_mov_b64 s[24:25], s[12:13]
	s_mov_b64 s[26:27], s[20:21]
.LBB53_19:                              ; =>This Inner Loop Header: Depth=1
	s_clause 0x1
	s_load_b256 s[40:47], s[24:25], 0x4
	s_load_b128 s[56:59], s[24:25], 0x24
	s_load_b256 s[48:55], s[26:27], 0x0
	s_add_co_i32 s23, s23, 4
	s_wait_xcnt 0x0
	s_add_nc_u64 s[24:25], s[24:25], 48
	s_cmp_eq_u32 s22, s23
	s_add_nc_u64 s[26:27], s[26:27], 32
	s_wait_kmcnt 0x0
	v_mul_hi_u32 v4, s41, v1
	s_delay_alu instid0(VALU_DEP_1) | instskip(NEXT) | instid1(VALU_DEP_1)
	v_add_nc_u32_e32 v4, v1, v4
	v_lshrrev_b32_e32 v4, s42, v4
	s_delay_alu instid0(VALU_DEP_1) | instskip(NEXT) | instid1(VALU_DEP_1)
	v_mul_hi_u32 v5, s44, v4
	v_add_nc_u32_e32 v5, v4, v5
	s_delay_alu instid0(VALU_DEP_1) | instskip(NEXT) | instid1(VALU_DEP_1)
	v_lshrrev_b32_e32 v5, s45, v5
	v_mul_hi_u32 v6, s47, v5
	s_delay_alu instid0(VALU_DEP_1) | instskip(SKIP_1) | instid1(VALU_DEP_1)
	v_add_nc_u32_e32 v6, v5, v6
	v_mul_lo_u32 v7, v4, s40
	v_sub_nc_u32_e32 v1, v1, v7
	v_mul_lo_u32 v7, v5, s43
	s_delay_alu instid0(VALU_DEP_4) | instskip(NEXT) | instid1(VALU_DEP_3)
	v_lshrrev_b32_e32 v6, s56, v6
	v_mad_u32 v3, v1, s49, v3
	v_mad_u32 v1, v1, s48, v2
	s_delay_alu instid0(VALU_DEP_4) | instskip(NEXT) | instid1(VALU_DEP_4)
	v_sub_nc_u32_e32 v2, v4, v7
	v_mul_hi_u32 v8, s58, v6
	v_mul_lo_u32 v4, v6, s46
	s_delay_alu instid0(VALU_DEP_3) | instskip(SKIP_1) | instid1(VALU_DEP_4)
	v_mad_u32 v3, v2, s51, v3
	v_mad_u32 v2, v2, s50, v1
	v_add_nc_u32_e32 v7, v6, v8
	s_delay_alu instid0(VALU_DEP_1) | instskip(NEXT) | instid1(VALU_DEP_1)
	v_dual_sub_nc_u32 v4, v5, v4 :: v_dual_lshrrev_b32 v1, s59, v7
	v_mad_u32 v3, v4, s53, v3
	s_delay_alu instid0(VALU_DEP_4) | instskip(NEXT) | instid1(VALU_DEP_3)
	v_mad_u32 v2, v4, s52, v2
	v_mul_lo_u32 v5, v1, s57
	s_delay_alu instid0(VALU_DEP_1) | instskip(NEXT) | instid1(VALU_DEP_1)
	v_sub_nc_u32_e32 v4, v6, v5
	v_mad_u32 v3, v4, s55, v3
	s_delay_alu instid0(VALU_DEP_4)
	v_mad_u32 v2, v4, s54, v2
	s_cbranch_scc0 .LBB53_19
	s_branch .LBB53_148
.LBB53_20:
	s_mov_b32 s6, -1
                                        ; implicit-def: $vgpr3
	s_branch .LBB53_27
.LBB53_21:
                                        ; implicit-def: $vgpr3
	s_branch .LBB53_136
.LBB53_22:
                                        ; implicit-def: $vgpr3
	s_branch .LBB53_152
.LBB53_23:
	v_dual_mov_b32 v3, 0 :: v_dual_mov_b32 v2, 0
	s_branch .LBB53_27
.LBB53_24:
	v_mov_b64_e32 v[2:3], 0
	v_mov_b32_e32 v1, v0
	s_mov_b32 s0, 0
	s_and_b32 s4, s1, 3
	s_mov_b32 s1, 0
	s_cmp_eq_u32 s4, 0
	s_cbranch_scc1 .LBB53_27
.LBB53_25:
	s_lshl_b32 s2, s0, 3
	s_mov_b32 s3, s1
	s_mul_u64 s[8:9], s[0:1], 12
	s_add_nc_u64 s[2:3], s[12:13], s[2:3]
	s_delay_alu instid0(SALU_CYCLE_1)
	s_add_nc_u64 s[0:1], s[2:3], 0xc4
	s_add_nc_u64 s[2:3], s[12:13], s[8:9]
.LBB53_26:                              ; =>This Inner Loop Header: Depth=1
	s_load_b96 s[8:10], s[2:3], 0x4
	s_add_co_i32 s4, s4, -1
	s_wait_xcnt 0x0
	s_add_nc_u64 s[2:3], s[2:3], 12
	s_cmp_lg_u32 s4, 0
	s_wait_kmcnt 0x0
	v_mul_hi_u32 v4, s9, v1
	s_delay_alu instid0(VALU_DEP_1) | instskip(NEXT) | instid1(VALU_DEP_1)
	v_add_nc_u32_e32 v4, v1, v4
	v_lshrrev_b32_e32 v4, s10, v4
	s_load_b64 s[10:11], s[0:1], 0x0
	s_wait_xcnt 0x0
	s_add_nc_u64 s[0:1], s[0:1], 8
	s_delay_alu instid0(VALU_DEP_1) | instskip(NEXT) | instid1(VALU_DEP_1)
	v_mul_lo_u32 v5, v4, s8
	v_sub_nc_u32_e32 v1, v1, v5
	s_wait_kmcnt 0x0
	s_delay_alu instid0(VALU_DEP_1)
	v_mad_u32 v3, v1, s11, v3
	v_mad_u32 v2, v1, s10, v2
	v_mov_b32_e32 v1, v4
	s_cbranch_scc1 .LBB53_26
.LBB53_27:
	s_and_not1_b32 vcc_lo, exec_lo, s6
	s_cbranch_vccnz .LBB53_30
; %bb.28:
	s_clause 0x1
	s_load_b96 s[0:2], s[12:13], 0x4
	s_load_b64 s[4:5], s[12:13], 0xc4
	s_cmp_lt_u32 s28, 2
	s_wait_kmcnt 0x0
	v_mul_hi_u32 v1, s1, v0
	s_delay_alu instid0(VALU_DEP_1) | instskip(NEXT) | instid1(VALU_DEP_1)
	v_add_nc_u32_e32 v1, v0, v1
	v_lshrrev_b32_e32 v1, s2, v1
	s_delay_alu instid0(VALU_DEP_1) | instskip(NEXT) | instid1(VALU_DEP_1)
	v_mul_lo_u32 v2, v1, s0
	v_sub_nc_u32_e32 v2, v0, v2
	s_delay_alu instid0(VALU_DEP_1)
	v_mul_lo_u32 v3, v2, s5
	v_mul_lo_u32 v2, v2, s4
	s_cbranch_scc1 .LBB53_30
; %bb.29:
	s_clause 0x1
	s_load_b96 s[0:2], s[12:13], 0x10
	s_load_b64 s[4:5], s[12:13], 0xcc
	s_wait_kmcnt 0x0
	v_mul_hi_u32 v4, s1, v1
	s_delay_alu instid0(VALU_DEP_1) | instskip(NEXT) | instid1(VALU_DEP_1)
	v_add_nc_u32_e32 v4, v1, v4
	v_lshrrev_b32_e32 v4, s2, v4
	s_delay_alu instid0(VALU_DEP_1) | instskip(NEXT) | instid1(VALU_DEP_1)
	v_mul_lo_u32 v4, v4, s0
	v_sub_nc_u32_e32 v1, v1, v4
	s_delay_alu instid0(VALU_DEP_1)
	v_mad_u32 v2, v1, s4, v2
	v_mad_u32 v3, v1, s5, v3
.LBB53_30:
	v_cmp_ne_u32_e32 vcc_lo, 1, v14
	v_add_nc_u32_e32 v1, 0x80, v0
	s_cbranch_vccnz .LBB53_36
; %bb.31:
	s_cmp_lg_u32 s28, 0
	s_mov_b32 s6, 0
	s_cbranch_scc0 .LBB53_37
; %bb.32:
	s_min_u32 s1, s29, 15
	s_delay_alu instid0(SALU_CYCLE_1)
	s_add_co_i32 s1, s1, 1
	s_cmp_eq_u32 s29, 2
	s_cbranch_scc1 .LBB53_38
; %bb.33:
	v_dual_mov_b32 v4, 0 :: v_dual_mov_b32 v5, 0
	v_mov_b32_e32 v6, v1
	s_and_b32 s0, s1, 28
	s_add_nc_u64 s[2:3], s[12:13], 0xc4
	s_mov_b32 s7, 0
	s_mov_b64 s[4:5], s[12:13]
.LBB53_34:                              ; =>This Inner Loop Header: Depth=1
	s_clause 0x1
	s_load_b256 s[16:23], s[4:5], 0x4
	s_load_b128 s[8:11], s[4:5], 0x24
	s_load_b256 s[36:43], s[2:3], 0x0
	s_add_co_i32 s7, s7, 4
	s_wait_xcnt 0x0
	s_add_nc_u64 s[4:5], s[4:5], 48
	s_cmp_lg_u32 s0, s7
	s_add_nc_u64 s[2:3], s[2:3], 32
	s_wait_kmcnt 0x0
	v_mul_hi_u32 v7, s17, v6
	s_delay_alu instid0(VALU_DEP_1) | instskip(NEXT) | instid1(VALU_DEP_1)
	v_add_nc_u32_e32 v7, v6, v7
	v_lshrrev_b32_e32 v7, s18, v7
	s_delay_alu instid0(VALU_DEP_1) | instskip(NEXT) | instid1(VALU_DEP_1)
	v_mul_hi_u32 v8, s20, v7
	v_add_nc_u32_e32 v8, v7, v8
	s_delay_alu instid0(VALU_DEP_1) | instskip(NEXT) | instid1(VALU_DEP_1)
	v_lshrrev_b32_e32 v8, s21, v8
	v_mul_hi_u32 v9, s23, v8
	s_delay_alu instid0(VALU_DEP_1) | instskip(SKIP_1) | instid1(VALU_DEP_1)
	v_add_nc_u32_e32 v9, v8, v9
	v_mul_lo_u32 v10, v7, s16
	v_sub_nc_u32_e32 v6, v6, v10
	v_mul_lo_u32 v10, v8, s19
	s_delay_alu instid0(VALU_DEP_4) | instskip(NEXT) | instid1(VALU_DEP_3)
	v_lshrrev_b32_e32 v9, s8, v9
	v_mad_u32 v5, v6, s37, v5
	v_mad_u32 v4, v6, s36, v4
	s_delay_alu instid0(VALU_DEP_4) | instskip(NEXT) | instid1(VALU_DEP_4)
	v_sub_nc_u32_e32 v6, v7, v10
	v_mul_hi_u32 v11, s10, v9
	v_mul_lo_u32 v7, v9, s22
	s_delay_alu instid0(VALU_DEP_3) | instskip(SKIP_1) | instid1(VALU_DEP_4)
	v_mad_u32 v5, v6, s39, v5
	v_mad_u32 v4, v6, s38, v4
	v_add_nc_u32_e32 v10, v9, v11
	s_delay_alu instid0(VALU_DEP_1) | instskip(NEXT) | instid1(VALU_DEP_1)
	v_dual_sub_nc_u32 v7, v8, v7 :: v_dual_lshrrev_b32 v6, s11, v10
	v_mad_u32 v5, v7, s41, v5
	s_delay_alu instid0(VALU_DEP_4) | instskip(NEXT) | instid1(VALU_DEP_3)
	v_mad_u32 v4, v7, s40, v4
	v_mul_lo_u32 v8, v6, s9
	s_delay_alu instid0(VALU_DEP_1) | instskip(NEXT) | instid1(VALU_DEP_1)
	v_sub_nc_u32_e32 v7, v9, v8
	v_mad_u32 v5, v7, s43, v5
	s_delay_alu instid0(VALU_DEP_4)
	v_mad_u32 v4, v7, s42, v4
	s_cbranch_scc1 .LBB53_34
; %bb.35:
	s_and_b32 s4, s1, 3
	s_mov_b32 s1, 0
	s_cmp_eq_u32 s4, 0
	s_cbranch_scc0 .LBB53_39
	s_branch .LBB53_41
.LBB53_36:
	s_mov_b32 s6, -1
                                        ; implicit-def: $vgpr5
	s_branch .LBB53_41
.LBB53_37:
	v_dual_mov_b32 v5, 0 :: v_dual_mov_b32 v4, 0
	s_branch .LBB53_41
.LBB53_38:
	v_mov_b64_e32 v[4:5], 0
	v_mov_b32_e32 v6, v1
	s_mov_b32 s0, 0
	s_and_b32 s4, s1, 3
	s_mov_b32 s1, 0
	s_cmp_eq_u32 s4, 0
	s_cbranch_scc1 .LBB53_41
.LBB53_39:
	s_lshl_b32 s2, s0, 3
	s_mov_b32 s3, s1
	s_mul_u64 s[8:9], s[0:1], 12
	s_add_nc_u64 s[2:3], s[12:13], s[2:3]
	s_delay_alu instid0(SALU_CYCLE_1)
	s_add_nc_u64 s[0:1], s[2:3], 0xc4
	s_add_nc_u64 s[2:3], s[12:13], s[8:9]
.LBB53_40:                              ; =>This Inner Loop Header: Depth=1
	s_load_b96 s[8:10], s[2:3], 0x4
	s_add_co_i32 s4, s4, -1
	s_wait_xcnt 0x0
	s_add_nc_u64 s[2:3], s[2:3], 12
	s_cmp_lg_u32 s4, 0
	s_wait_kmcnt 0x0
	v_mul_hi_u32 v7, s9, v6
	s_delay_alu instid0(VALU_DEP_1) | instskip(NEXT) | instid1(VALU_DEP_1)
	v_add_nc_u32_e32 v7, v6, v7
	v_lshrrev_b32_e32 v7, s10, v7
	s_load_b64 s[10:11], s[0:1], 0x0
	s_wait_xcnt 0x0
	s_add_nc_u64 s[0:1], s[0:1], 8
	s_delay_alu instid0(VALU_DEP_1) | instskip(NEXT) | instid1(VALU_DEP_1)
	v_mul_lo_u32 v8, v7, s8
	v_sub_nc_u32_e32 v6, v6, v8
	s_wait_kmcnt 0x0
	s_delay_alu instid0(VALU_DEP_1)
	v_mad_u32 v5, v6, s11, v5
	v_mad_u32 v4, v6, s10, v4
	v_mov_b32_e32 v6, v7
	s_cbranch_scc1 .LBB53_40
.LBB53_41:
	s_and_not1_b32 vcc_lo, exec_lo, s6
	s_cbranch_vccnz .LBB53_44
; %bb.42:
	s_clause 0x1
	s_load_b96 s[0:2], s[12:13], 0x4
	s_load_b64 s[4:5], s[12:13], 0xc4
	s_cmp_lt_u32 s28, 2
	s_wait_kmcnt 0x0
	v_mul_hi_u32 v4, s1, v1
	s_delay_alu instid0(VALU_DEP_1) | instskip(NEXT) | instid1(VALU_DEP_1)
	v_add_nc_u32_e32 v4, v1, v4
	v_lshrrev_b32_e32 v6, s2, v4
	s_delay_alu instid0(VALU_DEP_1) | instskip(NEXT) | instid1(VALU_DEP_1)
	v_mul_lo_u32 v4, v6, s0
	v_sub_nc_u32_e32 v1, v1, v4
	s_delay_alu instid0(VALU_DEP_1)
	v_mul_lo_u32 v5, v1, s5
	v_mul_lo_u32 v4, v1, s4
	s_cbranch_scc1 .LBB53_44
; %bb.43:
	s_clause 0x1
	s_load_b96 s[0:2], s[12:13], 0x10
	s_load_b64 s[4:5], s[12:13], 0xcc
	s_wait_kmcnt 0x0
	v_mul_hi_u32 v1, s1, v6
	s_delay_alu instid0(VALU_DEP_1) | instskip(NEXT) | instid1(VALU_DEP_1)
	v_add_nc_u32_e32 v1, v6, v1
	v_lshrrev_b32_e32 v1, s2, v1
	s_delay_alu instid0(VALU_DEP_1) | instskip(NEXT) | instid1(VALU_DEP_1)
	v_mul_lo_u32 v1, v1, s0
	v_sub_nc_u32_e32 v1, v6, v1
	s_delay_alu instid0(VALU_DEP_1)
	v_mad_u32 v4, v1, s4, v4
	v_mad_u32 v5, v1, s5, v5
.LBB53_44:
	v_cmp_ne_u32_e32 vcc_lo, 1, v14
	v_add_nc_u32_e32 v1, 0x100, v0
	s_cbranch_vccnz .LBB53_50
; %bb.45:
	s_cmp_lg_u32 s28, 0
	s_mov_b32 s6, 0
	s_cbranch_scc0 .LBB53_51
; %bb.46:
	s_min_u32 s1, s29, 15
	s_delay_alu instid0(SALU_CYCLE_1)
	s_add_co_i32 s1, s1, 1
	s_cmp_eq_u32 s29, 2
	s_cbranch_scc1 .LBB53_52
; %bb.47:
	v_dual_mov_b32 v6, 0 :: v_dual_mov_b32 v7, 0
	v_mov_b32_e32 v8, v1
	s_and_b32 s0, s1, 28
	s_add_nc_u64 s[2:3], s[12:13], 0xc4
	s_mov_b32 s7, 0
	s_mov_b64 s[4:5], s[12:13]
.LBB53_48:                              ; =>This Inner Loop Header: Depth=1
	s_clause 0x1
	s_load_b256 s[16:23], s[4:5], 0x4
	s_load_b128 s[8:11], s[4:5], 0x24
	s_load_b256 s[36:43], s[2:3], 0x0
	s_add_co_i32 s7, s7, 4
	s_wait_xcnt 0x0
	s_add_nc_u64 s[4:5], s[4:5], 48
	s_cmp_lg_u32 s0, s7
	s_add_nc_u64 s[2:3], s[2:3], 32
	s_wait_kmcnt 0x0
	v_mul_hi_u32 v9, s17, v8
	s_delay_alu instid0(VALU_DEP_1) | instskip(NEXT) | instid1(VALU_DEP_1)
	v_add_nc_u32_e32 v9, v8, v9
	v_lshrrev_b32_e32 v9, s18, v9
	s_delay_alu instid0(VALU_DEP_1) | instskip(NEXT) | instid1(VALU_DEP_1)
	v_mul_hi_u32 v10, s20, v9
	v_add_nc_u32_e32 v10, v9, v10
	s_delay_alu instid0(VALU_DEP_1) | instskip(NEXT) | instid1(VALU_DEP_1)
	v_lshrrev_b32_e32 v10, s21, v10
	v_mul_hi_u32 v11, s23, v10
	s_delay_alu instid0(VALU_DEP_1) | instskip(SKIP_1) | instid1(VALU_DEP_1)
	v_add_nc_u32_e32 v11, v10, v11
	v_mul_lo_u32 v12, v9, s16
	v_sub_nc_u32_e32 v8, v8, v12
	v_mul_lo_u32 v12, v10, s19
	s_delay_alu instid0(VALU_DEP_4) | instskip(NEXT) | instid1(VALU_DEP_3)
	v_lshrrev_b32_e32 v11, s8, v11
	v_mad_u32 v7, v8, s37, v7
	v_mad_u32 v6, v8, s36, v6
	s_delay_alu instid0(VALU_DEP_4) | instskip(NEXT) | instid1(VALU_DEP_4)
	v_sub_nc_u32_e32 v8, v9, v12
	v_mul_hi_u32 v13, s10, v11
	v_mul_lo_u32 v9, v11, s22
	s_delay_alu instid0(VALU_DEP_3) | instskip(SKIP_1) | instid1(VALU_DEP_4)
	v_mad_u32 v7, v8, s39, v7
	v_mad_u32 v6, v8, s38, v6
	v_add_nc_u32_e32 v12, v11, v13
	s_delay_alu instid0(VALU_DEP_1) | instskip(NEXT) | instid1(VALU_DEP_1)
	v_dual_sub_nc_u32 v9, v10, v9 :: v_dual_lshrrev_b32 v8, s11, v12
	v_mad_u32 v7, v9, s41, v7
	s_delay_alu instid0(VALU_DEP_4) | instskip(NEXT) | instid1(VALU_DEP_3)
	v_mad_u32 v6, v9, s40, v6
	v_mul_lo_u32 v10, v8, s9
	s_delay_alu instid0(VALU_DEP_1) | instskip(NEXT) | instid1(VALU_DEP_1)
	v_sub_nc_u32_e32 v9, v11, v10
	v_mad_u32 v7, v9, s43, v7
	s_delay_alu instid0(VALU_DEP_4)
	v_mad_u32 v6, v9, s42, v6
	s_cbranch_scc1 .LBB53_48
; %bb.49:
	s_and_b32 s4, s1, 3
	s_mov_b32 s1, 0
	s_cmp_eq_u32 s4, 0
	s_cbranch_scc0 .LBB53_53
	s_branch .LBB53_55
.LBB53_50:
	s_mov_b32 s6, -1
                                        ; implicit-def: $vgpr7
	s_branch .LBB53_55
.LBB53_51:
	v_dual_mov_b32 v7, 0 :: v_dual_mov_b32 v6, 0
	s_branch .LBB53_55
.LBB53_52:
	v_mov_b64_e32 v[6:7], 0
	v_mov_b32_e32 v8, v1
	s_mov_b32 s0, 0
	s_and_b32 s4, s1, 3
	s_mov_b32 s1, 0
	s_cmp_eq_u32 s4, 0
	s_cbranch_scc1 .LBB53_55
.LBB53_53:
	s_lshl_b32 s2, s0, 3
	s_mov_b32 s3, s1
	s_mul_u64 s[8:9], s[0:1], 12
	s_add_nc_u64 s[2:3], s[12:13], s[2:3]
	s_delay_alu instid0(SALU_CYCLE_1)
	s_add_nc_u64 s[0:1], s[2:3], 0xc4
	s_add_nc_u64 s[2:3], s[12:13], s[8:9]
.LBB53_54:                              ; =>This Inner Loop Header: Depth=1
	s_load_b96 s[8:10], s[2:3], 0x4
	s_add_co_i32 s4, s4, -1
	s_wait_xcnt 0x0
	s_add_nc_u64 s[2:3], s[2:3], 12
	s_cmp_lg_u32 s4, 0
	s_wait_kmcnt 0x0
	v_mul_hi_u32 v9, s9, v8
	s_delay_alu instid0(VALU_DEP_1) | instskip(NEXT) | instid1(VALU_DEP_1)
	v_add_nc_u32_e32 v9, v8, v9
	v_lshrrev_b32_e32 v9, s10, v9
	s_load_b64 s[10:11], s[0:1], 0x0
	s_wait_xcnt 0x0
	s_add_nc_u64 s[0:1], s[0:1], 8
	s_delay_alu instid0(VALU_DEP_1) | instskip(NEXT) | instid1(VALU_DEP_1)
	v_mul_lo_u32 v10, v9, s8
	v_sub_nc_u32_e32 v8, v8, v10
	s_wait_kmcnt 0x0
	s_delay_alu instid0(VALU_DEP_1)
	v_mad_u32 v7, v8, s11, v7
	v_mad_u32 v6, v8, s10, v6
	v_mov_b32_e32 v8, v9
	s_cbranch_scc1 .LBB53_54
.LBB53_55:
	s_and_not1_b32 vcc_lo, exec_lo, s6
	s_cbranch_vccnz .LBB53_58
; %bb.56:
	s_clause 0x1
	s_load_b96 s[0:2], s[12:13], 0x4
	s_load_b64 s[4:5], s[12:13], 0xc4
	s_cmp_lt_u32 s28, 2
	s_wait_kmcnt 0x0
	v_mul_hi_u32 v6, s1, v1
	s_delay_alu instid0(VALU_DEP_1) | instskip(NEXT) | instid1(VALU_DEP_1)
	v_add_nc_u32_e32 v6, v1, v6
	v_lshrrev_b32_e32 v8, s2, v6
	s_delay_alu instid0(VALU_DEP_1) | instskip(NEXT) | instid1(VALU_DEP_1)
	v_mul_lo_u32 v6, v8, s0
	v_sub_nc_u32_e32 v1, v1, v6
	s_delay_alu instid0(VALU_DEP_1)
	v_mul_lo_u32 v7, v1, s5
	v_mul_lo_u32 v6, v1, s4
	s_cbranch_scc1 .LBB53_58
; %bb.57:
	s_clause 0x1
	s_load_b96 s[0:2], s[12:13], 0x10
	s_load_b64 s[4:5], s[12:13], 0xcc
	s_wait_kmcnt 0x0
	v_mul_hi_u32 v1, s1, v8
	s_delay_alu instid0(VALU_DEP_1) | instskip(NEXT) | instid1(VALU_DEP_1)
	v_add_nc_u32_e32 v1, v8, v1
	v_lshrrev_b32_e32 v1, s2, v1
	s_delay_alu instid0(VALU_DEP_1) | instskip(NEXT) | instid1(VALU_DEP_1)
	v_mul_lo_u32 v1, v1, s0
	v_sub_nc_u32_e32 v1, v8, v1
	s_delay_alu instid0(VALU_DEP_1)
	v_mad_u32 v6, v1, s4, v6
	v_mad_u32 v7, v1, s5, v7
.LBB53_58:
	v_cmp_ne_u32_e32 vcc_lo, 1, v14
	v_add_nc_u32_e32 v1, 0x180, v0
	s_cbranch_vccnz .LBB53_64
; %bb.59:
	s_cmp_lg_u32 s28, 0
	s_mov_b32 s6, 0
	s_cbranch_scc0 .LBB53_65
; %bb.60:
	s_min_u32 s1, s29, 15
	s_delay_alu instid0(SALU_CYCLE_1)
	s_add_co_i32 s1, s1, 1
	s_cmp_eq_u32 s29, 2
	s_cbranch_scc1 .LBB53_66
; %bb.61:
	v_dual_mov_b32 v8, 0 :: v_dual_mov_b32 v9, 0
	v_mov_b32_e32 v10, v1
	s_and_b32 s0, s1, 28
	s_add_nc_u64 s[2:3], s[12:13], 0xc4
	s_mov_b32 s7, 0
	s_mov_b64 s[4:5], s[12:13]
.LBB53_62:                              ; =>This Inner Loop Header: Depth=1
	s_clause 0x1
	s_load_b256 s[16:23], s[4:5], 0x4
	s_load_b128 s[8:11], s[4:5], 0x24
	s_load_b256 s[36:43], s[2:3], 0x0
	s_add_co_i32 s7, s7, 4
	s_wait_xcnt 0x0
	s_add_nc_u64 s[4:5], s[4:5], 48
	s_cmp_lg_u32 s0, s7
	s_add_nc_u64 s[2:3], s[2:3], 32
	s_wait_kmcnt 0x0
	v_mul_hi_u32 v11, s17, v10
	s_delay_alu instid0(VALU_DEP_1) | instskip(NEXT) | instid1(VALU_DEP_1)
	v_add_nc_u32_e32 v11, v10, v11
	v_lshrrev_b32_e32 v11, s18, v11
	s_delay_alu instid0(VALU_DEP_1) | instskip(NEXT) | instid1(VALU_DEP_1)
	v_mul_hi_u32 v12, s20, v11
	v_add_nc_u32_e32 v12, v11, v12
	s_delay_alu instid0(VALU_DEP_1) | instskip(NEXT) | instid1(VALU_DEP_1)
	v_lshrrev_b32_e32 v12, s21, v12
	v_mul_hi_u32 v13, s23, v12
	s_delay_alu instid0(VALU_DEP_1) | instskip(SKIP_1) | instid1(VALU_DEP_1)
	v_add_nc_u32_e32 v13, v12, v13
	v_mul_lo_u32 v15, v11, s16
	v_sub_nc_u32_e32 v10, v10, v15
	v_mul_lo_u32 v15, v12, s19
	s_delay_alu instid0(VALU_DEP_4) | instskip(NEXT) | instid1(VALU_DEP_3)
	v_lshrrev_b32_e32 v13, s8, v13
	v_mad_u32 v9, v10, s37, v9
	v_mad_u32 v8, v10, s36, v8
	s_delay_alu instid0(VALU_DEP_4) | instskip(NEXT) | instid1(VALU_DEP_4)
	v_sub_nc_u32_e32 v10, v11, v15
	v_mul_hi_u32 v17, s10, v13
	v_mul_lo_u32 v11, v13, s22
	s_delay_alu instid0(VALU_DEP_3) | instskip(SKIP_1) | instid1(VALU_DEP_3)
	v_mad_u32 v9, v10, s39, v9
	v_mad_u32 v8, v10, s38, v8
	v_dual_add_nc_u32 v15, v13, v17 :: v_dual_sub_nc_u32 v11, v12, v11
	s_delay_alu instid0(VALU_DEP_1) | instskip(NEXT) | instid1(VALU_DEP_2)
	v_lshrrev_b32_e32 v10, s11, v15
	v_mad_u32 v9, v11, s41, v9
	s_delay_alu instid0(VALU_DEP_4) | instskip(NEXT) | instid1(VALU_DEP_3)
	v_mad_u32 v8, v11, s40, v8
	v_mul_lo_u32 v12, v10, s9
	s_delay_alu instid0(VALU_DEP_1) | instskip(NEXT) | instid1(VALU_DEP_1)
	v_sub_nc_u32_e32 v11, v13, v12
	v_mad_u32 v9, v11, s43, v9
	s_delay_alu instid0(VALU_DEP_4)
	v_mad_u32 v8, v11, s42, v8
	s_cbranch_scc1 .LBB53_62
; %bb.63:
	s_and_b32 s4, s1, 3
	s_mov_b32 s1, 0
	s_cmp_eq_u32 s4, 0
	s_cbranch_scc0 .LBB53_67
	s_branch .LBB53_69
.LBB53_64:
	s_mov_b32 s6, -1
                                        ; implicit-def: $vgpr9
	s_branch .LBB53_69
.LBB53_65:
	v_dual_mov_b32 v9, 0 :: v_dual_mov_b32 v8, 0
	s_branch .LBB53_69
.LBB53_66:
	v_mov_b64_e32 v[8:9], 0
	v_mov_b32_e32 v10, v1
	s_mov_b32 s0, 0
	s_and_b32 s4, s1, 3
	s_mov_b32 s1, 0
	s_cmp_eq_u32 s4, 0
	s_cbranch_scc1 .LBB53_69
.LBB53_67:
	s_lshl_b32 s2, s0, 3
	s_mov_b32 s3, s1
	s_mul_u64 s[8:9], s[0:1], 12
	s_add_nc_u64 s[2:3], s[12:13], s[2:3]
	s_delay_alu instid0(SALU_CYCLE_1)
	s_add_nc_u64 s[0:1], s[2:3], 0xc4
	s_add_nc_u64 s[2:3], s[12:13], s[8:9]
.LBB53_68:                              ; =>This Inner Loop Header: Depth=1
	s_load_b96 s[8:10], s[2:3], 0x4
	s_add_co_i32 s4, s4, -1
	s_wait_xcnt 0x0
	s_add_nc_u64 s[2:3], s[2:3], 12
	s_cmp_lg_u32 s4, 0
	s_wait_kmcnt 0x0
	v_mul_hi_u32 v11, s9, v10
	s_delay_alu instid0(VALU_DEP_1) | instskip(NEXT) | instid1(VALU_DEP_1)
	v_add_nc_u32_e32 v11, v10, v11
	v_lshrrev_b32_e32 v11, s10, v11
	s_load_b64 s[10:11], s[0:1], 0x0
	s_wait_xcnt 0x0
	s_add_nc_u64 s[0:1], s[0:1], 8
	s_delay_alu instid0(VALU_DEP_1) | instskip(NEXT) | instid1(VALU_DEP_1)
	v_mul_lo_u32 v12, v11, s8
	v_sub_nc_u32_e32 v10, v10, v12
	s_wait_kmcnt 0x0
	s_delay_alu instid0(VALU_DEP_1)
	v_mad_u32 v9, v10, s11, v9
	v_mad_u32 v8, v10, s10, v8
	v_mov_b32_e32 v10, v11
	s_cbranch_scc1 .LBB53_68
.LBB53_69:
	s_and_not1_b32 vcc_lo, exec_lo, s6
	s_cbranch_vccnz .LBB53_72
; %bb.70:
	s_clause 0x1
	s_load_b96 s[0:2], s[12:13], 0x4
	s_load_b64 s[4:5], s[12:13], 0xc4
	s_cmp_lt_u32 s28, 2
	s_wait_kmcnt 0x0
	v_mul_hi_u32 v8, s1, v1
	s_delay_alu instid0(VALU_DEP_1) | instskip(NEXT) | instid1(VALU_DEP_1)
	v_add_nc_u32_e32 v8, v1, v8
	v_lshrrev_b32_e32 v10, s2, v8
	s_delay_alu instid0(VALU_DEP_1) | instskip(NEXT) | instid1(VALU_DEP_1)
	v_mul_lo_u32 v8, v10, s0
	v_sub_nc_u32_e32 v1, v1, v8
	s_delay_alu instid0(VALU_DEP_1)
	v_mul_lo_u32 v9, v1, s5
	v_mul_lo_u32 v8, v1, s4
	s_cbranch_scc1 .LBB53_72
; %bb.71:
	s_clause 0x1
	s_load_b96 s[0:2], s[12:13], 0x10
	s_load_b64 s[4:5], s[12:13], 0xcc
	s_wait_kmcnt 0x0
	v_mul_hi_u32 v1, s1, v10
	s_delay_alu instid0(VALU_DEP_1) | instskip(NEXT) | instid1(VALU_DEP_1)
	v_add_nc_u32_e32 v1, v10, v1
	v_lshrrev_b32_e32 v1, s2, v1
	s_delay_alu instid0(VALU_DEP_1) | instskip(NEXT) | instid1(VALU_DEP_1)
	v_mul_lo_u32 v1, v1, s0
	v_sub_nc_u32_e32 v1, v10, v1
	s_delay_alu instid0(VALU_DEP_1)
	v_mad_u32 v8, v1, s4, v8
	v_mad_u32 v9, v1, s5, v9
.LBB53_72:
	v_cmp_ne_u32_e32 vcc_lo, 1, v14
	v_add_nc_u32_e32 v1, 0x200, v0
	s_cbranch_vccnz .LBB53_78
; %bb.73:
	s_cmp_lg_u32 s28, 0
	s_mov_b32 s6, 0
	s_cbranch_scc0 .LBB53_79
; %bb.74:
	s_min_u32 s1, s29, 15
	s_delay_alu instid0(SALU_CYCLE_1)
	s_add_co_i32 s1, s1, 1
	s_cmp_eq_u32 s29, 2
	s_cbranch_scc1 .LBB53_80
; %bb.75:
	v_dual_mov_b32 v10, 0 :: v_dual_mov_b32 v11, 0
	v_mov_b32_e32 v12, v1
	s_and_b32 s0, s1, 28
	s_add_nc_u64 s[2:3], s[12:13], 0xc4
	s_mov_b32 s7, 0
	s_mov_b64 s[4:5], s[12:13]
.LBB53_76:                              ; =>This Inner Loop Header: Depth=1
	s_clause 0x1
	s_load_b256 s[16:23], s[4:5], 0x4
	s_load_b128 s[8:11], s[4:5], 0x24
	s_load_b256 s[36:43], s[2:3], 0x0
	s_add_co_i32 s7, s7, 4
	s_wait_xcnt 0x0
	s_add_nc_u64 s[4:5], s[4:5], 48
	s_cmp_lg_u32 s0, s7
	s_add_nc_u64 s[2:3], s[2:3], 32
	s_wait_kmcnt 0x0
	v_mul_hi_u32 v13, s17, v12
	s_delay_alu instid0(VALU_DEP_1) | instskip(NEXT) | instid1(VALU_DEP_1)
	v_add_nc_u32_e32 v13, v12, v13
	v_lshrrev_b32_e32 v13, s18, v13
	s_delay_alu instid0(VALU_DEP_1) | instskip(NEXT) | instid1(VALU_DEP_1)
	v_mul_lo_u32 v18, v13, s16
	v_sub_nc_u32_e32 v12, v12, v18
	v_mul_hi_u32 v15, s20, v13
	s_delay_alu instid0(VALU_DEP_2) | instskip(SKIP_1) | instid1(VALU_DEP_3)
	v_mad_u32 v11, v12, s37, v11
	v_mad_u32 v10, v12, s36, v10
	v_add_nc_u32_e32 v15, v13, v15
	s_delay_alu instid0(VALU_DEP_1) | instskip(NEXT) | instid1(VALU_DEP_1)
	v_lshrrev_b32_e32 v15, s21, v15
	v_mul_hi_u32 v17, s23, v15
	v_mul_lo_u32 v18, v15, s19
	s_delay_alu instid0(VALU_DEP_1) | instskip(NEXT) | instid1(VALU_DEP_1)
	v_dual_add_nc_u32 v17, v15, v17 :: v_dual_sub_nc_u32 v12, v13, v18
	v_lshrrev_b32_e32 v17, s8, v17
	s_delay_alu instid0(VALU_DEP_2) | instskip(SKIP_1) | instid1(VALU_DEP_3)
	v_mad_u32 v11, v12, s39, v11
	v_mad_u32 v10, v12, s38, v10
	v_mul_hi_u32 v19, s10, v17
	v_mul_lo_u32 v13, v17, s22
	s_delay_alu instid0(VALU_DEP_1) | instskip(NEXT) | instid1(VALU_DEP_1)
	v_dual_add_nc_u32 v18, v17, v19 :: v_dual_sub_nc_u32 v13, v15, v13
	v_lshrrev_b32_e32 v12, s11, v18
	s_delay_alu instid0(VALU_DEP_2) | instskip(SKIP_1) | instid1(VALU_DEP_3)
	v_mad_u32 v11, v13, s41, v11
	v_mad_u32 v10, v13, s40, v10
	v_mul_lo_u32 v15, v12, s9
	s_delay_alu instid0(VALU_DEP_1) | instskip(NEXT) | instid1(VALU_DEP_1)
	v_sub_nc_u32_e32 v13, v17, v15
	v_mad_u32 v11, v13, s43, v11
	s_delay_alu instid0(VALU_DEP_4)
	v_mad_u32 v10, v13, s42, v10
	s_cbranch_scc1 .LBB53_76
; %bb.77:
	s_and_b32 s4, s1, 3
	s_mov_b32 s1, 0
	s_cmp_eq_u32 s4, 0
	s_cbranch_scc0 .LBB53_81
	s_branch .LBB53_83
.LBB53_78:
	s_mov_b32 s6, -1
                                        ; implicit-def: $vgpr11
	s_branch .LBB53_83
.LBB53_79:
	v_dual_mov_b32 v11, 0 :: v_dual_mov_b32 v10, 0
	s_branch .LBB53_83
.LBB53_80:
	v_mov_b64_e32 v[10:11], 0
	v_mov_b32_e32 v12, v1
	s_mov_b32 s0, 0
	s_and_b32 s4, s1, 3
	s_mov_b32 s1, 0
	s_cmp_eq_u32 s4, 0
	s_cbranch_scc1 .LBB53_83
.LBB53_81:
	s_lshl_b32 s2, s0, 3
	s_mov_b32 s3, s1
	s_mul_u64 s[8:9], s[0:1], 12
	s_add_nc_u64 s[2:3], s[12:13], s[2:3]
	s_delay_alu instid0(SALU_CYCLE_1)
	s_add_nc_u64 s[0:1], s[2:3], 0xc4
	s_add_nc_u64 s[2:3], s[12:13], s[8:9]
.LBB53_82:                              ; =>This Inner Loop Header: Depth=1
	s_load_b96 s[8:10], s[2:3], 0x4
	s_add_co_i32 s4, s4, -1
	s_wait_xcnt 0x0
	s_add_nc_u64 s[2:3], s[2:3], 12
	s_cmp_lg_u32 s4, 0
	s_wait_kmcnt 0x0
	v_mul_hi_u32 v13, s9, v12
	s_delay_alu instid0(VALU_DEP_1) | instskip(NEXT) | instid1(VALU_DEP_1)
	v_add_nc_u32_e32 v13, v12, v13
	v_lshrrev_b32_e32 v13, s10, v13
	s_load_b64 s[10:11], s[0:1], 0x0
	s_wait_xcnt 0x0
	s_add_nc_u64 s[0:1], s[0:1], 8
	s_delay_alu instid0(VALU_DEP_1) | instskip(NEXT) | instid1(VALU_DEP_1)
	v_mul_lo_u32 v15, v13, s8
	v_sub_nc_u32_e32 v12, v12, v15
	s_wait_kmcnt 0x0
	s_delay_alu instid0(VALU_DEP_1)
	v_mad_u32 v11, v12, s11, v11
	v_mad_u32 v10, v12, s10, v10
	v_mov_b32_e32 v12, v13
	s_cbranch_scc1 .LBB53_82
.LBB53_83:
	s_and_not1_b32 vcc_lo, exec_lo, s6
	s_cbranch_vccnz .LBB53_86
; %bb.84:
	s_clause 0x1
	s_load_b96 s[0:2], s[12:13], 0x4
	s_load_b64 s[4:5], s[12:13], 0xc4
	s_cmp_lt_u32 s28, 2
	s_wait_kmcnt 0x0
	v_mul_hi_u32 v10, s1, v1
	s_delay_alu instid0(VALU_DEP_1) | instskip(NEXT) | instid1(VALU_DEP_1)
	v_add_nc_u32_e32 v10, v1, v10
	v_lshrrev_b32_e32 v12, s2, v10
	s_delay_alu instid0(VALU_DEP_1) | instskip(NEXT) | instid1(VALU_DEP_1)
	v_mul_lo_u32 v10, v12, s0
	v_sub_nc_u32_e32 v1, v1, v10
	s_delay_alu instid0(VALU_DEP_1)
	v_mul_lo_u32 v11, v1, s5
	v_mul_lo_u32 v10, v1, s4
	s_cbranch_scc1 .LBB53_86
; %bb.85:
	s_clause 0x1
	s_load_b96 s[0:2], s[12:13], 0x10
	s_load_b64 s[4:5], s[12:13], 0xcc
	s_wait_kmcnt 0x0
	v_mul_hi_u32 v1, s1, v12
	s_delay_alu instid0(VALU_DEP_1) | instskip(NEXT) | instid1(VALU_DEP_1)
	v_add_nc_u32_e32 v1, v12, v1
	v_lshrrev_b32_e32 v1, s2, v1
	s_delay_alu instid0(VALU_DEP_1) | instskip(NEXT) | instid1(VALU_DEP_1)
	v_mul_lo_u32 v1, v1, s0
	v_sub_nc_u32_e32 v1, v12, v1
	s_delay_alu instid0(VALU_DEP_1)
	v_mad_u32 v10, v1, s4, v10
	v_mad_u32 v11, v1, s5, v11
.LBB53_86:
	v_cmp_ne_u32_e32 vcc_lo, 1, v14
	v_add_nc_u32_e32 v1, 0x280, v0
	s_cbranch_vccnz .LBB53_92
; %bb.87:
	s_cmp_lg_u32 s28, 0
	s_mov_b32 s6, 0
	s_cbranch_scc0 .LBB53_93
; %bb.88:
	s_min_u32 s1, s29, 15
	s_delay_alu instid0(SALU_CYCLE_1)
	s_add_co_i32 s1, s1, 1
	s_cmp_eq_u32 s29, 2
	s_cbranch_scc1 .LBB53_94
; %bb.89:
	v_dual_mov_b32 v12, 0 :: v_dual_mov_b32 v13, 0
	v_mov_b32_e32 v15, v1
	s_and_b32 s0, s1, 28
	s_add_nc_u64 s[2:3], s[12:13], 0xc4
	s_mov_b32 s7, 0
	s_mov_b64 s[4:5], s[12:13]
.LBB53_90:                              ; =>This Inner Loop Header: Depth=1
	s_clause 0x1
	s_load_b256 s[16:23], s[4:5], 0x4
	s_load_b128 s[8:11], s[4:5], 0x24
	s_load_b256 s[36:43], s[2:3], 0x0
	s_add_co_i32 s7, s7, 4
	s_wait_xcnt 0x0
	s_add_nc_u64 s[4:5], s[4:5], 48
	s_cmp_lg_u32 s0, s7
	s_add_nc_u64 s[2:3], s[2:3], 32
	s_wait_kmcnt 0x0
	v_mul_hi_u32 v17, s17, v15
	s_delay_alu instid0(VALU_DEP_1) | instskip(NEXT) | instid1(VALU_DEP_1)
	v_add_nc_u32_e32 v17, v15, v17
	v_lshrrev_b32_e32 v17, s18, v17
	s_delay_alu instid0(VALU_DEP_1) | instskip(NEXT) | instid1(VALU_DEP_1)
	v_mul_hi_u32 v18, s20, v17
	v_add_nc_u32_e32 v18, v17, v18
	s_delay_alu instid0(VALU_DEP_1) | instskip(NEXT) | instid1(VALU_DEP_1)
	v_lshrrev_b32_e32 v18, s21, v18
	v_mul_hi_u32 v19, s23, v18
	s_delay_alu instid0(VALU_DEP_1) | instskip(SKIP_1) | instid1(VALU_DEP_1)
	v_add_nc_u32_e32 v19, v18, v19
	v_mul_lo_u32 v20, v17, s16
	v_sub_nc_u32_e32 v15, v15, v20
	v_mul_lo_u32 v20, v18, s19
	s_delay_alu instid0(VALU_DEP_4) | instskip(NEXT) | instid1(VALU_DEP_3)
	v_lshrrev_b32_e32 v19, s8, v19
	v_mad_u32 v13, v15, s37, v13
	v_mad_u32 v12, v15, s36, v12
	s_delay_alu instid0(VALU_DEP_4) | instskip(NEXT) | instid1(VALU_DEP_4)
	v_sub_nc_u32_e32 v15, v17, v20
	v_mul_hi_u32 v21, s10, v19
	v_mul_lo_u32 v17, v19, s22
	s_delay_alu instid0(VALU_DEP_3) | instskip(SKIP_1) | instid1(VALU_DEP_4)
	v_mad_u32 v13, v15, s39, v13
	v_mad_u32 v12, v15, s38, v12
	v_add_nc_u32_e32 v20, v19, v21
	s_delay_alu instid0(VALU_DEP_1) | instskip(NEXT) | instid1(VALU_DEP_1)
	v_dual_sub_nc_u32 v17, v18, v17 :: v_dual_lshrrev_b32 v15, s11, v20
	v_mad_u32 v13, v17, s41, v13
	s_delay_alu instid0(VALU_DEP_4) | instskip(NEXT) | instid1(VALU_DEP_3)
	v_mad_u32 v12, v17, s40, v12
	v_mul_lo_u32 v18, v15, s9
	s_delay_alu instid0(VALU_DEP_1) | instskip(NEXT) | instid1(VALU_DEP_1)
	v_sub_nc_u32_e32 v17, v19, v18
	v_mad_u32 v13, v17, s43, v13
	s_delay_alu instid0(VALU_DEP_4)
	v_mad_u32 v12, v17, s42, v12
	s_cbranch_scc1 .LBB53_90
; %bb.91:
	s_and_b32 s4, s1, 3
	s_mov_b32 s1, 0
	s_cmp_eq_u32 s4, 0
	s_cbranch_scc0 .LBB53_95
	s_branch .LBB53_97
.LBB53_92:
	s_mov_b32 s6, -1
                                        ; implicit-def: $vgpr13
	s_branch .LBB53_97
.LBB53_93:
	v_dual_mov_b32 v13, 0 :: v_dual_mov_b32 v12, 0
	s_branch .LBB53_97
.LBB53_94:
	v_mov_b64_e32 v[12:13], 0
	v_mov_b32_e32 v15, v1
	s_mov_b32 s0, 0
	s_and_b32 s4, s1, 3
	s_mov_b32 s1, 0
	s_cmp_eq_u32 s4, 0
	s_cbranch_scc1 .LBB53_97
.LBB53_95:
	s_lshl_b32 s2, s0, 3
	s_mov_b32 s3, s1
	s_mul_u64 s[8:9], s[0:1], 12
	s_add_nc_u64 s[2:3], s[12:13], s[2:3]
	s_delay_alu instid0(SALU_CYCLE_1)
	s_add_nc_u64 s[0:1], s[2:3], 0xc4
	s_add_nc_u64 s[2:3], s[12:13], s[8:9]
.LBB53_96:                              ; =>This Inner Loop Header: Depth=1
	s_load_b96 s[8:10], s[2:3], 0x4
	s_add_co_i32 s4, s4, -1
	s_wait_xcnt 0x0
	s_add_nc_u64 s[2:3], s[2:3], 12
	s_cmp_lg_u32 s4, 0
	s_wait_kmcnt 0x0
	v_mul_hi_u32 v17, s9, v15
	s_delay_alu instid0(VALU_DEP_1) | instskip(NEXT) | instid1(VALU_DEP_1)
	v_add_nc_u32_e32 v17, v15, v17
	v_lshrrev_b32_e32 v17, s10, v17
	s_load_b64 s[10:11], s[0:1], 0x0
	s_wait_xcnt 0x0
	s_add_nc_u64 s[0:1], s[0:1], 8
	s_delay_alu instid0(VALU_DEP_1) | instskip(NEXT) | instid1(VALU_DEP_1)
	v_mul_lo_u32 v18, v17, s8
	v_sub_nc_u32_e32 v15, v15, v18
	s_wait_kmcnt 0x0
	s_delay_alu instid0(VALU_DEP_1)
	v_mad_u32 v13, v15, s11, v13
	v_mad_u32 v12, v15, s10, v12
	v_mov_b32_e32 v15, v17
	s_cbranch_scc1 .LBB53_96
.LBB53_97:
	s_and_not1_b32 vcc_lo, exec_lo, s6
	s_cbranch_vccnz .LBB53_100
; %bb.98:
	s_clause 0x1
	s_load_b96 s[0:2], s[12:13], 0x4
	s_load_b64 s[4:5], s[12:13], 0xc4
	s_cmp_lt_u32 s28, 2
	s_wait_kmcnt 0x0
	v_mul_hi_u32 v12, s1, v1
	s_delay_alu instid0(VALU_DEP_1) | instskip(NEXT) | instid1(VALU_DEP_1)
	v_add_nc_u32_e32 v12, v1, v12
	v_lshrrev_b32_e32 v15, s2, v12
	s_delay_alu instid0(VALU_DEP_1) | instskip(NEXT) | instid1(VALU_DEP_1)
	v_mul_lo_u32 v12, v15, s0
	v_sub_nc_u32_e32 v1, v1, v12
	s_delay_alu instid0(VALU_DEP_1)
	v_mul_lo_u32 v13, v1, s5
	v_mul_lo_u32 v12, v1, s4
	s_cbranch_scc1 .LBB53_100
; %bb.99:
	s_clause 0x1
	s_load_b96 s[0:2], s[12:13], 0x10
	s_load_b64 s[4:5], s[12:13], 0xcc
	s_wait_kmcnt 0x0
	v_mul_hi_u32 v1, s1, v15
	s_delay_alu instid0(VALU_DEP_1) | instskip(NEXT) | instid1(VALU_DEP_1)
	v_add_nc_u32_e32 v1, v15, v1
	v_lshrrev_b32_e32 v1, s2, v1
	s_delay_alu instid0(VALU_DEP_1) | instskip(NEXT) | instid1(VALU_DEP_1)
	v_mul_lo_u32 v1, v1, s0
	v_sub_nc_u32_e32 v1, v15, v1
	s_delay_alu instid0(VALU_DEP_1)
	v_mad_u32 v12, v1, s4, v12
	v_mad_u32 v13, v1, s5, v13
.LBB53_100:
	v_cmp_ne_u32_e32 vcc_lo, 1, v14
	v_add_nc_u32_e32 v15, 0x300, v0
	s_cbranch_vccnz .LBB53_106
; %bb.101:
	s_cmp_lg_u32 s28, 0
	s_mov_b32 s6, 0
	s_cbranch_scc0 .LBB53_107
; %bb.102:
	s_min_u32 s1, s29, 15
	s_delay_alu instid0(SALU_CYCLE_1)
	s_add_co_i32 s1, s1, 1
	s_cmp_eq_u32 s29, 2
	s_cbranch_scc1 .LBB53_108
; %bb.103:
	v_dual_mov_b32 v0, 0 :: v_dual_mov_b32 v1, 0
	v_mov_b32_e32 v17, v15
	s_and_b32 s0, s1, 28
	s_add_nc_u64 s[2:3], s[12:13], 0xc4
	s_mov_b32 s7, 0
	s_mov_b64 s[4:5], s[12:13]
.LBB53_104:                             ; =>This Inner Loop Header: Depth=1
	s_clause 0x1
	s_load_b256 s[16:23], s[4:5], 0x4
	s_load_b128 s[8:11], s[4:5], 0x24
	s_load_b256 s[36:43], s[2:3], 0x0
	s_add_co_i32 s7, s7, 4
	s_wait_xcnt 0x0
	s_add_nc_u64 s[4:5], s[4:5], 48
	s_cmp_lg_u32 s0, s7
	s_add_nc_u64 s[2:3], s[2:3], 32
	s_wait_kmcnt 0x0
	v_mul_hi_u32 v18, s17, v17
	s_delay_alu instid0(VALU_DEP_1) | instskip(NEXT) | instid1(VALU_DEP_1)
	v_add_nc_u32_e32 v18, v17, v18
	v_lshrrev_b32_e32 v18, s18, v18
	s_delay_alu instid0(VALU_DEP_1) | instskip(NEXT) | instid1(VALU_DEP_1)
	v_mul_hi_u32 v19, s20, v18
	v_add_nc_u32_e32 v19, v18, v19
	s_delay_alu instid0(VALU_DEP_1) | instskip(NEXT) | instid1(VALU_DEP_1)
	v_lshrrev_b32_e32 v19, s21, v19
	v_mul_hi_u32 v20, s23, v19
	s_delay_alu instid0(VALU_DEP_1) | instskip(SKIP_1) | instid1(VALU_DEP_1)
	v_add_nc_u32_e32 v20, v19, v20
	v_mul_lo_u32 v21, v18, s16
	v_sub_nc_u32_e32 v17, v17, v21
	v_mul_lo_u32 v21, v19, s19
	s_delay_alu instid0(VALU_DEP_4) | instskip(NEXT) | instid1(VALU_DEP_3)
	v_lshrrev_b32_e32 v20, s8, v20
	v_mad_u32 v1, v17, s37, v1
	v_mad_u32 v0, v17, s36, v0
	s_delay_alu instid0(VALU_DEP_4) | instskip(NEXT) | instid1(VALU_DEP_4)
	v_sub_nc_u32_e32 v17, v18, v21
	v_mul_hi_u32 v22, s10, v20
	v_mul_lo_u32 v18, v20, s22
	s_delay_alu instid0(VALU_DEP_3) | instskip(SKIP_1) | instid1(VALU_DEP_4)
	v_mad_u32 v1, v17, s39, v1
	v_mad_u32 v0, v17, s38, v0
	v_add_nc_u32_e32 v21, v20, v22
	s_delay_alu instid0(VALU_DEP_1) | instskip(NEXT) | instid1(VALU_DEP_1)
	v_dual_sub_nc_u32 v18, v19, v18 :: v_dual_lshrrev_b32 v17, s11, v21
	v_mad_u32 v1, v18, s41, v1
	s_delay_alu instid0(VALU_DEP_4) | instskip(NEXT) | instid1(VALU_DEP_3)
	v_mad_u32 v0, v18, s40, v0
	v_mul_lo_u32 v19, v17, s9
	s_delay_alu instid0(VALU_DEP_1) | instskip(NEXT) | instid1(VALU_DEP_1)
	v_sub_nc_u32_e32 v18, v20, v19
	v_mad_u32 v1, v18, s43, v1
	s_delay_alu instid0(VALU_DEP_4)
	v_mad_u32 v0, v18, s42, v0
	s_cbranch_scc1 .LBB53_104
; %bb.105:
	s_and_b32 s4, s1, 3
	s_mov_b32 s1, 0
	s_cmp_eq_u32 s4, 0
	s_cbranch_scc0 .LBB53_109
	s_branch .LBB53_111
.LBB53_106:
	s_mov_b32 s6, -1
                                        ; implicit-def: $vgpr1
	s_branch .LBB53_111
.LBB53_107:
	v_dual_mov_b32 v1, 0 :: v_dual_mov_b32 v0, 0
	s_branch .LBB53_111
.LBB53_108:
	v_mov_b64_e32 v[0:1], 0
	v_mov_b32_e32 v17, v15
	s_mov_b32 s0, 0
	s_and_b32 s4, s1, 3
	s_mov_b32 s1, 0
	s_cmp_eq_u32 s4, 0
	s_cbranch_scc1 .LBB53_111
.LBB53_109:
	s_lshl_b32 s2, s0, 3
	s_mov_b32 s3, s1
	s_mul_u64 s[8:9], s[0:1], 12
	s_add_nc_u64 s[2:3], s[12:13], s[2:3]
	s_delay_alu instid0(SALU_CYCLE_1)
	s_add_nc_u64 s[0:1], s[2:3], 0xc4
	s_add_nc_u64 s[2:3], s[12:13], s[8:9]
.LBB53_110:                             ; =>This Inner Loop Header: Depth=1
	s_load_b96 s[8:10], s[2:3], 0x4
	s_add_co_i32 s4, s4, -1
	s_wait_xcnt 0x0
	s_add_nc_u64 s[2:3], s[2:3], 12
	s_cmp_lg_u32 s4, 0
	s_wait_kmcnt 0x0
	v_mul_hi_u32 v18, s9, v17
	s_delay_alu instid0(VALU_DEP_1) | instskip(NEXT) | instid1(VALU_DEP_1)
	v_add_nc_u32_e32 v18, v17, v18
	v_lshrrev_b32_e32 v18, s10, v18
	s_load_b64 s[10:11], s[0:1], 0x0
	s_wait_xcnt 0x0
	s_add_nc_u64 s[0:1], s[0:1], 8
	s_delay_alu instid0(VALU_DEP_1) | instskip(NEXT) | instid1(VALU_DEP_1)
	v_mul_lo_u32 v19, v18, s8
	v_sub_nc_u32_e32 v17, v17, v19
	s_wait_kmcnt 0x0
	s_delay_alu instid0(VALU_DEP_1)
	v_mad_u32 v1, v17, s11, v1
	v_mad_u32 v0, v17, s10, v0
	v_mov_b32_e32 v17, v18
	s_cbranch_scc1 .LBB53_110
.LBB53_111:
	s_and_not1_b32 vcc_lo, exec_lo, s6
	s_cbranch_vccnz .LBB53_114
; %bb.112:
	s_clause 0x1
	s_load_b96 s[0:2], s[12:13], 0x4
	s_load_b64 s[4:5], s[12:13], 0xc4
	s_cmp_lt_u32 s28, 2
	s_wait_kmcnt 0x0
	v_mul_hi_u32 v0, s1, v15
	s_delay_alu instid0(VALU_DEP_1) | instskip(NEXT) | instid1(VALU_DEP_1)
	v_add_nc_u32_e32 v0, v15, v0
	v_lshrrev_b32_e32 v17, s2, v0
	s_delay_alu instid0(VALU_DEP_1) | instskip(NEXT) | instid1(VALU_DEP_1)
	v_mul_lo_u32 v0, v17, s0
	v_sub_nc_u32_e32 v0, v15, v0
	s_delay_alu instid0(VALU_DEP_1)
	v_mul_lo_u32 v1, v0, s5
	v_mul_lo_u32 v0, v0, s4
	s_cbranch_scc1 .LBB53_114
; %bb.113:
	s_clause 0x1
	s_load_b96 s[0:2], s[12:13], 0x10
	s_load_b64 s[4:5], s[12:13], 0xcc
	s_wait_kmcnt 0x0
	v_mul_hi_u32 v15, s1, v17
	s_delay_alu instid0(VALU_DEP_1) | instskip(NEXT) | instid1(VALU_DEP_1)
	v_add_nc_u32_e32 v15, v17, v15
	v_lshrrev_b32_e32 v15, s2, v15
	s_delay_alu instid0(VALU_DEP_1) | instskip(NEXT) | instid1(VALU_DEP_1)
	v_mul_lo_u32 v15, v15, s0
	v_sub_nc_u32_e32 v15, v17, v15
	s_delay_alu instid0(VALU_DEP_1)
	v_mad_u32 v0, v15, s4, v0
	v_mad_u32 v1, v15, s5, v1
.LBB53_114:
	v_cmp_ne_u32_e32 vcc_lo, 1, v14
	s_cbranch_vccnz .LBB53_120
; %bb.115:
	s_cmp_lg_u32 s28, 0
	s_mov_b32 s6, 0
	s_cbranch_scc0 .LBB53_121
; %bb.116:
	s_min_u32 s1, s29, 15
	s_delay_alu instid0(SALU_CYCLE_1)
	s_add_co_i32 s1, s1, 1
	s_cmp_eq_u32 s29, 2
	s_cbranch_scc1 .LBB53_122
; %bb.117:
	v_dual_mov_b32 v14, 0 :: v_dual_mov_b32 v15, 0
	v_mov_b32_e32 v17, v16
	s_and_b32 s0, s1, 28
	s_add_nc_u64 s[2:3], s[12:13], 0xc4
	s_mov_b32 s7, 0
	s_mov_b64 s[4:5], s[12:13]
.LBB53_118:                             ; =>This Inner Loop Header: Depth=1
	s_clause 0x1
	s_load_b256 s[16:23], s[4:5], 0x4
	s_load_b128 s[8:11], s[4:5], 0x24
	s_load_b256 s[36:43], s[2:3], 0x0
	s_add_co_i32 s7, s7, 4
	s_wait_xcnt 0x0
	s_add_nc_u64 s[4:5], s[4:5], 48
	s_cmp_lg_u32 s0, s7
	s_add_nc_u64 s[2:3], s[2:3], 32
	s_wait_kmcnt 0x0
	v_mul_hi_u32 v18, s17, v17
	s_delay_alu instid0(VALU_DEP_1) | instskip(NEXT) | instid1(VALU_DEP_1)
	v_add_nc_u32_e32 v18, v17, v18
	v_lshrrev_b32_e32 v18, s18, v18
	s_delay_alu instid0(VALU_DEP_1) | instskip(NEXT) | instid1(VALU_DEP_1)
	v_mul_hi_u32 v19, s20, v18
	v_add_nc_u32_e32 v19, v18, v19
	s_delay_alu instid0(VALU_DEP_1) | instskip(NEXT) | instid1(VALU_DEP_1)
	v_lshrrev_b32_e32 v19, s21, v19
	v_mul_hi_u32 v20, s23, v19
	s_delay_alu instid0(VALU_DEP_1) | instskip(SKIP_1) | instid1(VALU_DEP_1)
	v_add_nc_u32_e32 v20, v19, v20
	v_mul_lo_u32 v21, v18, s16
	v_sub_nc_u32_e32 v17, v17, v21
	v_mul_lo_u32 v21, v19, s19
	s_delay_alu instid0(VALU_DEP_4) | instskip(NEXT) | instid1(VALU_DEP_3)
	v_lshrrev_b32_e32 v20, s8, v20
	v_mad_u32 v15, v17, s37, v15
	v_mad_u32 v14, v17, s36, v14
	s_delay_alu instid0(VALU_DEP_4) | instskip(NEXT) | instid1(VALU_DEP_4)
	v_sub_nc_u32_e32 v17, v18, v21
	v_mul_hi_u32 v22, s10, v20
	v_mul_lo_u32 v18, v20, s22
	s_delay_alu instid0(VALU_DEP_3) | instskip(SKIP_1) | instid1(VALU_DEP_4)
	v_mad_u32 v15, v17, s39, v15
	v_mad_u32 v14, v17, s38, v14
	v_add_nc_u32_e32 v21, v20, v22
	s_delay_alu instid0(VALU_DEP_1) | instskip(NEXT) | instid1(VALU_DEP_1)
	v_dual_sub_nc_u32 v18, v19, v18 :: v_dual_lshrrev_b32 v17, s11, v21
	v_mad_u32 v15, v18, s41, v15
	s_delay_alu instid0(VALU_DEP_4) | instskip(NEXT) | instid1(VALU_DEP_3)
	v_mad_u32 v14, v18, s40, v14
	v_mul_lo_u32 v19, v17, s9
	s_delay_alu instid0(VALU_DEP_1) | instskip(NEXT) | instid1(VALU_DEP_1)
	v_sub_nc_u32_e32 v18, v20, v19
	v_mad_u32 v15, v18, s43, v15
	s_delay_alu instid0(VALU_DEP_4)
	v_mad_u32 v14, v18, s42, v14
	s_cbranch_scc1 .LBB53_118
; %bb.119:
	s_and_b32 s4, s1, 3
	s_mov_b32 s1, 0
	s_cmp_eq_u32 s4, 0
	s_cbranch_scc0 .LBB53_123
	s_branch .LBB53_125
.LBB53_120:
	s_mov_b32 s6, -1
                                        ; implicit-def: $vgpr15
	s_branch .LBB53_125
.LBB53_121:
	v_dual_mov_b32 v15, 0 :: v_dual_mov_b32 v14, 0
	s_branch .LBB53_125
.LBB53_122:
	v_mov_b64_e32 v[14:15], 0
	v_mov_b32_e32 v17, v16
	s_mov_b32 s0, 0
	s_and_b32 s4, s1, 3
	s_mov_b32 s1, 0
	s_cmp_eq_u32 s4, 0
	s_cbranch_scc1 .LBB53_125
.LBB53_123:
	s_lshl_b32 s2, s0, 3
	s_mov_b32 s3, s1
	s_mul_u64 s[8:9], s[0:1], 12
	s_add_nc_u64 s[2:3], s[12:13], s[2:3]
	s_delay_alu instid0(SALU_CYCLE_1)
	s_add_nc_u64 s[0:1], s[2:3], 0xc4
	s_add_nc_u64 s[2:3], s[12:13], s[8:9]
.LBB53_124:                             ; =>This Inner Loop Header: Depth=1
	s_load_b96 s[8:10], s[2:3], 0x4
	s_add_co_i32 s4, s4, -1
	s_wait_xcnt 0x0
	s_add_nc_u64 s[2:3], s[2:3], 12
	s_cmp_lg_u32 s4, 0
	s_wait_kmcnt 0x0
	v_mul_hi_u32 v18, s9, v17
	s_delay_alu instid0(VALU_DEP_1) | instskip(NEXT) | instid1(VALU_DEP_1)
	v_add_nc_u32_e32 v18, v17, v18
	v_lshrrev_b32_e32 v18, s10, v18
	s_load_b64 s[10:11], s[0:1], 0x0
	s_wait_xcnt 0x0
	s_add_nc_u64 s[0:1], s[0:1], 8
	s_delay_alu instid0(VALU_DEP_1) | instskip(NEXT) | instid1(VALU_DEP_1)
	v_mul_lo_u32 v19, v18, s8
	v_sub_nc_u32_e32 v17, v17, v19
	s_wait_kmcnt 0x0
	s_delay_alu instid0(VALU_DEP_1)
	v_mad_u32 v15, v17, s11, v15
	v_mad_u32 v14, v17, s10, v14
	v_mov_b32_e32 v17, v18
	s_cbranch_scc1 .LBB53_124
.LBB53_125:
	s_and_not1_b32 vcc_lo, exec_lo, s6
	s_cbranch_vccnz .LBB53_128
; %bb.126:
	s_clause 0x1
	s_load_b96 s[0:2], s[12:13], 0x4
	s_load_b64 s[4:5], s[12:13], 0xc4
	s_cmp_lt_u32 s28, 2
	s_wait_kmcnt 0x0
	v_mul_hi_u32 v14, s1, v16
	s_delay_alu instid0(VALU_DEP_1) | instskip(NEXT) | instid1(VALU_DEP_1)
	v_add_nc_u32_e32 v14, v16, v14
	v_lshrrev_b32_e32 v17, s2, v14
	s_delay_alu instid0(VALU_DEP_1) | instskip(NEXT) | instid1(VALU_DEP_1)
	v_mul_lo_u32 v14, v17, s0
	v_sub_nc_u32_e32 v14, v16, v14
	s_delay_alu instid0(VALU_DEP_1)
	v_mul_lo_u32 v15, v14, s5
	v_mul_lo_u32 v14, v14, s4
	s_cbranch_scc1 .LBB53_128
; %bb.127:
	s_clause 0x1
	s_load_b96 s[0:2], s[12:13], 0x10
	s_load_b64 s[4:5], s[12:13], 0xcc
	s_wait_kmcnt 0x0
	v_mul_hi_u32 v16, s1, v17
	s_delay_alu instid0(VALU_DEP_1) | instskip(NEXT) | instid1(VALU_DEP_1)
	v_add_nc_u32_e32 v16, v17, v16
	v_lshrrev_b32_e32 v16, s2, v16
	s_delay_alu instid0(VALU_DEP_1) | instskip(NEXT) | instid1(VALU_DEP_1)
	v_mul_lo_u32 v16, v16, s0
	v_sub_nc_u32_e32 v16, v17, v16
	s_delay_alu instid0(VALU_DEP_1)
	v_mad_u32 v14, v16, s4, v14
	v_mad_u32 v15, v16, s5, v15
.LBB53_128:
	s_load_b128 s[0:3], s[12:13], 0x148
	s_wait_kmcnt 0x0
	s_clause 0x7
	global_load_u16 v16, v3, s[2:3]
	global_load_u16 v17, v5, s[2:3]
	;; [unrolled: 1-line block ×8, first 2 shown]
	s_wait_loadcnt 0x7
	v_cmp_eq_f16_e32 vcc_lo, 0x7c00, v16
	s_wait_xcnt 0x1
	v_cndmask_b32_e64 v1, 0, 1, vcc_lo
	s_wait_loadcnt 0x6
	v_cmp_eq_f16_e32 vcc_lo, 0x7c00, v17
	v_cndmask_b32_e64 v3, 0, 1, vcc_lo
	s_wait_loadcnt 0x5
	v_cmp_eq_f16_e32 vcc_lo, 0x7c00, v18
	;; [unrolled: 3-line block ×7, first 2 shown]
	s_wait_xcnt 0x0
	v_cndmask_b32_e64 v15, 0, 1, vcc_lo
	s_clause 0x7
	global_store_b8 v2, v1, s[0:1]
	global_store_b8 v4, v3, s[0:1]
	;; [unrolled: 1-line block ×8, first 2 shown]
	s_endpgm
.LBB53_129:
	v_dual_mov_b32 v3, 0 :: v_dual_mov_b32 v2, 0
	s_branch .LBB53_135
.LBB53_130:
	v_dual_mov_b32 v3, 0 :: v_dual_mov_b32 v2, 0
	s_branch .LBB53_151
.LBB53_131:
	v_mov_b64_e32 v[2:3], 0
	v_mov_b32_e32 v1, v0
	s_mov_b32 s22, 0
.LBB53_132:
	s_and_b32 s14, s14, 3
	s_mov_b32 s23, 0
	s_cmp_eq_u32 s14, 0
	s_cbranch_scc1 .LBB53_135
; %bb.133:
	s_lshl_b32 s24, s22, 3
	s_mov_b32 s25, s23
	s_mul_u64 s[26:27], s[22:23], 12
	s_add_nc_u64 s[24:25], s[12:13], s[24:25]
	s_delay_alu instid0(SALU_CYCLE_1)
	s_add_nc_u64 s[22:23], s[24:25], 0xc4
	s_add_nc_u64 s[24:25], s[12:13], s[26:27]
.LBB53_134:                             ; =>This Inner Loop Header: Depth=1
	s_load_b96 s[40:42], s[24:25], 0x4
	s_load_b64 s[26:27], s[22:23], 0x0
	s_add_co_i32 s14, s14, -1
	s_wait_xcnt 0x0
	s_add_nc_u64 s[24:25], s[24:25], 12
	s_cmp_lg_u32 s14, 0
	s_add_nc_u64 s[22:23], s[22:23], 8
	s_wait_kmcnt 0x0
	v_mul_hi_u32 v4, s41, v1
	s_delay_alu instid0(VALU_DEP_1) | instskip(NEXT) | instid1(VALU_DEP_1)
	v_add_nc_u32_e32 v4, v1, v4
	v_lshrrev_b32_e32 v4, s42, v4
	s_delay_alu instid0(VALU_DEP_1) | instskip(NEXT) | instid1(VALU_DEP_1)
	v_mul_lo_u32 v5, v4, s40
	v_sub_nc_u32_e32 v1, v1, v5
	s_delay_alu instid0(VALU_DEP_1)
	v_mad_u32 v3, v1, s27, v3
	v_mad_u32 v2, v1, s26, v2
	v_mov_b32_e32 v1, v4
	s_cbranch_scc1 .LBB53_134
.LBB53_135:
	s_cbranch_execnz .LBB53_138
.LBB53_136:
	v_mov_b32_e32 v1, 0
	s_and_not1_b32 vcc_lo, exec_lo, s33
	s_delay_alu instid0(VALU_DEP_1) | instskip(NEXT) | instid1(VALU_DEP_1)
	v_mul_u64_e32 v[2:3], s[16:17], v[0:1]
	v_add_nc_u32_e32 v2, v0, v3
	s_delay_alu instid0(VALU_DEP_1) | instskip(NEXT) | instid1(VALU_DEP_1)
	v_lshrrev_b32_e32 v4, s6, v2
	v_mul_lo_u32 v2, v4, s4
	s_delay_alu instid0(VALU_DEP_1) | instskip(NEXT) | instid1(VALU_DEP_1)
	v_sub_nc_u32_e32 v2, v0, v2
	v_mul_lo_u32 v3, v2, s9
	v_mul_lo_u32 v2, v2, s8
	s_cbranch_vccnz .LBB53_138
; %bb.137:
	v_mov_b32_e32 v5, v1
	s_delay_alu instid0(VALU_DEP_1) | instskip(NEXT) | instid1(VALU_DEP_1)
	v_mul_u64_e32 v[6:7], s[18:19], v[4:5]
	v_add_nc_u32_e32 v1, v4, v7
	s_delay_alu instid0(VALU_DEP_1) | instskip(NEXT) | instid1(VALU_DEP_1)
	v_lshrrev_b32_e32 v1, s15, v1
	v_mul_lo_u32 v1, v1, s7
	s_delay_alu instid0(VALU_DEP_1) | instskip(NEXT) | instid1(VALU_DEP_1)
	v_sub_nc_u32_e32 v1, v4, v1
	v_mad_u32 v2, v1, s10, v2
	v_mad_u32 v3, v1, s11, v3
.LBB53_138:
	global_load_u16 v1, v3, s[2:3]
	v_add_nc_u32_e32 v0, 0x80, v0
	s_wait_loadcnt 0x0
	v_cmp_eq_f16_e32 vcc_lo, 0x7c00, v1
	v_cndmask_b32_e64 v1, 0, 1, vcc_lo
	global_store_b8 v2, v1, s[0:1]
	s_wait_xcnt 0x0
	s_or_b32 exec_lo, exec_lo, s5
	s_delay_alu instid0(SALU_CYCLE_1)
	s_mov_b32 s5, exec_lo
	v_cmpx_gt_i32_e64 s34, v0
	s_cbranch_execnz .LBB53_15
.LBB53_139:
	s_or_b32 exec_lo, exec_lo, s5
	s_delay_alu instid0(SALU_CYCLE_1)
	s_mov_b32 s5, exec_lo
	v_cmpx_gt_i32_e64 s34, v0
	s_cbranch_execz .LBB53_155
.LBB53_140:
	s_and_not1_b32 vcc_lo, exec_lo, s30
	s_cbranch_vccnz .LBB53_145
; %bb.141:
	s_and_not1_b32 vcc_lo, exec_lo, s36
	s_cbranch_vccnz .LBB53_146
; %bb.142:
	s_add_co_i32 s14, s35, 1
	s_cmp_eq_u32 s29, 2
	s_cbranch_scc1 .LBB53_163
; %bb.143:
	v_dual_mov_b32 v2, 0 :: v_dual_mov_b32 v3, 0
	v_mov_b32_e32 v1, v0
	s_and_b32 s22, s14, 28
	s_mov_b32 s23, 0
	s_mov_b64 s[24:25], s[12:13]
	s_mov_b64 s[26:27], s[20:21]
.LBB53_144:                             ; =>This Inner Loop Header: Depth=1
	s_clause 0x1
	s_load_b256 s[40:47], s[24:25], 0x4
	s_load_b128 s[56:59], s[24:25], 0x24
	s_load_b256 s[48:55], s[26:27], 0x0
	s_add_co_i32 s23, s23, 4
	s_wait_xcnt 0x0
	s_add_nc_u64 s[24:25], s[24:25], 48
	s_cmp_eq_u32 s22, s23
	s_add_nc_u64 s[26:27], s[26:27], 32
	s_wait_kmcnt 0x0
	v_mul_hi_u32 v4, s41, v1
	s_delay_alu instid0(VALU_DEP_1) | instskip(NEXT) | instid1(VALU_DEP_1)
	v_add_nc_u32_e32 v4, v1, v4
	v_lshrrev_b32_e32 v4, s42, v4
	s_delay_alu instid0(VALU_DEP_1) | instskip(NEXT) | instid1(VALU_DEP_1)
	v_mul_hi_u32 v5, s44, v4
	v_add_nc_u32_e32 v5, v4, v5
	s_delay_alu instid0(VALU_DEP_1) | instskip(NEXT) | instid1(VALU_DEP_1)
	v_lshrrev_b32_e32 v5, s45, v5
	v_mul_hi_u32 v6, s47, v5
	s_delay_alu instid0(VALU_DEP_1) | instskip(SKIP_1) | instid1(VALU_DEP_1)
	v_add_nc_u32_e32 v6, v5, v6
	v_mul_lo_u32 v7, v4, s40
	v_sub_nc_u32_e32 v1, v1, v7
	v_mul_lo_u32 v7, v5, s43
	s_delay_alu instid0(VALU_DEP_4) | instskip(NEXT) | instid1(VALU_DEP_3)
	v_lshrrev_b32_e32 v6, s56, v6
	v_mad_u32 v3, v1, s49, v3
	v_mad_u32 v1, v1, s48, v2
	s_delay_alu instid0(VALU_DEP_4) | instskip(NEXT) | instid1(VALU_DEP_4)
	v_sub_nc_u32_e32 v2, v4, v7
	v_mul_hi_u32 v8, s58, v6
	v_mul_lo_u32 v4, v6, s46
	s_delay_alu instid0(VALU_DEP_3) | instskip(SKIP_1) | instid1(VALU_DEP_4)
	v_mad_u32 v3, v2, s51, v3
	v_mad_u32 v2, v2, s50, v1
	v_add_nc_u32_e32 v7, v6, v8
	s_delay_alu instid0(VALU_DEP_1) | instskip(NEXT) | instid1(VALU_DEP_1)
	v_dual_sub_nc_u32 v4, v5, v4 :: v_dual_lshrrev_b32 v1, s59, v7
	v_mad_u32 v3, v4, s53, v3
	s_delay_alu instid0(VALU_DEP_4) | instskip(NEXT) | instid1(VALU_DEP_3)
	v_mad_u32 v2, v4, s52, v2
	v_mul_lo_u32 v5, v1, s57
	s_delay_alu instid0(VALU_DEP_1) | instskip(NEXT) | instid1(VALU_DEP_1)
	v_sub_nc_u32_e32 v4, v6, v5
	v_mad_u32 v3, v4, s55, v3
	s_delay_alu instid0(VALU_DEP_4)
	v_mad_u32 v2, v4, s54, v2
	s_cbranch_scc0 .LBB53_144
	s_branch .LBB53_164
.LBB53_145:
                                        ; implicit-def: $vgpr3
	s_branch .LBB53_168
.LBB53_146:
	v_dual_mov_b32 v3, 0 :: v_dual_mov_b32 v2, 0
	s_branch .LBB53_167
.LBB53_147:
	v_mov_b64_e32 v[2:3], 0
	v_mov_b32_e32 v1, v0
	s_mov_b32 s22, 0
.LBB53_148:
	s_and_b32 s14, s14, 3
	s_mov_b32 s23, 0
	s_cmp_eq_u32 s14, 0
	s_cbranch_scc1 .LBB53_151
; %bb.149:
	s_lshl_b32 s24, s22, 3
	s_mov_b32 s25, s23
	s_mul_u64 s[26:27], s[22:23], 12
	s_add_nc_u64 s[24:25], s[12:13], s[24:25]
	s_delay_alu instid0(SALU_CYCLE_1)
	s_add_nc_u64 s[22:23], s[24:25], 0xc4
	s_add_nc_u64 s[24:25], s[12:13], s[26:27]
.LBB53_150:                             ; =>This Inner Loop Header: Depth=1
	s_load_b96 s[40:42], s[24:25], 0x4
	s_load_b64 s[26:27], s[22:23], 0x0
	s_add_co_i32 s14, s14, -1
	s_wait_xcnt 0x0
	s_add_nc_u64 s[24:25], s[24:25], 12
	s_cmp_lg_u32 s14, 0
	s_add_nc_u64 s[22:23], s[22:23], 8
	s_wait_kmcnt 0x0
	v_mul_hi_u32 v4, s41, v1
	s_delay_alu instid0(VALU_DEP_1) | instskip(NEXT) | instid1(VALU_DEP_1)
	v_add_nc_u32_e32 v4, v1, v4
	v_lshrrev_b32_e32 v4, s42, v4
	s_delay_alu instid0(VALU_DEP_1) | instskip(NEXT) | instid1(VALU_DEP_1)
	v_mul_lo_u32 v5, v4, s40
	v_sub_nc_u32_e32 v1, v1, v5
	s_delay_alu instid0(VALU_DEP_1)
	v_mad_u32 v3, v1, s27, v3
	v_mad_u32 v2, v1, s26, v2
	v_mov_b32_e32 v1, v4
	s_cbranch_scc1 .LBB53_150
.LBB53_151:
	s_cbranch_execnz .LBB53_154
.LBB53_152:
	v_mov_b32_e32 v1, 0
	s_and_not1_b32 vcc_lo, exec_lo, s33
	s_delay_alu instid0(VALU_DEP_1) | instskip(NEXT) | instid1(VALU_DEP_1)
	v_mul_u64_e32 v[2:3], s[16:17], v[0:1]
	v_add_nc_u32_e32 v2, v0, v3
	s_delay_alu instid0(VALU_DEP_1) | instskip(NEXT) | instid1(VALU_DEP_1)
	v_lshrrev_b32_e32 v4, s6, v2
	v_mul_lo_u32 v2, v4, s4
	s_delay_alu instid0(VALU_DEP_1) | instskip(NEXT) | instid1(VALU_DEP_1)
	v_sub_nc_u32_e32 v2, v0, v2
	v_mul_lo_u32 v3, v2, s9
	v_mul_lo_u32 v2, v2, s8
	s_cbranch_vccnz .LBB53_154
; %bb.153:
	v_mov_b32_e32 v5, v1
	s_delay_alu instid0(VALU_DEP_1) | instskip(NEXT) | instid1(VALU_DEP_1)
	v_mul_u64_e32 v[6:7], s[18:19], v[4:5]
	v_add_nc_u32_e32 v1, v4, v7
	s_delay_alu instid0(VALU_DEP_1) | instskip(NEXT) | instid1(VALU_DEP_1)
	v_lshrrev_b32_e32 v1, s15, v1
	v_mul_lo_u32 v1, v1, s7
	s_delay_alu instid0(VALU_DEP_1) | instskip(NEXT) | instid1(VALU_DEP_1)
	v_sub_nc_u32_e32 v1, v4, v1
	v_mad_u32 v2, v1, s10, v2
	v_mad_u32 v3, v1, s11, v3
.LBB53_154:
	global_load_u16 v1, v3, s[2:3]
	v_add_nc_u32_e32 v0, 0x80, v0
	s_wait_loadcnt 0x0
	v_cmp_eq_f16_e32 vcc_lo, 0x7c00, v1
	v_cndmask_b32_e64 v1, 0, 1, vcc_lo
	global_store_b8 v2, v1, s[0:1]
	s_wait_xcnt 0x0
	s_or_b32 exec_lo, exec_lo, s5
	s_delay_alu instid0(SALU_CYCLE_1)
	s_mov_b32 s5, exec_lo
	v_cmpx_gt_i32_e64 s34, v0
	s_cbranch_execnz .LBB53_140
.LBB53_155:
	s_or_b32 exec_lo, exec_lo, s5
	s_delay_alu instid0(SALU_CYCLE_1)
	s_mov_b32 s5, exec_lo
	v_cmpx_gt_i32_e64 s34, v0
	s_cbranch_execz .LBB53_171
.LBB53_156:
	s_and_not1_b32 vcc_lo, exec_lo, s30
	s_cbranch_vccnz .LBB53_161
; %bb.157:
	s_and_not1_b32 vcc_lo, exec_lo, s36
	s_cbranch_vccnz .LBB53_162
; %bb.158:
	s_add_co_i32 s14, s35, 1
	s_cmp_eq_u32 s29, 2
	s_cbranch_scc1 .LBB53_179
; %bb.159:
	v_dual_mov_b32 v2, 0 :: v_dual_mov_b32 v3, 0
	v_mov_b32_e32 v1, v0
	s_and_b32 s22, s14, 28
	s_mov_b32 s23, 0
	s_mov_b64 s[24:25], s[12:13]
	s_mov_b64 s[26:27], s[20:21]
.LBB53_160:                             ; =>This Inner Loop Header: Depth=1
	s_clause 0x1
	s_load_b256 s[40:47], s[24:25], 0x4
	s_load_b128 s[56:59], s[24:25], 0x24
	s_load_b256 s[48:55], s[26:27], 0x0
	s_add_co_i32 s23, s23, 4
	s_wait_xcnt 0x0
	s_add_nc_u64 s[24:25], s[24:25], 48
	s_cmp_eq_u32 s22, s23
	s_add_nc_u64 s[26:27], s[26:27], 32
	s_wait_kmcnt 0x0
	v_mul_hi_u32 v4, s41, v1
	s_delay_alu instid0(VALU_DEP_1) | instskip(NEXT) | instid1(VALU_DEP_1)
	v_add_nc_u32_e32 v4, v1, v4
	v_lshrrev_b32_e32 v4, s42, v4
	s_delay_alu instid0(VALU_DEP_1) | instskip(NEXT) | instid1(VALU_DEP_1)
	v_mul_hi_u32 v5, s44, v4
	v_add_nc_u32_e32 v5, v4, v5
	s_delay_alu instid0(VALU_DEP_1) | instskip(NEXT) | instid1(VALU_DEP_1)
	v_lshrrev_b32_e32 v5, s45, v5
	v_mul_hi_u32 v6, s47, v5
	s_delay_alu instid0(VALU_DEP_1) | instskip(SKIP_1) | instid1(VALU_DEP_1)
	v_add_nc_u32_e32 v6, v5, v6
	v_mul_lo_u32 v7, v4, s40
	v_sub_nc_u32_e32 v1, v1, v7
	v_mul_lo_u32 v7, v5, s43
	s_delay_alu instid0(VALU_DEP_4) | instskip(NEXT) | instid1(VALU_DEP_3)
	v_lshrrev_b32_e32 v6, s56, v6
	v_mad_u32 v3, v1, s49, v3
	v_mad_u32 v1, v1, s48, v2
	s_delay_alu instid0(VALU_DEP_4) | instskip(NEXT) | instid1(VALU_DEP_4)
	v_sub_nc_u32_e32 v2, v4, v7
	v_mul_hi_u32 v8, s58, v6
	v_mul_lo_u32 v4, v6, s46
	s_delay_alu instid0(VALU_DEP_3) | instskip(SKIP_1) | instid1(VALU_DEP_4)
	v_mad_u32 v3, v2, s51, v3
	v_mad_u32 v2, v2, s50, v1
	v_add_nc_u32_e32 v7, v6, v8
	s_delay_alu instid0(VALU_DEP_1) | instskip(NEXT) | instid1(VALU_DEP_1)
	v_dual_sub_nc_u32 v4, v5, v4 :: v_dual_lshrrev_b32 v1, s59, v7
	v_mad_u32 v3, v4, s53, v3
	s_delay_alu instid0(VALU_DEP_4) | instskip(NEXT) | instid1(VALU_DEP_3)
	v_mad_u32 v2, v4, s52, v2
	v_mul_lo_u32 v5, v1, s57
	s_delay_alu instid0(VALU_DEP_1) | instskip(NEXT) | instid1(VALU_DEP_1)
	v_sub_nc_u32_e32 v4, v6, v5
	v_mad_u32 v3, v4, s55, v3
	s_delay_alu instid0(VALU_DEP_4)
	v_mad_u32 v2, v4, s54, v2
	s_cbranch_scc0 .LBB53_160
	s_branch .LBB53_180
.LBB53_161:
                                        ; implicit-def: $vgpr3
	s_branch .LBB53_184
.LBB53_162:
	v_dual_mov_b32 v3, 0 :: v_dual_mov_b32 v2, 0
	s_branch .LBB53_183
.LBB53_163:
	v_mov_b64_e32 v[2:3], 0
	v_mov_b32_e32 v1, v0
	s_mov_b32 s22, 0
.LBB53_164:
	s_and_b32 s14, s14, 3
	s_mov_b32 s23, 0
	s_cmp_eq_u32 s14, 0
	s_cbranch_scc1 .LBB53_167
; %bb.165:
	s_lshl_b32 s24, s22, 3
	s_mov_b32 s25, s23
	s_mul_u64 s[26:27], s[22:23], 12
	s_add_nc_u64 s[24:25], s[12:13], s[24:25]
	s_delay_alu instid0(SALU_CYCLE_1)
	s_add_nc_u64 s[22:23], s[24:25], 0xc4
	s_add_nc_u64 s[24:25], s[12:13], s[26:27]
.LBB53_166:                             ; =>This Inner Loop Header: Depth=1
	s_load_b96 s[40:42], s[24:25], 0x4
	s_load_b64 s[26:27], s[22:23], 0x0
	s_add_co_i32 s14, s14, -1
	s_wait_xcnt 0x0
	s_add_nc_u64 s[24:25], s[24:25], 12
	s_cmp_lg_u32 s14, 0
	s_add_nc_u64 s[22:23], s[22:23], 8
	s_wait_kmcnt 0x0
	v_mul_hi_u32 v4, s41, v1
	s_delay_alu instid0(VALU_DEP_1) | instskip(NEXT) | instid1(VALU_DEP_1)
	v_add_nc_u32_e32 v4, v1, v4
	v_lshrrev_b32_e32 v4, s42, v4
	s_delay_alu instid0(VALU_DEP_1) | instskip(NEXT) | instid1(VALU_DEP_1)
	v_mul_lo_u32 v5, v4, s40
	v_sub_nc_u32_e32 v1, v1, v5
	s_delay_alu instid0(VALU_DEP_1)
	v_mad_u32 v3, v1, s27, v3
	v_mad_u32 v2, v1, s26, v2
	v_mov_b32_e32 v1, v4
	s_cbranch_scc1 .LBB53_166
.LBB53_167:
	s_cbranch_execnz .LBB53_170
.LBB53_168:
	v_mov_b32_e32 v1, 0
	s_and_not1_b32 vcc_lo, exec_lo, s33
	s_delay_alu instid0(VALU_DEP_1) | instskip(NEXT) | instid1(VALU_DEP_1)
	v_mul_u64_e32 v[2:3], s[16:17], v[0:1]
	v_add_nc_u32_e32 v2, v0, v3
	s_delay_alu instid0(VALU_DEP_1) | instskip(NEXT) | instid1(VALU_DEP_1)
	v_lshrrev_b32_e32 v4, s6, v2
	v_mul_lo_u32 v2, v4, s4
	s_delay_alu instid0(VALU_DEP_1) | instskip(NEXT) | instid1(VALU_DEP_1)
	v_sub_nc_u32_e32 v2, v0, v2
	v_mul_lo_u32 v3, v2, s9
	v_mul_lo_u32 v2, v2, s8
	s_cbranch_vccnz .LBB53_170
; %bb.169:
	v_mov_b32_e32 v5, v1
	s_delay_alu instid0(VALU_DEP_1) | instskip(NEXT) | instid1(VALU_DEP_1)
	v_mul_u64_e32 v[6:7], s[18:19], v[4:5]
	v_add_nc_u32_e32 v1, v4, v7
	s_delay_alu instid0(VALU_DEP_1) | instskip(NEXT) | instid1(VALU_DEP_1)
	v_lshrrev_b32_e32 v1, s15, v1
	v_mul_lo_u32 v1, v1, s7
	s_delay_alu instid0(VALU_DEP_1) | instskip(NEXT) | instid1(VALU_DEP_1)
	v_sub_nc_u32_e32 v1, v4, v1
	v_mad_u32 v2, v1, s10, v2
	v_mad_u32 v3, v1, s11, v3
.LBB53_170:
	global_load_u16 v1, v3, s[2:3]
	v_add_nc_u32_e32 v0, 0x80, v0
	s_wait_loadcnt 0x0
	v_cmp_eq_f16_e32 vcc_lo, 0x7c00, v1
	v_cndmask_b32_e64 v1, 0, 1, vcc_lo
	global_store_b8 v2, v1, s[0:1]
	s_wait_xcnt 0x0
	s_or_b32 exec_lo, exec_lo, s5
	s_delay_alu instid0(SALU_CYCLE_1)
	s_mov_b32 s5, exec_lo
	v_cmpx_gt_i32_e64 s34, v0
	s_cbranch_execnz .LBB53_156
.LBB53_171:
	s_or_b32 exec_lo, exec_lo, s5
	s_delay_alu instid0(SALU_CYCLE_1)
	s_mov_b32 s5, exec_lo
	v_cmpx_gt_i32_e64 s34, v0
	s_cbranch_execz .LBB53_187
.LBB53_172:
	s_and_not1_b32 vcc_lo, exec_lo, s30
	s_cbranch_vccnz .LBB53_177
; %bb.173:
	s_and_not1_b32 vcc_lo, exec_lo, s36
	s_cbranch_vccnz .LBB53_178
; %bb.174:
	s_add_co_i32 s14, s35, 1
	s_cmp_eq_u32 s29, 2
	s_cbranch_scc1 .LBB53_195
; %bb.175:
	v_dual_mov_b32 v2, 0 :: v_dual_mov_b32 v3, 0
	v_mov_b32_e32 v1, v0
	s_and_b32 s22, s14, 28
	s_mov_b32 s23, 0
	s_mov_b64 s[24:25], s[12:13]
	s_mov_b64 s[26:27], s[20:21]
.LBB53_176:                             ; =>This Inner Loop Header: Depth=1
	s_clause 0x1
	s_load_b256 s[40:47], s[24:25], 0x4
	s_load_b128 s[56:59], s[24:25], 0x24
	s_load_b256 s[48:55], s[26:27], 0x0
	s_add_co_i32 s23, s23, 4
	s_wait_xcnt 0x0
	s_add_nc_u64 s[24:25], s[24:25], 48
	s_cmp_eq_u32 s22, s23
	s_add_nc_u64 s[26:27], s[26:27], 32
	s_wait_kmcnt 0x0
	v_mul_hi_u32 v4, s41, v1
	s_delay_alu instid0(VALU_DEP_1) | instskip(NEXT) | instid1(VALU_DEP_1)
	v_add_nc_u32_e32 v4, v1, v4
	v_lshrrev_b32_e32 v4, s42, v4
	s_delay_alu instid0(VALU_DEP_1) | instskip(NEXT) | instid1(VALU_DEP_1)
	v_mul_hi_u32 v5, s44, v4
	v_add_nc_u32_e32 v5, v4, v5
	s_delay_alu instid0(VALU_DEP_1) | instskip(NEXT) | instid1(VALU_DEP_1)
	v_lshrrev_b32_e32 v5, s45, v5
	v_mul_hi_u32 v6, s47, v5
	s_delay_alu instid0(VALU_DEP_1) | instskip(SKIP_1) | instid1(VALU_DEP_1)
	v_add_nc_u32_e32 v6, v5, v6
	v_mul_lo_u32 v7, v4, s40
	v_sub_nc_u32_e32 v1, v1, v7
	v_mul_lo_u32 v7, v5, s43
	s_delay_alu instid0(VALU_DEP_4) | instskip(NEXT) | instid1(VALU_DEP_3)
	v_lshrrev_b32_e32 v6, s56, v6
	v_mad_u32 v3, v1, s49, v3
	v_mad_u32 v1, v1, s48, v2
	s_delay_alu instid0(VALU_DEP_4) | instskip(NEXT) | instid1(VALU_DEP_4)
	v_sub_nc_u32_e32 v2, v4, v7
	v_mul_hi_u32 v8, s58, v6
	v_mul_lo_u32 v4, v6, s46
	s_delay_alu instid0(VALU_DEP_3) | instskip(SKIP_1) | instid1(VALU_DEP_4)
	v_mad_u32 v3, v2, s51, v3
	v_mad_u32 v2, v2, s50, v1
	v_add_nc_u32_e32 v7, v6, v8
	s_delay_alu instid0(VALU_DEP_1) | instskip(NEXT) | instid1(VALU_DEP_1)
	v_dual_sub_nc_u32 v4, v5, v4 :: v_dual_lshrrev_b32 v1, s59, v7
	v_mad_u32 v3, v4, s53, v3
	s_delay_alu instid0(VALU_DEP_4) | instskip(NEXT) | instid1(VALU_DEP_3)
	v_mad_u32 v2, v4, s52, v2
	v_mul_lo_u32 v5, v1, s57
	s_delay_alu instid0(VALU_DEP_1) | instskip(NEXT) | instid1(VALU_DEP_1)
	v_sub_nc_u32_e32 v4, v6, v5
	v_mad_u32 v3, v4, s55, v3
	s_delay_alu instid0(VALU_DEP_4)
	v_mad_u32 v2, v4, s54, v2
	s_cbranch_scc0 .LBB53_176
	s_branch .LBB53_196
.LBB53_177:
                                        ; implicit-def: $vgpr3
	s_branch .LBB53_200
.LBB53_178:
	v_dual_mov_b32 v3, 0 :: v_dual_mov_b32 v2, 0
	s_branch .LBB53_199
.LBB53_179:
	v_mov_b64_e32 v[2:3], 0
	v_mov_b32_e32 v1, v0
	s_mov_b32 s22, 0
.LBB53_180:
	s_and_b32 s14, s14, 3
	s_mov_b32 s23, 0
	s_cmp_eq_u32 s14, 0
	s_cbranch_scc1 .LBB53_183
; %bb.181:
	s_lshl_b32 s24, s22, 3
	s_mov_b32 s25, s23
	s_mul_u64 s[26:27], s[22:23], 12
	s_add_nc_u64 s[24:25], s[12:13], s[24:25]
	s_delay_alu instid0(SALU_CYCLE_1)
	s_add_nc_u64 s[22:23], s[24:25], 0xc4
	s_add_nc_u64 s[24:25], s[12:13], s[26:27]
.LBB53_182:                             ; =>This Inner Loop Header: Depth=1
	s_load_b96 s[40:42], s[24:25], 0x4
	s_load_b64 s[26:27], s[22:23], 0x0
	s_add_co_i32 s14, s14, -1
	s_wait_xcnt 0x0
	s_add_nc_u64 s[24:25], s[24:25], 12
	s_cmp_lg_u32 s14, 0
	s_add_nc_u64 s[22:23], s[22:23], 8
	s_wait_kmcnt 0x0
	v_mul_hi_u32 v4, s41, v1
	s_delay_alu instid0(VALU_DEP_1) | instskip(NEXT) | instid1(VALU_DEP_1)
	v_add_nc_u32_e32 v4, v1, v4
	v_lshrrev_b32_e32 v4, s42, v4
	s_delay_alu instid0(VALU_DEP_1) | instskip(NEXT) | instid1(VALU_DEP_1)
	v_mul_lo_u32 v5, v4, s40
	v_sub_nc_u32_e32 v1, v1, v5
	s_delay_alu instid0(VALU_DEP_1)
	v_mad_u32 v3, v1, s27, v3
	v_mad_u32 v2, v1, s26, v2
	v_mov_b32_e32 v1, v4
	s_cbranch_scc1 .LBB53_182
.LBB53_183:
	s_cbranch_execnz .LBB53_186
.LBB53_184:
	v_mov_b32_e32 v1, 0
	s_and_not1_b32 vcc_lo, exec_lo, s33
	s_delay_alu instid0(VALU_DEP_1) | instskip(NEXT) | instid1(VALU_DEP_1)
	v_mul_u64_e32 v[2:3], s[16:17], v[0:1]
	v_add_nc_u32_e32 v2, v0, v3
	s_delay_alu instid0(VALU_DEP_1) | instskip(NEXT) | instid1(VALU_DEP_1)
	v_lshrrev_b32_e32 v4, s6, v2
	v_mul_lo_u32 v2, v4, s4
	s_delay_alu instid0(VALU_DEP_1) | instskip(NEXT) | instid1(VALU_DEP_1)
	v_sub_nc_u32_e32 v2, v0, v2
	v_mul_lo_u32 v3, v2, s9
	v_mul_lo_u32 v2, v2, s8
	s_cbranch_vccnz .LBB53_186
; %bb.185:
	v_mov_b32_e32 v5, v1
	s_delay_alu instid0(VALU_DEP_1) | instskip(NEXT) | instid1(VALU_DEP_1)
	v_mul_u64_e32 v[6:7], s[18:19], v[4:5]
	v_add_nc_u32_e32 v1, v4, v7
	s_delay_alu instid0(VALU_DEP_1) | instskip(NEXT) | instid1(VALU_DEP_1)
	v_lshrrev_b32_e32 v1, s15, v1
	v_mul_lo_u32 v1, v1, s7
	s_delay_alu instid0(VALU_DEP_1) | instskip(NEXT) | instid1(VALU_DEP_1)
	v_sub_nc_u32_e32 v1, v4, v1
	v_mad_u32 v2, v1, s10, v2
	v_mad_u32 v3, v1, s11, v3
.LBB53_186:
	global_load_u16 v1, v3, s[2:3]
	v_add_nc_u32_e32 v0, 0x80, v0
	s_wait_loadcnt 0x0
	v_cmp_eq_f16_e32 vcc_lo, 0x7c00, v1
	v_cndmask_b32_e64 v1, 0, 1, vcc_lo
	global_store_b8 v2, v1, s[0:1]
	s_wait_xcnt 0x0
	s_or_b32 exec_lo, exec_lo, s5
	s_delay_alu instid0(SALU_CYCLE_1)
	s_mov_b32 s5, exec_lo
	v_cmpx_gt_i32_e64 s34, v0
	s_cbranch_execnz .LBB53_172
.LBB53_187:
	s_or_b32 exec_lo, exec_lo, s5
	s_delay_alu instid0(SALU_CYCLE_1)
	s_mov_b32 s5, exec_lo
	v_cmpx_gt_i32_e64 s34, v0
	s_cbranch_execz .LBB53_203
.LBB53_188:
	s_and_not1_b32 vcc_lo, exec_lo, s30
	s_cbranch_vccnz .LBB53_193
; %bb.189:
	s_and_not1_b32 vcc_lo, exec_lo, s36
	s_cbranch_vccnz .LBB53_194
; %bb.190:
	s_add_co_i32 s14, s35, 1
	s_cmp_eq_u32 s29, 2
	s_cbranch_scc1 .LBB53_211
; %bb.191:
	v_dual_mov_b32 v2, 0 :: v_dual_mov_b32 v3, 0
	v_mov_b32_e32 v1, v0
	s_and_b32 s22, s14, 28
	s_mov_b32 s23, 0
	s_mov_b64 s[24:25], s[12:13]
	s_mov_b64 s[26:27], s[20:21]
.LBB53_192:                             ; =>This Inner Loop Header: Depth=1
	s_clause 0x1
	s_load_b256 s[40:47], s[24:25], 0x4
	s_load_b128 s[56:59], s[24:25], 0x24
	s_load_b256 s[48:55], s[26:27], 0x0
	s_add_co_i32 s23, s23, 4
	s_wait_xcnt 0x0
	s_add_nc_u64 s[24:25], s[24:25], 48
	s_cmp_eq_u32 s22, s23
	s_add_nc_u64 s[26:27], s[26:27], 32
	s_wait_kmcnt 0x0
	v_mul_hi_u32 v4, s41, v1
	s_delay_alu instid0(VALU_DEP_1) | instskip(NEXT) | instid1(VALU_DEP_1)
	v_add_nc_u32_e32 v4, v1, v4
	v_lshrrev_b32_e32 v4, s42, v4
	s_delay_alu instid0(VALU_DEP_1) | instskip(NEXT) | instid1(VALU_DEP_1)
	v_mul_hi_u32 v5, s44, v4
	v_add_nc_u32_e32 v5, v4, v5
	s_delay_alu instid0(VALU_DEP_1) | instskip(NEXT) | instid1(VALU_DEP_1)
	v_lshrrev_b32_e32 v5, s45, v5
	v_mul_hi_u32 v6, s47, v5
	s_delay_alu instid0(VALU_DEP_1) | instskip(SKIP_1) | instid1(VALU_DEP_1)
	v_add_nc_u32_e32 v6, v5, v6
	v_mul_lo_u32 v7, v4, s40
	v_sub_nc_u32_e32 v1, v1, v7
	v_mul_lo_u32 v7, v5, s43
	s_delay_alu instid0(VALU_DEP_4) | instskip(NEXT) | instid1(VALU_DEP_3)
	v_lshrrev_b32_e32 v6, s56, v6
	v_mad_u32 v3, v1, s49, v3
	v_mad_u32 v1, v1, s48, v2
	s_delay_alu instid0(VALU_DEP_4) | instskip(NEXT) | instid1(VALU_DEP_4)
	v_sub_nc_u32_e32 v2, v4, v7
	v_mul_hi_u32 v8, s58, v6
	v_mul_lo_u32 v4, v6, s46
	s_delay_alu instid0(VALU_DEP_3) | instskip(SKIP_1) | instid1(VALU_DEP_4)
	v_mad_u32 v3, v2, s51, v3
	v_mad_u32 v2, v2, s50, v1
	v_add_nc_u32_e32 v7, v6, v8
	s_delay_alu instid0(VALU_DEP_1) | instskip(NEXT) | instid1(VALU_DEP_1)
	v_dual_sub_nc_u32 v4, v5, v4 :: v_dual_lshrrev_b32 v1, s59, v7
	v_mad_u32 v3, v4, s53, v3
	s_delay_alu instid0(VALU_DEP_4) | instskip(NEXT) | instid1(VALU_DEP_3)
	v_mad_u32 v2, v4, s52, v2
	v_mul_lo_u32 v5, v1, s57
	s_delay_alu instid0(VALU_DEP_1) | instskip(NEXT) | instid1(VALU_DEP_1)
	v_sub_nc_u32_e32 v4, v6, v5
	v_mad_u32 v3, v4, s55, v3
	s_delay_alu instid0(VALU_DEP_4)
	v_mad_u32 v2, v4, s54, v2
	s_cbranch_scc0 .LBB53_192
	s_branch .LBB53_212
.LBB53_193:
                                        ; implicit-def: $vgpr3
	s_branch .LBB53_216
.LBB53_194:
	v_dual_mov_b32 v3, 0 :: v_dual_mov_b32 v2, 0
	s_branch .LBB53_215
.LBB53_195:
	v_mov_b64_e32 v[2:3], 0
	v_mov_b32_e32 v1, v0
	s_mov_b32 s22, 0
.LBB53_196:
	s_and_b32 s14, s14, 3
	s_mov_b32 s23, 0
	s_cmp_eq_u32 s14, 0
	s_cbranch_scc1 .LBB53_199
; %bb.197:
	s_lshl_b32 s24, s22, 3
	s_mov_b32 s25, s23
	s_mul_u64 s[26:27], s[22:23], 12
	s_add_nc_u64 s[24:25], s[12:13], s[24:25]
	s_delay_alu instid0(SALU_CYCLE_1)
	s_add_nc_u64 s[22:23], s[24:25], 0xc4
	s_add_nc_u64 s[24:25], s[12:13], s[26:27]
.LBB53_198:                             ; =>This Inner Loop Header: Depth=1
	s_load_b96 s[40:42], s[24:25], 0x4
	s_load_b64 s[26:27], s[22:23], 0x0
	s_add_co_i32 s14, s14, -1
	s_wait_xcnt 0x0
	s_add_nc_u64 s[24:25], s[24:25], 12
	s_cmp_lg_u32 s14, 0
	s_add_nc_u64 s[22:23], s[22:23], 8
	s_wait_kmcnt 0x0
	v_mul_hi_u32 v4, s41, v1
	s_delay_alu instid0(VALU_DEP_1) | instskip(NEXT) | instid1(VALU_DEP_1)
	v_add_nc_u32_e32 v4, v1, v4
	v_lshrrev_b32_e32 v4, s42, v4
	s_delay_alu instid0(VALU_DEP_1) | instskip(NEXT) | instid1(VALU_DEP_1)
	v_mul_lo_u32 v5, v4, s40
	v_sub_nc_u32_e32 v1, v1, v5
	s_delay_alu instid0(VALU_DEP_1)
	v_mad_u32 v3, v1, s27, v3
	v_mad_u32 v2, v1, s26, v2
	v_mov_b32_e32 v1, v4
	s_cbranch_scc1 .LBB53_198
.LBB53_199:
	s_cbranch_execnz .LBB53_202
.LBB53_200:
	v_mov_b32_e32 v1, 0
	s_and_not1_b32 vcc_lo, exec_lo, s33
	s_delay_alu instid0(VALU_DEP_1) | instskip(NEXT) | instid1(VALU_DEP_1)
	v_mul_u64_e32 v[2:3], s[16:17], v[0:1]
	v_add_nc_u32_e32 v2, v0, v3
	s_delay_alu instid0(VALU_DEP_1) | instskip(NEXT) | instid1(VALU_DEP_1)
	v_lshrrev_b32_e32 v4, s6, v2
	v_mul_lo_u32 v2, v4, s4
	s_delay_alu instid0(VALU_DEP_1) | instskip(NEXT) | instid1(VALU_DEP_1)
	v_sub_nc_u32_e32 v2, v0, v2
	v_mul_lo_u32 v3, v2, s9
	v_mul_lo_u32 v2, v2, s8
	s_cbranch_vccnz .LBB53_202
; %bb.201:
	v_mov_b32_e32 v5, v1
	s_delay_alu instid0(VALU_DEP_1) | instskip(NEXT) | instid1(VALU_DEP_1)
	v_mul_u64_e32 v[6:7], s[18:19], v[4:5]
	v_add_nc_u32_e32 v1, v4, v7
	s_delay_alu instid0(VALU_DEP_1) | instskip(NEXT) | instid1(VALU_DEP_1)
	v_lshrrev_b32_e32 v1, s15, v1
	v_mul_lo_u32 v1, v1, s7
	s_delay_alu instid0(VALU_DEP_1) | instskip(NEXT) | instid1(VALU_DEP_1)
	v_sub_nc_u32_e32 v1, v4, v1
	v_mad_u32 v2, v1, s10, v2
	v_mad_u32 v3, v1, s11, v3
.LBB53_202:
	global_load_u16 v1, v3, s[2:3]
	v_add_nc_u32_e32 v0, 0x80, v0
	s_wait_loadcnt 0x0
	v_cmp_eq_f16_e32 vcc_lo, 0x7c00, v1
	v_cndmask_b32_e64 v1, 0, 1, vcc_lo
	global_store_b8 v2, v1, s[0:1]
	s_wait_xcnt 0x0
	s_or_b32 exec_lo, exec_lo, s5
	s_delay_alu instid0(SALU_CYCLE_1)
	s_mov_b32 s5, exec_lo
	v_cmpx_gt_i32_e64 s34, v0
	s_cbranch_execnz .LBB53_188
.LBB53_203:
	s_or_b32 exec_lo, exec_lo, s5
	s_delay_alu instid0(SALU_CYCLE_1)
	s_mov_b32 s5, exec_lo
	v_cmpx_gt_i32_e64 s34, v0
	s_cbranch_execz .LBB53_219
.LBB53_204:
	s_and_not1_b32 vcc_lo, exec_lo, s30
	s_cbranch_vccnz .LBB53_209
; %bb.205:
	s_and_not1_b32 vcc_lo, exec_lo, s36
	s_cbranch_vccnz .LBB53_210
; %bb.206:
	s_add_co_i32 s14, s35, 1
	s_cmp_eq_u32 s29, 2
	s_cbranch_scc1 .LBB53_222
; %bb.207:
	v_dual_mov_b32 v2, 0 :: v_dual_mov_b32 v3, 0
	v_mov_b32_e32 v1, v0
	s_and_b32 s22, s14, 28
	s_mov_b32 s23, 0
	s_mov_b64 s[24:25], s[12:13]
	s_mov_b64 s[26:27], s[20:21]
.LBB53_208:                             ; =>This Inner Loop Header: Depth=1
	s_clause 0x1
	s_load_b256 s[40:47], s[24:25], 0x4
	s_load_b128 s[56:59], s[24:25], 0x24
	s_load_b256 s[48:55], s[26:27], 0x0
	s_add_co_i32 s23, s23, 4
	s_wait_xcnt 0x0
	s_add_nc_u64 s[24:25], s[24:25], 48
	s_cmp_eq_u32 s22, s23
	s_add_nc_u64 s[26:27], s[26:27], 32
	s_wait_kmcnt 0x0
	v_mul_hi_u32 v4, s41, v1
	s_delay_alu instid0(VALU_DEP_1) | instskip(NEXT) | instid1(VALU_DEP_1)
	v_add_nc_u32_e32 v4, v1, v4
	v_lshrrev_b32_e32 v4, s42, v4
	s_delay_alu instid0(VALU_DEP_1) | instskip(NEXT) | instid1(VALU_DEP_1)
	v_mul_hi_u32 v5, s44, v4
	v_add_nc_u32_e32 v5, v4, v5
	s_delay_alu instid0(VALU_DEP_1) | instskip(NEXT) | instid1(VALU_DEP_1)
	v_lshrrev_b32_e32 v5, s45, v5
	v_mul_hi_u32 v6, s47, v5
	s_delay_alu instid0(VALU_DEP_1) | instskip(SKIP_1) | instid1(VALU_DEP_1)
	v_add_nc_u32_e32 v6, v5, v6
	v_mul_lo_u32 v7, v4, s40
	v_sub_nc_u32_e32 v1, v1, v7
	v_mul_lo_u32 v7, v5, s43
	s_delay_alu instid0(VALU_DEP_4) | instskip(NEXT) | instid1(VALU_DEP_3)
	v_lshrrev_b32_e32 v6, s56, v6
	v_mad_u32 v3, v1, s49, v3
	v_mad_u32 v1, v1, s48, v2
	s_delay_alu instid0(VALU_DEP_4) | instskip(NEXT) | instid1(VALU_DEP_4)
	v_sub_nc_u32_e32 v2, v4, v7
	v_mul_hi_u32 v8, s58, v6
	v_mul_lo_u32 v4, v6, s46
	s_delay_alu instid0(VALU_DEP_3) | instskip(SKIP_1) | instid1(VALU_DEP_4)
	v_mad_u32 v3, v2, s51, v3
	v_mad_u32 v2, v2, s50, v1
	v_add_nc_u32_e32 v7, v6, v8
	s_delay_alu instid0(VALU_DEP_1) | instskip(NEXT) | instid1(VALU_DEP_1)
	v_dual_sub_nc_u32 v4, v5, v4 :: v_dual_lshrrev_b32 v1, s59, v7
	v_mad_u32 v3, v4, s53, v3
	s_delay_alu instid0(VALU_DEP_4) | instskip(NEXT) | instid1(VALU_DEP_3)
	v_mad_u32 v2, v4, s52, v2
	v_mul_lo_u32 v5, v1, s57
	s_delay_alu instid0(VALU_DEP_1) | instskip(NEXT) | instid1(VALU_DEP_1)
	v_sub_nc_u32_e32 v4, v6, v5
	v_mad_u32 v3, v4, s55, v3
	s_delay_alu instid0(VALU_DEP_4)
	v_mad_u32 v2, v4, s54, v2
	s_cbranch_scc0 .LBB53_208
	s_branch .LBB53_223
.LBB53_209:
                                        ; implicit-def: $vgpr3
	s_branch .LBB53_227
.LBB53_210:
	v_dual_mov_b32 v3, 0 :: v_dual_mov_b32 v2, 0
	s_branch .LBB53_226
.LBB53_211:
	v_mov_b64_e32 v[2:3], 0
	v_mov_b32_e32 v1, v0
	s_mov_b32 s22, 0
.LBB53_212:
	s_and_b32 s14, s14, 3
	s_mov_b32 s23, 0
	s_cmp_eq_u32 s14, 0
	s_cbranch_scc1 .LBB53_215
; %bb.213:
	s_lshl_b32 s24, s22, 3
	s_mov_b32 s25, s23
	s_mul_u64 s[26:27], s[22:23], 12
	s_add_nc_u64 s[24:25], s[12:13], s[24:25]
	s_delay_alu instid0(SALU_CYCLE_1)
	s_add_nc_u64 s[22:23], s[24:25], 0xc4
	s_add_nc_u64 s[24:25], s[12:13], s[26:27]
.LBB53_214:                             ; =>This Inner Loop Header: Depth=1
	s_load_b96 s[40:42], s[24:25], 0x4
	s_load_b64 s[26:27], s[22:23], 0x0
	s_add_co_i32 s14, s14, -1
	s_wait_xcnt 0x0
	s_add_nc_u64 s[24:25], s[24:25], 12
	s_cmp_lg_u32 s14, 0
	s_add_nc_u64 s[22:23], s[22:23], 8
	s_wait_kmcnt 0x0
	v_mul_hi_u32 v4, s41, v1
	s_delay_alu instid0(VALU_DEP_1) | instskip(NEXT) | instid1(VALU_DEP_1)
	v_add_nc_u32_e32 v4, v1, v4
	v_lshrrev_b32_e32 v4, s42, v4
	s_delay_alu instid0(VALU_DEP_1) | instskip(NEXT) | instid1(VALU_DEP_1)
	v_mul_lo_u32 v5, v4, s40
	v_sub_nc_u32_e32 v1, v1, v5
	s_delay_alu instid0(VALU_DEP_1)
	v_mad_u32 v3, v1, s27, v3
	v_mad_u32 v2, v1, s26, v2
	v_mov_b32_e32 v1, v4
	s_cbranch_scc1 .LBB53_214
.LBB53_215:
	s_cbranch_execnz .LBB53_218
.LBB53_216:
	v_mov_b32_e32 v1, 0
	s_and_not1_b32 vcc_lo, exec_lo, s33
	s_delay_alu instid0(VALU_DEP_1) | instskip(NEXT) | instid1(VALU_DEP_1)
	v_mul_u64_e32 v[2:3], s[16:17], v[0:1]
	v_add_nc_u32_e32 v2, v0, v3
	s_delay_alu instid0(VALU_DEP_1) | instskip(NEXT) | instid1(VALU_DEP_1)
	v_lshrrev_b32_e32 v4, s6, v2
	v_mul_lo_u32 v2, v4, s4
	s_delay_alu instid0(VALU_DEP_1) | instskip(NEXT) | instid1(VALU_DEP_1)
	v_sub_nc_u32_e32 v2, v0, v2
	v_mul_lo_u32 v3, v2, s9
	v_mul_lo_u32 v2, v2, s8
	s_cbranch_vccnz .LBB53_218
; %bb.217:
	v_mov_b32_e32 v5, v1
	s_delay_alu instid0(VALU_DEP_1) | instskip(NEXT) | instid1(VALU_DEP_1)
	v_mul_u64_e32 v[6:7], s[18:19], v[4:5]
	v_add_nc_u32_e32 v1, v4, v7
	s_delay_alu instid0(VALU_DEP_1) | instskip(NEXT) | instid1(VALU_DEP_1)
	v_lshrrev_b32_e32 v1, s15, v1
	v_mul_lo_u32 v1, v1, s7
	s_delay_alu instid0(VALU_DEP_1) | instskip(NEXT) | instid1(VALU_DEP_1)
	v_sub_nc_u32_e32 v1, v4, v1
	v_mad_u32 v2, v1, s10, v2
	v_mad_u32 v3, v1, s11, v3
.LBB53_218:
	global_load_u16 v1, v3, s[2:3]
	v_add_nc_u32_e32 v0, 0x80, v0
	s_wait_loadcnt 0x0
	v_cmp_eq_f16_e32 vcc_lo, 0x7c00, v1
	v_cndmask_b32_e64 v1, 0, 1, vcc_lo
	global_store_b8 v2, v1, s[0:1]
	s_wait_xcnt 0x0
	s_or_b32 exec_lo, exec_lo, s5
	s_delay_alu instid0(SALU_CYCLE_1)
	s_mov_b32 s5, exec_lo
	v_cmpx_gt_i32_e64 s34, v0
	s_cbranch_execnz .LBB53_204
.LBB53_219:
	s_or_b32 exec_lo, exec_lo, s5
	s_delay_alu instid0(SALU_CYCLE_1)
	s_mov_b32 s5, exec_lo
	v_cmpx_gt_i32_e64 s34, v0
	s_cbranch_execnz .LBB53_230
.LBB53_220:
	s_or_b32 exec_lo, exec_lo, s5
                                        ; implicit-def: $vgpr16
                                        ; implicit-def: $vgpr0
	s_and_not1_saveexec_b32 s0, s31
	s_cbranch_execnz .LBB53_8
.LBB53_221:
	s_endpgm
.LBB53_222:
	v_mov_b64_e32 v[2:3], 0
	v_mov_b32_e32 v1, v0
	s_mov_b32 s22, 0
.LBB53_223:
	s_and_b32 s14, s14, 3
	s_mov_b32 s23, 0
	s_cmp_eq_u32 s14, 0
	s_cbranch_scc1 .LBB53_226
; %bb.224:
	s_lshl_b32 s24, s22, 3
	s_mov_b32 s25, s23
	s_mul_u64 s[26:27], s[22:23], 12
	s_add_nc_u64 s[24:25], s[12:13], s[24:25]
	s_delay_alu instid0(SALU_CYCLE_1)
	s_add_nc_u64 s[22:23], s[24:25], 0xc4
	s_add_nc_u64 s[24:25], s[12:13], s[26:27]
.LBB53_225:                             ; =>This Inner Loop Header: Depth=1
	s_load_b96 s[40:42], s[24:25], 0x4
	s_load_b64 s[26:27], s[22:23], 0x0
	s_add_co_i32 s14, s14, -1
	s_wait_xcnt 0x0
	s_add_nc_u64 s[24:25], s[24:25], 12
	s_cmp_lg_u32 s14, 0
	s_add_nc_u64 s[22:23], s[22:23], 8
	s_wait_kmcnt 0x0
	v_mul_hi_u32 v4, s41, v1
	s_delay_alu instid0(VALU_DEP_1) | instskip(NEXT) | instid1(VALU_DEP_1)
	v_add_nc_u32_e32 v4, v1, v4
	v_lshrrev_b32_e32 v4, s42, v4
	s_delay_alu instid0(VALU_DEP_1) | instskip(NEXT) | instid1(VALU_DEP_1)
	v_mul_lo_u32 v5, v4, s40
	v_sub_nc_u32_e32 v1, v1, v5
	s_delay_alu instid0(VALU_DEP_1)
	v_mad_u32 v3, v1, s27, v3
	v_mad_u32 v2, v1, s26, v2
	v_mov_b32_e32 v1, v4
	s_cbranch_scc1 .LBB53_225
.LBB53_226:
	s_cbranch_execnz .LBB53_229
.LBB53_227:
	v_mov_b32_e32 v1, 0
	s_and_not1_b32 vcc_lo, exec_lo, s33
	s_delay_alu instid0(VALU_DEP_1) | instskip(NEXT) | instid1(VALU_DEP_1)
	v_mul_u64_e32 v[2:3], s[16:17], v[0:1]
	v_add_nc_u32_e32 v2, v0, v3
	s_delay_alu instid0(VALU_DEP_1) | instskip(NEXT) | instid1(VALU_DEP_1)
	v_lshrrev_b32_e32 v4, s6, v2
	v_mul_lo_u32 v2, v4, s4
	s_delay_alu instid0(VALU_DEP_1) | instskip(NEXT) | instid1(VALU_DEP_1)
	v_sub_nc_u32_e32 v2, v0, v2
	v_mul_lo_u32 v3, v2, s9
	v_mul_lo_u32 v2, v2, s8
	s_cbranch_vccnz .LBB53_229
; %bb.228:
	v_mov_b32_e32 v5, v1
	s_delay_alu instid0(VALU_DEP_1) | instskip(NEXT) | instid1(VALU_DEP_1)
	v_mul_u64_e32 v[6:7], s[18:19], v[4:5]
	v_add_nc_u32_e32 v1, v4, v7
	s_delay_alu instid0(VALU_DEP_1) | instskip(NEXT) | instid1(VALU_DEP_1)
	v_lshrrev_b32_e32 v1, s15, v1
	v_mul_lo_u32 v1, v1, s7
	s_delay_alu instid0(VALU_DEP_1) | instskip(NEXT) | instid1(VALU_DEP_1)
	v_sub_nc_u32_e32 v1, v4, v1
	v_mad_u32 v2, v1, s10, v2
	v_mad_u32 v3, v1, s11, v3
.LBB53_229:
	global_load_u16 v1, v3, s[2:3]
	v_add_nc_u32_e32 v0, 0x80, v0
	s_wait_loadcnt 0x0
	v_cmp_eq_f16_e32 vcc_lo, 0x7c00, v1
	v_cndmask_b32_e64 v1, 0, 1, vcc_lo
	global_store_b8 v2, v1, s[0:1]
	s_wait_xcnt 0x0
	s_or_b32 exec_lo, exec_lo, s5
	s_delay_alu instid0(SALU_CYCLE_1)
	s_mov_b32 s5, exec_lo
	v_cmpx_gt_i32_e64 s34, v0
	s_cbranch_execz .LBB53_220
.LBB53_230:
	s_and_not1_b32 vcc_lo, exec_lo, s30
	s_cbranch_vccnz .LBB53_235
; %bb.231:
	s_and_not1_b32 vcc_lo, exec_lo, s36
	s_cbranch_vccnz .LBB53_236
; %bb.232:
	s_add_co_i32 s35, s35, 1
	s_cmp_eq_u32 s29, 2
	s_cbranch_scc1 .LBB53_237
; %bb.233:
	v_dual_mov_b32 v2, 0 :: v_dual_mov_b32 v3, 0
	v_mov_b32_e32 v1, v0
	s_and_b32 s22, s35, 28
	s_mov_b32 s14, 0
	s_mov_b64 s[24:25], s[12:13]
.LBB53_234:                             ; =>This Inner Loop Header: Depth=1
	s_clause 0x1
	s_load_b256 s[36:43], s[24:25], 0x4
	s_load_b128 s[52:55], s[24:25], 0x24
	s_load_b256 s[44:51], s[20:21], 0x0
	s_add_co_i32 s14, s14, 4
	s_wait_xcnt 0x0
	s_add_nc_u64 s[24:25], s[24:25], 48
	s_cmp_eq_u32 s22, s14
	s_add_nc_u64 s[20:21], s[20:21], 32
	s_wait_kmcnt 0x0
	v_mul_hi_u32 v4, s37, v1
	s_delay_alu instid0(VALU_DEP_1) | instskip(NEXT) | instid1(VALU_DEP_1)
	v_add_nc_u32_e32 v4, v1, v4
	v_lshrrev_b32_e32 v4, s38, v4
	s_delay_alu instid0(VALU_DEP_1) | instskip(NEXT) | instid1(VALU_DEP_1)
	v_mul_hi_u32 v5, s40, v4
	v_add_nc_u32_e32 v5, v4, v5
	s_delay_alu instid0(VALU_DEP_1) | instskip(NEXT) | instid1(VALU_DEP_1)
	v_lshrrev_b32_e32 v5, s41, v5
	v_mul_hi_u32 v6, s43, v5
	s_delay_alu instid0(VALU_DEP_1) | instskip(SKIP_1) | instid1(VALU_DEP_1)
	v_add_nc_u32_e32 v6, v5, v6
	v_mul_lo_u32 v7, v4, s36
	v_sub_nc_u32_e32 v1, v1, v7
	v_mul_lo_u32 v7, v5, s39
	s_delay_alu instid0(VALU_DEP_4) | instskip(NEXT) | instid1(VALU_DEP_3)
	v_lshrrev_b32_e32 v6, s52, v6
	v_mad_u32 v3, v1, s45, v3
	v_mad_u32 v1, v1, s44, v2
	s_delay_alu instid0(VALU_DEP_4) | instskip(NEXT) | instid1(VALU_DEP_4)
	v_sub_nc_u32_e32 v2, v4, v7
	v_mul_hi_u32 v8, s54, v6
	v_mul_lo_u32 v4, v6, s42
	s_delay_alu instid0(VALU_DEP_3) | instskip(SKIP_1) | instid1(VALU_DEP_4)
	v_mad_u32 v3, v2, s47, v3
	v_mad_u32 v2, v2, s46, v1
	v_add_nc_u32_e32 v7, v6, v8
	s_delay_alu instid0(VALU_DEP_1) | instskip(NEXT) | instid1(VALU_DEP_1)
	v_dual_sub_nc_u32 v4, v5, v4 :: v_dual_lshrrev_b32 v1, s55, v7
	v_mad_u32 v3, v4, s49, v3
	s_delay_alu instid0(VALU_DEP_4) | instskip(NEXT) | instid1(VALU_DEP_3)
	v_mad_u32 v2, v4, s48, v2
	v_mul_lo_u32 v5, v1, s53
	s_delay_alu instid0(VALU_DEP_1) | instskip(NEXT) | instid1(VALU_DEP_1)
	v_sub_nc_u32_e32 v4, v6, v5
	v_mad_u32 v3, v4, s51, v3
	s_delay_alu instid0(VALU_DEP_4)
	v_mad_u32 v2, v4, s50, v2
	s_cbranch_scc0 .LBB53_234
	s_branch .LBB53_238
.LBB53_235:
                                        ; implicit-def: $vgpr3
	s_branch .LBB53_242
.LBB53_236:
	v_dual_mov_b32 v3, 0 :: v_dual_mov_b32 v2, 0
	s_branch .LBB53_241
.LBB53_237:
	v_mov_b64_e32 v[2:3], 0
	v_mov_b32_e32 v1, v0
	s_mov_b32 s22, 0
.LBB53_238:
	s_and_b32 s14, s35, 3
	s_mov_b32 s23, 0
	s_cmp_eq_u32 s14, 0
	s_cbranch_scc1 .LBB53_241
; %bb.239:
	s_lshl_b32 s20, s22, 3
	s_mov_b32 s21, s23
	s_mul_u64 s[22:23], s[22:23], 12
	s_add_nc_u64 s[20:21], s[12:13], s[20:21]
	s_add_nc_u64 s[22:23], s[12:13], s[22:23]
	;; [unrolled: 1-line block ×3, first 2 shown]
.LBB53_240:                             ; =>This Inner Loop Header: Depth=1
	s_load_b96 s[24:26], s[22:23], 0x4
	s_add_co_i32 s14, s14, -1
	s_wait_xcnt 0x0
	s_add_nc_u64 s[22:23], s[22:23], 12
	s_cmp_lg_u32 s14, 0
	s_wait_kmcnt 0x0
	v_mul_hi_u32 v4, s25, v1
	s_delay_alu instid0(VALU_DEP_1) | instskip(NEXT) | instid1(VALU_DEP_1)
	v_add_nc_u32_e32 v4, v1, v4
	v_lshrrev_b32_e32 v4, s26, v4
	s_load_b64 s[26:27], s[20:21], 0x0
	s_wait_xcnt 0x0
	s_add_nc_u64 s[20:21], s[20:21], 8
	s_delay_alu instid0(VALU_DEP_1) | instskip(NEXT) | instid1(VALU_DEP_1)
	v_mul_lo_u32 v5, v4, s24
	v_sub_nc_u32_e32 v1, v1, v5
	s_wait_kmcnt 0x0
	s_delay_alu instid0(VALU_DEP_1)
	v_mad_u32 v3, v1, s27, v3
	v_mad_u32 v2, v1, s26, v2
	v_mov_b32_e32 v1, v4
	s_cbranch_scc1 .LBB53_240
.LBB53_241:
	s_cbranch_execnz .LBB53_244
.LBB53_242:
	v_mov_b32_e32 v1, 0
	s_and_not1_b32 vcc_lo, exec_lo, s33
	s_delay_alu instid0(VALU_DEP_1) | instskip(NEXT) | instid1(VALU_DEP_1)
	v_mul_u64_e32 v[2:3], s[16:17], v[0:1]
	v_add_nc_u32_e32 v2, v0, v3
	s_delay_alu instid0(VALU_DEP_1) | instskip(NEXT) | instid1(VALU_DEP_1)
	v_lshrrev_b32_e32 v4, s6, v2
	v_mul_lo_u32 v2, v4, s4
	s_delay_alu instid0(VALU_DEP_1) | instskip(NEXT) | instid1(VALU_DEP_1)
	v_sub_nc_u32_e32 v0, v0, v2
	v_mul_lo_u32 v3, v0, s9
	v_mul_lo_u32 v2, v0, s8
	s_cbranch_vccnz .LBB53_244
; %bb.243:
	v_mov_b32_e32 v5, v1
	s_delay_alu instid0(VALU_DEP_1) | instskip(NEXT) | instid1(VALU_DEP_1)
	v_mul_u64_e32 v[0:1], s[18:19], v[4:5]
	v_add_nc_u32_e32 v0, v4, v1
	s_delay_alu instid0(VALU_DEP_1) | instskip(NEXT) | instid1(VALU_DEP_1)
	v_lshrrev_b32_e32 v0, s15, v0
	v_mul_lo_u32 v0, v0, s7
	s_delay_alu instid0(VALU_DEP_1) | instskip(NEXT) | instid1(VALU_DEP_1)
	v_sub_nc_u32_e32 v0, v4, v0
	v_mad_u32 v2, v0, s10, v2
	v_mad_u32 v3, v0, s11, v3
.LBB53_244:
	global_load_u16 v0, v3, s[2:3]
	s_wait_loadcnt 0x0
	v_cmp_eq_f16_e32 vcc_lo, 0x7c00, v0
	v_cndmask_b32_e64 v0, 0, 1, vcc_lo
	global_store_b8 v2, v0, s[0:1]
	s_wait_xcnt 0x0
	s_or_b32 exec_lo, exec_lo, s5
                                        ; implicit-def: $vgpr16
                                        ; implicit-def: $vgpr0
	s_and_not1_saveexec_b32 s0, s31
	s_cbranch_execz .LBB53_221
	s_branch .LBB53_8
	.section	.rodata,"a",@progbits
	.p2align	6, 0x0
	.amdhsa_kernel _ZN2at6native32elementwise_kernel_manual_unrollILi128ELi8EZNS0_22gpu_kernel_impl_nocastIZZZNS0_12_GLOBAL__N_120isposinf_kernel_implERNS_18TensorIteratorBaseEENKUlvE_clEvENKUlvE1_clEvEUlN3c104HalfEE_EEvS5_RKT_EUlibE_EEviT1_
		.amdhsa_group_segment_fixed_size 0
		.amdhsa_private_segment_fixed_size 0
		.amdhsa_kernarg_size 360
		.amdhsa_user_sgpr_count 2
		.amdhsa_user_sgpr_dispatch_ptr 0
		.amdhsa_user_sgpr_queue_ptr 0
		.amdhsa_user_sgpr_kernarg_segment_ptr 1
		.amdhsa_user_sgpr_dispatch_id 0
		.amdhsa_user_sgpr_kernarg_preload_length 0
		.amdhsa_user_sgpr_kernarg_preload_offset 0
		.amdhsa_user_sgpr_private_segment_size 0
		.amdhsa_wavefront_size32 1
		.amdhsa_uses_dynamic_stack 0
		.amdhsa_enable_private_segment 0
		.amdhsa_system_sgpr_workgroup_id_x 1
		.amdhsa_system_sgpr_workgroup_id_y 0
		.amdhsa_system_sgpr_workgroup_id_z 0
		.amdhsa_system_sgpr_workgroup_info 0
		.amdhsa_system_vgpr_workitem_id 0
		.amdhsa_next_free_vgpr 24
		.amdhsa_next_free_sgpr 60
		.amdhsa_named_barrier_count 0
		.amdhsa_reserve_vcc 1
		.amdhsa_float_round_mode_32 0
		.amdhsa_float_round_mode_16_64 0
		.amdhsa_float_denorm_mode_32 3
		.amdhsa_float_denorm_mode_16_64 3
		.amdhsa_fp16_overflow 0
		.amdhsa_memory_ordered 1
		.amdhsa_forward_progress 1
		.amdhsa_inst_pref_size 99
		.amdhsa_round_robin_scheduling 0
		.amdhsa_exception_fp_ieee_invalid_op 0
		.amdhsa_exception_fp_denorm_src 0
		.amdhsa_exception_fp_ieee_div_zero 0
		.amdhsa_exception_fp_ieee_overflow 0
		.amdhsa_exception_fp_ieee_underflow 0
		.amdhsa_exception_fp_ieee_inexact 0
		.amdhsa_exception_int_div_zero 0
	.end_amdhsa_kernel
	.section	.text._ZN2at6native32elementwise_kernel_manual_unrollILi128ELi8EZNS0_22gpu_kernel_impl_nocastIZZZNS0_12_GLOBAL__N_120isposinf_kernel_implERNS_18TensorIteratorBaseEENKUlvE_clEvENKUlvE1_clEvEUlN3c104HalfEE_EEvS5_RKT_EUlibE_EEviT1_,"axG",@progbits,_ZN2at6native32elementwise_kernel_manual_unrollILi128ELi8EZNS0_22gpu_kernel_impl_nocastIZZZNS0_12_GLOBAL__N_120isposinf_kernel_implERNS_18TensorIteratorBaseEENKUlvE_clEvENKUlvE1_clEvEUlN3c104HalfEE_EEvS5_RKT_EUlibE_EEviT1_,comdat
.Lfunc_end53:
	.size	_ZN2at6native32elementwise_kernel_manual_unrollILi128ELi8EZNS0_22gpu_kernel_impl_nocastIZZZNS0_12_GLOBAL__N_120isposinf_kernel_implERNS_18TensorIteratorBaseEENKUlvE_clEvENKUlvE1_clEvEUlN3c104HalfEE_EEvS5_RKT_EUlibE_EEviT1_, .Lfunc_end53-_ZN2at6native32elementwise_kernel_manual_unrollILi128ELi8EZNS0_22gpu_kernel_impl_nocastIZZZNS0_12_GLOBAL__N_120isposinf_kernel_implERNS_18TensorIteratorBaseEENKUlvE_clEvENKUlvE1_clEvEUlN3c104HalfEE_EEvS5_RKT_EUlibE_EEviT1_
                                        ; -- End function
	.set _ZN2at6native32elementwise_kernel_manual_unrollILi128ELi8EZNS0_22gpu_kernel_impl_nocastIZZZNS0_12_GLOBAL__N_120isposinf_kernel_implERNS_18TensorIteratorBaseEENKUlvE_clEvENKUlvE1_clEvEUlN3c104HalfEE_EEvS5_RKT_EUlibE_EEviT1_.num_vgpr, 24
	.set _ZN2at6native32elementwise_kernel_manual_unrollILi128ELi8EZNS0_22gpu_kernel_impl_nocastIZZZNS0_12_GLOBAL__N_120isposinf_kernel_implERNS_18TensorIteratorBaseEENKUlvE_clEvENKUlvE1_clEvEUlN3c104HalfEE_EEvS5_RKT_EUlibE_EEviT1_.num_agpr, 0
	.set _ZN2at6native32elementwise_kernel_manual_unrollILi128ELi8EZNS0_22gpu_kernel_impl_nocastIZZZNS0_12_GLOBAL__N_120isposinf_kernel_implERNS_18TensorIteratorBaseEENKUlvE_clEvENKUlvE1_clEvEUlN3c104HalfEE_EEvS5_RKT_EUlibE_EEviT1_.numbered_sgpr, 60
	.set _ZN2at6native32elementwise_kernel_manual_unrollILi128ELi8EZNS0_22gpu_kernel_impl_nocastIZZZNS0_12_GLOBAL__N_120isposinf_kernel_implERNS_18TensorIteratorBaseEENKUlvE_clEvENKUlvE1_clEvEUlN3c104HalfEE_EEvS5_RKT_EUlibE_EEviT1_.num_named_barrier, 0
	.set _ZN2at6native32elementwise_kernel_manual_unrollILi128ELi8EZNS0_22gpu_kernel_impl_nocastIZZZNS0_12_GLOBAL__N_120isposinf_kernel_implERNS_18TensorIteratorBaseEENKUlvE_clEvENKUlvE1_clEvEUlN3c104HalfEE_EEvS5_RKT_EUlibE_EEviT1_.private_seg_size, 0
	.set _ZN2at6native32elementwise_kernel_manual_unrollILi128ELi8EZNS0_22gpu_kernel_impl_nocastIZZZNS0_12_GLOBAL__N_120isposinf_kernel_implERNS_18TensorIteratorBaseEENKUlvE_clEvENKUlvE1_clEvEUlN3c104HalfEE_EEvS5_RKT_EUlibE_EEviT1_.uses_vcc, 1
	.set _ZN2at6native32elementwise_kernel_manual_unrollILi128ELi8EZNS0_22gpu_kernel_impl_nocastIZZZNS0_12_GLOBAL__N_120isposinf_kernel_implERNS_18TensorIteratorBaseEENKUlvE_clEvENKUlvE1_clEvEUlN3c104HalfEE_EEvS5_RKT_EUlibE_EEviT1_.uses_flat_scratch, 0
	.set _ZN2at6native32elementwise_kernel_manual_unrollILi128ELi8EZNS0_22gpu_kernel_impl_nocastIZZZNS0_12_GLOBAL__N_120isposinf_kernel_implERNS_18TensorIteratorBaseEENKUlvE_clEvENKUlvE1_clEvEUlN3c104HalfEE_EEvS5_RKT_EUlibE_EEviT1_.has_dyn_sized_stack, 0
	.set _ZN2at6native32elementwise_kernel_manual_unrollILi128ELi8EZNS0_22gpu_kernel_impl_nocastIZZZNS0_12_GLOBAL__N_120isposinf_kernel_implERNS_18TensorIteratorBaseEENKUlvE_clEvENKUlvE1_clEvEUlN3c104HalfEE_EEvS5_RKT_EUlibE_EEviT1_.has_recursion, 0
	.set _ZN2at6native32elementwise_kernel_manual_unrollILi128ELi8EZNS0_22gpu_kernel_impl_nocastIZZZNS0_12_GLOBAL__N_120isposinf_kernel_implERNS_18TensorIteratorBaseEENKUlvE_clEvENKUlvE1_clEvEUlN3c104HalfEE_EEvS5_RKT_EUlibE_EEviT1_.has_indirect_call, 0
	.section	.AMDGPU.csdata,"",@progbits
; Kernel info:
; codeLenInByte = 12548
; TotalNumSgprs: 62
; NumVgprs: 24
; ScratchSize: 0
; MemoryBound: 0
; FloatMode: 240
; IeeeMode: 1
; LDSByteSize: 0 bytes/workgroup (compile time only)
; SGPRBlocks: 0
; VGPRBlocks: 1
; NumSGPRsForWavesPerEU: 62
; NumVGPRsForWavesPerEU: 24
; NamedBarCnt: 0
; Occupancy: 16
; WaveLimiterHint : 1
; COMPUTE_PGM_RSRC2:SCRATCH_EN: 0
; COMPUTE_PGM_RSRC2:USER_SGPR: 2
; COMPUTE_PGM_RSRC2:TRAP_HANDLER: 0
; COMPUTE_PGM_RSRC2:TGID_X_EN: 1
; COMPUTE_PGM_RSRC2:TGID_Y_EN: 0
; COMPUTE_PGM_RSRC2:TGID_Z_EN: 0
; COMPUTE_PGM_RSRC2:TIDIG_COMP_CNT: 0
	.section	.text._ZN2at6native32elementwise_kernel_manual_unrollILi128ELi4EZNS0_15gpu_kernel_implIZZZNS0_12_GLOBAL__N_120isposinf_kernel_implERNS_18TensorIteratorBaseEENKUlvE_clEvENKUlvE1_clEvEUlN3c104HalfEE_EEvS5_RKT_EUlibE_EEviT1_,"axG",@progbits,_ZN2at6native32elementwise_kernel_manual_unrollILi128ELi4EZNS0_15gpu_kernel_implIZZZNS0_12_GLOBAL__N_120isposinf_kernel_implERNS_18TensorIteratorBaseEENKUlvE_clEvENKUlvE1_clEvEUlN3c104HalfEE_EEvS5_RKT_EUlibE_EEviT1_,comdat
	.globl	_ZN2at6native32elementwise_kernel_manual_unrollILi128ELi4EZNS0_15gpu_kernel_implIZZZNS0_12_GLOBAL__N_120isposinf_kernel_implERNS_18TensorIteratorBaseEENKUlvE_clEvENKUlvE1_clEvEUlN3c104HalfEE_EEvS5_RKT_EUlibE_EEviT1_ ; -- Begin function _ZN2at6native32elementwise_kernel_manual_unrollILi128ELi4EZNS0_15gpu_kernel_implIZZZNS0_12_GLOBAL__N_120isposinf_kernel_implERNS_18TensorIteratorBaseEENKUlvE_clEvENKUlvE1_clEvEUlN3c104HalfEE_EEvS5_RKT_EUlibE_EEviT1_
	.p2align	8
	.type	_ZN2at6native32elementwise_kernel_manual_unrollILi128ELi4EZNS0_15gpu_kernel_implIZZZNS0_12_GLOBAL__N_120isposinf_kernel_implERNS_18TensorIteratorBaseEENKUlvE_clEvENKUlvE1_clEvEUlN3c104HalfEE_EEvS5_RKT_EUlibE_EEviT1_,@function
_ZN2at6native32elementwise_kernel_manual_unrollILi128ELi4EZNS0_15gpu_kernel_implIZZZNS0_12_GLOBAL__N_120isposinf_kernel_implERNS_18TensorIteratorBaseEENKUlvE_clEvENKUlvE1_clEvEUlN3c104HalfEE_EEvS5_RKT_EUlibE_EEviT1_: ; @_ZN2at6native32elementwise_kernel_manual_unrollILi128ELi4EZNS0_15gpu_kernel_implIZZZNS0_12_GLOBAL__N_120isposinf_kernel_implERNS_18TensorIteratorBaseEENKUlvE_clEvENKUlvE1_clEvEUlN3c104HalfEE_EEvS5_RKT_EUlibE_EEviT1_
; %bb.0:
	v_mov_b32_e32 v1, 0
	s_bfe_u32 s10, ttmp6, 0x4000c
	s_clause 0x1
	s_load_b32 s13, s[0:1], 0x0
	s_load_b128 s[4:7], s[0:1], 0x8
	s_add_co_i32 s10, s10, 1
	s_and_b32 s9, ttmp6, 15
	global_load_u16 v1, v1, s[0:1] offset:33
	s_load_b64 s[2:3], s[0:1], 0x18
	s_wait_xcnt 0x0
	s_mul_i32 s1, ttmp9, s10
	s_getreg_b32 s11, hwreg(HW_REG_IB_STS2, 6, 4)
	s_add_co_i32 s9, s9, s1
	s_mov_b32 s12, 0
	s_wait_loadcnt 0x0
	v_readfirstlane_b32 s8, v1
	s_and_b32 s0, 0xffff, s8
	s_delay_alu instid0(SALU_CYCLE_1)
	s_lshr_b32 s10, s0, 8
	s_cmp_eq_u32 s11, 0
	s_cselect_b32 s0, ttmp9, s9
	s_mov_b32 s9, 0
	v_lshl_or_b32 v4, s0, 9, v0
	s_mov_b32 s0, exec_lo
	s_delay_alu instid0(VALU_DEP_1) | instskip(SKIP_1) | instid1(VALU_DEP_1)
	v_or_b32_e32 v0, 0x180, v4
	s_wait_kmcnt 0x0
	v_cmpx_le_i32_e64 s13, v0
	s_xor_b32 s11, exec_lo, s0
	s_cbranch_execz .LBB54_1031
; %bb.1:
	s_mov_b32 s1, -1
	s_mov_b32 s16, 0
	s_mov_b32 s14, 0
	s_mov_b32 s15, exec_lo
	v_cmpx_gt_i32_e64 s13, v4
	s_cbranch_execz .LBB54_252
; %bb.2:
	v_mul_lo_u32 v0, v4, s3
	s_and_b32 s0, 0xffff, s10
	s_delay_alu instid0(SALU_CYCLE_1) | instskip(NEXT) | instid1(VALU_DEP_1)
	s_cmp_lt_i32 s0, 11
	v_ashrrev_i32_e32 v1, 31, v0
	s_delay_alu instid0(VALU_DEP_1)
	v_add_nc_u64_e32 v[0:1], s[6:7], v[0:1]
	s_cbranch_scc1 .LBB54_9
; %bb.3:
	s_cmp_gt_i32 s0, 25
	s_cbranch_scc0 .LBB54_18
; %bb.4:
	s_cmp_gt_i32 s0, 28
	s_cbranch_scc0 .LBB54_21
	;; [unrolled: 3-line block ×4, first 2 shown]
; %bb.7:
	s_cmp_eq_u32 s0, 46
	s_cbranch_scc0 .LBB54_27
; %bb.8:
	global_load_b32 v2, v[0:1], off
	s_wait_loadcnt 0x0
	v_lshlrev_b32_e32 v2, 16, v2
	s_delay_alu instid0(VALU_DEP_1)
	v_cvt_f16_f32_e32 v2, v2
	s_branch .LBB54_29
.LBB54_9:
	s_mov_b32 s1, 0
                                        ; implicit-def: $vgpr2
	s_cbranch_execnz .LBB54_202
.LBB54_10:
	s_and_not1_b32 vcc_lo, exec_lo, s1
	s_cbranch_vccnz .LBB54_249
.LBB54_11:
	s_wait_xcnt 0x0
	v_mul_lo_u32 v0, v4, s2
	s_wait_loadcnt 0x0
	v_cmp_eq_f16_e64 s0, 0x7c00, v2
	s_and_b32 s12, s8, 0xff
	s_delay_alu instid0(SALU_CYCLE_1) | instskip(SKIP_1) | instid1(VALU_DEP_1)
	s_cmp_lt_i32 s12, 11
	v_ashrrev_i32_e32 v1, 31, v0
	v_add_nc_u64_e32 v[0:1], s[4:5], v[0:1]
	s_cbranch_scc1 .LBB54_19
; %bb.12:
	s_and_b32 s17, 0xffff, s12
	s_delay_alu instid0(SALU_CYCLE_1)
	s_cmp_gt_i32 s17, 25
	s_cbranch_scc0 .LBB54_22
; %bb.13:
	s_cmp_gt_i32 s17, 28
	s_cbranch_scc0 .LBB54_24
; %bb.14:
	;; [unrolled: 3-line block ×4, first 2 shown]
	s_mov_b32 s19, 0
	s_mov_b32 s1, -1
	s_cmp_eq_u32 s17, 46
	s_mov_b32 s18, 0
	s_cbranch_scc0 .LBB54_33
; %bb.17:
	v_cndmask_b32_e64 v2, 0, 1.0, s0
	s_mov_b32 s18, -1
	s_mov_b32 s1, 0
	s_delay_alu instid0(VALU_DEP_1) | instskip(NEXT) | instid1(VALU_DEP_1)
	v_bfe_u32 v3, v2, 16, 1
	v_add3_u32 v2, v2, v3, 0x7fff
	s_delay_alu instid0(VALU_DEP_1)
	v_lshrrev_b32_e32 v2, 16, v2
	global_store_b32 v[0:1], v2, off
	s_branch .LBB54_33
.LBB54_18:
	s_mov_b32 s1, 0
                                        ; implicit-def: $vgpr2
	s_cbranch_execnz .LBB54_167
	s_branch .LBB54_201
.LBB54_19:
	s_mov_b32 s1, 0
	s_mov_b32 s18, 0
	s_cbranch_execnz .LBB54_102
.LBB54_20:
	s_and_not1_b32 vcc_lo, exec_lo, s18
	s_cbranch_vccnz .LBB54_250
	s_branch .LBB54_140
.LBB54_21:
	s_mov_b32 s12, -1
	s_mov_b32 s1, 0
                                        ; implicit-def: $vgpr2
	s_branch .LBB54_148
.LBB54_22:
	s_mov_b32 s19, -1
	s_mov_b32 s1, 0
	s_mov_b32 s18, 0
	s_branch .LBB54_60
.LBB54_23:
	s_mov_b32 s12, -1
	s_mov_b32 s1, 0
                                        ; implicit-def: $vgpr2
	s_branch .LBB54_143
.LBB54_24:
	s_mov_b32 s19, -1
	s_mov_b32 s1, 0
	s_mov_b32 s18, 0
	s_branch .LBB54_43
.LBB54_25:
	s_mov_b32 s12, -1
	s_branch .LBB54_28
.LBB54_26:
	s_mov_b32 s19, -1
	s_mov_b32 s1, 0
	s_mov_b32 s18, 0
	s_branch .LBB54_39
.LBB54_27:
	s_mov_b32 s14, -1
.LBB54_28:
	s_mov_b32 s1, 0
                                        ; implicit-def: $vgpr2
.LBB54_29:
	s_and_b32 vcc_lo, exec_lo, s12
	s_cbranch_vccz .LBB54_142
; %bb.30:
	s_cmp_eq_u32 s0, 44
	s_cbranch_scc0 .LBB54_141
; %bb.31:
	global_load_u8 v2, v[0:1], off
	s_mov_b32 s14, 0
	s_mov_b32 s1, -1
	s_wait_loadcnt 0x0
	v_lshlrev_b32_e32 v3, 23, v2
	v_cmp_ne_u32_e32 vcc_lo, 0xff, v2
	s_delay_alu instid0(VALU_DEP_2) | instskip(NEXT) | instid1(VALU_DEP_1)
	v_cvt_f16_f32_e32 v3, v3
	v_cndmask_b32_e32 v3, 0x7e00, v3, vcc_lo
	v_cmp_ne_u32_e32 vcc_lo, 0, v2
	s_delay_alu instid0(VALU_DEP_2)
	v_cndmask_b32_e32 v2, 0, v3, vcc_lo
	s_branch .LBB54_142
.LBB54_32:
	s_mov_b32 s19, -1
	s_mov_b32 s1, 0
	s_mov_b32 s18, 0
.LBB54_33:
	s_and_b32 vcc_lo, exec_lo, s19
	s_cbranch_vccz .LBB54_38
; %bb.34:
	s_cmp_eq_u32 s17, 44
	s_mov_b32 s1, -1
	s_cbranch_scc0 .LBB54_38
; %bb.35:
	v_cndmask_b32_e64 v5, 0, 1.0, s0
	s_mov_b32 s18, exec_lo
	s_wait_xcnt 0x0
	s_delay_alu instid0(VALU_DEP_1) | instskip(NEXT) | instid1(VALU_DEP_1)
	v_dual_mov_b32 v3, 0xff :: v_dual_lshrrev_b32 v2, 23, v5
	v_cmpx_ne_u32_e32 0xff, v2
; %bb.36:
	v_and_b32_e32 v3, 0x400000, v5
	v_and_or_b32 v5, 0x3fffff, v5, v2
	s_delay_alu instid0(VALU_DEP_2) | instskip(NEXT) | instid1(VALU_DEP_2)
	v_cmp_ne_u32_e32 vcc_lo, 0, v3
	v_cmp_ne_u32_e64 s1, 0, v5
	s_and_b32 s1, vcc_lo, s1
	s_delay_alu instid0(SALU_CYCLE_1) | instskip(NEXT) | instid1(VALU_DEP_1)
	v_cndmask_b32_e64 v3, 0, 1, s1
	v_add_nc_u32_e32 v3, v2, v3
; %bb.37:
	s_or_b32 exec_lo, exec_lo, s18
	s_mov_b32 s18, -1
	s_mov_b32 s1, 0
	global_store_b8 v[0:1], v3, off
.LBB54_38:
	s_mov_b32 s19, 0
.LBB54_39:
	s_delay_alu instid0(SALU_CYCLE_1)
	s_and_b32 vcc_lo, exec_lo, s19
	s_cbranch_vccz .LBB54_42
; %bb.40:
	s_cmp_eq_u32 s17, 29
	s_mov_b32 s1, -1
	s_cbranch_scc0 .LBB54_42
; %bb.41:
	s_mov_b32 s1, 0
	s_wait_xcnt 0x0
	v_cndmask_b32_e64 v2, 0, 1, s0
	v_mov_b32_e32 v3, s1
	s_mov_b32 s18, -1
	s_mov_b32 s19, 0
	global_store_b64 v[0:1], v[2:3], off
	s_branch .LBB54_43
.LBB54_42:
	s_mov_b32 s19, 0
.LBB54_43:
	s_delay_alu instid0(SALU_CYCLE_1)
	s_and_b32 vcc_lo, exec_lo, s19
	s_cbranch_vccz .LBB54_59
; %bb.44:
	s_cmp_lt_i32 s17, 27
	s_mov_b32 s18, -1
	s_cbranch_scc1 .LBB54_50
; %bb.45:
	s_cmp_gt_i32 s17, 27
	s_cbranch_scc0 .LBB54_47
; %bb.46:
	s_wait_xcnt 0x0
	v_cndmask_b32_e64 v2, 0, 1, s0
	s_mov_b32 s18, 0
	global_store_b32 v[0:1], v2, off
.LBB54_47:
	s_and_not1_b32 vcc_lo, exec_lo, s18
	s_cbranch_vccnz .LBB54_49
; %bb.48:
	s_wait_xcnt 0x0
	v_cndmask_b32_e64 v2, 0, 1, s0
	global_store_b16 v[0:1], v2, off
.LBB54_49:
	s_mov_b32 s18, 0
.LBB54_50:
	s_delay_alu instid0(SALU_CYCLE_1)
	s_and_not1_b32 vcc_lo, exec_lo, s18
	s_cbranch_vccnz .LBB54_58
; %bb.51:
	s_wait_xcnt 0x0
	v_cndmask_b32_e64 v3, 0, 1.0, s0
	v_mov_b32_e32 v5, 0x80
	s_mov_b32 s18, exec_lo
	s_delay_alu instid0(VALU_DEP_2)
	v_cmpx_gt_u32_e32 0x43800000, v3
	s_cbranch_execz .LBB54_57
; %bb.52:
	s_mov_b32 s19, 0
	s_mov_b32 s20, exec_lo
                                        ; implicit-def: $vgpr2
	v_cmpx_lt_u32_e32 0x3bffffff, v3
	s_xor_b32 s20, exec_lo, s20
	s_cbranch_execz .LBB54_279
; %bb.53:
	v_bfe_u32 v2, v3, 20, 1
	s_mov_b32 s19, exec_lo
	s_delay_alu instid0(VALU_DEP_1) | instskip(NEXT) | instid1(VALU_DEP_1)
	v_add3_u32 v2, v3, v2, 0x487ffff
                                        ; implicit-def: $vgpr3
	v_lshrrev_b32_e32 v2, 20, v2
	s_and_not1_saveexec_b32 s20, s20
	s_cbranch_execnz .LBB54_280
.LBB54_54:
	s_or_b32 exec_lo, exec_lo, s20
	v_mov_b32_e32 v5, 0
	s_and_saveexec_b32 s20, s19
.LBB54_55:
	v_mov_b32_e32 v5, v2
.LBB54_56:
	s_or_b32 exec_lo, exec_lo, s20
.LBB54_57:
	s_delay_alu instid0(SALU_CYCLE_1)
	s_or_b32 exec_lo, exec_lo, s18
	global_store_b8 v[0:1], v5, off
.LBB54_58:
	s_mov_b32 s18, -1
.LBB54_59:
	s_mov_b32 s19, 0
.LBB54_60:
	s_delay_alu instid0(SALU_CYCLE_1)
	s_and_b32 vcc_lo, exec_lo, s19
	s_cbranch_vccz .LBB54_101
; %bb.61:
	s_cmp_gt_i32 s17, 22
	s_mov_b32 s19, -1
	s_cbranch_scc0 .LBB54_93
; %bb.62:
	s_cmp_lt_i32 s17, 24
	s_mov_b32 s18, -1
	s_cbranch_scc1 .LBB54_82
; %bb.63:
	s_cmp_gt_i32 s17, 24
	s_cbranch_scc0 .LBB54_71
; %bb.64:
	s_wait_xcnt 0x0
	v_cndmask_b32_e64 v3, 0, 1.0, s0
	v_mov_b32_e32 v5, 0x80
	s_mov_b32 s18, exec_lo
	s_delay_alu instid0(VALU_DEP_2)
	v_cmpx_gt_u32_e32 0x47800000, v3
	s_cbranch_execz .LBB54_70
; %bb.65:
	s_mov_b32 s19, 0
	s_mov_b32 s20, exec_lo
                                        ; implicit-def: $vgpr2
	v_cmpx_lt_u32_e32 0x37ffffff, v3
	s_xor_b32 s20, exec_lo, s20
	s_cbranch_execz .LBB54_283
; %bb.66:
	v_bfe_u32 v2, v3, 21, 1
	s_mov_b32 s19, exec_lo
	s_delay_alu instid0(VALU_DEP_1) | instskip(NEXT) | instid1(VALU_DEP_1)
	v_add3_u32 v2, v3, v2, 0x88fffff
                                        ; implicit-def: $vgpr3
	v_lshrrev_b32_e32 v2, 21, v2
	s_and_not1_saveexec_b32 s20, s20
	s_cbranch_execnz .LBB54_284
.LBB54_67:
	s_or_b32 exec_lo, exec_lo, s20
	v_mov_b32_e32 v5, 0
	s_and_saveexec_b32 s20, s19
.LBB54_68:
	v_mov_b32_e32 v5, v2
.LBB54_69:
	s_or_b32 exec_lo, exec_lo, s20
.LBB54_70:
	s_delay_alu instid0(SALU_CYCLE_1)
	s_or_b32 exec_lo, exec_lo, s18
	s_mov_b32 s18, 0
	global_store_b8 v[0:1], v5, off
.LBB54_71:
	s_and_b32 vcc_lo, exec_lo, s18
	s_cbranch_vccz .LBB54_81
; %bb.72:
	s_wait_xcnt 0x0
	v_cndmask_b32_e64 v3, 0, 1.0, s0
	s_mov_b32 s18, exec_lo
                                        ; implicit-def: $vgpr2
	s_delay_alu instid0(VALU_DEP_1)
	v_cmpx_gt_u32_e32 0x43f00000, v3
	s_xor_b32 s18, exec_lo, s18
	s_cbranch_execz .LBB54_78
; %bb.73:
	s_mov_b32 s19, exec_lo
                                        ; implicit-def: $vgpr2
	v_cmpx_lt_u32_e32 0x3c7fffff, v3
	s_xor_b32 s19, exec_lo, s19
; %bb.74:
	v_bfe_u32 v2, v3, 20, 1
	s_delay_alu instid0(VALU_DEP_1) | instskip(NEXT) | instid1(VALU_DEP_1)
	v_add3_u32 v2, v3, v2, 0x407ffff
	v_and_b32_e32 v3, 0xff00000, v2
	v_lshrrev_b32_e32 v2, 20, v2
	s_delay_alu instid0(VALU_DEP_2) | instskip(NEXT) | instid1(VALU_DEP_2)
	v_cmp_ne_u32_e32 vcc_lo, 0x7f00000, v3
                                        ; implicit-def: $vgpr3
	v_cndmask_b32_e32 v2, 0x7e, v2, vcc_lo
; %bb.75:
	s_and_not1_saveexec_b32 s19, s19
; %bb.76:
	v_add_f32_e32 v2, 0x46800000, v3
; %bb.77:
	s_or_b32 exec_lo, exec_lo, s19
                                        ; implicit-def: $vgpr3
.LBB54_78:
	s_and_not1_saveexec_b32 s18, s18
; %bb.79:
	v_mov_b32_e32 v2, 0x7f
	v_cmp_lt_u32_e32 vcc_lo, 0x7f800000, v3
	s_delay_alu instid0(VALU_DEP_2)
	v_cndmask_b32_e32 v2, 0x7e, v2, vcc_lo
; %bb.80:
	s_or_b32 exec_lo, exec_lo, s18
	global_store_b8 v[0:1], v2, off
.LBB54_81:
	s_mov_b32 s18, 0
.LBB54_82:
	s_delay_alu instid0(SALU_CYCLE_1)
	s_and_not1_b32 vcc_lo, exec_lo, s18
	s_cbranch_vccnz .LBB54_92
; %bb.83:
	s_wait_xcnt 0x0
	v_cndmask_b32_e64 v3, 0, 1.0, s0
	s_mov_b32 s18, exec_lo
                                        ; implicit-def: $vgpr2
	s_delay_alu instid0(VALU_DEP_1)
	v_cmpx_gt_u32_e32 0x47800000, v3
	s_xor_b32 s18, exec_lo, s18
	s_cbranch_execz .LBB54_89
; %bb.84:
	s_mov_b32 s19, exec_lo
                                        ; implicit-def: $vgpr2
	v_cmpx_lt_u32_e32 0x387fffff, v3
	s_xor_b32 s19, exec_lo, s19
; %bb.85:
	v_bfe_u32 v2, v3, 21, 1
	s_delay_alu instid0(VALU_DEP_1) | instskip(NEXT) | instid1(VALU_DEP_1)
	v_add3_u32 v2, v3, v2, 0x80fffff
                                        ; implicit-def: $vgpr3
	v_lshrrev_b32_e32 v2, 21, v2
; %bb.86:
	s_and_not1_saveexec_b32 s19, s19
; %bb.87:
	v_add_f32_e32 v2, 0x43000000, v3
; %bb.88:
	s_or_b32 exec_lo, exec_lo, s19
                                        ; implicit-def: $vgpr3
.LBB54_89:
	s_and_not1_saveexec_b32 s18, s18
; %bb.90:
	v_mov_b32_e32 v2, 0x7f
	v_cmp_lt_u32_e32 vcc_lo, 0x7f800000, v3
	s_delay_alu instid0(VALU_DEP_2)
	v_cndmask_b32_e32 v2, 0x7c, v2, vcc_lo
; %bb.91:
	s_or_b32 exec_lo, exec_lo, s18
	global_store_b8 v[0:1], v2, off
.LBB54_92:
	s_mov_b32 s19, 0
	s_mov_b32 s18, -1
.LBB54_93:
	s_and_not1_b32 vcc_lo, exec_lo, s19
	s_cbranch_vccnz .LBB54_101
; %bb.94:
	s_cmp_gt_i32 s17, 14
	s_mov_b32 s19, -1
	s_cbranch_scc0 .LBB54_98
; %bb.95:
	s_cmp_eq_u32 s17, 15
	s_mov_b32 s1, -1
	s_cbranch_scc0 .LBB54_97
; %bb.96:
	s_wait_xcnt 0x0
	v_cndmask_b32_e64 v2, 0, 1.0, s0
	s_mov_b32 s18, -1
	s_mov_b32 s1, 0
	s_delay_alu instid0(VALU_DEP_1) | instskip(NEXT) | instid1(VALU_DEP_1)
	v_bfe_u32 v3, v2, 16, 1
	v_add3_u32 v2, v2, v3, 0x7fff
	global_store_d16_hi_b16 v[0:1], v2, off
.LBB54_97:
	s_mov_b32 s19, 0
.LBB54_98:
	s_delay_alu instid0(SALU_CYCLE_1)
	s_and_b32 vcc_lo, exec_lo, s19
	s_cbranch_vccz .LBB54_101
; %bb.99:
	s_cmp_eq_u32 s17, 11
	s_mov_b32 s1, -1
	s_cbranch_scc0 .LBB54_101
; %bb.100:
	s_wait_xcnt 0x0
	v_cndmask_b32_e64 v2, 0, 1, s0
	s_mov_b32 s18, -1
	s_mov_b32 s1, 0
	global_store_b8 v[0:1], v2, off
.LBB54_101:
	s_branch .LBB54_20
.LBB54_102:
	s_and_b32 s12, 0xffff, s12
	s_mov_b32 s17, -1
	s_cmp_lt_i32 s12, 5
	s_cbranch_scc1 .LBB54_123
; %bb.103:
	s_cmp_lt_i32 s12, 8
	s_cbranch_scc1 .LBB54_113
; %bb.104:
	;; [unrolled: 3-line block ×3, first 2 shown]
	s_cmp_gt_i32 s12, 9
	s_cbranch_scc0 .LBB54_107
; %bb.106:
	s_wait_xcnt 0x0
	v_cndmask_b32_e64 v2, 0, 1, s0
	v_mov_b32_e32 v8, 0
	s_mov_b32 s17, 0
	s_delay_alu instid0(VALU_DEP_2) | instskip(NEXT) | instid1(VALU_DEP_2)
	v_cvt_f64_u32_e32 v[6:7], v2
	v_mov_b32_e32 v9, v8
	global_store_b128 v[0:1], v[6:9], off
.LBB54_107:
	s_and_not1_b32 vcc_lo, exec_lo, s17
	s_cbranch_vccnz .LBB54_109
; %bb.108:
	s_wait_xcnt 0x0
	v_cndmask_b32_e64 v2, 0, 1.0, s0
	v_mov_b32_e32 v3, 0
	global_store_b64 v[0:1], v[2:3], off
.LBB54_109:
	s_mov_b32 s17, 0
.LBB54_110:
	s_delay_alu instid0(SALU_CYCLE_1)
	s_and_not1_b32 vcc_lo, exec_lo, s17
	s_cbranch_vccnz .LBB54_112
; %bb.111:
	s_wait_xcnt 0x0
	v_cndmask_b32_e64 v2, 0, 1.0, s0
	s_delay_alu instid0(VALU_DEP_1) | instskip(NEXT) | instid1(VALU_DEP_1)
	v_cvt_f16_f32_e32 v2, v2
	v_and_b32_e32 v2, 0xffff, v2
	global_store_b32 v[0:1], v2, off
.LBB54_112:
	s_mov_b32 s17, 0
.LBB54_113:
	s_delay_alu instid0(SALU_CYCLE_1)
	s_and_not1_b32 vcc_lo, exec_lo, s17
	s_cbranch_vccnz .LBB54_122
; %bb.114:
	s_cmp_lt_i32 s12, 6
	s_mov_b32 s17, -1
	s_cbranch_scc1 .LBB54_120
; %bb.115:
	s_cmp_gt_i32 s12, 6
	s_cbranch_scc0 .LBB54_117
; %bb.116:
	s_wait_xcnt 0x0
	v_cndmask_b32_e64 v2, 0, 1, s0
	s_mov_b32 s17, 0
	s_delay_alu instid0(VALU_DEP_1)
	v_cvt_f64_u32_e32 v[2:3], v2
	global_store_b64 v[0:1], v[2:3], off
.LBB54_117:
	s_and_not1_b32 vcc_lo, exec_lo, s17
	s_cbranch_vccnz .LBB54_119
; %bb.118:
	s_wait_xcnt 0x0
	v_cndmask_b32_e64 v2, 0, 1.0, s0
	global_store_b32 v[0:1], v2, off
.LBB54_119:
	s_mov_b32 s17, 0
.LBB54_120:
	s_delay_alu instid0(SALU_CYCLE_1)
	s_and_not1_b32 vcc_lo, exec_lo, s17
	s_cbranch_vccnz .LBB54_122
; %bb.121:
	s_wait_xcnt 0x0
	v_cndmask_b32_e64 v2, 0, 1.0, s0
	s_delay_alu instid0(VALU_DEP_1)
	v_cvt_f16_f32_e32 v2, v2
	global_store_b16 v[0:1], v2, off
.LBB54_122:
	s_mov_b32 s17, 0
.LBB54_123:
	s_delay_alu instid0(SALU_CYCLE_1)
	s_and_not1_b32 vcc_lo, exec_lo, s17
	s_cbranch_vccnz .LBB54_139
; %bb.124:
	s_cmp_lt_i32 s12, 2
	s_mov_b32 s17, -1
	s_cbranch_scc1 .LBB54_134
; %bb.125:
	s_cmp_lt_i32 s12, 3
	s_cbranch_scc1 .LBB54_131
; %bb.126:
	s_cmp_gt_i32 s12, 3
	s_cbranch_scc0 .LBB54_128
; %bb.127:
	s_mov_b32 s17, 0
	s_wait_xcnt 0x0
	v_cndmask_b32_e64 v2, 0, 1, s0
	v_mov_b32_e32 v3, s17
	global_store_b64 v[0:1], v[2:3], off
.LBB54_128:
	s_and_not1_b32 vcc_lo, exec_lo, s17
	s_cbranch_vccnz .LBB54_130
; %bb.129:
	s_wait_xcnt 0x0
	v_cndmask_b32_e64 v2, 0, 1, s0
	global_store_b32 v[0:1], v2, off
.LBB54_130:
	s_mov_b32 s17, 0
.LBB54_131:
	s_delay_alu instid0(SALU_CYCLE_1)
	s_and_not1_b32 vcc_lo, exec_lo, s17
	s_cbranch_vccnz .LBB54_133
; %bb.132:
	s_wait_xcnt 0x0
	v_cndmask_b32_e64 v2, 0, 1, s0
	global_store_b16 v[0:1], v2, off
.LBB54_133:
	s_mov_b32 s17, 0
.LBB54_134:
	s_delay_alu instid0(SALU_CYCLE_1)
	s_and_not1_b32 vcc_lo, exec_lo, s17
	s_cbranch_vccnz .LBB54_139
; %bb.135:
	s_wait_xcnt 0x0
	v_cndmask_b32_e64 v2, 0, 1, s0
	s_cmp_gt_i32 s12, 0
	s_mov_b32 s0, -1
	s_cbranch_scc0 .LBB54_137
; %bb.136:
	s_mov_b32 s0, 0
	global_store_b8 v[0:1], v2, off
.LBB54_137:
	s_and_not1_b32 vcc_lo, exec_lo, s0
	s_cbranch_vccnz .LBB54_139
; %bb.138:
	global_store_b8 v[0:1], v2, off
.LBB54_139:
.LBB54_140:
	v_add_nc_u32_e32 v4, 0x80, v4
	s_mov_b32 s0, -1
	s_branch .LBB54_251
.LBB54_141:
	s_mov_b32 s14, -1
                                        ; implicit-def: $vgpr2
.LBB54_142:
	s_mov_b32 s12, 0
.LBB54_143:
	s_delay_alu instid0(SALU_CYCLE_1)
	s_and_b32 vcc_lo, exec_lo, s12
	s_cbranch_vccz .LBB54_147
; %bb.144:
	s_cmp_eq_u32 s0, 29
	s_cbranch_scc0 .LBB54_146
; %bb.145:
	global_load_b64 v[2:3], v[0:1], off
	s_mov_b32 s1, -1
	s_mov_b32 s14, 0
	s_mov_b32 s12, 0
	s_wait_loadcnt 0x0
	v_clz_i32_u32_e32 v5, v3
	s_delay_alu instid0(VALU_DEP_1) | instskip(NEXT) | instid1(VALU_DEP_1)
	v_min_u32_e32 v5, 32, v5
	v_lshlrev_b64_e32 v[2:3], v5, v[2:3]
	s_delay_alu instid0(VALU_DEP_1) | instskip(NEXT) | instid1(VALU_DEP_1)
	v_min_u32_e32 v2, 1, v2
	v_dual_sub_nc_u32 v3, 32, v5 :: v_dual_bitop2_b32 v2, v3, v2 bitop3:0x54
	s_delay_alu instid0(VALU_DEP_1) | instskip(NEXT) | instid1(VALU_DEP_1)
	v_cvt_f32_u32_e32 v2, v2
	v_ldexp_f32 v2, v2, v3
	s_delay_alu instid0(VALU_DEP_1)
	v_cvt_f16_f32_e32 v2, v2
	s_branch .LBB54_148
.LBB54_146:
	s_mov_b32 s14, -1
                                        ; implicit-def: $vgpr2
.LBB54_147:
	s_mov_b32 s12, 0
.LBB54_148:
	s_delay_alu instid0(SALU_CYCLE_1)
	s_and_b32 vcc_lo, exec_lo, s12
	s_cbranch_vccz .LBB54_166
; %bb.149:
	s_cmp_lt_i32 s0, 27
	s_cbranch_scc1 .LBB54_152
; %bb.150:
	s_cmp_gt_i32 s0, 27
	s_cbranch_scc0 .LBB54_153
; %bb.151:
	global_load_b32 v2, v[0:1], off
	s_mov_b32 s1, 0
	s_wait_loadcnt 0x0
	v_cvt_f32_u32_e32 v2, v2
	s_delay_alu instid0(VALU_DEP_1)
	v_cvt_f16_f32_e32 v2, v2
	s_branch .LBB54_154
.LBB54_152:
	s_mov_b32 s1, -1
                                        ; implicit-def: $vgpr2
	s_branch .LBB54_157
.LBB54_153:
	s_mov_b32 s1, -1
                                        ; implicit-def: $vgpr2
.LBB54_154:
	s_delay_alu instid0(SALU_CYCLE_1)
	s_and_not1_b32 vcc_lo, exec_lo, s1
	s_cbranch_vccnz .LBB54_156
; %bb.155:
	global_load_u16 v2, v[0:1], off
	s_wait_loadcnt 0x0
	v_cvt_f16_u16_e32 v2, v2
.LBB54_156:
	s_mov_b32 s1, 0
.LBB54_157:
	s_delay_alu instid0(SALU_CYCLE_1)
	s_and_not1_b32 vcc_lo, exec_lo, s1
	s_cbranch_vccnz .LBB54_165
; %bb.158:
	global_load_u8 v3, v[0:1], off
	s_mov_b32 s1, 0
	s_mov_b32 s12, exec_lo
	s_wait_loadcnt 0x0
	v_cmpx_lt_i16_e32 0x7f, v3
	s_xor_b32 s12, exec_lo, s12
	s_cbranch_execz .LBB54_178
; %bb.159:
	s_mov_b32 s1, -1
	s_mov_b32 s17, exec_lo
	v_cmpx_eq_u16_e32 0x80, v3
; %bb.160:
	s_xor_b32 s1, exec_lo, -1
; %bb.161:
	s_or_b32 exec_lo, exec_lo, s17
	s_delay_alu instid0(SALU_CYCLE_1)
	s_and_b32 s1, s1, exec_lo
	s_or_saveexec_b32 s12, s12
	v_mov_b32_e32 v2, 0x7e00
	s_xor_b32 exec_lo, exec_lo, s12
	s_cbranch_execnz .LBB54_179
.LBB54_162:
	s_or_b32 exec_lo, exec_lo, s12
	s_and_saveexec_b32 s12, s1
	s_cbranch_execz .LBB54_164
.LBB54_163:
	v_and_b32_e32 v2, 0xffff, v3
	s_delay_alu instid0(VALU_DEP_1) | instskip(SKIP_1) | instid1(VALU_DEP_2)
	v_dual_lshlrev_b32 v3, 24, v3 :: v_dual_bitop2_b32 v5, 7, v2 bitop3:0x40
	v_bfe_u32 v8, v2, 3, 4
	v_and_b32_e32 v3, 0x80000000, v3
	s_delay_alu instid0(VALU_DEP_3) | instskip(NEXT) | instid1(VALU_DEP_3)
	v_clz_i32_u32_e32 v6, v5
	v_cmp_eq_u32_e32 vcc_lo, 0, v8
	s_delay_alu instid0(VALU_DEP_2) | instskip(NEXT) | instid1(VALU_DEP_1)
	v_min_u32_e32 v6, 32, v6
	v_subrev_nc_u32_e32 v7, 28, v6
	v_sub_nc_u32_e32 v6, 29, v6
	s_delay_alu instid0(VALU_DEP_2) | instskip(NEXT) | instid1(VALU_DEP_2)
	v_lshlrev_b32_e32 v2, v7, v2
	v_cndmask_b32_e32 v6, v8, v6, vcc_lo
	s_delay_alu instid0(VALU_DEP_2) | instskip(NEXT) | instid1(VALU_DEP_1)
	v_and_b32_e32 v2, 7, v2
	v_cndmask_b32_e32 v2, v5, v2, vcc_lo
	s_delay_alu instid0(VALU_DEP_3) | instskip(NEXT) | instid1(VALU_DEP_2)
	v_lshl_add_u32 v5, v6, 23, 0x3b800000
	v_lshlrev_b32_e32 v2, 20, v2
	s_delay_alu instid0(VALU_DEP_1) | instskip(NEXT) | instid1(VALU_DEP_1)
	v_or3_b32 v2, v3, v5, v2
	v_cvt_f16_f32_e32 v2, v2
.LBB54_164:
	s_or_b32 exec_lo, exec_lo, s12
.LBB54_165:
	s_mov_b32 s1, -1
.LBB54_166:
	s_branch .LBB54_201
.LBB54_167:
	s_cmp_gt_i32 s0, 22
	s_cbranch_scc0 .LBB54_177
; %bb.168:
	s_cmp_lt_i32 s0, 24
	s_cbranch_scc1 .LBB54_180
; %bb.169:
	s_cmp_gt_i32 s0, 24
	s_cbranch_scc0 .LBB54_181
; %bb.170:
	global_load_u8 v3, v[0:1], off
	s_mov_b32 s1, 0
	s_mov_b32 s12, exec_lo
	s_wait_loadcnt 0x0
	v_cmpx_lt_i16_e32 0x7f, v3
	s_xor_b32 s12, exec_lo, s12
	s_cbranch_execz .LBB54_193
; %bb.171:
	s_mov_b32 s1, -1
	s_mov_b32 s17, exec_lo
	v_cmpx_eq_u16_e32 0x80, v3
; %bb.172:
	s_xor_b32 s1, exec_lo, -1
; %bb.173:
	s_or_b32 exec_lo, exec_lo, s17
	s_delay_alu instid0(SALU_CYCLE_1)
	s_and_b32 s1, s1, exec_lo
	s_or_saveexec_b32 s12, s12
	v_mov_b32_e32 v2, 0x7e00
	s_xor_b32 exec_lo, exec_lo, s12
	s_cbranch_execnz .LBB54_194
.LBB54_174:
	s_or_b32 exec_lo, exec_lo, s12
	s_and_saveexec_b32 s12, s1
	s_cbranch_execz .LBB54_176
.LBB54_175:
	v_and_b32_e32 v2, 0xffff, v3
	s_delay_alu instid0(VALU_DEP_1) | instskip(SKIP_1) | instid1(VALU_DEP_2)
	v_dual_lshlrev_b32 v3, 24, v3 :: v_dual_bitop2_b32 v5, 3, v2 bitop3:0x40
	v_bfe_u32 v8, v2, 2, 5
	v_and_b32_e32 v3, 0x80000000, v3
	s_delay_alu instid0(VALU_DEP_3) | instskip(NEXT) | instid1(VALU_DEP_3)
	v_clz_i32_u32_e32 v6, v5
	v_cmp_eq_u32_e32 vcc_lo, 0, v8
	s_delay_alu instid0(VALU_DEP_2) | instskip(NEXT) | instid1(VALU_DEP_1)
	v_min_u32_e32 v6, 32, v6
	v_subrev_nc_u32_e32 v7, 29, v6
	v_sub_nc_u32_e32 v6, 30, v6
	s_delay_alu instid0(VALU_DEP_2) | instskip(NEXT) | instid1(VALU_DEP_2)
	v_lshlrev_b32_e32 v2, v7, v2
	v_cndmask_b32_e32 v6, v8, v6, vcc_lo
	s_delay_alu instid0(VALU_DEP_2) | instskip(NEXT) | instid1(VALU_DEP_1)
	v_and_b32_e32 v2, 3, v2
	v_cndmask_b32_e32 v2, v5, v2, vcc_lo
	s_delay_alu instid0(VALU_DEP_3) | instskip(NEXT) | instid1(VALU_DEP_2)
	v_lshl_add_u32 v5, v6, 23, 0x37800000
	v_lshlrev_b32_e32 v2, 21, v2
	s_delay_alu instid0(VALU_DEP_1) | instskip(NEXT) | instid1(VALU_DEP_1)
	v_or3_b32 v2, v3, v5, v2
	v_cvt_f16_f32_e32 v2, v2
.LBB54_176:
	s_or_b32 exec_lo, exec_lo, s12
	s_mov_b32 s1, 0
	s_branch .LBB54_182
.LBB54_177:
	s_mov_b32 s12, -1
                                        ; implicit-def: $vgpr2
	s_branch .LBB54_188
.LBB54_178:
	s_or_saveexec_b32 s12, s12
	v_mov_b32_e32 v2, 0x7e00
	s_xor_b32 exec_lo, exec_lo, s12
	s_cbranch_execz .LBB54_162
.LBB54_179:
	v_cmp_ne_u16_e32 vcc_lo, 0, v3
	v_mov_b32_e32 v2, v3
	s_and_not1_b32 s1, s1, exec_lo
	s_and_b32 s17, vcc_lo, exec_lo
	s_delay_alu instid0(SALU_CYCLE_1)
	s_or_b32 s1, s1, s17
	s_or_b32 exec_lo, exec_lo, s12
	s_and_saveexec_b32 s12, s1
	s_cbranch_execnz .LBB54_163
	s_branch .LBB54_164
.LBB54_180:
	s_mov_b32 s1, -1
                                        ; implicit-def: $vgpr2
	s_branch .LBB54_185
.LBB54_181:
	s_mov_b32 s1, -1
                                        ; implicit-def: $vgpr2
.LBB54_182:
	s_delay_alu instid0(SALU_CYCLE_1)
	s_and_b32 vcc_lo, exec_lo, s1
	s_cbranch_vccz .LBB54_184
; %bb.183:
	global_load_u8 v2, v[0:1], off
	s_wait_loadcnt 0x0
	v_lshlrev_b32_e32 v2, 24, v2
	s_delay_alu instid0(VALU_DEP_1) | instskip(NEXT) | instid1(VALU_DEP_1)
	v_and_b32_e32 v3, 0x7f000000, v2
	v_clz_i32_u32_e32 v5, v3
	v_add_nc_u32_e32 v7, 0x1000000, v3
	v_cmp_ne_u32_e32 vcc_lo, 0, v3
	s_delay_alu instid0(VALU_DEP_3) | instskip(NEXT) | instid1(VALU_DEP_1)
	v_min_u32_e32 v5, 32, v5
	v_sub_nc_u32_e64 v5, v5, 4 clamp
	s_delay_alu instid0(VALU_DEP_1) | instskip(NEXT) | instid1(VALU_DEP_1)
	v_dual_lshlrev_b32 v6, v5, v3 :: v_dual_lshlrev_b32 v5, 23, v5
	v_lshrrev_b32_e32 v6, 4, v6
	s_delay_alu instid0(VALU_DEP_1) | instskip(NEXT) | instid1(VALU_DEP_1)
	v_dual_sub_nc_u32 v5, v6, v5 :: v_dual_ashrrev_i32 v6, 8, v7
	v_add_nc_u32_e32 v5, 0x3c000000, v5
	s_delay_alu instid0(VALU_DEP_1) | instskip(NEXT) | instid1(VALU_DEP_1)
	v_and_or_b32 v5, 0x7f800000, v6, v5
	v_cndmask_b32_e32 v3, 0, v5, vcc_lo
	s_delay_alu instid0(VALU_DEP_1) | instskip(NEXT) | instid1(VALU_DEP_1)
	v_and_or_b32 v2, 0x80000000, v2, v3
	v_cvt_f16_f32_e32 v2, v2
.LBB54_184:
	s_mov_b32 s1, 0
.LBB54_185:
	s_delay_alu instid0(SALU_CYCLE_1)
	s_and_not1_b32 vcc_lo, exec_lo, s1
	s_cbranch_vccnz .LBB54_187
; %bb.186:
	global_load_u8 v2, v[0:1], off
	s_wait_loadcnt 0x0
	v_lshlrev_b32_e32 v3, 25, v2
	v_lshlrev_b16 v2, 8, v2
	s_delay_alu instid0(VALU_DEP_2) | instskip(NEXT) | instid1(VALU_DEP_2)
	v_cmp_gt_u32_e32 vcc_lo, 0x8000000, v3
	v_and_or_b32 v6, 0x7f00, v2, 0.5
	v_lshrrev_b32_e32 v5, 4, v3
	v_bfe_i32 v2, v2, 0, 16
	s_delay_alu instid0(VALU_DEP_3) | instskip(NEXT) | instid1(VALU_DEP_3)
	v_add_f32_e32 v6, -0.5, v6
	v_or_b32_e32 v5, 0x70000000, v5
	s_delay_alu instid0(VALU_DEP_1) | instskip(NEXT) | instid1(VALU_DEP_1)
	v_mul_f32_e32 v5, 0x7800000, v5
	v_cndmask_b32_e32 v3, v5, v6, vcc_lo
	s_delay_alu instid0(VALU_DEP_1) | instskip(NEXT) | instid1(VALU_DEP_1)
	v_and_or_b32 v2, 0x80000000, v2, v3
	v_cvt_f16_f32_e32 v2, v2
.LBB54_187:
	s_mov_b32 s12, 0
	s_mov_b32 s1, -1
.LBB54_188:
	s_and_not1_b32 vcc_lo, exec_lo, s12
	s_cbranch_vccnz .LBB54_201
; %bb.189:
	s_cmp_gt_i32 s0, 14
	s_cbranch_scc0 .LBB54_192
; %bb.190:
	s_cmp_eq_u32 s0, 15
	s_cbranch_scc0 .LBB54_195
; %bb.191:
	global_load_u16 v2, v[0:1], off
	s_mov_b32 s1, -1
	s_mov_b32 s14, 0
	s_wait_loadcnt 0x0
	v_lshlrev_b32_e32 v2, 16, v2
	s_delay_alu instid0(VALU_DEP_1)
	v_cvt_f16_f32_e32 v2, v2
	s_branch .LBB54_196
.LBB54_192:
	s_mov_b32 s12, -1
                                        ; implicit-def: $vgpr2
	s_branch .LBB54_197
.LBB54_193:
	s_or_saveexec_b32 s12, s12
	v_mov_b32_e32 v2, 0x7e00
	s_xor_b32 exec_lo, exec_lo, s12
	s_cbranch_execz .LBB54_174
.LBB54_194:
	v_cmp_ne_u16_e32 vcc_lo, 0, v3
	v_mov_b32_e32 v2, v3
	s_and_not1_b32 s1, s1, exec_lo
	s_and_b32 s17, vcc_lo, exec_lo
	s_delay_alu instid0(SALU_CYCLE_1)
	s_or_b32 s1, s1, s17
	s_or_b32 exec_lo, exec_lo, s12
	s_and_saveexec_b32 s12, s1
	s_cbranch_execnz .LBB54_175
	s_branch .LBB54_176
.LBB54_195:
	s_mov_b32 s14, -1
                                        ; implicit-def: $vgpr2
.LBB54_196:
	s_mov_b32 s12, 0
.LBB54_197:
	s_delay_alu instid0(SALU_CYCLE_1)
	s_and_b32 vcc_lo, exec_lo, s12
	s_cbranch_vccz .LBB54_201
; %bb.198:
	s_cmp_eq_u32 s0, 11
	s_cbranch_scc0 .LBB54_200
; %bb.199:
	global_load_u8 v2, v[0:1], off
	s_mov_b32 s14, 0
	s_mov_b32 s1, -1
	s_wait_loadcnt 0x0
	v_cmp_ne_u16_e32 vcc_lo, 0, v2
	v_cndmask_b32_e64 v2, 0, 0x3c00, vcc_lo
	s_branch .LBB54_201
.LBB54_200:
	s_mov_b32 s14, -1
                                        ; implicit-def: $vgpr2
.LBB54_201:
	s_branch .LBB54_10
.LBB54_202:
	s_cmp_lt_i32 s0, 5
	s_cbranch_scc1 .LBB54_207
; %bb.203:
	s_cmp_lt_i32 s0, 8
	s_cbranch_scc1 .LBB54_208
; %bb.204:
	;; [unrolled: 3-line block ×3, first 2 shown]
	s_cmp_gt_i32 s0, 9
	s_cbranch_scc0 .LBB54_210
; %bb.206:
	global_load_b64 v[2:3], v[0:1], off
	s_mov_b32 s1, 0
	s_wait_loadcnt 0x0
	v_and_or_b32 v2, 0x1ff, v3, v2
	v_lshrrev_b32_e32 v5, 8, v3
	v_bfe_u32 v6, v3, 20, 11
	v_lshrrev_b32_e32 v3, 16, v3
	s_delay_alu instid0(VALU_DEP_4) | instskip(NEXT) | instid1(VALU_DEP_3)
	v_cmp_ne_u32_e32 vcc_lo, 0, v2
	v_sub_nc_u32_e32 v7, 0x3f1, v6
	v_add_nc_u32_e32 v6, 0xfffffc10, v6
	v_cndmask_b32_e64 v2, 0, 1, vcc_lo
	s_delay_alu instid0(VALU_DEP_1) | instskip(NEXT) | instid1(VALU_DEP_4)
	v_and_or_b32 v2, 0xffe, v5, v2
	v_med3_i32 v5, v7, 0, 13
	s_delay_alu instid0(VALU_DEP_2) | instskip(NEXT) | instid1(VALU_DEP_1)
	v_or_b32_e32 v7, 0x1000, v2
	v_lshrrev_b32_e32 v8, v5, v7
	s_delay_alu instid0(VALU_DEP_1) | instskip(NEXT) | instid1(VALU_DEP_1)
	v_lshlrev_b32_e32 v5, v5, v8
	v_cmp_ne_u32_e32 vcc_lo, v5, v7
	v_lshl_or_b32 v7, v6, 12, v2
	v_cndmask_b32_e64 v5, 0, 1, vcc_lo
	v_cmp_gt_i32_e32 vcc_lo, 1, v6
	s_delay_alu instid0(VALU_DEP_2) | instskip(NEXT) | instid1(VALU_DEP_1)
	v_or_b32_e32 v5, v8, v5
	v_cndmask_b32_e32 v5, v7, v5, vcc_lo
	s_delay_alu instid0(VALU_DEP_1) | instskip(NEXT) | instid1(VALU_DEP_1)
	v_dual_lshrrev_b32 v5, 2, v5 :: v_dual_bitop2_b32 v7, 7, v5 bitop3:0x40
	v_cmp_lt_i32_e32 vcc_lo, 5, v7
	v_cndmask_b32_e64 v8, 0, 1, vcc_lo
	v_cmp_eq_u32_e32 vcc_lo, 3, v7
	v_cndmask_b32_e64 v7, 0, 1, vcc_lo
	v_cmp_ne_u32_e32 vcc_lo, 0, v2
	s_delay_alu instid0(VALU_DEP_2) | instskip(NEXT) | instid1(VALU_DEP_1)
	v_or_b32_e32 v7, v7, v8
	v_dual_mov_b32 v8, 0x7e00 :: v_dual_add_nc_u32 v5, v5, v7
	s_delay_alu instid0(VALU_DEP_1) | instskip(SKIP_1) | instid1(VALU_DEP_3)
	v_cndmask_b32_e32 v2, 0x7c00, v8, vcc_lo
	v_cmp_gt_i32_e32 vcc_lo, 31, v6
	v_cndmask_b32_e32 v5, 0x7c00, v5, vcc_lo
	v_cmp_eq_u32_e32 vcc_lo, 0x40f, v6
	s_delay_alu instid0(VALU_DEP_2) | instskip(NEXT) | instid1(VALU_DEP_1)
	v_cndmask_b32_e32 v2, v5, v2, vcc_lo
	v_and_or_b32 v2, 0x8000, v3, v2
	s_branch .LBB54_211
.LBB54_207:
                                        ; implicit-def: $vgpr2
	s_branch .LBB54_229
.LBB54_208:
	s_mov_b32 s1, -1
                                        ; implicit-def: $vgpr2
	s_branch .LBB54_217
.LBB54_209:
	s_mov_b32 s1, -1
                                        ; implicit-def: $vgpr2
	s_branch .LBB54_214
.LBB54_210:
	s_mov_b32 s1, -1
                                        ; implicit-def: $vgpr2
.LBB54_211:
	s_delay_alu instid0(SALU_CYCLE_1)
	s_and_not1_b32 vcc_lo, exec_lo, s1
	s_cbranch_vccnz .LBB54_213
; %bb.212:
	global_load_b32 v2, v[0:1], off
	s_wait_loadcnt 0x0
	v_cvt_f16_f32_e32 v2, v2
.LBB54_213:
	s_mov_b32 s1, 0
.LBB54_214:
	s_delay_alu instid0(SALU_CYCLE_1)
	s_and_not1_b32 vcc_lo, exec_lo, s1
	s_cbranch_vccnz .LBB54_216
; %bb.215:
	global_load_b32 v2, v[0:1], off
.LBB54_216:
	s_mov_b32 s1, 0
.LBB54_217:
	s_delay_alu instid0(SALU_CYCLE_1)
	s_and_not1_b32 vcc_lo, exec_lo, s1
	s_cbranch_vccnz .LBB54_228
; %bb.218:
	s_cmp_lt_i32 s0, 6
	s_cbranch_scc1 .LBB54_221
; %bb.219:
	s_cmp_gt_i32 s0, 6
	s_cbranch_scc0 .LBB54_222
; %bb.220:
	s_wait_loadcnt 0x0
	global_load_b64 v[2:3], v[0:1], off
	s_mov_b32 s1, 0
	s_wait_loadcnt 0x0
	v_and_or_b32 v2, 0x1ff, v3, v2
	v_lshrrev_b32_e32 v5, 8, v3
	v_bfe_u32 v6, v3, 20, 11
	v_lshrrev_b32_e32 v3, 16, v3
	s_delay_alu instid0(VALU_DEP_4) | instskip(NEXT) | instid1(VALU_DEP_3)
	v_cmp_ne_u32_e32 vcc_lo, 0, v2
	v_sub_nc_u32_e32 v7, 0x3f1, v6
	v_add_nc_u32_e32 v6, 0xfffffc10, v6
	v_cndmask_b32_e64 v2, 0, 1, vcc_lo
	s_delay_alu instid0(VALU_DEP_1) | instskip(NEXT) | instid1(VALU_DEP_4)
	v_and_or_b32 v2, 0xffe, v5, v2
	v_med3_i32 v5, v7, 0, 13
	s_delay_alu instid0(VALU_DEP_2) | instskip(NEXT) | instid1(VALU_DEP_1)
	v_or_b32_e32 v7, 0x1000, v2
	v_lshrrev_b32_e32 v8, v5, v7
	s_delay_alu instid0(VALU_DEP_1) | instskip(NEXT) | instid1(VALU_DEP_1)
	v_lshlrev_b32_e32 v5, v5, v8
	v_cmp_ne_u32_e32 vcc_lo, v5, v7
	v_lshl_or_b32 v7, v6, 12, v2
	v_cndmask_b32_e64 v5, 0, 1, vcc_lo
	v_cmp_gt_i32_e32 vcc_lo, 1, v6
	s_delay_alu instid0(VALU_DEP_2) | instskip(NEXT) | instid1(VALU_DEP_1)
	v_or_b32_e32 v5, v8, v5
	v_cndmask_b32_e32 v5, v7, v5, vcc_lo
	s_delay_alu instid0(VALU_DEP_1) | instskip(NEXT) | instid1(VALU_DEP_1)
	v_dual_lshrrev_b32 v5, 2, v5 :: v_dual_bitop2_b32 v7, 7, v5 bitop3:0x40
	v_cmp_lt_i32_e32 vcc_lo, 5, v7
	v_cndmask_b32_e64 v8, 0, 1, vcc_lo
	v_cmp_eq_u32_e32 vcc_lo, 3, v7
	v_cndmask_b32_e64 v7, 0, 1, vcc_lo
	v_cmp_ne_u32_e32 vcc_lo, 0, v2
	s_delay_alu instid0(VALU_DEP_2) | instskip(NEXT) | instid1(VALU_DEP_1)
	v_or_b32_e32 v7, v7, v8
	v_dual_mov_b32 v8, 0x7e00 :: v_dual_add_nc_u32 v5, v5, v7
	s_delay_alu instid0(VALU_DEP_1) | instskip(SKIP_1) | instid1(VALU_DEP_3)
	v_cndmask_b32_e32 v2, 0x7c00, v8, vcc_lo
	v_cmp_gt_i32_e32 vcc_lo, 31, v6
	v_cndmask_b32_e32 v5, 0x7c00, v5, vcc_lo
	v_cmp_eq_u32_e32 vcc_lo, 0x40f, v6
	s_delay_alu instid0(VALU_DEP_2) | instskip(NEXT) | instid1(VALU_DEP_1)
	v_cndmask_b32_e32 v2, v5, v2, vcc_lo
	v_and_or_b32 v2, 0x8000, v3, v2
	s_branch .LBB54_223
.LBB54_221:
	s_mov_b32 s1, -1
                                        ; implicit-def: $vgpr2
	s_branch .LBB54_226
.LBB54_222:
	s_mov_b32 s1, -1
                                        ; implicit-def: $vgpr2
.LBB54_223:
	s_delay_alu instid0(SALU_CYCLE_1)
	s_and_not1_b32 vcc_lo, exec_lo, s1
	s_cbranch_vccnz .LBB54_225
; %bb.224:
	s_wait_loadcnt 0x0
	global_load_b32 v2, v[0:1], off
	s_wait_loadcnt 0x0
	v_cvt_f16_f32_e32 v2, v2
.LBB54_225:
	s_mov_b32 s1, 0
.LBB54_226:
	s_delay_alu instid0(SALU_CYCLE_1)
	s_and_not1_b32 vcc_lo, exec_lo, s1
	s_cbranch_vccnz .LBB54_228
; %bb.227:
	s_wait_loadcnt 0x0
	global_load_u16 v2, v[0:1], off
.LBB54_228:
	s_cbranch_execnz .LBB54_248
.LBB54_229:
	s_cmp_lt_i32 s0, 2
	s_cbranch_scc1 .LBB54_233
; %bb.230:
	s_cmp_lt_i32 s0, 3
	s_cbranch_scc1 .LBB54_234
; %bb.231:
	s_cmp_gt_i32 s0, 3
	s_cbranch_scc0 .LBB54_235
; %bb.232:
	s_wait_loadcnt 0x0
	global_load_b64 v[2:3], v[0:1], off
	s_mov_b32 s1, 0
	s_wait_loadcnt 0x0
	v_xor_b32_e32 v5, v2, v3
	v_cls_i32_e32 v6, v3
	s_delay_alu instid0(VALU_DEP_2) | instskip(NEXT) | instid1(VALU_DEP_1)
	v_ashrrev_i32_e32 v5, 31, v5
	v_add_nc_u32_e32 v5, 32, v5
	s_delay_alu instid0(VALU_DEP_1) | instskip(NEXT) | instid1(VALU_DEP_1)
	v_add_min_u32_e64 v5, v6, -1, v5
	v_lshlrev_b64_e32 v[2:3], v5, v[2:3]
	s_delay_alu instid0(VALU_DEP_1) | instskip(NEXT) | instid1(VALU_DEP_1)
	v_min_u32_e32 v2, 1, v2
	v_dual_sub_nc_u32 v3, 32, v5 :: v_dual_bitop2_b32 v2, v3, v2 bitop3:0x54
	s_delay_alu instid0(VALU_DEP_1) | instskip(NEXT) | instid1(VALU_DEP_1)
	v_cvt_f32_i32_e32 v2, v2
	v_ldexp_f32 v2, v2, v3
	s_delay_alu instid0(VALU_DEP_1)
	v_cvt_f16_f32_e32 v2, v2
	s_branch .LBB54_236
.LBB54_233:
	s_mov_b32 s1, -1
                                        ; implicit-def: $vgpr2
	s_branch .LBB54_242
.LBB54_234:
	s_mov_b32 s1, -1
                                        ; implicit-def: $vgpr2
	s_branch .LBB54_239
.LBB54_235:
	s_mov_b32 s1, -1
                                        ; implicit-def: $vgpr2
.LBB54_236:
	s_delay_alu instid0(SALU_CYCLE_1)
	s_and_not1_b32 vcc_lo, exec_lo, s1
	s_cbranch_vccnz .LBB54_238
; %bb.237:
	s_wait_loadcnt 0x0
	global_load_b32 v2, v[0:1], off
	s_wait_loadcnt 0x0
	v_cvt_f32_i32_e32 v2, v2
	s_delay_alu instid0(VALU_DEP_1)
	v_cvt_f16_f32_e32 v2, v2
.LBB54_238:
	s_mov_b32 s1, 0
.LBB54_239:
	s_delay_alu instid0(SALU_CYCLE_1)
	s_and_not1_b32 vcc_lo, exec_lo, s1
	s_cbranch_vccnz .LBB54_241
; %bb.240:
	s_wait_loadcnt 0x0
	global_load_u16 v2, v[0:1], off
	s_wait_loadcnt 0x0
	v_cvt_f16_i16_e32 v2, v2
.LBB54_241:
	s_mov_b32 s1, 0
.LBB54_242:
	s_delay_alu instid0(SALU_CYCLE_1)
	s_and_not1_b32 vcc_lo, exec_lo, s1
	s_cbranch_vccnz .LBB54_248
; %bb.243:
	s_cmp_gt_i32 s0, 0
	s_mov_b32 s0, 0
	s_cbranch_scc0 .LBB54_245
; %bb.244:
	s_wait_loadcnt 0x0
	global_load_i8 v2, v[0:1], off
	s_wait_loadcnt 0x0
	v_cvt_f16_i16_e32 v2, v2
	s_branch .LBB54_246
.LBB54_245:
	s_mov_b32 s0, -1
                                        ; implicit-def: $vgpr2
.LBB54_246:
	s_delay_alu instid0(SALU_CYCLE_1)
	s_and_not1_b32 vcc_lo, exec_lo, s0
	s_cbranch_vccnz .LBB54_248
; %bb.247:
	global_load_u8 v0, v[0:1], off
	s_wait_loadcnt 0x0
	v_cvt_f16_u16_e32 v2, v0
.LBB54_248:
	s_branch .LBB54_11
.LBB54_249:
	s_mov_b32 s1, 0
.LBB54_250:
	s_mov_b32 s0, 0
                                        ; implicit-def: $vgpr4
.LBB54_251:
	s_and_b32 s12, s1, exec_lo
	s_and_b32 s14, s14, exec_lo
	s_or_not1_b32 s1, s0, exec_lo
.LBB54_252:
	s_wait_xcnt 0x0
	s_or_b32 exec_lo, exec_lo, s15
	s_mov_b32 s17, 0
	s_mov_b32 s0, 0
                                        ; implicit-def: $vgpr0_vgpr1
                                        ; implicit-def: $vgpr2
	s_and_saveexec_b32 s15, s1
	s_cbranch_execz .LBB54_261
; %bb.253:
	s_mov_b32 s0, -1
	s_mov_b32 s16, s14
	s_mov_b32 s17, s12
	s_mov_b32 s18, exec_lo
	v_cmpx_gt_i32_e64 s13, v4
	s_cbranch_execz .LBB54_515
; %bb.254:
	v_mul_lo_u32 v0, v4, s3
	s_and_b32 s0, 0xffff, s10
	s_delay_alu instid0(SALU_CYCLE_1) | instskip(NEXT) | instid1(VALU_DEP_1)
	s_cmp_lt_i32 s0, 11
	v_ashrrev_i32_e32 v1, 31, v0
	s_delay_alu instid0(VALU_DEP_1)
	v_add_nc_u64_e32 v[0:1], s[6:7], v[0:1]
	s_cbranch_scc1 .LBB54_264
; %bb.255:
	s_cmp_gt_i32 s0, 25
	s_cbranch_scc0 .LBB54_273
; %bb.256:
	s_cmp_gt_i32 s0, 28
	s_cbranch_scc0 .LBB54_275
	;; [unrolled: 3-line block ×4, first 2 shown]
; %bb.259:
	s_cmp_eq_u32 s0, 46
	s_mov_b32 s17, 0
	s_cbranch_scc0 .LBB54_285
; %bb.260:
	s_wait_loadcnt 0x0
	global_load_b32 v2, v[0:1], off
	s_mov_b32 s1, -1
	s_mov_b32 s16, 0
	s_wait_loadcnt 0x0
	v_lshlrev_b32_e32 v2, 16, v2
	s_delay_alu instid0(VALU_DEP_1)
	v_cvt_f16_f32_e32 v2, v2
	s_branch .LBB54_287
.LBB54_261:
	s_or_b32 exec_lo, exec_lo, s15
	s_mov_b32 s1, 0
	s_and_saveexec_b32 s13, s14
	s_cbranch_execnz .LBB54_863
.LBB54_262:
	s_or_b32 exec_lo, exec_lo, s13
	s_and_saveexec_b32 s13, s16
	s_delay_alu instid0(SALU_CYCLE_1)
	s_xor_b32 s13, exec_lo, s13
	s_cbranch_execz .LBB54_864
.LBB54_263:
	s_wait_loadcnt 0x0
	global_load_u8 v2, v[0:1], off
	s_or_b32 s0, s0, exec_lo
	s_wait_loadcnt 0x0
	v_cmp_ne_u16_e32 vcc_lo, 0, v2
	v_cndmask_b32_e64 v2, 0, 0x3c00, vcc_lo
	s_wait_xcnt 0x0
	s_or_b32 exec_lo, exec_lo, s13
	s_and_saveexec_b32 s13, s17
	s_cbranch_execz .LBB54_910
	s_branch .LBB54_865
.LBB54_264:
	s_mov_b32 s1, 0
	s_mov_b32 s16, s14
                                        ; implicit-def: $vgpr2
	s_cbranch_execnz .LBB54_464
.LBB54_265:
	s_and_not1_b32 vcc_lo, exec_lo, s1
	s_cbranch_vccnz .LBB54_512
.LBB54_266:
	s_wait_xcnt 0x0
	v_mul_lo_u32 v0, v4, s2
	s_wait_loadcnt 0x0
	v_cmp_eq_f16_e64 s0, 0x7c00, v2
	s_and_b32 s17, s8, 0xff
	s_delay_alu instid0(SALU_CYCLE_1) | instskip(SKIP_1) | instid1(VALU_DEP_1)
	s_cmp_lt_i32 s17, 11
	v_ashrrev_i32_e32 v1, 31, v0
	v_add_nc_u64_e32 v[0:1], s[4:5], v[0:1]
	s_cbranch_scc1 .LBB54_274
; %bb.267:
	s_and_b32 s19, 0xffff, s17
	s_delay_alu instid0(SALU_CYCLE_1)
	s_cmp_gt_i32 s19, 25
	s_cbranch_scc0 .LBB54_276
; %bb.268:
	s_cmp_gt_i32 s19, 28
	s_cbranch_scc0 .LBB54_278
; %bb.269:
	s_cmp_gt_i32 s19, 43
	s_cbranch_scc0 .LBB54_282
; %bb.270:
	s_cmp_gt_i32 s19, 45
	s_cbranch_scc0 .LBB54_290
; %bb.271:
	s_mov_b32 s21, 0
	s_mov_b32 s1, -1
	s_cmp_eq_u32 s19, 46
	s_mov_b32 s20, 0
	s_cbranch_scc0 .LBB54_291
; %bb.272:
	v_cndmask_b32_e64 v2, 0, 1.0, s0
	s_mov_b32 s20, -1
	s_mov_b32 s1, 0
	s_delay_alu instid0(VALU_DEP_1) | instskip(NEXT) | instid1(VALU_DEP_1)
	v_bfe_u32 v3, v2, 16, 1
	v_add3_u32 v2, v2, v3, 0x7fff
	s_delay_alu instid0(VALU_DEP_1)
	v_lshrrev_b32_e32 v2, 16, v2
	global_store_b32 v[0:1], v2, off
	s_branch .LBB54_291
.LBB54_273:
	s_mov_b32 s17, -1
	s_mov_b32 s1, 0
	s_mov_b32 s16, s14
                                        ; implicit-def: $vgpr2
	s_branch .LBB54_428
.LBB54_274:
	s_mov_b32 s19, -1
	s_mov_b32 s20, 0
	s_mov_b32 s1, s12
	s_branch .LBB54_360
.LBB54_275:
	s_mov_b32 s17, -1
	s_mov_b32 s1, 0
	s_mov_b32 s16, s14
                                        ; implicit-def: $vgpr2
	s_branch .LBB54_409
.LBB54_276:
	s_mov_b32 s21, -1
	s_mov_b32 s20, 0
	s_mov_b32 s1, s12
	s_branch .LBB54_318
.LBB54_277:
	s_mov_b32 s17, -1
	s_mov_b32 s1, 0
	s_mov_b32 s16, s14
                                        ; implicit-def: $vgpr2
	s_branch .LBB54_404
.LBB54_278:
	s_mov_b32 s21, -1
	s_mov_b32 s20, 0
	s_mov_b32 s1, s12
	s_branch .LBB54_301
.LBB54_279:
	s_and_not1_saveexec_b32 s20, s20
	s_cbranch_execz .LBB54_54
.LBB54_280:
	v_add_f32_e32 v2, 0x46000000, v3
	s_and_not1_b32 s19, s19, exec_lo
	s_delay_alu instid0(VALU_DEP_1) | instskip(NEXT) | instid1(VALU_DEP_1)
	v_and_b32_e32 v2, 0xff, v2
	v_cmp_ne_u32_e32 vcc_lo, 0, v2
	s_and_b32 s21, vcc_lo, exec_lo
	s_delay_alu instid0(SALU_CYCLE_1)
	s_or_b32 s19, s19, s21
	s_or_b32 exec_lo, exec_lo, s20
	v_mov_b32_e32 v5, 0
	s_and_saveexec_b32 s20, s19
	s_cbranch_execnz .LBB54_55
	s_branch .LBB54_56
.LBB54_281:
	s_mov_b32 s17, -1
	s_mov_b32 s1, 0
	s_mov_b32 s16, s14
	s_branch .LBB54_286
.LBB54_282:
	s_mov_b32 s21, -1
	s_mov_b32 s20, 0
	s_mov_b32 s1, s12
	s_branch .LBB54_297
.LBB54_283:
	s_and_not1_saveexec_b32 s20, s20
	s_cbranch_execz .LBB54_67
.LBB54_284:
	v_add_f32_e32 v2, 0x42800000, v3
	s_and_not1_b32 s19, s19, exec_lo
	s_delay_alu instid0(VALU_DEP_1) | instskip(NEXT) | instid1(VALU_DEP_1)
	v_and_b32_e32 v2, 0xff, v2
	v_cmp_ne_u32_e32 vcc_lo, 0, v2
	s_and_b32 s21, vcc_lo, exec_lo
	s_delay_alu instid0(SALU_CYCLE_1)
	s_or_b32 s19, s19, s21
	s_or_b32 exec_lo, exec_lo, s20
	v_mov_b32_e32 v5, 0
	s_and_saveexec_b32 s20, s19
	s_cbranch_execnz .LBB54_68
	s_branch .LBB54_69
.LBB54_285:
	s_mov_b32 s16, -1
	s_mov_b32 s1, 0
.LBB54_286:
                                        ; implicit-def: $vgpr2
.LBB54_287:
	s_and_b32 vcc_lo, exec_lo, s17
	s_cbranch_vccz .LBB54_403
; %bb.288:
	s_cmp_eq_u32 s0, 44
	s_cbranch_scc0 .LBB54_402
; %bb.289:
	s_wait_loadcnt 0x0
	global_load_u8 v2, v[0:1], off
	s_mov_b32 s16, 0
	s_mov_b32 s1, -1
	s_wait_loadcnt 0x0
	v_lshlrev_b32_e32 v3, 23, v2
	v_cmp_ne_u32_e32 vcc_lo, 0xff, v2
	s_delay_alu instid0(VALU_DEP_2) | instskip(NEXT) | instid1(VALU_DEP_1)
	v_cvt_f16_f32_e32 v3, v3
	v_cndmask_b32_e32 v3, 0x7e00, v3, vcc_lo
	v_cmp_ne_u32_e32 vcc_lo, 0, v2
	s_delay_alu instid0(VALU_DEP_2)
	v_cndmask_b32_e32 v2, 0, v3, vcc_lo
	s_branch .LBB54_403
.LBB54_290:
	s_mov_b32 s21, -1
	s_mov_b32 s20, 0
	s_mov_b32 s1, s12
.LBB54_291:
	s_and_b32 vcc_lo, exec_lo, s21
	s_cbranch_vccz .LBB54_296
; %bb.292:
	s_cmp_eq_u32 s19, 44
	s_mov_b32 s1, -1
	s_cbranch_scc0 .LBB54_296
; %bb.293:
	v_cndmask_b32_e64 v5, 0, 1.0, s0
	s_mov_b32 s20, exec_lo
	s_wait_xcnt 0x0
	s_delay_alu instid0(VALU_DEP_1) | instskip(NEXT) | instid1(VALU_DEP_1)
	v_dual_mov_b32 v3, 0xff :: v_dual_lshrrev_b32 v2, 23, v5
	v_cmpx_ne_u32_e32 0xff, v2
; %bb.294:
	v_and_b32_e32 v3, 0x400000, v5
	v_and_or_b32 v5, 0x3fffff, v5, v2
	s_delay_alu instid0(VALU_DEP_2) | instskip(NEXT) | instid1(VALU_DEP_2)
	v_cmp_ne_u32_e32 vcc_lo, 0, v3
	v_cmp_ne_u32_e64 s1, 0, v5
	s_and_b32 s1, vcc_lo, s1
	s_delay_alu instid0(SALU_CYCLE_1) | instskip(NEXT) | instid1(VALU_DEP_1)
	v_cndmask_b32_e64 v3, 0, 1, s1
	v_add_nc_u32_e32 v3, v2, v3
; %bb.295:
	s_or_b32 exec_lo, exec_lo, s20
	s_mov_b32 s20, -1
	s_mov_b32 s1, 0
	global_store_b8 v[0:1], v3, off
.LBB54_296:
	s_mov_b32 s21, 0
.LBB54_297:
	s_delay_alu instid0(SALU_CYCLE_1)
	s_and_b32 vcc_lo, exec_lo, s21
	s_cbranch_vccz .LBB54_300
; %bb.298:
	s_cmp_eq_u32 s19, 29
	s_mov_b32 s1, -1
	s_cbranch_scc0 .LBB54_300
; %bb.299:
	s_mov_b32 s1, 0
	s_wait_xcnt 0x0
	v_cndmask_b32_e64 v2, 0, 1, s0
	v_mov_b32_e32 v3, s1
	s_mov_b32 s20, -1
	s_mov_b32 s21, 0
	global_store_b64 v[0:1], v[2:3], off
	s_branch .LBB54_301
.LBB54_300:
	s_mov_b32 s21, 0
.LBB54_301:
	s_delay_alu instid0(SALU_CYCLE_1)
	s_and_b32 vcc_lo, exec_lo, s21
	s_cbranch_vccz .LBB54_317
; %bb.302:
	s_cmp_lt_i32 s19, 27
	s_mov_b32 s20, -1
	s_cbranch_scc1 .LBB54_308
; %bb.303:
	s_cmp_gt_i32 s19, 27
	s_cbranch_scc0 .LBB54_305
; %bb.304:
	s_wait_xcnt 0x0
	v_cndmask_b32_e64 v2, 0, 1, s0
	s_mov_b32 s20, 0
	global_store_b32 v[0:1], v2, off
.LBB54_305:
	s_and_not1_b32 vcc_lo, exec_lo, s20
	s_cbranch_vccnz .LBB54_307
; %bb.306:
	s_wait_xcnt 0x0
	v_cndmask_b32_e64 v2, 0, 1, s0
	global_store_b16 v[0:1], v2, off
.LBB54_307:
	s_mov_b32 s20, 0
.LBB54_308:
	s_delay_alu instid0(SALU_CYCLE_1)
	s_and_not1_b32 vcc_lo, exec_lo, s20
	s_cbranch_vccnz .LBB54_316
; %bb.309:
	s_wait_xcnt 0x0
	v_cndmask_b32_e64 v3, 0, 1.0, s0
	v_mov_b32_e32 v5, 0x80
	s_mov_b32 s20, exec_lo
	s_delay_alu instid0(VALU_DEP_2)
	v_cmpx_gt_u32_e32 0x43800000, v3
	s_cbranch_execz .LBB54_315
; %bb.310:
	s_mov_b32 s21, 0
	s_mov_b32 s22, exec_lo
                                        ; implicit-def: $vgpr2
	v_cmpx_lt_u32_e32 0x3bffffff, v3
	s_xor_b32 s22, exec_lo, s22
	s_cbranch_execz .LBB54_528
; %bb.311:
	v_bfe_u32 v2, v3, 20, 1
	s_mov_b32 s21, exec_lo
	s_delay_alu instid0(VALU_DEP_1) | instskip(NEXT) | instid1(VALU_DEP_1)
	v_add3_u32 v2, v3, v2, 0x487ffff
                                        ; implicit-def: $vgpr3
	v_lshrrev_b32_e32 v2, 20, v2
	s_and_not1_saveexec_b32 s22, s22
	s_cbranch_execnz .LBB54_529
.LBB54_312:
	s_or_b32 exec_lo, exec_lo, s22
	v_mov_b32_e32 v5, 0
	s_and_saveexec_b32 s22, s21
.LBB54_313:
	v_mov_b32_e32 v5, v2
.LBB54_314:
	s_or_b32 exec_lo, exec_lo, s22
.LBB54_315:
	s_delay_alu instid0(SALU_CYCLE_1)
	s_or_b32 exec_lo, exec_lo, s20
	global_store_b8 v[0:1], v5, off
.LBB54_316:
	s_mov_b32 s20, -1
.LBB54_317:
	s_mov_b32 s21, 0
.LBB54_318:
	s_delay_alu instid0(SALU_CYCLE_1)
	s_and_b32 vcc_lo, exec_lo, s21
	s_cbranch_vccz .LBB54_359
; %bb.319:
	s_cmp_gt_i32 s19, 22
	s_mov_b32 s21, -1
	s_cbranch_scc0 .LBB54_351
; %bb.320:
	s_cmp_lt_i32 s19, 24
	s_mov_b32 s20, -1
	s_cbranch_scc1 .LBB54_340
; %bb.321:
	s_cmp_gt_i32 s19, 24
	s_cbranch_scc0 .LBB54_329
; %bb.322:
	s_wait_xcnt 0x0
	v_cndmask_b32_e64 v3, 0, 1.0, s0
	v_mov_b32_e32 v5, 0x80
	s_mov_b32 s20, exec_lo
	s_delay_alu instid0(VALU_DEP_2)
	v_cmpx_gt_u32_e32 0x47800000, v3
	s_cbranch_execz .LBB54_328
; %bb.323:
	s_mov_b32 s21, 0
	s_mov_b32 s22, exec_lo
                                        ; implicit-def: $vgpr2
	v_cmpx_lt_u32_e32 0x37ffffff, v3
	s_xor_b32 s22, exec_lo, s22
	s_cbranch_execz .LBB54_531
; %bb.324:
	v_bfe_u32 v2, v3, 21, 1
	s_mov_b32 s21, exec_lo
	s_delay_alu instid0(VALU_DEP_1) | instskip(NEXT) | instid1(VALU_DEP_1)
	v_add3_u32 v2, v3, v2, 0x88fffff
                                        ; implicit-def: $vgpr3
	v_lshrrev_b32_e32 v2, 21, v2
	s_and_not1_saveexec_b32 s22, s22
	s_cbranch_execnz .LBB54_532
.LBB54_325:
	s_or_b32 exec_lo, exec_lo, s22
	v_mov_b32_e32 v5, 0
	s_and_saveexec_b32 s22, s21
.LBB54_326:
	v_mov_b32_e32 v5, v2
.LBB54_327:
	s_or_b32 exec_lo, exec_lo, s22
.LBB54_328:
	s_delay_alu instid0(SALU_CYCLE_1)
	s_or_b32 exec_lo, exec_lo, s20
	s_mov_b32 s20, 0
	global_store_b8 v[0:1], v5, off
.LBB54_329:
	s_and_b32 vcc_lo, exec_lo, s20
	s_cbranch_vccz .LBB54_339
; %bb.330:
	s_wait_xcnt 0x0
	v_cndmask_b32_e64 v3, 0, 1.0, s0
	s_mov_b32 s20, exec_lo
                                        ; implicit-def: $vgpr2
	s_delay_alu instid0(VALU_DEP_1)
	v_cmpx_gt_u32_e32 0x43f00000, v3
	s_xor_b32 s20, exec_lo, s20
	s_cbranch_execz .LBB54_336
; %bb.331:
	s_mov_b32 s21, exec_lo
                                        ; implicit-def: $vgpr2
	v_cmpx_lt_u32_e32 0x3c7fffff, v3
	s_xor_b32 s21, exec_lo, s21
; %bb.332:
	v_bfe_u32 v2, v3, 20, 1
	s_delay_alu instid0(VALU_DEP_1) | instskip(NEXT) | instid1(VALU_DEP_1)
	v_add3_u32 v2, v3, v2, 0x407ffff
	v_and_b32_e32 v3, 0xff00000, v2
	v_lshrrev_b32_e32 v2, 20, v2
	s_delay_alu instid0(VALU_DEP_2) | instskip(NEXT) | instid1(VALU_DEP_2)
	v_cmp_ne_u32_e32 vcc_lo, 0x7f00000, v3
                                        ; implicit-def: $vgpr3
	v_cndmask_b32_e32 v2, 0x7e, v2, vcc_lo
; %bb.333:
	s_and_not1_saveexec_b32 s21, s21
; %bb.334:
	v_add_f32_e32 v2, 0x46800000, v3
; %bb.335:
	s_or_b32 exec_lo, exec_lo, s21
                                        ; implicit-def: $vgpr3
.LBB54_336:
	s_and_not1_saveexec_b32 s20, s20
; %bb.337:
	v_mov_b32_e32 v2, 0x7f
	v_cmp_lt_u32_e32 vcc_lo, 0x7f800000, v3
	s_delay_alu instid0(VALU_DEP_2)
	v_cndmask_b32_e32 v2, 0x7e, v2, vcc_lo
; %bb.338:
	s_or_b32 exec_lo, exec_lo, s20
	global_store_b8 v[0:1], v2, off
.LBB54_339:
	s_mov_b32 s20, 0
.LBB54_340:
	s_delay_alu instid0(SALU_CYCLE_1)
	s_and_not1_b32 vcc_lo, exec_lo, s20
	s_cbranch_vccnz .LBB54_350
; %bb.341:
	s_wait_xcnt 0x0
	v_cndmask_b32_e64 v3, 0, 1.0, s0
	s_mov_b32 s20, exec_lo
                                        ; implicit-def: $vgpr2
	s_delay_alu instid0(VALU_DEP_1)
	v_cmpx_gt_u32_e32 0x47800000, v3
	s_xor_b32 s20, exec_lo, s20
	s_cbranch_execz .LBB54_347
; %bb.342:
	s_mov_b32 s21, exec_lo
                                        ; implicit-def: $vgpr2
	v_cmpx_lt_u32_e32 0x387fffff, v3
	s_xor_b32 s21, exec_lo, s21
; %bb.343:
	v_bfe_u32 v2, v3, 21, 1
	s_delay_alu instid0(VALU_DEP_1) | instskip(NEXT) | instid1(VALU_DEP_1)
	v_add3_u32 v2, v3, v2, 0x80fffff
                                        ; implicit-def: $vgpr3
	v_lshrrev_b32_e32 v2, 21, v2
; %bb.344:
	s_and_not1_saveexec_b32 s21, s21
; %bb.345:
	v_add_f32_e32 v2, 0x43000000, v3
; %bb.346:
	s_or_b32 exec_lo, exec_lo, s21
                                        ; implicit-def: $vgpr3
.LBB54_347:
	s_and_not1_saveexec_b32 s20, s20
; %bb.348:
	v_mov_b32_e32 v2, 0x7f
	v_cmp_lt_u32_e32 vcc_lo, 0x7f800000, v3
	s_delay_alu instid0(VALU_DEP_2)
	v_cndmask_b32_e32 v2, 0x7c, v2, vcc_lo
; %bb.349:
	s_or_b32 exec_lo, exec_lo, s20
	global_store_b8 v[0:1], v2, off
.LBB54_350:
	s_mov_b32 s21, 0
	s_mov_b32 s20, -1
.LBB54_351:
	s_and_not1_b32 vcc_lo, exec_lo, s21
	s_cbranch_vccnz .LBB54_359
; %bb.352:
	s_cmp_gt_i32 s19, 14
	s_mov_b32 s21, -1
	s_cbranch_scc0 .LBB54_356
; %bb.353:
	s_cmp_eq_u32 s19, 15
	s_mov_b32 s1, -1
	s_cbranch_scc0 .LBB54_355
; %bb.354:
	s_wait_xcnt 0x0
	v_cndmask_b32_e64 v2, 0, 1.0, s0
	s_mov_b32 s20, -1
	s_mov_b32 s1, 0
	s_delay_alu instid0(VALU_DEP_1) | instskip(NEXT) | instid1(VALU_DEP_1)
	v_bfe_u32 v3, v2, 16, 1
	v_add3_u32 v2, v2, v3, 0x7fff
	global_store_d16_hi_b16 v[0:1], v2, off
.LBB54_355:
	s_mov_b32 s21, 0
.LBB54_356:
	s_delay_alu instid0(SALU_CYCLE_1)
	s_and_b32 vcc_lo, exec_lo, s21
	s_cbranch_vccz .LBB54_359
; %bb.357:
	s_cmp_eq_u32 s19, 11
	s_mov_b32 s1, -1
	s_cbranch_scc0 .LBB54_359
; %bb.358:
	s_wait_xcnt 0x0
	v_cndmask_b32_e64 v2, 0, 1, s0
	s_mov_b32 s20, -1
	s_mov_b32 s1, 0
	global_store_b8 v[0:1], v2, off
.LBB54_359:
	s_mov_b32 s19, 0
.LBB54_360:
	s_delay_alu instid0(SALU_CYCLE_1)
	s_and_b32 vcc_lo, exec_lo, s19
	s_cbranch_vccz .LBB54_399
; %bb.361:
	s_and_b32 s17, 0xffff, s17
	s_mov_b32 s19, -1
	s_cmp_lt_i32 s17, 5
	s_cbranch_scc1 .LBB54_382
; %bb.362:
	s_cmp_lt_i32 s17, 8
	s_cbranch_scc1 .LBB54_372
; %bb.363:
	;; [unrolled: 3-line block ×3, first 2 shown]
	s_cmp_gt_i32 s17, 9
	s_cbranch_scc0 .LBB54_366
; %bb.365:
	s_wait_xcnt 0x0
	v_cndmask_b32_e64 v2, 0, 1, s0
	v_mov_b32_e32 v8, 0
	s_mov_b32 s19, 0
	s_delay_alu instid0(VALU_DEP_2) | instskip(NEXT) | instid1(VALU_DEP_2)
	v_cvt_f64_u32_e32 v[6:7], v2
	v_mov_b32_e32 v9, v8
	global_store_b128 v[0:1], v[6:9], off
.LBB54_366:
	s_and_not1_b32 vcc_lo, exec_lo, s19
	s_cbranch_vccnz .LBB54_368
; %bb.367:
	s_wait_xcnt 0x0
	v_cndmask_b32_e64 v2, 0, 1.0, s0
	v_mov_b32_e32 v3, 0
	global_store_b64 v[0:1], v[2:3], off
.LBB54_368:
	s_mov_b32 s19, 0
.LBB54_369:
	s_delay_alu instid0(SALU_CYCLE_1)
	s_and_not1_b32 vcc_lo, exec_lo, s19
	s_cbranch_vccnz .LBB54_371
; %bb.370:
	s_wait_xcnt 0x0
	v_cndmask_b32_e64 v2, 0, 1.0, s0
	s_delay_alu instid0(VALU_DEP_1) | instskip(NEXT) | instid1(VALU_DEP_1)
	v_cvt_f16_f32_e32 v2, v2
	v_and_b32_e32 v2, 0xffff, v2
	global_store_b32 v[0:1], v2, off
.LBB54_371:
	s_mov_b32 s19, 0
.LBB54_372:
	s_delay_alu instid0(SALU_CYCLE_1)
	s_and_not1_b32 vcc_lo, exec_lo, s19
	s_cbranch_vccnz .LBB54_381
; %bb.373:
	s_cmp_lt_i32 s17, 6
	s_mov_b32 s19, -1
	s_cbranch_scc1 .LBB54_379
; %bb.374:
	s_cmp_gt_i32 s17, 6
	s_cbranch_scc0 .LBB54_376
; %bb.375:
	s_wait_xcnt 0x0
	v_cndmask_b32_e64 v2, 0, 1, s0
	s_mov_b32 s19, 0
	s_delay_alu instid0(VALU_DEP_1)
	v_cvt_f64_u32_e32 v[2:3], v2
	global_store_b64 v[0:1], v[2:3], off
.LBB54_376:
	s_and_not1_b32 vcc_lo, exec_lo, s19
	s_cbranch_vccnz .LBB54_378
; %bb.377:
	s_wait_xcnt 0x0
	v_cndmask_b32_e64 v2, 0, 1.0, s0
	global_store_b32 v[0:1], v2, off
.LBB54_378:
	s_mov_b32 s19, 0
.LBB54_379:
	s_delay_alu instid0(SALU_CYCLE_1)
	s_and_not1_b32 vcc_lo, exec_lo, s19
	s_cbranch_vccnz .LBB54_381
; %bb.380:
	s_wait_xcnt 0x0
	v_cndmask_b32_e64 v2, 0, 1.0, s0
	s_delay_alu instid0(VALU_DEP_1)
	v_cvt_f16_f32_e32 v2, v2
	global_store_b16 v[0:1], v2, off
.LBB54_381:
	s_mov_b32 s19, 0
.LBB54_382:
	s_delay_alu instid0(SALU_CYCLE_1)
	s_and_not1_b32 vcc_lo, exec_lo, s19
	s_cbranch_vccnz .LBB54_398
; %bb.383:
	s_cmp_lt_i32 s17, 2
	s_mov_b32 s19, -1
	s_cbranch_scc1 .LBB54_393
; %bb.384:
	s_cmp_lt_i32 s17, 3
	s_cbranch_scc1 .LBB54_390
; %bb.385:
	s_cmp_gt_i32 s17, 3
	s_cbranch_scc0 .LBB54_387
; %bb.386:
	s_mov_b32 s19, 0
	s_wait_xcnt 0x0
	v_cndmask_b32_e64 v2, 0, 1, s0
	v_mov_b32_e32 v3, s19
	global_store_b64 v[0:1], v[2:3], off
.LBB54_387:
	s_and_not1_b32 vcc_lo, exec_lo, s19
	s_cbranch_vccnz .LBB54_389
; %bb.388:
	s_wait_xcnt 0x0
	v_cndmask_b32_e64 v2, 0, 1, s0
	global_store_b32 v[0:1], v2, off
.LBB54_389:
	s_mov_b32 s19, 0
.LBB54_390:
	s_delay_alu instid0(SALU_CYCLE_1)
	s_and_not1_b32 vcc_lo, exec_lo, s19
	s_cbranch_vccnz .LBB54_392
; %bb.391:
	s_wait_xcnt 0x0
	v_cndmask_b32_e64 v2, 0, 1, s0
	global_store_b16 v[0:1], v2, off
.LBB54_392:
	s_mov_b32 s19, 0
.LBB54_393:
	s_delay_alu instid0(SALU_CYCLE_1)
	s_and_not1_b32 vcc_lo, exec_lo, s19
	s_cbranch_vccnz .LBB54_398
; %bb.394:
	s_wait_xcnt 0x0
	v_cndmask_b32_e64 v2, 0, 1, s0
	s_cmp_gt_i32 s17, 0
	s_mov_b32 s0, -1
	s_cbranch_scc0 .LBB54_396
; %bb.395:
	s_mov_b32 s0, 0
	global_store_b8 v[0:1], v2, off
.LBB54_396:
	s_and_not1_b32 vcc_lo, exec_lo, s0
	s_cbranch_vccnz .LBB54_398
; %bb.397:
	global_store_b8 v[0:1], v2, off
.LBB54_398:
	s_mov_b32 s20, -1
.LBB54_399:
	s_delay_alu instid0(SALU_CYCLE_1)
	s_and_not1_b32 vcc_lo, exec_lo, s20
	s_cbranch_vccnz .LBB54_401
; %bb.400:
	v_add_nc_u32_e32 v4, 0x80, v4
	s_mov_b32 s0, -1
	s_branch .LBB54_514
.LBB54_401:
	s_mov_b32 s0, 0
	s_branch .LBB54_513
.LBB54_402:
	s_mov_b32 s16, -1
                                        ; implicit-def: $vgpr2
.LBB54_403:
	s_mov_b32 s17, 0
.LBB54_404:
	s_delay_alu instid0(SALU_CYCLE_1)
	s_and_b32 vcc_lo, exec_lo, s17
	s_cbranch_vccz .LBB54_408
; %bb.405:
	s_cmp_eq_u32 s0, 29
	s_cbranch_scc0 .LBB54_407
; %bb.406:
	s_wait_loadcnt 0x0
	global_load_b64 v[2:3], v[0:1], off
	s_mov_b32 s1, -1
	s_mov_b32 s16, 0
	s_mov_b32 s17, 0
	s_wait_loadcnt 0x0
	v_clz_i32_u32_e32 v5, v3
	s_delay_alu instid0(VALU_DEP_1) | instskip(NEXT) | instid1(VALU_DEP_1)
	v_min_u32_e32 v5, 32, v5
	v_lshlrev_b64_e32 v[2:3], v5, v[2:3]
	s_delay_alu instid0(VALU_DEP_1) | instskip(NEXT) | instid1(VALU_DEP_1)
	v_min_u32_e32 v2, 1, v2
	v_dual_sub_nc_u32 v3, 32, v5 :: v_dual_bitop2_b32 v2, v3, v2 bitop3:0x54
	s_delay_alu instid0(VALU_DEP_1) | instskip(NEXT) | instid1(VALU_DEP_1)
	v_cvt_f32_u32_e32 v2, v2
	v_ldexp_f32 v2, v2, v3
	s_delay_alu instid0(VALU_DEP_1)
	v_cvt_f16_f32_e32 v2, v2
	s_branch .LBB54_409
.LBB54_407:
	s_mov_b32 s16, -1
                                        ; implicit-def: $vgpr2
.LBB54_408:
	s_mov_b32 s17, 0
.LBB54_409:
	s_delay_alu instid0(SALU_CYCLE_1)
	s_and_b32 vcc_lo, exec_lo, s17
	s_cbranch_vccz .LBB54_427
; %bb.410:
	s_cmp_lt_i32 s0, 27
	s_cbranch_scc1 .LBB54_413
; %bb.411:
	s_cmp_gt_i32 s0, 27
	s_cbranch_scc0 .LBB54_414
; %bb.412:
	s_wait_loadcnt 0x0
	global_load_b32 v2, v[0:1], off
	s_mov_b32 s1, 0
	s_wait_loadcnt 0x0
	v_cvt_f32_u32_e32 v2, v2
	s_delay_alu instid0(VALU_DEP_1)
	v_cvt_f16_f32_e32 v2, v2
	s_branch .LBB54_415
.LBB54_413:
	s_mov_b32 s1, -1
                                        ; implicit-def: $vgpr2
	s_branch .LBB54_418
.LBB54_414:
	s_mov_b32 s1, -1
                                        ; implicit-def: $vgpr2
.LBB54_415:
	s_delay_alu instid0(SALU_CYCLE_1)
	s_and_not1_b32 vcc_lo, exec_lo, s1
	s_cbranch_vccnz .LBB54_417
; %bb.416:
	s_wait_loadcnt 0x0
	global_load_u16 v2, v[0:1], off
	s_wait_loadcnt 0x0
	v_cvt_f16_u16_e32 v2, v2
.LBB54_417:
	s_mov_b32 s1, 0
.LBB54_418:
	s_delay_alu instid0(SALU_CYCLE_1)
	s_and_not1_b32 vcc_lo, exec_lo, s1
	s_cbranch_vccnz .LBB54_426
; %bb.419:
	global_load_u8 v3, v[0:1], off
	s_mov_b32 s1, 0
	s_mov_b32 s17, exec_lo
	s_wait_loadcnt 0x0
	v_cmpx_lt_i16_e32 0x7f, v3
	s_xor_b32 s17, exec_lo, s17
	s_cbranch_execz .LBB54_440
; %bb.420:
	s_mov_b32 s1, -1
	s_mov_b32 s19, exec_lo
	v_cmpx_eq_u16_e32 0x80, v3
; %bb.421:
	s_xor_b32 s1, exec_lo, -1
; %bb.422:
	s_or_b32 exec_lo, exec_lo, s19
	s_delay_alu instid0(SALU_CYCLE_1)
	s_and_b32 s1, s1, exec_lo
	s_or_saveexec_b32 s17, s17
	v_mov_b32_e32 v2, 0x7e00
	s_xor_b32 exec_lo, exec_lo, s17
	s_cbranch_execnz .LBB54_441
.LBB54_423:
	s_or_b32 exec_lo, exec_lo, s17
	s_and_saveexec_b32 s17, s1
	s_cbranch_execz .LBB54_425
.LBB54_424:
	v_and_b32_e32 v2, 0xffff, v3
	s_delay_alu instid0(VALU_DEP_1) | instskip(SKIP_1) | instid1(VALU_DEP_2)
	v_dual_lshlrev_b32 v3, 24, v3 :: v_dual_bitop2_b32 v5, 7, v2 bitop3:0x40
	v_bfe_u32 v8, v2, 3, 4
	v_and_b32_e32 v3, 0x80000000, v3
	s_delay_alu instid0(VALU_DEP_3) | instskip(NEXT) | instid1(VALU_DEP_3)
	v_clz_i32_u32_e32 v6, v5
	v_cmp_eq_u32_e32 vcc_lo, 0, v8
	s_delay_alu instid0(VALU_DEP_2) | instskip(NEXT) | instid1(VALU_DEP_1)
	v_min_u32_e32 v6, 32, v6
	v_subrev_nc_u32_e32 v7, 28, v6
	v_sub_nc_u32_e32 v6, 29, v6
	s_delay_alu instid0(VALU_DEP_2) | instskip(NEXT) | instid1(VALU_DEP_2)
	v_lshlrev_b32_e32 v2, v7, v2
	v_cndmask_b32_e32 v6, v8, v6, vcc_lo
	s_delay_alu instid0(VALU_DEP_2) | instskip(NEXT) | instid1(VALU_DEP_1)
	v_and_b32_e32 v2, 7, v2
	v_cndmask_b32_e32 v2, v5, v2, vcc_lo
	s_delay_alu instid0(VALU_DEP_3) | instskip(NEXT) | instid1(VALU_DEP_2)
	v_lshl_add_u32 v5, v6, 23, 0x3b800000
	v_lshlrev_b32_e32 v2, 20, v2
	s_delay_alu instid0(VALU_DEP_1) | instskip(NEXT) | instid1(VALU_DEP_1)
	v_or3_b32 v2, v3, v5, v2
	v_cvt_f16_f32_e32 v2, v2
.LBB54_425:
	s_or_b32 exec_lo, exec_lo, s17
.LBB54_426:
	s_mov_b32 s1, -1
.LBB54_427:
	s_mov_b32 s17, 0
.LBB54_428:
	s_delay_alu instid0(SALU_CYCLE_1)
	s_and_b32 vcc_lo, exec_lo, s17
	s_cbranch_vccz .LBB54_463
; %bb.429:
	s_cmp_gt_i32 s0, 22
	s_cbranch_scc0 .LBB54_439
; %bb.430:
	s_cmp_lt_i32 s0, 24
	s_cbranch_scc1 .LBB54_442
; %bb.431:
	s_cmp_gt_i32 s0, 24
	s_cbranch_scc0 .LBB54_443
; %bb.432:
	global_load_u8 v3, v[0:1], off
	s_mov_b32 s1, 0
	s_mov_b32 s17, exec_lo
	s_wait_loadcnt 0x0
	v_cmpx_lt_i16_e32 0x7f, v3
	s_xor_b32 s17, exec_lo, s17
	s_cbranch_execz .LBB54_455
; %bb.433:
	s_mov_b32 s1, -1
	s_mov_b32 s19, exec_lo
	v_cmpx_eq_u16_e32 0x80, v3
; %bb.434:
	s_xor_b32 s1, exec_lo, -1
; %bb.435:
	s_or_b32 exec_lo, exec_lo, s19
	s_delay_alu instid0(SALU_CYCLE_1)
	s_and_b32 s1, s1, exec_lo
	s_or_saveexec_b32 s17, s17
	v_mov_b32_e32 v2, 0x7e00
	s_xor_b32 exec_lo, exec_lo, s17
	s_cbranch_execnz .LBB54_456
.LBB54_436:
	s_or_b32 exec_lo, exec_lo, s17
	s_and_saveexec_b32 s17, s1
	s_cbranch_execz .LBB54_438
.LBB54_437:
	v_and_b32_e32 v2, 0xffff, v3
	s_delay_alu instid0(VALU_DEP_1) | instskip(SKIP_1) | instid1(VALU_DEP_2)
	v_dual_lshlrev_b32 v3, 24, v3 :: v_dual_bitop2_b32 v5, 3, v2 bitop3:0x40
	v_bfe_u32 v8, v2, 2, 5
	v_and_b32_e32 v3, 0x80000000, v3
	s_delay_alu instid0(VALU_DEP_3) | instskip(NEXT) | instid1(VALU_DEP_3)
	v_clz_i32_u32_e32 v6, v5
	v_cmp_eq_u32_e32 vcc_lo, 0, v8
	s_delay_alu instid0(VALU_DEP_2) | instskip(NEXT) | instid1(VALU_DEP_1)
	v_min_u32_e32 v6, 32, v6
	v_subrev_nc_u32_e32 v7, 29, v6
	v_sub_nc_u32_e32 v6, 30, v6
	s_delay_alu instid0(VALU_DEP_2) | instskip(NEXT) | instid1(VALU_DEP_2)
	v_lshlrev_b32_e32 v2, v7, v2
	v_cndmask_b32_e32 v6, v8, v6, vcc_lo
	s_delay_alu instid0(VALU_DEP_2) | instskip(NEXT) | instid1(VALU_DEP_1)
	v_and_b32_e32 v2, 3, v2
	v_cndmask_b32_e32 v2, v5, v2, vcc_lo
	s_delay_alu instid0(VALU_DEP_3) | instskip(NEXT) | instid1(VALU_DEP_2)
	v_lshl_add_u32 v5, v6, 23, 0x37800000
	v_lshlrev_b32_e32 v2, 21, v2
	s_delay_alu instid0(VALU_DEP_1) | instskip(NEXT) | instid1(VALU_DEP_1)
	v_or3_b32 v2, v3, v5, v2
	v_cvt_f16_f32_e32 v2, v2
.LBB54_438:
	s_or_b32 exec_lo, exec_lo, s17
	s_mov_b32 s1, 0
	s_branch .LBB54_444
.LBB54_439:
	s_mov_b32 s17, -1
                                        ; implicit-def: $vgpr2
	s_branch .LBB54_450
.LBB54_440:
	s_or_saveexec_b32 s17, s17
	v_mov_b32_e32 v2, 0x7e00
	s_xor_b32 exec_lo, exec_lo, s17
	s_cbranch_execz .LBB54_423
.LBB54_441:
	v_cmp_ne_u16_e32 vcc_lo, 0, v3
	v_mov_b32_e32 v2, v3
	s_and_not1_b32 s1, s1, exec_lo
	s_and_b32 s19, vcc_lo, exec_lo
	s_delay_alu instid0(SALU_CYCLE_1)
	s_or_b32 s1, s1, s19
	s_or_b32 exec_lo, exec_lo, s17
	s_and_saveexec_b32 s17, s1
	s_cbranch_execnz .LBB54_424
	s_branch .LBB54_425
.LBB54_442:
	s_mov_b32 s1, -1
                                        ; implicit-def: $vgpr2
	s_branch .LBB54_447
.LBB54_443:
	s_mov_b32 s1, -1
                                        ; implicit-def: $vgpr2
.LBB54_444:
	s_delay_alu instid0(SALU_CYCLE_1)
	s_and_b32 vcc_lo, exec_lo, s1
	s_cbranch_vccz .LBB54_446
; %bb.445:
	s_wait_loadcnt 0x0
	global_load_u8 v2, v[0:1], off
	s_wait_loadcnt 0x0
	v_lshlrev_b32_e32 v2, 24, v2
	s_delay_alu instid0(VALU_DEP_1) | instskip(NEXT) | instid1(VALU_DEP_1)
	v_and_b32_e32 v3, 0x7f000000, v2
	v_clz_i32_u32_e32 v5, v3
	v_add_nc_u32_e32 v7, 0x1000000, v3
	v_cmp_ne_u32_e32 vcc_lo, 0, v3
	s_delay_alu instid0(VALU_DEP_3) | instskip(NEXT) | instid1(VALU_DEP_1)
	v_min_u32_e32 v5, 32, v5
	v_sub_nc_u32_e64 v5, v5, 4 clamp
	s_delay_alu instid0(VALU_DEP_1) | instskip(NEXT) | instid1(VALU_DEP_1)
	v_dual_lshlrev_b32 v6, v5, v3 :: v_dual_lshlrev_b32 v5, 23, v5
	v_lshrrev_b32_e32 v6, 4, v6
	s_delay_alu instid0(VALU_DEP_1) | instskip(NEXT) | instid1(VALU_DEP_1)
	v_dual_sub_nc_u32 v5, v6, v5 :: v_dual_ashrrev_i32 v6, 8, v7
	v_add_nc_u32_e32 v5, 0x3c000000, v5
	s_delay_alu instid0(VALU_DEP_1) | instskip(NEXT) | instid1(VALU_DEP_1)
	v_and_or_b32 v5, 0x7f800000, v6, v5
	v_cndmask_b32_e32 v3, 0, v5, vcc_lo
	s_delay_alu instid0(VALU_DEP_1) | instskip(NEXT) | instid1(VALU_DEP_1)
	v_and_or_b32 v2, 0x80000000, v2, v3
	v_cvt_f16_f32_e32 v2, v2
.LBB54_446:
	s_mov_b32 s1, 0
.LBB54_447:
	s_delay_alu instid0(SALU_CYCLE_1)
	s_and_not1_b32 vcc_lo, exec_lo, s1
	s_cbranch_vccnz .LBB54_449
; %bb.448:
	s_wait_loadcnt 0x0
	global_load_u8 v2, v[0:1], off
	s_wait_loadcnt 0x0
	v_lshlrev_b32_e32 v3, 25, v2
	v_lshlrev_b16 v2, 8, v2
	s_delay_alu instid0(VALU_DEP_2) | instskip(NEXT) | instid1(VALU_DEP_2)
	v_cmp_gt_u32_e32 vcc_lo, 0x8000000, v3
	v_and_or_b32 v6, 0x7f00, v2, 0.5
	v_lshrrev_b32_e32 v5, 4, v3
	v_bfe_i32 v2, v2, 0, 16
	s_delay_alu instid0(VALU_DEP_3) | instskip(NEXT) | instid1(VALU_DEP_3)
	v_add_f32_e32 v6, -0.5, v6
	v_or_b32_e32 v5, 0x70000000, v5
	s_delay_alu instid0(VALU_DEP_1) | instskip(NEXT) | instid1(VALU_DEP_1)
	v_mul_f32_e32 v5, 0x7800000, v5
	v_cndmask_b32_e32 v3, v5, v6, vcc_lo
	s_delay_alu instid0(VALU_DEP_1) | instskip(NEXT) | instid1(VALU_DEP_1)
	v_and_or_b32 v2, 0x80000000, v2, v3
	v_cvt_f16_f32_e32 v2, v2
.LBB54_449:
	s_mov_b32 s17, 0
	s_mov_b32 s1, -1
.LBB54_450:
	s_and_not1_b32 vcc_lo, exec_lo, s17
	s_cbranch_vccnz .LBB54_463
; %bb.451:
	s_cmp_gt_i32 s0, 14
	s_cbranch_scc0 .LBB54_454
; %bb.452:
	s_cmp_eq_u32 s0, 15
	s_cbranch_scc0 .LBB54_457
; %bb.453:
	s_wait_loadcnt 0x0
	global_load_u16 v2, v[0:1], off
	s_mov_b32 s1, -1
	s_mov_b32 s16, 0
	s_wait_loadcnt 0x0
	v_lshlrev_b32_e32 v2, 16, v2
	s_delay_alu instid0(VALU_DEP_1)
	v_cvt_f16_f32_e32 v2, v2
	s_branch .LBB54_458
.LBB54_454:
	s_mov_b32 s17, -1
                                        ; implicit-def: $vgpr2
	s_branch .LBB54_459
.LBB54_455:
	s_or_saveexec_b32 s17, s17
	v_mov_b32_e32 v2, 0x7e00
	s_xor_b32 exec_lo, exec_lo, s17
	s_cbranch_execz .LBB54_436
.LBB54_456:
	v_cmp_ne_u16_e32 vcc_lo, 0, v3
	v_mov_b32_e32 v2, v3
	s_and_not1_b32 s1, s1, exec_lo
	s_and_b32 s19, vcc_lo, exec_lo
	s_delay_alu instid0(SALU_CYCLE_1)
	s_or_b32 s1, s1, s19
	s_or_b32 exec_lo, exec_lo, s17
	s_and_saveexec_b32 s17, s1
	s_cbranch_execnz .LBB54_437
	s_branch .LBB54_438
.LBB54_457:
	s_mov_b32 s16, -1
                                        ; implicit-def: $vgpr2
.LBB54_458:
	s_mov_b32 s17, 0
.LBB54_459:
	s_delay_alu instid0(SALU_CYCLE_1)
	s_and_b32 vcc_lo, exec_lo, s17
	s_cbranch_vccz .LBB54_463
; %bb.460:
	s_cmp_eq_u32 s0, 11
	s_cbranch_scc0 .LBB54_462
; %bb.461:
	s_wait_loadcnt 0x0
	global_load_u8 v2, v[0:1], off
	s_mov_b32 s16, 0
	s_mov_b32 s1, -1
	s_wait_loadcnt 0x0
	v_cmp_ne_u16_e32 vcc_lo, 0, v2
	v_cndmask_b32_e64 v2, 0, 0x3c00, vcc_lo
	s_branch .LBB54_463
.LBB54_462:
	s_mov_b32 s16, -1
                                        ; implicit-def: $vgpr2
.LBB54_463:
	s_branch .LBB54_265
.LBB54_464:
	s_cmp_lt_i32 s0, 5
	s_cbranch_scc1 .LBB54_469
; %bb.465:
	s_cmp_lt_i32 s0, 8
	s_cbranch_scc1 .LBB54_470
; %bb.466:
	;; [unrolled: 3-line block ×3, first 2 shown]
	s_cmp_gt_i32 s0, 9
	s_cbranch_scc0 .LBB54_472
; %bb.468:
	s_wait_loadcnt 0x0
	global_load_b64 v[2:3], v[0:1], off
	s_mov_b32 s1, 0
	s_wait_loadcnt 0x0
	v_and_or_b32 v2, 0x1ff, v3, v2
	v_lshrrev_b32_e32 v5, 8, v3
	v_bfe_u32 v6, v3, 20, 11
	v_lshrrev_b32_e32 v3, 16, v3
	s_delay_alu instid0(VALU_DEP_4) | instskip(NEXT) | instid1(VALU_DEP_3)
	v_cmp_ne_u32_e32 vcc_lo, 0, v2
	v_sub_nc_u32_e32 v7, 0x3f1, v6
	v_add_nc_u32_e32 v6, 0xfffffc10, v6
	v_cndmask_b32_e64 v2, 0, 1, vcc_lo
	s_delay_alu instid0(VALU_DEP_1) | instskip(NEXT) | instid1(VALU_DEP_4)
	v_and_or_b32 v2, 0xffe, v5, v2
	v_med3_i32 v5, v7, 0, 13
	s_delay_alu instid0(VALU_DEP_2) | instskip(NEXT) | instid1(VALU_DEP_1)
	v_or_b32_e32 v7, 0x1000, v2
	v_lshrrev_b32_e32 v8, v5, v7
	s_delay_alu instid0(VALU_DEP_1) | instskip(NEXT) | instid1(VALU_DEP_1)
	v_lshlrev_b32_e32 v5, v5, v8
	v_cmp_ne_u32_e32 vcc_lo, v5, v7
	v_lshl_or_b32 v7, v6, 12, v2
	v_cndmask_b32_e64 v5, 0, 1, vcc_lo
	v_cmp_gt_i32_e32 vcc_lo, 1, v6
	s_delay_alu instid0(VALU_DEP_2) | instskip(NEXT) | instid1(VALU_DEP_1)
	v_or_b32_e32 v5, v8, v5
	v_cndmask_b32_e32 v5, v7, v5, vcc_lo
	s_delay_alu instid0(VALU_DEP_1) | instskip(NEXT) | instid1(VALU_DEP_1)
	v_dual_lshrrev_b32 v5, 2, v5 :: v_dual_bitop2_b32 v7, 7, v5 bitop3:0x40
	v_cmp_lt_i32_e32 vcc_lo, 5, v7
	v_cndmask_b32_e64 v8, 0, 1, vcc_lo
	v_cmp_eq_u32_e32 vcc_lo, 3, v7
	v_cndmask_b32_e64 v7, 0, 1, vcc_lo
	v_cmp_ne_u32_e32 vcc_lo, 0, v2
	s_delay_alu instid0(VALU_DEP_2) | instskip(NEXT) | instid1(VALU_DEP_1)
	v_or_b32_e32 v7, v7, v8
	v_dual_mov_b32 v8, 0x7e00 :: v_dual_add_nc_u32 v5, v5, v7
	s_delay_alu instid0(VALU_DEP_1) | instskip(SKIP_1) | instid1(VALU_DEP_3)
	v_cndmask_b32_e32 v2, 0x7c00, v8, vcc_lo
	v_cmp_gt_i32_e32 vcc_lo, 31, v6
	v_cndmask_b32_e32 v5, 0x7c00, v5, vcc_lo
	v_cmp_eq_u32_e32 vcc_lo, 0x40f, v6
	s_delay_alu instid0(VALU_DEP_2) | instskip(NEXT) | instid1(VALU_DEP_1)
	v_cndmask_b32_e32 v2, v5, v2, vcc_lo
	v_and_or_b32 v2, 0x8000, v3, v2
	s_branch .LBB54_473
.LBB54_469:
	s_mov_b32 s1, -1
                                        ; implicit-def: $vgpr2
	s_branch .LBB54_491
.LBB54_470:
	s_mov_b32 s1, -1
                                        ; implicit-def: $vgpr2
	s_branch .LBB54_479
.LBB54_471:
	s_mov_b32 s1, -1
                                        ; implicit-def: $vgpr2
	s_branch .LBB54_476
.LBB54_472:
	s_mov_b32 s1, -1
                                        ; implicit-def: $vgpr2
.LBB54_473:
	s_delay_alu instid0(SALU_CYCLE_1)
	s_and_not1_b32 vcc_lo, exec_lo, s1
	s_cbranch_vccnz .LBB54_475
; %bb.474:
	s_wait_loadcnt 0x0
	global_load_b32 v2, v[0:1], off
	s_wait_loadcnt 0x0
	v_cvt_f16_f32_e32 v2, v2
.LBB54_475:
	s_mov_b32 s1, 0
.LBB54_476:
	s_delay_alu instid0(SALU_CYCLE_1)
	s_and_not1_b32 vcc_lo, exec_lo, s1
	s_cbranch_vccnz .LBB54_478
; %bb.477:
	s_wait_loadcnt 0x0
	global_load_b32 v2, v[0:1], off
.LBB54_478:
	s_mov_b32 s1, 0
.LBB54_479:
	s_delay_alu instid0(SALU_CYCLE_1)
	s_and_not1_b32 vcc_lo, exec_lo, s1
	s_cbranch_vccnz .LBB54_490
; %bb.480:
	s_cmp_lt_i32 s0, 6
	s_cbranch_scc1 .LBB54_483
; %bb.481:
	s_cmp_gt_i32 s0, 6
	s_cbranch_scc0 .LBB54_484
; %bb.482:
	s_wait_loadcnt 0x0
	global_load_b64 v[2:3], v[0:1], off
	s_mov_b32 s1, 0
	s_wait_loadcnt 0x0
	v_and_or_b32 v2, 0x1ff, v3, v2
	v_lshrrev_b32_e32 v5, 8, v3
	v_bfe_u32 v6, v3, 20, 11
	v_lshrrev_b32_e32 v3, 16, v3
	s_delay_alu instid0(VALU_DEP_4) | instskip(NEXT) | instid1(VALU_DEP_3)
	v_cmp_ne_u32_e32 vcc_lo, 0, v2
	v_sub_nc_u32_e32 v7, 0x3f1, v6
	v_add_nc_u32_e32 v6, 0xfffffc10, v6
	v_cndmask_b32_e64 v2, 0, 1, vcc_lo
	s_delay_alu instid0(VALU_DEP_1) | instskip(NEXT) | instid1(VALU_DEP_4)
	v_and_or_b32 v2, 0xffe, v5, v2
	v_med3_i32 v5, v7, 0, 13
	s_delay_alu instid0(VALU_DEP_2) | instskip(NEXT) | instid1(VALU_DEP_1)
	v_or_b32_e32 v7, 0x1000, v2
	v_lshrrev_b32_e32 v8, v5, v7
	s_delay_alu instid0(VALU_DEP_1) | instskip(NEXT) | instid1(VALU_DEP_1)
	v_lshlrev_b32_e32 v5, v5, v8
	v_cmp_ne_u32_e32 vcc_lo, v5, v7
	v_lshl_or_b32 v7, v6, 12, v2
	v_cndmask_b32_e64 v5, 0, 1, vcc_lo
	v_cmp_gt_i32_e32 vcc_lo, 1, v6
	s_delay_alu instid0(VALU_DEP_2) | instskip(NEXT) | instid1(VALU_DEP_1)
	v_or_b32_e32 v5, v8, v5
	v_cndmask_b32_e32 v5, v7, v5, vcc_lo
	s_delay_alu instid0(VALU_DEP_1) | instskip(NEXT) | instid1(VALU_DEP_1)
	v_dual_lshrrev_b32 v5, 2, v5 :: v_dual_bitop2_b32 v7, 7, v5 bitop3:0x40
	v_cmp_lt_i32_e32 vcc_lo, 5, v7
	v_cndmask_b32_e64 v8, 0, 1, vcc_lo
	v_cmp_eq_u32_e32 vcc_lo, 3, v7
	v_cndmask_b32_e64 v7, 0, 1, vcc_lo
	v_cmp_ne_u32_e32 vcc_lo, 0, v2
	s_delay_alu instid0(VALU_DEP_2) | instskip(NEXT) | instid1(VALU_DEP_1)
	v_or_b32_e32 v7, v7, v8
	v_dual_mov_b32 v8, 0x7e00 :: v_dual_add_nc_u32 v5, v5, v7
	s_delay_alu instid0(VALU_DEP_1) | instskip(SKIP_1) | instid1(VALU_DEP_3)
	v_cndmask_b32_e32 v2, 0x7c00, v8, vcc_lo
	v_cmp_gt_i32_e32 vcc_lo, 31, v6
	v_cndmask_b32_e32 v5, 0x7c00, v5, vcc_lo
	v_cmp_eq_u32_e32 vcc_lo, 0x40f, v6
	s_delay_alu instid0(VALU_DEP_2) | instskip(NEXT) | instid1(VALU_DEP_1)
	v_cndmask_b32_e32 v2, v5, v2, vcc_lo
	v_and_or_b32 v2, 0x8000, v3, v2
	s_branch .LBB54_485
.LBB54_483:
	s_mov_b32 s1, -1
                                        ; implicit-def: $vgpr2
	s_branch .LBB54_488
.LBB54_484:
	s_mov_b32 s1, -1
                                        ; implicit-def: $vgpr2
.LBB54_485:
	s_delay_alu instid0(SALU_CYCLE_1)
	s_and_not1_b32 vcc_lo, exec_lo, s1
	s_cbranch_vccnz .LBB54_487
; %bb.486:
	s_wait_loadcnt 0x0
	global_load_b32 v2, v[0:1], off
	s_wait_loadcnt 0x0
	v_cvt_f16_f32_e32 v2, v2
.LBB54_487:
	s_mov_b32 s1, 0
.LBB54_488:
	s_delay_alu instid0(SALU_CYCLE_1)
	s_and_not1_b32 vcc_lo, exec_lo, s1
	s_cbranch_vccnz .LBB54_490
; %bb.489:
	s_wait_loadcnt 0x0
	global_load_u16 v2, v[0:1], off
.LBB54_490:
	s_mov_b32 s1, 0
.LBB54_491:
	s_delay_alu instid0(SALU_CYCLE_1)
	s_and_not1_b32 vcc_lo, exec_lo, s1
	s_cbranch_vccnz .LBB54_511
; %bb.492:
	s_cmp_lt_i32 s0, 2
	s_cbranch_scc1 .LBB54_496
; %bb.493:
	s_cmp_lt_i32 s0, 3
	s_cbranch_scc1 .LBB54_497
; %bb.494:
	s_cmp_gt_i32 s0, 3
	s_cbranch_scc0 .LBB54_498
; %bb.495:
	s_wait_loadcnt 0x0
	global_load_b64 v[2:3], v[0:1], off
	s_mov_b32 s1, 0
	s_wait_loadcnt 0x0
	v_xor_b32_e32 v5, v2, v3
	v_cls_i32_e32 v6, v3
	s_delay_alu instid0(VALU_DEP_2) | instskip(NEXT) | instid1(VALU_DEP_1)
	v_ashrrev_i32_e32 v5, 31, v5
	v_add_nc_u32_e32 v5, 32, v5
	s_delay_alu instid0(VALU_DEP_1) | instskip(NEXT) | instid1(VALU_DEP_1)
	v_add_min_u32_e64 v5, v6, -1, v5
	v_lshlrev_b64_e32 v[2:3], v5, v[2:3]
	s_delay_alu instid0(VALU_DEP_1) | instskip(NEXT) | instid1(VALU_DEP_1)
	v_min_u32_e32 v2, 1, v2
	v_dual_sub_nc_u32 v3, 32, v5 :: v_dual_bitop2_b32 v2, v3, v2 bitop3:0x54
	s_delay_alu instid0(VALU_DEP_1) | instskip(NEXT) | instid1(VALU_DEP_1)
	v_cvt_f32_i32_e32 v2, v2
	v_ldexp_f32 v2, v2, v3
	s_delay_alu instid0(VALU_DEP_1)
	v_cvt_f16_f32_e32 v2, v2
	s_branch .LBB54_499
.LBB54_496:
	s_mov_b32 s1, -1
                                        ; implicit-def: $vgpr2
	s_branch .LBB54_505
.LBB54_497:
	s_mov_b32 s1, -1
                                        ; implicit-def: $vgpr2
	s_branch .LBB54_502
.LBB54_498:
	s_mov_b32 s1, -1
                                        ; implicit-def: $vgpr2
.LBB54_499:
	s_delay_alu instid0(SALU_CYCLE_1)
	s_and_not1_b32 vcc_lo, exec_lo, s1
	s_cbranch_vccnz .LBB54_501
; %bb.500:
	s_wait_loadcnt 0x0
	global_load_b32 v2, v[0:1], off
	s_wait_loadcnt 0x0
	v_cvt_f32_i32_e32 v2, v2
	s_delay_alu instid0(VALU_DEP_1)
	v_cvt_f16_f32_e32 v2, v2
.LBB54_501:
	s_mov_b32 s1, 0
.LBB54_502:
	s_delay_alu instid0(SALU_CYCLE_1)
	s_and_not1_b32 vcc_lo, exec_lo, s1
	s_cbranch_vccnz .LBB54_504
; %bb.503:
	s_wait_loadcnt 0x0
	global_load_u16 v2, v[0:1], off
	s_wait_loadcnt 0x0
	v_cvt_f16_i16_e32 v2, v2
.LBB54_504:
	s_mov_b32 s1, 0
.LBB54_505:
	s_delay_alu instid0(SALU_CYCLE_1)
	s_and_not1_b32 vcc_lo, exec_lo, s1
	s_cbranch_vccnz .LBB54_511
; %bb.506:
	s_cmp_gt_i32 s0, 0
	s_mov_b32 s0, 0
	s_cbranch_scc0 .LBB54_508
; %bb.507:
	s_wait_loadcnt 0x0
	global_load_i8 v2, v[0:1], off
	s_wait_loadcnt 0x0
	v_cvt_f16_i16_e32 v2, v2
	s_branch .LBB54_509
.LBB54_508:
	s_mov_b32 s0, -1
                                        ; implicit-def: $vgpr2
.LBB54_509:
	s_delay_alu instid0(SALU_CYCLE_1)
	s_and_not1_b32 vcc_lo, exec_lo, s0
	s_cbranch_vccnz .LBB54_511
; %bb.510:
	global_load_u8 v0, v[0:1], off
	s_wait_loadcnt 0x0
	v_cvt_f16_u16_e32 v2, v0
.LBB54_511:
	s_branch .LBB54_266
.LBB54_512:
	s_mov_b32 s0, 0
	s_mov_b32 s1, s12
.LBB54_513:
                                        ; implicit-def: $vgpr4
.LBB54_514:
	s_and_not1_b32 s17, s12, exec_lo
	s_and_b32 s1, s1, exec_lo
	s_and_not1_b32 s19, s14, exec_lo
	s_and_b32 s16, s16, exec_lo
	s_or_b32 s17, s17, s1
	s_or_b32 s16, s19, s16
	s_or_not1_b32 s0, s0, exec_lo
.LBB54_515:
	s_wait_xcnt 0x0
	s_or_b32 exec_lo, exec_lo, s18
	s_mov_b32 s1, 0
	s_mov_b32 s19, 0
	;; [unrolled: 1-line block ×3, first 2 shown]
                                        ; implicit-def: $vgpr0_vgpr1
                                        ; implicit-def: $vgpr2
	s_and_saveexec_b32 s18, s0
	s_cbranch_execz .LBB54_862
; %bb.516:
	s_mov_b32 s20, -1
	s_mov_b32 s0, s16
	s_mov_b32 s1, s17
	s_mov_b32 s19, exec_lo
	v_cmpx_gt_i32_e64 s13, v4
	s_cbranch_execz .LBB54_776
; %bb.517:
	v_mul_lo_u32 v0, v4, s3
	s_and_b32 s0, 0xffff, s10
	s_delay_alu instid0(SALU_CYCLE_1) | instskip(NEXT) | instid1(VALU_DEP_1)
	s_cmp_lt_i32 s0, 11
	v_ashrrev_i32_e32 v1, 31, v0
	s_delay_alu instid0(VALU_DEP_1)
	v_add_nc_u64_e32 v[0:1], s[6:7], v[0:1]
	s_cbranch_scc1 .LBB54_524
; %bb.518:
	s_cmp_gt_i32 s0, 25
	s_cbranch_scc0 .LBB54_525
; %bb.519:
	s_cmp_gt_i32 s0, 28
	s_cbranch_scc0 .LBB54_526
	;; [unrolled: 3-line block ×4, first 2 shown]
; %bb.522:
	s_cmp_eq_u32 s0, 46
	s_mov_b32 s21, 0
	s_cbranch_scc0 .LBB54_533
; %bb.523:
	s_wait_loadcnt 0x0
	global_load_b32 v2, v[0:1], off
	s_mov_b32 s1, -1
	s_mov_b32 s20, 0
	s_wait_loadcnt 0x0
	v_lshlrev_b32_e32 v2, 16, v2
	s_delay_alu instid0(VALU_DEP_1)
	v_cvt_f16_f32_e32 v2, v2
	s_branch .LBB54_535
.LBB54_524:
	s_mov_b32 s21, -1
	s_mov_b32 s1, 0
	s_mov_b32 s20, s16
                                        ; implicit-def: $vgpr2
	s_branch .LBB54_600
.LBB54_525:
	s_mov_b32 s21, -1
	s_mov_b32 s1, 0
	s_mov_b32 s20, s16
                                        ; implicit-def: $vgpr2
	s_branch .LBB54_564
.LBB54_526:
	s_mov_b32 s21, -1
	s_mov_b32 s1, 0
	s_mov_b32 s20, s16
                                        ; implicit-def: $vgpr2
	s_branch .LBB54_545
.LBB54_527:
	s_mov_b32 s21, -1
	s_mov_b32 s1, 0
	s_mov_b32 s20, s16
                                        ; implicit-def: $vgpr2
	s_branch .LBB54_540
.LBB54_528:
	s_and_not1_saveexec_b32 s22, s22
	s_cbranch_execz .LBB54_312
.LBB54_529:
	v_add_f32_e32 v2, 0x46000000, v3
	s_and_not1_b32 s21, s21, exec_lo
	s_delay_alu instid0(VALU_DEP_1) | instskip(NEXT) | instid1(VALU_DEP_1)
	v_and_b32_e32 v2, 0xff, v2
	v_cmp_ne_u32_e32 vcc_lo, 0, v2
	s_and_b32 s23, vcc_lo, exec_lo
	s_delay_alu instid0(SALU_CYCLE_1)
	s_or_b32 s21, s21, s23
	s_or_b32 exec_lo, exec_lo, s22
	v_mov_b32_e32 v5, 0
	s_and_saveexec_b32 s22, s21
	s_cbranch_execnz .LBB54_313
	s_branch .LBB54_314
.LBB54_530:
	s_mov_b32 s21, -1
	s_mov_b32 s1, 0
	s_mov_b32 s20, s16
	s_branch .LBB54_534
.LBB54_531:
	s_and_not1_saveexec_b32 s22, s22
	s_cbranch_execz .LBB54_325
.LBB54_532:
	v_add_f32_e32 v2, 0x42800000, v3
	s_and_not1_b32 s21, s21, exec_lo
	s_delay_alu instid0(VALU_DEP_1) | instskip(NEXT) | instid1(VALU_DEP_1)
	v_and_b32_e32 v2, 0xff, v2
	v_cmp_ne_u32_e32 vcc_lo, 0, v2
	s_and_b32 s23, vcc_lo, exec_lo
	s_delay_alu instid0(SALU_CYCLE_1)
	s_or_b32 s21, s21, s23
	s_or_b32 exec_lo, exec_lo, s22
	v_mov_b32_e32 v5, 0
	s_and_saveexec_b32 s22, s21
	s_cbranch_execnz .LBB54_326
	s_branch .LBB54_327
.LBB54_533:
	s_mov_b32 s1, 0
.LBB54_534:
                                        ; implicit-def: $vgpr2
.LBB54_535:
	s_and_b32 vcc_lo, exec_lo, s21
	s_cbranch_vccz .LBB54_539
; %bb.536:
	s_cmp_eq_u32 s0, 44
	s_cbranch_scc0 .LBB54_538
; %bb.537:
	s_wait_loadcnt 0x0
	global_load_u8 v2, v[0:1], off
	s_mov_b32 s20, 0
	s_mov_b32 s1, -1
	s_wait_loadcnt 0x0
	v_lshlrev_b32_e32 v3, 23, v2
	v_cmp_ne_u32_e32 vcc_lo, 0xff, v2
	s_delay_alu instid0(VALU_DEP_2) | instskip(NEXT) | instid1(VALU_DEP_1)
	v_cvt_f16_f32_e32 v3, v3
	v_cndmask_b32_e32 v3, 0x7e00, v3, vcc_lo
	v_cmp_ne_u32_e32 vcc_lo, 0, v2
	s_delay_alu instid0(VALU_DEP_2)
	v_cndmask_b32_e32 v2, 0, v3, vcc_lo
	s_branch .LBB54_539
.LBB54_538:
	s_mov_b32 s20, -1
                                        ; implicit-def: $vgpr2
.LBB54_539:
	s_mov_b32 s21, 0
.LBB54_540:
	s_delay_alu instid0(SALU_CYCLE_1)
	s_and_b32 vcc_lo, exec_lo, s21
	s_cbranch_vccz .LBB54_544
; %bb.541:
	s_cmp_eq_u32 s0, 29
	s_cbranch_scc0 .LBB54_543
; %bb.542:
	s_wait_loadcnt 0x0
	global_load_b64 v[2:3], v[0:1], off
	s_mov_b32 s1, -1
	s_mov_b32 s20, 0
	s_mov_b32 s21, 0
	s_wait_loadcnt 0x0
	v_clz_i32_u32_e32 v5, v3
	s_delay_alu instid0(VALU_DEP_1) | instskip(NEXT) | instid1(VALU_DEP_1)
	v_min_u32_e32 v5, 32, v5
	v_lshlrev_b64_e32 v[2:3], v5, v[2:3]
	s_delay_alu instid0(VALU_DEP_1) | instskip(NEXT) | instid1(VALU_DEP_1)
	v_min_u32_e32 v2, 1, v2
	v_dual_sub_nc_u32 v3, 32, v5 :: v_dual_bitop2_b32 v2, v3, v2 bitop3:0x54
	s_delay_alu instid0(VALU_DEP_1) | instskip(NEXT) | instid1(VALU_DEP_1)
	v_cvt_f32_u32_e32 v2, v2
	v_ldexp_f32 v2, v2, v3
	s_delay_alu instid0(VALU_DEP_1)
	v_cvt_f16_f32_e32 v2, v2
	s_branch .LBB54_545
.LBB54_543:
	s_mov_b32 s20, -1
                                        ; implicit-def: $vgpr2
.LBB54_544:
	s_mov_b32 s21, 0
.LBB54_545:
	s_delay_alu instid0(SALU_CYCLE_1)
	s_and_b32 vcc_lo, exec_lo, s21
	s_cbranch_vccz .LBB54_563
; %bb.546:
	s_cmp_lt_i32 s0, 27
	s_cbranch_scc1 .LBB54_549
; %bb.547:
	s_cmp_gt_i32 s0, 27
	s_cbranch_scc0 .LBB54_550
; %bb.548:
	s_wait_loadcnt 0x0
	global_load_b32 v2, v[0:1], off
	s_mov_b32 s1, 0
	s_wait_loadcnt 0x0
	v_cvt_f32_u32_e32 v2, v2
	s_delay_alu instid0(VALU_DEP_1)
	v_cvt_f16_f32_e32 v2, v2
	s_branch .LBB54_551
.LBB54_549:
	s_mov_b32 s1, -1
                                        ; implicit-def: $vgpr2
	s_branch .LBB54_554
.LBB54_550:
	s_mov_b32 s1, -1
                                        ; implicit-def: $vgpr2
.LBB54_551:
	s_delay_alu instid0(SALU_CYCLE_1)
	s_and_not1_b32 vcc_lo, exec_lo, s1
	s_cbranch_vccnz .LBB54_553
; %bb.552:
	s_wait_loadcnt 0x0
	global_load_u16 v2, v[0:1], off
	s_wait_loadcnt 0x0
	v_cvt_f16_u16_e32 v2, v2
.LBB54_553:
	s_mov_b32 s1, 0
.LBB54_554:
	s_delay_alu instid0(SALU_CYCLE_1)
	s_and_not1_b32 vcc_lo, exec_lo, s1
	s_cbranch_vccnz .LBB54_562
; %bb.555:
	global_load_u8 v3, v[0:1], off
	s_mov_b32 s1, 0
	s_mov_b32 s21, exec_lo
	s_wait_loadcnt 0x0
	v_cmpx_lt_i16_e32 0x7f, v3
	s_xor_b32 s21, exec_lo, s21
	s_cbranch_execz .LBB54_576
; %bb.556:
	s_mov_b32 s1, -1
	s_mov_b32 s22, exec_lo
	v_cmpx_eq_u16_e32 0x80, v3
; %bb.557:
	s_xor_b32 s1, exec_lo, -1
; %bb.558:
	s_or_b32 exec_lo, exec_lo, s22
	s_delay_alu instid0(SALU_CYCLE_1)
	s_and_b32 s1, s1, exec_lo
	s_or_saveexec_b32 s21, s21
	v_mov_b32_e32 v2, 0x7e00
	s_xor_b32 exec_lo, exec_lo, s21
	s_cbranch_execnz .LBB54_577
.LBB54_559:
	s_or_b32 exec_lo, exec_lo, s21
	s_and_saveexec_b32 s21, s1
	s_cbranch_execz .LBB54_561
.LBB54_560:
	v_and_b32_e32 v2, 0xffff, v3
	s_delay_alu instid0(VALU_DEP_1) | instskip(SKIP_1) | instid1(VALU_DEP_2)
	v_dual_lshlrev_b32 v3, 24, v3 :: v_dual_bitop2_b32 v5, 7, v2 bitop3:0x40
	v_bfe_u32 v8, v2, 3, 4
	v_and_b32_e32 v3, 0x80000000, v3
	s_delay_alu instid0(VALU_DEP_3) | instskip(NEXT) | instid1(VALU_DEP_3)
	v_clz_i32_u32_e32 v6, v5
	v_cmp_eq_u32_e32 vcc_lo, 0, v8
	s_delay_alu instid0(VALU_DEP_2) | instskip(NEXT) | instid1(VALU_DEP_1)
	v_min_u32_e32 v6, 32, v6
	v_subrev_nc_u32_e32 v7, 28, v6
	v_sub_nc_u32_e32 v6, 29, v6
	s_delay_alu instid0(VALU_DEP_2) | instskip(NEXT) | instid1(VALU_DEP_2)
	v_lshlrev_b32_e32 v2, v7, v2
	v_cndmask_b32_e32 v6, v8, v6, vcc_lo
	s_delay_alu instid0(VALU_DEP_2) | instskip(NEXT) | instid1(VALU_DEP_1)
	v_and_b32_e32 v2, 7, v2
	v_cndmask_b32_e32 v2, v5, v2, vcc_lo
	s_delay_alu instid0(VALU_DEP_3) | instskip(NEXT) | instid1(VALU_DEP_2)
	v_lshl_add_u32 v5, v6, 23, 0x3b800000
	v_lshlrev_b32_e32 v2, 20, v2
	s_delay_alu instid0(VALU_DEP_1) | instskip(NEXT) | instid1(VALU_DEP_1)
	v_or3_b32 v2, v3, v5, v2
	v_cvt_f16_f32_e32 v2, v2
.LBB54_561:
	s_or_b32 exec_lo, exec_lo, s21
.LBB54_562:
	s_mov_b32 s1, -1
.LBB54_563:
	s_mov_b32 s21, 0
.LBB54_564:
	s_delay_alu instid0(SALU_CYCLE_1)
	s_and_b32 vcc_lo, exec_lo, s21
	s_cbranch_vccz .LBB54_599
; %bb.565:
	s_cmp_gt_i32 s0, 22
	s_cbranch_scc0 .LBB54_575
; %bb.566:
	s_cmp_lt_i32 s0, 24
	s_cbranch_scc1 .LBB54_578
; %bb.567:
	s_cmp_gt_i32 s0, 24
	s_cbranch_scc0 .LBB54_579
; %bb.568:
	global_load_u8 v3, v[0:1], off
	s_mov_b32 s1, 0
	s_mov_b32 s21, exec_lo
	s_wait_loadcnt 0x0
	v_cmpx_lt_i16_e32 0x7f, v3
	s_xor_b32 s21, exec_lo, s21
	s_cbranch_execz .LBB54_591
; %bb.569:
	s_mov_b32 s1, -1
	s_mov_b32 s22, exec_lo
	v_cmpx_eq_u16_e32 0x80, v3
; %bb.570:
	s_xor_b32 s1, exec_lo, -1
; %bb.571:
	s_or_b32 exec_lo, exec_lo, s22
	s_delay_alu instid0(SALU_CYCLE_1)
	s_and_b32 s1, s1, exec_lo
	s_or_saveexec_b32 s21, s21
	v_mov_b32_e32 v2, 0x7e00
	s_xor_b32 exec_lo, exec_lo, s21
	s_cbranch_execnz .LBB54_592
.LBB54_572:
	s_or_b32 exec_lo, exec_lo, s21
	s_and_saveexec_b32 s21, s1
	s_cbranch_execz .LBB54_574
.LBB54_573:
	v_and_b32_e32 v2, 0xffff, v3
	s_delay_alu instid0(VALU_DEP_1) | instskip(SKIP_1) | instid1(VALU_DEP_2)
	v_dual_lshlrev_b32 v3, 24, v3 :: v_dual_bitop2_b32 v5, 3, v2 bitop3:0x40
	v_bfe_u32 v8, v2, 2, 5
	v_and_b32_e32 v3, 0x80000000, v3
	s_delay_alu instid0(VALU_DEP_3) | instskip(NEXT) | instid1(VALU_DEP_3)
	v_clz_i32_u32_e32 v6, v5
	v_cmp_eq_u32_e32 vcc_lo, 0, v8
	s_delay_alu instid0(VALU_DEP_2) | instskip(NEXT) | instid1(VALU_DEP_1)
	v_min_u32_e32 v6, 32, v6
	v_subrev_nc_u32_e32 v7, 29, v6
	v_sub_nc_u32_e32 v6, 30, v6
	s_delay_alu instid0(VALU_DEP_2) | instskip(NEXT) | instid1(VALU_DEP_2)
	v_lshlrev_b32_e32 v2, v7, v2
	v_cndmask_b32_e32 v6, v8, v6, vcc_lo
	s_delay_alu instid0(VALU_DEP_2) | instskip(NEXT) | instid1(VALU_DEP_1)
	v_and_b32_e32 v2, 3, v2
	v_cndmask_b32_e32 v2, v5, v2, vcc_lo
	s_delay_alu instid0(VALU_DEP_3) | instskip(NEXT) | instid1(VALU_DEP_2)
	v_lshl_add_u32 v5, v6, 23, 0x37800000
	v_lshlrev_b32_e32 v2, 21, v2
	s_delay_alu instid0(VALU_DEP_1) | instskip(NEXT) | instid1(VALU_DEP_1)
	v_or3_b32 v2, v3, v5, v2
	v_cvt_f16_f32_e32 v2, v2
.LBB54_574:
	s_or_b32 exec_lo, exec_lo, s21
	s_mov_b32 s1, 0
	s_branch .LBB54_580
.LBB54_575:
	s_mov_b32 s21, -1
                                        ; implicit-def: $vgpr2
	s_branch .LBB54_586
.LBB54_576:
	s_or_saveexec_b32 s21, s21
	v_mov_b32_e32 v2, 0x7e00
	s_xor_b32 exec_lo, exec_lo, s21
	s_cbranch_execz .LBB54_559
.LBB54_577:
	v_cmp_ne_u16_e32 vcc_lo, 0, v3
	v_mov_b32_e32 v2, v3
	s_and_not1_b32 s1, s1, exec_lo
	s_and_b32 s22, vcc_lo, exec_lo
	s_delay_alu instid0(SALU_CYCLE_1)
	s_or_b32 s1, s1, s22
	s_or_b32 exec_lo, exec_lo, s21
	s_and_saveexec_b32 s21, s1
	s_cbranch_execnz .LBB54_560
	s_branch .LBB54_561
.LBB54_578:
	s_mov_b32 s1, -1
                                        ; implicit-def: $vgpr2
	s_branch .LBB54_583
.LBB54_579:
	s_mov_b32 s1, -1
                                        ; implicit-def: $vgpr2
.LBB54_580:
	s_delay_alu instid0(SALU_CYCLE_1)
	s_and_b32 vcc_lo, exec_lo, s1
	s_cbranch_vccz .LBB54_582
; %bb.581:
	s_wait_loadcnt 0x0
	global_load_u8 v2, v[0:1], off
	s_wait_loadcnt 0x0
	v_lshlrev_b32_e32 v2, 24, v2
	s_delay_alu instid0(VALU_DEP_1) | instskip(NEXT) | instid1(VALU_DEP_1)
	v_and_b32_e32 v3, 0x7f000000, v2
	v_clz_i32_u32_e32 v5, v3
	v_add_nc_u32_e32 v7, 0x1000000, v3
	v_cmp_ne_u32_e32 vcc_lo, 0, v3
	s_delay_alu instid0(VALU_DEP_3) | instskip(NEXT) | instid1(VALU_DEP_1)
	v_min_u32_e32 v5, 32, v5
	v_sub_nc_u32_e64 v5, v5, 4 clamp
	s_delay_alu instid0(VALU_DEP_1) | instskip(NEXT) | instid1(VALU_DEP_1)
	v_dual_lshlrev_b32 v6, v5, v3 :: v_dual_lshlrev_b32 v5, 23, v5
	v_lshrrev_b32_e32 v6, 4, v6
	s_delay_alu instid0(VALU_DEP_1) | instskip(NEXT) | instid1(VALU_DEP_1)
	v_dual_sub_nc_u32 v5, v6, v5 :: v_dual_ashrrev_i32 v6, 8, v7
	v_add_nc_u32_e32 v5, 0x3c000000, v5
	s_delay_alu instid0(VALU_DEP_1) | instskip(NEXT) | instid1(VALU_DEP_1)
	v_and_or_b32 v5, 0x7f800000, v6, v5
	v_cndmask_b32_e32 v3, 0, v5, vcc_lo
	s_delay_alu instid0(VALU_DEP_1) | instskip(NEXT) | instid1(VALU_DEP_1)
	v_and_or_b32 v2, 0x80000000, v2, v3
	v_cvt_f16_f32_e32 v2, v2
.LBB54_582:
	s_mov_b32 s1, 0
.LBB54_583:
	s_delay_alu instid0(SALU_CYCLE_1)
	s_and_not1_b32 vcc_lo, exec_lo, s1
	s_cbranch_vccnz .LBB54_585
; %bb.584:
	s_wait_loadcnt 0x0
	global_load_u8 v2, v[0:1], off
	s_wait_loadcnt 0x0
	v_lshlrev_b32_e32 v3, 25, v2
	v_lshlrev_b16 v2, 8, v2
	s_delay_alu instid0(VALU_DEP_2) | instskip(NEXT) | instid1(VALU_DEP_2)
	v_cmp_gt_u32_e32 vcc_lo, 0x8000000, v3
	v_and_or_b32 v6, 0x7f00, v2, 0.5
	v_lshrrev_b32_e32 v5, 4, v3
	v_bfe_i32 v2, v2, 0, 16
	s_delay_alu instid0(VALU_DEP_3) | instskip(NEXT) | instid1(VALU_DEP_3)
	v_add_f32_e32 v6, -0.5, v6
	v_or_b32_e32 v5, 0x70000000, v5
	s_delay_alu instid0(VALU_DEP_1) | instskip(NEXT) | instid1(VALU_DEP_1)
	v_mul_f32_e32 v5, 0x7800000, v5
	v_cndmask_b32_e32 v3, v5, v6, vcc_lo
	s_delay_alu instid0(VALU_DEP_1) | instskip(NEXT) | instid1(VALU_DEP_1)
	v_and_or_b32 v2, 0x80000000, v2, v3
	v_cvt_f16_f32_e32 v2, v2
.LBB54_585:
	s_mov_b32 s21, 0
	s_mov_b32 s1, -1
.LBB54_586:
	s_and_not1_b32 vcc_lo, exec_lo, s21
	s_cbranch_vccnz .LBB54_599
; %bb.587:
	s_cmp_gt_i32 s0, 14
	s_cbranch_scc0 .LBB54_590
; %bb.588:
	s_cmp_eq_u32 s0, 15
	s_cbranch_scc0 .LBB54_593
; %bb.589:
	s_wait_loadcnt 0x0
	global_load_u16 v2, v[0:1], off
	s_mov_b32 s1, -1
	s_mov_b32 s20, 0
	s_wait_loadcnt 0x0
	v_lshlrev_b32_e32 v2, 16, v2
	s_delay_alu instid0(VALU_DEP_1)
	v_cvt_f16_f32_e32 v2, v2
	s_branch .LBB54_594
.LBB54_590:
	s_mov_b32 s21, -1
                                        ; implicit-def: $vgpr2
	s_branch .LBB54_595
.LBB54_591:
	s_or_saveexec_b32 s21, s21
	v_mov_b32_e32 v2, 0x7e00
	s_xor_b32 exec_lo, exec_lo, s21
	s_cbranch_execz .LBB54_572
.LBB54_592:
	v_cmp_ne_u16_e32 vcc_lo, 0, v3
	v_mov_b32_e32 v2, v3
	s_and_not1_b32 s1, s1, exec_lo
	s_and_b32 s22, vcc_lo, exec_lo
	s_delay_alu instid0(SALU_CYCLE_1)
	s_or_b32 s1, s1, s22
	s_or_b32 exec_lo, exec_lo, s21
	s_and_saveexec_b32 s21, s1
	s_cbranch_execnz .LBB54_573
	s_branch .LBB54_574
.LBB54_593:
	s_mov_b32 s20, -1
                                        ; implicit-def: $vgpr2
.LBB54_594:
	s_mov_b32 s21, 0
.LBB54_595:
	s_delay_alu instid0(SALU_CYCLE_1)
	s_and_b32 vcc_lo, exec_lo, s21
	s_cbranch_vccz .LBB54_599
; %bb.596:
	s_cmp_eq_u32 s0, 11
	s_cbranch_scc0 .LBB54_598
; %bb.597:
	s_wait_loadcnt 0x0
	global_load_u8 v2, v[0:1], off
	s_mov_b32 s20, 0
	s_mov_b32 s1, -1
	s_wait_loadcnt 0x0
	v_cmp_ne_u16_e32 vcc_lo, 0, v2
	v_cndmask_b32_e64 v2, 0, 0x3c00, vcc_lo
	s_branch .LBB54_599
.LBB54_598:
	s_mov_b32 s20, -1
                                        ; implicit-def: $vgpr2
.LBB54_599:
	s_mov_b32 s21, 0
.LBB54_600:
	s_delay_alu instid0(SALU_CYCLE_1)
	s_and_b32 vcc_lo, exec_lo, s21
	s_cbranch_vccz .LBB54_649
; %bb.601:
	s_cmp_lt_i32 s0, 5
	s_cbranch_scc1 .LBB54_606
; %bb.602:
	s_cmp_lt_i32 s0, 8
	s_cbranch_scc1 .LBB54_607
	;; [unrolled: 3-line block ×3, first 2 shown]
; %bb.604:
	s_cmp_gt_i32 s0, 9
	s_cbranch_scc0 .LBB54_609
; %bb.605:
	s_wait_loadcnt 0x0
	global_load_b64 v[2:3], v[0:1], off
	s_mov_b32 s1, 0
	s_wait_loadcnt 0x0
	v_and_or_b32 v2, 0x1ff, v3, v2
	v_lshrrev_b32_e32 v5, 8, v3
	v_bfe_u32 v6, v3, 20, 11
	v_lshrrev_b32_e32 v3, 16, v3
	s_delay_alu instid0(VALU_DEP_4) | instskip(NEXT) | instid1(VALU_DEP_3)
	v_cmp_ne_u32_e32 vcc_lo, 0, v2
	v_sub_nc_u32_e32 v7, 0x3f1, v6
	v_add_nc_u32_e32 v6, 0xfffffc10, v6
	v_cndmask_b32_e64 v2, 0, 1, vcc_lo
	s_delay_alu instid0(VALU_DEP_1) | instskip(NEXT) | instid1(VALU_DEP_4)
	v_and_or_b32 v2, 0xffe, v5, v2
	v_med3_i32 v5, v7, 0, 13
	s_delay_alu instid0(VALU_DEP_2) | instskip(NEXT) | instid1(VALU_DEP_1)
	v_or_b32_e32 v7, 0x1000, v2
	v_lshrrev_b32_e32 v8, v5, v7
	s_delay_alu instid0(VALU_DEP_1) | instskip(NEXT) | instid1(VALU_DEP_1)
	v_lshlrev_b32_e32 v5, v5, v8
	v_cmp_ne_u32_e32 vcc_lo, v5, v7
	v_lshl_or_b32 v7, v6, 12, v2
	v_cndmask_b32_e64 v5, 0, 1, vcc_lo
	v_cmp_gt_i32_e32 vcc_lo, 1, v6
	s_delay_alu instid0(VALU_DEP_2) | instskip(NEXT) | instid1(VALU_DEP_1)
	v_or_b32_e32 v5, v8, v5
	v_cndmask_b32_e32 v5, v7, v5, vcc_lo
	s_delay_alu instid0(VALU_DEP_1) | instskip(NEXT) | instid1(VALU_DEP_1)
	v_dual_lshrrev_b32 v5, 2, v5 :: v_dual_bitop2_b32 v7, 7, v5 bitop3:0x40
	v_cmp_lt_i32_e32 vcc_lo, 5, v7
	v_cndmask_b32_e64 v8, 0, 1, vcc_lo
	v_cmp_eq_u32_e32 vcc_lo, 3, v7
	v_cndmask_b32_e64 v7, 0, 1, vcc_lo
	v_cmp_ne_u32_e32 vcc_lo, 0, v2
	s_delay_alu instid0(VALU_DEP_2) | instskip(NEXT) | instid1(VALU_DEP_1)
	v_or_b32_e32 v7, v7, v8
	v_dual_mov_b32 v8, 0x7e00 :: v_dual_add_nc_u32 v5, v5, v7
	s_delay_alu instid0(VALU_DEP_1) | instskip(SKIP_1) | instid1(VALU_DEP_3)
	v_cndmask_b32_e32 v2, 0x7c00, v8, vcc_lo
	v_cmp_gt_i32_e32 vcc_lo, 31, v6
	v_cndmask_b32_e32 v5, 0x7c00, v5, vcc_lo
	v_cmp_eq_u32_e32 vcc_lo, 0x40f, v6
	s_delay_alu instid0(VALU_DEP_2) | instskip(NEXT) | instid1(VALU_DEP_1)
	v_cndmask_b32_e32 v2, v5, v2, vcc_lo
	v_and_or_b32 v2, 0x8000, v3, v2
	s_branch .LBB54_610
.LBB54_606:
	s_mov_b32 s1, -1
                                        ; implicit-def: $vgpr2
	s_branch .LBB54_628
.LBB54_607:
	s_mov_b32 s1, -1
                                        ; implicit-def: $vgpr2
	s_branch .LBB54_616
.LBB54_608:
	s_mov_b32 s1, -1
                                        ; implicit-def: $vgpr2
	s_branch .LBB54_613
.LBB54_609:
	s_mov_b32 s1, -1
                                        ; implicit-def: $vgpr2
.LBB54_610:
	s_delay_alu instid0(SALU_CYCLE_1)
	s_and_not1_b32 vcc_lo, exec_lo, s1
	s_cbranch_vccnz .LBB54_612
; %bb.611:
	s_wait_loadcnt 0x0
	global_load_b32 v2, v[0:1], off
	s_wait_loadcnt 0x0
	v_cvt_f16_f32_e32 v2, v2
.LBB54_612:
	s_mov_b32 s1, 0
.LBB54_613:
	s_delay_alu instid0(SALU_CYCLE_1)
	s_and_not1_b32 vcc_lo, exec_lo, s1
	s_cbranch_vccnz .LBB54_615
; %bb.614:
	s_wait_loadcnt 0x0
	global_load_b32 v2, v[0:1], off
.LBB54_615:
	s_mov_b32 s1, 0
.LBB54_616:
	s_delay_alu instid0(SALU_CYCLE_1)
	s_and_not1_b32 vcc_lo, exec_lo, s1
	s_cbranch_vccnz .LBB54_627
; %bb.617:
	s_cmp_lt_i32 s0, 6
	s_cbranch_scc1 .LBB54_620
; %bb.618:
	s_cmp_gt_i32 s0, 6
	s_cbranch_scc0 .LBB54_621
; %bb.619:
	s_wait_loadcnt 0x0
	global_load_b64 v[2:3], v[0:1], off
	s_mov_b32 s1, 0
	s_wait_loadcnt 0x0
	v_and_or_b32 v2, 0x1ff, v3, v2
	v_lshrrev_b32_e32 v5, 8, v3
	v_bfe_u32 v6, v3, 20, 11
	v_lshrrev_b32_e32 v3, 16, v3
	s_delay_alu instid0(VALU_DEP_4) | instskip(NEXT) | instid1(VALU_DEP_3)
	v_cmp_ne_u32_e32 vcc_lo, 0, v2
	v_sub_nc_u32_e32 v7, 0x3f1, v6
	v_add_nc_u32_e32 v6, 0xfffffc10, v6
	v_cndmask_b32_e64 v2, 0, 1, vcc_lo
	s_delay_alu instid0(VALU_DEP_1) | instskip(NEXT) | instid1(VALU_DEP_4)
	v_and_or_b32 v2, 0xffe, v5, v2
	v_med3_i32 v5, v7, 0, 13
	s_delay_alu instid0(VALU_DEP_2) | instskip(NEXT) | instid1(VALU_DEP_1)
	v_or_b32_e32 v7, 0x1000, v2
	v_lshrrev_b32_e32 v8, v5, v7
	s_delay_alu instid0(VALU_DEP_1) | instskip(NEXT) | instid1(VALU_DEP_1)
	v_lshlrev_b32_e32 v5, v5, v8
	v_cmp_ne_u32_e32 vcc_lo, v5, v7
	v_lshl_or_b32 v7, v6, 12, v2
	v_cndmask_b32_e64 v5, 0, 1, vcc_lo
	v_cmp_gt_i32_e32 vcc_lo, 1, v6
	s_delay_alu instid0(VALU_DEP_2) | instskip(NEXT) | instid1(VALU_DEP_1)
	v_or_b32_e32 v5, v8, v5
	v_cndmask_b32_e32 v5, v7, v5, vcc_lo
	s_delay_alu instid0(VALU_DEP_1) | instskip(NEXT) | instid1(VALU_DEP_1)
	v_dual_lshrrev_b32 v5, 2, v5 :: v_dual_bitop2_b32 v7, 7, v5 bitop3:0x40
	v_cmp_lt_i32_e32 vcc_lo, 5, v7
	v_cndmask_b32_e64 v8, 0, 1, vcc_lo
	v_cmp_eq_u32_e32 vcc_lo, 3, v7
	v_cndmask_b32_e64 v7, 0, 1, vcc_lo
	v_cmp_ne_u32_e32 vcc_lo, 0, v2
	s_delay_alu instid0(VALU_DEP_2) | instskip(NEXT) | instid1(VALU_DEP_1)
	v_or_b32_e32 v7, v7, v8
	v_dual_mov_b32 v8, 0x7e00 :: v_dual_add_nc_u32 v5, v5, v7
	s_delay_alu instid0(VALU_DEP_1) | instskip(SKIP_1) | instid1(VALU_DEP_3)
	v_cndmask_b32_e32 v2, 0x7c00, v8, vcc_lo
	v_cmp_gt_i32_e32 vcc_lo, 31, v6
	v_cndmask_b32_e32 v5, 0x7c00, v5, vcc_lo
	v_cmp_eq_u32_e32 vcc_lo, 0x40f, v6
	s_delay_alu instid0(VALU_DEP_2) | instskip(NEXT) | instid1(VALU_DEP_1)
	v_cndmask_b32_e32 v2, v5, v2, vcc_lo
	v_and_or_b32 v2, 0x8000, v3, v2
	s_branch .LBB54_622
.LBB54_620:
	s_mov_b32 s1, -1
                                        ; implicit-def: $vgpr2
	s_branch .LBB54_625
.LBB54_621:
	s_mov_b32 s1, -1
                                        ; implicit-def: $vgpr2
.LBB54_622:
	s_delay_alu instid0(SALU_CYCLE_1)
	s_and_not1_b32 vcc_lo, exec_lo, s1
	s_cbranch_vccnz .LBB54_624
; %bb.623:
	s_wait_loadcnt 0x0
	global_load_b32 v2, v[0:1], off
	s_wait_loadcnt 0x0
	v_cvt_f16_f32_e32 v2, v2
.LBB54_624:
	s_mov_b32 s1, 0
.LBB54_625:
	s_delay_alu instid0(SALU_CYCLE_1)
	s_and_not1_b32 vcc_lo, exec_lo, s1
	s_cbranch_vccnz .LBB54_627
; %bb.626:
	s_wait_loadcnt 0x0
	global_load_u16 v2, v[0:1], off
.LBB54_627:
	s_mov_b32 s1, 0
.LBB54_628:
	s_delay_alu instid0(SALU_CYCLE_1)
	s_and_not1_b32 vcc_lo, exec_lo, s1
	s_cbranch_vccnz .LBB54_648
; %bb.629:
	s_cmp_lt_i32 s0, 2
	s_cbranch_scc1 .LBB54_633
; %bb.630:
	s_cmp_lt_i32 s0, 3
	s_cbranch_scc1 .LBB54_634
; %bb.631:
	s_cmp_gt_i32 s0, 3
	s_cbranch_scc0 .LBB54_635
; %bb.632:
	s_wait_loadcnt 0x0
	global_load_b64 v[2:3], v[0:1], off
	s_mov_b32 s1, 0
	s_wait_loadcnt 0x0
	v_xor_b32_e32 v5, v2, v3
	v_cls_i32_e32 v6, v3
	s_delay_alu instid0(VALU_DEP_2) | instskip(NEXT) | instid1(VALU_DEP_1)
	v_ashrrev_i32_e32 v5, 31, v5
	v_add_nc_u32_e32 v5, 32, v5
	s_delay_alu instid0(VALU_DEP_1) | instskip(NEXT) | instid1(VALU_DEP_1)
	v_add_min_u32_e64 v5, v6, -1, v5
	v_lshlrev_b64_e32 v[2:3], v5, v[2:3]
	s_delay_alu instid0(VALU_DEP_1) | instskip(NEXT) | instid1(VALU_DEP_1)
	v_min_u32_e32 v2, 1, v2
	v_dual_sub_nc_u32 v3, 32, v5 :: v_dual_bitop2_b32 v2, v3, v2 bitop3:0x54
	s_delay_alu instid0(VALU_DEP_1) | instskip(NEXT) | instid1(VALU_DEP_1)
	v_cvt_f32_i32_e32 v2, v2
	v_ldexp_f32 v2, v2, v3
	s_delay_alu instid0(VALU_DEP_1)
	v_cvt_f16_f32_e32 v2, v2
	s_branch .LBB54_636
.LBB54_633:
	s_mov_b32 s1, -1
                                        ; implicit-def: $vgpr2
	s_branch .LBB54_642
.LBB54_634:
	s_mov_b32 s1, -1
                                        ; implicit-def: $vgpr2
	s_branch .LBB54_639
.LBB54_635:
	s_mov_b32 s1, -1
                                        ; implicit-def: $vgpr2
.LBB54_636:
	s_delay_alu instid0(SALU_CYCLE_1)
	s_and_not1_b32 vcc_lo, exec_lo, s1
	s_cbranch_vccnz .LBB54_638
; %bb.637:
	s_wait_loadcnt 0x0
	global_load_b32 v2, v[0:1], off
	s_wait_loadcnt 0x0
	v_cvt_f32_i32_e32 v2, v2
	s_delay_alu instid0(VALU_DEP_1)
	v_cvt_f16_f32_e32 v2, v2
.LBB54_638:
	s_mov_b32 s1, 0
.LBB54_639:
	s_delay_alu instid0(SALU_CYCLE_1)
	s_and_not1_b32 vcc_lo, exec_lo, s1
	s_cbranch_vccnz .LBB54_641
; %bb.640:
	s_wait_loadcnt 0x0
	global_load_u16 v2, v[0:1], off
	s_wait_loadcnt 0x0
	v_cvt_f16_i16_e32 v2, v2
.LBB54_641:
	s_mov_b32 s1, 0
.LBB54_642:
	s_delay_alu instid0(SALU_CYCLE_1)
	s_and_not1_b32 vcc_lo, exec_lo, s1
	s_cbranch_vccnz .LBB54_648
; %bb.643:
	s_cmp_gt_i32 s0, 0
	s_mov_b32 s0, 0
	s_cbranch_scc0 .LBB54_645
; %bb.644:
	s_wait_loadcnt 0x0
	global_load_i8 v2, v[0:1], off
	s_wait_loadcnt 0x0
	v_cvt_f16_i16_e32 v2, v2
	s_branch .LBB54_646
.LBB54_645:
	s_mov_b32 s0, -1
                                        ; implicit-def: $vgpr2
.LBB54_646:
	s_delay_alu instid0(SALU_CYCLE_1)
	s_and_not1_b32 vcc_lo, exec_lo, s0
	s_cbranch_vccnz .LBB54_648
; %bb.647:
	global_load_u8 v0, v[0:1], off
	s_wait_loadcnt 0x0
	v_cvt_f16_u16_e32 v2, v0
.LBB54_648:
	s_mov_b32 s1, -1
.LBB54_649:
	s_delay_alu instid0(SALU_CYCLE_1)
	s_and_not1_b32 vcc_lo, exec_lo, s1
	s_cbranch_vccnz .LBB54_657
; %bb.650:
	s_wait_xcnt 0x0
	v_mul_lo_u32 v0, v4, s2
	s_wait_loadcnt 0x0
	v_cmp_eq_f16_e64 s0, 0x7c00, v2
	s_and_b32 s21, s8, 0xff
	s_delay_alu instid0(SALU_CYCLE_1) | instskip(SKIP_1) | instid1(VALU_DEP_1)
	s_cmp_lt_i32 s21, 11
	v_ashrrev_i32_e32 v1, 31, v0
	v_add_nc_u64_e32 v[0:1], s[4:5], v[0:1]
	s_cbranch_scc1 .LBB54_658
; %bb.651:
	s_and_b32 s22, 0xffff, s21
	s_delay_alu instid0(SALU_CYCLE_1)
	s_cmp_gt_i32 s22, 25
	s_cbranch_scc0 .LBB54_659
; %bb.652:
	s_cmp_gt_i32 s22, 28
	s_cbranch_scc0 .LBB54_660
; %bb.653:
	;; [unrolled: 3-line block ×4, first 2 shown]
	s_mov_b32 s24, 0
	s_mov_b32 s1, -1
	s_cmp_eq_u32 s22, 46
	s_mov_b32 s23, 0
	s_cbranch_scc0 .LBB54_663
; %bb.656:
	v_cndmask_b32_e64 v2, 0, 1.0, s0
	s_mov_b32 s23, -1
	s_mov_b32 s1, 0
	s_delay_alu instid0(VALU_DEP_1) | instskip(NEXT) | instid1(VALU_DEP_1)
	v_bfe_u32 v3, v2, 16, 1
	v_add3_u32 v2, v2, v3, 0x7fff
	s_delay_alu instid0(VALU_DEP_1)
	v_lshrrev_b32_e32 v2, 16, v2
	global_store_b32 v[0:1], v2, off
	s_branch .LBB54_663
.LBB54_657:
	s_mov_b32 s21, 0
	s_mov_b32 s1, s17
	s_branch .LBB54_774
.LBB54_658:
	s_mov_b32 s22, -1
	s_mov_b32 s23, 0
	s_mov_b32 s1, s17
	s_branch .LBB54_732
.LBB54_659:
	s_mov_b32 s24, -1
	s_mov_b32 s23, 0
	s_mov_b32 s1, s17
	s_branch .LBB54_690
.LBB54_660:
	s_mov_b32 s24, -1
	s_mov_b32 s23, 0
	s_mov_b32 s1, s17
	s_branch .LBB54_673
.LBB54_661:
	s_mov_b32 s24, -1
	s_mov_b32 s23, 0
	s_mov_b32 s1, s17
	s_branch .LBB54_669
.LBB54_662:
	s_mov_b32 s24, -1
	s_mov_b32 s23, 0
	s_mov_b32 s1, s17
.LBB54_663:
	s_and_b32 vcc_lo, exec_lo, s24
	s_cbranch_vccz .LBB54_668
; %bb.664:
	s_cmp_eq_u32 s22, 44
	s_mov_b32 s1, -1
	s_cbranch_scc0 .LBB54_668
; %bb.665:
	v_cndmask_b32_e64 v5, 0, 1.0, s0
	s_mov_b32 s23, exec_lo
	s_wait_xcnt 0x0
	s_delay_alu instid0(VALU_DEP_1) | instskip(NEXT) | instid1(VALU_DEP_1)
	v_dual_mov_b32 v3, 0xff :: v_dual_lshrrev_b32 v2, 23, v5
	v_cmpx_ne_u32_e32 0xff, v2
; %bb.666:
	v_and_b32_e32 v3, 0x400000, v5
	v_and_or_b32 v5, 0x3fffff, v5, v2
	s_delay_alu instid0(VALU_DEP_2) | instskip(NEXT) | instid1(VALU_DEP_2)
	v_cmp_ne_u32_e32 vcc_lo, 0, v3
	v_cmp_ne_u32_e64 s1, 0, v5
	s_and_b32 s1, vcc_lo, s1
	s_delay_alu instid0(SALU_CYCLE_1) | instskip(NEXT) | instid1(VALU_DEP_1)
	v_cndmask_b32_e64 v3, 0, 1, s1
	v_add_nc_u32_e32 v3, v2, v3
; %bb.667:
	s_or_b32 exec_lo, exec_lo, s23
	s_mov_b32 s23, -1
	s_mov_b32 s1, 0
	global_store_b8 v[0:1], v3, off
.LBB54_668:
	s_mov_b32 s24, 0
.LBB54_669:
	s_delay_alu instid0(SALU_CYCLE_1)
	s_and_b32 vcc_lo, exec_lo, s24
	s_cbranch_vccz .LBB54_672
; %bb.670:
	s_cmp_eq_u32 s22, 29
	s_mov_b32 s1, -1
	s_cbranch_scc0 .LBB54_672
; %bb.671:
	s_mov_b32 s1, 0
	s_wait_xcnt 0x0
	v_cndmask_b32_e64 v2, 0, 1, s0
	v_mov_b32_e32 v3, s1
	s_mov_b32 s23, -1
	s_mov_b32 s24, 0
	global_store_b64 v[0:1], v[2:3], off
	s_branch .LBB54_673
.LBB54_672:
	s_mov_b32 s24, 0
.LBB54_673:
	s_delay_alu instid0(SALU_CYCLE_1)
	s_and_b32 vcc_lo, exec_lo, s24
	s_cbranch_vccz .LBB54_689
; %bb.674:
	s_cmp_lt_i32 s22, 27
	s_mov_b32 s23, -1
	s_cbranch_scc1 .LBB54_680
; %bb.675:
	s_cmp_gt_i32 s22, 27
	s_cbranch_scc0 .LBB54_677
; %bb.676:
	s_wait_xcnt 0x0
	v_cndmask_b32_e64 v2, 0, 1, s0
	s_mov_b32 s23, 0
	global_store_b32 v[0:1], v2, off
.LBB54_677:
	s_and_not1_b32 vcc_lo, exec_lo, s23
	s_cbranch_vccnz .LBB54_679
; %bb.678:
	s_wait_xcnt 0x0
	v_cndmask_b32_e64 v2, 0, 1, s0
	global_store_b16 v[0:1], v2, off
.LBB54_679:
	s_mov_b32 s23, 0
.LBB54_680:
	s_delay_alu instid0(SALU_CYCLE_1)
	s_and_not1_b32 vcc_lo, exec_lo, s23
	s_cbranch_vccnz .LBB54_688
; %bb.681:
	s_wait_xcnt 0x0
	v_cndmask_b32_e64 v3, 0, 1.0, s0
	v_mov_b32_e32 v5, 0x80
	s_mov_b32 s23, exec_lo
	s_delay_alu instid0(VALU_DEP_2)
	v_cmpx_gt_u32_e32 0x43800000, v3
	s_cbranch_execz .LBB54_687
; %bb.682:
	s_mov_b32 s24, 0
	s_mov_b32 s25, exec_lo
                                        ; implicit-def: $vgpr2
	v_cmpx_lt_u32_e32 0x3bffffff, v3
	s_xor_b32 s25, exec_lo, s25
	s_cbranch_execz .LBB54_789
; %bb.683:
	v_bfe_u32 v2, v3, 20, 1
	s_mov_b32 s24, exec_lo
	s_delay_alu instid0(VALU_DEP_1) | instskip(NEXT) | instid1(VALU_DEP_1)
	v_add3_u32 v2, v3, v2, 0x487ffff
                                        ; implicit-def: $vgpr3
	v_lshrrev_b32_e32 v2, 20, v2
	s_and_not1_saveexec_b32 s25, s25
	s_cbranch_execnz .LBB54_790
.LBB54_684:
	s_or_b32 exec_lo, exec_lo, s25
	v_mov_b32_e32 v5, 0
	s_and_saveexec_b32 s25, s24
.LBB54_685:
	v_mov_b32_e32 v5, v2
.LBB54_686:
	s_or_b32 exec_lo, exec_lo, s25
.LBB54_687:
	s_delay_alu instid0(SALU_CYCLE_1)
	s_or_b32 exec_lo, exec_lo, s23
	global_store_b8 v[0:1], v5, off
.LBB54_688:
	s_mov_b32 s23, -1
.LBB54_689:
	s_mov_b32 s24, 0
.LBB54_690:
	s_delay_alu instid0(SALU_CYCLE_1)
	s_and_b32 vcc_lo, exec_lo, s24
	s_cbranch_vccz .LBB54_731
; %bb.691:
	s_cmp_gt_i32 s22, 22
	s_mov_b32 s24, -1
	s_cbranch_scc0 .LBB54_723
; %bb.692:
	s_cmp_lt_i32 s22, 24
	s_mov_b32 s23, -1
	s_cbranch_scc1 .LBB54_712
; %bb.693:
	s_cmp_gt_i32 s22, 24
	s_cbranch_scc0 .LBB54_701
; %bb.694:
	s_wait_xcnt 0x0
	v_cndmask_b32_e64 v3, 0, 1.0, s0
	v_mov_b32_e32 v5, 0x80
	s_mov_b32 s23, exec_lo
	s_delay_alu instid0(VALU_DEP_2)
	v_cmpx_gt_u32_e32 0x47800000, v3
	s_cbranch_execz .LBB54_700
; %bb.695:
	s_mov_b32 s24, 0
	s_mov_b32 s25, exec_lo
                                        ; implicit-def: $vgpr2
	v_cmpx_lt_u32_e32 0x37ffffff, v3
	s_xor_b32 s25, exec_lo, s25
	s_cbranch_execz .LBB54_792
; %bb.696:
	v_bfe_u32 v2, v3, 21, 1
	s_mov_b32 s24, exec_lo
	s_delay_alu instid0(VALU_DEP_1) | instskip(NEXT) | instid1(VALU_DEP_1)
	v_add3_u32 v2, v3, v2, 0x88fffff
                                        ; implicit-def: $vgpr3
	v_lshrrev_b32_e32 v2, 21, v2
	s_and_not1_saveexec_b32 s25, s25
	s_cbranch_execnz .LBB54_793
.LBB54_697:
	s_or_b32 exec_lo, exec_lo, s25
	v_mov_b32_e32 v5, 0
	s_and_saveexec_b32 s25, s24
.LBB54_698:
	v_mov_b32_e32 v5, v2
.LBB54_699:
	s_or_b32 exec_lo, exec_lo, s25
.LBB54_700:
	s_delay_alu instid0(SALU_CYCLE_1)
	s_or_b32 exec_lo, exec_lo, s23
	s_mov_b32 s23, 0
	global_store_b8 v[0:1], v5, off
.LBB54_701:
	s_and_b32 vcc_lo, exec_lo, s23
	s_cbranch_vccz .LBB54_711
; %bb.702:
	s_wait_xcnt 0x0
	v_cndmask_b32_e64 v3, 0, 1.0, s0
	s_mov_b32 s23, exec_lo
                                        ; implicit-def: $vgpr2
	s_delay_alu instid0(VALU_DEP_1)
	v_cmpx_gt_u32_e32 0x43f00000, v3
	s_xor_b32 s23, exec_lo, s23
	s_cbranch_execz .LBB54_708
; %bb.703:
	s_mov_b32 s24, exec_lo
                                        ; implicit-def: $vgpr2
	v_cmpx_lt_u32_e32 0x3c7fffff, v3
	s_xor_b32 s24, exec_lo, s24
; %bb.704:
	v_bfe_u32 v2, v3, 20, 1
	s_delay_alu instid0(VALU_DEP_1) | instskip(NEXT) | instid1(VALU_DEP_1)
	v_add3_u32 v2, v3, v2, 0x407ffff
	v_and_b32_e32 v3, 0xff00000, v2
	v_lshrrev_b32_e32 v2, 20, v2
	s_delay_alu instid0(VALU_DEP_2) | instskip(NEXT) | instid1(VALU_DEP_2)
	v_cmp_ne_u32_e32 vcc_lo, 0x7f00000, v3
                                        ; implicit-def: $vgpr3
	v_cndmask_b32_e32 v2, 0x7e, v2, vcc_lo
; %bb.705:
	s_and_not1_saveexec_b32 s24, s24
; %bb.706:
	v_add_f32_e32 v2, 0x46800000, v3
; %bb.707:
	s_or_b32 exec_lo, exec_lo, s24
                                        ; implicit-def: $vgpr3
.LBB54_708:
	s_and_not1_saveexec_b32 s23, s23
; %bb.709:
	v_mov_b32_e32 v2, 0x7f
	v_cmp_lt_u32_e32 vcc_lo, 0x7f800000, v3
	s_delay_alu instid0(VALU_DEP_2)
	v_cndmask_b32_e32 v2, 0x7e, v2, vcc_lo
; %bb.710:
	s_or_b32 exec_lo, exec_lo, s23
	global_store_b8 v[0:1], v2, off
.LBB54_711:
	s_mov_b32 s23, 0
.LBB54_712:
	s_delay_alu instid0(SALU_CYCLE_1)
	s_and_not1_b32 vcc_lo, exec_lo, s23
	s_cbranch_vccnz .LBB54_722
; %bb.713:
	s_wait_xcnt 0x0
	v_cndmask_b32_e64 v3, 0, 1.0, s0
	s_mov_b32 s23, exec_lo
                                        ; implicit-def: $vgpr2
	s_delay_alu instid0(VALU_DEP_1)
	v_cmpx_gt_u32_e32 0x47800000, v3
	s_xor_b32 s23, exec_lo, s23
	s_cbranch_execz .LBB54_719
; %bb.714:
	s_mov_b32 s24, exec_lo
                                        ; implicit-def: $vgpr2
	v_cmpx_lt_u32_e32 0x387fffff, v3
	s_xor_b32 s24, exec_lo, s24
; %bb.715:
	v_bfe_u32 v2, v3, 21, 1
	s_delay_alu instid0(VALU_DEP_1) | instskip(NEXT) | instid1(VALU_DEP_1)
	v_add3_u32 v2, v3, v2, 0x80fffff
                                        ; implicit-def: $vgpr3
	v_lshrrev_b32_e32 v2, 21, v2
; %bb.716:
	s_and_not1_saveexec_b32 s24, s24
; %bb.717:
	v_add_f32_e32 v2, 0x43000000, v3
; %bb.718:
	s_or_b32 exec_lo, exec_lo, s24
                                        ; implicit-def: $vgpr3
.LBB54_719:
	s_and_not1_saveexec_b32 s23, s23
; %bb.720:
	v_mov_b32_e32 v2, 0x7f
	v_cmp_lt_u32_e32 vcc_lo, 0x7f800000, v3
	s_delay_alu instid0(VALU_DEP_2)
	v_cndmask_b32_e32 v2, 0x7c, v2, vcc_lo
; %bb.721:
	s_or_b32 exec_lo, exec_lo, s23
	global_store_b8 v[0:1], v2, off
.LBB54_722:
	s_mov_b32 s24, 0
	s_mov_b32 s23, -1
.LBB54_723:
	s_and_not1_b32 vcc_lo, exec_lo, s24
	s_cbranch_vccnz .LBB54_731
; %bb.724:
	s_cmp_gt_i32 s22, 14
	s_mov_b32 s24, -1
	s_cbranch_scc0 .LBB54_728
; %bb.725:
	s_cmp_eq_u32 s22, 15
	s_mov_b32 s1, -1
	s_cbranch_scc0 .LBB54_727
; %bb.726:
	s_wait_xcnt 0x0
	v_cndmask_b32_e64 v2, 0, 1.0, s0
	s_mov_b32 s23, -1
	s_mov_b32 s1, 0
	s_delay_alu instid0(VALU_DEP_1) | instskip(NEXT) | instid1(VALU_DEP_1)
	v_bfe_u32 v3, v2, 16, 1
	v_add3_u32 v2, v2, v3, 0x7fff
	global_store_d16_hi_b16 v[0:1], v2, off
.LBB54_727:
	s_mov_b32 s24, 0
.LBB54_728:
	s_delay_alu instid0(SALU_CYCLE_1)
	s_and_b32 vcc_lo, exec_lo, s24
	s_cbranch_vccz .LBB54_731
; %bb.729:
	s_cmp_eq_u32 s22, 11
	s_mov_b32 s1, -1
	s_cbranch_scc0 .LBB54_731
; %bb.730:
	s_wait_xcnt 0x0
	v_cndmask_b32_e64 v2, 0, 1, s0
	s_mov_b32 s23, -1
	s_mov_b32 s1, 0
	global_store_b8 v[0:1], v2, off
.LBB54_731:
	s_mov_b32 s22, 0
.LBB54_732:
	s_delay_alu instid0(SALU_CYCLE_1)
	s_and_b32 vcc_lo, exec_lo, s22
	s_cbranch_vccz .LBB54_771
; %bb.733:
	s_and_b32 s21, 0xffff, s21
	s_mov_b32 s22, -1
	s_cmp_lt_i32 s21, 5
	s_cbranch_scc1 .LBB54_754
; %bb.734:
	s_cmp_lt_i32 s21, 8
	s_cbranch_scc1 .LBB54_744
; %bb.735:
	s_cmp_lt_i32 s21, 9
	s_cbranch_scc1 .LBB54_741
; %bb.736:
	s_cmp_gt_i32 s21, 9
	s_cbranch_scc0 .LBB54_738
; %bb.737:
	s_wait_xcnt 0x0
	v_cndmask_b32_e64 v2, 0, 1, s0
	v_mov_b32_e32 v8, 0
	s_mov_b32 s22, 0
	s_delay_alu instid0(VALU_DEP_2) | instskip(NEXT) | instid1(VALU_DEP_2)
	v_cvt_f64_u32_e32 v[6:7], v2
	v_mov_b32_e32 v9, v8
	global_store_b128 v[0:1], v[6:9], off
.LBB54_738:
	s_and_not1_b32 vcc_lo, exec_lo, s22
	s_cbranch_vccnz .LBB54_740
; %bb.739:
	s_wait_xcnt 0x0
	v_cndmask_b32_e64 v2, 0, 1.0, s0
	v_mov_b32_e32 v3, 0
	global_store_b64 v[0:1], v[2:3], off
.LBB54_740:
	s_mov_b32 s22, 0
.LBB54_741:
	s_delay_alu instid0(SALU_CYCLE_1)
	s_and_not1_b32 vcc_lo, exec_lo, s22
	s_cbranch_vccnz .LBB54_743
; %bb.742:
	s_wait_xcnt 0x0
	v_cndmask_b32_e64 v2, 0, 1.0, s0
	s_delay_alu instid0(VALU_DEP_1) | instskip(NEXT) | instid1(VALU_DEP_1)
	v_cvt_f16_f32_e32 v2, v2
	v_and_b32_e32 v2, 0xffff, v2
	global_store_b32 v[0:1], v2, off
.LBB54_743:
	s_mov_b32 s22, 0
.LBB54_744:
	s_delay_alu instid0(SALU_CYCLE_1)
	s_and_not1_b32 vcc_lo, exec_lo, s22
	s_cbranch_vccnz .LBB54_753
; %bb.745:
	s_cmp_lt_i32 s21, 6
	s_mov_b32 s22, -1
	s_cbranch_scc1 .LBB54_751
; %bb.746:
	s_cmp_gt_i32 s21, 6
	s_cbranch_scc0 .LBB54_748
; %bb.747:
	s_wait_xcnt 0x0
	v_cndmask_b32_e64 v2, 0, 1, s0
	s_mov_b32 s22, 0
	s_delay_alu instid0(VALU_DEP_1)
	v_cvt_f64_u32_e32 v[2:3], v2
	global_store_b64 v[0:1], v[2:3], off
.LBB54_748:
	s_and_not1_b32 vcc_lo, exec_lo, s22
	s_cbranch_vccnz .LBB54_750
; %bb.749:
	s_wait_xcnt 0x0
	v_cndmask_b32_e64 v2, 0, 1.0, s0
	global_store_b32 v[0:1], v2, off
.LBB54_750:
	s_mov_b32 s22, 0
.LBB54_751:
	s_delay_alu instid0(SALU_CYCLE_1)
	s_and_not1_b32 vcc_lo, exec_lo, s22
	s_cbranch_vccnz .LBB54_753
; %bb.752:
	s_wait_xcnt 0x0
	v_cndmask_b32_e64 v2, 0, 1.0, s0
	s_delay_alu instid0(VALU_DEP_1)
	v_cvt_f16_f32_e32 v2, v2
	global_store_b16 v[0:1], v2, off
.LBB54_753:
	s_mov_b32 s22, 0
.LBB54_754:
	s_delay_alu instid0(SALU_CYCLE_1)
	s_and_not1_b32 vcc_lo, exec_lo, s22
	s_cbranch_vccnz .LBB54_770
; %bb.755:
	s_cmp_lt_i32 s21, 2
	s_mov_b32 s22, -1
	s_cbranch_scc1 .LBB54_765
; %bb.756:
	s_cmp_lt_i32 s21, 3
	s_cbranch_scc1 .LBB54_762
; %bb.757:
	s_cmp_gt_i32 s21, 3
	s_cbranch_scc0 .LBB54_759
; %bb.758:
	s_mov_b32 s22, 0
	s_wait_xcnt 0x0
	v_cndmask_b32_e64 v2, 0, 1, s0
	v_mov_b32_e32 v3, s22
	global_store_b64 v[0:1], v[2:3], off
.LBB54_759:
	s_and_not1_b32 vcc_lo, exec_lo, s22
	s_cbranch_vccnz .LBB54_761
; %bb.760:
	s_wait_xcnt 0x0
	v_cndmask_b32_e64 v2, 0, 1, s0
	global_store_b32 v[0:1], v2, off
.LBB54_761:
	s_mov_b32 s22, 0
.LBB54_762:
	s_delay_alu instid0(SALU_CYCLE_1)
	s_and_not1_b32 vcc_lo, exec_lo, s22
	s_cbranch_vccnz .LBB54_764
; %bb.763:
	s_wait_xcnt 0x0
	v_cndmask_b32_e64 v2, 0, 1, s0
	global_store_b16 v[0:1], v2, off
.LBB54_764:
	s_mov_b32 s22, 0
.LBB54_765:
	s_delay_alu instid0(SALU_CYCLE_1)
	s_and_not1_b32 vcc_lo, exec_lo, s22
	s_cbranch_vccnz .LBB54_770
; %bb.766:
	s_wait_xcnt 0x0
	v_cndmask_b32_e64 v2, 0, 1, s0
	s_cmp_gt_i32 s21, 0
	s_mov_b32 s0, -1
	s_cbranch_scc0 .LBB54_768
; %bb.767:
	s_mov_b32 s0, 0
	global_store_b8 v[0:1], v2, off
.LBB54_768:
	s_and_not1_b32 vcc_lo, exec_lo, s0
	s_cbranch_vccnz .LBB54_770
; %bb.769:
	global_store_b8 v[0:1], v2, off
.LBB54_770:
	s_mov_b32 s23, -1
.LBB54_771:
	s_delay_alu instid0(SALU_CYCLE_1)
	s_and_not1_b32 vcc_lo, exec_lo, s23
	s_cbranch_vccnz .LBB54_773
; %bb.772:
	v_add_nc_u32_e32 v4, 0x80, v4
	s_mov_b32 s21, -1
	s_branch .LBB54_775
.LBB54_773:
	s_mov_b32 s21, 0
.LBB54_774:
                                        ; implicit-def: $vgpr4
.LBB54_775:
	s_and_not1_b32 s0, s17, exec_lo
	s_and_b32 s1, s1, exec_lo
	s_and_not1_b32 s22, s16, exec_lo
	s_and_b32 s20, s20, exec_lo
	s_or_b32 s1, s0, s1
	s_or_b32 s0, s22, s20
	s_or_not1_b32 s20, s21, exec_lo
.LBB54_776:
	s_wait_xcnt 0x0
	s_or_b32 exec_lo, exec_lo, s19
	s_mov_b32 s21, 0
	s_mov_b32 s22, 0
	;; [unrolled: 1-line block ×3, first 2 shown]
                                        ; implicit-def: $vgpr0_vgpr1
                                        ; implicit-def: $vgpr2
	s_and_saveexec_b32 s19, s20
	s_cbranch_execz .LBB54_861
; %bb.777:
	v_cmp_gt_i32_e32 vcc_lo, s13, v4
	s_mov_b32 s20, 0
	s_mov_b32 s21, s0
	;; [unrolled: 1-line block ×3, first 2 shown]
                                        ; implicit-def: $vgpr0_vgpr1
                                        ; implicit-def: $vgpr2
	s_and_saveexec_b32 s13, vcc_lo
	s_cbranch_execz .LBB54_860
; %bb.778:
	v_mul_lo_u32 v0, v4, s3
	s_and_b32 s20, 0xffff, s10
	s_delay_alu instid0(SALU_CYCLE_1) | instskip(NEXT) | instid1(VALU_DEP_1)
	s_cmp_lt_i32 s20, 11
	v_ashrrev_i32_e32 v1, 31, v0
	s_delay_alu instid0(VALU_DEP_1)
	v_add_nc_u64_e32 v[0:1], s[6:7], v[0:1]
	s_cbranch_scc1 .LBB54_785
; %bb.779:
	s_cmp_gt_i32 s20, 25
	s_cbranch_scc0 .LBB54_786
; %bb.780:
	s_cmp_gt_i32 s20, 28
	s_cbranch_scc0 .LBB54_787
	;; [unrolled: 3-line block ×4, first 2 shown]
; %bb.783:
	s_cmp_eq_u32 s20, 46
	s_cbranch_scc0 .LBB54_794
; %bb.784:
	s_wait_loadcnt 0x0
	global_load_b32 v2, v[0:1], off
	s_mov_b32 s21, 0
	s_mov_b32 s23, -1
	s_wait_loadcnt 0x0
	v_lshlrev_b32_e32 v2, 16, v2
	s_delay_alu instid0(VALU_DEP_1)
	v_cvt_f16_f32_e32 v2, v2
	s_branch .LBB54_796
.LBB54_785:
	s_mov_b32 s20, -1
	s_mov_b32 s21, s0
                                        ; implicit-def: $vgpr2
	s_branch .LBB54_859
.LBB54_786:
	s_mov_b32 s24, -1
	s_mov_b32 s21, s0
                                        ; implicit-def: $vgpr2
	s_branch .LBB54_825
.LBB54_787:
	s_mov_b32 s24, -1
	s_mov_b32 s21, s0
                                        ; implicit-def: $vgpr2
	s_branch .LBB54_806
.LBB54_788:
	s_mov_b32 s24, -1
	s_mov_b32 s21, s0
                                        ; implicit-def: $vgpr2
	s_branch .LBB54_801
.LBB54_789:
	s_and_not1_saveexec_b32 s25, s25
	s_cbranch_execz .LBB54_684
.LBB54_790:
	v_add_f32_e32 v2, 0x46000000, v3
	s_and_not1_b32 s24, s24, exec_lo
	s_delay_alu instid0(VALU_DEP_1) | instskip(NEXT) | instid1(VALU_DEP_1)
	v_and_b32_e32 v2, 0xff, v2
	v_cmp_ne_u32_e32 vcc_lo, 0, v2
	s_and_b32 s26, vcc_lo, exec_lo
	s_delay_alu instid0(SALU_CYCLE_1)
	s_or_b32 s24, s24, s26
	s_or_b32 exec_lo, exec_lo, s25
	v_mov_b32_e32 v5, 0
	s_and_saveexec_b32 s25, s24
	s_cbranch_execnz .LBB54_685
	s_branch .LBB54_686
.LBB54_791:
	s_mov_b32 s24, -1
	s_mov_b32 s21, s0
	s_branch .LBB54_795
.LBB54_792:
	s_and_not1_saveexec_b32 s25, s25
	s_cbranch_execz .LBB54_697
.LBB54_793:
	v_add_f32_e32 v2, 0x42800000, v3
	s_and_not1_b32 s24, s24, exec_lo
	s_delay_alu instid0(VALU_DEP_1) | instskip(NEXT) | instid1(VALU_DEP_1)
	v_and_b32_e32 v2, 0xff, v2
	v_cmp_ne_u32_e32 vcc_lo, 0, v2
	s_and_b32 s26, vcc_lo, exec_lo
	s_delay_alu instid0(SALU_CYCLE_1)
	s_or_b32 s24, s24, s26
	s_or_b32 exec_lo, exec_lo, s25
	v_mov_b32_e32 v5, 0
	s_and_saveexec_b32 s25, s24
	s_cbranch_execnz .LBB54_698
	s_branch .LBB54_699
.LBB54_794:
	s_mov_b32 s21, -1
.LBB54_795:
                                        ; implicit-def: $vgpr2
.LBB54_796:
	s_and_b32 vcc_lo, exec_lo, s24
	s_cbranch_vccz .LBB54_800
; %bb.797:
	s_cmp_eq_u32 s20, 44
	s_cbranch_scc0 .LBB54_799
; %bb.798:
	s_wait_loadcnt 0x0
	global_load_u8 v2, v[0:1], off
	s_mov_b32 s21, 0
	s_mov_b32 s23, -1
	s_wait_loadcnt 0x0
	v_lshlrev_b32_e32 v3, 23, v2
	v_cmp_ne_u32_e32 vcc_lo, 0xff, v2
	s_delay_alu instid0(VALU_DEP_2) | instskip(NEXT) | instid1(VALU_DEP_1)
	v_cvt_f16_f32_e32 v3, v3
	v_cndmask_b32_e32 v3, 0x7e00, v3, vcc_lo
	v_cmp_ne_u32_e32 vcc_lo, 0, v2
	s_delay_alu instid0(VALU_DEP_2)
	v_cndmask_b32_e32 v2, 0, v3, vcc_lo
	s_branch .LBB54_800
.LBB54_799:
	s_mov_b32 s21, -1
                                        ; implicit-def: $vgpr2
.LBB54_800:
	s_mov_b32 s24, 0
.LBB54_801:
	s_delay_alu instid0(SALU_CYCLE_1)
	s_and_b32 vcc_lo, exec_lo, s24
	s_cbranch_vccz .LBB54_805
; %bb.802:
	s_cmp_eq_u32 s20, 29
	s_cbranch_scc0 .LBB54_804
; %bb.803:
	s_wait_loadcnt 0x0
	global_load_b64 v[2:3], v[0:1], off
	s_mov_b32 s21, 0
	s_mov_b32 s23, -1
	s_mov_b32 s24, 0
	s_wait_loadcnt 0x0
	v_clz_i32_u32_e32 v5, v3
	s_delay_alu instid0(VALU_DEP_1) | instskip(NEXT) | instid1(VALU_DEP_1)
	v_min_u32_e32 v5, 32, v5
	v_lshlrev_b64_e32 v[2:3], v5, v[2:3]
	s_delay_alu instid0(VALU_DEP_1) | instskip(NEXT) | instid1(VALU_DEP_1)
	v_min_u32_e32 v2, 1, v2
	v_dual_sub_nc_u32 v3, 32, v5 :: v_dual_bitop2_b32 v2, v3, v2 bitop3:0x54
	s_delay_alu instid0(VALU_DEP_1) | instskip(NEXT) | instid1(VALU_DEP_1)
	v_cvt_f32_u32_e32 v2, v2
	v_ldexp_f32 v2, v2, v3
	s_delay_alu instid0(VALU_DEP_1)
	v_cvt_f16_f32_e32 v2, v2
	s_branch .LBB54_806
.LBB54_804:
	s_mov_b32 s21, -1
                                        ; implicit-def: $vgpr2
.LBB54_805:
	s_mov_b32 s24, 0
.LBB54_806:
	s_delay_alu instid0(SALU_CYCLE_1)
	s_and_b32 vcc_lo, exec_lo, s24
	s_cbranch_vccz .LBB54_824
; %bb.807:
	s_cmp_lt_i32 s20, 27
	s_cbranch_scc1 .LBB54_810
; %bb.808:
	s_cmp_gt_i32 s20, 27
	s_cbranch_scc0 .LBB54_811
; %bb.809:
	s_wait_loadcnt 0x0
	global_load_b32 v2, v[0:1], off
	s_mov_b32 s23, 0
	s_wait_loadcnt 0x0
	v_cvt_f32_u32_e32 v2, v2
	s_delay_alu instid0(VALU_DEP_1)
	v_cvt_f16_f32_e32 v2, v2
	s_branch .LBB54_812
.LBB54_810:
	s_mov_b32 s23, -1
                                        ; implicit-def: $vgpr2
	s_branch .LBB54_815
.LBB54_811:
	s_mov_b32 s23, -1
                                        ; implicit-def: $vgpr2
.LBB54_812:
	s_delay_alu instid0(SALU_CYCLE_1)
	s_and_not1_b32 vcc_lo, exec_lo, s23
	s_cbranch_vccnz .LBB54_814
; %bb.813:
	s_wait_loadcnt 0x0
	global_load_u16 v2, v[0:1], off
	s_wait_loadcnt 0x0
	v_cvt_f16_u16_e32 v2, v2
.LBB54_814:
	s_mov_b32 s23, 0
.LBB54_815:
	s_delay_alu instid0(SALU_CYCLE_1)
	s_and_not1_b32 vcc_lo, exec_lo, s23
	s_cbranch_vccnz .LBB54_823
; %bb.816:
	global_load_u8 v3, v[0:1], off
	s_mov_b32 s23, 0
	s_mov_b32 s24, exec_lo
	s_wait_loadcnt 0x0
	v_cmpx_lt_i16_e32 0x7f, v3
	s_xor_b32 s24, exec_lo, s24
	s_cbranch_execz .LBB54_837
; %bb.817:
	s_mov_b32 s23, -1
	s_mov_b32 s25, exec_lo
	v_cmpx_eq_u16_e32 0x80, v3
; %bb.818:
	s_xor_b32 s23, exec_lo, -1
; %bb.819:
	s_or_b32 exec_lo, exec_lo, s25
	s_delay_alu instid0(SALU_CYCLE_1)
	s_and_b32 s23, s23, exec_lo
	s_or_saveexec_b32 s24, s24
	v_mov_b32_e32 v2, 0x7e00
	s_xor_b32 exec_lo, exec_lo, s24
	s_cbranch_execnz .LBB54_838
.LBB54_820:
	s_or_b32 exec_lo, exec_lo, s24
	s_and_saveexec_b32 s24, s23
	s_cbranch_execz .LBB54_822
.LBB54_821:
	v_and_b32_e32 v2, 0xffff, v3
	s_delay_alu instid0(VALU_DEP_1) | instskip(SKIP_1) | instid1(VALU_DEP_2)
	v_dual_lshlrev_b32 v3, 24, v3 :: v_dual_bitop2_b32 v5, 7, v2 bitop3:0x40
	v_bfe_u32 v8, v2, 3, 4
	v_and_b32_e32 v3, 0x80000000, v3
	s_delay_alu instid0(VALU_DEP_3) | instskip(NEXT) | instid1(VALU_DEP_3)
	v_clz_i32_u32_e32 v6, v5
	v_cmp_eq_u32_e32 vcc_lo, 0, v8
	s_delay_alu instid0(VALU_DEP_2) | instskip(NEXT) | instid1(VALU_DEP_1)
	v_min_u32_e32 v6, 32, v6
	v_subrev_nc_u32_e32 v7, 28, v6
	v_sub_nc_u32_e32 v6, 29, v6
	s_delay_alu instid0(VALU_DEP_2) | instskip(NEXT) | instid1(VALU_DEP_2)
	v_lshlrev_b32_e32 v2, v7, v2
	v_cndmask_b32_e32 v6, v8, v6, vcc_lo
	s_delay_alu instid0(VALU_DEP_2) | instskip(NEXT) | instid1(VALU_DEP_1)
	v_and_b32_e32 v2, 7, v2
	v_cndmask_b32_e32 v2, v5, v2, vcc_lo
	s_delay_alu instid0(VALU_DEP_3) | instskip(NEXT) | instid1(VALU_DEP_2)
	v_lshl_add_u32 v5, v6, 23, 0x3b800000
	v_lshlrev_b32_e32 v2, 20, v2
	s_delay_alu instid0(VALU_DEP_1) | instskip(NEXT) | instid1(VALU_DEP_1)
	v_or3_b32 v2, v3, v5, v2
	v_cvt_f16_f32_e32 v2, v2
.LBB54_822:
	s_or_b32 exec_lo, exec_lo, s24
.LBB54_823:
	s_mov_b32 s23, -1
.LBB54_824:
	s_mov_b32 s24, 0
.LBB54_825:
	s_delay_alu instid0(SALU_CYCLE_1)
	s_and_b32 vcc_lo, exec_lo, s24
	s_cbranch_vccz .LBB54_858
; %bb.826:
	s_cmp_gt_i32 s20, 22
	s_cbranch_scc0 .LBB54_836
; %bb.827:
	s_cmp_lt_i32 s20, 24
	s_cbranch_scc1 .LBB54_839
; %bb.828:
	s_cmp_gt_i32 s20, 24
	s_cbranch_scc0 .LBB54_840
; %bb.829:
	global_load_u8 v3, v[0:1], off
	s_mov_b32 s23, exec_lo
	s_wait_loadcnt 0x0
	v_cmpx_lt_i16_e32 0x7f, v3
	s_xor_b32 s23, exec_lo, s23
	s_cbranch_execz .LBB54_852
; %bb.830:
	s_mov_b32 s22, -1
	s_mov_b32 s24, exec_lo
	v_cmpx_eq_u16_e32 0x80, v3
; %bb.831:
	s_xor_b32 s22, exec_lo, -1
; %bb.832:
	s_or_b32 exec_lo, exec_lo, s24
	s_delay_alu instid0(SALU_CYCLE_1)
	s_and_b32 s22, s22, exec_lo
	s_or_saveexec_b32 s23, s23
	v_mov_b32_e32 v2, 0x7e00
	s_xor_b32 exec_lo, exec_lo, s23
	s_cbranch_execnz .LBB54_853
.LBB54_833:
	s_or_b32 exec_lo, exec_lo, s23
	s_and_saveexec_b32 s23, s22
	s_cbranch_execz .LBB54_835
.LBB54_834:
	v_and_b32_e32 v2, 0xffff, v3
	s_delay_alu instid0(VALU_DEP_1) | instskip(SKIP_1) | instid1(VALU_DEP_2)
	v_dual_lshlrev_b32 v3, 24, v3 :: v_dual_bitop2_b32 v5, 3, v2 bitop3:0x40
	v_bfe_u32 v8, v2, 2, 5
	v_and_b32_e32 v3, 0x80000000, v3
	s_delay_alu instid0(VALU_DEP_3) | instskip(NEXT) | instid1(VALU_DEP_3)
	v_clz_i32_u32_e32 v6, v5
	v_cmp_eq_u32_e32 vcc_lo, 0, v8
	s_delay_alu instid0(VALU_DEP_2) | instskip(NEXT) | instid1(VALU_DEP_1)
	v_min_u32_e32 v6, 32, v6
	v_subrev_nc_u32_e32 v7, 29, v6
	v_sub_nc_u32_e32 v6, 30, v6
	s_delay_alu instid0(VALU_DEP_2) | instskip(NEXT) | instid1(VALU_DEP_2)
	v_lshlrev_b32_e32 v2, v7, v2
	v_cndmask_b32_e32 v6, v8, v6, vcc_lo
	s_delay_alu instid0(VALU_DEP_2) | instskip(NEXT) | instid1(VALU_DEP_1)
	v_and_b32_e32 v2, 3, v2
	v_cndmask_b32_e32 v2, v5, v2, vcc_lo
	s_delay_alu instid0(VALU_DEP_3) | instskip(NEXT) | instid1(VALU_DEP_2)
	v_lshl_add_u32 v5, v6, 23, 0x37800000
	v_lshlrev_b32_e32 v2, 21, v2
	s_delay_alu instid0(VALU_DEP_1) | instskip(NEXT) | instid1(VALU_DEP_1)
	v_or3_b32 v2, v3, v5, v2
	v_cvt_f16_f32_e32 v2, v2
.LBB54_835:
	s_or_b32 exec_lo, exec_lo, s23
	s_mov_b32 s22, 0
	s_branch .LBB54_841
.LBB54_836:
	s_mov_b32 s22, -1
                                        ; implicit-def: $vgpr2
	s_branch .LBB54_847
.LBB54_837:
	s_or_saveexec_b32 s24, s24
	v_mov_b32_e32 v2, 0x7e00
	s_xor_b32 exec_lo, exec_lo, s24
	s_cbranch_execz .LBB54_820
.LBB54_838:
	v_cmp_ne_u16_e32 vcc_lo, 0, v3
	v_mov_b32_e32 v2, v3
	s_and_not1_b32 s23, s23, exec_lo
	s_and_b32 s25, vcc_lo, exec_lo
	s_delay_alu instid0(SALU_CYCLE_1)
	s_or_b32 s23, s23, s25
	s_or_b32 exec_lo, exec_lo, s24
	s_and_saveexec_b32 s24, s23
	s_cbranch_execnz .LBB54_821
	s_branch .LBB54_822
.LBB54_839:
	s_mov_b32 s22, -1
                                        ; implicit-def: $vgpr2
	s_branch .LBB54_844
.LBB54_840:
	s_mov_b32 s22, -1
                                        ; implicit-def: $vgpr2
.LBB54_841:
	s_delay_alu instid0(SALU_CYCLE_1)
	s_and_b32 vcc_lo, exec_lo, s22
	s_cbranch_vccz .LBB54_843
; %bb.842:
	s_wait_loadcnt 0x0
	global_load_u8 v2, v[0:1], off
	s_wait_loadcnt 0x0
	v_lshlrev_b32_e32 v2, 24, v2
	s_delay_alu instid0(VALU_DEP_1) | instskip(NEXT) | instid1(VALU_DEP_1)
	v_and_b32_e32 v3, 0x7f000000, v2
	v_clz_i32_u32_e32 v5, v3
	v_add_nc_u32_e32 v7, 0x1000000, v3
	v_cmp_ne_u32_e32 vcc_lo, 0, v3
	s_delay_alu instid0(VALU_DEP_3) | instskip(NEXT) | instid1(VALU_DEP_1)
	v_min_u32_e32 v5, 32, v5
	v_sub_nc_u32_e64 v5, v5, 4 clamp
	s_delay_alu instid0(VALU_DEP_1) | instskip(NEXT) | instid1(VALU_DEP_1)
	v_dual_lshlrev_b32 v6, v5, v3 :: v_dual_lshlrev_b32 v5, 23, v5
	v_lshrrev_b32_e32 v6, 4, v6
	s_delay_alu instid0(VALU_DEP_1) | instskip(NEXT) | instid1(VALU_DEP_1)
	v_dual_sub_nc_u32 v5, v6, v5 :: v_dual_ashrrev_i32 v6, 8, v7
	v_add_nc_u32_e32 v5, 0x3c000000, v5
	s_delay_alu instid0(VALU_DEP_1) | instskip(NEXT) | instid1(VALU_DEP_1)
	v_and_or_b32 v5, 0x7f800000, v6, v5
	v_cndmask_b32_e32 v3, 0, v5, vcc_lo
	s_delay_alu instid0(VALU_DEP_1) | instskip(NEXT) | instid1(VALU_DEP_1)
	v_and_or_b32 v2, 0x80000000, v2, v3
	v_cvt_f16_f32_e32 v2, v2
.LBB54_843:
	s_mov_b32 s22, 0
.LBB54_844:
	s_delay_alu instid0(SALU_CYCLE_1)
	s_and_not1_b32 vcc_lo, exec_lo, s22
	s_cbranch_vccnz .LBB54_846
; %bb.845:
	s_wait_loadcnt 0x0
	global_load_u8 v2, v[0:1], off
	s_wait_loadcnt 0x0
	v_lshlrev_b32_e32 v3, 25, v2
	v_lshlrev_b16 v2, 8, v2
	s_delay_alu instid0(VALU_DEP_2) | instskip(NEXT) | instid1(VALU_DEP_2)
	v_cmp_gt_u32_e32 vcc_lo, 0x8000000, v3
	v_and_or_b32 v6, 0x7f00, v2, 0.5
	v_lshrrev_b32_e32 v5, 4, v3
	v_bfe_i32 v2, v2, 0, 16
	s_delay_alu instid0(VALU_DEP_3) | instskip(NEXT) | instid1(VALU_DEP_3)
	v_add_f32_e32 v6, -0.5, v6
	v_or_b32_e32 v5, 0x70000000, v5
	s_delay_alu instid0(VALU_DEP_1) | instskip(NEXT) | instid1(VALU_DEP_1)
	v_mul_f32_e32 v5, 0x7800000, v5
	v_cndmask_b32_e32 v3, v5, v6, vcc_lo
	s_delay_alu instid0(VALU_DEP_1) | instskip(NEXT) | instid1(VALU_DEP_1)
	v_and_or_b32 v2, 0x80000000, v2, v3
	v_cvt_f16_f32_e32 v2, v2
.LBB54_846:
	s_mov_b32 s22, 0
	s_mov_b32 s23, -1
.LBB54_847:
	s_and_not1_b32 vcc_lo, exec_lo, s22
	s_mov_b32 s22, 0
	s_cbranch_vccnz .LBB54_858
; %bb.848:
	s_cmp_gt_i32 s20, 14
	s_cbranch_scc0 .LBB54_851
; %bb.849:
	s_cmp_eq_u32 s20, 15
	s_cbranch_scc0 .LBB54_854
; %bb.850:
	s_wait_loadcnt 0x0
	global_load_u16 v2, v[0:1], off
	s_mov_b32 s21, 0
	s_mov_b32 s23, -1
	s_wait_loadcnt 0x0
	v_lshlrev_b32_e32 v2, 16, v2
	s_delay_alu instid0(VALU_DEP_1)
	v_cvt_f16_f32_e32 v2, v2
	s_branch .LBB54_856
.LBB54_851:
	s_mov_b32 s22, -1
	s_branch .LBB54_855
.LBB54_852:
	s_or_saveexec_b32 s23, s23
	v_mov_b32_e32 v2, 0x7e00
	s_xor_b32 exec_lo, exec_lo, s23
	s_cbranch_execz .LBB54_833
.LBB54_853:
	v_cmp_ne_u16_e32 vcc_lo, 0, v3
	v_mov_b32_e32 v2, v3
	s_and_not1_b32 s22, s22, exec_lo
	s_and_b32 s24, vcc_lo, exec_lo
	s_delay_alu instid0(SALU_CYCLE_1)
	s_or_b32 s22, s22, s24
	s_or_b32 exec_lo, exec_lo, s23
	s_and_saveexec_b32 s23, s22
	s_cbranch_execnz .LBB54_834
	s_branch .LBB54_835
.LBB54_854:
	s_mov_b32 s21, -1
.LBB54_855:
                                        ; implicit-def: $vgpr2
.LBB54_856:
	s_and_b32 vcc_lo, exec_lo, s22
	s_mov_b32 s22, 0
	s_cbranch_vccz .LBB54_858
; %bb.857:
	s_cmp_lg_u32 s20, 11
	s_mov_b32 s22, -1
	s_cselect_b32 s20, -1, 0
	s_and_not1_b32 s21, s21, exec_lo
	s_and_b32 s20, s20, exec_lo
	s_delay_alu instid0(SALU_CYCLE_1)
	s_or_b32 s21, s21, s20
.LBB54_858:
	s_mov_b32 s20, 0
.LBB54_859:
	s_and_not1_b32 s25, s0, exec_lo
	s_and_b32 s21, s21, exec_lo
	s_and_b32 s23, s23, exec_lo
	;; [unrolled: 1-line block ×4, first 2 shown]
	s_or_b32 s21, s25, s21
.LBB54_860:
	s_wait_xcnt 0x0
	s_or_b32 exec_lo, exec_lo, s13
	s_delay_alu instid0(SALU_CYCLE_1)
	s_and_not1_b32 s0, s0, exec_lo
	s_and_b32 s13, s21, exec_lo
	s_and_b32 s23, s23, exec_lo
	;; [unrolled: 1-line block ×4, first 2 shown]
	s_or_b32 s0, s0, s13
.LBB54_861:
	s_or_b32 exec_lo, exec_lo, s19
	s_delay_alu instid0(SALU_CYCLE_1)
	s_and_not1_b32 s13, s17, exec_lo
	s_and_b32 s1, s1, exec_lo
	s_and_b32 s0, s0, exec_lo
	s_or_b32 s17, s13, s1
	s_and_not1_b32 s13, s16, exec_lo
	s_and_b32 s20, s23, exec_lo
	s_and_b32 s19, s22, exec_lo
	;; [unrolled: 1-line block ×3, first 2 shown]
	s_or_b32 s16, s13, s0
.LBB54_862:
	s_or_b32 exec_lo, exec_lo, s18
	s_delay_alu instid0(SALU_CYCLE_1)
	s_and_not1_b32 s0, s12, exec_lo
	s_and_b32 s12, s17, exec_lo
	s_and_not1_b32 s13, s14, exec_lo
	s_and_b32 s14, s16, exec_lo
	s_or_b32 s12, s0, s12
	s_and_b32 s0, s20, exec_lo
	s_and_b32 s17, s19, exec_lo
	;; [unrolled: 1-line block ×3, first 2 shown]
	s_or_b32 s14, s13, s14
	s_or_b32 exec_lo, exec_lo, s15
	s_mov_b32 s1, 0
	s_and_saveexec_b32 s13, s14
	s_cbranch_execz .LBB54_262
.LBB54_863:
	s_mov_b32 s1, exec_lo
	s_and_not1_b32 s16, s16, exec_lo
	s_trap 2
	s_or_b32 exec_lo, exec_lo, s13
	s_and_saveexec_b32 s13, s16
	s_delay_alu instid0(SALU_CYCLE_1)
	s_xor_b32 s13, exec_lo, s13
	s_cbranch_execnz .LBB54_263
.LBB54_864:
	s_or_b32 exec_lo, exec_lo, s13
	s_and_saveexec_b32 s13, s17
	s_cbranch_execz .LBB54_910
.LBB54_865:
	s_sext_i32_i16 s14, s10
	s_delay_alu instid0(SALU_CYCLE_1)
	s_cmp_lt_i32 s14, 5
	s_cbranch_scc1 .LBB54_870
; %bb.866:
	s_cmp_lt_i32 s14, 8
	s_cbranch_scc1 .LBB54_871
; %bb.867:
	;; [unrolled: 3-line block ×3, first 2 shown]
	s_cmp_gt_i32 s14, 9
	s_cbranch_scc0 .LBB54_873
; %bb.869:
	s_wait_loadcnt 0x0
	global_load_b64 v[2:3], v[0:1], off
	s_mov_b32 s14, 0
	s_wait_loadcnt 0x0
	v_and_or_b32 v2, 0x1ff, v3, v2
	v_lshrrev_b32_e32 v5, 8, v3
	v_bfe_u32 v6, v3, 20, 11
	v_lshrrev_b32_e32 v3, 16, v3
	s_delay_alu instid0(VALU_DEP_4) | instskip(NEXT) | instid1(VALU_DEP_3)
	v_cmp_ne_u32_e32 vcc_lo, 0, v2
	v_sub_nc_u32_e32 v7, 0x3f1, v6
	v_add_nc_u32_e32 v6, 0xfffffc10, v6
	v_cndmask_b32_e64 v2, 0, 1, vcc_lo
	s_delay_alu instid0(VALU_DEP_1) | instskip(NEXT) | instid1(VALU_DEP_4)
	v_and_or_b32 v2, 0xffe, v5, v2
	v_med3_i32 v5, v7, 0, 13
	s_delay_alu instid0(VALU_DEP_2) | instskip(NEXT) | instid1(VALU_DEP_1)
	v_or_b32_e32 v7, 0x1000, v2
	v_lshrrev_b32_e32 v8, v5, v7
	s_delay_alu instid0(VALU_DEP_1) | instskip(NEXT) | instid1(VALU_DEP_1)
	v_lshlrev_b32_e32 v5, v5, v8
	v_cmp_ne_u32_e32 vcc_lo, v5, v7
	v_lshl_or_b32 v7, v6, 12, v2
	v_cndmask_b32_e64 v5, 0, 1, vcc_lo
	v_cmp_gt_i32_e32 vcc_lo, 1, v6
	s_delay_alu instid0(VALU_DEP_2) | instskip(NEXT) | instid1(VALU_DEP_1)
	v_or_b32_e32 v5, v8, v5
	v_cndmask_b32_e32 v5, v7, v5, vcc_lo
	s_delay_alu instid0(VALU_DEP_1) | instskip(NEXT) | instid1(VALU_DEP_1)
	v_dual_lshrrev_b32 v5, 2, v5 :: v_dual_bitop2_b32 v7, 7, v5 bitop3:0x40
	v_cmp_lt_i32_e32 vcc_lo, 5, v7
	v_cndmask_b32_e64 v8, 0, 1, vcc_lo
	v_cmp_eq_u32_e32 vcc_lo, 3, v7
	v_cndmask_b32_e64 v7, 0, 1, vcc_lo
	v_cmp_ne_u32_e32 vcc_lo, 0, v2
	s_delay_alu instid0(VALU_DEP_2) | instskip(NEXT) | instid1(VALU_DEP_1)
	v_or_b32_e32 v7, v7, v8
	v_dual_mov_b32 v8, 0x7e00 :: v_dual_add_nc_u32 v5, v5, v7
	s_delay_alu instid0(VALU_DEP_1) | instskip(SKIP_1) | instid1(VALU_DEP_3)
	v_cndmask_b32_e32 v2, 0x7c00, v8, vcc_lo
	v_cmp_gt_i32_e32 vcc_lo, 31, v6
	v_cndmask_b32_e32 v5, 0x7c00, v5, vcc_lo
	v_cmp_eq_u32_e32 vcc_lo, 0x40f, v6
	s_delay_alu instid0(VALU_DEP_2) | instskip(NEXT) | instid1(VALU_DEP_1)
	v_cndmask_b32_e32 v2, v5, v2, vcc_lo
	v_and_or_b32 v2, 0x8000, v3, v2
	s_branch .LBB54_874
.LBB54_870:
                                        ; implicit-def: $vgpr2
	s_branch .LBB54_891
.LBB54_871:
                                        ; implicit-def: $vgpr2
	s_branch .LBB54_880
.LBB54_872:
	s_mov_b32 s14, -1
                                        ; implicit-def: $vgpr2
	s_branch .LBB54_877
.LBB54_873:
	s_mov_b32 s14, -1
                                        ; implicit-def: $vgpr2
.LBB54_874:
	s_delay_alu instid0(SALU_CYCLE_1)
	s_and_not1_b32 vcc_lo, exec_lo, s14
	s_cbranch_vccnz .LBB54_876
; %bb.875:
	s_wait_loadcnt 0x0
	global_load_b32 v2, v[0:1], off
	s_wait_loadcnt 0x0
	v_cvt_f16_f32_e32 v2, v2
.LBB54_876:
	s_mov_b32 s14, 0
.LBB54_877:
	s_delay_alu instid0(SALU_CYCLE_1)
	s_and_not1_b32 vcc_lo, exec_lo, s14
	s_cbranch_vccnz .LBB54_879
; %bb.878:
	s_wait_loadcnt 0x0
	global_load_b32 v2, v[0:1], off
.LBB54_879:
	s_cbranch_execnz .LBB54_890
.LBB54_880:
	s_sext_i32_i16 s14, s10
	s_delay_alu instid0(SALU_CYCLE_1)
	s_cmp_lt_i32 s14, 6
	s_cbranch_scc1 .LBB54_883
; %bb.881:
	s_cmp_gt_i32 s14, 6
	s_cbranch_scc0 .LBB54_884
; %bb.882:
	s_wait_loadcnt 0x0
	global_load_b64 v[2:3], v[0:1], off
	s_mov_b32 s14, 0
	s_wait_loadcnt 0x0
	v_and_or_b32 v2, 0x1ff, v3, v2
	v_lshrrev_b32_e32 v5, 8, v3
	v_bfe_u32 v6, v3, 20, 11
	v_lshrrev_b32_e32 v3, 16, v3
	s_delay_alu instid0(VALU_DEP_4) | instskip(NEXT) | instid1(VALU_DEP_3)
	v_cmp_ne_u32_e32 vcc_lo, 0, v2
	v_sub_nc_u32_e32 v7, 0x3f1, v6
	v_add_nc_u32_e32 v6, 0xfffffc10, v6
	v_cndmask_b32_e64 v2, 0, 1, vcc_lo
	s_delay_alu instid0(VALU_DEP_1) | instskip(NEXT) | instid1(VALU_DEP_4)
	v_and_or_b32 v2, 0xffe, v5, v2
	v_med3_i32 v5, v7, 0, 13
	s_delay_alu instid0(VALU_DEP_2) | instskip(NEXT) | instid1(VALU_DEP_1)
	v_or_b32_e32 v7, 0x1000, v2
	v_lshrrev_b32_e32 v8, v5, v7
	s_delay_alu instid0(VALU_DEP_1) | instskip(NEXT) | instid1(VALU_DEP_1)
	v_lshlrev_b32_e32 v5, v5, v8
	v_cmp_ne_u32_e32 vcc_lo, v5, v7
	v_lshl_or_b32 v7, v6, 12, v2
	v_cndmask_b32_e64 v5, 0, 1, vcc_lo
	v_cmp_gt_i32_e32 vcc_lo, 1, v6
	s_delay_alu instid0(VALU_DEP_2) | instskip(NEXT) | instid1(VALU_DEP_1)
	v_or_b32_e32 v5, v8, v5
	v_cndmask_b32_e32 v5, v7, v5, vcc_lo
	s_delay_alu instid0(VALU_DEP_1) | instskip(NEXT) | instid1(VALU_DEP_1)
	v_dual_lshrrev_b32 v5, 2, v5 :: v_dual_bitop2_b32 v7, 7, v5 bitop3:0x40
	v_cmp_lt_i32_e32 vcc_lo, 5, v7
	v_cndmask_b32_e64 v8, 0, 1, vcc_lo
	v_cmp_eq_u32_e32 vcc_lo, 3, v7
	v_cndmask_b32_e64 v7, 0, 1, vcc_lo
	v_cmp_ne_u32_e32 vcc_lo, 0, v2
	s_delay_alu instid0(VALU_DEP_2) | instskip(NEXT) | instid1(VALU_DEP_1)
	v_or_b32_e32 v7, v7, v8
	v_dual_mov_b32 v8, 0x7e00 :: v_dual_add_nc_u32 v5, v5, v7
	s_delay_alu instid0(VALU_DEP_1) | instskip(SKIP_1) | instid1(VALU_DEP_3)
	v_cndmask_b32_e32 v2, 0x7c00, v8, vcc_lo
	v_cmp_gt_i32_e32 vcc_lo, 31, v6
	v_cndmask_b32_e32 v5, 0x7c00, v5, vcc_lo
	v_cmp_eq_u32_e32 vcc_lo, 0x40f, v6
	s_delay_alu instid0(VALU_DEP_2) | instskip(NEXT) | instid1(VALU_DEP_1)
	v_cndmask_b32_e32 v2, v5, v2, vcc_lo
	v_and_or_b32 v2, 0x8000, v3, v2
	s_branch .LBB54_885
.LBB54_883:
	s_mov_b32 s14, -1
                                        ; implicit-def: $vgpr2
	s_branch .LBB54_888
.LBB54_884:
	s_mov_b32 s14, -1
                                        ; implicit-def: $vgpr2
.LBB54_885:
	s_delay_alu instid0(SALU_CYCLE_1)
	s_and_not1_b32 vcc_lo, exec_lo, s14
	s_cbranch_vccnz .LBB54_887
; %bb.886:
	s_wait_loadcnt 0x0
	global_load_b32 v2, v[0:1], off
	s_wait_loadcnt 0x0
	v_cvt_f16_f32_e32 v2, v2
.LBB54_887:
	s_mov_b32 s14, 0
.LBB54_888:
	s_delay_alu instid0(SALU_CYCLE_1)
	s_and_not1_b32 vcc_lo, exec_lo, s14
	s_cbranch_vccnz .LBB54_890
; %bb.889:
	s_wait_loadcnt 0x0
	global_load_u16 v2, v[0:1], off
.LBB54_890:
	s_cbranch_execnz .LBB54_909
.LBB54_891:
	s_sext_i32_i16 s14, s10
	s_delay_alu instid0(SALU_CYCLE_1)
	s_cmp_lt_i32 s14, 2
	s_cbranch_scc1 .LBB54_895
; %bb.892:
	s_cmp_lt_i32 s14, 3
	s_cbranch_scc1 .LBB54_896
; %bb.893:
	s_cmp_gt_i32 s14, 3
	s_cbranch_scc0 .LBB54_897
; %bb.894:
	s_wait_loadcnt 0x0
	global_load_b64 v[2:3], v[0:1], off
	s_mov_b32 s14, 0
	s_wait_loadcnt 0x0
	v_xor_b32_e32 v5, v2, v3
	v_cls_i32_e32 v6, v3
	s_delay_alu instid0(VALU_DEP_2) | instskip(NEXT) | instid1(VALU_DEP_1)
	v_ashrrev_i32_e32 v5, 31, v5
	v_add_nc_u32_e32 v5, 32, v5
	s_delay_alu instid0(VALU_DEP_1) | instskip(NEXT) | instid1(VALU_DEP_1)
	v_add_min_u32_e64 v5, v6, -1, v5
	v_lshlrev_b64_e32 v[2:3], v5, v[2:3]
	s_delay_alu instid0(VALU_DEP_1) | instskip(NEXT) | instid1(VALU_DEP_1)
	v_min_u32_e32 v2, 1, v2
	v_dual_sub_nc_u32 v3, 32, v5 :: v_dual_bitop2_b32 v2, v3, v2 bitop3:0x54
	s_delay_alu instid0(VALU_DEP_1) | instskip(NEXT) | instid1(VALU_DEP_1)
	v_cvt_f32_i32_e32 v2, v2
	v_ldexp_f32 v2, v2, v3
	s_delay_alu instid0(VALU_DEP_1)
	v_cvt_f16_f32_e32 v2, v2
	s_branch .LBB54_898
.LBB54_895:
                                        ; implicit-def: $vgpr2
	s_branch .LBB54_904
.LBB54_896:
	s_mov_b32 s14, -1
                                        ; implicit-def: $vgpr2
	s_branch .LBB54_901
.LBB54_897:
	s_mov_b32 s14, -1
                                        ; implicit-def: $vgpr2
.LBB54_898:
	s_delay_alu instid0(SALU_CYCLE_1)
	s_and_not1_b32 vcc_lo, exec_lo, s14
	s_cbranch_vccnz .LBB54_900
; %bb.899:
	s_wait_loadcnt 0x0
	global_load_b32 v2, v[0:1], off
	s_wait_loadcnt 0x0
	v_cvt_f32_i32_e32 v2, v2
	s_delay_alu instid0(VALU_DEP_1)
	v_cvt_f16_f32_e32 v2, v2
.LBB54_900:
	s_mov_b32 s14, 0
.LBB54_901:
	s_delay_alu instid0(SALU_CYCLE_1)
	s_and_not1_b32 vcc_lo, exec_lo, s14
	s_cbranch_vccnz .LBB54_903
; %bb.902:
	s_wait_loadcnt 0x0
	global_load_u16 v2, v[0:1], off
	s_wait_loadcnt 0x0
	v_cvt_f16_i16_e32 v2, v2
.LBB54_903:
	s_cbranch_execnz .LBB54_909
.LBB54_904:
	s_sext_i32_i16 s14, s10
	s_delay_alu instid0(SALU_CYCLE_1)
	s_cmp_gt_i32 s14, 0
	s_mov_b32 s14, 0
	s_cbranch_scc0 .LBB54_906
; %bb.905:
	s_wait_loadcnt 0x0
	global_load_i8 v2, v[0:1], off
	s_wait_loadcnt 0x0
	v_cvt_f16_i16_e32 v2, v2
	s_branch .LBB54_907
.LBB54_906:
	s_mov_b32 s14, -1
                                        ; implicit-def: $vgpr2
.LBB54_907:
	s_delay_alu instid0(SALU_CYCLE_1)
	s_and_not1_b32 vcc_lo, exec_lo, s14
	s_cbranch_vccnz .LBB54_909
; %bb.908:
	global_load_u8 v0, v[0:1], off
	s_wait_loadcnt 0x0
	v_cvt_f16_u16_e32 v2, v0
.LBB54_909:
	s_or_b32 s0, s0, exec_lo
.LBB54_910:
	s_wait_xcnt 0x0
	s_or_b32 exec_lo, exec_lo, s13
	s_mov_b32 s17, 0
	s_mov_b32 s16, 0
                                        ; implicit-def: $sgpr13
                                        ; implicit-def: $sgpr14
                                        ; implicit-def: $vgpr0_vgpr1
	s_and_saveexec_b32 s15, s0
	s_cbranch_execz .LBB54_918
; %bb.911:
	v_mul_lo_u32 v0, v4, s2
	s_wait_loadcnt 0x0
	v_cmp_eq_f16_e64 s13, 0x7c00, v2
	s_and_b32 s14, s8, 0xff
	s_delay_alu instid0(SALU_CYCLE_1) | instskip(SKIP_1) | instid1(VALU_DEP_1)
	s_cmp_lt_i32 s14, 11
	v_ashrrev_i32_e32 v1, 31, v0
	v_add_nc_u64_e32 v[0:1], s[4:5], v[0:1]
	s_cbranch_scc1 .LBB54_921
; %bb.912:
	s_and_b32 s16, 0xffff, s14
	s_mov_b32 s17, -1
	s_cmp_gt_i32 s16, 25
	s_mov_b32 s0, s12
	s_cbranch_scc0 .LBB54_949
; %bb.913:
	s_cmp_gt_i32 s16, 28
	s_mov_b32 s0, s12
	s_cbranch_scc0 .LBB54_933
; %bb.914:
	;; [unrolled: 4-line block ×4, first 2 shown]
	s_cmp_eq_u32 s16, 46
	s_mov_b32 s0, -1
	s_cbranch_scc0 .LBB54_922
; %bb.917:
	v_cndmask_b32_e64 v2, 0, 1.0, s13
	s_mov_b32 s0, 0
	s_mov_b32 s17, 0
	s_delay_alu instid0(VALU_DEP_1) | instskip(NEXT) | instid1(VALU_DEP_1)
	v_bfe_u32 v3, v2, 16, 1
	v_add3_u32 v2, v2, v3, 0x7fff
	s_delay_alu instid0(VALU_DEP_1)
	v_lshrrev_b32_e32 v2, 16, v2
	global_store_b32 v[0:1], v2, off
	s_branch .LBB54_923
.LBB54_918:
	s_or_b32 exec_lo, exec_lo, s15
	s_and_saveexec_b32 s0, s12
	s_cbranch_execnz .LBB54_991
.LBB54_919:
	s_or_b32 exec_lo, exec_lo, s0
	s_and_saveexec_b32 s0, s17
	s_delay_alu instid0(SALU_CYCLE_1)
	s_xor_b32 s0, exec_lo, s0
	s_cbranch_execz .LBB54_992
.LBB54_920:
	s_wait_loadcnt 0x0
	v_cndmask_b32_e64 v2, 0, 1, s13
	global_store_b8 v[0:1], v2, off
	s_wait_xcnt 0x0
	s_or_b32 exec_lo, exec_lo, s0
	s_and_saveexec_b32 s0, s16
	s_delay_alu instid0(SALU_CYCLE_1)
	s_xor_b32 s0, exec_lo, s0
	s_cbranch_execz .LBB54_1030
	s_branch .LBB54_993
.LBB54_921:
	s_mov_b32 s18, 0
	s_mov_b32 s17, -1
	s_mov_b32 s0, s12
	s_branch .LBB54_990
.LBB54_922:
	s_mov_b32 s17, 0
.LBB54_923:
	s_delay_alu instid0(SALU_CYCLE_1)
	s_and_b32 vcc_lo, exec_lo, s17
	s_cbranch_vccz .LBB54_928
; %bb.924:
	s_cmp_eq_u32 s16, 44
	s_mov_b32 s0, -1
	s_cbranch_scc0 .LBB54_928
; %bb.925:
	v_cndmask_b32_e64 v4, 0, 1.0, s13
	s_mov_b32 s17, exec_lo
	s_wait_xcnt 0x0
	s_delay_alu instid0(VALU_DEP_1) | instskip(NEXT) | instid1(VALU_DEP_1)
	v_dual_mov_b32 v3, 0xff :: v_dual_lshrrev_b32 v2, 23, v4
	v_cmpx_ne_u32_e32 0xff, v2
; %bb.926:
	v_and_b32_e32 v3, 0x400000, v4
	v_and_or_b32 v4, 0x3fffff, v4, v2
	s_delay_alu instid0(VALU_DEP_2) | instskip(NEXT) | instid1(VALU_DEP_2)
	v_cmp_ne_u32_e32 vcc_lo, 0, v3
	v_cmp_ne_u32_e64 s0, 0, v4
	s_and_b32 s0, vcc_lo, s0
	s_delay_alu instid0(SALU_CYCLE_1) | instskip(NEXT) | instid1(VALU_DEP_1)
	v_cndmask_b32_e64 v3, 0, 1, s0
	v_add_nc_u32_e32 v3, v2, v3
; %bb.927:
	s_or_b32 exec_lo, exec_lo, s17
	s_mov_b32 s0, 0
	global_store_b8 v[0:1], v3, off
.LBB54_928:
	s_mov_b32 s17, 0
.LBB54_929:
	s_delay_alu instid0(SALU_CYCLE_1)
	s_and_b32 vcc_lo, exec_lo, s17
	s_cbranch_vccz .LBB54_932
; %bb.930:
	s_cmp_eq_u32 s16, 29
	s_mov_b32 s0, -1
	s_cbranch_scc0 .LBB54_932
; %bb.931:
	s_mov_b32 s0, 0
	s_wait_xcnt 0x0
	v_cndmask_b32_e64 v2, 0, 1, s13
	v_mov_b32_e32 v3, s0
	s_mov_b32 s17, 0
	global_store_b64 v[0:1], v[2:3], off
	s_branch .LBB54_933
.LBB54_932:
	s_mov_b32 s17, 0
.LBB54_933:
	s_delay_alu instid0(SALU_CYCLE_1)
	s_and_b32 vcc_lo, exec_lo, s17
	s_cbranch_vccz .LBB54_948
; %bb.934:
	s_cmp_lt_i32 s16, 27
	s_mov_b32 s17, -1
	s_cbranch_scc1 .LBB54_940
; %bb.935:
	s_wait_xcnt 0x0
	v_cndmask_b32_e64 v2, 0, 1, s13
	s_cmp_gt_i32 s16, 27
	s_cbranch_scc0 .LBB54_937
; %bb.936:
	s_mov_b32 s17, 0
	global_store_b32 v[0:1], v2, off
.LBB54_937:
	s_and_not1_b32 vcc_lo, exec_lo, s17
	s_cbranch_vccnz .LBB54_939
; %bb.938:
	global_store_b16 v[0:1], v2, off
.LBB54_939:
	s_mov_b32 s17, 0
.LBB54_940:
	s_delay_alu instid0(SALU_CYCLE_1)
	s_and_not1_b32 vcc_lo, exec_lo, s17
	s_cbranch_vccnz .LBB54_948
; %bb.941:
	s_wait_xcnt 0x0
	v_cndmask_b32_e64 v3, 0, 1.0, s13
	v_mov_b32_e32 v4, 0x80
	s_mov_b32 s17, exec_lo
	s_delay_alu instid0(VALU_DEP_2)
	v_cmpx_gt_u32_e32 0x43800000, v3
	s_cbranch_execz .LBB54_947
; %bb.942:
	s_mov_b32 s18, 0
	s_mov_b32 s19, exec_lo
                                        ; implicit-def: $vgpr2
	v_cmpx_lt_u32_e32 0x3bffffff, v3
	s_xor_b32 s19, exec_lo, s19
	s_cbranch_execz .LBB54_1045
; %bb.943:
	v_bfe_u32 v2, v3, 20, 1
	s_mov_b32 s18, exec_lo
	s_delay_alu instid0(VALU_DEP_1) | instskip(NEXT) | instid1(VALU_DEP_1)
	v_add3_u32 v2, v3, v2, 0x487ffff
                                        ; implicit-def: $vgpr3
	v_lshrrev_b32_e32 v2, 20, v2
	s_and_not1_saveexec_b32 s19, s19
	s_cbranch_execnz .LBB54_1046
.LBB54_944:
	s_or_b32 exec_lo, exec_lo, s19
	v_mov_b32_e32 v4, 0
	s_and_saveexec_b32 s19, s18
.LBB54_945:
	v_mov_b32_e32 v4, v2
.LBB54_946:
	s_or_b32 exec_lo, exec_lo, s19
.LBB54_947:
	s_delay_alu instid0(SALU_CYCLE_1)
	s_or_b32 exec_lo, exec_lo, s17
	global_store_b8 v[0:1], v4, off
.LBB54_948:
	s_mov_b32 s17, 0
.LBB54_949:
	s_delay_alu instid0(SALU_CYCLE_1)
	s_and_b32 vcc_lo, exec_lo, s17
	s_mov_b32 s17, 0
	s_cbranch_vccz .LBB54_989
; %bb.950:
	s_cmp_gt_i32 s16, 22
	s_mov_b32 s18, -1
	s_cbranch_scc0 .LBB54_982
; %bb.951:
	s_cmp_lt_i32 s16, 24
	s_cbranch_scc1 .LBB54_971
; %bb.952:
	s_cmp_gt_i32 s16, 24
	s_cbranch_scc0 .LBB54_960
; %bb.953:
	s_wait_xcnt 0x0
	v_cndmask_b32_e64 v3, 0, 1.0, s13
	v_mov_b32_e32 v4, 0x80
	s_mov_b32 s18, exec_lo
	s_delay_alu instid0(VALU_DEP_2)
	v_cmpx_gt_u32_e32 0x47800000, v3
	s_cbranch_execz .LBB54_959
; %bb.954:
	s_mov_b32 s19, 0
	s_mov_b32 s20, exec_lo
                                        ; implicit-def: $vgpr2
	v_cmpx_lt_u32_e32 0x37ffffff, v3
	s_xor_b32 s20, exec_lo, s20
	s_cbranch_execz .LBB54_1171
; %bb.955:
	v_bfe_u32 v2, v3, 21, 1
	s_mov_b32 s19, exec_lo
	s_delay_alu instid0(VALU_DEP_1) | instskip(NEXT) | instid1(VALU_DEP_1)
	v_add3_u32 v2, v3, v2, 0x88fffff
                                        ; implicit-def: $vgpr3
	v_lshrrev_b32_e32 v2, 21, v2
	s_and_not1_saveexec_b32 s20, s20
	s_cbranch_execnz .LBB54_1172
.LBB54_956:
	s_or_b32 exec_lo, exec_lo, s20
	v_mov_b32_e32 v4, 0
	s_and_saveexec_b32 s20, s19
.LBB54_957:
	v_mov_b32_e32 v4, v2
.LBB54_958:
	s_or_b32 exec_lo, exec_lo, s20
.LBB54_959:
	s_delay_alu instid0(SALU_CYCLE_1)
	s_or_b32 exec_lo, exec_lo, s18
	s_mov_b32 s18, 0
	global_store_b8 v[0:1], v4, off
.LBB54_960:
	s_and_b32 vcc_lo, exec_lo, s18
	s_cbranch_vccz .LBB54_970
; %bb.961:
	s_wait_xcnt 0x0
	v_cndmask_b32_e64 v3, 0, 1.0, s13
	s_mov_b32 s18, exec_lo
                                        ; implicit-def: $vgpr2
	s_delay_alu instid0(VALU_DEP_1)
	v_cmpx_gt_u32_e32 0x43f00000, v3
	s_xor_b32 s18, exec_lo, s18
	s_cbranch_execz .LBB54_967
; %bb.962:
	s_mov_b32 s19, exec_lo
                                        ; implicit-def: $vgpr2
	v_cmpx_lt_u32_e32 0x3c7fffff, v3
	s_xor_b32 s19, exec_lo, s19
; %bb.963:
	v_bfe_u32 v2, v3, 20, 1
	s_delay_alu instid0(VALU_DEP_1) | instskip(NEXT) | instid1(VALU_DEP_1)
	v_add3_u32 v2, v3, v2, 0x407ffff
	v_and_b32_e32 v3, 0xff00000, v2
	v_lshrrev_b32_e32 v2, 20, v2
	s_delay_alu instid0(VALU_DEP_2) | instskip(NEXT) | instid1(VALU_DEP_2)
	v_cmp_ne_u32_e32 vcc_lo, 0x7f00000, v3
                                        ; implicit-def: $vgpr3
	v_cndmask_b32_e32 v2, 0x7e, v2, vcc_lo
; %bb.964:
	s_and_not1_saveexec_b32 s19, s19
; %bb.965:
	v_add_f32_e32 v2, 0x46800000, v3
; %bb.966:
	s_or_b32 exec_lo, exec_lo, s19
                                        ; implicit-def: $vgpr3
.LBB54_967:
	s_and_not1_saveexec_b32 s18, s18
; %bb.968:
	v_mov_b32_e32 v2, 0x7f
	v_cmp_lt_u32_e32 vcc_lo, 0x7f800000, v3
	s_delay_alu instid0(VALU_DEP_2)
	v_cndmask_b32_e32 v2, 0x7e, v2, vcc_lo
; %bb.969:
	s_or_b32 exec_lo, exec_lo, s18
	global_store_b8 v[0:1], v2, off
.LBB54_970:
	s_mov_b32 s18, 0
.LBB54_971:
	s_delay_alu instid0(SALU_CYCLE_1)
	s_and_not1_b32 vcc_lo, exec_lo, s18
	s_cbranch_vccnz .LBB54_981
; %bb.972:
	s_wait_xcnt 0x0
	v_cndmask_b32_e64 v3, 0, 1.0, s13
	s_mov_b32 s18, exec_lo
                                        ; implicit-def: $vgpr2
	s_delay_alu instid0(VALU_DEP_1)
	v_cmpx_gt_u32_e32 0x47800000, v3
	s_xor_b32 s18, exec_lo, s18
	s_cbranch_execz .LBB54_978
; %bb.973:
	s_mov_b32 s19, exec_lo
                                        ; implicit-def: $vgpr2
	v_cmpx_lt_u32_e32 0x387fffff, v3
	s_xor_b32 s19, exec_lo, s19
; %bb.974:
	v_bfe_u32 v2, v3, 21, 1
	s_delay_alu instid0(VALU_DEP_1) | instskip(NEXT) | instid1(VALU_DEP_1)
	v_add3_u32 v2, v3, v2, 0x80fffff
                                        ; implicit-def: $vgpr3
	v_lshrrev_b32_e32 v2, 21, v2
; %bb.975:
	s_and_not1_saveexec_b32 s19, s19
; %bb.976:
	v_add_f32_e32 v2, 0x43000000, v3
; %bb.977:
	s_or_b32 exec_lo, exec_lo, s19
                                        ; implicit-def: $vgpr3
.LBB54_978:
	s_and_not1_saveexec_b32 s18, s18
; %bb.979:
	v_mov_b32_e32 v2, 0x7f
	v_cmp_lt_u32_e32 vcc_lo, 0x7f800000, v3
	s_delay_alu instid0(VALU_DEP_2)
	v_cndmask_b32_e32 v2, 0x7c, v2, vcc_lo
; %bb.980:
	s_or_b32 exec_lo, exec_lo, s18
	global_store_b8 v[0:1], v2, off
.LBB54_981:
	s_mov_b32 s18, 0
.LBB54_982:
	s_delay_alu instid0(SALU_CYCLE_1)
	s_and_not1_b32 vcc_lo, exec_lo, s18
	s_mov_b32 s18, 0
	s_cbranch_vccnz .LBB54_990
; %bb.983:
	s_cmp_gt_i32 s16, 14
	s_mov_b32 s18, -1
	s_cbranch_scc0 .LBB54_987
; %bb.984:
	s_cmp_eq_u32 s16, 15
	s_mov_b32 s0, -1
	s_cbranch_scc0 .LBB54_986
; %bb.985:
	s_wait_xcnt 0x0
	v_cndmask_b32_e64 v2, 0, 1.0, s13
	s_mov_b32 s0, 0
	s_delay_alu instid0(VALU_DEP_1) | instskip(NEXT) | instid1(VALU_DEP_1)
	v_bfe_u32 v3, v2, 16, 1
	v_add3_u32 v2, v2, v3, 0x7fff
	global_store_d16_hi_b16 v[0:1], v2, off
.LBB54_986:
	s_mov_b32 s18, 0
.LBB54_987:
	s_delay_alu instid0(SALU_CYCLE_1)
	s_and_b32 vcc_lo, exec_lo, s18
	s_mov_b32 s18, 0
	s_cbranch_vccz .LBB54_990
; %bb.988:
	s_cmp_lg_u32 s16, 11
	s_mov_b32 s18, -1
	s_cselect_b32 s16, -1, 0
	s_and_not1_b32 s0, s0, exec_lo
	s_and_b32 s16, s16, exec_lo
	s_delay_alu instid0(SALU_CYCLE_1)
	s_or_b32 s0, s0, s16
	s_branch .LBB54_990
.LBB54_989:
	s_mov_b32 s18, 0
.LBB54_990:
	s_and_not1_b32 s12, s12, exec_lo
	s_and_b32 s0, s0, exec_lo
	s_and_b32 s16, s17, exec_lo
	;; [unrolled: 1-line block ×3, first 2 shown]
	s_or_b32 s12, s12, s0
	s_wait_xcnt 0x0
	s_or_b32 exec_lo, exec_lo, s15
	s_and_saveexec_b32 s0, s12
	s_cbranch_execz .LBB54_919
.LBB54_991:
	s_or_b32 s1, s1, exec_lo
	s_and_not1_b32 s17, s17, exec_lo
	s_trap 2
	s_or_b32 exec_lo, exec_lo, s0
	s_and_saveexec_b32 s0, s17
	s_delay_alu instid0(SALU_CYCLE_1)
	s_xor_b32 s0, exec_lo, s0
	s_cbranch_execnz .LBB54_920
.LBB54_992:
	s_or_b32 exec_lo, exec_lo, s0
	s_and_saveexec_b32 s0, s16
	s_delay_alu instid0(SALU_CYCLE_1)
	s_xor_b32 s0, exec_lo, s0
	s_cbranch_execz .LBB54_1030
.LBB54_993:
	s_sext_i32_i16 s15, s14
	s_mov_b32 s12, -1
	s_cmp_lt_i32 s15, 5
	s_cbranch_scc1 .LBB54_1014
; %bb.994:
	s_cmp_lt_i32 s15, 8
	s_cbranch_scc1 .LBB54_1004
; %bb.995:
	;; [unrolled: 3-line block ×3, first 2 shown]
	s_cmp_gt_i32 s15, 9
	s_cbranch_scc0 .LBB54_998
; %bb.997:
	s_wait_loadcnt 0x0
	v_cndmask_b32_e64 v2, 0, 1, s13
	v_mov_b32_e32 v4, 0
	s_mov_b32 s12, 0
	s_delay_alu instid0(VALU_DEP_2) | instskip(NEXT) | instid1(VALU_DEP_2)
	v_cvt_f64_u32_e32 v[2:3], v2
	v_mov_b32_e32 v5, v4
	global_store_b128 v[0:1], v[2:5], off
.LBB54_998:
	s_and_not1_b32 vcc_lo, exec_lo, s12
	s_cbranch_vccnz .LBB54_1000
; %bb.999:
	s_wait_loadcnt 0x0
	v_cndmask_b32_e64 v2, 0, 1.0, s13
	v_mov_b32_e32 v3, 0
	global_store_b64 v[0:1], v[2:3], off
.LBB54_1000:
	s_mov_b32 s12, 0
.LBB54_1001:
	s_delay_alu instid0(SALU_CYCLE_1)
	s_and_not1_b32 vcc_lo, exec_lo, s12
	s_cbranch_vccnz .LBB54_1003
; %bb.1002:
	s_wait_loadcnt 0x0
	v_cndmask_b32_e64 v2, 0, 1.0, s13
	s_delay_alu instid0(VALU_DEP_1) | instskip(NEXT) | instid1(VALU_DEP_1)
	v_cvt_f16_f32_e32 v2, v2
	v_and_b32_e32 v2, 0xffff, v2
	global_store_b32 v[0:1], v2, off
.LBB54_1003:
	s_mov_b32 s12, 0
.LBB54_1004:
	s_delay_alu instid0(SALU_CYCLE_1)
	s_and_not1_b32 vcc_lo, exec_lo, s12
	s_cbranch_vccnz .LBB54_1013
; %bb.1005:
	s_sext_i32_i16 s15, s14
	s_mov_b32 s12, -1
	s_cmp_lt_i32 s15, 6
	s_cbranch_scc1 .LBB54_1011
; %bb.1006:
	s_cmp_gt_i32 s15, 6
	s_cbranch_scc0 .LBB54_1008
; %bb.1007:
	s_wait_loadcnt 0x0
	v_cndmask_b32_e64 v2, 0, 1, s13
	s_mov_b32 s12, 0
	s_delay_alu instid0(VALU_DEP_1)
	v_cvt_f64_u32_e32 v[2:3], v2
	global_store_b64 v[0:1], v[2:3], off
.LBB54_1008:
	s_and_not1_b32 vcc_lo, exec_lo, s12
	s_cbranch_vccnz .LBB54_1010
; %bb.1009:
	s_wait_loadcnt 0x0
	v_cndmask_b32_e64 v2, 0, 1.0, s13
	global_store_b32 v[0:1], v2, off
.LBB54_1010:
	s_mov_b32 s12, 0
.LBB54_1011:
	s_delay_alu instid0(SALU_CYCLE_1)
	s_and_not1_b32 vcc_lo, exec_lo, s12
	s_cbranch_vccnz .LBB54_1013
; %bb.1012:
	s_wait_loadcnt 0x0
	v_cndmask_b32_e64 v2, 0, 1.0, s13
	s_delay_alu instid0(VALU_DEP_1)
	v_cvt_f16_f32_e32 v2, v2
	global_store_b16 v[0:1], v2, off
.LBB54_1013:
	s_mov_b32 s12, 0
.LBB54_1014:
	s_delay_alu instid0(SALU_CYCLE_1)
	s_and_not1_b32 vcc_lo, exec_lo, s12
	s_cbranch_vccnz .LBB54_1030
; %bb.1015:
	s_sext_i32_i16 s15, s14
	s_mov_b32 s12, -1
	s_cmp_lt_i32 s15, 2
	s_cbranch_scc1 .LBB54_1025
; %bb.1016:
	s_cmp_lt_i32 s15, 3
	s_cbranch_scc1 .LBB54_1022
; %bb.1017:
	s_cmp_gt_i32 s15, 3
	s_cbranch_scc0 .LBB54_1019
; %bb.1018:
	s_mov_b32 s12, 0
	s_wait_loadcnt 0x0
	v_cndmask_b32_e64 v2, 0, 1, s13
	v_mov_b32_e32 v3, s12
	global_store_b64 v[0:1], v[2:3], off
.LBB54_1019:
	s_and_not1_b32 vcc_lo, exec_lo, s12
	s_cbranch_vccnz .LBB54_1021
; %bb.1020:
	s_wait_loadcnt 0x0
	v_cndmask_b32_e64 v2, 0, 1, s13
	global_store_b32 v[0:1], v2, off
.LBB54_1021:
	s_mov_b32 s12, 0
.LBB54_1022:
	s_delay_alu instid0(SALU_CYCLE_1)
	s_and_not1_b32 vcc_lo, exec_lo, s12
	s_cbranch_vccnz .LBB54_1024
; %bb.1023:
	s_wait_loadcnt 0x0
	v_cndmask_b32_e64 v2, 0, 1, s13
	global_store_b16 v[0:1], v2, off
.LBB54_1024:
	s_mov_b32 s12, 0
.LBB54_1025:
	s_delay_alu instid0(SALU_CYCLE_1)
	s_and_not1_b32 vcc_lo, exec_lo, s12
	s_cbranch_vccnz .LBB54_1030
; %bb.1026:
	s_wait_loadcnt 0x0
	v_cndmask_b32_e64 v2, 0, 1, s13
	s_sext_i32_i16 s12, s14
	s_delay_alu instid0(SALU_CYCLE_1)
	s_cmp_gt_i32 s12, 0
	s_mov_b32 s12, -1
	s_cbranch_scc0 .LBB54_1028
; %bb.1027:
	s_mov_b32 s12, 0
	global_store_b8 v[0:1], v2, off
.LBB54_1028:
	s_and_not1_b32 vcc_lo, exec_lo, s12
	s_cbranch_vccnz .LBB54_1030
; %bb.1029:
	global_store_b8 v[0:1], v2, off
.LBB54_1030:
	s_wait_xcnt 0x0
	s_or_b32 exec_lo, exec_lo, s0
	s_delay_alu instid0(SALU_CYCLE_1)
	s_and_b32 s12, s1, exec_lo
                                        ; implicit-def: $vgpr4
.LBB54_1031:
	s_or_saveexec_b32 s11, s11
	s_mov_b32 s0, 0
                                        ; implicit-def: $sgpr1
                                        ; implicit-def: $sgpr13
                                        ; implicit-def: $vgpr0_vgpr1
	s_xor_b32 exec_lo, exec_lo, s11
	s_cbranch_execz .LBB54_1983
; %bb.1032:
	v_mul_lo_u32 v0, s3, v4
	s_and_b32 s0, 0xffff, s10
	s_delay_alu instid0(SALU_CYCLE_1) | instskip(NEXT) | instid1(VALU_DEP_1)
	s_cmp_lt_i32 s0, 11
	v_ashrrev_i32_e32 v1, 31, v0
	s_wait_loadcnt 0x0
	s_delay_alu instid0(VALU_DEP_1)
	v_add_nc_u64_e32 v[2:3], s[6:7], v[0:1]
	s_cbranch_scc1 .LBB54_1039
; %bb.1033:
	s_cmp_gt_i32 s0, 25
	s_mov_b32 s10, 0
	s_cbranch_scc0 .LBB54_1041
; %bb.1034:
	s_cmp_gt_i32 s0, 28
	s_cbranch_scc0 .LBB54_1042
; %bb.1035:
	s_cmp_gt_i32 s0, 43
	;; [unrolled: 3-line block ×3, first 2 shown]
	s_cbranch_scc0 .LBB54_1044
; %bb.1037:
	s_cmp_eq_u32 s0, 46
	s_cbranch_scc0 .LBB54_1047
; %bb.1038:
	global_load_b32 v1, v[2:3], off
	s_mov_b32 s1, 0
	s_mov_b32 s13, -1
	s_wait_loadcnt 0x0
	v_lshlrev_b32_e32 v1, 16, v1
	s_delay_alu instid0(VALU_DEP_1)
	v_cvt_f16_f32_e32 v5, v1
	s_branch .LBB54_1049
.LBB54_1039:
	s_mov_b32 s13, 0
	s_mov_b32 s9, s12
                                        ; implicit-def: $vgpr5
	s_cbranch_execnz .LBB54_1112
.LBB54_1040:
	s_and_not1_b32 vcc_lo, exec_lo, s13
	s_cbranch_vccz .LBB54_1157
	s_branch .LBB54_1981
.LBB54_1041:
	s_mov_b32 s13, 0
	s_mov_b32 s1, 0
                                        ; implicit-def: $vgpr5
	s_cbranch_execnz .LBB54_1077
	s_branch .LBB54_1108
.LBB54_1042:
	s_mov_b32 s9, -1
	s_mov_b32 s13, 0
	s_mov_b32 s1, 0
                                        ; implicit-def: $vgpr5
	s_branch .LBB54_1058
.LBB54_1043:
	s_mov_b32 s13, 0
	s_mov_b32 s1, 0
                                        ; implicit-def: $vgpr5
	s_cbranch_execnz .LBB54_1054
	s_branch .LBB54_1057
.LBB54_1044:
	s_mov_b32 s9, -1
	s_mov_b32 s13, 0
	s_mov_b32 s1, 0
	s_branch .LBB54_1048
.LBB54_1045:
	s_and_not1_saveexec_b32 s19, s19
	s_cbranch_execz .LBB54_944
.LBB54_1046:
	v_add_f32_e32 v2, 0x46000000, v3
	s_and_not1_b32 s18, s18, exec_lo
	s_delay_alu instid0(VALU_DEP_1) | instskip(NEXT) | instid1(VALU_DEP_1)
	v_and_b32_e32 v2, 0xff, v2
	v_cmp_ne_u32_e32 vcc_lo, 0, v2
	s_and_b32 s20, vcc_lo, exec_lo
	s_delay_alu instid0(SALU_CYCLE_1)
	s_or_b32 s18, s18, s20
	s_or_b32 exec_lo, exec_lo, s19
	v_mov_b32_e32 v4, 0
	s_and_saveexec_b32 s19, s18
	s_cbranch_execnz .LBB54_945
	s_branch .LBB54_946
.LBB54_1047:
	s_mov_b32 s1, -1
	s_mov_b32 s13, 0
.LBB54_1048:
                                        ; implicit-def: $vgpr5
.LBB54_1049:
	s_and_b32 vcc_lo, exec_lo, s9
	s_cbranch_vccz .LBB54_1052
; %bb.1050:
	s_cmp_eq_u32 s0, 44
	s_cbranch_scc0 .LBB54_1053
; %bb.1051:
	global_load_u8 v1, v[2:3], off
	s_mov_b32 s1, 0
	s_mov_b32 s13, -1
	s_wait_loadcnt 0x0
	v_lshlrev_b32_e32 v5, 23, v1
	v_cmp_ne_u32_e32 vcc_lo, 0xff, v1
	s_delay_alu instid0(VALU_DEP_2) | instskip(NEXT) | instid1(VALU_DEP_1)
	v_cvt_f16_f32_e32 v5, v5
	v_cndmask_b32_e32 v5, 0x7e00, v5, vcc_lo
	v_cmp_ne_u32_e32 vcc_lo, 0, v1
	s_delay_alu instid0(VALU_DEP_2)
	v_cndmask_b32_e32 v5, 0, v5, vcc_lo
.LBB54_1052:
	s_branch .LBB54_1057
.LBB54_1053:
	s_mov_b32 s1, -1
                                        ; implicit-def: $vgpr5
	s_branch .LBB54_1057
.LBB54_1054:
	s_cmp_eq_u32 s0, 29
	s_cbranch_scc0 .LBB54_1056
; %bb.1055:
	global_load_b64 v[6:7], v[2:3], off
	s_mov_b32 s1, 0
	s_mov_b32 s13, -1
	s_mov_b32 s9, 0
	s_wait_loadcnt 0x0
	v_clz_i32_u32_e32 v1, v7
	s_delay_alu instid0(VALU_DEP_1) | instskip(NEXT) | instid1(VALU_DEP_1)
	v_min_u32_e32 v1, 32, v1
	v_lshlrev_b64_e32 v[6:7], v1, v[6:7]
	v_sub_nc_u32_e32 v1, 32, v1
	s_delay_alu instid0(VALU_DEP_2) | instskip(NEXT) | instid1(VALU_DEP_1)
	v_min_u32_e32 v5, 1, v6
	v_or_b32_e32 v5, v7, v5
	s_delay_alu instid0(VALU_DEP_1) | instskip(NEXT) | instid1(VALU_DEP_1)
	v_cvt_f32_u32_e32 v5, v5
	v_ldexp_f32 v1, v5, v1
	s_delay_alu instid0(VALU_DEP_1)
	v_cvt_f16_f32_e32 v5, v1
	s_branch .LBB54_1058
.LBB54_1056:
	s_mov_b32 s1, -1
                                        ; implicit-def: $vgpr5
.LBB54_1057:
	s_mov_b32 s9, 0
.LBB54_1058:
	s_delay_alu instid0(SALU_CYCLE_1)
	s_and_b32 vcc_lo, exec_lo, s9
	s_cbranch_vccz .LBB54_1076
; %bb.1059:
	s_cmp_lt_i32 s0, 27
	s_cbranch_scc1 .LBB54_1062
; %bb.1060:
	s_cmp_gt_i32 s0, 27
	s_cbranch_scc0 .LBB54_1063
; %bb.1061:
	global_load_b32 v1, v[2:3], off
	s_mov_b32 s9, 0
	s_wait_loadcnt 0x0
	v_cvt_f32_u32_e32 v1, v1
	s_delay_alu instid0(VALU_DEP_1)
	v_cvt_f16_f32_e32 v5, v1
	s_branch .LBB54_1064
.LBB54_1062:
	s_mov_b32 s9, -1
                                        ; implicit-def: $vgpr5
	s_branch .LBB54_1067
.LBB54_1063:
	s_mov_b32 s9, -1
                                        ; implicit-def: $vgpr5
.LBB54_1064:
	s_delay_alu instid0(SALU_CYCLE_1)
	s_and_not1_b32 vcc_lo, exec_lo, s9
	s_cbranch_vccnz .LBB54_1066
; %bb.1065:
	global_load_u16 v1, v[2:3], off
	s_wait_loadcnt 0x0
	v_cvt_f16_u16_e32 v5, v1
.LBB54_1066:
	s_mov_b32 s9, 0
.LBB54_1067:
	s_delay_alu instid0(SALU_CYCLE_1)
	s_and_not1_b32 vcc_lo, exec_lo, s9
	s_cbranch_vccnz .LBB54_1075
; %bb.1068:
	global_load_u8 v1, v[2:3], off
	s_mov_b32 s9, 0
	s_mov_b32 s13, exec_lo
	s_wait_loadcnt 0x0
	v_cmpx_lt_i16_e32 0x7f, v1
	s_xor_b32 s13, exec_lo, s13
	s_cbranch_execz .LBB54_1088
; %bb.1069:
	s_mov_b32 s9, -1
	s_mov_b32 s14, exec_lo
	v_cmpx_eq_u16_e32 0x80, v1
; %bb.1070:
	s_xor_b32 s9, exec_lo, -1
; %bb.1071:
	s_or_b32 exec_lo, exec_lo, s14
	s_delay_alu instid0(SALU_CYCLE_1)
	s_and_b32 s9, s9, exec_lo
	s_or_saveexec_b32 s13, s13
	v_mov_b32_e32 v5, 0x7e00
	s_xor_b32 exec_lo, exec_lo, s13
	s_cbranch_execnz .LBB54_1089
.LBB54_1072:
	s_or_b32 exec_lo, exec_lo, s13
	s_and_saveexec_b32 s13, s9
	s_cbranch_execz .LBB54_1074
.LBB54_1073:
	v_and_b32_e32 v5, 0xffff, v1
	s_delay_alu instid0(VALU_DEP_1) | instskip(SKIP_1) | instid1(VALU_DEP_2)
	v_and_b32_e32 v6, 7, v5
	v_bfe_u32 v9, v5, 3, 4
	v_clz_i32_u32_e32 v7, v6
	s_delay_alu instid0(VALU_DEP_2) | instskip(NEXT) | instid1(VALU_DEP_2)
	v_cmp_eq_u32_e32 vcc_lo, 0, v9
	v_min_u32_e32 v7, 32, v7
	s_delay_alu instid0(VALU_DEP_1) | instskip(NEXT) | instid1(VALU_DEP_1)
	v_subrev_nc_u32_e32 v8, 28, v7
	v_dual_lshlrev_b32 v5, v8, v5 :: v_dual_sub_nc_u32 v7, 29, v7
	s_delay_alu instid0(VALU_DEP_1) | instskip(NEXT) | instid1(VALU_DEP_2)
	v_and_b32_e32 v5, 7, v5
	v_dual_lshlrev_b32 v1, 24, v1 :: v_dual_cndmask_b32 v7, v9, v7, vcc_lo
	s_delay_alu instid0(VALU_DEP_2) | instskip(NEXT) | instid1(VALU_DEP_2)
	v_cndmask_b32_e32 v5, v6, v5, vcc_lo
	v_and_b32_e32 v1, 0x80000000, v1
	s_delay_alu instid0(VALU_DEP_3) | instskip(NEXT) | instid1(VALU_DEP_3)
	v_lshl_add_u32 v6, v7, 23, 0x3b800000
	v_lshlrev_b32_e32 v5, 20, v5
	s_delay_alu instid0(VALU_DEP_1) | instskip(NEXT) | instid1(VALU_DEP_1)
	v_or3_b32 v1, v1, v6, v5
	v_cvt_f16_f32_e32 v5, v1
.LBB54_1074:
	s_or_b32 exec_lo, exec_lo, s13
.LBB54_1075:
	s_mov_b32 s13, -1
.LBB54_1076:
	s_branch .LBB54_1108
.LBB54_1077:
	s_cmp_gt_i32 s0, 22
	s_cbranch_scc0 .LBB54_1087
; %bb.1078:
	s_cmp_lt_i32 s0, 24
	s_cbranch_scc1 .LBB54_1090
; %bb.1079:
	s_cmp_gt_i32 s0, 24
	s_cbranch_scc0 .LBB54_1091
; %bb.1080:
	global_load_u8 v1, v[2:3], off
	s_mov_b32 s9, 0
	s_mov_b32 s10, exec_lo
	s_wait_loadcnt 0x0
	v_cmpx_lt_i16_e32 0x7f, v1
	s_xor_b32 s10, exec_lo, s10
	s_cbranch_execz .LBB54_1102
; %bb.1081:
	s_mov_b32 s9, -1
	s_mov_b32 s13, exec_lo
	v_cmpx_eq_u16_e32 0x80, v1
; %bb.1082:
	s_xor_b32 s9, exec_lo, -1
; %bb.1083:
	s_or_b32 exec_lo, exec_lo, s13
	s_delay_alu instid0(SALU_CYCLE_1)
	s_and_b32 s9, s9, exec_lo
	s_or_saveexec_b32 s10, s10
	v_mov_b32_e32 v5, 0x7e00
	s_xor_b32 exec_lo, exec_lo, s10
	s_cbranch_execnz .LBB54_1103
.LBB54_1084:
	s_or_b32 exec_lo, exec_lo, s10
	s_and_saveexec_b32 s10, s9
	s_cbranch_execz .LBB54_1086
.LBB54_1085:
	v_and_b32_e32 v5, 0xffff, v1
	s_delay_alu instid0(VALU_DEP_1) | instskip(SKIP_1) | instid1(VALU_DEP_2)
	v_and_b32_e32 v6, 3, v5
	v_bfe_u32 v9, v5, 2, 5
	v_clz_i32_u32_e32 v7, v6
	s_delay_alu instid0(VALU_DEP_2) | instskip(NEXT) | instid1(VALU_DEP_2)
	v_cmp_eq_u32_e32 vcc_lo, 0, v9
	v_min_u32_e32 v7, 32, v7
	s_delay_alu instid0(VALU_DEP_1) | instskip(NEXT) | instid1(VALU_DEP_1)
	v_subrev_nc_u32_e32 v8, 29, v7
	v_dual_lshlrev_b32 v5, v8, v5 :: v_dual_sub_nc_u32 v7, 30, v7
	s_delay_alu instid0(VALU_DEP_1) | instskip(NEXT) | instid1(VALU_DEP_2)
	v_and_b32_e32 v5, 3, v5
	v_dual_lshlrev_b32 v1, 24, v1 :: v_dual_cndmask_b32 v7, v9, v7, vcc_lo
	s_delay_alu instid0(VALU_DEP_2) | instskip(NEXT) | instid1(VALU_DEP_2)
	v_cndmask_b32_e32 v5, v6, v5, vcc_lo
	v_and_b32_e32 v1, 0x80000000, v1
	s_delay_alu instid0(VALU_DEP_3) | instskip(NEXT) | instid1(VALU_DEP_3)
	v_lshl_add_u32 v6, v7, 23, 0x37800000
	v_lshlrev_b32_e32 v5, 21, v5
	s_delay_alu instid0(VALU_DEP_1) | instskip(NEXT) | instid1(VALU_DEP_1)
	v_or3_b32 v1, v1, v6, v5
	v_cvt_f16_f32_e32 v5, v1
.LBB54_1086:
	s_or_b32 exec_lo, exec_lo, s10
	s_mov_b32 s9, 0
	s_branch .LBB54_1092
.LBB54_1087:
                                        ; implicit-def: $vgpr5
	s_mov_b32 s10, 0
	s_branch .LBB54_1098
.LBB54_1088:
	s_or_saveexec_b32 s13, s13
	v_mov_b32_e32 v5, 0x7e00
	s_xor_b32 exec_lo, exec_lo, s13
	s_cbranch_execz .LBB54_1072
.LBB54_1089:
	v_cmp_ne_u16_e32 vcc_lo, 0, v1
	v_mov_b32_e32 v5, v1
	s_and_not1_b32 s9, s9, exec_lo
	s_and_b32 s14, vcc_lo, exec_lo
	s_delay_alu instid0(SALU_CYCLE_1)
	s_or_b32 s9, s9, s14
	s_or_b32 exec_lo, exec_lo, s13
	s_and_saveexec_b32 s13, s9
	s_cbranch_execnz .LBB54_1073
	s_branch .LBB54_1074
.LBB54_1090:
	s_mov_b32 s9, -1
                                        ; implicit-def: $vgpr5
	s_branch .LBB54_1095
.LBB54_1091:
	s_mov_b32 s9, -1
                                        ; implicit-def: $vgpr5
.LBB54_1092:
	s_delay_alu instid0(SALU_CYCLE_1)
	s_and_b32 vcc_lo, exec_lo, s9
	s_cbranch_vccz .LBB54_1094
; %bb.1093:
	global_load_u8 v1, v[2:3], off
	s_wait_loadcnt 0x0
	v_lshlrev_b32_e32 v1, 24, v1
	s_delay_alu instid0(VALU_DEP_1) | instskip(NEXT) | instid1(VALU_DEP_1)
	v_and_b32_e32 v5, 0x7f000000, v1
	v_clz_i32_u32_e32 v6, v5
	v_cmp_ne_u32_e32 vcc_lo, 0, v5
	v_add_nc_u32_e32 v8, 0x1000000, v5
	s_delay_alu instid0(VALU_DEP_3) | instskip(NEXT) | instid1(VALU_DEP_1)
	v_min_u32_e32 v6, 32, v6
	v_sub_nc_u32_e64 v6, v6, 4 clamp
	s_delay_alu instid0(VALU_DEP_1) | instskip(NEXT) | instid1(VALU_DEP_1)
	v_dual_lshlrev_b32 v7, v6, v5 :: v_dual_lshlrev_b32 v6, 23, v6
	v_lshrrev_b32_e32 v7, 4, v7
	s_delay_alu instid0(VALU_DEP_1) | instskip(NEXT) | instid1(VALU_DEP_1)
	v_dual_sub_nc_u32 v6, v7, v6 :: v_dual_ashrrev_i32 v7, 8, v8
	v_add_nc_u32_e32 v6, 0x3c000000, v6
	s_delay_alu instid0(VALU_DEP_1) | instskip(NEXT) | instid1(VALU_DEP_1)
	v_and_or_b32 v6, 0x7f800000, v7, v6
	v_cndmask_b32_e32 v5, 0, v6, vcc_lo
	s_delay_alu instid0(VALU_DEP_1) | instskip(NEXT) | instid1(VALU_DEP_1)
	v_and_or_b32 v1, 0x80000000, v1, v5
	v_cvt_f16_f32_e32 v5, v1
.LBB54_1094:
	s_mov_b32 s9, 0
.LBB54_1095:
	s_delay_alu instid0(SALU_CYCLE_1)
	s_and_not1_b32 vcc_lo, exec_lo, s9
	s_cbranch_vccnz .LBB54_1097
; %bb.1096:
	global_load_u8 v1, v[2:3], off
	s_wait_loadcnt 0x0
	v_lshlrev_b32_e32 v5, 25, v1
	v_lshlrev_b16 v1, 8, v1
	s_delay_alu instid0(VALU_DEP_1) | instskip(SKIP_1) | instid1(VALU_DEP_2)
	v_and_or_b32 v7, 0x7f00, v1, 0.5
	v_bfe_i32 v1, v1, 0, 16
	v_dual_add_f32 v7, -0.5, v7 :: v_dual_lshrrev_b32 v6, 4, v5
	v_cmp_gt_u32_e32 vcc_lo, 0x8000000, v5
	s_delay_alu instid0(VALU_DEP_2) | instskip(NEXT) | instid1(VALU_DEP_1)
	v_or_b32_e32 v6, 0x70000000, v6
	v_mul_f32_e32 v6, 0x7800000, v6
	s_delay_alu instid0(VALU_DEP_1) | instskip(NEXT) | instid1(VALU_DEP_1)
	v_cndmask_b32_e32 v5, v6, v7, vcc_lo
	v_and_or_b32 v1, 0x80000000, v1, v5
	s_delay_alu instid0(VALU_DEP_1)
	v_cvt_f16_f32_e32 v5, v1
.LBB54_1097:
	s_mov_b32 s13, -1
	s_mov_b32 s10, 0
	s_cbranch_execnz .LBB54_1108
.LBB54_1098:
	s_cmp_gt_i32 s0, 14
	s_cbranch_scc0 .LBB54_1101
; %bb.1099:
	s_cmp_eq_u32 s0, 15
	s_cbranch_scc0 .LBB54_1104
; %bb.1100:
	global_load_u16 v1, v[2:3], off
	s_mov_b32 s1, 0
	s_mov_b32 s13, -1
	s_wait_loadcnt 0x0
	v_lshlrev_b32_e32 v1, 16, v1
	s_delay_alu instid0(VALU_DEP_1)
	v_cvt_f16_f32_e32 v5, v1
	s_branch .LBB54_1105
.LBB54_1101:
	s_mov_b32 s9, -1
                                        ; implicit-def: $vgpr5
	s_branch .LBB54_1106
.LBB54_1102:
	s_or_saveexec_b32 s10, s10
	v_mov_b32_e32 v5, 0x7e00
	s_xor_b32 exec_lo, exec_lo, s10
	s_cbranch_execz .LBB54_1084
.LBB54_1103:
	v_cmp_ne_u16_e32 vcc_lo, 0, v1
	v_mov_b32_e32 v5, v1
	s_and_not1_b32 s9, s9, exec_lo
	s_and_b32 s13, vcc_lo, exec_lo
	s_delay_alu instid0(SALU_CYCLE_1)
	s_or_b32 s9, s9, s13
	s_or_b32 exec_lo, exec_lo, s10
	s_and_saveexec_b32 s10, s9
	s_cbranch_execnz .LBB54_1085
	s_branch .LBB54_1086
.LBB54_1104:
	s_mov_b32 s1, -1
                                        ; implicit-def: $vgpr5
.LBB54_1105:
	s_mov_b32 s9, 0
.LBB54_1106:
	s_delay_alu instid0(SALU_CYCLE_1)
	s_and_b32 vcc_lo, exec_lo, s9
	s_cbranch_vccz .LBB54_1108
; %bb.1107:
	s_cmp_lg_u32 s0, 11
	s_mov_b32 s10, -1
	s_cselect_b32 s1, -1, 0
.LBB54_1108:
	s_delay_alu instid0(SALU_CYCLE_1)
	s_and_b32 vcc_lo, exec_lo, s1
	s_mov_b32 s9, s12
	s_cbranch_vccnz .LBB54_1169
; %bb.1109:
	s_and_not1_b32 vcc_lo, exec_lo, s10
	s_cbranch_vccnz .LBB54_1111
.LBB54_1110:
	global_load_u8 v1, v[2:3], off
	s_mov_b32 s13, -1
	s_wait_loadcnt 0x0
	v_cmp_ne_u16_e32 vcc_lo, 0, v1
	v_cndmask_b32_e64 v5, 0, 0x3c00, vcc_lo
.LBB54_1111:
	s_branch .LBB54_1040
.LBB54_1112:
	s_cmp_lt_i32 s0, 5
	s_cbranch_scc1 .LBB54_1117
; %bb.1113:
	s_cmp_lt_i32 s0, 8
	s_cbranch_scc1 .LBB54_1118
; %bb.1114:
	;; [unrolled: 3-line block ×3, first 2 shown]
	s_cmp_gt_i32 s0, 9
	s_cbranch_scc0 .LBB54_1120
; %bb.1116:
	global_load_b64 v[6:7], v[2:3], off
	s_mov_b32 s1, 0
	s_wait_loadcnt 0x0
	v_and_or_b32 v1, 0x1ff, v7, v6
	v_lshrrev_b32_e32 v5, 8, v7
	v_bfe_u32 v6, v7, 20, 11
	s_delay_alu instid0(VALU_DEP_3) | instskip(NEXT) | instid1(VALU_DEP_2)
	v_cmp_ne_u32_e32 vcc_lo, 0, v1
	v_sub_nc_u32_e32 v8, 0x3f1, v6
	v_add_nc_u32_e32 v6, 0xfffffc10, v6
	v_cndmask_b32_e64 v1, 0, 1, vcc_lo
	s_delay_alu instid0(VALU_DEP_1) | instskip(NEXT) | instid1(VALU_DEP_4)
	v_and_or_b32 v1, 0xffe, v5, v1
	v_med3_i32 v5, v8, 0, 13
	s_delay_alu instid0(VALU_DEP_2) | instskip(NEXT) | instid1(VALU_DEP_1)
	v_or_b32_e32 v8, 0x1000, v1
	v_lshrrev_b32_e32 v9, v5, v8
	s_delay_alu instid0(VALU_DEP_1) | instskip(NEXT) | instid1(VALU_DEP_1)
	v_lshlrev_b32_e32 v5, v5, v9
	v_cmp_ne_u32_e32 vcc_lo, v5, v8
	v_lshl_or_b32 v8, v6, 12, v1
	v_cndmask_b32_e64 v5, 0, 1, vcc_lo
	v_cmp_gt_i32_e32 vcc_lo, 1, v6
	s_delay_alu instid0(VALU_DEP_2) | instskip(NEXT) | instid1(VALU_DEP_1)
	v_or_b32_e32 v5, v9, v5
	v_cndmask_b32_e32 v5, v8, v5, vcc_lo
	s_delay_alu instid0(VALU_DEP_1) | instskip(NEXT) | instid1(VALU_DEP_1)
	v_dual_lshrrev_b32 v5, 2, v5 :: v_dual_bitop2_b32 v8, 7, v5 bitop3:0x40
	v_cmp_lt_i32_e32 vcc_lo, 5, v8
	v_cndmask_b32_e64 v9, 0, 1, vcc_lo
	v_cmp_eq_u32_e32 vcc_lo, 3, v8
	v_cndmask_b32_e64 v8, 0, 1, vcc_lo
	v_cmp_ne_u32_e32 vcc_lo, 0, v1
	s_delay_alu instid0(VALU_DEP_2) | instskip(SKIP_1) | instid1(VALU_DEP_2)
	v_or_b32_e32 v8, v8, v9
	v_mov_b32_e32 v9, 0x7e00
	v_add_nc_u32_e32 v5, v5, v8
	s_delay_alu instid0(VALU_DEP_2) | instskip(SKIP_1) | instid1(VALU_DEP_3)
	v_cndmask_b32_e32 v1, 0x7c00, v9, vcc_lo
	v_cmp_gt_i32_e32 vcc_lo, 31, v6
	v_cndmask_b32_e32 v5, 0x7c00, v5, vcc_lo
	v_cmp_eq_u32_e32 vcc_lo, 0x40f, v6
	s_delay_alu instid0(VALU_DEP_2) | instskip(NEXT) | instid1(VALU_DEP_1)
	v_dual_cndmask_b32 v1, v5, v1, vcc_lo :: v_dual_lshrrev_b32 v5, 16, v7
	v_and_or_b32 v5, 0x8000, v5, v1
	s_branch .LBB54_1121
.LBB54_1117:
                                        ; implicit-def: $vgpr5
	s_branch .LBB54_1138
.LBB54_1118:
                                        ; implicit-def: $vgpr5
	s_branch .LBB54_1127
.LBB54_1119:
	s_mov_b32 s1, -1
                                        ; implicit-def: $vgpr5
	s_branch .LBB54_1124
.LBB54_1120:
	s_mov_b32 s1, -1
                                        ; implicit-def: $vgpr5
.LBB54_1121:
	s_delay_alu instid0(SALU_CYCLE_1)
	s_and_not1_b32 vcc_lo, exec_lo, s1
	s_cbranch_vccnz .LBB54_1123
; %bb.1122:
	global_load_b32 v1, v[2:3], off
	s_wait_loadcnt 0x0
	v_cvt_f16_f32_e32 v5, v1
.LBB54_1123:
	s_mov_b32 s1, 0
.LBB54_1124:
	s_delay_alu instid0(SALU_CYCLE_1)
	s_and_not1_b32 vcc_lo, exec_lo, s1
	s_cbranch_vccnz .LBB54_1126
; %bb.1125:
	global_load_b32 v5, v[2:3], off
.LBB54_1126:
	s_cbranch_execnz .LBB54_1137
.LBB54_1127:
	s_cmp_lt_i32 s0, 6
	s_cbranch_scc1 .LBB54_1130
; %bb.1128:
	s_cmp_gt_i32 s0, 6
	s_cbranch_scc0 .LBB54_1131
; %bb.1129:
	global_load_b64 v[6:7], v[2:3], off
	s_mov_b32 s1, 0
	s_wait_loadcnt 0x0
	v_and_or_b32 v1, 0x1ff, v7, v6
	v_lshrrev_b32_e32 v5, 8, v7
	v_bfe_u32 v6, v7, 20, 11
	s_delay_alu instid0(VALU_DEP_3) | instskip(NEXT) | instid1(VALU_DEP_2)
	v_cmp_ne_u32_e32 vcc_lo, 0, v1
	v_sub_nc_u32_e32 v8, 0x3f1, v6
	v_add_nc_u32_e32 v6, 0xfffffc10, v6
	v_cndmask_b32_e64 v1, 0, 1, vcc_lo
	s_delay_alu instid0(VALU_DEP_1) | instskip(NEXT) | instid1(VALU_DEP_4)
	v_and_or_b32 v1, 0xffe, v5, v1
	v_med3_i32 v5, v8, 0, 13
	s_delay_alu instid0(VALU_DEP_2) | instskip(NEXT) | instid1(VALU_DEP_1)
	v_or_b32_e32 v8, 0x1000, v1
	v_lshrrev_b32_e32 v9, v5, v8
	s_delay_alu instid0(VALU_DEP_1) | instskip(NEXT) | instid1(VALU_DEP_1)
	v_lshlrev_b32_e32 v5, v5, v9
	v_cmp_ne_u32_e32 vcc_lo, v5, v8
	v_lshl_or_b32 v8, v6, 12, v1
	v_cndmask_b32_e64 v5, 0, 1, vcc_lo
	v_cmp_gt_i32_e32 vcc_lo, 1, v6
	s_delay_alu instid0(VALU_DEP_2) | instskip(NEXT) | instid1(VALU_DEP_1)
	v_or_b32_e32 v5, v9, v5
	v_cndmask_b32_e32 v5, v8, v5, vcc_lo
	s_delay_alu instid0(VALU_DEP_1) | instskip(NEXT) | instid1(VALU_DEP_1)
	v_dual_lshrrev_b32 v5, 2, v5 :: v_dual_bitop2_b32 v8, 7, v5 bitop3:0x40
	v_cmp_lt_i32_e32 vcc_lo, 5, v8
	v_cndmask_b32_e64 v9, 0, 1, vcc_lo
	v_cmp_eq_u32_e32 vcc_lo, 3, v8
	v_cndmask_b32_e64 v8, 0, 1, vcc_lo
	v_cmp_ne_u32_e32 vcc_lo, 0, v1
	s_delay_alu instid0(VALU_DEP_2) | instskip(SKIP_1) | instid1(VALU_DEP_2)
	v_or_b32_e32 v8, v8, v9
	v_mov_b32_e32 v9, 0x7e00
	v_add_nc_u32_e32 v5, v5, v8
	s_delay_alu instid0(VALU_DEP_2) | instskip(SKIP_1) | instid1(VALU_DEP_3)
	v_cndmask_b32_e32 v1, 0x7c00, v9, vcc_lo
	v_cmp_gt_i32_e32 vcc_lo, 31, v6
	v_cndmask_b32_e32 v5, 0x7c00, v5, vcc_lo
	v_cmp_eq_u32_e32 vcc_lo, 0x40f, v6
	s_delay_alu instid0(VALU_DEP_2) | instskip(NEXT) | instid1(VALU_DEP_1)
	v_dual_cndmask_b32 v1, v5, v1, vcc_lo :: v_dual_lshrrev_b32 v5, 16, v7
	v_and_or_b32 v5, 0x8000, v5, v1
	s_branch .LBB54_1132
.LBB54_1130:
	s_mov_b32 s1, -1
                                        ; implicit-def: $vgpr5
	s_branch .LBB54_1135
.LBB54_1131:
	s_mov_b32 s1, -1
                                        ; implicit-def: $vgpr5
.LBB54_1132:
	s_delay_alu instid0(SALU_CYCLE_1)
	s_and_not1_b32 vcc_lo, exec_lo, s1
	s_cbranch_vccnz .LBB54_1134
; %bb.1133:
	global_load_b32 v1, v[2:3], off
	s_wait_loadcnt 0x0
	v_cvt_f16_f32_e32 v5, v1
.LBB54_1134:
	s_mov_b32 s1, 0
.LBB54_1135:
	s_delay_alu instid0(SALU_CYCLE_1)
	s_and_not1_b32 vcc_lo, exec_lo, s1
	s_cbranch_vccnz .LBB54_1137
; %bb.1136:
	s_wait_loadcnt 0x0
	global_load_u16 v5, v[2:3], off
.LBB54_1137:
	s_cbranch_execnz .LBB54_1156
.LBB54_1138:
	s_cmp_lt_i32 s0, 2
	s_cbranch_scc1 .LBB54_1142
; %bb.1139:
	s_cmp_lt_i32 s0, 3
	s_cbranch_scc1 .LBB54_1143
; %bb.1140:
	s_cmp_gt_i32 s0, 3
	s_cbranch_scc0 .LBB54_1144
; %bb.1141:
	global_load_b64 v[6:7], v[2:3], off
	s_mov_b32 s1, 0
	s_wait_loadcnt 0x0
	v_xor_b32_e32 v1, v6, v7
	v_cls_i32_e32 v5, v7
	s_delay_alu instid0(VALU_DEP_2) | instskip(NEXT) | instid1(VALU_DEP_1)
	v_ashrrev_i32_e32 v1, 31, v1
	v_add_nc_u32_e32 v1, 32, v1
	s_delay_alu instid0(VALU_DEP_1) | instskip(NEXT) | instid1(VALU_DEP_1)
	v_add_min_u32_e64 v1, v5, -1, v1
	v_lshlrev_b64_e32 v[6:7], v1, v[6:7]
	v_sub_nc_u32_e32 v1, 32, v1
	s_delay_alu instid0(VALU_DEP_2) | instskip(NEXT) | instid1(VALU_DEP_1)
	v_min_u32_e32 v5, 1, v6
	v_or_b32_e32 v5, v7, v5
	s_delay_alu instid0(VALU_DEP_1) | instskip(NEXT) | instid1(VALU_DEP_1)
	v_cvt_f32_i32_e32 v5, v5
	v_ldexp_f32 v1, v5, v1
	s_delay_alu instid0(VALU_DEP_1)
	v_cvt_f16_f32_e32 v5, v1
	s_branch .LBB54_1145
.LBB54_1142:
                                        ; implicit-def: $vgpr5
	s_branch .LBB54_1151
.LBB54_1143:
	s_mov_b32 s1, -1
                                        ; implicit-def: $vgpr5
	s_branch .LBB54_1148
.LBB54_1144:
	s_mov_b32 s1, -1
                                        ; implicit-def: $vgpr5
.LBB54_1145:
	s_delay_alu instid0(SALU_CYCLE_1)
	s_and_not1_b32 vcc_lo, exec_lo, s1
	s_cbranch_vccnz .LBB54_1147
; %bb.1146:
	global_load_b32 v1, v[2:3], off
	s_wait_loadcnt 0x0
	v_cvt_f32_i32_e32 v1, v1
	s_delay_alu instid0(VALU_DEP_1)
	v_cvt_f16_f32_e32 v5, v1
.LBB54_1147:
	s_mov_b32 s1, 0
.LBB54_1148:
	s_delay_alu instid0(SALU_CYCLE_1)
	s_and_not1_b32 vcc_lo, exec_lo, s1
	s_cbranch_vccnz .LBB54_1150
; %bb.1149:
	global_load_u16 v1, v[2:3], off
	s_wait_loadcnt 0x0
	v_cvt_f16_i16_e32 v5, v1
.LBB54_1150:
	s_cbranch_execnz .LBB54_1156
.LBB54_1151:
	s_cmp_gt_i32 s0, 0
	s_mov_b32 s1, 0
	s_cbranch_scc0 .LBB54_1153
; %bb.1152:
	global_load_i8 v1, v[2:3], off
	s_wait_loadcnt 0x0
	v_cvt_f16_i16_e32 v5, v1
	s_branch .LBB54_1154
.LBB54_1153:
	s_mov_b32 s1, -1
                                        ; implicit-def: $vgpr5
.LBB54_1154:
	s_delay_alu instid0(SALU_CYCLE_1)
	s_and_not1_b32 vcc_lo, exec_lo, s1
	s_cbranch_vccnz .LBB54_1156
; %bb.1155:
	global_load_u8 v1, v[2:3], off
	s_wait_loadcnt 0x0
	v_cvt_f16_u16_e32 v5, v1
.LBB54_1156:
.LBB54_1157:
	s_lshl_b32 s1, s3, 7
	s_cmp_lt_i32 s0, 11
	v_add_nc_u32_e32 v0, s1, v0
	s_delay_alu instid0(VALU_DEP_1) | instskip(SKIP_1) | instid1(VALU_DEP_1)
	v_ashrrev_i32_e32 v1, 31, v0
	s_wait_xcnt 0x0
	v_add_nc_u64_e32 v[2:3], s[6:7], v[0:1]
	s_cbranch_scc1 .LBB54_1164
; %bb.1158:
	s_cmp_gt_i32 s0, 25
	s_mov_b32 s10, 0
	s_cbranch_scc0 .LBB54_1166
; %bb.1159:
	s_cmp_gt_i32 s0, 28
	s_cbranch_scc0 .LBB54_1167
; %bb.1160:
	s_cmp_gt_i32 s0, 43
	;; [unrolled: 3-line block ×3, first 2 shown]
	s_cbranch_scc0 .LBB54_1170
; %bb.1162:
	s_cmp_eq_u32 s0, 46
	s_mov_b32 s14, 0
	s_cbranch_scc0 .LBB54_1173
; %bb.1163:
	global_load_b32 v1, v[2:3], off
	s_mov_b32 s3, 0
	s_mov_b32 s13, -1
	s_wait_loadcnt 0x0
	v_lshlrev_b32_e32 v1, 16, v1
	s_delay_alu instid0(VALU_DEP_1)
	v_cvt_f16_f32_e32 v6, v1
	s_branch .LBB54_1175
.LBB54_1164:
	s_mov_b32 s13, 0
                                        ; implicit-def: $vgpr6
	s_cbranch_execnz .LBB54_1240
.LBB54_1165:
	s_and_not1_b32 vcc_lo, exec_lo, s13
	s_cbranch_vccnz .LBB54_1981
	s_branch .LBB54_1287
.LBB54_1166:
	s_mov_b32 s13, 0
	s_mov_b32 s3, 0
                                        ; implicit-def: $vgpr6
	s_cbranch_execnz .LBB54_1204
	s_branch .LBB54_1236
.LBB54_1167:
	s_mov_b32 s14, -1
	s_mov_b32 s13, 0
	s_mov_b32 s3, 0
                                        ; implicit-def: $vgpr6
	s_branch .LBB54_1185
.LBB54_1168:
	s_mov_b32 s14, -1
	s_mov_b32 s13, 0
	s_mov_b32 s3, 0
                                        ; implicit-def: $vgpr6
	s_branch .LBB54_1180
.LBB54_1169:
	s_or_b32 s9, s12, exec_lo
	s_trap 2
	s_cbranch_execz .LBB54_1110
	s_branch .LBB54_1111
.LBB54_1170:
	s_mov_b32 s14, -1
	s_mov_b32 s13, 0
	s_mov_b32 s3, 0
	s_branch .LBB54_1174
.LBB54_1171:
	s_and_not1_saveexec_b32 s20, s20
	s_cbranch_execz .LBB54_956
.LBB54_1172:
	v_add_f32_e32 v2, 0x42800000, v3
	s_and_not1_b32 s19, s19, exec_lo
	s_delay_alu instid0(VALU_DEP_1) | instskip(NEXT) | instid1(VALU_DEP_1)
	v_and_b32_e32 v2, 0xff, v2
	v_cmp_ne_u32_e32 vcc_lo, 0, v2
	s_and_b32 s21, vcc_lo, exec_lo
	s_delay_alu instid0(SALU_CYCLE_1)
	s_or_b32 s19, s19, s21
	s_or_b32 exec_lo, exec_lo, s20
	v_mov_b32_e32 v4, 0
	s_and_saveexec_b32 s20, s19
	s_cbranch_execnz .LBB54_957
	s_branch .LBB54_958
.LBB54_1173:
	s_mov_b32 s3, -1
	s_mov_b32 s13, 0
.LBB54_1174:
                                        ; implicit-def: $vgpr6
.LBB54_1175:
	s_and_b32 vcc_lo, exec_lo, s14
	s_cbranch_vccz .LBB54_1179
; %bb.1176:
	s_cmp_eq_u32 s0, 44
	s_cbranch_scc0 .LBB54_1178
; %bb.1177:
	global_load_u8 v1, v[2:3], off
	s_mov_b32 s3, 0
	s_mov_b32 s13, -1
	s_wait_loadcnt 0x0
	v_lshlrev_b32_e32 v6, 23, v1
	v_cmp_ne_u32_e32 vcc_lo, 0xff, v1
	s_delay_alu instid0(VALU_DEP_2) | instskip(NEXT) | instid1(VALU_DEP_1)
	v_cvt_f16_f32_e32 v6, v6
	v_cndmask_b32_e32 v6, 0x7e00, v6, vcc_lo
	v_cmp_ne_u32_e32 vcc_lo, 0, v1
	s_delay_alu instid0(VALU_DEP_2)
	v_cndmask_b32_e32 v6, 0, v6, vcc_lo
	s_branch .LBB54_1179
.LBB54_1178:
	s_mov_b32 s3, -1
                                        ; implicit-def: $vgpr6
.LBB54_1179:
	s_mov_b32 s14, 0
.LBB54_1180:
	s_delay_alu instid0(SALU_CYCLE_1)
	s_and_b32 vcc_lo, exec_lo, s14
	s_cbranch_vccz .LBB54_1184
; %bb.1181:
	s_cmp_eq_u32 s0, 29
	s_cbranch_scc0 .LBB54_1183
; %bb.1182:
	global_load_b64 v[6:7], v[2:3], off
	s_mov_b32 s3, 0
	s_mov_b32 s13, -1
	s_mov_b32 s14, 0
	s_wait_loadcnt 0x0
	v_clz_i32_u32_e32 v1, v7
	s_delay_alu instid0(VALU_DEP_1) | instskip(NEXT) | instid1(VALU_DEP_1)
	v_min_u32_e32 v1, 32, v1
	v_lshlrev_b64_e32 v[6:7], v1, v[6:7]
	v_sub_nc_u32_e32 v1, 32, v1
	s_delay_alu instid0(VALU_DEP_2) | instskip(NEXT) | instid1(VALU_DEP_1)
	v_min_u32_e32 v6, 1, v6
	v_or_b32_e32 v6, v7, v6
	s_delay_alu instid0(VALU_DEP_1) | instskip(NEXT) | instid1(VALU_DEP_1)
	v_cvt_f32_u32_e32 v6, v6
	v_ldexp_f32 v1, v6, v1
	s_delay_alu instid0(VALU_DEP_1)
	v_cvt_f16_f32_e32 v6, v1
	s_branch .LBB54_1185
.LBB54_1183:
	s_mov_b32 s3, -1
                                        ; implicit-def: $vgpr6
.LBB54_1184:
	s_mov_b32 s14, 0
.LBB54_1185:
	s_delay_alu instid0(SALU_CYCLE_1)
	s_and_b32 vcc_lo, exec_lo, s14
	s_cbranch_vccz .LBB54_1203
; %bb.1186:
	s_cmp_lt_i32 s0, 27
	s_cbranch_scc1 .LBB54_1189
; %bb.1187:
	s_cmp_gt_i32 s0, 27
	s_cbranch_scc0 .LBB54_1190
; %bb.1188:
	global_load_b32 v1, v[2:3], off
	s_mov_b32 s13, 0
	s_wait_loadcnt 0x0
	v_cvt_f32_u32_e32 v1, v1
	s_delay_alu instid0(VALU_DEP_1)
	v_cvt_f16_f32_e32 v6, v1
	s_branch .LBB54_1191
.LBB54_1189:
	s_mov_b32 s13, -1
                                        ; implicit-def: $vgpr6
	s_branch .LBB54_1194
.LBB54_1190:
	s_mov_b32 s13, -1
                                        ; implicit-def: $vgpr6
.LBB54_1191:
	s_delay_alu instid0(SALU_CYCLE_1)
	s_and_not1_b32 vcc_lo, exec_lo, s13
	s_cbranch_vccnz .LBB54_1193
; %bb.1192:
	global_load_u16 v1, v[2:3], off
	s_wait_loadcnt 0x0
	v_cvt_f16_u16_e32 v6, v1
.LBB54_1193:
	s_mov_b32 s13, 0
.LBB54_1194:
	s_delay_alu instid0(SALU_CYCLE_1)
	s_and_not1_b32 vcc_lo, exec_lo, s13
	s_cbranch_vccnz .LBB54_1202
; %bb.1195:
	global_load_u8 v1, v[2:3], off
	s_mov_b32 s13, 0
	s_mov_b32 s14, exec_lo
	s_wait_loadcnt 0x0
	v_cmpx_lt_i16_e32 0x7f, v1
	s_xor_b32 s14, exec_lo, s14
	s_cbranch_execz .LBB54_1215
; %bb.1196:
	s_mov_b32 s13, -1
	s_mov_b32 s15, exec_lo
	v_cmpx_eq_u16_e32 0x80, v1
; %bb.1197:
	s_xor_b32 s13, exec_lo, -1
; %bb.1198:
	s_or_b32 exec_lo, exec_lo, s15
	s_delay_alu instid0(SALU_CYCLE_1)
	s_and_b32 s13, s13, exec_lo
	s_or_saveexec_b32 s14, s14
	v_mov_b32_e32 v6, 0x7e00
	s_xor_b32 exec_lo, exec_lo, s14
	s_cbranch_execnz .LBB54_1216
.LBB54_1199:
	s_or_b32 exec_lo, exec_lo, s14
	s_and_saveexec_b32 s14, s13
	s_cbranch_execz .LBB54_1201
.LBB54_1200:
	v_and_b32_e32 v6, 0xffff, v1
	s_delay_alu instid0(VALU_DEP_1) | instskip(SKIP_1) | instid1(VALU_DEP_2)
	v_and_b32_e32 v7, 7, v6
	v_bfe_u32 v10, v6, 3, 4
	v_clz_i32_u32_e32 v8, v7
	s_delay_alu instid0(VALU_DEP_2) | instskip(NEXT) | instid1(VALU_DEP_2)
	v_cmp_eq_u32_e32 vcc_lo, 0, v10
	v_min_u32_e32 v8, 32, v8
	s_delay_alu instid0(VALU_DEP_1) | instskip(NEXT) | instid1(VALU_DEP_1)
	v_subrev_nc_u32_e32 v9, 28, v8
	v_dual_lshlrev_b32 v6, v9, v6 :: v_dual_sub_nc_u32 v8, 29, v8
	s_delay_alu instid0(VALU_DEP_1) | instskip(NEXT) | instid1(VALU_DEP_1)
	v_dual_lshlrev_b32 v1, 24, v1 :: v_dual_bitop2_b32 v6, 7, v6 bitop3:0x40
	v_dual_cndmask_b32 v8, v10, v8, vcc_lo :: v_dual_cndmask_b32 v6, v7, v6, vcc_lo
	s_delay_alu instid0(VALU_DEP_2) | instskip(NEXT) | instid1(VALU_DEP_2)
	v_and_b32_e32 v1, 0x80000000, v1
	v_lshl_add_u32 v7, v8, 23, 0x3b800000
	s_delay_alu instid0(VALU_DEP_3) | instskip(NEXT) | instid1(VALU_DEP_1)
	v_lshlrev_b32_e32 v6, 20, v6
	v_or3_b32 v1, v1, v7, v6
	s_delay_alu instid0(VALU_DEP_1)
	v_cvt_f16_f32_e32 v6, v1
.LBB54_1201:
	s_or_b32 exec_lo, exec_lo, s14
.LBB54_1202:
	s_mov_b32 s13, -1
.LBB54_1203:
	s_branch .LBB54_1236
.LBB54_1204:
	s_cmp_gt_i32 s0, 22
	s_cbranch_scc0 .LBB54_1214
; %bb.1205:
	s_cmp_lt_i32 s0, 24
	s_cbranch_scc1 .LBB54_1217
; %bb.1206:
	s_cmp_gt_i32 s0, 24
	s_cbranch_scc0 .LBB54_1218
; %bb.1207:
	global_load_u8 v1, v[2:3], off
	s_mov_b32 s13, exec_lo
	s_wait_loadcnt 0x0
	v_cmpx_lt_i16_e32 0x7f, v1
	s_xor_b32 s13, exec_lo, s13
	s_cbranch_execz .LBB54_1230
; %bb.1208:
	s_mov_b32 s10, -1
	s_mov_b32 s14, exec_lo
	v_cmpx_eq_u16_e32 0x80, v1
; %bb.1209:
	s_xor_b32 s10, exec_lo, -1
; %bb.1210:
	s_or_b32 exec_lo, exec_lo, s14
	s_delay_alu instid0(SALU_CYCLE_1)
	s_and_b32 s10, s10, exec_lo
	s_or_saveexec_b32 s13, s13
	v_mov_b32_e32 v6, 0x7e00
	s_xor_b32 exec_lo, exec_lo, s13
	s_cbranch_execnz .LBB54_1231
.LBB54_1211:
	s_or_b32 exec_lo, exec_lo, s13
	s_and_saveexec_b32 s13, s10
	s_cbranch_execz .LBB54_1213
.LBB54_1212:
	v_and_b32_e32 v6, 0xffff, v1
	s_delay_alu instid0(VALU_DEP_1) | instskip(SKIP_1) | instid1(VALU_DEP_2)
	v_and_b32_e32 v7, 3, v6
	v_bfe_u32 v10, v6, 2, 5
	v_clz_i32_u32_e32 v8, v7
	s_delay_alu instid0(VALU_DEP_2) | instskip(NEXT) | instid1(VALU_DEP_2)
	v_cmp_eq_u32_e32 vcc_lo, 0, v10
	v_min_u32_e32 v8, 32, v8
	s_delay_alu instid0(VALU_DEP_1) | instskip(NEXT) | instid1(VALU_DEP_1)
	v_subrev_nc_u32_e32 v9, 29, v8
	v_dual_lshlrev_b32 v6, v9, v6 :: v_dual_sub_nc_u32 v8, 30, v8
	s_delay_alu instid0(VALU_DEP_1) | instskip(NEXT) | instid1(VALU_DEP_1)
	v_dual_lshlrev_b32 v1, 24, v1 :: v_dual_bitop2_b32 v6, 3, v6 bitop3:0x40
	v_dual_cndmask_b32 v8, v10, v8, vcc_lo :: v_dual_cndmask_b32 v6, v7, v6, vcc_lo
	s_delay_alu instid0(VALU_DEP_2) | instskip(NEXT) | instid1(VALU_DEP_2)
	v_and_b32_e32 v1, 0x80000000, v1
	v_lshl_add_u32 v7, v8, 23, 0x37800000
	s_delay_alu instid0(VALU_DEP_3) | instskip(NEXT) | instid1(VALU_DEP_1)
	v_lshlrev_b32_e32 v6, 21, v6
	v_or3_b32 v1, v1, v7, v6
	s_delay_alu instid0(VALU_DEP_1)
	v_cvt_f16_f32_e32 v6, v1
.LBB54_1213:
	s_or_b32 exec_lo, exec_lo, s13
	s_mov_b32 s10, 0
	s_branch .LBB54_1219
.LBB54_1214:
	s_mov_b32 s10, -1
                                        ; implicit-def: $vgpr6
	s_branch .LBB54_1225
.LBB54_1215:
	s_or_saveexec_b32 s14, s14
	v_mov_b32_e32 v6, 0x7e00
	s_xor_b32 exec_lo, exec_lo, s14
	s_cbranch_execz .LBB54_1199
.LBB54_1216:
	v_cmp_ne_u16_e32 vcc_lo, 0, v1
	v_mov_b32_e32 v6, v1
	s_and_not1_b32 s13, s13, exec_lo
	s_and_b32 s15, vcc_lo, exec_lo
	s_delay_alu instid0(SALU_CYCLE_1)
	s_or_b32 s13, s13, s15
	s_or_b32 exec_lo, exec_lo, s14
	s_and_saveexec_b32 s14, s13
	s_cbranch_execnz .LBB54_1200
	s_branch .LBB54_1201
.LBB54_1217:
	s_mov_b32 s10, -1
                                        ; implicit-def: $vgpr6
	s_branch .LBB54_1222
.LBB54_1218:
	s_mov_b32 s10, -1
                                        ; implicit-def: $vgpr6
.LBB54_1219:
	s_delay_alu instid0(SALU_CYCLE_1)
	s_and_b32 vcc_lo, exec_lo, s10
	s_cbranch_vccz .LBB54_1221
; %bb.1220:
	global_load_u8 v1, v[2:3], off
	s_wait_loadcnt 0x0
	v_lshlrev_b32_e32 v1, 24, v1
	s_delay_alu instid0(VALU_DEP_1) | instskip(NEXT) | instid1(VALU_DEP_1)
	v_and_b32_e32 v6, 0x7f000000, v1
	v_clz_i32_u32_e32 v7, v6
	v_cmp_ne_u32_e32 vcc_lo, 0, v6
	v_add_nc_u32_e32 v9, 0x1000000, v6
	s_delay_alu instid0(VALU_DEP_3) | instskip(NEXT) | instid1(VALU_DEP_1)
	v_min_u32_e32 v7, 32, v7
	v_sub_nc_u32_e64 v7, v7, 4 clamp
	s_delay_alu instid0(VALU_DEP_1) | instskip(NEXT) | instid1(VALU_DEP_1)
	v_dual_lshlrev_b32 v8, v7, v6 :: v_dual_lshlrev_b32 v7, 23, v7
	v_lshrrev_b32_e32 v8, 4, v8
	s_delay_alu instid0(VALU_DEP_1) | instskip(NEXT) | instid1(VALU_DEP_1)
	v_dual_sub_nc_u32 v7, v8, v7 :: v_dual_ashrrev_i32 v8, 8, v9
	v_add_nc_u32_e32 v7, 0x3c000000, v7
	s_delay_alu instid0(VALU_DEP_1) | instskip(NEXT) | instid1(VALU_DEP_1)
	v_and_or_b32 v7, 0x7f800000, v8, v7
	v_cndmask_b32_e32 v6, 0, v7, vcc_lo
	s_delay_alu instid0(VALU_DEP_1) | instskip(NEXT) | instid1(VALU_DEP_1)
	v_and_or_b32 v1, 0x80000000, v1, v6
	v_cvt_f16_f32_e32 v6, v1
.LBB54_1221:
	s_mov_b32 s10, 0
.LBB54_1222:
	s_delay_alu instid0(SALU_CYCLE_1)
	s_and_not1_b32 vcc_lo, exec_lo, s10
	s_cbranch_vccnz .LBB54_1224
; %bb.1223:
	global_load_u8 v1, v[2:3], off
	s_wait_loadcnt 0x0
	v_lshlrev_b32_e32 v6, 25, v1
	v_lshlrev_b16 v1, 8, v1
	s_delay_alu instid0(VALU_DEP_1) | instskip(SKIP_1) | instid1(VALU_DEP_2)
	v_and_or_b32 v8, 0x7f00, v1, 0.5
	v_bfe_i32 v1, v1, 0, 16
	v_dual_add_f32 v8, -0.5, v8 :: v_dual_lshrrev_b32 v7, 4, v6
	v_cmp_gt_u32_e32 vcc_lo, 0x8000000, v6
	s_delay_alu instid0(VALU_DEP_2) | instskip(NEXT) | instid1(VALU_DEP_1)
	v_or_b32_e32 v7, 0x70000000, v7
	v_mul_f32_e32 v7, 0x7800000, v7
	s_delay_alu instid0(VALU_DEP_1) | instskip(NEXT) | instid1(VALU_DEP_1)
	v_cndmask_b32_e32 v6, v7, v8, vcc_lo
	v_and_or_b32 v1, 0x80000000, v1, v6
	s_delay_alu instid0(VALU_DEP_1)
	v_cvt_f16_f32_e32 v6, v1
.LBB54_1224:
	s_mov_b32 s10, 0
	s_mov_b32 s13, -1
.LBB54_1225:
	s_and_not1_b32 vcc_lo, exec_lo, s10
	s_mov_b32 s10, 0
	s_cbranch_vccnz .LBB54_1236
; %bb.1226:
	s_cmp_gt_i32 s0, 14
	s_cbranch_scc0 .LBB54_1229
; %bb.1227:
	s_cmp_eq_u32 s0, 15
	s_cbranch_scc0 .LBB54_1232
; %bb.1228:
	global_load_u16 v1, v[2:3], off
	s_mov_b32 s3, 0
	s_mov_b32 s13, -1
	s_wait_loadcnt 0x0
	v_lshlrev_b32_e32 v1, 16, v1
	s_delay_alu instid0(VALU_DEP_1)
	v_cvt_f16_f32_e32 v6, v1
	s_branch .LBB54_1234
.LBB54_1229:
	s_mov_b32 s10, -1
	s_branch .LBB54_1233
.LBB54_1230:
	s_or_saveexec_b32 s13, s13
	v_mov_b32_e32 v6, 0x7e00
	s_xor_b32 exec_lo, exec_lo, s13
	s_cbranch_execz .LBB54_1211
.LBB54_1231:
	v_cmp_ne_u16_e32 vcc_lo, 0, v1
	v_mov_b32_e32 v6, v1
	s_and_not1_b32 s10, s10, exec_lo
	s_and_b32 s14, vcc_lo, exec_lo
	s_delay_alu instid0(SALU_CYCLE_1)
	s_or_b32 s10, s10, s14
	s_or_b32 exec_lo, exec_lo, s13
	s_and_saveexec_b32 s13, s10
	s_cbranch_execnz .LBB54_1212
	s_branch .LBB54_1213
.LBB54_1232:
	s_mov_b32 s3, -1
.LBB54_1233:
                                        ; implicit-def: $vgpr6
.LBB54_1234:
	s_and_b32 vcc_lo, exec_lo, s10
	s_mov_b32 s10, 0
	s_cbranch_vccz .LBB54_1236
; %bb.1235:
	s_cmp_lg_u32 s0, 11
	s_mov_b32 s10, -1
	s_cselect_b32 s3, -1, 0
.LBB54_1236:
	s_delay_alu instid0(SALU_CYCLE_1)
	s_and_b32 vcc_lo, exec_lo, s3
	s_cbranch_vccnz .LBB54_1299
; %bb.1237:
	s_and_not1_b32 vcc_lo, exec_lo, s10
	s_cbranch_vccnz .LBB54_1239
.LBB54_1238:
	global_load_u8 v1, v[2:3], off
	s_mov_b32 s13, -1
	s_wait_loadcnt 0x0
	v_cmp_ne_u16_e32 vcc_lo, 0, v1
	v_cndmask_b32_e64 v6, 0, 0x3c00, vcc_lo
.LBB54_1239:
	s_branch .LBB54_1165
.LBB54_1240:
	s_cmp_lt_i32 s0, 5
	s_cbranch_scc1 .LBB54_1245
; %bb.1241:
	s_cmp_lt_i32 s0, 8
	s_cbranch_scc1 .LBB54_1246
; %bb.1242:
	;; [unrolled: 3-line block ×3, first 2 shown]
	s_cmp_gt_i32 s0, 9
	s_cbranch_scc0 .LBB54_1248
; %bb.1244:
	global_load_b64 v[6:7], v[2:3], off
	s_mov_b32 s3, 0
	s_wait_loadcnt 0x0
	v_and_or_b32 v1, 0x1ff, v7, v6
	v_lshrrev_b32_e32 v6, 8, v7
	v_bfe_u32 v8, v7, 20, 11
	s_delay_alu instid0(VALU_DEP_3) | instskip(NEXT) | instid1(VALU_DEP_2)
	v_cmp_ne_u32_e32 vcc_lo, 0, v1
	v_sub_nc_u32_e32 v9, 0x3f1, v8
	v_add_nc_u32_e32 v8, 0xfffffc10, v8
	v_cndmask_b32_e64 v1, 0, 1, vcc_lo
	s_delay_alu instid0(VALU_DEP_1) | instskip(NEXT) | instid1(VALU_DEP_4)
	v_and_or_b32 v1, 0xffe, v6, v1
	v_med3_i32 v6, v9, 0, 13
	s_delay_alu instid0(VALU_DEP_2) | instskip(NEXT) | instid1(VALU_DEP_1)
	v_or_b32_e32 v9, 0x1000, v1
	v_lshrrev_b32_e32 v10, v6, v9
	s_delay_alu instid0(VALU_DEP_1) | instskip(NEXT) | instid1(VALU_DEP_1)
	v_lshlrev_b32_e32 v6, v6, v10
	v_cmp_ne_u32_e32 vcc_lo, v6, v9
	v_lshl_or_b32 v9, v8, 12, v1
	v_cndmask_b32_e64 v6, 0, 1, vcc_lo
	v_cmp_gt_i32_e32 vcc_lo, 1, v8
	s_delay_alu instid0(VALU_DEP_2) | instskip(NEXT) | instid1(VALU_DEP_1)
	v_or_b32_e32 v6, v10, v6
	v_cndmask_b32_e32 v6, v9, v6, vcc_lo
	s_delay_alu instid0(VALU_DEP_1) | instskip(NEXT) | instid1(VALU_DEP_1)
	v_dual_lshrrev_b32 v6, 2, v6 :: v_dual_bitop2_b32 v9, 7, v6 bitop3:0x40
	v_cmp_lt_i32_e32 vcc_lo, 5, v9
	v_cndmask_b32_e64 v10, 0, 1, vcc_lo
	v_cmp_eq_u32_e32 vcc_lo, 3, v9
	v_cndmask_b32_e64 v9, 0, 1, vcc_lo
	v_cmp_ne_u32_e32 vcc_lo, 0, v1
	s_delay_alu instid0(VALU_DEP_2) | instskip(SKIP_1) | instid1(VALU_DEP_1)
	v_or_b32_e32 v9, v9, v10
	v_mov_b32_e32 v10, 0x7e00
	v_dual_cndmask_b32 v1, 0x7c00, v10 :: v_dual_add_nc_u32 v6, v6, v9
	v_cmp_gt_i32_e32 vcc_lo, 31, v8
	s_delay_alu instid0(VALU_DEP_2) | instskip(SKIP_1) | instid1(VALU_DEP_2)
	v_cndmask_b32_e32 v6, 0x7c00, v6, vcc_lo
	v_cmp_eq_u32_e32 vcc_lo, 0x40f, v8
	v_dual_cndmask_b32 v1, v6, v1 :: v_dual_lshrrev_b32 v6, 16, v7
	s_delay_alu instid0(VALU_DEP_1)
	v_and_or_b32 v6, 0x8000, v6, v1
	s_branch .LBB54_1249
.LBB54_1245:
                                        ; implicit-def: $vgpr6
	s_branch .LBB54_1267
.LBB54_1246:
	s_mov_b32 s3, -1
                                        ; implicit-def: $vgpr6
	s_branch .LBB54_1255
.LBB54_1247:
	s_mov_b32 s3, -1
                                        ; implicit-def: $vgpr6
	s_branch .LBB54_1252
.LBB54_1248:
	s_mov_b32 s3, -1
                                        ; implicit-def: $vgpr6
.LBB54_1249:
	s_delay_alu instid0(SALU_CYCLE_1)
	s_and_not1_b32 vcc_lo, exec_lo, s3
	s_cbranch_vccnz .LBB54_1251
; %bb.1250:
	global_load_b32 v1, v[2:3], off
	s_wait_loadcnt 0x0
	v_cvt_f16_f32_e32 v6, v1
.LBB54_1251:
	s_mov_b32 s3, 0
.LBB54_1252:
	s_delay_alu instid0(SALU_CYCLE_1)
	s_and_not1_b32 vcc_lo, exec_lo, s3
	s_cbranch_vccnz .LBB54_1254
; %bb.1253:
	global_load_b32 v6, v[2:3], off
.LBB54_1254:
	s_mov_b32 s3, 0
.LBB54_1255:
	s_delay_alu instid0(SALU_CYCLE_1)
	s_and_not1_b32 vcc_lo, exec_lo, s3
	s_cbranch_vccnz .LBB54_1266
; %bb.1256:
	s_cmp_lt_i32 s0, 6
	s_cbranch_scc1 .LBB54_1259
; %bb.1257:
	s_cmp_gt_i32 s0, 6
	s_cbranch_scc0 .LBB54_1260
; %bb.1258:
	s_wait_loadcnt 0x0
	global_load_b64 v[6:7], v[2:3], off
	s_mov_b32 s3, 0
	s_wait_loadcnt 0x0
	v_and_or_b32 v1, 0x1ff, v7, v6
	v_lshrrev_b32_e32 v6, 8, v7
	v_bfe_u32 v8, v7, 20, 11
	s_delay_alu instid0(VALU_DEP_3) | instskip(NEXT) | instid1(VALU_DEP_2)
	v_cmp_ne_u32_e32 vcc_lo, 0, v1
	v_sub_nc_u32_e32 v9, 0x3f1, v8
	v_add_nc_u32_e32 v8, 0xfffffc10, v8
	v_cndmask_b32_e64 v1, 0, 1, vcc_lo
	s_delay_alu instid0(VALU_DEP_1) | instskip(NEXT) | instid1(VALU_DEP_4)
	v_and_or_b32 v1, 0xffe, v6, v1
	v_med3_i32 v6, v9, 0, 13
	s_delay_alu instid0(VALU_DEP_2) | instskip(NEXT) | instid1(VALU_DEP_1)
	v_or_b32_e32 v9, 0x1000, v1
	v_lshrrev_b32_e32 v10, v6, v9
	s_delay_alu instid0(VALU_DEP_1) | instskip(NEXT) | instid1(VALU_DEP_1)
	v_lshlrev_b32_e32 v6, v6, v10
	v_cmp_ne_u32_e32 vcc_lo, v6, v9
	v_lshl_or_b32 v9, v8, 12, v1
	v_cndmask_b32_e64 v6, 0, 1, vcc_lo
	v_cmp_gt_i32_e32 vcc_lo, 1, v8
	s_delay_alu instid0(VALU_DEP_2) | instskip(NEXT) | instid1(VALU_DEP_1)
	v_or_b32_e32 v6, v10, v6
	v_cndmask_b32_e32 v6, v9, v6, vcc_lo
	s_delay_alu instid0(VALU_DEP_1) | instskip(NEXT) | instid1(VALU_DEP_1)
	v_dual_lshrrev_b32 v6, 2, v6 :: v_dual_bitop2_b32 v9, 7, v6 bitop3:0x40
	v_cmp_lt_i32_e32 vcc_lo, 5, v9
	v_cndmask_b32_e64 v10, 0, 1, vcc_lo
	v_cmp_eq_u32_e32 vcc_lo, 3, v9
	v_cndmask_b32_e64 v9, 0, 1, vcc_lo
	v_cmp_ne_u32_e32 vcc_lo, 0, v1
	s_delay_alu instid0(VALU_DEP_2) | instskip(SKIP_1) | instid1(VALU_DEP_1)
	v_or_b32_e32 v9, v9, v10
	v_mov_b32_e32 v10, 0x7e00
	v_dual_cndmask_b32 v1, 0x7c00, v10 :: v_dual_add_nc_u32 v6, v6, v9
	v_cmp_gt_i32_e32 vcc_lo, 31, v8
	s_delay_alu instid0(VALU_DEP_2) | instskip(SKIP_1) | instid1(VALU_DEP_2)
	v_cndmask_b32_e32 v6, 0x7c00, v6, vcc_lo
	v_cmp_eq_u32_e32 vcc_lo, 0x40f, v8
	v_dual_cndmask_b32 v1, v6, v1 :: v_dual_lshrrev_b32 v6, 16, v7
	s_delay_alu instid0(VALU_DEP_1)
	v_and_or_b32 v6, 0x8000, v6, v1
	s_branch .LBB54_1261
.LBB54_1259:
	s_mov_b32 s3, -1
                                        ; implicit-def: $vgpr6
	s_branch .LBB54_1264
.LBB54_1260:
	s_mov_b32 s3, -1
                                        ; implicit-def: $vgpr6
.LBB54_1261:
	s_delay_alu instid0(SALU_CYCLE_1)
	s_and_not1_b32 vcc_lo, exec_lo, s3
	s_cbranch_vccnz .LBB54_1263
; %bb.1262:
	global_load_b32 v1, v[2:3], off
	s_wait_loadcnt 0x0
	v_cvt_f16_f32_e32 v6, v1
.LBB54_1263:
	s_mov_b32 s3, 0
.LBB54_1264:
	s_delay_alu instid0(SALU_CYCLE_1)
	s_and_not1_b32 vcc_lo, exec_lo, s3
	s_cbranch_vccnz .LBB54_1266
; %bb.1265:
	s_wait_loadcnt 0x0
	global_load_u16 v6, v[2:3], off
.LBB54_1266:
	s_cbranch_execnz .LBB54_1286
.LBB54_1267:
	s_cmp_lt_i32 s0, 2
	s_cbranch_scc1 .LBB54_1271
; %bb.1268:
	s_cmp_lt_i32 s0, 3
	s_cbranch_scc1 .LBB54_1272
; %bb.1269:
	s_cmp_gt_i32 s0, 3
	s_cbranch_scc0 .LBB54_1273
; %bb.1270:
	s_wait_loadcnt 0x0
	global_load_b64 v[6:7], v[2:3], off
	s_mov_b32 s3, 0
	s_wait_loadcnt 0x0
	v_xor_b32_e32 v1, v6, v7
	v_cls_i32_e32 v8, v7
	s_delay_alu instid0(VALU_DEP_2) | instskip(NEXT) | instid1(VALU_DEP_1)
	v_ashrrev_i32_e32 v1, 31, v1
	v_add_nc_u32_e32 v1, 32, v1
	s_delay_alu instid0(VALU_DEP_1) | instskip(NEXT) | instid1(VALU_DEP_1)
	v_add_min_u32_e64 v1, v8, -1, v1
	v_lshlrev_b64_e32 v[6:7], v1, v[6:7]
	v_sub_nc_u32_e32 v1, 32, v1
	s_delay_alu instid0(VALU_DEP_2) | instskip(NEXT) | instid1(VALU_DEP_1)
	v_min_u32_e32 v6, 1, v6
	v_or_b32_e32 v6, v7, v6
	s_delay_alu instid0(VALU_DEP_1) | instskip(NEXT) | instid1(VALU_DEP_1)
	v_cvt_f32_i32_e32 v6, v6
	v_ldexp_f32 v1, v6, v1
	s_delay_alu instid0(VALU_DEP_1)
	v_cvt_f16_f32_e32 v6, v1
	s_branch .LBB54_1274
.LBB54_1271:
	s_mov_b32 s3, -1
                                        ; implicit-def: $vgpr6
	s_branch .LBB54_1280
.LBB54_1272:
	s_mov_b32 s3, -1
                                        ; implicit-def: $vgpr6
	s_branch .LBB54_1277
.LBB54_1273:
	s_mov_b32 s3, -1
                                        ; implicit-def: $vgpr6
.LBB54_1274:
	s_delay_alu instid0(SALU_CYCLE_1)
	s_and_not1_b32 vcc_lo, exec_lo, s3
	s_cbranch_vccnz .LBB54_1276
; %bb.1275:
	global_load_b32 v1, v[2:3], off
	s_wait_loadcnt 0x0
	v_cvt_f32_i32_e32 v1, v1
	s_delay_alu instid0(VALU_DEP_1)
	v_cvt_f16_f32_e32 v6, v1
.LBB54_1276:
	s_mov_b32 s3, 0
.LBB54_1277:
	s_delay_alu instid0(SALU_CYCLE_1)
	s_and_not1_b32 vcc_lo, exec_lo, s3
	s_cbranch_vccnz .LBB54_1279
; %bb.1278:
	global_load_u16 v1, v[2:3], off
	s_wait_loadcnt 0x0
	v_cvt_f16_i16_e32 v6, v1
.LBB54_1279:
	s_mov_b32 s3, 0
.LBB54_1280:
	s_delay_alu instid0(SALU_CYCLE_1)
	s_and_not1_b32 vcc_lo, exec_lo, s3
	s_cbranch_vccnz .LBB54_1286
; %bb.1281:
	s_cmp_gt_i32 s0, 0
	s_mov_b32 s3, 0
	s_cbranch_scc0 .LBB54_1283
; %bb.1282:
	global_load_i8 v1, v[2:3], off
	s_wait_loadcnt 0x0
	v_cvt_f16_i16_e32 v6, v1
	s_branch .LBB54_1284
.LBB54_1283:
	s_mov_b32 s3, -1
                                        ; implicit-def: $vgpr6
.LBB54_1284:
	s_delay_alu instid0(SALU_CYCLE_1)
	s_and_not1_b32 vcc_lo, exec_lo, s3
	s_cbranch_vccnz .LBB54_1286
; %bb.1285:
	global_load_u8 v1, v[2:3], off
	s_wait_loadcnt 0x0
	v_cvt_f16_u16_e32 v6, v1
.LBB54_1286:
.LBB54_1287:
	v_add_nc_u32_e32 v0, s1, v0
	s_cmp_lt_i32 s0, 11
	s_delay_alu instid0(VALU_DEP_1) | instskip(SKIP_1) | instid1(VALU_DEP_1)
	v_ashrrev_i32_e32 v1, 31, v0
	s_wait_xcnt 0x0
	v_add_nc_u64_e32 v[2:3], s[6:7], v[0:1]
	s_cbranch_scc1 .LBB54_1294
; %bb.1288:
	s_cmp_gt_i32 s0, 25
	s_mov_b32 s10, 0
	s_cbranch_scc0 .LBB54_1296
; %bb.1289:
	s_cmp_gt_i32 s0, 28
	s_cbranch_scc0 .LBB54_1297
; %bb.1290:
	s_cmp_gt_i32 s0, 43
	;; [unrolled: 3-line block ×3, first 2 shown]
	s_cbranch_scc0 .LBB54_1300
; %bb.1292:
	s_cmp_eq_u32 s0, 46
	s_mov_b32 s14, 0
	s_cbranch_scc0 .LBB54_1301
; %bb.1293:
	global_load_b32 v1, v[2:3], off
	s_mov_b32 s3, 0
	s_mov_b32 s13, -1
	s_wait_loadcnt 0x0
	v_lshlrev_b32_e32 v1, 16, v1
	s_delay_alu instid0(VALU_DEP_1)
	v_cvt_f16_f32_e32 v7, v1
	s_branch .LBB54_1303
.LBB54_1294:
	s_mov_b32 s13, 0
                                        ; implicit-def: $vgpr7
	s_cbranch_execnz .LBB54_1369
.LBB54_1295:
	s_and_not1_b32 vcc_lo, exec_lo, s13
	s_cbranch_vccnz .LBB54_1981
	s_branch .LBB54_1417
.LBB54_1296:
	s_mov_b32 s14, -1
	s_mov_b32 s13, 0
	s_mov_b32 s3, 0
                                        ; implicit-def: $vgpr7
	s_branch .LBB54_1332
.LBB54_1297:
	s_mov_b32 s14, -1
	s_mov_b32 s13, 0
	s_mov_b32 s3, 0
                                        ; implicit-def: $vgpr7
	s_branch .LBB54_1313
.LBB54_1298:
	s_mov_b32 s14, -1
	s_mov_b32 s13, 0
	s_mov_b32 s3, 0
                                        ; implicit-def: $vgpr7
	s_branch .LBB54_1308
.LBB54_1299:
	s_or_b32 s9, s9, exec_lo
	s_trap 2
	s_cbranch_execz .LBB54_1238
	s_branch .LBB54_1239
.LBB54_1300:
	s_mov_b32 s14, -1
	s_mov_b32 s13, 0
	s_mov_b32 s3, 0
	s_branch .LBB54_1302
.LBB54_1301:
	s_mov_b32 s3, -1
	s_mov_b32 s13, 0
.LBB54_1302:
                                        ; implicit-def: $vgpr7
.LBB54_1303:
	s_and_b32 vcc_lo, exec_lo, s14
	s_cbranch_vccz .LBB54_1307
; %bb.1304:
	s_cmp_eq_u32 s0, 44
	s_cbranch_scc0 .LBB54_1306
; %bb.1305:
	global_load_u8 v1, v[2:3], off
	s_mov_b32 s3, 0
	s_mov_b32 s13, -1
	s_wait_loadcnt 0x0
	v_lshlrev_b32_e32 v7, 23, v1
	v_cmp_ne_u32_e32 vcc_lo, 0xff, v1
	s_delay_alu instid0(VALU_DEP_2) | instskip(NEXT) | instid1(VALU_DEP_1)
	v_cvt_f16_f32_e32 v7, v7
	v_cndmask_b32_e32 v7, 0x7e00, v7, vcc_lo
	v_cmp_ne_u32_e32 vcc_lo, 0, v1
	s_delay_alu instid0(VALU_DEP_2)
	v_cndmask_b32_e32 v7, 0, v7, vcc_lo
	s_branch .LBB54_1307
.LBB54_1306:
	s_mov_b32 s3, -1
                                        ; implicit-def: $vgpr7
.LBB54_1307:
	s_mov_b32 s14, 0
.LBB54_1308:
	s_delay_alu instid0(SALU_CYCLE_1)
	s_and_b32 vcc_lo, exec_lo, s14
	s_cbranch_vccz .LBB54_1312
; %bb.1309:
	s_cmp_eq_u32 s0, 29
	s_cbranch_scc0 .LBB54_1311
; %bb.1310:
	global_load_b64 v[8:9], v[2:3], off
	s_mov_b32 s3, 0
	s_mov_b32 s13, -1
	s_mov_b32 s14, 0
	s_wait_loadcnt 0x0
	v_clz_i32_u32_e32 v1, v9
	s_delay_alu instid0(VALU_DEP_1) | instskip(NEXT) | instid1(VALU_DEP_1)
	v_min_u32_e32 v1, 32, v1
	v_lshlrev_b64_e32 v[8:9], v1, v[8:9]
	v_sub_nc_u32_e32 v1, 32, v1
	s_delay_alu instid0(VALU_DEP_2) | instskip(NEXT) | instid1(VALU_DEP_1)
	v_min_u32_e32 v7, 1, v8
	v_or_b32_e32 v7, v9, v7
	s_delay_alu instid0(VALU_DEP_1) | instskip(NEXT) | instid1(VALU_DEP_1)
	v_cvt_f32_u32_e32 v7, v7
	v_ldexp_f32 v1, v7, v1
	s_delay_alu instid0(VALU_DEP_1)
	v_cvt_f16_f32_e32 v7, v1
	s_branch .LBB54_1313
.LBB54_1311:
	s_mov_b32 s3, -1
                                        ; implicit-def: $vgpr7
.LBB54_1312:
	s_mov_b32 s14, 0
.LBB54_1313:
	s_delay_alu instid0(SALU_CYCLE_1)
	s_and_b32 vcc_lo, exec_lo, s14
	s_cbranch_vccz .LBB54_1331
; %bb.1314:
	s_cmp_lt_i32 s0, 27
	s_cbranch_scc1 .LBB54_1317
; %bb.1315:
	s_cmp_gt_i32 s0, 27
	s_cbranch_scc0 .LBB54_1318
; %bb.1316:
	global_load_b32 v1, v[2:3], off
	s_mov_b32 s13, 0
	s_wait_loadcnt 0x0
	v_cvt_f32_u32_e32 v1, v1
	s_delay_alu instid0(VALU_DEP_1)
	v_cvt_f16_f32_e32 v7, v1
	s_branch .LBB54_1319
.LBB54_1317:
	s_mov_b32 s13, -1
                                        ; implicit-def: $vgpr7
	s_branch .LBB54_1322
.LBB54_1318:
	s_mov_b32 s13, -1
                                        ; implicit-def: $vgpr7
.LBB54_1319:
	s_delay_alu instid0(SALU_CYCLE_1)
	s_and_not1_b32 vcc_lo, exec_lo, s13
	s_cbranch_vccnz .LBB54_1321
; %bb.1320:
	global_load_u16 v1, v[2:3], off
	s_wait_loadcnt 0x0
	v_cvt_f16_u16_e32 v7, v1
.LBB54_1321:
	s_mov_b32 s13, 0
.LBB54_1322:
	s_delay_alu instid0(SALU_CYCLE_1)
	s_and_not1_b32 vcc_lo, exec_lo, s13
	s_cbranch_vccnz .LBB54_1330
; %bb.1323:
	global_load_u8 v1, v[2:3], off
	s_mov_b32 s13, 0
	s_mov_b32 s14, exec_lo
	s_wait_loadcnt 0x0
	v_cmpx_lt_i16_e32 0x7f, v1
	s_xor_b32 s14, exec_lo, s14
	s_cbranch_execz .LBB54_1344
; %bb.1324:
	s_mov_b32 s13, -1
	s_mov_b32 s15, exec_lo
	v_cmpx_eq_u16_e32 0x80, v1
; %bb.1325:
	s_xor_b32 s13, exec_lo, -1
; %bb.1326:
	s_or_b32 exec_lo, exec_lo, s15
	s_delay_alu instid0(SALU_CYCLE_1)
	s_and_b32 s13, s13, exec_lo
	s_or_saveexec_b32 s14, s14
	v_mov_b32_e32 v7, 0x7e00
	s_xor_b32 exec_lo, exec_lo, s14
	s_cbranch_execnz .LBB54_1345
.LBB54_1327:
	s_or_b32 exec_lo, exec_lo, s14
	s_and_saveexec_b32 s14, s13
	s_cbranch_execz .LBB54_1329
.LBB54_1328:
	v_and_b32_e32 v7, 0xffff, v1
	s_delay_alu instid0(VALU_DEP_1) | instskip(SKIP_1) | instid1(VALU_DEP_2)
	v_and_b32_e32 v8, 7, v7
	v_bfe_u32 v11, v7, 3, 4
	v_clz_i32_u32_e32 v9, v8
	s_delay_alu instid0(VALU_DEP_2) | instskip(NEXT) | instid1(VALU_DEP_2)
	v_cmp_eq_u32_e32 vcc_lo, 0, v11
	v_min_u32_e32 v9, 32, v9
	s_delay_alu instid0(VALU_DEP_1) | instskip(NEXT) | instid1(VALU_DEP_1)
	v_subrev_nc_u32_e32 v10, 28, v9
	v_dual_lshlrev_b32 v7, v10, v7 :: v_dual_sub_nc_u32 v9, 29, v9
	s_delay_alu instid0(VALU_DEP_1) | instskip(NEXT) | instid1(VALU_DEP_1)
	v_dual_lshlrev_b32 v1, 24, v1 :: v_dual_bitop2_b32 v7, 7, v7 bitop3:0x40
	v_dual_cndmask_b32 v7, v8, v7, vcc_lo :: v_dual_cndmask_b32 v9, v11, v9, vcc_lo
	s_delay_alu instid0(VALU_DEP_2) | instskip(NEXT) | instid1(VALU_DEP_2)
	v_and_b32_e32 v1, 0x80000000, v1
	v_lshlrev_b32_e32 v7, 20, v7
	s_delay_alu instid0(VALU_DEP_3) | instskip(NEXT) | instid1(VALU_DEP_1)
	v_lshl_add_u32 v8, v9, 23, 0x3b800000
	v_or3_b32 v1, v1, v8, v7
	s_delay_alu instid0(VALU_DEP_1)
	v_cvt_f16_f32_e32 v7, v1
.LBB54_1329:
	s_or_b32 exec_lo, exec_lo, s14
.LBB54_1330:
	s_mov_b32 s13, -1
.LBB54_1331:
	s_mov_b32 s14, 0
.LBB54_1332:
	s_delay_alu instid0(SALU_CYCLE_1)
	s_and_b32 vcc_lo, exec_lo, s14
	s_cbranch_vccz .LBB54_1365
; %bb.1333:
	s_cmp_gt_i32 s0, 22
	s_cbranch_scc0 .LBB54_1343
; %bb.1334:
	s_cmp_lt_i32 s0, 24
	s_cbranch_scc1 .LBB54_1346
; %bb.1335:
	s_cmp_gt_i32 s0, 24
	s_cbranch_scc0 .LBB54_1347
; %bb.1336:
	global_load_u8 v1, v[2:3], off
	s_mov_b32 s13, exec_lo
	s_wait_loadcnt 0x0
	v_cmpx_lt_i16_e32 0x7f, v1
	s_xor_b32 s13, exec_lo, s13
	s_cbranch_execz .LBB54_1359
; %bb.1337:
	s_mov_b32 s10, -1
	s_mov_b32 s14, exec_lo
	v_cmpx_eq_u16_e32 0x80, v1
; %bb.1338:
	s_xor_b32 s10, exec_lo, -1
; %bb.1339:
	s_or_b32 exec_lo, exec_lo, s14
	s_delay_alu instid0(SALU_CYCLE_1)
	s_and_b32 s10, s10, exec_lo
	s_or_saveexec_b32 s13, s13
	v_mov_b32_e32 v7, 0x7e00
	s_xor_b32 exec_lo, exec_lo, s13
	s_cbranch_execnz .LBB54_1360
.LBB54_1340:
	s_or_b32 exec_lo, exec_lo, s13
	s_and_saveexec_b32 s13, s10
	s_cbranch_execz .LBB54_1342
.LBB54_1341:
	v_and_b32_e32 v7, 0xffff, v1
	s_delay_alu instid0(VALU_DEP_1) | instskip(SKIP_1) | instid1(VALU_DEP_2)
	v_and_b32_e32 v8, 3, v7
	v_bfe_u32 v11, v7, 2, 5
	v_clz_i32_u32_e32 v9, v8
	s_delay_alu instid0(VALU_DEP_2) | instskip(NEXT) | instid1(VALU_DEP_2)
	v_cmp_eq_u32_e32 vcc_lo, 0, v11
	v_min_u32_e32 v9, 32, v9
	s_delay_alu instid0(VALU_DEP_1) | instskip(NEXT) | instid1(VALU_DEP_1)
	v_subrev_nc_u32_e32 v10, 29, v9
	v_dual_lshlrev_b32 v7, v10, v7 :: v_dual_sub_nc_u32 v9, 30, v9
	s_delay_alu instid0(VALU_DEP_1) | instskip(NEXT) | instid1(VALU_DEP_1)
	v_dual_lshlrev_b32 v1, 24, v1 :: v_dual_bitop2_b32 v7, 3, v7 bitop3:0x40
	v_dual_cndmask_b32 v7, v8, v7, vcc_lo :: v_dual_cndmask_b32 v9, v11, v9, vcc_lo
	s_delay_alu instid0(VALU_DEP_2) | instskip(NEXT) | instid1(VALU_DEP_2)
	v_and_b32_e32 v1, 0x80000000, v1
	v_lshlrev_b32_e32 v7, 21, v7
	s_delay_alu instid0(VALU_DEP_3) | instskip(NEXT) | instid1(VALU_DEP_1)
	v_lshl_add_u32 v8, v9, 23, 0x37800000
	v_or3_b32 v1, v1, v8, v7
	s_delay_alu instid0(VALU_DEP_1)
	v_cvt_f16_f32_e32 v7, v1
.LBB54_1342:
	s_or_b32 exec_lo, exec_lo, s13
	s_mov_b32 s10, 0
	s_branch .LBB54_1348
.LBB54_1343:
	s_mov_b32 s10, -1
                                        ; implicit-def: $vgpr7
	s_branch .LBB54_1354
.LBB54_1344:
	s_or_saveexec_b32 s14, s14
	v_mov_b32_e32 v7, 0x7e00
	s_xor_b32 exec_lo, exec_lo, s14
	s_cbranch_execz .LBB54_1327
.LBB54_1345:
	v_cmp_ne_u16_e32 vcc_lo, 0, v1
	v_mov_b32_e32 v7, v1
	s_and_not1_b32 s13, s13, exec_lo
	s_and_b32 s15, vcc_lo, exec_lo
	s_delay_alu instid0(SALU_CYCLE_1)
	s_or_b32 s13, s13, s15
	s_or_b32 exec_lo, exec_lo, s14
	s_and_saveexec_b32 s14, s13
	s_cbranch_execnz .LBB54_1328
	s_branch .LBB54_1329
.LBB54_1346:
	s_mov_b32 s10, -1
                                        ; implicit-def: $vgpr7
	s_branch .LBB54_1351
.LBB54_1347:
	s_mov_b32 s10, -1
                                        ; implicit-def: $vgpr7
.LBB54_1348:
	s_delay_alu instid0(SALU_CYCLE_1)
	s_and_b32 vcc_lo, exec_lo, s10
	s_cbranch_vccz .LBB54_1350
; %bb.1349:
	global_load_u8 v1, v[2:3], off
	s_wait_loadcnt 0x0
	v_lshlrev_b32_e32 v1, 24, v1
	s_delay_alu instid0(VALU_DEP_1) | instskip(NEXT) | instid1(VALU_DEP_1)
	v_and_b32_e32 v7, 0x7f000000, v1
	v_clz_i32_u32_e32 v8, v7
	v_cmp_ne_u32_e32 vcc_lo, 0, v7
	v_add_nc_u32_e32 v10, 0x1000000, v7
	s_delay_alu instid0(VALU_DEP_3) | instskip(NEXT) | instid1(VALU_DEP_1)
	v_min_u32_e32 v8, 32, v8
	v_sub_nc_u32_e64 v8, v8, 4 clamp
	s_delay_alu instid0(VALU_DEP_1) | instskip(NEXT) | instid1(VALU_DEP_1)
	v_dual_lshlrev_b32 v9, v8, v7 :: v_dual_lshlrev_b32 v8, 23, v8
	v_lshrrev_b32_e32 v9, 4, v9
	s_delay_alu instid0(VALU_DEP_1) | instskip(NEXT) | instid1(VALU_DEP_1)
	v_dual_sub_nc_u32 v8, v9, v8 :: v_dual_ashrrev_i32 v9, 8, v10
	v_add_nc_u32_e32 v8, 0x3c000000, v8
	s_delay_alu instid0(VALU_DEP_1) | instskip(NEXT) | instid1(VALU_DEP_1)
	v_and_or_b32 v8, 0x7f800000, v9, v8
	v_cndmask_b32_e32 v7, 0, v8, vcc_lo
	s_delay_alu instid0(VALU_DEP_1) | instskip(NEXT) | instid1(VALU_DEP_1)
	v_and_or_b32 v1, 0x80000000, v1, v7
	v_cvt_f16_f32_e32 v7, v1
.LBB54_1350:
	s_mov_b32 s10, 0
.LBB54_1351:
	s_delay_alu instid0(SALU_CYCLE_1)
	s_and_not1_b32 vcc_lo, exec_lo, s10
	s_cbranch_vccnz .LBB54_1353
; %bb.1352:
	global_load_u8 v1, v[2:3], off
	s_wait_loadcnt 0x0
	v_lshlrev_b32_e32 v7, 25, v1
	v_lshlrev_b16 v1, 8, v1
	s_delay_alu instid0(VALU_DEP_1) | instskip(NEXT) | instid1(VALU_DEP_3)
	v_and_or_b32 v9, 0x7f00, v1, 0.5
	v_lshrrev_b32_e32 v8, 4, v7
	v_bfe_i32 v1, v1, 0, 16
	s_delay_alu instid0(VALU_DEP_3) | instskip(NEXT) | instid1(VALU_DEP_3)
	v_add_f32_e32 v9, -0.5, v9
	v_or_b32_e32 v8, 0x70000000, v8
	s_delay_alu instid0(VALU_DEP_1) | instskip(SKIP_1) | instid1(VALU_DEP_2)
	v_mul_f32_e32 v8, 0x7800000, v8
	v_cmp_gt_u32_e32 vcc_lo, 0x8000000, v7
	v_cndmask_b32_e32 v7, v8, v9, vcc_lo
	s_delay_alu instid0(VALU_DEP_1) | instskip(NEXT) | instid1(VALU_DEP_1)
	v_and_or_b32 v1, 0x80000000, v1, v7
	v_cvt_f16_f32_e32 v7, v1
.LBB54_1353:
	s_mov_b32 s10, 0
	s_mov_b32 s13, -1
.LBB54_1354:
	s_and_not1_b32 vcc_lo, exec_lo, s10
	s_mov_b32 s10, 0
	s_cbranch_vccnz .LBB54_1365
; %bb.1355:
	s_cmp_gt_i32 s0, 14
	s_cbranch_scc0 .LBB54_1358
; %bb.1356:
	s_cmp_eq_u32 s0, 15
	s_cbranch_scc0 .LBB54_1361
; %bb.1357:
	global_load_u16 v1, v[2:3], off
	s_mov_b32 s3, 0
	s_mov_b32 s13, -1
	s_wait_loadcnt 0x0
	v_lshlrev_b32_e32 v1, 16, v1
	s_delay_alu instid0(VALU_DEP_1)
	v_cvt_f16_f32_e32 v7, v1
	s_branch .LBB54_1363
.LBB54_1358:
	s_mov_b32 s10, -1
	s_branch .LBB54_1362
.LBB54_1359:
	s_or_saveexec_b32 s13, s13
	v_mov_b32_e32 v7, 0x7e00
	s_xor_b32 exec_lo, exec_lo, s13
	s_cbranch_execz .LBB54_1340
.LBB54_1360:
	v_cmp_ne_u16_e32 vcc_lo, 0, v1
	v_mov_b32_e32 v7, v1
	s_and_not1_b32 s10, s10, exec_lo
	s_and_b32 s14, vcc_lo, exec_lo
	s_delay_alu instid0(SALU_CYCLE_1)
	s_or_b32 s10, s10, s14
	s_or_b32 exec_lo, exec_lo, s13
	s_and_saveexec_b32 s13, s10
	s_cbranch_execnz .LBB54_1341
	s_branch .LBB54_1342
.LBB54_1361:
	s_mov_b32 s3, -1
.LBB54_1362:
                                        ; implicit-def: $vgpr7
.LBB54_1363:
	s_and_b32 vcc_lo, exec_lo, s10
	s_mov_b32 s10, 0
	s_cbranch_vccz .LBB54_1365
; %bb.1364:
	s_cmp_lg_u32 s0, 11
	s_mov_b32 s10, -1
	s_cselect_b32 s3, -1, 0
.LBB54_1365:
	s_delay_alu instid0(SALU_CYCLE_1)
	s_and_b32 vcc_lo, exec_lo, s3
	s_cbranch_vccnz .LBB54_1428
; %bb.1366:
	s_and_not1_b32 vcc_lo, exec_lo, s10
	s_cbranch_vccnz .LBB54_1368
.LBB54_1367:
	global_load_u8 v1, v[2:3], off
	s_mov_b32 s13, -1
	s_wait_loadcnt 0x0
	v_cmp_ne_u16_e32 vcc_lo, 0, v1
	v_cndmask_b32_e64 v7, 0, 0x3c00, vcc_lo
.LBB54_1368:
	s_branch .LBB54_1295
.LBB54_1369:
	s_cmp_lt_i32 s0, 5
	s_cbranch_scc1 .LBB54_1374
; %bb.1370:
	s_cmp_lt_i32 s0, 8
	s_cbranch_scc1 .LBB54_1375
; %bb.1371:
	;; [unrolled: 3-line block ×3, first 2 shown]
	s_cmp_gt_i32 s0, 9
	s_cbranch_scc0 .LBB54_1377
; %bb.1373:
	global_load_b64 v[8:9], v[2:3], off
	s_mov_b32 s3, 0
	s_wait_loadcnt 0x0
	v_and_or_b32 v1, 0x1ff, v9, v8
	v_lshrrev_b32_e32 v7, 8, v9
	v_bfe_u32 v8, v9, 20, 11
	s_delay_alu instid0(VALU_DEP_3) | instskip(NEXT) | instid1(VALU_DEP_2)
	v_cmp_ne_u32_e32 vcc_lo, 0, v1
	v_sub_nc_u32_e32 v10, 0x3f1, v8
	v_add_nc_u32_e32 v8, 0xfffffc10, v8
	v_cndmask_b32_e64 v1, 0, 1, vcc_lo
	s_delay_alu instid0(VALU_DEP_1) | instskip(NEXT) | instid1(VALU_DEP_4)
	v_and_or_b32 v1, 0xffe, v7, v1
	v_med3_i32 v7, v10, 0, 13
	s_delay_alu instid0(VALU_DEP_2) | instskip(NEXT) | instid1(VALU_DEP_1)
	v_or_b32_e32 v10, 0x1000, v1
	v_lshrrev_b32_e32 v11, v7, v10
	s_delay_alu instid0(VALU_DEP_1) | instskip(NEXT) | instid1(VALU_DEP_1)
	v_lshlrev_b32_e32 v7, v7, v11
	v_cmp_ne_u32_e32 vcc_lo, v7, v10
	v_lshl_or_b32 v10, v8, 12, v1
	v_cndmask_b32_e64 v7, 0, 1, vcc_lo
	v_cmp_gt_i32_e32 vcc_lo, 1, v8
	s_delay_alu instid0(VALU_DEP_2) | instskip(NEXT) | instid1(VALU_DEP_1)
	v_or_b32_e32 v7, v11, v7
	v_cndmask_b32_e32 v7, v10, v7, vcc_lo
	s_delay_alu instid0(VALU_DEP_1) | instskip(NEXT) | instid1(VALU_DEP_1)
	v_dual_lshrrev_b32 v7, 2, v7 :: v_dual_bitop2_b32 v10, 7, v7 bitop3:0x40
	v_cmp_lt_i32_e32 vcc_lo, 5, v10
	v_cndmask_b32_e64 v11, 0, 1, vcc_lo
	v_cmp_eq_u32_e32 vcc_lo, 3, v10
	v_cndmask_b32_e64 v10, 0, 1, vcc_lo
	v_cmp_ne_u32_e32 vcc_lo, 0, v1
	s_delay_alu instid0(VALU_DEP_2) | instskip(SKIP_1) | instid1(VALU_DEP_2)
	v_or_b32_e32 v10, v10, v11
	v_mov_b32_e32 v11, 0x7e00
	v_add_nc_u32_e32 v7, v7, v10
	s_delay_alu instid0(VALU_DEP_2) | instskip(SKIP_1) | instid1(VALU_DEP_3)
	v_cndmask_b32_e32 v1, 0x7c00, v11, vcc_lo
	v_cmp_gt_i32_e32 vcc_lo, 31, v8
	v_cndmask_b32_e32 v7, 0x7c00, v7, vcc_lo
	v_cmp_eq_u32_e32 vcc_lo, 0x40f, v8
	s_delay_alu instid0(VALU_DEP_2) | instskip(SKIP_1) | instid1(VALU_DEP_1)
	v_cndmask_b32_e32 v1, v7, v1, vcc_lo
	v_lshrrev_b32_e32 v7, 16, v9
	v_and_or_b32 v7, 0x8000, v7, v1
	s_branch .LBB54_1378
.LBB54_1374:
	s_mov_b32 s3, -1
                                        ; implicit-def: $vgpr7
	s_branch .LBB54_1396
.LBB54_1375:
	s_mov_b32 s3, -1
                                        ; implicit-def: $vgpr7
	s_branch .LBB54_1384
.LBB54_1376:
	s_mov_b32 s3, -1
                                        ; implicit-def: $vgpr7
	s_branch .LBB54_1381
.LBB54_1377:
	s_mov_b32 s3, -1
                                        ; implicit-def: $vgpr7
.LBB54_1378:
	s_delay_alu instid0(SALU_CYCLE_1)
	s_and_not1_b32 vcc_lo, exec_lo, s3
	s_cbranch_vccnz .LBB54_1380
; %bb.1379:
	global_load_b32 v1, v[2:3], off
	s_wait_loadcnt 0x0
	v_cvt_f16_f32_e32 v7, v1
.LBB54_1380:
	s_mov_b32 s3, 0
.LBB54_1381:
	s_delay_alu instid0(SALU_CYCLE_1)
	s_and_not1_b32 vcc_lo, exec_lo, s3
	s_cbranch_vccnz .LBB54_1383
; %bb.1382:
	global_load_b32 v7, v[2:3], off
.LBB54_1383:
	s_mov_b32 s3, 0
.LBB54_1384:
	s_delay_alu instid0(SALU_CYCLE_1)
	s_and_not1_b32 vcc_lo, exec_lo, s3
	s_cbranch_vccnz .LBB54_1395
; %bb.1385:
	s_cmp_lt_i32 s0, 6
	s_cbranch_scc1 .LBB54_1388
; %bb.1386:
	s_cmp_gt_i32 s0, 6
	s_cbranch_scc0 .LBB54_1389
; %bb.1387:
	global_load_b64 v[8:9], v[2:3], off
	s_mov_b32 s3, 0
	s_wait_loadcnt 0x0
	v_and_or_b32 v1, 0x1ff, v9, v8
	v_lshrrev_b32_e32 v7, 8, v9
	v_bfe_u32 v8, v9, 20, 11
	s_delay_alu instid0(VALU_DEP_3) | instskip(NEXT) | instid1(VALU_DEP_2)
	v_cmp_ne_u32_e32 vcc_lo, 0, v1
	v_sub_nc_u32_e32 v10, 0x3f1, v8
	v_add_nc_u32_e32 v8, 0xfffffc10, v8
	v_cndmask_b32_e64 v1, 0, 1, vcc_lo
	s_delay_alu instid0(VALU_DEP_1) | instskip(NEXT) | instid1(VALU_DEP_4)
	v_and_or_b32 v1, 0xffe, v7, v1
	v_med3_i32 v7, v10, 0, 13
	s_delay_alu instid0(VALU_DEP_2) | instskip(NEXT) | instid1(VALU_DEP_1)
	v_or_b32_e32 v10, 0x1000, v1
	v_lshrrev_b32_e32 v11, v7, v10
	s_delay_alu instid0(VALU_DEP_1) | instskip(NEXT) | instid1(VALU_DEP_1)
	v_lshlrev_b32_e32 v7, v7, v11
	v_cmp_ne_u32_e32 vcc_lo, v7, v10
	v_lshl_or_b32 v10, v8, 12, v1
	v_cndmask_b32_e64 v7, 0, 1, vcc_lo
	v_cmp_gt_i32_e32 vcc_lo, 1, v8
	s_delay_alu instid0(VALU_DEP_2) | instskip(NEXT) | instid1(VALU_DEP_1)
	v_or_b32_e32 v7, v11, v7
	v_cndmask_b32_e32 v7, v10, v7, vcc_lo
	s_delay_alu instid0(VALU_DEP_1) | instskip(NEXT) | instid1(VALU_DEP_1)
	v_dual_lshrrev_b32 v7, 2, v7 :: v_dual_bitop2_b32 v10, 7, v7 bitop3:0x40
	v_cmp_lt_i32_e32 vcc_lo, 5, v10
	v_cndmask_b32_e64 v11, 0, 1, vcc_lo
	v_cmp_eq_u32_e32 vcc_lo, 3, v10
	v_cndmask_b32_e64 v10, 0, 1, vcc_lo
	v_cmp_ne_u32_e32 vcc_lo, 0, v1
	s_delay_alu instid0(VALU_DEP_2) | instskip(SKIP_1) | instid1(VALU_DEP_2)
	v_or_b32_e32 v10, v10, v11
	v_mov_b32_e32 v11, 0x7e00
	v_add_nc_u32_e32 v7, v7, v10
	s_delay_alu instid0(VALU_DEP_2) | instskip(SKIP_1) | instid1(VALU_DEP_3)
	v_cndmask_b32_e32 v1, 0x7c00, v11, vcc_lo
	v_cmp_gt_i32_e32 vcc_lo, 31, v8
	v_cndmask_b32_e32 v7, 0x7c00, v7, vcc_lo
	v_cmp_eq_u32_e32 vcc_lo, 0x40f, v8
	s_delay_alu instid0(VALU_DEP_2) | instskip(SKIP_1) | instid1(VALU_DEP_1)
	v_cndmask_b32_e32 v1, v7, v1, vcc_lo
	v_lshrrev_b32_e32 v7, 16, v9
	v_and_or_b32 v7, 0x8000, v7, v1
	s_branch .LBB54_1390
.LBB54_1388:
	s_mov_b32 s3, -1
                                        ; implicit-def: $vgpr7
	s_branch .LBB54_1393
.LBB54_1389:
	s_mov_b32 s3, -1
                                        ; implicit-def: $vgpr7
.LBB54_1390:
	s_delay_alu instid0(SALU_CYCLE_1)
	s_and_not1_b32 vcc_lo, exec_lo, s3
	s_cbranch_vccnz .LBB54_1392
; %bb.1391:
	global_load_b32 v1, v[2:3], off
	s_wait_loadcnt 0x0
	v_cvt_f16_f32_e32 v7, v1
.LBB54_1392:
	s_mov_b32 s3, 0
.LBB54_1393:
	s_delay_alu instid0(SALU_CYCLE_1)
	s_and_not1_b32 vcc_lo, exec_lo, s3
	s_cbranch_vccnz .LBB54_1395
; %bb.1394:
	s_wait_loadcnt 0x0
	global_load_u16 v7, v[2:3], off
.LBB54_1395:
	s_mov_b32 s3, 0
.LBB54_1396:
	s_delay_alu instid0(SALU_CYCLE_1)
	s_and_not1_b32 vcc_lo, exec_lo, s3
	s_cbranch_vccnz .LBB54_1416
; %bb.1397:
	s_cmp_lt_i32 s0, 2
	s_cbranch_scc1 .LBB54_1401
; %bb.1398:
	s_cmp_lt_i32 s0, 3
	s_cbranch_scc1 .LBB54_1402
; %bb.1399:
	s_cmp_gt_i32 s0, 3
	s_cbranch_scc0 .LBB54_1403
; %bb.1400:
	global_load_b64 v[8:9], v[2:3], off
	s_mov_b32 s3, 0
	s_wait_loadcnt 0x0
	v_xor_b32_e32 v1, v8, v9
	v_cls_i32_e32 v7, v9
	s_delay_alu instid0(VALU_DEP_2) | instskip(NEXT) | instid1(VALU_DEP_1)
	v_ashrrev_i32_e32 v1, 31, v1
	v_add_nc_u32_e32 v1, 32, v1
	s_delay_alu instid0(VALU_DEP_1) | instskip(NEXT) | instid1(VALU_DEP_1)
	v_add_min_u32_e64 v1, v7, -1, v1
	v_lshlrev_b64_e32 v[8:9], v1, v[8:9]
	v_sub_nc_u32_e32 v1, 32, v1
	s_delay_alu instid0(VALU_DEP_2) | instskip(NEXT) | instid1(VALU_DEP_1)
	v_min_u32_e32 v7, 1, v8
	v_or_b32_e32 v7, v9, v7
	s_delay_alu instid0(VALU_DEP_1) | instskip(NEXT) | instid1(VALU_DEP_1)
	v_cvt_f32_i32_e32 v7, v7
	v_ldexp_f32 v1, v7, v1
	s_delay_alu instid0(VALU_DEP_1)
	v_cvt_f16_f32_e32 v7, v1
	s_branch .LBB54_1404
.LBB54_1401:
	s_mov_b32 s3, -1
                                        ; implicit-def: $vgpr7
	s_branch .LBB54_1410
.LBB54_1402:
	s_mov_b32 s3, -1
                                        ; implicit-def: $vgpr7
	s_branch .LBB54_1407
.LBB54_1403:
	s_mov_b32 s3, -1
                                        ; implicit-def: $vgpr7
.LBB54_1404:
	s_delay_alu instid0(SALU_CYCLE_1)
	s_and_not1_b32 vcc_lo, exec_lo, s3
	s_cbranch_vccnz .LBB54_1406
; %bb.1405:
	global_load_b32 v1, v[2:3], off
	s_wait_loadcnt 0x0
	v_cvt_f32_i32_e32 v1, v1
	s_delay_alu instid0(VALU_DEP_1)
	v_cvt_f16_f32_e32 v7, v1
.LBB54_1406:
	s_mov_b32 s3, 0
.LBB54_1407:
	s_delay_alu instid0(SALU_CYCLE_1)
	s_and_not1_b32 vcc_lo, exec_lo, s3
	s_cbranch_vccnz .LBB54_1409
; %bb.1408:
	global_load_u16 v1, v[2:3], off
	s_wait_loadcnt 0x0
	v_cvt_f16_i16_e32 v7, v1
.LBB54_1409:
	s_mov_b32 s3, 0
.LBB54_1410:
	s_delay_alu instid0(SALU_CYCLE_1)
	s_and_not1_b32 vcc_lo, exec_lo, s3
	s_cbranch_vccnz .LBB54_1416
; %bb.1411:
	s_cmp_gt_i32 s0, 0
	s_mov_b32 s3, 0
	s_cbranch_scc0 .LBB54_1413
; %bb.1412:
	global_load_i8 v1, v[2:3], off
	s_wait_loadcnt 0x0
	v_cvt_f16_i16_e32 v7, v1
	s_branch .LBB54_1414
.LBB54_1413:
	s_mov_b32 s3, -1
                                        ; implicit-def: $vgpr7
.LBB54_1414:
	s_delay_alu instid0(SALU_CYCLE_1)
	s_and_not1_b32 vcc_lo, exec_lo, s3
	s_cbranch_vccnz .LBB54_1416
; %bb.1415:
	global_load_u8 v1, v[2:3], off
	s_wait_loadcnt 0x0
	v_cvt_f16_u16_e32 v7, v1
.LBB54_1416:
.LBB54_1417:
	v_add_nc_u32_e32 v0, s1, v0
	s_cmp_lt_i32 s0, 11
	s_delay_alu instid0(VALU_DEP_1) | instskip(NEXT) | instid1(VALU_DEP_1)
	v_ashrrev_i32_e32 v1, 31, v0
	v_add_nc_u64_e32 v[0:1], s[6:7], v[0:1]
	s_cbranch_scc1 .LBB54_1424
; %bb.1418:
	s_cmp_gt_i32 s0, 25
	s_mov_b32 s3, 0
	s_cbranch_scc0 .LBB54_1425
; %bb.1419:
	s_cmp_gt_i32 s0, 28
	s_cbranch_scc0 .LBB54_1426
; %bb.1420:
	s_cmp_gt_i32 s0, 43
	s_cbranch_scc0 .LBB54_1427
; %bb.1421:
	s_cmp_gt_i32 s0, 45
	s_cbranch_scc0 .LBB54_1429
; %bb.1422:
	s_cmp_eq_u32 s0, 46
	s_mov_b32 s7, 0
	s_cbranch_scc0 .LBB54_1430
; %bb.1423:
	global_load_b32 v2, v[0:1], off
	s_mov_b32 s1, 0
	s_mov_b32 s6, -1
	s_wait_loadcnt 0x0
	v_lshlrev_b32_e32 v2, 16, v2
	s_delay_alu instid0(VALU_DEP_1)
	v_cvt_f16_f32_e32 v8, v2
	s_branch .LBB54_1432
.LBB54_1424:
	s_mov_b32 s1, -1
	s_mov_b32 s6, 0
                                        ; implicit-def: $vgpr8
	s_branch .LBB54_1498
.LBB54_1425:
	s_mov_b32 s7, -1
	s_mov_b32 s6, 0
	s_mov_b32 s1, 0
                                        ; implicit-def: $vgpr8
	s_branch .LBB54_1461
.LBB54_1426:
	s_mov_b32 s7, -1
	s_mov_b32 s6, 0
	s_mov_b32 s1, 0
                                        ; implicit-def: $vgpr8
	s_branch .LBB54_1442
.LBB54_1427:
	s_mov_b32 s7, -1
	s_mov_b32 s6, 0
	s_mov_b32 s1, 0
                                        ; implicit-def: $vgpr8
	s_branch .LBB54_1437
.LBB54_1428:
	s_or_b32 s9, s9, exec_lo
	s_trap 2
	s_cbranch_execz .LBB54_1367
	s_branch .LBB54_1368
.LBB54_1429:
	s_mov_b32 s7, -1
	s_mov_b32 s6, 0
	s_mov_b32 s1, 0
	s_branch .LBB54_1431
.LBB54_1430:
	s_mov_b32 s1, -1
	s_mov_b32 s6, 0
.LBB54_1431:
                                        ; implicit-def: $vgpr8
.LBB54_1432:
	s_and_b32 vcc_lo, exec_lo, s7
	s_cbranch_vccz .LBB54_1436
; %bb.1433:
	s_cmp_eq_u32 s0, 44
	s_cbranch_scc0 .LBB54_1435
; %bb.1434:
	global_load_u8 v2, v[0:1], off
	s_mov_b32 s1, 0
	s_mov_b32 s6, -1
	s_wait_loadcnt 0x0
	v_lshlrev_b32_e32 v3, 23, v2
	v_cmp_ne_u32_e32 vcc_lo, 0xff, v2
	s_delay_alu instid0(VALU_DEP_2) | instskip(NEXT) | instid1(VALU_DEP_1)
	v_cvt_f16_f32_e32 v3, v3
	v_cndmask_b32_e32 v3, 0x7e00, v3, vcc_lo
	v_cmp_ne_u32_e32 vcc_lo, 0, v2
	s_delay_alu instid0(VALU_DEP_2)
	v_cndmask_b32_e32 v8, 0, v3, vcc_lo
	s_branch .LBB54_1436
.LBB54_1435:
	s_mov_b32 s1, -1
                                        ; implicit-def: $vgpr8
.LBB54_1436:
	s_mov_b32 s7, 0
.LBB54_1437:
	s_delay_alu instid0(SALU_CYCLE_1)
	s_and_b32 vcc_lo, exec_lo, s7
	s_cbranch_vccz .LBB54_1441
; %bb.1438:
	s_cmp_eq_u32 s0, 29
	s_cbranch_scc0 .LBB54_1440
; %bb.1439:
	global_load_b64 v[2:3], v[0:1], off
	s_mov_b32 s1, 0
	s_mov_b32 s6, -1
	s_mov_b32 s7, 0
	s_wait_loadcnt 0x0
	v_clz_i32_u32_e32 v8, v3
	s_delay_alu instid0(VALU_DEP_1) | instskip(NEXT) | instid1(VALU_DEP_1)
	v_min_u32_e32 v8, 32, v8
	v_lshlrev_b64_e32 v[2:3], v8, v[2:3]
	s_delay_alu instid0(VALU_DEP_1) | instskip(NEXT) | instid1(VALU_DEP_1)
	v_min_u32_e32 v2, 1, v2
	v_dual_sub_nc_u32 v3, 32, v8 :: v_dual_bitop2_b32 v2, v3, v2 bitop3:0x54
	s_delay_alu instid0(VALU_DEP_1) | instskip(NEXT) | instid1(VALU_DEP_1)
	v_cvt_f32_u32_e32 v2, v2
	v_ldexp_f32 v2, v2, v3
	s_delay_alu instid0(VALU_DEP_1)
	v_cvt_f16_f32_e32 v8, v2
	s_branch .LBB54_1442
.LBB54_1440:
	s_mov_b32 s1, -1
                                        ; implicit-def: $vgpr8
.LBB54_1441:
	s_mov_b32 s7, 0
.LBB54_1442:
	s_delay_alu instid0(SALU_CYCLE_1)
	s_and_b32 vcc_lo, exec_lo, s7
	s_cbranch_vccz .LBB54_1460
; %bb.1443:
	s_cmp_lt_i32 s0, 27
	s_cbranch_scc1 .LBB54_1446
; %bb.1444:
	s_cmp_gt_i32 s0, 27
	s_cbranch_scc0 .LBB54_1447
; %bb.1445:
	global_load_b32 v2, v[0:1], off
	s_mov_b32 s6, 0
	s_wait_loadcnt 0x0
	v_cvt_f32_u32_e32 v2, v2
	s_delay_alu instid0(VALU_DEP_1)
	v_cvt_f16_f32_e32 v8, v2
	s_branch .LBB54_1448
.LBB54_1446:
	s_mov_b32 s6, -1
                                        ; implicit-def: $vgpr8
	s_branch .LBB54_1451
.LBB54_1447:
	s_mov_b32 s6, -1
                                        ; implicit-def: $vgpr8
.LBB54_1448:
	s_delay_alu instid0(SALU_CYCLE_1)
	s_and_not1_b32 vcc_lo, exec_lo, s6
	s_cbranch_vccnz .LBB54_1450
; %bb.1449:
	global_load_u16 v2, v[0:1], off
	s_wait_loadcnt 0x0
	v_cvt_f16_u16_e32 v8, v2
.LBB54_1450:
	s_mov_b32 s6, 0
.LBB54_1451:
	s_delay_alu instid0(SALU_CYCLE_1)
	s_and_not1_b32 vcc_lo, exec_lo, s6
	s_cbranch_vccnz .LBB54_1459
; %bb.1452:
	global_load_u8 v2, v[0:1], off
	s_mov_b32 s6, 0
	s_mov_b32 s7, exec_lo
	s_wait_loadcnt 0x0
	v_cmpx_lt_i16_e32 0x7f, v2
	s_xor_b32 s7, exec_lo, s7
	s_cbranch_execz .LBB54_1473
; %bb.1453:
	s_mov_b32 s6, -1
	s_mov_b32 s10, exec_lo
	v_cmpx_eq_u16_e32 0x80, v2
; %bb.1454:
	s_xor_b32 s6, exec_lo, -1
; %bb.1455:
	s_or_b32 exec_lo, exec_lo, s10
	s_delay_alu instid0(SALU_CYCLE_1)
	s_and_b32 s6, s6, exec_lo
	s_or_saveexec_b32 s7, s7
	v_mov_b32_e32 v8, 0x7e00
	s_xor_b32 exec_lo, exec_lo, s7
	s_cbranch_execnz .LBB54_1474
.LBB54_1456:
	s_or_b32 exec_lo, exec_lo, s7
	s_and_saveexec_b32 s7, s6
	s_cbranch_execz .LBB54_1458
.LBB54_1457:
	v_and_b32_e32 v3, 0xffff, v2
	s_delay_alu instid0(VALU_DEP_1) | instskip(SKIP_1) | instid1(VALU_DEP_2)
	v_and_b32_e32 v8, 7, v3
	v_bfe_u32 v11, v3, 3, 4
	v_clz_i32_u32_e32 v9, v8
	s_delay_alu instid0(VALU_DEP_2) | instskip(NEXT) | instid1(VALU_DEP_2)
	v_cmp_eq_u32_e32 vcc_lo, 0, v11
	v_min_u32_e32 v9, 32, v9
	s_delay_alu instid0(VALU_DEP_1) | instskip(NEXT) | instid1(VALU_DEP_1)
	v_subrev_nc_u32_e32 v10, 28, v9
	v_dual_lshlrev_b32 v3, v10, v3 :: v_dual_sub_nc_u32 v9, 29, v9
	s_delay_alu instid0(VALU_DEP_1) | instskip(NEXT) | instid1(VALU_DEP_1)
	v_dual_lshlrev_b32 v2, 24, v2 :: v_dual_bitop2_b32 v3, 7, v3 bitop3:0x40
	v_dual_cndmask_b32 v9, v11, v9, vcc_lo :: v_dual_cndmask_b32 v3, v8, v3, vcc_lo
	s_delay_alu instid0(VALU_DEP_2) | instskip(NEXT) | instid1(VALU_DEP_2)
	v_and_b32_e32 v2, 0x80000000, v2
	v_lshl_add_u32 v8, v9, 23, 0x3b800000
	s_delay_alu instid0(VALU_DEP_3) | instskip(NEXT) | instid1(VALU_DEP_1)
	v_lshlrev_b32_e32 v3, 20, v3
	v_or3_b32 v2, v2, v8, v3
	s_delay_alu instid0(VALU_DEP_1)
	v_cvt_f16_f32_e32 v8, v2
.LBB54_1458:
	s_or_b32 exec_lo, exec_lo, s7
.LBB54_1459:
	s_mov_b32 s6, -1
.LBB54_1460:
	s_mov_b32 s7, 0
.LBB54_1461:
	s_delay_alu instid0(SALU_CYCLE_1)
	s_and_b32 vcc_lo, exec_lo, s7
	s_cbranch_vccz .LBB54_1494
; %bb.1462:
	s_cmp_gt_i32 s0, 22
	s_cbranch_scc0 .LBB54_1472
; %bb.1463:
	s_cmp_lt_i32 s0, 24
	s_cbranch_scc1 .LBB54_1475
; %bb.1464:
	s_cmp_gt_i32 s0, 24
	s_cbranch_scc0 .LBB54_1476
; %bb.1465:
	global_load_u8 v2, v[0:1], off
	s_mov_b32 s6, exec_lo
	s_wait_loadcnt 0x0
	v_cmpx_lt_i16_e32 0x7f, v2
	s_xor_b32 s6, exec_lo, s6
	s_cbranch_execz .LBB54_1488
; %bb.1466:
	s_mov_b32 s3, -1
	s_mov_b32 s7, exec_lo
	v_cmpx_eq_u16_e32 0x80, v2
; %bb.1467:
	s_xor_b32 s3, exec_lo, -1
; %bb.1468:
	s_or_b32 exec_lo, exec_lo, s7
	s_delay_alu instid0(SALU_CYCLE_1)
	s_and_b32 s3, s3, exec_lo
	s_or_saveexec_b32 s6, s6
	v_mov_b32_e32 v8, 0x7e00
	s_xor_b32 exec_lo, exec_lo, s6
	s_cbranch_execnz .LBB54_1489
.LBB54_1469:
	s_or_b32 exec_lo, exec_lo, s6
	s_and_saveexec_b32 s6, s3
	s_cbranch_execz .LBB54_1471
.LBB54_1470:
	v_and_b32_e32 v3, 0xffff, v2
	s_delay_alu instid0(VALU_DEP_1) | instskip(SKIP_1) | instid1(VALU_DEP_2)
	v_and_b32_e32 v8, 3, v3
	v_bfe_u32 v11, v3, 2, 5
	v_clz_i32_u32_e32 v9, v8
	s_delay_alu instid0(VALU_DEP_2) | instskip(NEXT) | instid1(VALU_DEP_2)
	v_cmp_eq_u32_e32 vcc_lo, 0, v11
	v_min_u32_e32 v9, 32, v9
	s_delay_alu instid0(VALU_DEP_1) | instskip(NEXT) | instid1(VALU_DEP_1)
	v_subrev_nc_u32_e32 v10, 29, v9
	v_dual_lshlrev_b32 v3, v10, v3 :: v_dual_sub_nc_u32 v9, 30, v9
	s_delay_alu instid0(VALU_DEP_1) | instskip(NEXT) | instid1(VALU_DEP_1)
	v_dual_lshlrev_b32 v2, 24, v2 :: v_dual_bitop2_b32 v3, 3, v3 bitop3:0x40
	v_dual_cndmask_b32 v9, v11, v9, vcc_lo :: v_dual_cndmask_b32 v3, v8, v3, vcc_lo
	s_delay_alu instid0(VALU_DEP_2) | instskip(NEXT) | instid1(VALU_DEP_2)
	v_and_b32_e32 v2, 0x80000000, v2
	v_lshl_add_u32 v8, v9, 23, 0x37800000
	s_delay_alu instid0(VALU_DEP_3) | instskip(NEXT) | instid1(VALU_DEP_1)
	v_lshlrev_b32_e32 v3, 21, v3
	v_or3_b32 v2, v2, v8, v3
	s_delay_alu instid0(VALU_DEP_1)
	v_cvt_f16_f32_e32 v8, v2
.LBB54_1471:
	s_or_b32 exec_lo, exec_lo, s6
	s_mov_b32 s3, 0
	s_branch .LBB54_1477
.LBB54_1472:
	s_mov_b32 s3, -1
                                        ; implicit-def: $vgpr8
	s_branch .LBB54_1483
.LBB54_1473:
	s_or_saveexec_b32 s7, s7
	v_mov_b32_e32 v8, 0x7e00
	s_xor_b32 exec_lo, exec_lo, s7
	s_cbranch_execz .LBB54_1456
.LBB54_1474:
	v_cmp_ne_u16_e32 vcc_lo, 0, v2
	v_mov_b32_e32 v8, v2
	s_and_not1_b32 s6, s6, exec_lo
	s_and_b32 s10, vcc_lo, exec_lo
	s_delay_alu instid0(SALU_CYCLE_1)
	s_or_b32 s6, s6, s10
	s_or_b32 exec_lo, exec_lo, s7
	s_and_saveexec_b32 s7, s6
	s_cbranch_execnz .LBB54_1457
	s_branch .LBB54_1458
.LBB54_1475:
	s_mov_b32 s3, -1
                                        ; implicit-def: $vgpr8
	s_branch .LBB54_1480
.LBB54_1476:
	s_mov_b32 s3, -1
                                        ; implicit-def: $vgpr8
.LBB54_1477:
	s_delay_alu instid0(SALU_CYCLE_1)
	s_and_b32 vcc_lo, exec_lo, s3
	s_cbranch_vccz .LBB54_1479
; %bb.1478:
	global_load_u8 v2, v[0:1], off
	s_wait_loadcnt 0x0
	v_lshlrev_b32_e32 v2, 24, v2
	s_delay_alu instid0(VALU_DEP_1) | instskip(NEXT) | instid1(VALU_DEP_1)
	v_and_b32_e32 v3, 0x7f000000, v2
	v_clz_i32_u32_e32 v8, v3
	v_cmp_ne_u32_e32 vcc_lo, 0, v3
	v_add_nc_u32_e32 v10, 0x1000000, v3
	s_delay_alu instid0(VALU_DEP_3) | instskip(NEXT) | instid1(VALU_DEP_1)
	v_min_u32_e32 v8, 32, v8
	v_sub_nc_u32_e64 v8, v8, 4 clamp
	s_delay_alu instid0(VALU_DEP_1) | instskip(NEXT) | instid1(VALU_DEP_1)
	v_dual_lshlrev_b32 v9, v8, v3 :: v_dual_lshlrev_b32 v8, 23, v8
	v_lshrrev_b32_e32 v9, 4, v9
	s_delay_alu instid0(VALU_DEP_1) | instskip(NEXT) | instid1(VALU_DEP_1)
	v_dual_sub_nc_u32 v8, v9, v8 :: v_dual_ashrrev_i32 v9, 8, v10
	v_add_nc_u32_e32 v8, 0x3c000000, v8
	s_delay_alu instid0(VALU_DEP_1) | instskip(NEXT) | instid1(VALU_DEP_1)
	v_and_or_b32 v8, 0x7f800000, v9, v8
	v_cndmask_b32_e32 v3, 0, v8, vcc_lo
	s_delay_alu instid0(VALU_DEP_1) | instskip(NEXT) | instid1(VALU_DEP_1)
	v_and_or_b32 v2, 0x80000000, v2, v3
	v_cvt_f16_f32_e32 v8, v2
.LBB54_1479:
	s_mov_b32 s3, 0
.LBB54_1480:
	s_delay_alu instid0(SALU_CYCLE_1)
	s_and_not1_b32 vcc_lo, exec_lo, s3
	s_cbranch_vccnz .LBB54_1482
; %bb.1481:
	global_load_u8 v2, v[0:1], off
	s_wait_loadcnt 0x0
	v_lshlrev_b32_e32 v3, 25, v2
	v_lshlrev_b16 v2, 8, v2
	s_delay_alu instid0(VALU_DEP_1) | instskip(SKIP_1) | instid1(VALU_DEP_2)
	v_and_or_b32 v9, 0x7f00, v2, 0.5
	v_bfe_i32 v2, v2, 0, 16
	v_dual_add_f32 v9, -0.5, v9 :: v_dual_lshrrev_b32 v8, 4, v3
	v_cmp_gt_u32_e32 vcc_lo, 0x8000000, v3
	s_delay_alu instid0(VALU_DEP_2) | instskip(NEXT) | instid1(VALU_DEP_1)
	v_or_b32_e32 v8, 0x70000000, v8
	v_mul_f32_e32 v8, 0x7800000, v8
	s_delay_alu instid0(VALU_DEP_1) | instskip(NEXT) | instid1(VALU_DEP_1)
	v_cndmask_b32_e32 v3, v8, v9, vcc_lo
	v_and_or_b32 v2, 0x80000000, v2, v3
	s_delay_alu instid0(VALU_DEP_1)
	v_cvt_f16_f32_e32 v8, v2
.LBB54_1482:
	s_mov_b32 s3, 0
	s_mov_b32 s6, -1
.LBB54_1483:
	s_and_not1_b32 vcc_lo, exec_lo, s3
	s_mov_b32 s3, 0
	s_cbranch_vccnz .LBB54_1494
; %bb.1484:
	s_cmp_gt_i32 s0, 14
	s_cbranch_scc0 .LBB54_1487
; %bb.1485:
	s_cmp_eq_u32 s0, 15
	s_cbranch_scc0 .LBB54_1490
; %bb.1486:
	global_load_u16 v2, v[0:1], off
	s_mov_b32 s1, 0
	s_mov_b32 s6, -1
	s_wait_loadcnt 0x0
	v_lshlrev_b32_e32 v2, 16, v2
	s_delay_alu instid0(VALU_DEP_1)
	v_cvt_f16_f32_e32 v8, v2
	s_branch .LBB54_1492
.LBB54_1487:
	s_mov_b32 s3, -1
	s_branch .LBB54_1491
.LBB54_1488:
	s_or_saveexec_b32 s6, s6
	v_mov_b32_e32 v8, 0x7e00
	s_xor_b32 exec_lo, exec_lo, s6
	s_cbranch_execz .LBB54_1469
.LBB54_1489:
	v_cmp_ne_u16_e32 vcc_lo, 0, v2
	v_mov_b32_e32 v8, v2
	s_and_not1_b32 s3, s3, exec_lo
	s_and_b32 s7, vcc_lo, exec_lo
	s_delay_alu instid0(SALU_CYCLE_1)
	s_or_b32 s3, s3, s7
	s_or_b32 exec_lo, exec_lo, s6
	s_and_saveexec_b32 s6, s3
	s_cbranch_execnz .LBB54_1470
	s_branch .LBB54_1471
.LBB54_1490:
	s_mov_b32 s1, -1
.LBB54_1491:
                                        ; implicit-def: $vgpr8
.LBB54_1492:
	s_and_b32 vcc_lo, exec_lo, s3
	s_mov_b32 s3, 0
	s_cbranch_vccz .LBB54_1494
; %bb.1493:
	s_cmp_lg_u32 s0, 11
	s_mov_b32 s3, -1
	s_cselect_b32 s1, -1, 0
.LBB54_1494:
	s_delay_alu instid0(SALU_CYCLE_1)
	s_and_b32 vcc_lo, exec_lo, s1
	s_cbranch_vccnz .LBB54_2027
; %bb.1495:
	s_and_not1_b32 vcc_lo, exec_lo, s3
	s_cbranch_vccnz .LBB54_1497
.LBB54_1496:
	global_load_u8 v2, v[0:1], off
	s_mov_b32 s6, -1
	s_wait_loadcnt 0x0
	v_cmp_ne_u16_e32 vcc_lo, 0, v2
	v_cndmask_b32_e64 v8, 0, 0x3c00, vcc_lo
.LBB54_1497:
	s_mov_b32 s1, 0
.LBB54_1498:
	s_delay_alu instid0(SALU_CYCLE_1)
	s_and_b32 vcc_lo, exec_lo, s1
	s_cbranch_vccz .LBB54_1547
; %bb.1499:
	s_cmp_lt_i32 s0, 5
	s_cbranch_scc1 .LBB54_1504
; %bb.1500:
	s_cmp_lt_i32 s0, 8
	s_cbranch_scc1 .LBB54_1505
	;; [unrolled: 3-line block ×3, first 2 shown]
; %bb.1502:
	s_cmp_gt_i32 s0, 9
	s_cbranch_scc0 .LBB54_1507
; %bb.1503:
	global_load_b64 v[2:3], v[0:1], off
	s_mov_b32 s1, 0
	s_wait_loadcnt 0x0
	v_and_or_b32 v2, 0x1ff, v3, v2
	v_lshrrev_b32_e32 v8, 8, v3
	v_bfe_u32 v9, v3, 20, 11
	v_lshrrev_b32_e32 v3, 16, v3
	s_delay_alu instid0(VALU_DEP_4) | instskip(NEXT) | instid1(VALU_DEP_3)
	v_cmp_ne_u32_e32 vcc_lo, 0, v2
	v_sub_nc_u32_e32 v10, 0x3f1, v9
	v_add_nc_u32_e32 v9, 0xfffffc10, v9
	v_cndmask_b32_e64 v2, 0, 1, vcc_lo
	s_delay_alu instid0(VALU_DEP_1) | instskip(NEXT) | instid1(VALU_DEP_4)
	v_and_or_b32 v2, 0xffe, v8, v2
	v_med3_i32 v8, v10, 0, 13
	s_delay_alu instid0(VALU_DEP_2) | instskip(NEXT) | instid1(VALU_DEP_1)
	v_or_b32_e32 v10, 0x1000, v2
	v_lshrrev_b32_e32 v11, v8, v10
	s_delay_alu instid0(VALU_DEP_1) | instskip(NEXT) | instid1(VALU_DEP_1)
	v_lshlrev_b32_e32 v8, v8, v11
	v_cmp_ne_u32_e32 vcc_lo, v8, v10
	v_lshl_or_b32 v10, v9, 12, v2
	v_cndmask_b32_e64 v8, 0, 1, vcc_lo
	v_cmp_gt_i32_e32 vcc_lo, 1, v9
	s_delay_alu instid0(VALU_DEP_2) | instskip(NEXT) | instid1(VALU_DEP_1)
	v_or_b32_e32 v8, v11, v8
	v_cndmask_b32_e32 v8, v10, v8, vcc_lo
	s_delay_alu instid0(VALU_DEP_1) | instskip(NEXT) | instid1(VALU_DEP_1)
	v_dual_lshrrev_b32 v8, 2, v8 :: v_dual_bitop2_b32 v10, 7, v8 bitop3:0x40
	v_cmp_lt_i32_e32 vcc_lo, 5, v10
	v_cndmask_b32_e64 v11, 0, 1, vcc_lo
	v_cmp_eq_u32_e32 vcc_lo, 3, v10
	v_cndmask_b32_e64 v10, 0, 1, vcc_lo
	v_cmp_ne_u32_e32 vcc_lo, 0, v2
	s_delay_alu instid0(VALU_DEP_2) | instskip(NEXT) | instid1(VALU_DEP_1)
	v_or_b32_e32 v10, v10, v11
	v_dual_mov_b32 v11, 0x7e00 :: v_dual_add_nc_u32 v8, v8, v10
	s_delay_alu instid0(VALU_DEP_1) | instskip(SKIP_1) | instid1(VALU_DEP_3)
	v_cndmask_b32_e32 v2, 0x7c00, v11, vcc_lo
	v_cmp_gt_i32_e32 vcc_lo, 31, v9
	v_cndmask_b32_e32 v8, 0x7c00, v8, vcc_lo
	v_cmp_eq_u32_e32 vcc_lo, 0x40f, v9
	s_delay_alu instid0(VALU_DEP_2) | instskip(NEXT) | instid1(VALU_DEP_1)
	v_cndmask_b32_e32 v2, v8, v2, vcc_lo
	v_and_or_b32 v8, 0x8000, v3, v2
	s_branch .LBB54_1508
.LBB54_1504:
	s_mov_b32 s1, -1
                                        ; implicit-def: $vgpr8
	s_branch .LBB54_1526
.LBB54_1505:
	s_mov_b32 s1, -1
                                        ; implicit-def: $vgpr8
	s_branch .LBB54_1514
.LBB54_1506:
	s_mov_b32 s1, -1
                                        ; implicit-def: $vgpr8
	s_branch .LBB54_1511
.LBB54_1507:
	s_mov_b32 s1, -1
                                        ; implicit-def: $vgpr8
.LBB54_1508:
	s_delay_alu instid0(SALU_CYCLE_1)
	s_and_not1_b32 vcc_lo, exec_lo, s1
	s_cbranch_vccnz .LBB54_1510
; %bb.1509:
	global_load_b32 v2, v[0:1], off
	s_wait_loadcnt 0x0
	v_cvt_f16_f32_e32 v8, v2
.LBB54_1510:
	s_mov_b32 s1, 0
.LBB54_1511:
	s_delay_alu instid0(SALU_CYCLE_1)
	s_and_not1_b32 vcc_lo, exec_lo, s1
	s_cbranch_vccnz .LBB54_1513
; %bb.1512:
	global_load_b32 v8, v[0:1], off
.LBB54_1513:
	s_mov_b32 s1, 0
.LBB54_1514:
	s_delay_alu instid0(SALU_CYCLE_1)
	s_and_not1_b32 vcc_lo, exec_lo, s1
	s_cbranch_vccnz .LBB54_1525
; %bb.1515:
	s_cmp_lt_i32 s0, 6
	s_cbranch_scc1 .LBB54_1518
; %bb.1516:
	s_cmp_gt_i32 s0, 6
	s_cbranch_scc0 .LBB54_1519
; %bb.1517:
	global_load_b64 v[2:3], v[0:1], off
	s_mov_b32 s1, 0
	s_wait_loadcnt 0x0
	v_and_or_b32 v2, 0x1ff, v3, v2
	v_lshrrev_b32_e32 v8, 8, v3
	v_bfe_u32 v9, v3, 20, 11
	v_lshrrev_b32_e32 v3, 16, v3
	s_delay_alu instid0(VALU_DEP_4) | instskip(NEXT) | instid1(VALU_DEP_3)
	v_cmp_ne_u32_e32 vcc_lo, 0, v2
	v_sub_nc_u32_e32 v10, 0x3f1, v9
	v_add_nc_u32_e32 v9, 0xfffffc10, v9
	v_cndmask_b32_e64 v2, 0, 1, vcc_lo
	s_delay_alu instid0(VALU_DEP_1) | instskip(NEXT) | instid1(VALU_DEP_4)
	v_and_or_b32 v2, 0xffe, v8, v2
	v_med3_i32 v8, v10, 0, 13
	s_delay_alu instid0(VALU_DEP_2) | instskip(NEXT) | instid1(VALU_DEP_1)
	v_or_b32_e32 v10, 0x1000, v2
	v_lshrrev_b32_e32 v11, v8, v10
	s_delay_alu instid0(VALU_DEP_1) | instskip(NEXT) | instid1(VALU_DEP_1)
	v_lshlrev_b32_e32 v8, v8, v11
	v_cmp_ne_u32_e32 vcc_lo, v8, v10
	v_lshl_or_b32 v10, v9, 12, v2
	v_cndmask_b32_e64 v8, 0, 1, vcc_lo
	v_cmp_gt_i32_e32 vcc_lo, 1, v9
	s_delay_alu instid0(VALU_DEP_2) | instskip(NEXT) | instid1(VALU_DEP_1)
	v_or_b32_e32 v8, v11, v8
	v_cndmask_b32_e32 v8, v10, v8, vcc_lo
	s_delay_alu instid0(VALU_DEP_1) | instskip(NEXT) | instid1(VALU_DEP_1)
	v_dual_lshrrev_b32 v8, 2, v8 :: v_dual_bitop2_b32 v10, 7, v8 bitop3:0x40
	v_cmp_lt_i32_e32 vcc_lo, 5, v10
	v_cndmask_b32_e64 v11, 0, 1, vcc_lo
	v_cmp_eq_u32_e32 vcc_lo, 3, v10
	v_cndmask_b32_e64 v10, 0, 1, vcc_lo
	v_cmp_ne_u32_e32 vcc_lo, 0, v2
	s_delay_alu instid0(VALU_DEP_2) | instskip(NEXT) | instid1(VALU_DEP_1)
	v_or_b32_e32 v10, v10, v11
	v_dual_mov_b32 v11, 0x7e00 :: v_dual_add_nc_u32 v8, v8, v10
	s_delay_alu instid0(VALU_DEP_1) | instskip(SKIP_1) | instid1(VALU_DEP_3)
	v_cndmask_b32_e32 v2, 0x7c00, v11, vcc_lo
	v_cmp_gt_i32_e32 vcc_lo, 31, v9
	v_cndmask_b32_e32 v8, 0x7c00, v8, vcc_lo
	v_cmp_eq_u32_e32 vcc_lo, 0x40f, v9
	s_delay_alu instid0(VALU_DEP_2) | instskip(NEXT) | instid1(VALU_DEP_1)
	v_cndmask_b32_e32 v2, v8, v2, vcc_lo
	v_and_or_b32 v8, 0x8000, v3, v2
	s_branch .LBB54_1520
.LBB54_1518:
	s_mov_b32 s1, -1
                                        ; implicit-def: $vgpr8
	s_branch .LBB54_1523
.LBB54_1519:
	s_mov_b32 s1, -1
                                        ; implicit-def: $vgpr8
.LBB54_1520:
	s_delay_alu instid0(SALU_CYCLE_1)
	s_and_not1_b32 vcc_lo, exec_lo, s1
	s_cbranch_vccnz .LBB54_1522
; %bb.1521:
	global_load_b32 v2, v[0:1], off
	s_wait_loadcnt 0x0
	v_cvt_f16_f32_e32 v8, v2
.LBB54_1522:
	s_mov_b32 s1, 0
.LBB54_1523:
	s_delay_alu instid0(SALU_CYCLE_1)
	s_and_not1_b32 vcc_lo, exec_lo, s1
	s_cbranch_vccnz .LBB54_1525
; %bb.1524:
	s_wait_loadcnt 0x0
	global_load_u16 v8, v[0:1], off
.LBB54_1525:
	s_mov_b32 s1, 0
.LBB54_1526:
	s_delay_alu instid0(SALU_CYCLE_1)
	s_and_not1_b32 vcc_lo, exec_lo, s1
	s_cbranch_vccnz .LBB54_1546
; %bb.1527:
	s_cmp_lt_i32 s0, 2
	s_cbranch_scc1 .LBB54_1531
; %bb.1528:
	s_cmp_lt_i32 s0, 3
	s_cbranch_scc1 .LBB54_1532
; %bb.1529:
	s_cmp_gt_i32 s0, 3
	s_cbranch_scc0 .LBB54_1533
; %bb.1530:
	global_load_b64 v[2:3], v[0:1], off
	s_mov_b32 s1, 0
	s_wait_loadcnt 0x0
	v_xor_b32_e32 v8, v2, v3
	v_cls_i32_e32 v9, v3
	s_delay_alu instid0(VALU_DEP_2) | instskip(NEXT) | instid1(VALU_DEP_1)
	v_ashrrev_i32_e32 v8, 31, v8
	v_add_nc_u32_e32 v8, 32, v8
	s_delay_alu instid0(VALU_DEP_1) | instskip(NEXT) | instid1(VALU_DEP_1)
	v_add_min_u32_e64 v8, v9, -1, v8
	v_lshlrev_b64_e32 v[2:3], v8, v[2:3]
	s_delay_alu instid0(VALU_DEP_1) | instskip(NEXT) | instid1(VALU_DEP_1)
	v_min_u32_e32 v2, 1, v2
	v_dual_sub_nc_u32 v3, 32, v8 :: v_dual_bitop2_b32 v2, v3, v2 bitop3:0x54
	s_delay_alu instid0(VALU_DEP_1) | instskip(NEXT) | instid1(VALU_DEP_1)
	v_cvt_f32_i32_e32 v2, v2
	v_ldexp_f32 v2, v2, v3
	s_delay_alu instid0(VALU_DEP_1)
	v_cvt_f16_f32_e32 v8, v2
	s_branch .LBB54_1534
.LBB54_1531:
	s_mov_b32 s1, -1
                                        ; implicit-def: $vgpr8
	s_branch .LBB54_1540
.LBB54_1532:
	s_mov_b32 s1, -1
                                        ; implicit-def: $vgpr8
	s_branch .LBB54_1537
.LBB54_1533:
	s_mov_b32 s1, -1
                                        ; implicit-def: $vgpr8
.LBB54_1534:
	s_delay_alu instid0(SALU_CYCLE_1)
	s_and_not1_b32 vcc_lo, exec_lo, s1
	s_cbranch_vccnz .LBB54_1536
; %bb.1535:
	global_load_b32 v2, v[0:1], off
	s_wait_loadcnt 0x0
	v_cvt_f32_i32_e32 v2, v2
	s_delay_alu instid0(VALU_DEP_1)
	v_cvt_f16_f32_e32 v8, v2
.LBB54_1536:
	s_mov_b32 s1, 0
.LBB54_1537:
	s_delay_alu instid0(SALU_CYCLE_1)
	s_and_not1_b32 vcc_lo, exec_lo, s1
	s_cbranch_vccnz .LBB54_1539
; %bb.1538:
	global_load_u16 v2, v[0:1], off
	s_wait_loadcnt 0x0
	v_cvt_f16_i16_e32 v8, v2
.LBB54_1539:
	s_mov_b32 s1, 0
.LBB54_1540:
	s_delay_alu instid0(SALU_CYCLE_1)
	s_and_not1_b32 vcc_lo, exec_lo, s1
	s_cbranch_vccnz .LBB54_1546
; %bb.1541:
	s_cmp_gt_i32 s0, 0
	s_mov_b32 s0, 0
	s_cbranch_scc0 .LBB54_1543
; %bb.1542:
	global_load_i8 v2, v[0:1], off
	s_wait_loadcnt 0x0
	v_cvt_f16_i16_e32 v8, v2
	s_branch .LBB54_1544
.LBB54_1543:
	s_mov_b32 s0, -1
                                        ; implicit-def: $vgpr8
.LBB54_1544:
	s_delay_alu instid0(SALU_CYCLE_1)
	s_and_not1_b32 vcc_lo, exec_lo, s0
	s_cbranch_vccnz .LBB54_1546
; %bb.1545:
	global_load_u8 v0, v[0:1], off
	s_wait_loadcnt 0x0
	v_cvt_f16_u16_e32 v8, v0
.LBB54_1546:
	s_mov_b32 s6, -1
.LBB54_1547:
	s_delay_alu instid0(SALU_CYCLE_1)
	s_and_not1_b32 vcc_lo, exec_lo, s6
	s_cbranch_vccnz .LBB54_1981
; %bb.1548:
	s_wait_xcnt 0x0
	v_mul_lo_u32 v0, s2, v4
	s_wait_loadcnt 0x0
	v_cmp_eq_f16_e64 s0, 0x7c00, v5
	s_and_b32 s13, s8, 0xff
	s_delay_alu instid0(SALU_CYCLE_1) | instskip(SKIP_1) | instid1(VALU_DEP_1)
	s_cmp_lt_i32 s13, 11
	v_ashrrev_i32_e32 v1, 31, v0
	v_add_nc_u64_e32 v[2:3], s[4:5], v[0:1]
	s_cbranch_scc1 .LBB54_1626
; %bb.1549:
	s_and_b32 s3, 0xffff, s13
	s_mov_b32 s8, -1
	s_mov_b32 s6, 0
	s_cmp_gt_i32 s3, 25
	s_mov_b32 s7, 0
	s_mov_b32 s1, 0
	s_cbranch_scc0 .LBB54_1582
; %bb.1550:
	s_cmp_gt_i32 s3, 28
	s_cbranch_scc0 .LBB54_1565
; %bb.1551:
	s_cmp_gt_i32 s3, 43
	;; [unrolled: 3-line block ×3, first 2 shown]
	s_cbranch_scc0 .LBB54_1555
; %bb.1553:
	s_mov_b32 s1, -1
	s_mov_b32 s8, 0
	s_cmp_eq_u32 s3, 46
	s_cbranch_scc0 .LBB54_1555
; %bb.1554:
	v_cndmask_b32_e64 v1, 0, 1.0, s0
	s_mov_b32 s1, 0
	s_mov_b32 s7, -1
	s_delay_alu instid0(VALU_DEP_1) | instskip(NEXT) | instid1(VALU_DEP_1)
	v_bfe_u32 v4, v1, 16, 1
	v_add3_u32 v1, v1, v4, 0x7fff
	s_delay_alu instid0(VALU_DEP_1)
	v_lshrrev_b32_e32 v1, 16, v1
	global_store_b32 v[2:3], v1, off
.LBB54_1555:
	s_and_b32 vcc_lo, exec_lo, s8
	s_cbranch_vccz .LBB54_1560
; %bb.1556:
	s_cmp_eq_u32 s3, 44
	s_mov_b32 s1, -1
	s_cbranch_scc0 .LBB54_1560
; %bb.1557:
	v_cndmask_b32_e64 v5, 0, 1.0, s0
	s_mov_b32 s7, exec_lo
	s_wait_xcnt 0x0
	s_delay_alu instid0(VALU_DEP_1) | instskip(NEXT) | instid1(VALU_DEP_1)
	v_dual_mov_b32 v4, 0xff :: v_dual_lshrrev_b32 v1, 23, v5
	v_cmpx_ne_u32_e32 0xff, v1
; %bb.1558:
	v_and_b32_e32 v4, 0x400000, v5
	v_and_or_b32 v5, 0x3fffff, v5, v1
	s_delay_alu instid0(VALU_DEP_2) | instskip(NEXT) | instid1(VALU_DEP_2)
	v_cmp_ne_u32_e32 vcc_lo, 0, v4
	v_cmp_ne_u32_e64 s1, 0, v5
	s_and_b32 s1, vcc_lo, s1
	s_delay_alu instid0(SALU_CYCLE_1) | instskip(NEXT) | instid1(VALU_DEP_1)
	v_cndmask_b32_e64 v4, 0, 1, s1
	v_add_nc_u32_e32 v4, v1, v4
; %bb.1559:
	s_or_b32 exec_lo, exec_lo, s7
	s_mov_b32 s1, 0
	s_mov_b32 s7, -1
	global_store_b8 v[2:3], v4, off
.LBB54_1560:
	s_mov_b32 s8, 0
.LBB54_1561:
	s_delay_alu instid0(SALU_CYCLE_1)
	s_and_b32 vcc_lo, exec_lo, s8
	s_cbranch_vccz .LBB54_1564
; %bb.1562:
	s_cmp_eq_u32 s3, 29
	s_mov_b32 s1, -1
	s_cbranch_scc0 .LBB54_1564
; %bb.1563:
	s_mov_b32 s1, 0
	s_wait_xcnt 0x0
	v_cndmask_b32_e64 v4, 0, 1, s0
	v_mov_b32_e32 v5, s1
	s_mov_b32 s7, -1
	global_store_b64 v[2:3], v[4:5], off
.LBB54_1564:
	s_mov_b32 s8, 0
.LBB54_1565:
	s_delay_alu instid0(SALU_CYCLE_1)
	s_and_b32 vcc_lo, exec_lo, s8
	s_cbranch_vccz .LBB54_1581
; %bb.1566:
	s_cmp_lt_i32 s3, 27
	s_mov_b32 s7, -1
	s_cbranch_scc1 .LBB54_1572
; %bb.1567:
	s_cmp_gt_i32 s3, 27
	s_cbranch_scc0 .LBB54_1569
; %bb.1568:
	s_wait_xcnt 0x0
	v_cndmask_b32_e64 v1, 0, 1, s0
	s_mov_b32 s7, 0
	global_store_b32 v[2:3], v1, off
.LBB54_1569:
	s_and_not1_b32 vcc_lo, exec_lo, s7
	s_cbranch_vccnz .LBB54_1571
; %bb.1570:
	s_wait_xcnt 0x0
	v_cndmask_b32_e64 v1, 0, 1, s0
	global_store_b16 v[2:3], v1, off
.LBB54_1571:
	s_mov_b32 s7, 0
.LBB54_1572:
	s_delay_alu instid0(SALU_CYCLE_1)
	s_and_not1_b32 vcc_lo, exec_lo, s7
	s_cbranch_vccnz .LBB54_1580
; %bb.1573:
	s_wait_xcnt 0x0
	v_cndmask_b32_e64 v4, 0, 1.0, s0
	v_mov_b32_e32 v5, 0x80
	s_mov_b32 s7, exec_lo
	s_delay_alu instid0(VALU_DEP_2)
	v_cmpx_gt_u32_e32 0x43800000, v4
	s_cbranch_execz .LBB54_1579
; %bb.1574:
	s_mov_b32 s8, 0
	s_mov_b32 s10, exec_lo
                                        ; implicit-def: $vgpr1
	v_cmpx_lt_u32_e32 0x3bffffff, v4
	s_xor_b32 s10, exec_lo, s10
	s_cbranch_execz .LBB54_2028
; %bb.1575:
	v_bfe_u32 v1, v4, 20, 1
	s_mov_b32 s8, exec_lo
	s_delay_alu instid0(VALU_DEP_1) | instskip(NEXT) | instid1(VALU_DEP_1)
	v_add3_u32 v1, v4, v1, 0x487ffff
                                        ; implicit-def: $vgpr4
	v_lshrrev_b32_e32 v1, 20, v1
	s_and_not1_saveexec_b32 s10, s10
	s_cbranch_execnz .LBB54_2029
.LBB54_1576:
	s_or_b32 exec_lo, exec_lo, s10
	v_mov_b32_e32 v5, 0
	s_and_saveexec_b32 s10, s8
.LBB54_1577:
	v_mov_b32_e32 v5, v1
.LBB54_1578:
	s_or_b32 exec_lo, exec_lo, s10
.LBB54_1579:
	s_delay_alu instid0(SALU_CYCLE_1)
	s_or_b32 exec_lo, exec_lo, s7
	global_store_b8 v[2:3], v5, off
.LBB54_1580:
	s_mov_b32 s7, -1
.LBB54_1581:
	s_mov_b32 s8, 0
.LBB54_1582:
	s_delay_alu instid0(SALU_CYCLE_1)
	s_and_b32 vcc_lo, exec_lo, s8
	s_cbranch_vccz .LBB54_1622
; %bb.1583:
	s_cmp_gt_i32 s3, 22
	s_mov_b32 s6, -1
	s_cbranch_scc0 .LBB54_1615
; %bb.1584:
	s_cmp_lt_i32 s3, 24
	s_cbranch_scc1 .LBB54_1604
; %bb.1585:
	s_cmp_gt_i32 s3, 24
	s_cbranch_scc0 .LBB54_1593
; %bb.1586:
	s_wait_xcnt 0x0
	v_cndmask_b32_e64 v4, 0, 1.0, s0
	v_mov_b32_e32 v5, 0x80
	s_mov_b32 s6, exec_lo
	s_delay_alu instid0(VALU_DEP_2)
	v_cmpx_gt_u32_e32 0x47800000, v4
	s_cbranch_execz .LBB54_1592
; %bb.1587:
	s_mov_b32 s7, 0
	s_mov_b32 s8, exec_lo
                                        ; implicit-def: $vgpr1
	v_cmpx_lt_u32_e32 0x37ffffff, v4
	s_xor_b32 s8, exec_lo, s8
	s_cbranch_execz .LBB54_2031
; %bb.1588:
	v_bfe_u32 v1, v4, 21, 1
	s_mov_b32 s7, exec_lo
	s_delay_alu instid0(VALU_DEP_1) | instskip(NEXT) | instid1(VALU_DEP_1)
	v_add3_u32 v1, v4, v1, 0x88fffff
                                        ; implicit-def: $vgpr4
	v_lshrrev_b32_e32 v1, 21, v1
	s_and_not1_saveexec_b32 s8, s8
	s_cbranch_execnz .LBB54_2032
.LBB54_1589:
	s_or_b32 exec_lo, exec_lo, s8
	v_mov_b32_e32 v5, 0
	s_and_saveexec_b32 s8, s7
.LBB54_1590:
	v_mov_b32_e32 v5, v1
.LBB54_1591:
	s_or_b32 exec_lo, exec_lo, s8
.LBB54_1592:
	s_delay_alu instid0(SALU_CYCLE_1)
	s_or_b32 exec_lo, exec_lo, s6
	s_mov_b32 s6, 0
	global_store_b8 v[2:3], v5, off
.LBB54_1593:
	s_and_b32 vcc_lo, exec_lo, s6
	s_cbranch_vccz .LBB54_1603
; %bb.1594:
	s_wait_xcnt 0x0
	v_cndmask_b32_e64 v4, 0, 1.0, s0
	s_mov_b32 s6, exec_lo
                                        ; implicit-def: $vgpr1
	s_delay_alu instid0(VALU_DEP_1)
	v_cmpx_gt_u32_e32 0x43f00000, v4
	s_xor_b32 s6, exec_lo, s6
	s_cbranch_execz .LBB54_1600
; %bb.1595:
	s_mov_b32 s7, exec_lo
                                        ; implicit-def: $vgpr1
	v_cmpx_lt_u32_e32 0x3c7fffff, v4
	s_xor_b32 s7, exec_lo, s7
; %bb.1596:
	v_bfe_u32 v1, v4, 20, 1
	s_delay_alu instid0(VALU_DEP_1) | instskip(NEXT) | instid1(VALU_DEP_1)
	v_add3_u32 v1, v4, v1, 0x407ffff
	v_and_b32_e32 v4, 0xff00000, v1
	v_lshrrev_b32_e32 v1, 20, v1
	s_delay_alu instid0(VALU_DEP_2) | instskip(NEXT) | instid1(VALU_DEP_2)
	v_cmp_ne_u32_e32 vcc_lo, 0x7f00000, v4
                                        ; implicit-def: $vgpr4
	v_cndmask_b32_e32 v1, 0x7e, v1, vcc_lo
; %bb.1597:
	s_and_not1_saveexec_b32 s7, s7
; %bb.1598:
	v_add_f32_e32 v1, 0x46800000, v4
; %bb.1599:
	s_or_b32 exec_lo, exec_lo, s7
                                        ; implicit-def: $vgpr4
.LBB54_1600:
	s_and_not1_saveexec_b32 s6, s6
; %bb.1601:
	v_mov_b32_e32 v1, 0x7f
	v_cmp_lt_u32_e32 vcc_lo, 0x7f800000, v4
	s_delay_alu instid0(VALU_DEP_2)
	v_cndmask_b32_e32 v1, 0x7e, v1, vcc_lo
; %bb.1602:
	s_or_b32 exec_lo, exec_lo, s6
	global_store_b8 v[2:3], v1, off
.LBB54_1603:
	s_mov_b32 s6, 0
.LBB54_1604:
	s_delay_alu instid0(SALU_CYCLE_1)
	s_and_not1_b32 vcc_lo, exec_lo, s6
	s_cbranch_vccnz .LBB54_1614
; %bb.1605:
	s_wait_xcnt 0x0
	v_cndmask_b32_e64 v4, 0, 1.0, s0
	s_mov_b32 s6, exec_lo
                                        ; implicit-def: $vgpr1
	s_delay_alu instid0(VALU_DEP_1)
	v_cmpx_gt_u32_e32 0x47800000, v4
	s_xor_b32 s6, exec_lo, s6
	s_cbranch_execz .LBB54_1611
; %bb.1606:
	s_mov_b32 s7, exec_lo
                                        ; implicit-def: $vgpr1
	v_cmpx_lt_u32_e32 0x387fffff, v4
	s_xor_b32 s7, exec_lo, s7
; %bb.1607:
	v_bfe_u32 v1, v4, 21, 1
	s_delay_alu instid0(VALU_DEP_1) | instskip(NEXT) | instid1(VALU_DEP_1)
	v_add3_u32 v1, v4, v1, 0x80fffff
                                        ; implicit-def: $vgpr4
	v_lshrrev_b32_e32 v1, 21, v1
; %bb.1608:
	s_and_not1_saveexec_b32 s7, s7
; %bb.1609:
	v_add_f32_e32 v1, 0x43000000, v4
; %bb.1610:
	s_or_b32 exec_lo, exec_lo, s7
                                        ; implicit-def: $vgpr4
.LBB54_1611:
	s_and_not1_saveexec_b32 s6, s6
; %bb.1612:
	v_mov_b32_e32 v1, 0x7f
	v_cmp_lt_u32_e32 vcc_lo, 0x7f800000, v4
	s_delay_alu instid0(VALU_DEP_2)
	v_cndmask_b32_e32 v1, 0x7c, v1, vcc_lo
; %bb.1613:
	s_or_b32 exec_lo, exec_lo, s6
	global_store_b8 v[2:3], v1, off
.LBB54_1614:
	s_mov_b32 s6, 0
	s_mov_b32 s7, -1
.LBB54_1615:
	s_and_not1_b32 vcc_lo, exec_lo, s6
	s_mov_b32 s6, 0
	s_cbranch_vccnz .LBB54_1622
; %bb.1616:
	s_cmp_gt_i32 s3, 14
	s_mov_b32 s6, -1
	s_cbranch_scc0 .LBB54_1620
; %bb.1617:
	s_cmp_eq_u32 s3, 15
	s_mov_b32 s1, -1
	s_cbranch_scc0 .LBB54_1619
; %bb.1618:
	s_wait_xcnt 0x0
	v_cndmask_b32_e64 v1, 0, 1.0, s0
	s_mov_b32 s1, 0
	s_mov_b32 s7, -1
	s_delay_alu instid0(VALU_DEP_1) | instskip(NEXT) | instid1(VALU_DEP_1)
	v_bfe_u32 v4, v1, 16, 1
	v_add3_u32 v1, v1, v4, 0x7fff
	global_store_d16_hi_b16 v[2:3], v1, off
.LBB54_1619:
	s_mov_b32 s6, 0
.LBB54_1620:
	s_delay_alu instid0(SALU_CYCLE_1)
	s_and_b32 vcc_lo, exec_lo, s6
	s_mov_b32 s6, 0
	s_cbranch_vccz .LBB54_1622
; %bb.1621:
	s_cmp_lg_u32 s3, 11
	s_mov_b32 s6, -1
	s_cselect_b32 s1, -1, 0
.LBB54_1622:
	s_delay_alu instid0(SALU_CYCLE_1)
	s_and_b32 vcc_lo, exec_lo, s1
	s_cbranch_vccnz .LBB54_2030
; %bb.1623:
	s_and_not1_b32 vcc_lo, exec_lo, s6
	s_cbranch_vccnz .LBB54_1625
.LBB54_1624:
	s_wait_xcnt 0x0
	v_cndmask_b32_e64 v1, 0, 1, s0
	s_mov_b32 s7, -1
	global_store_b8 v[2:3], v1, off
.LBB54_1625:
	s_mov_b32 s1, 0
	s_branch .LBB54_1627
.LBB54_1626:
	s_mov_b32 s1, -1
	s_mov_b32 s7, 0
.LBB54_1627:
	s_and_b32 vcc_lo, exec_lo, s1
	s_cbranch_vccz .LBB54_1666
; %bb.1628:
	s_and_b32 s1, 0xffff, s13
	s_mov_b32 s3, -1
	s_cmp_lt_i32 s1, 5
	s_cbranch_scc1 .LBB54_1649
; %bb.1629:
	s_cmp_lt_i32 s1, 8
	s_cbranch_scc1 .LBB54_1639
; %bb.1630:
	s_cmp_lt_i32 s1, 9
	s_cbranch_scc1 .LBB54_1636
; %bb.1631:
	s_cmp_gt_i32 s1, 9
	s_cbranch_scc0 .LBB54_1633
; %bb.1632:
	s_wait_xcnt 0x0
	v_cndmask_b32_e64 v1, 0, 1, s0
	v_mov_b32_e32 v12, 0
	s_mov_b32 s3, 0
	s_delay_alu instid0(VALU_DEP_2) | instskip(NEXT) | instid1(VALU_DEP_2)
	v_cvt_f64_u32_e32 v[10:11], v1
	v_mov_b32_e32 v13, v12
	global_store_b128 v[2:3], v[10:13], off
.LBB54_1633:
	s_and_not1_b32 vcc_lo, exec_lo, s3
	s_cbranch_vccnz .LBB54_1635
; %bb.1634:
	s_wait_xcnt 0x0
	v_cndmask_b32_e64 v4, 0, 1.0, s0
	v_mov_b32_e32 v5, 0
	global_store_b64 v[2:3], v[4:5], off
.LBB54_1635:
	s_mov_b32 s3, 0
.LBB54_1636:
	s_delay_alu instid0(SALU_CYCLE_1)
	s_and_not1_b32 vcc_lo, exec_lo, s3
	s_cbranch_vccnz .LBB54_1638
; %bb.1637:
	s_wait_xcnt 0x0
	v_cndmask_b32_e64 v1, 0, 1.0, s0
	s_delay_alu instid0(VALU_DEP_1) | instskip(NEXT) | instid1(VALU_DEP_1)
	v_cvt_f16_f32_e32 v1, v1
	v_and_b32_e32 v1, 0xffff, v1
	global_store_b32 v[2:3], v1, off
.LBB54_1638:
	s_mov_b32 s3, 0
.LBB54_1639:
	s_delay_alu instid0(SALU_CYCLE_1)
	s_and_not1_b32 vcc_lo, exec_lo, s3
	s_cbranch_vccnz .LBB54_1648
; %bb.1640:
	s_cmp_lt_i32 s1, 6
	s_mov_b32 s3, -1
	s_cbranch_scc1 .LBB54_1646
; %bb.1641:
	s_cmp_gt_i32 s1, 6
	s_cbranch_scc0 .LBB54_1643
; %bb.1642:
	s_wait_xcnt 0x0
	v_cndmask_b32_e64 v1, 0, 1, s0
	s_mov_b32 s3, 0
	s_delay_alu instid0(VALU_DEP_1)
	v_cvt_f64_u32_e32 v[4:5], v1
	global_store_b64 v[2:3], v[4:5], off
.LBB54_1643:
	s_and_not1_b32 vcc_lo, exec_lo, s3
	s_cbranch_vccnz .LBB54_1645
; %bb.1644:
	s_wait_xcnt 0x0
	v_cndmask_b32_e64 v1, 0, 1.0, s0
	global_store_b32 v[2:3], v1, off
.LBB54_1645:
	s_mov_b32 s3, 0
.LBB54_1646:
	s_delay_alu instid0(SALU_CYCLE_1)
	s_and_not1_b32 vcc_lo, exec_lo, s3
	s_cbranch_vccnz .LBB54_1648
; %bb.1647:
	s_wait_xcnt 0x0
	v_cndmask_b32_e64 v1, 0, 1.0, s0
	s_delay_alu instid0(VALU_DEP_1)
	v_cvt_f16_f32_e32 v1, v1
	global_store_b16 v[2:3], v1, off
.LBB54_1648:
	s_mov_b32 s3, 0
.LBB54_1649:
	s_delay_alu instid0(SALU_CYCLE_1)
	s_and_not1_b32 vcc_lo, exec_lo, s3
	s_cbranch_vccnz .LBB54_1665
; %bb.1650:
	s_cmp_lt_i32 s1, 2
	s_mov_b32 s3, -1
	s_cbranch_scc1 .LBB54_1660
; %bb.1651:
	s_cmp_lt_i32 s1, 3
	s_cbranch_scc1 .LBB54_1657
; %bb.1652:
	s_cmp_gt_i32 s1, 3
	s_cbranch_scc0 .LBB54_1654
; %bb.1653:
	s_mov_b32 s3, 0
	s_wait_xcnt 0x0
	v_cndmask_b32_e64 v4, 0, 1, s0
	v_mov_b32_e32 v5, s3
	global_store_b64 v[2:3], v[4:5], off
.LBB54_1654:
	s_and_not1_b32 vcc_lo, exec_lo, s3
	s_cbranch_vccnz .LBB54_1656
; %bb.1655:
	s_wait_xcnt 0x0
	v_cndmask_b32_e64 v1, 0, 1, s0
	global_store_b32 v[2:3], v1, off
.LBB54_1656:
	s_mov_b32 s3, 0
.LBB54_1657:
	s_delay_alu instid0(SALU_CYCLE_1)
	s_and_not1_b32 vcc_lo, exec_lo, s3
	s_cbranch_vccnz .LBB54_1659
; %bb.1658:
	s_wait_xcnt 0x0
	v_cndmask_b32_e64 v1, 0, 1, s0
	global_store_b16 v[2:3], v1, off
.LBB54_1659:
	s_mov_b32 s3, 0
.LBB54_1660:
	s_delay_alu instid0(SALU_CYCLE_1)
	s_and_not1_b32 vcc_lo, exec_lo, s3
	s_cbranch_vccnz .LBB54_1665
; %bb.1661:
	s_wait_xcnt 0x0
	v_cndmask_b32_e64 v1, 0, 1, s0
	s_cmp_gt_i32 s1, 0
	s_mov_b32 s0, -1
	s_cbranch_scc0 .LBB54_1663
; %bb.1662:
	s_mov_b32 s0, 0
	global_store_b8 v[2:3], v1, off
.LBB54_1663:
	s_and_not1_b32 vcc_lo, exec_lo, s0
	s_cbranch_vccnz .LBB54_1665
; %bb.1664:
	global_store_b8 v[2:3], v1, off
.LBB54_1665:
	s_mov_b32 s7, -1
.LBB54_1666:
	s_delay_alu instid0(SALU_CYCLE_1)
	s_and_not1_b32 vcc_lo, exec_lo, s7
	s_cbranch_vccnz .LBB54_1981
; %bb.1667:
	s_lshl_b32 s2, s2, 7
	v_cmp_eq_f16_e64 s0, 0x7c00, v6
	v_add_nc_u32_e32 v0, s2, v0
	s_cmp_lt_i32 s13, 11
	s_wait_xcnt 0x0
	s_delay_alu instid0(VALU_DEP_1) | instskip(NEXT) | instid1(VALU_DEP_1)
	v_ashrrev_i32_e32 v1, 31, v0
	v_add_nc_u64_e32 v[2:3], s[4:5], v[0:1]
	s_cbranch_scc1 .LBB54_1745
; %bb.1668:
	s_and_b32 s3, 0xffff, s13
	s_mov_b32 s8, -1
	s_mov_b32 s6, 0
	s_cmp_gt_i32 s3, 25
	s_mov_b32 s7, 0
	s_mov_b32 s1, 0
	s_cbranch_scc0 .LBB54_1701
; %bb.1669:
	s_cmp_gt_i32 s3, 28
	s_cbranch_scc0 .LBB54_1684
; %bb.1670:
	s_cmp_gt_i32 s3, 43
	;; [unrolled: 3-line block ×3, first 2 shown]
	s_cbranch_scc0 .LBB54_1674
; %bb.1672:
	s_mov_b32 s1, -1
	s_mov_b32 s8, 0
	s_cmp_eq_u32 s3, 46
	s_cbranch_scc0 .LBB54_1674
; %bb.1673:
	v_cndmask_b32_e64 v1, 0, 1.0, s0
	s_mov_b32 s1, 0
	s_mov_b32 s7, -1
	s_delay_alu instid0(VALU_DEP_1) | instskip(NEXT) | instid1(VALU_DEP_1)
	v_bfe_u32 v4, v1, 16, 1
	v_add3_u32 v1, v1, v4, 0x7fff
	s_delay_alu instid0(VALU_DEP_1)
	v_lshrrev_b32_e32 v1, 16, v1
	global_store_b32 v[2:3], v1, off
.LBB54_1674:
	s_and_b32 vcc_lo, exec_lo, s8
	s_cbranch_vccz .LBB54_1679
; %bb.1675:
	s_cmp_eq_u32 s3, 44
	s_mov_b32 s1, -1
	s_cbranch_scc0 .LBB54_1679
; %bb.1676:
	v_cndmask_b32_e64 v5, 0, 1.0, s0
	s_mov_b32 s7, exec_lo
	s_wait_xcnt 0x0
	s_delay_alu instid0(VALU_DEP_1) | instskip(NEXT) | instid1(VALU_DEP_1)
	v_dual_mov_b32 v4, 0xff :: v_dual_lshrrev_b32 v1, 23, v5
	v_cmpx_ne_u32_e32 0xff, v1
; %bb.1677:
	v_and_b32_e32 v4, 0x400000, v5
	v_and_or_b32 v5, 0x3fffff, v5, v1
	s_delay_alu instid0(VALU_DEP_2) | instskip(NEXT) | instid1(VALU_DEP_2)
	v_cmp_ne_u32_e32 vcc_lo, 0, v4
	v_cmp_ne_u32_e64 s1, 0, v5
	s_and_b32 s1, vcc_lo, s1
	s_delay_alu instid0(SALU_CYCLE_1) | instskip(NEXT) | instid1(VALU_DEP_1)
	v_cndmask_b32_e64 v4, 0, 1, s1
	v_add_nc_u32_e32 v4, v1, v4
; %bb.1678:
	s_or_b32 exec_lo, exec_lo, s7
	s_mov_b32 s1, 0
	s_mov_b32 s7, -1
	global_store_b8 v[2:3], v4, off
.LBB54_1679:
	s_mov_b32 s8, 0
.LBB54_1680:
	s_delay_alu instid0(SALU_CYCLE_1)
	s_and_b32 vcc_lo, exec_lo, s8
	s_cbranch_vccz .LBB54_1683
; %bb.1681:
	s_cmp_eq_u32 s3, 29
	s_mov_b32 s1, -1
	s_cbranch_scc0 .LBB54_1683
; %bb.1682:
	s_mov_b32 s1, 0
	s_wait_xcnt 0x0
	v_cndmask_b32_e64 v4, 0, 1, s0
	v_mov_b32_e32 v5, s1
	s_mov_b32 s7, -1
	global_store_b64 v[2:3], v[4:5], off
.LBB54_1683:
	s_mov_b32 s8, 0
.LBB54_1684:
	s_delay_alu instid0(SALU_CYCLE_1)
	s_and_b32 vcc_lo, exec_lo, s8
	s_cbranch_vccz .LBB54_1700
; %bb.1685:
	s_cmp_lt_i32 s3, 27
	s_mov_b32 s7, -1
	s_cbranch_scc1 .LBB54_1691
; %bb.1686:
	s_cmp_gt_i32 s3, 27
	s_cbranch_scc0 .LBB54_1688
; %bb.1687:
	s_wait_xcnt 0x0
	v_cndmask_b32_e64 v1, 0, 1, s0
	s_mov_b32 s7, 0
	global_store_b32 v[2:3], v1, off
.LBB54_1688:
	s_and_not1_b32 vcc_lo, exec_lo, s7
	s_cbranch_vccnz .LBB54_1690
; %bb.1689:
	s_wait_xcnt 0x0
	v_cndmask_b32_e64 v1, 0, 1, s0
	global_store_b16 v[2:3], v1, off
.LBB54_1690:
	s_mov_b32 s7, 0
.LBB54_1691:
	s_delay_alu instid0(SALU_CYCLE_1)
	s_and_not1_b32 vcc_lo, exec_lo, s7
	s_cbranch_vccnz .LBB54_1699
; %bb.1692:
	s_wait_xcnt 0x0
	v_cndmask_b32_e64 v4, 0, 1.0, s0
	v_mov_b32_e32 v5, 0x80
	s_mov_b32 s7, exec_lo
	s_delay_alu instid0(VALU_DEP_2)
	v_cmpx_gt_u32_e32 0x43800000, v4
	s_cbranch_execz .LBB54_1698
; %bb.1693:
	s_mov_b32 s8, 0
	s_mov_b32 s10, exec_lo
                                        ; implicit-def: $vgpr1
	v_cmpx_lt_u32_e32 0x3bffffff, v4
	s_xor_b32 s10, exec_lo, s10
	s_cbranch_execz .LBB54_2033
; %bb.1694:
	v_bfe_u32 v1, v4, 20, 1
	s_mov_b32 s8, exec_lo
	s_delay_alu instid0(VALU_DEP_1) | instskip(NEXT) | instid1(VALU_DEP_1)
	v_add3_u32 v1, v4, v1, 0x487ffff
                                        ; implicit-def: $vgpr4
	v_lshrrev_b32_e32 v1, 20, v1
	s_and_not1_saveexec_b32 s10, s10
	s_cbranch_execnz .LBB54_2034
.LBB54_1695:
	s_or_b32 exec_lo, exec_lo, s10
	v_mov_b32_e32 v5, 0
	s_and_saveexec_b32 s10, s8
.LBB54_1696:
	v_mov_b32_e32 v5, v1
.LBB54_1697:
	s_or_b32 exec_lo, exec_lo, s10
.LBB54_1698:
	s_delay_alu instid0(SALU_CYCLE_1)
	s_or_b32 exec_lo, exec_lo, s7
	global_store_b8 v[2:3], v5, off
.LBB54_1699:
	s_mov_b32 s7, -1
.LBB54_1700:
	s_mov_b32 s8, 0
.LBB54_1701:
	s_delay_alu instid0(SALU_CYCLE_1)
	s_and_b32 vcc_lo, exec_lo, s8
	s_cbranch_vccz .LBB54_1741
; %bb.1702:
	s_cmp_gt_i32 s3, 22
	s_mov_b32 s6, -1
	s_cbranch_scc0 .LBB54_1734
; %bb.1703:
	s_cmp_lt_i32 s3, 24
	s_cbranch_scc1 .LBB54_1723
; %bb.1704:
	s_cmp_gt_i32 s3, 24
	s_cbranch_scc0 .LBB54_1712
; %bb.1705:
	s_wait_xcnt 0x0
	v_cndmask_b32_e64 v4, 0, 1.0, s0
	v_mov_b32_e32 v5, 0x80
	s_mov_b32 s6, exec_lo
	s_delay_alu instid0(VALU_DEP_2)
	v_cmpx_gt_u32_e32 0x47800000, v4
	s_cbranch_execz .LBB54_1711
; %bb.1706:
	s_mov_b32 s7, 0
	s_mov_b32 s8, exec_lo
                                        ; implicit-def: $vgpr1
	v_cmpx_lt_u32_e32 0x37ffffff, v4
	s_xor_b32 s8, exec_lo, s8
	s_cbranch_execz .LBB54_2036
; %bb.1707:
	v_bfe_u32 v1, v4, 21, 1
	s_mov_b32 s7, exec_lo
	s_delay_alu instid0(VALU_DEP_1) | instskip(NEXT) | instid1(VALU_DEP_1)
	v_add3_u32 v1, v4, v1, 0x88fffff
                                        ; implicit-def: $vgpr4
	v_lshrrev_b32_e32 v1, 21, v1
	s_and_not1_saveexec_b32 s8, s8
	s_cbranch_execnz .LBB54_2037
.LBB54_1708:
	s_or_b32 exec_lo, exec_lo, s8
	v_mov_b32_e32 v5, 0
	s_and_saveexec_b32 s8, s7
.LBB54_1709:
	v_mov_b32_e32 v5, v1
.LBB54_1710:
	s_or_b32 exec_lo, exec_lo, s8
.LBB54_1711:
	s_delay_alu instid0(SALU_CYCLE_1)
	s_or_b32 exec_lo, exec_lo, s6
	s_mov_b32 s6, 0
	global_store_b8 v[2:3], v5, off
.LBB54_1712:
	s_and_b32 vcc_lo, exec_lo, s6
	s_cbranch_vccz .LBB54_1722
; %bb.1713:
	s_wait_xcnt 0x0
	v_cndmask_b32_e64 v4, 0, 1.0, s0
	s_mov_b32 s6, exec_lo
                                        ; implicit-def: $vgpr1
	s_delay_alu instid0(VALU_DEP_1)
	v_cmpx_gt_u32_e32 0x43f00000, v4
	s_xor_b32 s6, exec_lo, s6
	s_cbranch_execz .LBB54_1719
; %bb.1714:
	s_mov_b32 s7, exec_lo
                                        ; implicit-def: $vgpr1
	v_cmpx_lt_u32_e32 0x3c7fffff, v4
	s_xor_b32 s7, exec_lo, s7
; %bb.1715:
	v_bfe_u32 v1, v4, 20, 1
	s_delay_alu instid0(VALU_DEP_1) | instskip(NEXT) | instid1(VALU_DEP_1)
	v_add3_u32 v1, v4, v1, 0x407ffff
	v_and_b32_e32 v4, 0xff00000, v1
	v_lshrrev_b32_e32 v1, 20, v1
	s_delay_alu instid0(VALU_DEP_2) | instskip(NEXT) | instid1(VALU_DEP_2)
	v_cmp_ne_u32_e32 vcc_lo, 0x7f00000, v4
                                        ; implicit-def: $vgpr4
	v_cndmask_b32_e32 v1, 0x7e, v1, vcc_lo
; %bb.1716:
	s_and_not1_saveexec_b32 s7, s7
; %bb.1717:
	v_add_f32_e32 v1, 0x46800000, v4
; %bb.1718:
	s_or_b32 exec_lo, exec_lo, s7
                                        ; implicit-def: $vgpr4
.LBB54_1719:
	s_and_not1_saveexec_b32 s6, s6
; %bb.1720:
	v_mov_b32_e32 v1, 0x7f
	v_cmp_lt_u32_e32 vcc_lo, 0x7f800000, v4
	s_delay_alu instid0(VALU_DEP_2)
	v_cndmask_b32_e32 v1, 0x7e, v1, vcc_lo
; %bb.1721:
	s_or_b32 exec_lo, exec_lo, s6
	global_store_b8 v[2:3], v1, off
.LBB54_1722:
	s_mov_b32 s6, 0
.LBB54_1723:
	s_delay_alu instid0(SALU_CYCLE_1)
	s_and_not1_b32 vcc_lo, exec_lo, s6
	s_cbranch_vccnz .LBB54_1733
; %bb.1724:
	s_wait_xcnt 0x0
	v_cndmask_b32_e64 v4, 0, 1.0, s0
	s_mov_b32 s6, exec_lo
                                        ; implicit-def: $vgpr1
	s_delay_alu instid0(VALU_DEP_1)
	v_cmpx_gt_u32_e32 0x47800000, v4
	s_xor_b32 s6, exec_lo, s6
	s_cbranch_execz .LBB54_1730
; %bb.1725:
	s_mov_b32 s7, exec_lo
                                        ; implicit-def: $vgpr1
	v_cmpx_lt_u32_e32 0x387fffff, v4
	s_xor_b32 s7, exec_lo, s7
; %bb.1726:
	v_bfe_u32 v1, v4, 21, 1
	s_delay_alu instid0(VALU_DEP_1) | instskip(NEXT) | instid1(VALU_DEP_1)
	v_add3_u32 v1, v4, v1, 0x80fffff
                                        ; implicit-def: $vgpr4
	v_lshrrev_b32_e32 v1, 21, v1
; %bb.1727:
	s_and_not1_saveexec_b32 s7, s7
; %bb.1728:
	v_add_f32_e32 v1, 0x43000000, v4
; %bb.1729:
	s_or_b32 exec_lo, exec_lo, s7
                                        ; implicit-def: $vgpr4
.LBB54_1730:
	s_and_not1_saveexec_b32 s6, s6
; %bb.1731:
	v_mov_b32_e32 v1, 0x7f
	v_cmp_lt_u32_e32 vcc_lo, 0x7f800000, v4
	s_delay_alu instid0(VALU_DEP_2)
	v_cndmask_b32_e32 v1, 0x7c, v1, vcc_lo
; %bb.1732:
	s_or_b32 exec_lo, exec_lo, s6
	global_store_b8 v[2:3], v1, off
.LBB54_1733:
	s_mov_b32 s6, 0
	s_mov_b32 s7, -1
.LBB54_1734:
	s_and_not1_b32 vcc_lo, exec_lo, s6
	s_mov_b32 s6, 0
	s_cbranch_vccnz .LBB54_1741
; %bb.1735:
	s_cmp_gt_i32 s3, 14
	s_mov_b32 s6, -1
	s_cbranch_scc0 .LBB54_1739
; %bb.1736:
	s_cmp_eq_u32 s3, 15
	s_mov_b32 s1, -1
	s_cbranch_scc0 .LBB54_1738
; %bb.1737:
	s_wait_xcnt 0x0
	v_cndmask_b32_e64 v1, 0, 1.0, s0
	s_mov_b32 s1, 0
	s_mov_b32 s7, -1
	s_delay_alu instid0(VALU_DEP_1) | instskip(NEXT) | instid1(VALU_DEP_1)
	v_bfe_u32 v4, v1, 16, 1
	v_add3_u32 v1, v1, v4, 0x7fff
	global_store_d16_hi_b16 v[2:3], v1, off
.LBB54_1738:
	s_mov_b32 s6, 0
.LBB54_1739:
	s_delay_alu instid0(SALU_CYCLE_1)
	s_and_b32 vcc_lo, exec_lo, s6
	s_mov_b32 s6, 0
	s_cbranch_vccz .LBB54_1741
; %bb.1740:
	s_cmp_lg_u32 s3, 11
	s_mov_b32 s6, -1
	s_cselect_b32 s1, -1, 0
.LBB54_1741:
	s_delay_alu instid0(SALU_CYCLE_1)
	s_and_b32 vcc_lo, exec_lo, s1
	s_cbranch_vccnz .LBB54_2035
; %bb.1742:
	s_and_not1_b32 vcc_lo, exec_lo, s6
	s_cbranch_vccnz .LBB54_1744
.LBB54_1743:
	s_wait_xcnt 0x0
	v_cndmask_b32_e64 v1, 0, 1, s0
	s_mov_b32 s7, -1
	global_store_b8 v[2:3], v1, off
.LBB54_1744:
	s_mov_b32 s1, 0
	s_branch .LBB54_1746
.LBB54_1745:
	s_mov_b32 s1, -1
	s_mov_b32 s7, 0
.LBB54_1746:
	s_and_b32 vcc_lo, exec_lo, s1
	s_cbranch_vccz .LBB54_1785
; %bb.1747:
	s_and_b32 s1, 0xffff, s13
	s_mov_b32 s3, -1
	s_cmp_lt_i32 s1, 5
	s_cbranch_scc1 .LBB54_1768
; %bb.1748:
	s_cmp_lt_i32 s1, 8
	s_cbranch_scc1 .LBB54_1758
; %bb.1749:
	;; [unrolled: 3-line block ×3, first 2 shown]
	s_cmp_gt_i32 s1, 9
	s_cbranch_scc0 .LBB54_1752
; %bb.1751:
	s_wait_xcnt 0x0
	v_cndmask_b32_e64 v1, 0, 1, s0
	v_mov_b32_e32 v12, 0
	s_mov_b32 s3, 0
	s_delay_alu instid0(VALU_DEP_2) | instskip(NEXT) | instid1(VALU_DEP_2)
	v_cvt_f64_u32_e32 v[10:11], v1
	v_mov_b32_e32 v13, v12
	global_store_b128 v[2:3], v[10:13], off
.LBB54_1752:
	s_and_not1_b32 vcc_lo, exec_lo, s3
	s_cbranch_vccnz .LBB54_1754
; %bb.1753:
	s_wait_xcnt 0x0
	v_cndmask_b32_e64 v4, 0, 1.0, s0
	v_mov_b32_e32 v5, 0
	global_store_b64 v[2:3], v[4:5], off
.LBB54_1754:
	s_mov_b32 s3, 0
.LBB54_1755:
	s_delay_alu instid0(SALU_CYCLE_1)
	s_and_not1_b32 vcc_lo, exec_lo, s3
	s_cbranch_vccnz .LBB54_1757
; %bb.1756:
	s_wait_xcnt 0x0
	v_cndmask_b32_e64 v1, 0, 1.0, s0
	s_delay_alu instid0(VALU_DEP_1) | instskip(NEXT) | instid1(VALU_DEP_1)
	v_cvt_f16_f32_e32 v1, v1
	v_and_b32_e32 v1, 0xffff, v1
	global_store_b32 v[2:3], v1, off
.LBB54_1757:
	s_mov_b32 s3, 0
.LBB54_1758:
	s_delay_alu instid0(SALU_CYCLE_1)
	s_and_not1_b32 vcc_lo, exec_lo, s3
	s_cbranch_vccnz .LBB54_1767
; %bb.1759:
	s_cmp_lt_i32 s1, 6
	s_mov_b32 s3, -1
	s_cbranch_scc1 .LBB54_1765
; %bb.1760:
	s_cmp_gt_i32 s1, 6
	s_cbranch_scc0 .LBB54_1762
; %bb.1761:
	s_wait_xcnt 0x0
	v_cndmask_b32_e64 v1, 0, 1, s0
	s_mov_b32 s3, 0
	s_delay_alu instid0(VALU_DEP_1)
	v_cvt_f64_u32_e32 v[4:5], v1
	global_store_b64 v[2:3], v[4:5], off
.LBB54_1762:
	s_and_not1_b32 vcc_lo, exec_lo, s3
	s_cbranch_vccnz .LBB54_1764
; %bb.1763:
	s_wait_xcnt 0x0
	v_cndmask_b32_e64 v1, 0, 1.0, s0
	global_store_b32 v[2:3], v1, off
.LBB54_1764:
	s_mov_b32 s3, 0
.LBB54_1765:
	s_delay_alu instid0(SALU_CYCLE_1)
	s_and_not1_b32 vcc_lo, exec_lo, s3
	s_cbranch_vccnz .LBB54_1767
; %bb.1766:
	s_wait_xcnt 0x0
	v_cndmask_b32_e64 v1, 0, 1.0, s0
	s_delay_alu instid0(VALU_DEP_1)
	v_cvt_f16_f32_e32 v1, v1
	global_store_b16 v[2:3], v1, off
.LBB54_1767:
	s_mov_b32 s3, 0
.LBB54_1768:
	s_delay_alu instid0(SALU_CYCLE_1)
	s_and_not1_b32 vcc_lo, exec_lo, s3
	s_cbranch_vccnz .LBB54_1784
; %bb.1769:
	s_cmp_lt_i32 s1, 2
	s_mov_b32 s3, -1
	s_cbranch_scc1 .LBB54_1779
; %bb.1770:
	s_cmp_lt_i32 s1, 3
	s_cbranch_scc1 .LBB54_1776
; %bb.1771:
	s_cmp_gt_i32 s1, 3
	s_cbranch_scc0 .LBB54_1773
; %bb.1772:
	s_mov_b32 s3, 0
	s_wait_xcnt 0x0
	v_cndmask_b32_e64 v4, 0, 1, s0
	v_mov_b32_e32 v5, s3
	global_store_b64 v[2:3], v[4:5], off
.LBB54_1773:
	s_and_not1_b32 vcc_lo, exec_lo, s3
	s_cbranch_vccnz .LBB54_1775
; %bb.1774:
	s_wait_xcnt 0x0
	v_cndmask_b32_e64 v1, 0, 1, s0
	global_store_b32 v[2:3], v1, off
.LBB54_1775:
	s_mov_b32 s3, 0
.LBB54_1776:
	s_delay_alu instid0(SALU_CYCLE_1)
	s_and_not1_b32 vcc_lo, exec_lo, s3
	s_cbranch_vccnz .LBB54_1778
; %bb.1777:
	s_wait_xcnt 0x0
	v_cndmask_b32_e64 v1, 0, 1, s0
	global_store_b16 v[2:3], v1, off
.LBB54_1778:
	s_mov_b32 s3, 0
.LBB54_1779:
	s_delay_alu instid0(SALU_CYCLE_1)
	s_and_not1_b32 vcc_lo, exec_lo, s3
	s_cbranch_vccnz .LBB54_1784
; %bb.1780:
	s_wait_xcnt 0x0
	v_cndmask_b32_e64 v1, 0, 1, s0
	s_cmp_gt_i32 s1, 0
	s_mov_b32 s0, -1
	s_cbranch_scc0 .LBB54_1782
; %bb.1781:
	s_mov_b32 s0, 0
	global_store_b8 v[2:3], v1, off
.LBB54_1782:
	s_and_not1_b32 vcc_lo, exec_lo, s0
	s_cbranch_vccnz .LBB54_1784
; %bb.1783:
	global_store_b8 v[2:3], v1, off
.LBB54_1784:
	s_mov_b32 s7, -1
.LBB54_1785:
	s_delay_alu instid0(SALU_CYCLE_1)
	s_and_not1_b32 vcc_lo, exec_lo, s7
	s_cbranch_vccnz .LBB54_1981
; %bb.1786:
	v_add_nc_u32_e32 v0, s2, v0
	v_cmp_eq_f16_e64 s0, 0x7c00, v7
	s_cmp_lt_i32 s13, 11
	s_wait_xcnt 0x0
	v_ashrrev_i32_e32 v1, 31, v0
	s_delay_alu instid0(VALU_DEP_1)
	v_add_nc_u64_e32 v[2:3], s[4:5], v[0:1]
	s_cbranch_scc1 .LBB54_1864
; %bb.1787:
	s_and_b32 s3, 0xffff, s13
	s_mov_b32 s8, -1
	s_mov_b32 s6, 0
	s_cmp_gt_i32 s3, 25
	s_mov_b32 s7, 0
	s_mov_b32 s1, 0
	s_cbranch_scc0 .LBB54_1820
; %bb.1788:
	s_cmp_gt_i32 s3, 28
	s_cbranch_scc0 .LBB54_1803
; %bb.1789:
	s_cmp_gt_i32 s3, 43
	;; [unrolled: 3-line block ×3, first 2 shown]
	s_cbranch_scc0 .LBB54_1793
; %bb.1791:
	s_mov_b32 s1, -1
	s_mov_b32 s8, 0
	s_cmp_eq_u32 s3, 46
	s_cbranch_scc0 .LBB54_1793
; %bb.1792:
	v_cndmask_b32_e64 v1, 0, 1.0, s0
	s_mov_b32 s1, 0
	s_mov_b32 s7, -1
	s_delay_alu instid0(VALU_DEP_1) | instskip(NEXT) | instid1(VALU_DEP_1)
	v_bfe_u32 v4, v1, 16, 1
	v_add3_u32 v1, v1, v4, 0x7fff
	s_delay_alu instid0(VALU_DEP_1)
	v_lshrrev_b32_e32 v1, 16, v1
	global_store_b32 v[2:3], v1, off
.LBB54_1793:
	s_and_b32 vcc_lo, exec_lo, s8
	s_cbranch_vccz .LBB54_1798
; %bb.1794:
	s_cmp_eq_u32 s3, 44
	s_mov_b32 s1, -1
	s_cbranch_scc0 .LBB54_1798
; %bb.1795:
	v_cndmask_b32_e64 v5, 0, 1.0, s0
	s_mov_b32 s7, exec_lo
	s_wait_xcnt 0x0
	s_delay_alu instid0(VALU_DEP_1) | instskip(NEXT) | instid1(VALU_DEP_1)
	v_dual_mov_b32 v4, 0xff :: v_dual_lshrrev_b32 v1, 23, v5
	v_cmpx_ne_u32_e32 0xff, v1
; %bb.1796:
	v_and_b32_e32 v4, 0x400000, v5
	v_and_or_b32 v5, 0x3fffff, v5, v1
	s_delay_alu instid0(VALU_DEP_2) | instskip(NEXT) | instid1(VALU_DEP_2)
	v_cmp_ne_u32_e32 vcc_lo, 0, v4
	v_cmp_ne_u32_e64 s1, 0, v5
	s_and_b32 s1, vcc_lo, s1
	s_delay_alu instid0(SALU_CYCLE_1) | instskip(NEXT) | instid1(VALU_DEP_1)
	v_cndmask_b32_e64 v4, 0, 1, s1
	v_add_nc_u32_e32 v4, v1, v4
; %bb.1797:
	s_or_b32 exec_lo, exec_lo, s7
	s_mov_b32 s1, 0
	s_mov_b32 s7, -1
	global_store_b8 v[2:3], v4, off
.LBB54_1798:
	s_mov_b32 s8, 0
.LBB54_1799:
	s_delay_alu instid0(SALU_CYCLE_1)
	s_and_b32 vcc_lo, exec_lo, s8
	s_cbranch_vccz .LBB54_1802
; %bb.1800:
	s_cmp_eq_u32 s3, 29
	s_mov_b32 s1, -1
	s_cbranch_scc0 .LBB54_1802
; %bb.1801:
	s_mov_b32 s1, 0
	s_wait_xcnt 0x0
	v_cndmask_b32_e64 v4, 0, 1, s0
	v_mov_b32_e32 v5, s1
	s_mov_b32 s7, -1
	global_store_b64 v[2:3], v[4:5], off
.LBB54_1802:
	s_mov_b32 s8, 0
.LBB54_1803:
	s_delay_alu instid0(SALU_CYCLE_1)
	s_and_b32 vcc_lo, exec_lo, s8
	s_cbranch_vccz .LBB54_1819
; %bb.1804:
	s_cmp_lt_i32 s3, 27
	s_mov_b32 s7, -1
	s_cbranch_scc1 .LBB54_1810
; %bb.1805:
	s_cmp_gt_i32 s3, 27
	s_cbranch_scc0 .LBB54_1807
; %bb.1806:
	s_wait_xcnt 0x0
	v_cndmask_b32_e64 v1, 0, 1, s0
	s_mov_b32 s7, 0
	global_store_b32 v[2:3], v1, off
.LBB54_1807:
	s_and_not1_b32 vcc_lo, exec_lo, s7
	s_cbranch_vccnz .LBB54_1809
; %bb.1808:
	s_wait_xcnt 0x0
	v_cndmask_b32_e64 v1, 0, 1, s0
	global_store_b16 v[2:3], v1, off
.LBB54_1809:
	s_mov_b32 s7, 0
.LBB54_1810:
	s_delay_alu instid0(SALU_CYCLE_1)
	s_and_not1_b32 vcc_lo, exec_lo, s7
	s_cbranch_vccnz .LBB54_1818
; %bb.1811:
	s_wait_xcnt 0x0
	v_cndmask_b32_e64 v4, 0, 1.0, s0
	v_mov_b32_e32 v5, 0x80
	s_mov_b32 s7, exec_lo
	s_delay_alu instid0(VALU_DEP_2)
	v_cmpx_gt_u32_e32 0x43800000, v4
	s_cbranch_execz .LBB54_1817
; %bb.1812:
	s_mov_b32 s8, 0
	s_mov_b32 s10, exec_lo
                                        ; implicit-def: $vgpr1
	v_cmpx_lt_u32_e32 0x3bffffff, v4
	s_xor_b32 s10, exec_lo, s10
	s_cbranch_execz .LBB54_2038
; %bb.1813:
	v_bfe_u32 v1, v4, 20, 1
	s_mov_b32 s8, exec_lo
	s_delay_alu instid0(VALU_DEP_1) | instskip(NEXT) | instid1(VALU_DEP_1)
	v_add3_u32 v1, v4, v1, 0x487ffff
                                        ; implicit-def: $vgpr4
	v_lshrrev_b32_e32 v1, 20, v1
	s_and_not1_saveexec_b32 s10, s10
	s_cbranch_execnz .LBB54_2039
.LBB54_1814:
	s_or_b32 exec_lo, exec_lo, s10
	v_mov_b32_e32 v5, 0
	s_and_saveexec_b32 s10, s8
.LBB54_1815:
	v_mov_b32_e32 v5, v1
.LBB54_1816:
	s_or_b32 exec_lo, exec_lo, s10
.LBB54_1817:
	s_delay_alu instid0(SALU_CYCLE_1)
	s_or_b32 exec_lo, exec_lo, s7
	global_store_b8 v[2:3], v5, off
.LBB54_1818:
	s_mov_b32 s7, -1
.LBB54_1819:
	s_mov_b32 s8, 0
.LBB54_1820:
	s_delay_alu instid0(SALU_CYCLE_1)
	s_and_b32 vcc_lo, exec_lo, s8
	s_cbranch_vccz .LBB54_1860
; %bb.1821:
	s_cmp_gt_i32 s3, 22
	s_mov_b32 s6, -1
	s_cbranch_scc0 .LBB54_1853
; %bb.1822:
	s_cmp_lt_i32 s3, 24
	s_cbranch_scc1 .LBB54_1842
; %bb.1823:
	s_cmp_gt_i32 s3, 24
	s_cbranch_scc0 .LBB54_1831
; %bb.1824:
	s_wait_xcnt 0x0
	v_cndmask_b32_e64 v4, 0, 1.0, s0
	v_mov_b32_e32 v5, 0x80
	s_mov_b32 s6, exec_lo
	s_delay_alu instid0(VALU_DEP_2)
	v_cmpx_gt_u32_e32 0x47800000, v4
	s_cbranch_execz .LBB54_1830
; %bb.1825:
	s_mov_b32 s7, 0
	s_mov_b32 s8, exec_lo
                                        ; implicit-def: $vgpr1
	v_cmpx_lt_u32_e32 0x37ffffff, v4
	s_xor_b32 s8, exec_lo, s8
	s_cbranch_execz .LBB54_2041
; %bb.1826:
	v_bfe_u32 v1, v4, 21, 1
	s_mov_b32 s7, exec_lo
	s_delay_alu instid0(VALU_DEP_1) | instskip(NEXT) | instid1(VALU_DEP_1)
	v_add3_u32 v1, v4, v1, 0x88fffff
                                        ; implicit-def: $vgpr4
	v_lshrrev_b32_e32 v1, 21, v1
	s_and_not1_saveexec_b32 s8, s8
	s_cbranch_execnz .LBB54_2042
.LBB54_1827:
	s_or_b32 exec_lo, exec_lo, s8
	v_mov_b32_e32 v5, 0
	s_and_saveexec_b32 s8, s7
.LBB54_1828:
	v_mov_b32_e32 v5, v1
.LBB54_1829:
	s_or_b32 exec_lo, exec_lo, s8
.LBB54_1830:
	s_delay_alu instid0(SALU_CYCLE_1)
	s_or_b32 exec_lo, exec_lo, s6
	s_mov_b32 s6, 0
	global_store_b8 v[2:3], v5, off
.LBB54_1831:
	s_and_b32 vcc_lo, exec_lo, s6
	s_cbranch_vccz .LBB54_1841
; %bb.1832:
	s_wait_xcnt 0x0
	v_cndmask_b32_e64 v4, 0, 1.0, s0
	s_mov_b32 s6, exec_lo
                                        ; implicit-def: $vgpr1
	s_delay_alu instid0(VALU_DEP_1)
	v_cmpx_gt_u32_e32 0x43f00000, v4
	s_xor_b32 s6, exec_lo, s6
	s_cbranch_execz .LBB54_1838
; %bb.1833:
	s_mov_b32 s7, exec_lo
                                        ; implicit-def: $vgpr1
	v_cmpx_lt_u32_e32 0x3c7fffff, v4
	s_xor_b32 s7, exec_lo, s7
; %bb.1834:
	v_bfe_u32 v1, v4, 20, 1
	s_delay_alu instid0(VALU_DEP_1) | instskip(NEXT) | instid1(VALU_DEP_1)
	v_add3_u32 v1, v4, v1, 0x407ffff
	v_and_b32_e32 v4, 0xff00000, v1
	v_lshrrev_b32_e32 v1, 20, v1
	s_delay_alu instid0(VALU_DEP_2) | instskip(NEXT) | instid1(VALU_DEP_2)
	v_cmp_ne_u32_e32 vcc_lo, 0x7f00000, v4
                                        ; implicit-def: $vgpr4
	v_cndmask_b32_e32 v1, 0x7e, v1, vcc_lo
; %bb.1835:
	s_and_not1_saveexec_b32 s7, s7
; %bb.1836:
	v_add_f32_e32 v1, 0x46800000, v4
; %bb.1837:
	s_or_b32 exec_lo, exec_lo, s7
                                        ; implicit-def: $vgpr4
.LBB54_1838:
	s_and_not1_saveexec_b32 s6, s6
; %bb.1839:
	v_mov_b32_e32 v1, 0x7f
	v_cmp_lt_u32_e32 vcc_lo, 0x7f800000, v4
	s_delay_alu instid0(VALU_DEP_2)
	v_cndmask_b32_e32 v1, 0x7e, v1, vcc_lo
; %bb.1840:
	s_or_b32 exec_lo, exec_lo, s6
	global_store_b8 v[2:3], v1, off
.LBB54_1841:
	s_mov_b32 s6, 0
.LBB54_1842:
	s_delay_alu instid0(SALU_CYCLE_1)
	s_and_not1_b32 vcc_lo, exec_lo, s6
	s_cbranch_vccnz .LBB54_1852
; %bb.1843:
	s_wait_xcnt 0x0
	v_cndmask_b32_e64 v4, 0, 1.0, s0
	s_mov_b32 s6, exec_lo
                                        ; implicit-def: $vgpr1
	s_delay_alu instid0(VALU_DEP_1)
	v_cmpx_gt_u32_e32 0x47800000, v4
	s_xor_b32 s6, exec_lo, s6
	s_cbranch_execz .LBB54_1849
; %bb.1844:
	s_mov_b32 s7, exec_lo
                                        ; implicit-def: $vgpr1
	v_cmpx_lt_u32_e32 0x387fffff, v4
	s_xor_b32 s7, exec_lo, s7
; %bb.1845:
	v_bfe_u32 v1, v4, 21, 1
	s_delay_alu instid0(VALU_DEP_1) | instskip(NEXT) | instid1(VALU_DEP_1)
	v_add3_u32 v1, v4, v1, 0x80fffff
                                        ; implicit-def: $vgpr4
	v_lshrrev_b32_e32 v1, 21, v1
; %bb.1846:
	s_and_not1_saveexec_b32 s7, s7
; %bb.1847:
	v_add_f32_e32 v1, 0x43000000, v4
; %bb.1848:
	s_or_b32 exec_lo, exec_lo, s7
                                        ; implicit-def: $vgpr4
.LBB54_1849:
	s_and_not1_saveexec_b32 s6, s6
; %bb.1850:
	v_mov_b32_e32 v1, 0x7f
	v_cmp_lt_u32_e32 vcc_lo, 0x7f800000, v4
	s_delay_alu instid0(VALU_DEP_2)
	v_cndmask_b32_e32 v1, 0x7c, v1, vcc_lo
; %bb.1851:
	s_or_b32 exec_lo, exec_lo, s6
	global_store_b8 v[2:3], v1, off
.LBB54_1852:
	s_mov_b32 s6, 0
	s_mov_b32 s7, -1
.LBB54_1853:
	s_and_not1_b32 vcc_lo, exec_lo, s6
	s_mov_b32 s6, 0
	s_cbranch_vccnz .LBB54_1860
; %bb.1854:
	s_cmp_gt_i32 s3, 14
	s_mov_b32 s6, -1
	s_cbranch_scc0 .LBB54_1858
; %bb.1855:
	s_cmp_eq_u32 s3, 15
	s_mov_b32 s1, -1
	s_cbranch_scc0 .LBB54_1857
; %bb.1856:
	s_wait_xcnt 0x0
	v_cndmask_b32_e64 v1, 0, 1.0, s0
	s_mov_b32 s1, 0
	s_mov_b32 s7, -1
	s_delay_alu instid0(VALU_DEP_1) | instskip(NEXT) | instid1(VALU_DEP_1)
	v_bfe_u32 v4, v1, 16, 1
	v_add3_u32 v1, v1, v4, 0x7fff
	global_store_d16_hi_b16 v[2:3], v1, off
.LBB54_1857:
	s_mov_b32 s6, 0
.LBB54_1858:
	s_delay_alu instid0(SALU_CYCLE_1)
	s_and_b32 vcc_lo, exec_lo, s6
	s_mov_b32 s6, 0
	s_cbranch_vccz .LBB54_1860
; %bb.1859:
	s_cmp_lg_u32 s3, 11
	s_mov_b32 s6, -1
	s_cselect_b32 s1, -1, 0
.LBB54_1860:
	s_delay_alu instid0(SALU_CYCLE_1)
	s_and_b32 vcc_lo, exec_lo, s1
	s_cbranch_vccnz .LBB54_2040
; %bb.1861:
	s_and_not1_b32 vcc_lo, exec_lo, s6
	s_cbranch_vccnz .LBB54_1863
.LBB54_1862:
	s_wait_xcnt 0x0
	v_cndmask_b32_e64 v1, 0, 1, s0
	s_mov_b32 s7, -1
	global_store_b8 v[2:3], v1, off
.LBB54_1863:
	s_mov_b32 s1, 0
	s_branch .LBB54_1865
.LBB54_1864:
	s_mov_b32 s1, -1
	s_mov_b32 s7, 0
.LBB54_1865:
	s_and_b32 vcc_lo, exec_lo, s1
	s_cbranch_vccz .LBB54_1904
; %bb.1866:
	s_and_b32 s1, 0xffff, s13
	s_mov_b32 s3, -1
	s_cmp_lt_i32 s1, 5
	s_cbranch_scc1 .LBB54_1887
; %bb.1867:
	s_cmp_lt_i32 s1, 8
	s_cbranch_scc1 .LBB54_1877
; %bb.1868:
	;; [unrolled: 3-line block ×3, first 2 shown]
	s_cmp_gt_i32 s1, 9
	s_cbranch_scc0 .LBB54_1871
; %bb.1870:
	s_wait_xcnt 0x0
	v_cndmask_b32_e64 v1, 0, 1, s0
	v_mov_b32_e32 v6, 0
	s_mov_b32 s3, 0
	s_delay_alu instid0(VALU_DEP_2) | instskip(NEXT) | instid1(VALU_DEP_2)
	v_cvt_f64_u32_e32 v[4:5], v1
	v_mov_b32_e32 v7, v6
	global_store_b128 v[2:3], v[4:7], off
.LBB54_1871:
	s_and_not1_b32 vcc_lo, exec_lo, s3
	s_cbranch_vccnz .LBB54_1873
; %bb.1872:
	s_wait_xcnt 0x0
	v_cndmask_b32_e64 v4, 0, 1.0, s0
	v_mov_b32_e32 v5, 0
	global_store_b64 v[2:3], v[4:5], off
.LBB54_1873:
	s_mov_b32 s3, 0
.LBB54_1874:
	s_delay_alu instid0(SALU_CYCLE_1)
	s_and_not1_b32 vcc_lo, exec_lo, s3
	s_cbranch_vccnz .LBB54_1876
; %bb.1875:
	s_wait_xcnt 0x0
	v_cndmask_b32_e64 v1, 0, 1.0, s0
	s_delay_alu instid0(VALU_DEP_1) | instskip(NEXT) | instid1(VALU_DEP_1)
	v_cvt_f16_f32_e32 v1, v1
	v_and_b32_e32 v1, 0xffff, v1
	global_store_b32 v[2:3], v1, off
.LBB54_1876:
	s_mov_b32 s3, 0
.LBB54_1877:
	s_delay_alu instid0(SALU_CYCLE_1)
	s_and_not1_b32 vcc_lo, exec_lo, s3
	s_cbranch_vccnz .LBB54_1886
; %bb.1878:
	s_cmp_lt_i32 s1, 6
	s_mov_b32 s3, -1
	s_cbranch_scc1 .LBB54_1884
; %bb.1879:
	s_cmp_gt_i32 s1, 6
	s_cbranch_scc0 .LBB54_1881
; %bb.1880:
	s_wait_xcnt 0x0
	v_cndmask_b32_e64 v1, 0, 1, s0
	s_mov_b32 s3, 0
	s_delay_alu instid0(VALU_DEP_1)
	v_cvt_f64_u32_e32 v[4:5], v1
	global_store_b64 v[2:3], v[4:5], off
.LBB54_1881:
	s_and_not1_b32 vcc_lo, exec_lo, s3
	s_cbranch_vccnz .LBB54_1883
; %bb.1882:
	s_wait_xcnt 0x0
	v_cndmask_b32_e64 v1, 0, 1.0, s0
	global_store_b32 v[2:3], v1, off
.LBB54_1883:
	s_mov_b32 s3, 0
.LBB54_1884:
	s_delay_alu instid0(SALU_CYCLE_1)
	s_and_not1_b32 vcc_lo, exec_lo, s3
	s_cbranch_vccnz .LBB54_1886
; %bb.1885:
	s_wait_xcnt 0x0
	v_cndmask_b32_e64 v1, 0, 1.0, s0
	s_delay_alu instid0(VALU_DEP_1)
	v_cvt_f16_f32_e32 v1, v1
	global_store_b16 v[2:3], v1, off
.LBB54_1886:
	s_mov_b32 s3, 0
.LBB54_1887:
	s_delay_alu instid0(SALU_CYCLE_1)
	s_and_not1_b32 vcc_lo, exec_lo, s3
	s_cbranch_vccnz .LBB54_1903
; %bb.1888:
	s_cmp_lt_i32 s1, 2
	s_mov_b32 s3, -1
	s_cbranch_scc1 .LBB54_1898
; %bb.1889:
	s_cmp_lt_i32 s1, 3
	s_cbranch_scc1 .LBB54_1895
; %bb.1890:
	s_cmp_gt_i32 s1, 3
	s_cbranch_scc0 .LBB54_1892
; %bb.1891:
	s_mov_b32 s3, 0
	s_wait_xcnt 0x0
	v_cndmask_b32_e64 v4, 0, 1, s0
	v_mov_b32_e32 v5, s3
	global_store_b64 v[2:3], v[4:5], off
.LBB54_1892:
	s_and_not1_b32 vcc_lo, exec_lo, s3
	s_cbranch_vccnz .LBB54_1894
; %bb.1893:
	s_wait_xcnt 0x0
	v_cndmask_b32_e64 v1, 0, 1, s0
	global_store_b32 v[2:3], v1, off
.LBB54_1894:
	s_mov_b32 s3, 0
.LBB54_1895:
	s_delay_alu instid0(SALU_CYCLE_1)
	s_and_not1_b32 vcc_lo, exec_lo, s3
	s_cbranch_vccnz .LBB54_1897
; %bb.1896:
	s_wait_xcnt 0x0
	v_cndmask_b32_e64 v1, 0, 1, s0
	global_store_b16 v[2:3], v1, off
.LBB54_1897:
	s_mov_b32 s3, 0
.LBB54_1898:
	s_delay_alu instid0(SALU_CYCLE_1)
	s_and_not1_b32 vcc_lo, exec_lo, s3
	s_cbranch_vccnz .LBB54_1903
; %bb.1899:
	s_wait_xcnt 0x0
	v_cndmask_b32_e64 v1, 0, 1, s0
	s_cmp_gt_i32 s1, 0
	s_mov_b32 s0, -1
	s_cbranch_scc0 .LBB54_1901
; %bb.1900:
	s_mov_b32 s0, 0
	global_store_b8 v[2:3], v1, off
.LBB54_1901:
	s_and_not1_b32 vcc_lo, exec_lo, s0
	s_cbranch_vccnz .LBB54_1903
; %bb.1902:
	global_store_b8 v[2:3], v1, off
.LBB54_1903:
	s_mov_b32 s7, -1
.LBB54_1904:
	s_delay_alu instid0(SALU_CYCLE_1)
	s_and_not1_b32 vcc_lo, exec_lo, s7
	s_cbranch_vccnz .LBB54_1981
; %bb.1905:
	v_add_nc_u32_e32 v0, s2, v0
	v_cmp_eq_f16_e64 s1, 0x7c00, v8
	s_cmp_lt_i32 s13, 11
	s_wait_xcnt 0x0
	v_ashrrev_i32_e32 v1, 31, v0
	s_delay_alu instid0(VALU_DEP_1)
	v_add_nc_u64_e32 v[0:1], s[4:5], v[0:1]
	s_cbranch_scc1 .LBB54_2026
; %bb.1906:
	s_and_b32 s2, 0xffff, s13
	s_mov_b32 s4, -1
	s_mov_b32 s3, 0
	s_cmp_gt_i32 s2, 25
	s_mov_b32 s0, 0
	s_cbranch_scc0 .LBB54_1939
; %bb.1907:
	s_cmp_gt_i32 s2, 28
	s_cbranch_scc0 .LBB54_1923
; %bb.1908:
	s_cmp_gt_i32 s2, 43
	;; [unrolled: 3-line block ×3, first 2 shown]
	s_cbranch_scc0 .LBB54_1913
; %bb.1910:
	s_cmp_eq_u32 s2, 46
	s_mov_b32 s0, -1
	s_cbranch_scc0 .LBB54_1912
; %bb.1911:
	v_cndmask_b32_e64 v2, 0, 1.0, s1
	s_mov_b32 s0, 0
	s_delay_alu instid0(VALU_DEP_1) | instskip(NEXT) | instid1(VALU_DEP_1)
	v_bfe_u32 v3, v2, 16, 1
	v_add3_u32 v2, v2, v3, 0x7fff
	s_delay_alu instid0(VALU_DEP_1)
	v_lshrrev_b32_e32 v2, 16, v2
	global_store_b32 v[0:1], v2, off
.LBB54_1912:
	s_mov_b32 s4, 0
.LBB54_1913:
	s_delay_alu instid0(SALU_CYCLE_1)
	s_and_b32 vcc_lo, exec_lo, s4
	s_cbranch_vccz .LBB54_1918
; %bb.1914:
	s_cmp_eq_u32 s2, 44
	s_mov_b32 s0, -1
	s_cbranch_scc0 .LBB54_1918
; %bb.1915:
	v_cndmask_b32_e64 v4, 0, 1.0, s1
	s_mov_b32 s4, exec_lo
	s_wait_xcnt 0x0
	s_delay_alu instid0(VALU_DEP_1) | instskip(NEXT) | instid1(VALU_DEP_1)
	v_dual_mov_b32 v3, 0xff :: v_dual_lshrrev_b32 v2, 23, v4
	v_cmpx_ne_u32_e32 0xff, v2
; %bb.1916:
	v_and_b32_e32 v3, 0x400000, v4
	v_and_or_b32 v4, 0x3fffff, v4, v2
	s_delay_alu instid0(VALU_DEP_2) | instskip(NEXT) | instid1(VALU_DEP_2)
	v_cmp_ne_u32_e32 vcc_lo, 0, v3
	v_cmp_ne_u32_e64 s0, 0, v4
	s_and_b32 s0, vcc_lo, s0
	s_delay_alu instid0(SALU_CYCLE_1) | instskip(NEXT) | instid1(VALU_DEP_1)
	v_cndmask_b32_e64 v3, 0, 1, s0
	v_add_nc_u32_e32 v3, v2, v3
; %bb.1917:
	s_or_b32 exec_lo, exec_lo, s4
	s_mov_b32 s0, 0
	global_store_b8 v[0:1], v3, off
.LBB54_1918:
	s_mov_b32 s4, 0
.LBB54_1919:
	s_delay_alu instid0(SALU_CYCLE_1)
	s_and_b32 vcc_lo, exec_lo, s4
	s_cbranch_vccz .LBB54_1922
; %bb.1920:
	s_cmp_eq_u32 s2, 29
	s_mov_b32 s0, -1
	s_cbranch_scc0 .LBB54_1922
; %bb.1921:
	s_mov_b32 s0, 0
	s_wait_xcnt 0x0
	v_cndmask_b32_e64 v2, 0, 1, s1
	v_mov_b32_e32 v3, s0
	global_store_b64 v[0:1], v[2:3], off
.LBB54_1922:
	s_mov_b32 s4, 0
.LBB54_1923:
	s_delay_alu instid0(SALU_CYCLE_1)
	s_and_b32 vcc_lo, exec_lo, s4
	s_cbranch_vccz .LBB54_1938
; %bb.1924:
	s_cmp_lt_i32 s2, 27
	s_mov_b32 s4, -1
	s_cbranch_scc1 .LBB54_1930
; %bb.1925:
	s_wait_xcnt 0x0
	v_cndmask_b32_e64 v2, 0, 1, s1
	s_cmp_gt_i32 s2, 27
	s_cbranch_scc0 .LBB54_1927
; %bb.1926:
	s_mov_b32 s4, 0
	global_store_b32 v[0:1], v2, off
.LBB54_1927:
	s_and_not1_b32 vcc_lo, exec_lo, s4
	s_cbranch_vccnz .LBB54_1929
; %bb.1928:
	global_store_b16 v[0:1], v2, off
.LBB54_1929:
	s_mov_b32 s4, 0
.LBB54_1930:
	s_delay_alu instid0(SALU_CYCLE_1)
	s_and_not1_b32 vcc_lo, exec_lo, s4
	s_cbranch_vccnz .LBB54_1938
; %bb.1931:
	s_wait_xcnt 0x0
	v_cndmask_b32_e64 v3, 0, 1.0, s1
	v_mov_b32_e32 v4, 0x80
	s_mov_b32 s4, exec_lo
	s_delay_alu instid0(VALU_DEP_2)
	v_cmpx_gt_u32_e32 0x43800000, v3
	s_cbranch_execz .LBB54_1937
; %bb.1932:
	s_mov_b32 s5, 0
	s_mov_b32 s6, exec_lo
                                        ; implicit-def: $vgpr2
	v_cmpx_lt_u32_e32 0x3bffffff, v3
	s_xor_b32 s6, exec_lo, s6
	s_cbranch_execz .LBB54_2043
; %bb.1933:
	v_bfe_u32 v2, v3, 20, 1
	s_mov_b32 s5, exec_lo
	s_delay_alu instid0(VALU_DEP_1) | instskip(NEXT) | instid1(VALU_DEP_1)
	v_add3_u32 v2, v3, v2, 0x487ffff
                                        ; implicit-def: $vgpr3
	v_lshrrev_b32_e32 v2, 20, v2
	s_and_not1_saveexec_b32 s6, s6
	s_cbranch_execnz .LBB54_2044
.LBB54_1934:
	s_or_b32 exec_lo, exec_lo, s6
	v_mov_b32_e32 v4, 0
	s_and_saveexec_b32 s6, s5
.LBB54_1935:
	v_mov_b32_e32 v4, v2
.LBB54_1936:
	s_or_b32 exec_lo, exec_lo, s6
.LBB54_1937:
	s_delay_alu instid0(SALU_CYCLE_1)
	s_or_b32 exec_lo, exec_lo, s4
	global_store_b8 v[0:1], v4, off
.LBB54_1938:
	s_mov_b32 s4, 0
.LBB54_1939:
	s_delay_alu instid0(SALU_CYCLE_1)
	s_and_b32 vcc_lo, exec_lo, s4
	s_cbranch_vccz .LBB54_1979
; %bb.1940:
	s_cmp_gt_i32 s2, 22
	s_mov_b32 s3, -1
	s_cbranch_scc0 .LBB54_1972
; %bb.1941:
	s_cmp_lt_i32 s2, 24
	s_cbranch_scc1 .LBB54_1961
; %bb.1942:
	s_cmp_gt_i32 s2, 24
	s_cbranch_scc0 .LBB54_1950
; %bb.1943:
	s_wait_xcnt 0x0
	v_cndmask_b32_e64 v3, 0, 1.0, s1
	v_mov_b32_e32 v4, 0x80
	s_mov_b32 s3, exec_lo
	s_delay_alu instid0(VALU_DEP_2)
	v_cmpx_gt_u32_e32 0x47800000, v3
	s_cbranch_execz .LBB54_1949
; %bb.1944:
	s_mov_b32 s4, 0
	s_mov_b32 s5, exec_lo
                                        ; implicit-def: $vgpr2
	v_cmpx_lt_u32_e32 0x37ffffff, v3
	s_xor_b32 s5, exec_lo, s5
	s_cbranch_execz .LBB54_2046
; %bb.1945:
	v_bfe_u32 v2, v3, 21, 1
	s_mov_b32 s4, exec_lo
	s_delay_alu instid0(VALU_DEP_1) | instskip(NEXT) | instid1(VALU_DEP_1)
	v_add3_u32 v2, v3, v2, 0x88fffff
                                        ; implicit-def: $vgpr3
	v_lshrrev_b32_e32 v2, 21, v2
	s_and_not1_saveexec_b32 s5, s5
	s_cbranch_execnz .LBB54_2047
.LBB54_1946:
	s_or_b32 exec_lo, exec_lo, s5
	v_mov_b32_e32 v4, 0
	s_and_saveexec_b32 s5, s4
.LBB54_1947:
	v_mov_b32_e32 v4, v2
.LBB54_1948:
	s_or_b32 exec_lo, exec_lo, s5
.LBB54_1949:
	s_delay_alu instid0(SALU_CYCLE_1)
	s_or_b32 exec_lo, exec_lo, s3
	s_mov_b32 s3, 0
	global_store_b8 v[0:1], v4, off
.LBB54_1950:
	s_and_b32 vcc_lo, exec_lo, s3
	s_cbranch_vccz .LBB54_1960
; %bb.1951:
	s_wait_xcnt 0x0
	v_cndmask_b32_e64 v3, 0, 1.0, s1
	s_mov_b32 s3, exec_lo
                                        ; implicit-def: $vgpr2
	s_delay_alu instid0(VALU_DEP_1)
	v_cmpx_gt_u32_e32 0x43f00000, v3
	s_xor_b32 s3, exec_lo, s3
	s_cbranch_execz .LBB54_1957
; %bb.1952:
	s_mov_b32 s4, exec_lo
                                        ; implicit-def: $vgpr2
	v_cmpx_lt_u32_e32 0x3c7fffff, v3
	s_xor_b32 s4, exec_lo, s4
; %bb.1953:
	v_bfe_u32 v2, v3, 20, 1
	s_delay_alu instid0(VALU_DEP_1) | instskip(NEXT) | instid1(VALU_DEP_1)
	v_add3_u32 v2, v3, v2, 0x407ffff
	v_and_b32_e32 v3, 0xff00000, v2
	v_lshrrev_b32_e32 v2, 20, v2
	s_delay_alu instid0(VALU_DEP_2) | instskip(NEXT) | instid1(VALU_DEP_2)
	v_cmp_ne_u32_e32 vcc_lo, 0x7f00000, v3
                                        ; implicit-def: $vgpr3
	v_cndmask_b32_e32 v2, 0x7e, v2, vcc_lo
; %bb.1954:
	s_and_not1_saveexec_b32 s4, s4
; %bb.1955:
	v_add_f32_e32 v2, 0x46800000, v3
; %bb.1956:
	s_or_b32 exec_lo, exec_lo, s4
                                        ; implicit-def: $vgpr3
.LBB54_1957:
	s_and_not1_saveexec_b32 s3, s3
; %bb.1958:
	v_mov_b32_e32 v2, 0x7f
	v_cmp_lt_u32_e32 vcc_lo, 0x7f800000, v3
	s_delay_alu instid0(VALU_DEP_2)
	v_cndmask_b32_e32 v2, 0x7e, v2, vcc_lo
; %bb.1959:
	s_or_b32 exec_lo, exec_lo, s3
	global_store_b8 v[0:1], v2, off
.LBB54_1960:
	s_mov_b32 s3, 0
.LBB54_1961:
	s_delay_alu instid0(SALU_CYCLE_1)
	s_and_not1_b32 vcc_lo, exec_lo, s3
	s_cbranch_vccnz .LBB54_1971
; %bb.1962:
	s_wait_xcnt 0x0
	v_cndmask_b32_e64 v3, 0, 1.0, s1
	s_mov_b32 s3, exec_lo
                                        ; implicit-def: $vgpr2
	s_delay_alu instid0(VALU_DEP_1)
	v_cmpx_gt_u32_e32 0x47800000, v3
	s_xor_b32 s3, exec_lo, s3
	s_cbranch_execz .LBB54_1968
; %bb.1963:
	s_mov_b32 s4, exec_lo
                                        ; implicit-def: $vgpr2
	v_cmpx_lt_u32_e32 0x387fffff, v3
	s_xor_b32 s4, exec_lo, s4
; %bb.1964:
	v_bfe_u32 v2, v3, 21, 1
	s_delay_alu instid0(VALU_DEP_1) | instskip(NEXT) | instid1(VALU_DEP_1)
	v_add3_u32 v2, v3, v2, 0x80fffff
                                        ; implicit-def: $vgpr3
	v_lshrrev_b32_e32 v2, 21, v2
; %bb.1965:
	s_and_not1_saveexec_b32 s4, s4
; %bb.1966:
	v_add_f32_e32 v2, 0x43000000, v3
; %bb.1967:
	s_or_b32 exec_lo, exec_lo, s4
                                        ; implicit-def: $vgpr3
.LBB54_1968:
	s_and_not1_saveexec_b32 s3, s3
; %bb.1969:
	v_mov_b32_e32 v2, 0x7f
	v_cmp_lt_u32_e32 vcc_lo, 0x7f800000, v3
	s_delay_alu instid0(VALU_DEP_2)
	v_cndmask_b32_e32 v2, 0x7c, v2, vcc_lo
; %bb.1970:
	s_or_b32 exec_lo, exec_lo, s3
	global_store_b8 v[0:1], v2, off
.LBB54_1971:
	s_mov_b32 s3, 0
.LBB54_1972:
	s_delay_alu instid0(SALU_CYCLE_1)
	s_and_not1_b32 vcc_lo, exec_lo, s3
	s_mov_b32 s3, 0
	s_cbranch_vccnz .LBB54_1979
; %bb.1973:
	s_cmp_gt_i32 s2, 14
	s_mov_b32 s3, -1
	s_cbranch_scc0 .LBB54_1977
; %bb.1974:
	s_cmp_eq_u32 s2, 15
	s_mov_b32 s0, -1
	s_cbranch_scc0 .LBB54_1976
; %bb.1975:
	s_wait_xcnt 0x0
	v_cndmask_b32_e64 v2, 0, 1.0, s1
	s_mov_b32 s0, 0
	s_delay_alu instid0(VALU_DEP_1) | instskip(NEXT) | instid1(VALU_DEP_1)
	v_bfe_u32 v3, v2, 16, 1
	v_add3_u32 v2, v2, v3, 0x7fff
	global_store_d16_hi_b16 v[0:1], v2, off
.LBB54_1976:
	s_mov_b32 s3, 0
.LBB54_1977:
	s_delay_alu instid0(SALU_CYCLE_1)
	s_and_b32 vcc_lo, exec_lo, s3
	s_mov_b32 s3, 0
	s_cbranch_vccz .LBB54_1979
; %bb.1978:
	s_cmp_lg_u32 s2, 11
	s_mov_b32 s3, -1
	s_cselect_b32 s0, -1, 0
.LBB54_1979:
	s_delay_alu instid0(SALU_CYCLE_1)
	s_and_b32 vcc_lo, exec_lo, s0
	s_cbranch_vccnz .LBB54_2045
.LBB54_1980:
	s_mov_b32 s0, 0
	s_branch .LBB54_1982
.LBB54_1981:
	s_mov_b32 s0, 0
	s_mov_b32 s3, 0
                                        ; implicit-def: $sgpr1
                                        ; implicit-def: $sgpr13
                                        ; implicit-def: $vgpr0_vgpr1
.LBB54_1982:
	s_and_not1_b32 s2, s12, exec_lo
	s_and_b32 s4, s9, exec_lo
	s_and_b32 s0, s0, exec_lo
	;; [unrolled: 1-line block ×3, first 2 shown]
	s_or_b32 s12, s2, s4
.LBB54_1983:
	s_wait_xcnt 0x0
	s_or_b32 exec_lo, exec_lo, s11
	s_and_saveexec_b32 s2, s12
	s_cbranch_execz .LBB54_1986
; %bb.1984:
	; divergent unreachable
	s_or_b32 exec_lo, exec_lo, s2
	s_and_saveexec_b32 s2, s9
	s_delay_alu instid0(SALU_CYCLE_1)
	s_xor_b32 s2, exec_lo, s2
	s_cbranch_execnz .LBB54_1987
.LBB54_1985:
	s_or_b32 exec_lo, exec_lo, s2
	s_and_saveexec_b32 s2, s0
	s_cbranch_execnz .LBB54_1988
	s_branch .LBB54_2025
.LBB54_1986:
	s_or_b32 exec_lo, exec_lo, s2
	s_and_saveexec_b32 s2, s9
	s_delay_alu instid0(SALU_CYCLE_1)
	s_xor_b32 s2, exec_lo, s2
	s_cbranch_execz .LBB54_1985
.LBB54_1987:
	s_wait_loadcnt 0x0
	v_cndmask_b32_e64 v2, 0, 1, s1
	global_store_b8 v[0:1], v2, off
	s_wait_xcnt 0x0
	s_or_b32 exec_lo, exec_lo, s2
	s_and_saveexec_b32 s2, s0
	s_cbranch_execz .LBB54_2025
.LBB54_1988:
	s_sext_i32_i16 s2, s13
	s_mov_b32 s0, -1
	s_cmp_lt_i32 s2, 5
	s_cbranch_scc1 .LBB54_2009
; %bb.1989:
	s_cmp_lt_i32 s2, 8
	s_cbranch_scc1 .LBB54_1999
; %bb.1990:
	;; [unrolled: 3-line block ×3, first 2 shown]
	s_cmp_gt_i32 s2, 9
	s_cbranch_scc0 .LBB54_1993
; %bb.1992:
	s_wait_loadcnt 0x0
	v_cndmask_b32_e64 v2, 0, 1, s1
	v_mov_b32_e32 v4, 0
	s_mov_b32 s0, 0
	s_delay_alu instid0(VALU_DEP_2) | instskip(NEXT) | instid1(VALU_DEP_2)
	v_cvt_f64_u32_e32 v[2:3], v2
	v_mov_b32_e32 v5, v4
	global_store_b128 v[0:1], v[2:5], off
.LBB54_1993:
	s_and_not1_b32 vcc_lo, exec_lo, s0
	s_cbranch_vccnz .LBB54_1995
; %bb.1994:
	s_wait_loadcnt 0x0
	v_cndmask_b32_e64 v2, 0, 1.0, s1
	v_mov_b32_e32 v3, 0
	global_store_b64 v[0:1], v[2:3], off
.LBB54_1995:
	s_mov_b32 s0, 0
.LBB54_1996:
	s_delay_alu instid0(SALU_CYCLE_1)
	s_and_not1_b32 vcc_lo, exec_lo, s0
	s_cbranch_vccnz .LBB54_1998
; %bb.1997:
	s_wait_loadcnt 0x0
	v_cndmask_b32_e64 v2, 0, 1.0, s1
	s_delay_alu instid0(VALU_DEP_1) | instskip(NEXT) | instid1(VALU_DEP_1)
	v_cvt_f16_f32_e32 v2, v2
	v_and_b32_e32 v2, 0xffff, v2
	global_store_b32 v[0:1], v2, off
.LBB54_1998:
	s_mov_b32 s0, 0
.LBB54_1999:
	s_delay_alu instid0(SALU_CYCLE_1)
	s_and_not1_b32 vcc_lo, exec_lo, s0
	s_cbranch_vccnz .LBB54_2008
; %bb.2000:
	s_sext_i32_i16 s2, s13
	s_mov_b32 s0, -1
	s_cmp_lt_i32 s2, 6
	s_cbranch_scc1 .LBB54_2006
; %bb.2001:
	s_cmp_gt_i32 s2, 6
	s_cbranch_scc0 .LBB54_2003
; %bb.2002:
	s_wait_loadcnt 0x0
	v_cndmask_b32_e64 v2, 0, 1, s1
	s_mov_b32 s0, 0
	s_delay_alu instid0(VALU_DEP_1)
	v_cvt_f64_u32_e32 v[2:3], v2
	global_store_b64 v[0:1], v[2:3], off
.LBB54_2003:
	s_and_not1_b32 vcc_lo, exec_lo, s0
	s_cbranch_vccnz .LBB54_2005
; %bb.2004:
	s_wait_loadcnt 0x0
	v_cndmask_b32_e64 v2, 0, 1.0, s1
	global_store_b32 v[0:1], v2, off
.LBB54_2005:
	s_mov_b32 s0, 0
.LBB54_2006:
	s_delay_alu instid0(SALU_CYCLE_1)
	s_and_not1_b32 vcc_lo, exec_lo, s0
	s_cbranch_vccnz .LBB54_2008
; %bb.2007:
	s_wait_loadcnt 0x0
	v_cndmask_b32_e64 v2, 0, 1.0, s1
	s_delay_alu instid0(VALU_DEP_1)
	v_cvt_f16_f32_e32 v2, v2
	global_store_b16 v[0:1], v2, off
.LBB54_2008:
	s_mov_b32 s0, 0
.LBB54_2009:
	s_delay_alu instid0(SALU_CYCLE_1)
	s_and_not1_b32 vcc_lo, exec_lo, s0
	s_cbranch_vccnz .LBB54_2025
; %bb.2010:
	s_sext_i32_i16 s2, s13
	s_mov_b32 s0, -1
	s_cmp_lt_i32 s2, 2
	s_cbranch_scc1 .LBB54_2020
; %bb.2011:
	s_cmp_lt_i32 s2, 3
	s_cbranch_scc1 .LBB54_2017
; %bb.2012:
	s_cmp_gt_i32 s2, 3
	s_cbranch_scc0 .LBB54_2014
; %bb.2013:
	s_mov_b32 s0, 0
	s_wait_loadcnt 0x0
	v_cndmask_b32_e64 v2, 0, 1, s1
	v_mov_b32_e32 v3, s0
	global_store_b64 v[0:1], v[2:3], off
.LBB54_2014:
	s_and_not1_b32 vcc_lo, exec_lo, s0
	s_cbranch_vccnz .LBB54_2016
; %bb.2015:
	s_wait_loadcnt 0x0
	v_cndmask_b32_e64 v2, 0, 1, s1
	global_store_b32 v[0:1], v2, off
.LBB54_2016:
	s_mov_b32 s0, 0
.LBB54_2017:
	s_delay_alu instid0(SALU_CYCLE_1)
	s_and_not1_b32 vcc_lo, exec_lo, s0
	s_cbranch_vccnz .LBB54_2019
; %bb.2018:
	s_wait_loadcnt 0x0
	v_cndmask_b32_e64 v2, 0, 1, s1
	global_store_b16 v[0:1], v2, off
.LBB54_2019:
	s_mov_b32 s0, 0
.LBB54_2020:
	s_delay_alu instid0(SALU_CYCLE_1)
	s_and_not1_b32 vcc_lo, exec_lo, s0
	s_cbranch_vccnz .LBB54_2025
; %bb.2021:
	s_wait_loadcnt 0x0
	v_cndmask_b32_e64 v2, 0, 1, s1
	s_sext_i32_i16 s0, s13
	s_delay_alu instid0(SALU_CYCLE_1)
	s_cmp_gt_i32 s0, 0
	s_mov_b32 s0, -1
	s_cbranch_scc0 .LBB54_2023
; %bb.2022:
	s_mov_b32 s0, 0
	global_store_b8 v[0:1], v2, off
.LBB54_2023:
	s_and_not1_b32 vcc_lo, exec_lo, s0
	s_cbranch_vccnz .LBB54_2025
; %bb.2024:
	global_store_b8 v[0:1], v2, off
	s_endpgm
.LBB54_2025:
	s_endpgm
.LBB54_2026:
	s_mov_b32 s3, 0
	s_mov_b32 s0, -1
	s_branch .LBB54_1982
.LBB54_2027:
	s_or_b32 s9, s9, exec_lo
	s_trap 2
	s_cbranch_execz .LBB54_1496
	s_branch .LBB54_1497
.LBB54_2028:
	s_and_not1_saveexec_b32 s10, s10
	s_cbranch_execz .LBB54_1576
.LBB54_2029:
	v_add_f32_e32 v1, 0x46000000, v4
	s_and_not1_b32 s8, s8, exec_lo
	s_delay_alu instid0(VALU_DEP_1) | instskip(NEXT) | instid1(VALU_DEP_1)
	v_and_b32_e32 v1, 0xff, v1
	v_cmp_ne_u32_e32 vcc_lo, 0, v1
	s_and_b32 s14, vcc_lo, exec_lo
	s_delay_alu instid0(SALU_CYCLE_1)
	s_or_b32 s8, s8, s14
	s_or_b32 exec_lo, exec_lo, s10
	v_mov_b32_e32 v5, 0
	s_and_saveexec_b32 s10, s8
	s_cbranch_execnz .LBB54_1577
	s_branch .LBB54_1578
.LBB54_2030:
	s_or_b32 s9, s9, exec_lo
	s_trap 2
	s_cbranch_execz .LBB54_1624
	s_branch .LBB54_1625
.LBB54_2031:
	s_and_not1_saveexec_b32 s8, s8
	s_cbranch_execz .LBB54_1589
.LBB54_2032:
	v_add_f32_e32 v1, 0x42800000, v4
	s_and_not1_b32 s7, s7, exec_lo
	s_delay_alu instid0(VALU_DEP_1) | instskip(NEXT) | instid1(VALU_DEP_1)
	v_and_b32_e32 v1, 0xff, v1
	v_cmp_ne_u32_e32 vcc_lo, 0, v1
	s_and_b32 s10, vcc_lo, exec_lo
	s_delay_alu instid0(SALU_CYCLE_1)
	s_or_b32 s7, s7, s10
	s_or_b32 exec_lo, exec_lo, s8
	v_mov_b32_e32 v5, 0
	s_and_saveexec_b32 s8, s7
	s_cbranch_execnz .LBB54_1590
	s_branch .LBB54_1591
.LBB54_2033:
	s_and_not1_saveexec_b32 s10, s10
	s_cbranch_execz .LBB54_1695
.LBB54_2034:
	v_add_f32_e32 v1, 0x46000000, v4
	s_and_not1_b32 s8, s8, exec_lo
	s_delay_alu instid0(VALU_DEP_1) | instskip(NEXT) | instid1(VALU_DEP_1)
	v_and_b32_e32 v1, 0xff, v1
	v_cmp_ne_u32_e32 vcc_lo, 0, v1
	s_and_b32 s14, vcc_lo, exec_lo
	s_delay_alu instid0(SALU_CYCLE_1)
	s_or_b32 s8, s8, s14
	s_or_b32 exec_lo, exec_lo, s10
	v_mov_b32_e32 v5, 0
	s_and_saveexec_b32 s10, s8
	s_cbranch_execnz .LBB54_1696
	s_branch .LBB54_1697
.LBB54_2035:
	s_or_b32 s9, s9, exec_lo
	s_trap 2
	s_cbranch_execz .LBB54_1743
	s_branch .LBB54_1744
.LBB54_2036:
	s_and_not1_saveexec_b32 s8, s8
	s_cbranch_execz .LBB54_1708
.LBB54_2037:
	v_add_f32_e32 v1, 0x42800000, v4
	s_and_not1_b32 s7, s7, exec_lo
	s_delay_alu instid0(VALU_DEP_1) | instskip(NEXT) | instid1(VALU_DEP_1)
	v_and_b32_e32 v1, 0xff, v1
	v_cmp_ne_u32_e32 vcc_lo, 0, v1
	s_and_b32 s10, vcc_lo, exec_lo
	s_delay_alu instid0(SALU_CYCLE_1)
	s_or_b32 s7, s7, s10
	s_or_b32 exec_lo, exec_lo, s8
	v_mov_b32_e32 v5, 0
	s_and_saveexec_b32 s8, s7
	s_cbranch_execnz .LBB54_1709
	s_branch .LBB54_1710
.LBB54_2038:
	s_and_not1_saveexec_b32 s10, s10
	s_cbranch_execz .LBB54_1814
.LBB54_2039:
	v_add_f32_e32 v1, 0x46000000, v4
	s_and_not1_b32 s8, s8, exec_lo
	s_delay_alu instid0(VALU_DEP_1) | instskip(NEXT) | instid1(VALU_DEP_1)
	v_and_b32_e32 v1, 0xff, v1
	v_cmp_ne_u32_e32 vcc_lo, 0, v1
	s_and_b32 s14, vcc_lo, exec_lo
	s_delay_alu instid0(SALU_CYCLE_1)
	s_or_b32 s8, s8, s14
	s_or_b32 exec_lo, exec_lo, s10
	v_mov_b32_e32 v5, 0
	s_and_saveexec_b32 s10, s8
	s_cbranch_execnz .LBB54_1815
	s_branch .LBB54_1816
.LBB54_2040:
	s_or_b32 s9, s9, exec_lo
	s_trap 2
	s_cbranch_execz .LBB54_1862
	s_branch .LBB54_1863
.LBB54_2041:
	s_and_not1_saveexec_b32 s8, s8
	s_cbranch_execz .LBB54_1827
.LBB54_2042:
	v_add_f32_e32 v1, 0x42800000, v4
	s_and_not1_b32 s7, s7, exec_lo
	s_delay_alu instid0(VALU_DEP_1) | instskip(NEXT) | instid1(VALU_DEP_1)
	v_and_b32_e32 v1, 0xff, v1
	v_cmp_ne_u32_e32 vcc_lo, 0, v1
	s_and_b32 s10, vcc_lo, exec_lo
	s_delay_alu instid0(SALU_CYCLE_1)
	s_or_b32 s7, s7, s10
	s_or_b32 exec_lo, exec_lo, s8
	v_mov_b32_e32 v5, 0
	s_and_saveexec_b32 s8, s7
	s_cbranch_execnz .LBB54_1828
	s_branch .LBB54_1829
.LBB54_2043:
	s_and_not1_saveexec_b32 s6, s6
	s_cbranch_execz .LBB54_1934
.LBB54_2044:
	v_add_f32_e32 v2, 0x46000000, v3
	s_and_not1_b32 s5, s5, exec_lo
	s_delay_alu instid0(VALU_DEP_1) | instskip(NEXT) | instid1(VALU_DEP_1)
	v_and_b32_e32 v2, 0xff, v2
	v_cmp_ne_u32_e32 vcc_lo, 0, v2
	s_and_b32 s7, vcc_lo, exec_lo
	s_delay_alu instid0(SALU_CYCLE_1)
	s_or_b32 s5, s5, s7
	s_or_b32 exec_lo, exec_lo, s6
	v_mov_b32_e32 v4, 0
	s_and_saveexec_b32 s6, s5
	s_cbranch_execnz .LBB54_1935
	s_branch .LBB54_1936
.LBB54_2045:
	s_mov_b32 s3, 0
	s_or_b32 s9, s9, exec_lo
	s_trap 2
	s_branch .LBB54_1980
.LBB54_2046:
	s_and_not1_saveexec_b32 s5, s5
	s_cbranch_execz .LBB54_1946
.LBB54_2047:
	v_add_f32_e32 v2, 0x42800000, v3
	s_and_not1_b32 s4, s4, exec_lo
	s_delay_alu instid0(VALU_DEP_1) | instskip(NEXT) | instid1(VALU_DEP_1)
	v_and_b32_e32 v2, 0xff, v2
	v_cmp_ne_u32_e32 vcc_lo, 0, v2
	s_and_b32 s6, vcc_lo, exec_lo
	s_delay_alu instid0(SALU_CYCLE_1)
	s_or_b32 s4, s4, s6
	s_or_b32 exec_lo, exec_lo, s5
	v_mov_b32_e32 v4, 0
	s_and_saveexec_b32 s5, s4
	s_cbranch_execnz .LBB54_1947
	s_branch .LBB54_1948
	.section	.rodata,"a",@progbits
	.p2align	6, 0x0
	.amdhsa_kernel _ZN2at6native32elementwise_kernel_manual_unrollILi128ELi4EZNS0_15gpu_kernel_implIZZZNS0_12_GLOBAL__N_120isposinf_kernel_implERNS_18TensorIteratorBaseEENKUlvE_clEvENKUlvE1_clEvEUlN3c104HalfEE_EEvS5_RKT_EUlibE_EEviT1_
		.amdhsa_group_segment_fixed_size 0
		.amdhsa_private_segment_fixed_size 0
		.amdhsa_kernarg_size 40
		.amdhsa_user_sgpr_count 2
		.amdhsa_user_sgpr_dispatch_ptr 0
		.amdhsa_user_sgpr_queue_ptr 0
		.amdhsa_user_sgpr_kernarg_segment_ptr 1
		.amdhsa_user_sgpr_dispatch_id 0
		.amdhsa_user_sgpr_kernarg_preload_length 0
		.amdhsa_user_sgpr_kernarg_preload_offset 0
		.amdhsa_user_sgpr_private_segment_size 0
		.amdhsa_wavefront_size32 1
		.amdhsa_uses_dynamic_stack 0
		.amdhsa_enable_private_segment 0
		.amdhsa_system_sgpr_workgroup_id_x 1
		.amdhsa_system_sgpr_workgroup_id_y 0
		.amdhsa_system_sgpr_workgroup_id_z 0
		.amdhsa_system_sgpr_workgroup_info 0
		.amdhsa_system_vgpr_workitem_id 0
		.amdhsa_next_free_vgpr 14
		.amdhsa_next_free_sgpr 27
		.amdhsa_named_barrier_count 0
		.amdhsa_reserve_vcc 1
		.amdhsa_float_round_mode_32 0
		.amdhsa_float_round_mode_16_64 0
		.amdhsa_float_denorm_mode_32 3
		.amdhsa_float_denorm_mode_16_64 3
		.amdhsa_fp16_overflow 0
		.amdhsa_memory_ordered 1
		.amdhsa_forward_progress 1
		.amdhsa_inst_pref_size 255
		.amdhsa_round_robin_scheduling 0
		.amdhsa_exception_fp_ieee_invalid_op 0
		.amdhsa_exception_fp_denorm_src 0
		.amdhsa_exception_fp_ieee_div_zero 0
		.amdhsa_exception_fp_ieee_overflow 0
		.amdhsa_exception_fp_ieee_underflow 0
		.amdhsa_exception_fp_ieee_inexact 0
		.amdhsa_exception_int_div_zero 0
	.end_amdhsa_kernel
	.section	.text._ZN2at6native32elementwise_kernel_manual_unrollILi128ELi4EZNS0_15gpu_kernel_implIZZZNS0_12_GLOBAL__N_120isposinf_kernel_implERNS_18TensorIteratorBaseEENKUlvE_clEvENKUlvE1_clEvEUlN3c104HalfEE_EEvS5_RKT_EUlibE_EEviT1_,"axG",@progbits,_ZN2at6native32elementwise_kernel_manual_unrollILi128ELi4EZNS0_15gpu_kernel_implIZZZNS0_12_GLOBAL__N_120isposinf_kernel_implERNS_18TensorIteratorBaseEENKUlvE_clEvENKUlvE1_clEvEUlN3c104HalfEE_EEvS5_RKT_EUlibE_EEviT1_,comdat
.Lfunc_end54:
	.size	_ZN2at6native32elementwise_kernel_manual_unrollILi128ELi4EZNS0_15gpu_kernel_implIZZZNS0_12_GLOBAL__N_120isposinf_kernel_implERNS_18TensorIteratorBaseEENKUlvE_clEvENKUlvE1_clEvEUlN3c104HalfEE_EEvS5_RKT_EUlibE_EEviT1_, .Lfunc_end54-_ZN2at6native32elementwise_kernel_manual_unrollILi128ELi4EZNS0_15gpu_kernel_implIZZZNS0_12_GLOBAL__N_120isposinf_kernel_implERNS_18TensorIteratorBaseEENKUlvE_clEvENKUlvE1_clEvEUlN3c104HalfEE_EEvS5_RKT_EUlibE_EEviT1_
                                        ; -- End function
	.set _ZN2at6native32elementwise_kernel_manual_unrollILi128ELi4EZNS0_15gpu_kernel_implIZZZNS0_12_GLOBAL__N_120isposinf_kernel_implERNS_18TensorIteratorBaseEENKUlvE_clEvENKUlvE1_clEvEUlN3c104HalfEE_EEvS5_RKT_EUlibE_EEviT1_.num_vgpr, 14
	.set _ZN2at6native32elementwise_kernel_manual_unrollILi128ELi4EZNS0_15gpu_kernel_implIZZZNS0_12_GLOBAL__N_120isposinf_kernel_implERNS_18TensorIteratorBaseEENKUlvE_clEvENKUlvE1_clEvEUlN3c104HalfEE_EEvS5_RKT_EUlibE_EEviT1_.num_agpr, 0
	.set _ZN2at6native32elementwise_kernel_manual_unrollILi128ELi4EZNS0_15gpu_kernel_implIZZZNS0_12_GLOBAL__N_120isposinf_kernel_implERNS_18TensorIteratorBaseEENKUlvE_clEvENKUlvE1_clEvEUlN3c104HalfEE_EEvS5_RKT_EUlibE_EEviT1_.numbered_sgpr, 27
	.set _ZN2at6native32elementwise_kernel_manual_unrollILi128ELi4EZNS0_15gpu_kernel_implIZZZNS0_12_GLOBAL__N_120isposinf_kernel_implERNS_18TensorIteratorBaseEENKUlvE_clEvENKUlvE1_clEvEUlN3c104HalfEE_EEvS5_RKT_EUlibE_EEviT1_.num_named_barrier, 0
	.set _ZN2at6native32elementwise_kernel_manual_unrollILi128ELi4EZNS0_15gpu_kernel_implIZZZNS0_12_GLOBAL__N_120isposinf_kernel_implERNS_18TensorIteratorBaseEENKUlvE_clEvENKUlvE1_clEvEUlN3c104HalfEE_EEvS5_RKT_EUlibE_EEviT1_.private_seg_size, 0
	.set _ZN2at6native32elementwise_kernel_manual_unrollILi128ELi4EZNS0_15gpu_kernel_implIZZZNS0_12_GLOBAL__N_120isposinf_kernel_implERNS_18TensorIteratorBaseEENKUlvE_clEvENKUlvE1_clEvEUlN3c104HalfEE_EEvS5_RKT_EUlibE_EEviT1_.uses_vcc, 1
	.set _ZN2at6native32elementwise_kernel_manual_unrollILi128ELi4EZNS0_15gpu_kernel_implIZZZNS0_12_GLOBAL__N_120isposinf_kernel_implERNS_18TensorIteratorBaseEENKUlvE_clEvENKUlvE1_clEvEUlN3c104HalfEE_EEvS5_RKT_EUlibE_EEviT1_.uses_flat_scratch, 0
	.set _ZN2at6native32elementwise_kernel_manual_unrollILi128ELi4EZNS0_15gpu_kernel_implIZZZNS0_12_GLOBAL__N_120isposinf_kernel_implERNS_18TensorIteratorBaseEENKUlvE_clEvENKUlvE1_clEvEUlN3c104HalfEE_EEvS5_RKT_EUlibE_EEviT1_.has_dyn_sized_stack, 0
	.set _ZN2at6native32elementwise_kernel_manual_unrollILi128ELi4EZNS0_15gpu_kernel_implIZZZNS0_12_GLOBAL__N_120isposinf_kernel_implERNS_18TensorIteratorBaseEENKUlvE_clEvENKUlvE1_clEvEUlN3c104HalfEE_EEvS5_RKT_EUlibE_EEviT1_.has_recursion, 0
	.set _ZN2at6native32elementwise_kernel_manual_unrollILi128ELi4EZNS0_15gpu_kernel_implIZZZNS0_12_GLOBAL__N_120isposinf_kernel_implERNS_18TensorIteratorBaseEENKUlvE_clEvENKUlvE1_clEvEUlN3c104HalfEE_EEvS5_RKT_EUlibE_EEviT1_.has_indirect_call, 0
	.section	.AMDGPU.csdata,"",@progbits
; Kernel info:
; codeLenInByte = 40500
; TotalNumSgprs: 29
; NumVgprs: 14
; ScratchSize: 0
; MemoryBound: 0
; FloatMode: 240
; IeeeMode: 1
; LDSByteSize: 0 bytes/workgroup (compile time only)
; SGPRBlocks: 0
; VGPRBlocks: 0
; NumSGPRsForWavesPerEU: 29
; NumVGPRsForWavesPerEU: 14
; NamedBarCnt: 0
; Occupancy: 16
; WaveLimiterHint : 0
; COMPUTE_PGM_RSRC2:SCRATCH_EN: 0
; COMPUTE_PGM_RSRC2:USER_SGPR: 2
; COMPUTE_PGM_RSRC2:TRAP_HANDLER: 0
; COMPUTE_PGM_RSRC2:TGID_X_EN: 1
; COMPUTE_PGM_RSRC2:TGID_Y_EN: 0
; COMPUTE_PGM_RSRC2:TGID_Z_EN: 0
; COMPUTE_PGM_RSRC2:TIDIG_COMP_CNT: 0
	.section	.text._ZN2at6native32elementwise_kernel_manual_unrollILi128ELi4EZNS0_15gpu_kernel_implIZZZNS0_12_GLOBAL__N_120isposinf_kernel_implERNS_18TensorIteratorBaseEENKUlvE_clEvENKUlvE1_clEvEUlN3c104HalfEE_EEvS5_RKT_EUlibE0_EEviT1_,"axG",@progbits,_ZN2at6native32elementwise_kernel_manual_unrollILi128ELi4EZNS0_15gpu_kernel_implIZZZNS0_12_GLOBAL__N_120isposinf_kernel_implERNS_18TensorIteratorBaseEENKUlvE_clEvENKUlvE1_clEvEUlN3c104HalfEE_EEvS5_RKT_EUlibE0_EEviT1_,comdat
	.globl	_ZN2at6native32elementwise_kernel_manual_unrollILi128ELi4EZNS0_15gpu_kernel_implIZZZNS0_12_GLOBAL__N_120isposinf_kernel_implERNS_18TensorIteratorBaseEENKUlvE_clEvENKUlvE1_clEvEUlN3c104HalfEE_EEvS5_RKT_EUlibE0_EEviT1_ ; -- Begin function _ZN2at6native32elementwise_kernel_manual_unrollILi128ELi4EZNS0_15gpu_kernel_implIZZZNS0_12_GLOBAL__N_120isposinf_kernel_implERNS_18TensorIteratorBaseEENKUlvE_clEvENKUlvE1_clEvEUlN3c104HalfEE_EEvS5_RKT_EUlibE0_EEviT1_
	.p2align	8
	.type	_ZN2at6native32elementwise_kernel_manual_unrollILi128ELi4EZNS0_15gpu_kernel_implIZZZNS0_12_GLOBAL__N_120isposinf_kernel_implERNS_18TensorIteratorBaseEENKUlvE_clEvENKUlvE1_clEvEUlN3c104HalfEE_EEvS5_RKT_EUlibE0_EEviT1_,@function
_ZN2at6native32elementwise_kernel_manual_unrollILi128ELi4EZNS0_15gpu_kernel_implIZZZNS0_12_GLOBAL__N_120isposinf_kernel_implERNS_18TensorIteratorBaseEENKUlvE_clEvENKUlvE1_clEvEUlN3c104HalfEE_EEvS5_RKT_EUlibE0_EEviT1_: ; @_ZN2at6native32elementwise_kernel_manual_unrollILi128ELi4EZNS0_15gpu_kernel_implIZZZNS0_12_GLOBAL__N_120isposinf_kernel_implERNS_18TensorIteratorBaseEENKUlvE_clEvENKUlvE1_clEvEUlN3c104HalfEE_EEvS5_RKT_EUlibE0_EEviT1_
; %bb.0:
	s_clause 0x1
	s_load_b32 s28, s[0:1], 0x8
	s_load_b32 s36, s[0:1], 0x0
	s_bfe_u32 s2, ttmp6, 0x4000c
	s_and_b32 s3, ttmp6, 15
	s_add_co_i32 s2, s2, 1
	s_getreg_b32 s4, hwreg(HW_REG_IB_STS2, 6, 4)
	s_mul_i32 s2, ttmp9, s2
	s_mov_b32 s30, 0
	s_add_co_i32 s3, s3, s2
	s_cmp_eq_u32 s4, 0
	s_mov_b32 s24, -1
	s_cselect_b32 s2, ttmp9, s3
	s_mov_b32 s8, 0
	v_lshl_or_b32 v0, s2, 9, v0
	s_add_nc_u64 s[2:3], s[0:1], 8
	s_wait_xcnt 0x0
	s_mov_b32 s0, exec_lo
	s_delay_alu instid0(VALU_DEP_1) | instskip(SKIP_2) | instid1(SALU_CYCLE_1)
	v_or_b32_e32 v9, 0x180, v0
	s_wait_kmcnt 0x0
	s_add_co_i32 s29, s28, -1
	s_cmp_gt_u32 s29, 1
	s_cselect_b32 s31, -1, 0
	v_cmpx_le_i32_e64 s36, v9
	s_xor_b32 s33, exec_lo, s0
	s_cbranch_execz .LBB55_1096
; %bb.1:
	v_mov_b32_e32 v1, 0
	s_clause 0x3
	s_load_b128 s[12:15], s[2:3], 0x4
	s_load_b64 s[18:19], s[2:3], 0x14
	s_load_b128 s[8:11], s[2:3], 0xc4
	s_load_b128 s[4:7], s[2:3], 0x148
	s_cmp_lg_u32 s28, 0
	s_mov_b32 s17, 0
	s_cselect_b32 s38, -1, 0
	global_load_u16 v1, v1, s[2:3] offset:345
	s_min_u32 s37, s29, 15
	s_cmp_gt_u32 s28, 1
	s_add_nc_u64 s[22:23], s[2:3], 0xc4
	s_cselect_b32 s35, -1, 0
	s_mov_b32 s21, s17
	s_mov_b32 s39, s17
	s_mov_b32 s40, exec_lo
	s_wait_kmcnt 0x0
	s_mov_b32 s16, s13
	s_mov_b32 s20, s18
	;; [unrolled: 1-line block ×3, first 2 shown]
	s_wait_loadcnt 0x0
	v_readfirstlane_b32 s34, v1
	s_and_b32 s0, 0xffff, s34
	s_delay_alu instid0(SALU_CYCLE_1)
	s_lshr_b32 s13, s0, 8
	v_cmpx_gt_i32_e64 s36, v0
	s_cbranch_execz .LBB55_267
; %bb.2:
	s_and_not1_b32 vcc_lo, exec_lo, s31
	s_cbranch_vccnz .LBB55_8
; %bb.3:
	s_and_not1_b32 vcc_lo, exec_lo, s38
	s_cbranch_vccnz .LBB55_9
; %bb.4:
	s_add_co_i32 s1, s37, 1
	s_cmp_eq_u32 s29, 2
	s_cbranch_scc1 .LBB55_10
; %bb.5:
	v_dual_mov_b32 v2, 0 :: v_dual_mov_b32 v4, 0
	v_mov_b32_e32 v1, v0
	s_and_b32 s0, s1, 28
	s_mov_b32 s18, 0
	s_mov_b64 s[24:25], s[2:3]
	s_mov_b64 s[26:27], s[22:23]
.LBB55_6:                               ; =>This Inner Loop Header: Depth=1
	s_clause 0x1
	s_load_b256 s[44:51], s[24:25], 0x4
	s_load_b128 s[60:63], s[24:25], 0x24
	s_load_b256 s[52:59], s[26:27], 0x0
	s_add_co_i32 s18, s18, 4
	s_wait_xcnt 0x0
	s_add_nc_u64 s[24:25], s[24:25], 48
	s_cmp_lg_u32 s0, s18
	s_add_nc_u64 s[26:27], s[26:27], 32
	s_wait_kmcnt 0x0
	v_mul_hi_u32 v3, s45, v1
	s_delay_alu instid0(VALU_DEP_1) | instskip(NEXT) | instid1(VALU_DEP_1)
	v_add_nc_u32_e32 v3, v1, v3
	v_lshrrev_b32_e32 v3, s46, v3
	s_delay_alu instid0(VALU_DEP_1) | instskip(NEXT) | instid1(VALU_DEP_1)
	v_mul_hi_u32 v5, s48, v3
	v_add_nc_u32_e32 v5, v3, v5
	s_delay_alu instid0(VALU_DEP_1) | instskip(NEXT) | instid1(VALU_DEP_1)
	v_lshrrev_b32_e32 v5, s49, v5
	v_mul_hi_u32 v6, s51, v5
	s_delay_alu instid0(VALU_DEP_1) | instskip(SKIP_1) | instid1(VALU_DEP_1)
	v_add_nc_u32_e32 v6, v5, v6
	v_mul_lo_u32 v7, v3, s44
	v_sub_nc_u32_e32 v1, v1, v7
	v_mul_lo_u32 v7, v5, s47
	s_delay_alu instid0(VALU_DEP_4) | instskip(NEXT) | instid1(VALU_DEP_3)
	v_lshrrev_b32_e32 v6, s60, v6
	v_mad_u32 v4, v1, s53, v4
	v_mad_u32 v1, v1, s52, v2
	s_delay_alu instid0(VALU_DEP_4) | instskip(NEXT) | instid1(VALU_DEP_4)
	v_sub_nc_u32_e32 v2, v3, v7
	v_mul_hi_u32 v8, s62, v6
	v_mul_lo_u32 v3, v6, s50
	s_delay_alu instid0(VALU_DEP_3) | instskip(SKIP_1) | instid1(VALU_DEP_3)
	v_mad_u32 v4, v2, s55, v4
	v_mad_u32 v2, v2, s54, v1
	v_dual_add_nc_u32 v7, v6, v8 :: v_dual_sub_nc_u32 v3, v5, v3
	s_delay_alu instid0(VALU_DEP_1) | instskip(NEXT) | instid1(VALU_DEP_2)
	v_lshrrev_b32_e32 v1, s63, v7
	v_mad_u32 v4, v3, s57, v4
	s_delay_alu instid0(VALU_DEP_4) | instskip(NEXT) | instid1(VALU_DEP_3)
	v_mad_u32 v2, v3, s56, v2
	v_mul_lo_u32 v5, v1, s61
	s_delay_alu instid0(VALU_DEP_1) | instskip(NEXT) | instid1(VALU_DEP_1)
	v_sub_nc_u32_e32 v3, v6, v5
	v_mad_u32 v4, v3, s59, v4
	s_delay_alu instid0(VALU_DEP_4)
	v_mad_u32 v2, v3, s58, v2
	s_cbranch_scc1 .LBB55_6
; %bb.7:
	s_delay_alu instid0(VALU_DEP_2)
	v_mov_b32_e32 v3, v4
	s_and_b32 s18, s1, 3
	s_mov_b32 s1, 0
	s_cmp_eq_u32 s18, 0
	s_cbranch_scc0 .LBB55_11
	s_branch .LBB55_14
.LBB55_8:
                                        ; implicit-def: $vgpr4
                                        ; implicit-def: $vgpr2
	s_branch .LBB55_15
.LBB55_9:
	v_dual_mov_b32 v4, 0 :: v_dual_mov_b32 v2, 0
	s_branch .LBB55_14
.LBB55_10:
	v_mov_b64_e32 v[2:3], 0
	v_mov_b32_e32 v1, v0
	s_mov_b32 s0, 0
                                        ; implicit-def: $vgpr4
	s_and_b32 s18, s1, 3
	s_mov_b32 s1, 0
	s_cmp_eq_u32 s18, 0
	s_cbranch_scc1 .LBB55_14
.LBB55_11:
	s_lshl_b32 s24, s0, 3
	s_mov_b32 s25, s1
	s_mul_u64 s[26:27], s[0:1], 12
	s_add_nc_u64 s[24:25], s[2:3], s[24:25]
	s_delay_alu instid0(SALU_CYCLE_1)
	s_add_nc_u64 s[0:1], s[24:25], 0xc4
	s_add_nc_u64 s[24:25], s[2:3], s[26:27]
.LBB55_12:                              ; =>This Inner Loop Header: Depth=1
	s_load_b96 s[44:46], s[24:25], 0x4
	s_load_b64 s[26:27], s[0:1], 0x0
	s_add_co_i32 s18, s18, -1
	s_wait_xcnt 0x0
	s_add_nc_u64 s[24:25], s[24:25], 12
	s_cmp_lg_u32 s18, 0
	s_add_nc_u64 s[0:1], s[0:1], 8
	s_wait_kmcnt 0x0
	v_mul_hi_u32 v4, s45, v1
	s_delay_alu instid0(VALU_DEP_1) | instskip(NEXT) | instid1(VALU_DEP_1)
	v_add_nc_u32_e32 v4, v1, v4
	v_lshrrev_b32_e32 v4, s46, v4
	s_delay_alu instid0(VALU_DEP_1) | instskip(NEXT) | instid1(VALU_DEP_1)
	v_mul_lo_u32 v5, v4, s44
	v_sub_nc_u32_e32 v1, v1, v5
	s_delay_alu instid0(VALU_DEP_1)
	v_mad_u32 v3, v1, s27, v3
	v_mad_u32 v2, v1, s26, v2
	v_mov_b32_e32 v1, v4
	s_cbranch_scc1 .LBB55_12
; %bb.13:
	s_delay_alu instid0(VALU_DEP_3)
	v_mov_b32_e32 v4, v3
.LBB55_14:
	s_cbranch_execnz .LBB55_17
.LBB55_15:
	v_mov_b32_e32 v1, 0
	s_and_not1_b32 vcc_lo, exec_lo, s35
	s_delay_alu instid0(VALU_DEP_1) | instskip(NEXT) | instid1(VALU_DEP_1)
	v_mul_u64_e32 v[2:3], s[16:17], v[0:1]
	v_add_nc_u32_e32 v2, v0, v3
	s_delay_alu instid0(VALU_DEP_1) | instskip(NEXT) | instid1(VALU_DEP_1)
	v_lshrrev_b32_e32 v6, s14, v2
	v_mul_lo_u32 v2, v6, s12
	s_delay_alu instid0(VALU_DEP_1) | instskip(NEXT) | instid1(VALU_DEP_1)
	v_sub_nc_u32_e32 v2, v0, v2
	v_mul_lo_u32 v4, v2, s9
	v_mul_lo_u32 v2, v2, s8
	s_cbranch_vccnz .LBB55_17
; %bb.16:
	v_mov_b32_e32 v7, v1
	s_delay_alu instid0(VALU_DEP_1) | instskip(NEXT) | instid1(VALU_DEP_1)
	v_mul_u64_e32 v[8:9], s[20:21], v[6:7]
	v_add_nc_u32_e32 v1, v6, v9
	s_delay_alu instid0(VALU_DEP_1) | instskip(NEXT) | instid1(VALU_DEP_1)
	v_lshrrev_b32_e32 v1, s19, v1
	v_mul_lo_u32 v1, v1, s15
	s_delay_alu instid0(VALU_DEP_1) | instskip(NEXT) | instid1(VALU_DEP_1)
	v_sub_nc_u32_e32 v1, v6, v1
	v_mad_u32 v2, v1, s10, v2
	v_mad_u32 v4, v1, s11, v4
.LBB55_17:
	v_mov_b32_e32 v5, 0
	s_and_b32 s0, 0xffff, s13
	s_delay_alu instid0(SALU_CYCLE_1) | instskip(NEXT) | instid1(VALU_DEP_1)
	s_cmp_lt_i32 s0, 11
	v_add_nc_u64_e32 v[4:5], s[6:7], v[4:5]
	s_cbranch_scc1 .LBB55_24
; %bb.18:
	s_cmp_gt_i32 s0, 25
	s_cbranch_scc0 .LBB55_33
; %bb.19:
	s_cmp_gt_i32 s0, 28
	s_cbranch_scc0 .LBB55_36
	;; [unrolled: 3-line block ×4, first 2 shown]
; %bb.22:
	s_cmp_eq_u32 s0, 46
	s_mov_b32 s18, 0
	s_cbranch_scc0 .LBB55_42
; %bb.23:
	global_load_b32 v1, v[4:5], off
	s_mov_b32 s1, -1
	s_mov_b32 s24, 0
	s_wait_loadcnt 0x0
	v_lshlrev_b32_e32 v1, 16, v1
	s_delay_alu instid0(VALU_DEP_1)
	v_cvt_f16_f32_e32 v1, v1
	s_branch .LBB55_44
.LBB55_24:
	s_mov_b32 s24, 0
	s_mov_b32 s1, 0
                                        ; implicit-def: $vgpr1
	s_cbranch_execnz .LBB55_217
.LBB55_25:
	s_and_not1_b32 vcc_lo, exec_lo, s1
	s_cbranch_vccnz .LBB55_264
.LBB55_26:
	v_mov_b32_e32 v3, 0
	s_wait_loadcnt 0x0
	s_delay_alu instid0(VALU_DEP_2) | instskip(SKIP_1) | instid1(SALU_CYCLE_1)
	v_cmp_eq_f16_e64 s0, 0x7c00, v1
	s_and_b32 s18, s34, 0xff
	s_cmp_lt_i32 s18, 11
	v_add_nc_u64_e32 v[2:3], s[4:5], v[2:3]
	s_cbranch_scc1 .LBB55_34
; %bb.27:
	s_and_b32 s25, 0xffff, s18
	s_delay_alu instid0(SALU_CYCLE_1)
	s_cmp_gt_i32 s25, 25
	s_cbranch_scc0 .LBB55_37
; %bb.28:
	s_cmp_gt_i32 s25, 28
	s_cbranch_scc0 .LBB55_39
; %bb.29:
	;; [unrolled: 3-line block ×4, first 2 shown]
	s_mov_b32 s27, 0
	s_mov_b32 s1, -1
	s_cmp_eq_u32 s25, 46
	s_mov_b32 s26, 0
	s_cbranch_scc0 .LBB55_48
; %bb.32:
	v_cndmask_b32_e64 v1, 0, 1.0, s0
	s_mov_b32 s26, -1
	s_mov_b32 s1, 0
	s_delay_alu instid0(VALU_DEP_1) | instskip(NEXT) | instid1(VALU_DEP_1)
	v_bfe_u32 v4, v1, 16, 1
	v_add3_u32 v1, v1, v4, 0x7fff
	s_delay_alu instid0(VALU_DEP_1)
	v_lshrrev_b32_e32 v1, 16, v1
	global_store_b32 v[2:3], v1, off
	s_branch .LBB55_48
.LBB55_33:
	s_mov_b32 s24, 0
	s_mov_b32 s1, 0
                                        ; implicit-def: $vgpr1
	s_cbranch_execnz .LBB55_182
	s_branch .LBB55_216
.LBB55_34:
	s_mov_b32 s1, 0
	s_mov_b32 s26, 0
	s_cbranch_execnz .LBB55_117
.LBB55_35:
	s_and_not1_b32 vcc_lo, exec_lo, s26
	s_cbranch_vccz .LBB55_155
	s_branch .LBB55_265
.LBB55_36:
	s_mov_b32 s18, -1
	s_mov_b32 s24, 0
	s_mov_b32 s1, 0
                                        ; implicit-def: $vgpr1
	s_branch .LBB55_163
.LBB55_37:
	s_mov_b32 s27, -1
	s_mov_b32 s1, 0
	s_mov_b32 s26, 0
	s_branch .LBB55_75
.LBB55_38:
	s_mov_b32 s18, -1
	s_mov_b32 s24, 0
	s_mov_b32 s1, 0
                                        ; implicit-def: $vgpr1
	s_branch .LBB55_158
.LBB55_39:
	s_mov_b32 s27, -1
	s_mov_b32 s1, 0
	s_mov_b32 s26, 0
	s_branch .LBB55_58
.LBB55_40:
	s_mov_b32 s18, -1
	s_mov_b32 s24, 0
	s_branch .LBB55_43
.LBB55_41:
	s_mov_b32 s27, -1
	s_mov_b32 s1, 0
	s_mov_b32 s26, 0
	s_branch .LBB55_54
.LBB55_42:
	s_mov_b32 s24, -1
.LBB55_43:
	s_mov_b32 s1, 0
                                        ; implicit-def: $vgpr1
.LBB55_44:
	s_and_b32 vcc_lo, exec_lo, s18
	s_cbranch_vccz .LBB55_157
; %bb.45:
	s_cmp_eq_u32 s0, 44
	s_cbranch_scc0 .LBB55_156
; %bb.46:
	global_load_u8 v1, v[4:5], off
	s_mov_b32 s24, 0
	s_mov_b32 s1, -1
	s_wait_loadcnt 0x0
	v_lshlrev_b32_e32 v3, 23, v1
	v_cmp_ne_u32_e32 vcc_lo, 0xff, v1
	s_delay_alu instid0(VALU_DEP_2) | instskip(NEXT) | instid1(VALU_DEP_1)
	v_cvt_f16_f32_e32 v3, v3
	v_cndmask_b32_e32 v3, 0x7e00, v3, vcc_lo
	v_cmp_ne_u32_e32 vcc_lo, 0, v1
	s_delay_alu instid0(VALU_DEP_2)
	v_cndmask_b32_e32 v1, 0, v3, vcc_lo
	s_branch .LBB55_157
.LBB55_47:
	s_mov_b32 s27, -1
	s_mov_b32 s1, 0
	s_mov_b32 s26, 0
.LBB55_48:
	s_and_b32 vcc_lo, exec_lo, s27
	s_cbranch_vccz .LBB55_53
; %bb.49:
	s_cmp_eq_u32 s25, 44
	s_mov_b32 s1, -1
	s_cbranch_scc0 .LBB55_53
; %bb.50:
	v_cndmask_b32_e64 v5, 0, 1.0, s0
	s_mov_b32 s26, exec_lo
	s_wait_xcnt 0x0
	s_delay_alu instid0(VALU_DEP_1) | instskip(NEXT) | instid1(VALU_DEP_1)
	v_dual_mov_b32 v4, 0xff :: v_dual_lshrrev_b32 v1, 23, v5
	v_cmpx_ne_u32_e32 0xff, v1
; %bb.51:
	v_and_b32_e32 v4, 0x400000, v5
	v_and_or_b32 v5, 0x3fffff, v5, v1
	s_delay_alu instid0(VALU_DEP_2) | instskip(NEXT) | instid1(VALU_DEP_2)
	v_cmp_ne_u32_e32 vcc_lo, 0, v4
	v_cmp_ne_u32_e64 s1, 0, v5
	s_and_b32 s1, vcc_lo, s1
	s_delay_alu instid0(SALU_CYCLE_1) | instskip(NEXT) | instid1(VALU_DEP_1)
	v_cndmask_b32_e64 v4, 0, 1, s1
	v_add_nc_u32_e32 v4, v1, v4
; %bb.52:
	s_or_b32 exec_lo, exec_lo, s26
	s_mov_b32 s26, -1
	s_mov_b32 s1, 0
	global_store_b8 v[2:3], v4, off
.LBB55_53:
	s_mov_b32 s27, 0
.LBB55_54:
	s_delay_alu instid0(SALU_CYCLE_1)
	s_and_b32 vcc_lo, exec_lo, s27
	s_cbranch_vccz .LBB55_57
; %bb.55:
	s_cmp_eq_u32 s25, 29
	s_mov_b32 s1, -1
	s_cbranch_scc0 .LBB55_57
; %bb.56:
	s_mov_b32 s1, 0
	s_wait_xcnt 0x0
	v_cndmask_b32_e64 v4, 0, 1, s0
	v_mov_b32_e32 v5, s1
	s_mov_b32 s26, -1
	s_mov_b32 s27, 0
	global_store_b64 v[2:3], v[4:5], off
	s_branch .LBB55_58
.LBB55_57:
	s_mov_b32 s27, 0
.LBB55_58:
	s_delay_alu instid0(SALU_CYCLE_1)
	s_and_b32 vcc_lo, exec_lo, s27
	s_cbranch_vccz .LBB55_74
; %bb.59:
	s_cmp_lt_i32 s25, 27
	s_mov_b32 s26, -1
	s_cbranch_scc1 .LBB55_65
; %bb.60:
	s_cmp_gt_i32 s25, 27
	s_cbranch_scc0 .LBB55_62
; %bb.61:
	s_wait_xcnt 0x0
	v_cndmask_b32_e64 v1, 0, 1, s0
	s_mov_b32 s26, 0
	global_store_b32 v[2:3], v1, off
.LBB55_62:
	s_and_not1_b32 vcc_lo, exec_lo, s26
	s_cbranch_vccnz .LBB55_64
; %bb.63:
	s_wait_xcnt 0x0
	v_cndmask_b32_e64 v1, 0, 1, s0
	global_store_b16 v[2:3], v1, off
.LBB55_64:
	s_mov_b32 s26, 0
.LBB55_65:
	s_delay_alu instid0(SALU_CYCLE_1)
	s_and_not1_b32 vcc_lo, exec_lo, s26
	s_cbranch_vccnz .LBB55_73
; %bb.66:
	s_wait_xcnt 0x0
	v_cndmask_b32_e64 v4, 0, 1.0, s0
	v_mov_b32_e32 v5, 0x80
	s_mov_b32 s26, exec_lo
	s_delay_alu instid0(VALU_DEP_2)
	v_cmpx_gt_u32_e32 0x43800000, v4
	s_cbranch_execz .LBB55_72
; %bb.67:
	s_mov_b32 s27, 0
	s_mov_b32 s39, exec_lo
                                        ; implicit-def: $vgpr1
	v_cmpx_lt_u32_e32 0x3bffffff, v4
	s_xor_b32 s39, exec_lo, s39
	s_cbranch_execz .LBB55_310
; %bb.68:
	v_bfe_u32 v1, v4, 20, 1
	s_mov_b32 s27, exec_lo
	s_delay_alu instid0(VALU_DEP_1) | instskip(NEXT) | instid1(VALU_DEP_1)
	v_add3_u32 v1, v4, v1, 0x487ffff
                                        ; implicit-def: $vgpr4
	v_lshrrev_b32_e32 v1, 20, v1
	s_and_not1_saveexec_b32 s39, s39
	s_cbranch_execnz .LBB55_311
.LBB55_69:
	s_or_b32 exec_lo, exec_lo, s39
	v_mov_b32_e32 v5, 0
	s_and_saveexec_b32 s39, s27
.LBB55_70:
	v_mov_b32_e32 v5, v1
.LBB55_71:
	s_or_b32 exec_lo, exec_lo, s39
.LBB55_72:
	s_delay_alu instid0(SALU_CYCLE_1)
	s_or_b32 exec_lo, exec_lo, s26
	global_store_b8 v[2:3], v5, off
.LBB55_73:
	s_mov_b32 s26, -1
.LBB55_74:
	s_mov_b32 s27, 0
.LBB55_75:
	s_delay_alu instid0(SALU_CYCLE_1)
	s_and_b32 vcc_lo, exec_lo, s27
	s_cbranch_vccz .LBB55_116
; %bb.76:
	s_cmp_gt_i32 s25, 22
	s_mov_b32 s27, -1
	s_cbranch_scc0 .LBB55_108
; %bb.77:
	s_cmp_lt_i32 s25, 24
	s_mov_b32 s26, -1
	s_cbranch_scc1 .LBB55_97
; %bb.78:
	s_cmp_gt_i32 s25, 24
	s_cbranch_scc0 .LBB55_86
; %bb.79:
	s_wait_xcnt 0x0
	v_cndmask_b32_e64 v4, 0, 1.0, s0
	v_mov_b32_e32 v5, 0x80
	s_mov_b32 s26, exec_lo
	s_delay_alu instid0(VALU_DEP_2)
	v_cmpx_gt_u32_e32 0x47800000, v4
	s_cbranch_execz .LBB55_85
; %bb.80:
	s_mov_b32 s27, 0
	s_mov_b32 s39, exec_lo
                                        ; implicit-def: $vgpr1
	v_cmpx_lt_u32_e32 0x37ffffff, v4
	s_xor_b32 s39, exec_lo, s39
	s_cbranch_execz .LBB55_314
; %bb.81:
	v_bfe_u32 v1, v4, 21, 1
	s_mov_b32 s27, exec_lo
	s_delay_alu instid0(VALU_DEP_1) | instskip(NEXT) | instid1(VALU_DEP_1)
	v_add3_u32 v1, v4, v1, 0x88fffff
                                        ; implicit-def: $vgpr4
	v_lshrrev_b32_e32 v1, 21, v1
	s_and_not1_saveexec_b32 s39, s39
	s_cbranch_execnz .LBB55_315
.LBB55_82:
	s_or_b32 exec_lo, exec_lo, s39
	v_mov_b32_e32 v5, 0
	s_and_saveexec_b32 s39, s27
.LBB55_83:
	v_mov_b32_e32 v5, v1
.LBB55_84:
	s_or_b32 exec_lo, exec_lo, s39
.LBB55_85:
	s_delay_alu instid0(SALU_CYCLE_1)
	s_or_b32 exec_lo, exec_lo, s26
	s_mov_b32 s26, 0
	global_store_b8 v[2:3], v5, off
.LBB55_86:
	s_and_b32 vcc_lo, exec_lo, s26
	s_cbranch_vccz .LBB55_96
; %bb.87:
	s_wait_xcnt 0x0
	v_cndmask_b32_e64 v4, 0, 1.0, s0
	s_mov_b32 s26, exec_lo
                                        ; implicit-def: $vgpr1
	s_delay_alu instid0(VALU_DEP_1)
	v_cmpx_gt_u32_e32 0x43f00000, v4
	s_xor_b32 s26, exec_lo, s26
	s_cbranch_execz .LBB55_93
; %bb.88:
	s_mov_b32 s27, exec_lo
                                        ; implicit-def: $vgpr1
	v_cmpx_lt_u32_e32 0x3c7fffff, v4
	s_xor_b32 s27, exec_lo, s27
; %bb.89:
	v_bfe_u32 v1, v4, 20, 1
	s_delay_alu instid0(VALU_DEP_1) | instskip(NEXT) | instid1(VALU_DEP_1)
	v_add3_u32 v1, v4, v1, 0x407ffff
	v_and_b32_e32 v4, 0xff00000, v1
	v_lshrrev_b32_e32 v1, 20, v1
	s_delay_alu instid0(VALU_DEP_2) | instskip(NEXT) | instid1(VALU_DEP_2)
	v_cmp_ne_u32_e32 vcc_lo, 0x7f00000, v4
                                        ; implicit-def: $vgpr4
	v_cndmask_b32_e32 v1, 0x7e, v1, vcc_lo
; %bb.90:
	s_and_not1_saveexec_b32 s27, s27
; %bb.91:
	v_add_f32_e32 v1, 0x46800000, v4
; %bb.92:
	s_or_b32 exec_lo, exec_lo, s27
                                        ; implicit-def: $vgpr4
.LBB55_93:
	s_and_not1_saveexec_b32 s26, s26
; %bb.94:
	v_mov_b32_e32 v1, 0x7f
	v_cmp_lt_u32_e32 vcc_lo, 0x7f800000, v4
	s_delay_alu instid0(VALU_DEP_2)
	v_cndmask_b32_e32 v1, 0x7e, v1, vcc_lo
; %bb.95:
	s_or_b32 exec_lo, exec_lo, s26
	global_store_b8 v[2:3], v1, off
.LBB55_96:
	s_mov_b32 s26, 0
.LBB55_97:
	s_delay_alu instid0(SALU_CYCLE_1)
	s_and_not1_b32 vcc_lo, exec_lo, s26
	s_cbranch_vccnz .LBB55_107
; %bb.98:
	s_wait_xcnt 0x0
	v_cndmask_b32_e64 v4, 0, 1.0, s0
	s_mov_b32 s26, exec_lo
                                        ; implicit-def: $vgpr1
	s_delay_alu instid0(VALU_DEP_1)
	v_cmpx_gt_u32_e32 0x47800000, v4
	s_xor_b32 s26, exec_lo, s26
	s_cbranch_execz .LBB55_104
; %bb.99:
	s_mov_b32 s27, exec_lo
                                        ; implicit-def: $vgpr1
	v_cmpx_lt_u32_e32 0x387fffff, v4
	s_xor_b32 s27, exec_lo, s27
; %bb.100:
	v_bfe_u32 v1, v4, 21, 1
	s_delay_alu instid0(VALU_DEP_1) | instskip(NEXT) | instid1(VALU_DEP_1)
	v_add3_u32 v1, v4, v1, 0x80fffff
                                        ; implicit-def: $vgpr4
	v_lshrrev_b32_e32 v1, 21, v1
; %bb.101:
	s_and_not1_saveexec_b32 s27, s27
; %bb.102:
	v_add_f32_e32 v1, 0x43000000, v4
; %bb.103:
	s_or_b32 exec_lo, exec_lo, s27
                                        ; implicit-def: $vgpr4
.LBB55_104:
	s_and_not1_saveexec_b32 s26, s26
; %bb.105:
	v_mov_b32_e32 v1, 0x7f
	v_cmp_lt_u32_e32 vcc_lo, 0x7f800000, v4
	s_delay_alu instid0(VALU_DEP_2)
	v_cndmask_b32_e32 v1, 0x7c, v1, vcc_lo
; %bb.106:
	s_or_b32 exec_lo, exec_lo, s26
	global_store_b8 v[2:3], v1, off
.LBB55_107:
	s_mov_b32 s27, 0
	s_mov_b32 s26, -1
.LBB55_108:
	s_and_not1_b32 vcc_lo, exec_lo, s27
	s_cbranch_vccnz .LBB55_116
; %bb.109:
	s_cmp_gt_i32 s25, 14
	s_mov_b32 s27, -1
	s_cbranch_scc0 .LBB55_113
; %bb.110:
	s_cmp_eq_u32 s25, 15
	s_mov_b32 s1, -1
	s_cbranch_scc0 .LBB55_112
; %bb.111:
	s_wait_xcnt 0x0
	v_cndmask_b32_e64 v1, 0, 1.0, s0
	s_mov_b32 s26, -1
	s_mov_b32 s1, 0
	s_delay_alu instid0(VALU_DEP_1) | instskip(NEXT) | instid1(VALU_DEP_1)
	v_bfe_u32 v4, v1, 16, 1
	v_add3_u32 v1, v1, v4, 0x7fff
	global_store_d16_hi_b16 v[2:3], v1, off
.LBB55_112:
	s_mov_b32 s27, 0
.LBB55_113:
	s_delay_alu instid0(SALU_CYCLE_1)
	s_and_b32 vcc_lo, exec_lo, s27
	s_cbranch_vccz .LBB55_116
; %bb.114:
	s_cmp_eq_u32 s25, 11
	s_mov_b32 s1, -1
	s_cbranch_scc0 .LBB55_116
; %bb.115:
	s_wait_xcnt 0x0
	v_cndmask_b32_e64 v1, 0, 1, s0
	s_mov_b32 s26, -1
	s_mov_b32 s1, 0
	global_store_b8 v[2:3], v1, off
.LBB55_116:
	s_branch .LBB55_35
.LBB55_117:
	s_and_b32 s18, 0xffff, s18
	s_mov_b32 s25, -1
	s_cmp_lt_i32 s18, 5
	s_cbranch_scc1 .LBB55_138
; %bb.118:
	s_cmp_lt_i32 s18, 8
	s_cbranch_scc1 .LBB55_128
; %bb.119:
	;; [unrolled: 3-line block ×3, first 2 shown]
	s_cmp_gt_i32 s18, 9
	s_cbranch_scc0 .LBB55_122
; %bb.121:
	s_wait_xcnt 0x0
	v_cndmask_b32_e64 v1, 0, 1, s0
	v_mov_b32_e32 v6, 0
	s_mov_b32 s25, 0
	s_delay_alu instid0(VALU_DEP_2) | instskip(NEXT) | instid1(VALU_DEP_2)
	v_cvt_f64_u32_e32 v[4:5], v1
	v_mov_b32_e32 v7, v6
	global_store_b128 v[2:3], v[4:7], off
.LBB55_122:
	s_and_not1_b32 vcc_lo, exec_lo, s25
	s_cbranch_vccnz .LBB55_124
; %bb.123:
	s_wait_xcnt 0x0
	v_cndmask_b32_e64 v4, 0, 1.0, s0
	v_mov_b32_e32 v5, 0
	global_store_b64 v[2:3], v[4:5], off
.LBB55_124:
	s_mov_b32 s25, 0
.LBB55_125:
	s_delay_alu instid0(SALU_CYCLE_1)
	s_and_not1_b32 vcc_lo, exec_lo, s25
	s_cbranch_vccnz .LBB55_127
; %bb.126:
	s_wait_xcnt 0x0
	v_cndmask_b32_e64 v1, 0, 1.0, s0
	s_delay_alu instid0(VALU_DEP_1) | instskip(NEXT) | instid1(VALU_DEP_1)
	v_cvt_f16_f32_e32 v1, v1
	v_and_b32_e32 v1, 0xffff, v1
	global_store_b32 v[2:3], v1, off
.LBB55_127:
	s_mov_b32 s25, 0
.LBB55_128:
	s_delay_alu instid0(SALU_CYCLE_1)
	s_and_not1_b32 vcc_lo, exec_lo, s25
	s_cbranch_vccnz .LBB55_137
; %bb.129:
	s_cmp_lt_i32 s18, 6
	s_mov_b32 s25, -1
	s_cbranch_scc1 .LBB55_135
; %bb.130:
	s_cmp_gt_i32 s18, 6
	s_cbranch_scc0 .LBB55_132
; %bb.131:
	s_wait_xcnt 0x0
	v_cndmask_b32_e64 v1, 0, 1, s0
	s_mov_b32 s25, 0
	s_delay_alu instid0(VALU_DEP_1)
	v_cvt_f64_u32_e32 v[4:5], v1
	global_store_b64 v[2:3], v[4:5], off
.LBB55_132:
	s_and_not1_b32 vcc_lo, exec_lo, s25
	s_cbranch_vccnz .LBB55_134
; %bb.133:
	s_wait_xcnt 0x0
	v_cndmask_b32_e64 v1, 0, 1.0, s0
	global_store_b32 v[2:3], v1, off
.LBB55_134:
	s_mov_b32 s25, 0
.LBB55_135:
	s_delay_alu instid0(SALU_CYCLE_1)
	s_and_not1_b32 vcc_lo, exec_lo, s25
	s_cbranch_vccnz .LBB55_137
; %bb.136:
	s_wait_xcnt 0x0
	v_cndmask_b32_e64 v1, 0, 1.0, s0
	s_delay_alu instid0(VALU_DEP_1)
	v_cvt_f16_f32_e32 v1, v1
	global_store_b16 v[2:3], v1, off
.LBB55_137:
	s_mov_b32 s25, 0
.LBB55_138:
	s_delay_alu instid0(SALU_CYCLE_1)
	s_and_not1_b32 vcc_lo, exec_lo, s25
	s_cbranch_vccnz .LBB55_154
; %bb.139:
	s_cmp_lt_i32 s18, 2
	s_mov_b32 s25, -1
	s_cbranch_scc1 .LBB55_149
; %bb.140:
	s_cmp_lt_i32 s18, 3
	s_cbranch_scc1 .LBB55_146
; %bb.141:
	s_cmp_gt_i32 s18, 3
	s_cbranch_scc0 .LBB55_143
; %bb.142:
	s_mov_b32 s25, 0
	s_wait_xcnt 0x0
	v_cndmask_b32_e64 v4, 0, 1, s0
	v_mov_b32_e32 v5, s25
	global_store_b64 v[2:3], v[4:5], off
.LBB55_143:
	s_and_not1_b32 vcc_lo, exec_lo, s25
	s_cbranch_vccnz .LBB55_145
; %bb.144:
	s_wait_xcnt 0x0
	v_cndmask_b32_e64 v1, 0, 1, s0
	global_store_b32 v[2:3], v1, off
.LBB55_145:
	s_mov_b32 s25, 0
.LBB55_146:
	s_delay_alu instid0(SALU_CYCLE_1)
	s_and_not1_b32 vcc_lo, exec_lo, s25
	s_cbranch_vccnz .LBB55_148
; %bb.147:
	s_wait_xcnt 0x0
	v_cndmask_b32_e64 v1, 0, 1, s0
	global_store_b16 v[2:3], v1, off
.LBB55_148:
	s_mov_b32 s25, 0
.LBB55_149:
	s_delay_alu instid0(SALU_CYCLE_1)
	s_and_not1_b32 vcc_lo, exec_lo, s25
	s_cbranch_vccnz .LBB55_154
; %bb.150:
	s_cmp_gt_i32 s18, 0
	s_mov_b32 s18, -1
	s_cbranch_scc0 .LBB55_152
; %bb.151:
	s_wait_xcnt 0x0
	v_cndmask_b32_e64 v1, 0, 1, s0
	s_mov_b32 s18, 0
	global_store_b8 v[2:3], v1, off
.LBB55_152:
	s_and_not1_b32 vcc_lo, exec_lo, s18
	s_cbranch_vccnz .LBB55_154
; %bb.153:
	s_wait_xcnt 0x0
	v_cndmask_b32_e64 v1, 0, 1, s0
	global_store_b8 v[2:3], v1, off
.LBB55_154:
.LBB55_155:
	v_add_nc_u32_e32 v0, 0x80, v0
	s_mov_b32 s0, -1
	s_branch .LBB55_266
.LBB55_156:
	s_mov_b32 s24, -1
                                        ; implicit-def: $vgpr1
.LBB55_157:
	s_mov_b32 s18, 0
.LBB55_158:
	s_delay_alu instid0(SALU_CYCLE_1)
	s_and_b32 vcc_lo, exec_lo, s18
	s_cbranch_vccz .LBB55_162
; %bb.159:
	s_cmp_eq_u32 s0, 29
	s_cbranch_scc0 .LBB55_161
; %bb.160:
	global_load_b64 v[6:7], v[4:5], off
	s_mov_b32 s1, -1
	s_mov_b32 s24, 0
	s_mov_b32 s18, 0
	s_wait_loadcnt 0x0
	v_clz_i32_u32_e32 v1, v7
	s_delay_alu instid0(VALU_DEP_1) | instskip(NEXT) | instid1(VALU_DEP_1)
	v_min_u32_e32 v1, 32, v1
	v_lshlrev_b64_e32 v[6:7], v1, v[6:7]
	v_sub_nc_u32_e32 v1, 32, v1
	s_delay_alu instid0(VALU_DEP_2) | instskip(NEXT) | instid1(VALU_DEP_1)
	v_min_u32_e32 v3, 1, v6
	v_or_b32_e32 v3, v7, v3
	s_delay_alu instid0(VALU_DEP_1) | instskip(NEXT) | instid1(VALU_DEP_1)
	v_cvt_f32_u32_e32 v3, v3
	v_ldexp_f32 v1, v3, v1
	s_delay_alu instid0(VALU_DEP_1)
	v_cvt_f16_f32_e32 v1, v1
	s_branch .LBB55_163
.LBB55_161:
	s_mov_b32 s24, -1
                                        ; implicit-def: $vgpr1
.LBB55_162:
	s_mov_b32 s18, 0
.LBB55_163:
	s_delay_alu instid0(SALU_CYCLE_1)
	s_and_b32 vcc_lo, exec_lo, s18
	s_cbranch_vccz .LBB55_181
; %bb.164:
	s_cmp_lt_i32 s0, 27
	s_cbranch_scc1 .LBB55_167
; %bb.165:
	s_cmp_gt_i32 s0, 27
	s_cbranch_scc0 .LBB55_168
; %bb.166:
	global_load_b32 v1, v[4:5], off
	s_mov_b32 s1, 0
	s_wait_loadcnt 0x0
	v_cvt_f32_u32_e32 v1, v1
	s_delay_alu instid0(VALU_DEP_1)
	v_cvt_f16_f32_e32 v1, v1
	s_branch .LBB55_169
.LBB55_167:
	s_mov_b32 s1, -1
                                        ; implicit-def: $vgpr1
	s_branch .LBB55_172
.LBB55_168:
	s_mov_b32 s1, -1
                                        ; implicit-def: $vgpr1
.LBB55_169:
	s_delay_alu instid0(SALU_CYCLE_1)
	s_and_not1_b32 vcc_lo, exec_lo, s1
	s_cbranch_vccnz .LBB55_171
; %bb.170:
	global_load_u16 v1, v[4:5], off
	s_wait_loadcnt 0x0
	v_cvt_f16_u16_e32 v1, v1
.LBB55_171:
	s_mov_b32 s1, 0
.LBB55_172:
	s_delay_alu instid0(SALU_CYCLE_1)
	s_and_not1_b32 vcc_lo, exec_lo, s1
	s_cbranch_vccnz .LBB55_180
; %bb.173:
	global_load_u8 v3, v[4:5], off
	s_mov_b32 s1, 0
	s_mov_b32 s18, exec_lo
	s_wait_loadcnt 0x0
	v_cmpx_lt_i16_e32 0x7f, v3
	s_xor_b32 s18, exec_lo, s18
	s_cbranch_execz .LBB55_193
; %bb.174:
	s_mov_b32 s1, -1
	s_mov_b32 s25, exec_lo
	v_cmpx_eq_u16_e32 0x80, v3
; %bb.175:
	s_xor_b32 s1, exec_lo, -1
; %bb.176:
	s_or_b32 exec_lo, exec_lo, s25
	s_delay_alu instid0(SALU_CYCLE_1)
	s_and_b32 s1, s1, exec_lo
	s_or_saveexec_b32 s18, s18
	v_mov_b32_e32 v1, 0x7e00
	s_xor_b32 exec_lo, exec_lo, s18
	s_cbranch_execnz .LBB55_194
.LBB55_177:
	s_or_b32 exec_lo, exec_lo, s18
	s_and_saveexec_b32 s18, s1
	s_cbranch_execz .LBB55_179
.LBB55_178:
	v_and_b32_e32 v1, 0xffff, v3
	s_delay_alu instid0(VALU_DEP_1) | instskip(SKIP_1) | instid1(VALU_DEP_2)
	v_and_b32_e32 v6, 7, v1
	v_bfe_u32 v9, v1, 3, 4
	v_clz_i32_u32_e32 v7, v6
	s_delay_alu instid0(VALU_DEP_2) | instskip(NEXT) | instid1(VALU_DEP_2)
	v_cmp_eq_u32_e32 vcc_lo, 0, v9
	v_min_u32_e32 v7, 32, v7
	s_delay_alu instid0(VALU_DEP_1) | instskip(NEXT) | instid1(VALU_DEP_1)
	v_subrev_nc_u32_e32 v8, 28, v7
	v_dual_lshlrev_b32 v1, v8, v1 :: v_dual_sub_nc_u32 v7, 29, v7
	s_delay_alu instid0(VALU_DEP_1) | instskip(NEXT) | instid1(VALU_DEP_1)
	v_dual_lshlrev_b32 v3, 24, v3 :: v_dual_bitop2_b32 v1, 7, v1 bitop3:0x40
	v_dual_cndmask_b32 v1, v6, v1, vcc_lo :: v_dual_cndmask_b32 v7, v9, v7, vcc_lo
	s_delay_alu instid0(VALU_DEP_2) | instskip(NEXT) | instid1(VALU_DEP_2)
	v_and_b32_e32 v3, 0x80000000, v3
	v_lshlrev_b32_e32 v1, 20, v1
	s_delay_alu instid0(VALU_DEP_3) | instskip(NEXT) | instid1(VALU_DEP_1)
	v_lshl_add_u32 v6, v7, 23, 0x3b800000
	v_or3_b32 v1, v3, v6, v1
	s_delay_alu instid0(VALU_DEP_1)
	v_cvt_f16_f32_e32 v1, v1
.LBB55_179:
	s_or_b32 exec_lo, exec_lo, s18
.LBB55_180:
	s_mov_b32 s1, -1
.LBB55_181:
	s_branch .LBB55_216
.LBB55_182:
	s_cmp_gt_i32 s0, 22
	s_cbranch_scc0 .LBB55_192
; %bb.183:
	s_cmp_lt_i32 s0, 24
	s_cbranch_scc1 .LBB55_195
; %bb.184:
	s_cmp_gt_i32 s0, 24
	s_cbranch_scc0 .LBB55_196
; %bb.185:
	global_load_u8 v3, v[4:5], off
	s_mov_b32 s1, 0
	s_mov_b32 s18, exec_lo
	s_wait_loadcnt 0x0
	v_cmpx_lt_i16_e32 0x7f, v3
	s_xor_b32 s18, exec_lo, s18
	s_cbranch_execz .LBB55_208
; %bb.186:
	s_mov_b32 s1, -1
	s_mov_b32 s25, exec_lo
	v_cmpx_eq_u16_e32 0x80, v3
; %bb.187:
	s_xor_b32 s1, exec_lo, -1
; %bb.188:
	s_or_b32 exec_lo, exec_lo, s25
	s_delay_alu instid0(SALU_CYCLE_1)
	s_and_b32 s1, s1, exec_lo
	s_or_saveexec_b32 s18, s18
	v_mov_b32_e32 v1, 0x7e00
	s_xor_b32 exec_lo, exec_lo, s18
	s_cbranch_execnz .LBB55_209
.LBB55_189:
	s_or_b32 exec_lo, exec_lo, s18
	s_and_saveexec_b32 s18, s1
	s_cbranch_execz .LBB55_191
.LBB55_190:
	v_and_b32_e32 v1, 0xffff, v3
	s_delay_alu instid0(VALU_DEP_1) | instskip(SKIP_1) | instid1(VALU_DEP_2)
	v_and_b32_e32 v6, 3, v1
	v_bfe_u32 v9, v1, 2, 5
	v_clz_i32_u32_e32 v7, v6
	s_delay_alu instid0(VALU_DEP_2) | instskip(NEXT) | instid1(VALU_DEP_2)
	v_cmp_eq_u32_e32 vcc_lo, 0, v9
	v_min_u32_e32 v7, 32, v7
	s_delay_alu instid0(VALU_DEP_1) | instskip(NEXT) | instid1(VALU_DEP_1)
	v_subrev_nc_u32_e32 v8, 29, v7
	v_dual_lshlrev_b32 v1, v8, v1 :: v_dual_sub_nc_u32 v7, 30, v7
	s_delay_alu instid0(VALU_DEP_1) | instskip(NEXT) | instid1(VALU_DEP_1)
	v_dual_lshlrev_b32 v3, 24, v3 :: v_dual_bitop2_b32 v1, 3, v1 bitop3:0x40
	v_dual_cndmask_b32 v1, v6, v1, vcc_lo :: v_dual_cndmask_b32 v7, v9, v7, vcc_lo
	s_delay_alu instid0(VALU_DEP_2) | instskip(NEXT) | instid1(VALU_DEP_2)
	v_and_b32_e32 v3, 0x80000000, v3
	v_lshlrev_b32_e32 v1, 21, v1
	s_delay_alu instid0(VALU_DEP_3) | instskip(NEXT) | instid1(VALU_DEP_1)
	v_lshl_add_u32 v6, v7, 23, 0x37800000
	v_or3_b32 v1, v3, v6, v1
	s_delay_alu instid0(VALU_DEP_1)
	v_cvt_f16_f32_e32 v1, v1
.LBB55_191:
	s_or_b32 exec_lo, exec_lo, s18
	s_mov_b32 s1, 0
	s_branch .LBB55_197
.LBB55_192:
	s_mov_b32 s18, -1
                                        ; implicit-def: $vgpr1
	s_branch .LBB55_203
.LBB55_193:
	s_or_saveexec_b32 s18, s18
	v_mov_b32_e32 v1, 0x7e00
	s_xor_b32 exec_lo, exec_lo, s18
	s_cbranch_execz .LBB55_177
.LBB55_194:
	v_cmp_ne_u16_e32 vcc_lo, 0, v3
	v_mov_b32_e32 v1, v3
	s_and_not1_b32 s1, s1, exec_lo
	s_and_b32 s25, vcc_lo, exec_lo
	s_delay_alu instid0(SALU_CYCLE_1)
	s_or_b32 s1, s1, s25
	s_or_b32 exec_lo, exec_lo, s18
	s_and_saveexec_b32 s18, s1
	s_cbranch_execnz .LBB55_178
	s_branch .LBB55_179
.LBB55_195:
	s_mov_b32 s1, -1
                                        ; implicit-def: $vgpr1
	s_branch .LBB55_200
.LBB55_196:
	s_mov_b32 s1, -1
                                        ; implicit-def: $vgpr1
.LBB55_197:
	s_delay_alu instid0(SALU_CYCLE_1)
	s_and_b32 vcc_lo, exec_lo, s1
	s_cbranch_vccz .LBB55_199
; %bb.198:
	global_load_u8 v1, v[4:5], off
	s_wait_loadcnt 0x0
	v_lshlrev_b32_e32 v1, 24, v1
	s_delay_alu instid0(VALU_DEP_1) | instskip(NEXT) | instid1(VALU_DEP_1)
	v_and_b32_e32 v3, 0x7f000000, v1
	v_clz_i32_u32_e32 v6, v3
	v_cmp_ne_u32_e32 vcc_lo, 0, v3
	v_add_nc_u32_e32 v8, 0x1000000, v3
	s_delay_alu instid0(VALU_DEP_3) | instskip(NEXT) | instid1(VALU_DEP_1)
	v_min_u32_e32 v6, 32, v6
	v_sub_nc_u32_e64 v6, v6, 4 clamp
	s_delay_alu instid0(VALU_DEP_1) | instskip(NEXT) | instid1(VALU_DEP_1)
	v_dual_lshlrev_b32 v7, v6, v3 :: v_dual_lshlrev_b32 v6, 23, v6
	v_lshrrev_b32_e32 v7, 4, v7
	s_delay_alu instid0(VALU_DEP_1) | instskip(NEXT) | instid1(VALU_DEP_1)
	v_dual_sub_nc_u32 v6, v7, v6 :: v_dual_ashrrev_i32 v7, 8, v8
	v_add_nc_u32_e32 v6, 0x3c000000, v6
	s_delay_alu instid0(VALU_DEP_1) | instskip(NEXT) | instid1(VALU_DEP_1)
	v_and_or_b32 v6, 0x7f800000, v7, v6
	v_cndmask_b32_e32 v3, 0, v6, vcc_lo
	s_delay_alu instid0(VALU_DEP_1) | instskip(NEXT) | instid1(VALU_DEP_1)
	v_and_or_b32 v1, 0x80000000, v1, v3
	v_cvt_f16_f32_e32 v1, v1
.LBB55_199:
	s_mov_b32 s1, 0
.LBB55_200:
	s_delay_alu instid0(SALU_CYCLE_1)
	s_and_not1_b32 vcc_lo, exec_lo, s1
	s_cbranch_vccnz .LBB55_202
; %bb.201:
	global_load_u8 v1, v[4:5], off
	s_wait_loadcnt 0x0
	v_lshlrev_b32_e32 v3, 25, v1
	v_lshlrev_b16 v1, 8, v1
	s_delay_alu instid0(VALU_DEP_1) | instskip(SKIP_1) | instid1(VALU_DEP_2)
	v_and_or_b32 v7, 0x7f00, v1, 0.5
	v_bfe_i32 v1, v1, 0, 16
	v_add_f32_e32 v7, -0.5, v7
	v_lshrrev_b32_e32 v6, 4, v3
	v_cmp_gt_u32_e32 vcc_lo, 0x8000000, v3
	s_delay_alu instid0(VALU_DEP_2) | instskip(NEXT) | instid1(VALU_DEP_1)
	v_or_b32_e32 v6, 0x70000000, v6
	v_mul_f32_e32 v6, 0x7800000, v6
	s_delay_alu instid0(VALU_DEP_1) | instskip(NEXT) | instid1(VALU_DEP_1)
	v_cndmask_b32_e32 v3, v6, v7, vcc_lo
	v_and_or_b32 v1, 0x80000000, v1, v3
	s_delay_alu instid0(VALU_DEP_1)
	v_cvt_f16_f32_e32 v1, v1
.LBB55_202:
	s_mov_b32 s18, 0
	s_mov_b32 s1, -1
.LBB55_203:
	s_and_not1_b32 vcc_lo, exec_lo, s18
	s_cbranch_vccnz .LBB55_216
; %bb.204:
	s_cmp_gt_i32 s0, 14
	s_cbranch_scc0 .LBB55_207
; %bb.205:
	s_cmp_eq_u32 s0, 15
	s_cbranch_scc0 .LBB55_210
; %bb.206:
	global_load_u16 v1, v[4:5], off
	s_mov_b32 s1, -1
	s_mov_b32 s24, 0
	s_wait_loadcnt 0x0
	v_lshlrev_b32_e32 v1, 16, v1
	s_delay_alu instid0(VALU_DEP_1)
	v_cvt_f16_f32_e32 v1, v1
	s_branch .LBB55_211
.LBB55_207:
	s_mov_b32 s18, -1
                                        ; implicit-def: $vgpr1
	s_branch .LBB55_212
.LBB55_208:
	s_or_saveexec_b32 s18, s18
	v_mov_b32_e32 v1, 0x7e00
	s_xor_b32 exec_lo, exec_lo, s18
	s_cbranch_execz .LBB55_189
.LBB55_209:
	v_cmp_ne_u16_e32 vcc_lo, 0, v3
	v_mov_b32_e32 v1, v3
	s_and_not1_b32 s1, s1, exec_lo
	s_and_b32 s25, vcc_lo, exec_lo
	s_delay_alu instid0(SALU_CYCLE_1)
	s_or_b32 s1, s1, s25
	s_or_b32 exec_lo, exec_lo, s18
	s_and_saveexec_b32 s18, s1
	s_cbranch_execnz .LBB55_190
	s_branch .LBB55_191
.LBB55_210:
	s_mov_b32 s24, -1
                                        ; implicit-def: $vgpr1
.LBB55_211:
	s_mov_b32 s18, 0
.LBB55_212:
	s_delay_alu instid0(SALU_CYCLE_1)
	s_and_b32 vcc_lo, exec_lo, s18
	s_cbranch_vccz .LBB55_216
; %bb.213:
	s_cmp_eq_u32 s0, 11
	s_cbranch_scc0 .LBB55_215
; %bb.214:
	global_load_u8 v1, v[4:5], off
	s_mov_b32 s24, 0
	s_mov_b32 s1, -1
	s_wait_loadcnt 0x0
	v_cmp_ne_u16_e32 vcc_lo, 0, v1
	v_cndmask_b32_e64 v1, 0, 0x3c00, vcc_lo
	s_branch .LBB55_216
.LBB55_215:
	s_mov_b32 s24, -1
                                        ; implicit-def: $vgpr1
.LBB55_216:
	s_branch .LBB55_25
.LBB55_217:
	s_cmp_lt_i32 s0, 5
	s_cbranch_scc1 .LBB55_222
; %bb.218:
	s_cmp_lt_i32 s0, 8
	s_cbranch_scc1 .LBB55_223
; %bb.219:
	;; [unrolled: 3-line block ×3, first 2 shown]
	s_cmp_gt_i32 s0, 9
	s_cbranch_scc0 .LBB55_225
; %bb.221:
	global_load_b64 v[6:7], v[4:5], off
	s_mov_b32 s1, 0
	s_wait_loadcnt 0x0
	v_and_or_b32 v1, 0x1ff, v7, v6
	v_lshrrev_b32_e32 v3, 8, v7
	v_bfe_u32 v6, v7, 20, 11
	s_delay_alu instid0(VALU_DEP_3) | instskip(NEXT) | instid1(VALU_DEP_2)
	v_cmp_ne_u32_e32 vcc_lo, 0, v1
	v_sub_nc_u32_e32 v8, 0x3f1, v6
	v_add_nc_u32_e32 v6, 0xfffffc10, v6
	v_cndmask_b32_e64 v1, 0, 1, vcc_lo
	s_delay_alu instid0(VALU_DEP_1) | instskip(NEXT) | instid1(VALU_DEP_4)
	v_and_or_b32 v1, 0xffe, v3, v1
	v_med3_i32 v3, v8, 0, 13
	s_delay_alu instid0(VALU_DEP_2) | instskip(NEXT) | instid1(VALU_DEP_1)
	v_or_b32_e32 v8, 0x1000, v1
	v_lshrrev_b32_e32 v9, v3, v8
	s_delay_alu instid0(VALU_DEP_1) | instskip(NEXT) | instid1(VALU_DEP_1)
	v_lshlrev_b32_e32 v3, v3, v9
	v_cmp_ne_u32_e32 vcc_lo, v3, v8
	v_lshl_or_b32 v8, v6, 12, v1
	v_cndmask_b32_e64 v3, 0, 1, vcc_lo
	v_cmp_gt_i32_e32 vcc_lo, 1, v6
	s_delay_alu instid0(VALU_DEP_2) | instskip(NEXT) | instid1(VALU_DEP_1)
	v_or_b32_e32 v3, v9, v3
	v_cndmask_b32_e32 v3, v8, v3, vcc_lo
	s_delay_alu instid0(VALU_DEP_1) | instskip(NEXT) | instid1(VALU_DEP_1)
	v_dual_lshrrev_b32 v3, 2, v3 :: v_dual_bitop2_b32 v8, 7, v3 bitop3:0x40
	v_cmp_lt_i32_e32 vcc_lo, 5, v8
	v_cndmask_b32_e64 v9, 0, 1, vcc_lo
	v_cmp_eq_u32_e32 vcc_lo, 3, v8
	v_cndmask_b32_e64 v8, 0, 1, vcc_lo
	v_cmp_ne_u32_e32 vcc_lo, 0, v1
	s_delay_alu instid0(VALU_DEP_2) | instskip(SKIP_1) | instid1(VALU_DEP_2)
	v_or_b32_e32 v8, v8, v9
	v_mov_b32_e32 v9, 0x7e00
	v_add_nc_u32_e32 v3, v3, v8
	s_delay_alu instid0(VALU_DEP_2) | instskip(SKIP_1) | instid1(VALU_DEP_3)
	v_cndmask_b32_e32 v1, 0x7c00, v9, vcc_lo
	v_cmp_gt_i32_e32 vcc_lo, 31, v6
	v_cndmask_b32_e32 v3, 0x7c00, v3, vcc_lo
	v_cmp_eq_u32_e32 vcc_lo, 0x40f, v6
	s_delay_alu instid0(VALU_DEP_2) | instskip(NEXT) | instid1(VALU_DEP_1)
	v_dual_cndmask_b32 v1, v3, v1, vcc_lo :: v_dual_lshrrev_b32 v3, 16, v7
	v_and_or_b32 v1, 0x8000, v3, v1
	s_branch .LBB55_226
.LBB55_222:
                                        ; implicit-def: $vgpr1
	s_branch .LBB55_244
.LBB55_223:
	s_mov_b32 s1, -1
                                        ; implicit-def: $vgpr1
	s_branch .LBB55_232
.LBB55_224:
	s_mov_b32 s1, -1
                                        ; implicit-def: $vgpr1
	s_branch .LBB55_229
.LBB55_225:
	s_mov_b32 s1, -1
                                        ; implicit-def: $vgpr1
.LBB55_226:
	s_delay_alu instid0(SALU_CYCLE_1)
	s_and_not1_b32 vcc_lo, exec_lo, s1
	s_cbranch_vccnz .LBB55_228
; %bb.227:
	global_load_b32 v1, v[4:5], off
	s_wait_loadcnt 0x0
	v_cvt_f16_f32_e32 v1, v1
.LBB55_228:
	s_mov_b32 s1, 0
.LBB55_229:
	s_delay_alu instid0(SALU_CYCLE_1)
	s_and_not1_b32 vcc_lo, exec_lo, s1
	s_cbranch_vccnz .LBB55_231
; %bb.230:
	global_load_b32 v1, v[4:5], off
.LBB55_231:
	s_mov_b32 s1, 0
.LBB55_232:
	s_delay_alu instid0(SALU_CYCLE_1)
	s_and_not1_b32 vcc_lo, exec_lo, s1
	s_cbranch_vccnz .LBB55_243
; %bb.233:
	s_cmp_lt_i32 s0, 6
	s_cbranch_scc1 .LBB55_236
; %bb.234:
	s_cmp_gt_i32 s0, 6
	s_cbranch_scc0 .LBB55_237
; %bb.235:
	global_load_b64 v[6:7], v[4:5], off
	s_mov_b32 s1, 0
	s_wait_loadcnt 0x0
	v_and_or_b32 v1, 0x1ff, v7, v6
	v_lshrrev_b32_e32 v3, 8, v7
	v_bfe_u32 v6, v7, 20, 11
	s_delay_alu instid0(VALU_DEP_3) | instskip(NEXT) | instid1(VALU_DEP_2)
	v_cmp_ne_u32_e32 vcc_lo, 0, v1
	v_sub_nc_u32_e32 v8, 0x3f1, v6
	v_add_nc_u32_e32 v6, 0xfffffc10, v6
	v_cndmask_b32_e64 v1, 0, 1, vcc_lo
	s_delay_alu instid0(VALU_DEP_1) | instskip(NEXT) | instid1(VALU_DEP_4)
	v_and_or_b32 v1, 0xffe, v3, v1
	v_med3_i32 v3, v8, 0, 13
	s_delay_alu instid0(VALU_DEP_2) | instskip(NEXT) | instid1(VALU_DEP_1)
	v_or_b32_e32 v8, 0x1000, v1
	v_lshrrev_b32_e32 v9, v3, v8
	s_delay_alu instid0(VALU_DEP_1) | instskip(NEXT) | instid1(VALU_DEP_1)
	v_lshlrev_b32_e32 v3, v3, v9
	v_cmp_ne_u32_e32 vcc_lo, v3, v8
	v_lshl_or_b32 v8, v6, 12, v1
	v_cndmask_b32_e64 v3, 0, 1, vcc_lo
	v_cmp_gt_i32_e32 vcc_lo, 1, v6
	s_delay_alu instid0(VALU_DEP_2) | instskip(NEXT) | instid1(VALU_DEP_1)
	v_or_b32_e32 v3, v9, v3
	v_cndmask_b32_e32 v3, v8, v3, vcc_lo
	s_delay_alu instid0(VALU_DEP_1) | instskip(NEXT) | instid1(VALU_DEP_1)
	v_dual_lshrrev_b32 v3, 2, v3 :: v_dual_bitop2_b32 v8, 7, v3 bitop3:0x40
	v_cmp_lt_i32_e32 vcc_lo, 5, v8
	v_cndmask_b32_e64 v9, 0, 1, vcc_lo
	v_cmp_eq_u32_e32 vcc_lo, 3, v8
	v_cndmask_b32_e64 v8, 0, 1, vcc_lo
	v_cmp_ne_u32_e32 vcc_lo, 0, v1
	s_delay_alu instid0(VALU_DEP_2) | instskip(SKIP_1) | instid1(VALU_DEP_2)
	v_or_b32_e32 v8, v8, v9
	v_mov_b32_e32 v9, 0x7e00
	v_add_nc_u32_e32 v3, v3, v8
	s_delay_alu instid0(VALU_DEP_2) | instskip(SKIP_1) | instid1(VALU_DEP_3)
	v_cndmask_b32_e32 v1, 0x7c00, v9, vcc_lo
	v_cmp_gt_i32_e32 vcc_lo, 31, v6
	v_cndmask_b32_e32 v3, 0x7c00, v3, vcc_lo
	v_cmp_eq_u32_e32 vcc_lo, 0x40f, v6
	s_delay_alu instid0(VALU_DEP_2) | instskip(NEXT) | instid1(VALU_DEP_1)
	v_dual_cndmask_b32 v1, v3, v1, vcc_lo :: v_dual_lshrrev_b32 v3, 16, v7
	v_and_or_b32 v1, 0x8000, v3, v1
	s_branch .LBB55_238
.LBB55_236:
	s_mov_b32 s1, -1
                                        ; implicit-def: $vgpr1
	s_branch .LBB55_241
.LBB55_237:
	s_mov_b32 s1, -1
                                        ; implicit-def: $vgpr1
.LBB55_238:
	s_delay_alu instid0(SALU_CYCLE_1)
	s_and_not1_b32 vcc_lo, exec_lo, s1
	s_cbranch_vccnz .LBB55_240
; %bb.239:
	s_wait_loadcnt 0x0
	global_load_b32 v1, v[4:5], off
	s_wait_loadcnt 0x0
	v_cvt_f16_f32_e32 v1, v1
.LBB55_240:
	s_mov_b32 s1, 0
.LBB55_241:
	s_delay_alu instid0(SALU_CYCLE_1)
	s_and_not1_b32 vcc_lo, exec_lo, s1
	s_cbranch_vccnz .LBB55_243
; %bb.242:
	s_wait_loadcnt 0x0
	global_load_u16 v1, v[4:5], off
.LBB55_243:
	s_cbranch_execnz .LBB55_263
.LBB55_244:
	s_cmp_lt_i32 s0, 2
	s_cbranch_scc1 .LBB55_248
; %bb.245:
	s_cmp_lt_i32 s0, 3
	s_cbranch_scc1 .LBB55_249
; %bb.246:
	s_cmp_gt_i32 s0, 3
	s_cbranch_scc0 .LBB55_250
; %bb.247:
	global_load_b64 v[6:7], v[4:5], off
	s_mov_b32 s1, 0
	s_wait_loadcnt 0x0
	v_xor_b32_e32 v1, v6, v7
	v_cls_i32_e32 v3, v7
	s_delay_alu instid0(VALU_DEP_2) | instskip(NEXT) | instid1(VALU_DEP_1)
	v_ashrrev_i32_e32 v1, 31, v1
	v_add_nc_u32_e32 v1, 32, v1
	s_delay_alu instid0(VALU_DEP_1) | instskip(NEXT) | instid1(VALU_DEP_1)
	v_add_min_u32_e64 v1, v3, -1, v1
	v_lshlrev_b64_e32 v[6:7], v1, v[6:7]
	v_sub_nc_u32_e32 v1, 32, v1
	s_delay_alu instid0(VALU_DEP_2) | instskip(NEXT) | instid1(VALU_DEP_1)
	v_min_u32_e32 v3, 1, v6
	v_or_b32_e32 v3, v7, v3
	s_delay_alu instid0(VALU_DEP_1) | instskip(NEXT) | instid1(VALU_DEP_1)
	v_cvt_f32_i32_e32 v3, v3
	v_ldexp_f32 v1, v3, v1
	s_delay_alu instid0(VALU_DEP_1)
	v_cvt_f16_f32_e32 v1, v1
	s_branch .LBB55_251
.LBB55_248:
	s_mov_b32 s1, -1
                                        ; implicit-def: $vgpr1
	s_branch .LBB55_257
.LBB55_249:
	s_mov_b32 s1, -1
                                        ; implicit-def: $vgpr1
	s_branch .LBB55_254
.LBB55_250:
	s_mov_b32 s1, -1
                                        ; implicit-def: $vgpr1
.LBB55_251:
	s_delay_alu instid0(SALU_CYCLE_1)
	s_and_not1_b32 vcc_lo, exec_lo, s1
	s_cbranch_vccnz .LBB55_253
; %bb.252:
	s_wait_loadcnt 0x0
	global_load_b32 v1, v[4:5], off
	s_wait_loadcnt 0x0
	v_cvt_f32_i32_e32 v1, v1
	s_delay_alu instid0(VALU_DEP_1)
	v_cvt_f16_f32_e32 v1, v1
.LBB55_253:
	s_mov_b32 s1, 0
.LBB55_254:
	s_delay_alu instid0(SALU_CYCLE_1)
	s_and_not1_b32 vcc_lo, exec_lo, s1
	s_cbranch_vccnz .LBB55_256
; %bb.255:
	s_wait_loadcnt 0x0
	global_load_u16 v1, v[4:5], off
	s_wait_loadcnt 0x0
	v_cvt_f16_i16_e32 v1, v1
.LBB55_256:
	s_mov_b32 s1, 0
.LBB55_257:
	s_delay_alu instid0(SALU_CYCLE_1)
	s_and_not1_b32 vcc_lo, exec_lo, s1
	s_cbranch_vccnz .LBB55_263
; %bb.258:
	s_cmp_gt_i32 s0, 0
	s_mov_b32 s0, 0
	s_cbranch_scc0 .LBB55_260
; %bb.259:
	s_wait_loadcnt 0x0
	global_load_i8 v1, v[4:5], off
	s_wait_loadcnt 0x0
	v_cvt_f16_i16_e32 v1, v1
	s_branch .LBB55_261
.LBB55_260:
	s_mov_b32 s0, -1
                                        ; implicit-def: $vgpr1
.LBB55_261:
	s_delay_alu instid0(SALU_CYCLE_1)
	s_and_not1_b32 vcc_lo, exec_lo, s0
	s_cbranch_vccnz .LBB55_263
; %bb.262:
	s_wait_loadcnt 0x0
	global_load_u8 v1, v[4:5], off
	s_wait_loadcnt 0x0
	v_cvt_f16_u16_e32 v1, v1
.LBB55_263:
	s_branch .LBB55_26
.LBB55_264:
	s_mov_b32 s1, 0
.LBB55_265:
	s_mov_b32 s0, 0
                                        ; implicit-def: $vgpr0
.LBB55_266:
	s_and_b32 s18, s1, exec_lo
	s_and_b32 s39, s24, exec_lo
	s_or_not1_b32 s24, s0, exec_lo
.LBB55_267:
	s_wait_xcnt 0x0
	s_or_b32 exec_lo, exec_lo, s40
	s_mov_b32 s25, 0
	s_mov_b32 s0, 0
                                        ; implicit-def: $vgpr4_vgpr5
                                        ; implicit-def: $vgpr2
                                        ; implicit-def: $vgpr6
	s_and_saveexec_b32 s40, s24
	s_cbranch_execz .LBB55_275
; %bb.268:
	s_mov_b32 s0, -1
	s_mov_b32 s41, s39
	s_mov_b32 s42, s18
	s_mov_b32 s43, exec_lo
	v_cmpx_gt_i32_e64 s36, v0
	s_cbranch_execz .LBB55_546
; %bb.269:
	s_and_not1_b32 vcc_lo, exec_lo, s31
	s_cbranch_vccnz .LBB55_278
; %bb.270:
	s_and_not1_b32 vcc_lo, exec_lo, s38
	s_cbranch_vccnz .LBB55_279
; %bb.271:
	s_add_co_i32 s1, s37, 1
	s_cmp_eq_u32 s29, 2
	s_cbranch_scc1 .LBB55_280
; %bb.272:
	v_dual_mov_b32 v2, 0 :: v_dual_mov_b32 v4, 0
	s_wait_loadcnt 0x0
	v_mov_b32_e32 v1, v0
	s_and_b32 s0, s1, 28
	s_mov_b32 s41, 0
	s_mov_b64 s[24:25], s[2:3]
	s_mov_b64 s[26:27], s[22:23]
.LBB55_273:                             ; =>This Inner Loop Header: Depth=1
	s_clause 0x1
	s_load_b256 s[44:51], s[24:25], 0x4
	s_load_b128 s[60:63], s[24:25], 0x24
	s_load_b256 s[52:59], s[26:27], 0x0
	s_add_co_i32 s41, s41, 4
	s_wait_xcnt 0x0
	s_add_nc_u64 s[24:25], s[24:25], 48
	s_cmp_eq_u32 s0, s41
	s_add_nc_u64 s[26:27], s[26:27], 32
	s_wait_kmcnt 0x0
	v_mul_hi_u32 v3, s45, v1
	s_delay_alu instid0(VALU_DEP_1) | instskip(NEXT) | instid1(VALU_DEP_1)
	v_add_nc_u32_e32 v3, v1, v3
	v_lshrrev_b32_e32 v3, s46, v3
	s_delay_alu instid0(VALU_DEP_1) | instskip(NEXT) | instid1(VALU_DEP_1)
	v_mul_hi_u32 v5, s48, v3
	v_add_nc_u32_e32 v5, v3, v5
	s_delay_alu instid0(VALU_DEP_1) | instskip(NEXT) | instid1(VALU_DEP_1)
	v_lshrrev_b32_e32 v5, s49, v5
	v_mul_hi_u32 v6, s51, v5
	s_delay_alu instid0(VALU_DEP_1) | instskip(SKIP_1) | instid1(VALU_DEP_1)
	v_add_nc_u32_e32 v6, v5, v6
	v_mul_lo_u32 v7, v3, s44
	v_sub_nc_u32_e32 v1, v1, v7
	v_mul_lo_u32 v7, v5, s47
	s_delay_alu instid0(VALU_DEP_4) | instskip(NEXT) | instid1(VALU_DEP_3)
	v_lshrrev_b32_e32 v6, s60, v6
	v_mad_u32 v4, v1, s53, v4
	v_mad_u32 v1, v1, s52, v2
	s_delay_alu instid0(VALU_DEP_4) | instskip(NEXT) | instid1(VALU_DEP_4)
	v_sub_nc_u32_e32 v2, v3, v7
	v_mul_hi_u32 v8, s62, v6
	v_mul_lo_u32 v3, v6, s50
	s_delay_alu instid0(VALU_DEP_3) | instskip(SKIP_1) | instid1(VALU_DEP_3)
	v_mad_u32 v4, v2, s55, v4
	v_mad_u32 v2, v2, s54, v1
	v_dual_add_nc_u32 v7, v6, v8 :: v_dual_sub_nc_u32 v3, v5, v3
	s_delay_alu instid0(VALU_DEP_1) | instskip(NEXT) | instid1(VALU_DEP_2)
	v_lshrrev_b32_e32 v1, s63, v7
	v_mad_u32 v4, v3, s57, v4
	s_delay_alu instid0(VALU_DEP_4) | instskip(NEXT) | instid1(VALU_DEP_3)
	v_mad_u32 v2, v3, s56, v2
	v_mul_lo_u32 v5, v1, s61
	s_delay_alu instid0(VALU_DEP_1) | instskip(NEXT) | instid1(VALU_DEP_1)
	v_sub_nc_u32_e32 v3, v6, v5
	v_mad_u32 v4, v3, s59, v4
	s_delay_alu instid0(VALU_DEP_4)
	v_mad_u32 v2, v3, s58, v2
	s_cbranch_scc0 .LBB55_273
; %bb.274:
	s_delay_alu instid0(VALU_DEP_2)
	v_mov_b32_e32 v3, v4
	s_branch .LBB55_281
.LBB55_275:
	s_or_b32 exec_lo, exec_lo, s40
	s_mov_b32 s1, 0
	s_and_saveexec_b32 s6, s39
	s_cbranch_execnz .LBB55_928
.LBB55_276:
	s_or_b32 exec_lo, exec_lo, s6
	s_and_saveexec_b32 s6, s17
	s_delay_alu instid0(SALU_CYCLE_1)
	s_xor_b32 s6, exec_lo, s6
	s_cbranch_execz .LBB55_929
.LBB55_277:
	global_load_u8 v0, v[4:5], off
	s_or_b32 s0, s0, exec_lo
	s_wait_loadcnt 0x0
	v_cmp_ne_u16_e32 vcc_lo, 0, v0
	v_cndmask_b32_e64 v6, 0, 0x3c00, vcc_lo
	s_wait_xcnt 0x0
	s_or_b32 exec_lo, exec_lo, s6
	s_and_saveexec_b32 s6, s25
	s_cbranch_execz .LBB55_975
	s_branch .LBB55_930
.LBB55_278:
                                        ; implicit-def: $vgpr4
                                        ; implicit-def: $vgpr2
	s_and_not1_b32 vcc_lo, exec_lo, s0
	s_cbranch_vccnz .LBB55_288
	s_branch .LBB55_286
.LBB55_279:
	v_dual_mov_b32 v4, 0 :: v_dual_mov_b32 v2, 0
	s_branch .LBB55_285
.LBB55_280:
	v_mov_b64_e32 v[2:3], 0
	s_wait_loadcnt 0x0
	v_mov_b32_e32 v1, v0
	s_mov_b32 s0, 0
                                        ; implicit-def: $vgpr4
.LBB55_281:
	s_and_b32 s26, s1, 3
	s_mov_b32 s1, 0
	s_cmp_eq_u32 s26, 0
	s_cbranch_scc1 .LBB55_285
; %bb.282:
	s_lshl_b32 s24, s0, 3
	s_mov_b32 s25, s1
	s_mul_u64 s[44:45], s[0:1], 12
	s_add_nc_u64 s[24:25], s[2:3], s[24:25]
	s_delay_alu instid0(SALU_CYCLE_1)
	s_add_nc_u64 s[0:1], s[24:25], 0xc4
	s_add_nc_u64 s[24:25], s[2:3], s[44:45]
.LBB55_283:                             ; =>This Inner Loop Header: Depth=1
	s_load_b96 s[44:46], s[24:25], 0x4
	s_add_co_i32 s26, s26, -1
	s_wait_xcnt 0x0
	s_add_nc_u64 s[24:25], s[24:25], 12
	s_cmp_lg_u32 s26, 0
	s_wait_kmcnt 0x0
	v_mul_hi_u32 v4, s45, v1
	s_delay_alu instid0(VALU_DEP_1) | instskip(NEXT) | instid1(VALU_DEP_1)
	v_add_nc_u32_e32 v4, v1, v4
	v_lshrrev_b32_e32 v4, s46, v4
	s_load_b64 s[46:47], s[0:1], 0x0
	s_wait_xcnt 0x0
	s_add_nc_u64 s[0:1], s[0:1], 8
	s_delay_alu instid0(VALU_DEP_1) | instskip(NEXT) | instid1(VALU_DEP_1)
	v_mul_lo_u32 v5, v4, s44
	v_sub_nc_u32_e32 v1, v1, v5
	s_wait_kmcnt 0x0
	s_delay_alu instid0(VALU_DEP_1)
	v_mad_u32 v3, v1, s47, v3
	v_mad_u32 v2, v1, s46, v2
	v_mov_b32_e32 v1, v4
	s_cbranch_scc1 .LBB55_283
; %bb.284:
	s_delay_alu instid0(VALU_DEP_3)
	v_mov_b32_e32 v4, v3
.LBB55_285:
	s_cbranch_execnz .LBB55_288
.LBB55_286:
	s_wait_loadcnt 0x0
	v_mov_b32_e32 v1, 0
	s_and_not1_b32 vcc_lo, exec_lo, s35
	s_delay_alu instid0(VALU_DEP_1) | instskip(NEXT) | instid1(VALU_DEP_1)
	v_mul_u64_e32 v[2:3], s[16:17], v[0:1]
	v_add_nc_u32_e32 v2, v0, v3
	s_delay_alu instid0(VALU_DEP_1) | instskip(NEXT) | instid1(VALU_DEP_1)
	v_lshrrev_b32_e32 v6, s14, v2
	v_mul_lo_u32 v2, v6, s12
	s_delay_alu instid0(VALU_DEP_1) | instskip(NEXT) | instid1(VALU_DEP_1)
	v_sub_nc_u32_e32 v2, v0, v2
	v_mul_lo_u32 v4, v2, s9
	v_mul_lo_u32 v2, v2, s8
	s_cbranch_vccnz .LBB55_288
; %bb.287:
	v_mov_b32_e32 v7, v1
	s_delay_alu instid0(VALU_DEP_1) | instskip(NEXT) | instid1(VALU_DEP_1)
	v_mul_u64_e32 v[8:9], s[20:21], v[6:7]
	v_add_nc_u32_e32 v1, v6, v9
	s_delay_alu instid0(VALU_DEP_1) | instskip(NEXT) | instid1(VALU_DEP_1)
	v_lshrrev_b32_e32 v1, s19, v1
	v_mul_lo_u32 v1, v1, s15
	s_delay_alu instid0(VALU_DEP_1) | instskip(NEXT) | instid1(VALU_DEP_1)
	v_sub_nc_u32_e32 v1, v6, v1
	v_mad_u32 v2, v1, s10, v2
	v_mad_u32 v4, v1, s11, v4
.LBB55_288:
	v_mov_b32_e32 v5, 0
	s_and_b32 s0, 0xffff, s13
	s_delay_alu instid0(SALU_CYCLE_1) | instskip(NEXT) | instid1(VALU_DEP_1)
	s_cmp_lt_i32 s0, 11
	v_add_nc_u64_e32 v[4:5], s[6:7], v[4:5]
	s_cbranch_scc1 .LBB55_295
; %bb.289:
	s_cmp_gt_i32 s0, 25
	s_cbranch_scc0 .LBB55_304
; %bb.290:
	s_cmp_gt_i32 s0, 28
	s_cbranch_scc0 .LBB55_306
; %bb.291:
	s_cmp_gt_i32 s0, 43
	s_cbranch_scc0 .LBB55_308
; %bb.292:
	s_cmp_gt_i32 s0, 45
	s_cbranch_scc0 .LBB55_312
; %bb.293:
	s_cmp_eq_u32 s0, 46
	s_mov_b32 s25, 0
	s_cbranch_scc0 .LBB55_316
; %bb.294:
	s_wait_loadcnt 0x0
	global_load_b32 v1, v[4:5], off
	s_mov_b32 s1, -1
	s_mov_b32 s24, 0
	s_wait_loadcnt 0x0
	v_lshlrev_b32_e32 v1, 16, v1
	s_delay_alu instid0(VALU_DEP_1)
	v_cvt_f16_f32_e32 v1, v1
	s_branch .LBB55_318
.LBB55_295:
	s_mov_b32 s1, 0
	s_mov_b32 s24, s39
                                        ; implicit-def: $vgpr1
	s_cbranch_execnz .LBB55_495
.LBB55_296:
	s_and_not1_b32 vcc_lo, exec_lo, s1
	s_cbranch_vccnz .LBB55_543
.LBB55_297:
	v_mov_b32_e32 v3, 0
	s_wait_loadcnt 0x0
	s_delay_alu instid0(VALU_DEP_2) | instskip(SKIP_1) | instid1(SALU_CYCLE_1)
	v_cmp_eq_f16_e64 s0, 0x7c00, v1
	s_and_b32 s25, s34, 0xff
	s_cmp_lt_i32 s25, 11
	v_add_nc_u64_e32 v[2:3], s[4:5], v[2:3]
	s_cbranch_scc1 .LBB55_305
; %bb.298:
	s_and_b32 s26, 0xffff, s25
	s_delay_alu instid0(SALU_CYCLE_1)
	s_cmp_gt_i32 s26, 25
	s_cbranch_scc0 .LBB55_307
; %bb.299:
	s_cmp_gt_i32 s26, 28
	s_cbranch_scc0 .LBB55_309
; %bb.300:
	;; [unrolled: 3-line block ×4, first 2 shown]
	s_mov_b32 s41, 0
	s_mov_b32 s1, -1
	s_cmp_eq_u32 s26, 46
	s_mov_b32 s27, 0
	s_cbranch_scc0 .LBB55_322
; %bb.303:
	v_cndmask_b32_e64 v1, 0, 1.0, s0
	s_mov_b32 s27, -1
	s_mov_b32 s1, 0
	s_wait_xcnt 0x0
	s_delay_alu instid0(VALU_DEP_1) | instskip(NEXT) | instid1(VALU_DEP_1)
	v_bfe_u32 v4, v1, 16, 1
	v_add3_u32 v1, v1, v4, 0x7fff
	s_delay_alu instid0(VALU_DEP_1)
	v_lshrrev_b32_e32 v1, 16, v1
	global_store_b32 v[2:3], v1, off
	s_branch .LBB55_322
.LBB55_304:
	s_mov_b32 s25, -1
	s_mov_b32 s1, 0
	s_mov_b32 s24, s39
                                        ; implicit-def: $vgpr1
	s_branch .LBB55_459
.LBB55_305:
	s_mov_b32 s26, -1
	s_mov_b32 s27, 0
	s_mov_b32 s1, s18
	s_branch .LBB55_391
.LBB55_306:
	s_mov_b32 s25, -1
	s_mov_b32 s1, 0
	s_mov_b32 s24, s39
                                        ; implicit-def: $vgpr1
	s_branch .LBB55_440
.LBB55_307:
	s_mov_b32 s41, -1
	s_mov_b32 s27, 0
	s_mov_b32 s1, s18
	s_branch .LBB55_349
.LBB55_308:
	s_mov_b32 s25, -1
	s_mov_b32 s1, 0
	s_mov_b32 s24, s39
                                        ; implicit-def: $vgpr1
	s_branch .LBB55_435
.LBB55_309:
	s_mov_b32 s41, -1
	s_mov_b32 s27, 0
	s_mov_b32 s1, s18
	s_branch .LBB55_332
.LBB55_310:
	s_and_not1_saveexec_b32 s39, s39
	s_cbranch_execz .LBB55_69
.LBB55_311:
	v_add_f32_e32 v1, 0x46000000, v4
	s_and_not1_b32 s27, s27, exec_lo
	s_delay_alu instid0(VALU_DEP_1) | instskip(NEXT) | instid1(VALU_DEP_1)
	v_and_b32_e32 v1, 0xff, v1
	v_cmp_ne_u32_e32 vcc_lo, 0, v1
	s_and_b32 s41, vcc_lo, exec_lo
	s_delay_alu instid0(SALU_CYCLE_1)
	s_or_b32 s27, s27, s41
	s_or_b32 exec_lo, exec_lo, s39
	v_mov_b32_e32 v5, 0
	s_and_saveexec_b32 s39, s27
	s_cbranch_execnz .LBB55_70
	s_branch .LBB55_71
.LBB55_312:
	s_mov_b32 s25, -1
	s_mov_b32 s1, 0
	s_mov_b32 s24, s39
	s_branch .LBB55_317
.LBB55_313:
	s_mov_b32 s41, -1
	s_mov_b32 s27, 0
	s_mov_b32 s1, s18
	s_branch .LBB55_328
.LBB55_314:
	s_and_not1_saveexec_b32 s39, s39
	s_cbranch_execz .LBB55_82
.LBB55_315:
	v_add_f32_e32 v1, 0x42800000, v4
	s_and_not1_b32 s27, s27, exec_lo
	s_delay_alu instid0(VALU_DEP_1) | instskip(NEXT) | instid1(VALU_DEP_1)
	v_and_b32_e32 v1, 0xff, v1
	v_cmp_ne_u32_e32 vcc_lo, 0, v1
	s_and_b32 s41, vcc_lo, exec_lo
	s_delay_alu instid0(SALU_CYCLE_1)
	s_or_b32 s27, s27, s41
	s_or_b32 exec_lo, exec_lo, s39
	v_mov_b32_e32 v5, 0
	s_and_saveexec_b32 s39, s27
	s_cbranch_execnz .LBB55_83
	s_branch .LBB55_84
.LBB55_316:
	s_mov_b32 s24, -1
	s_mov_b32 s1, 0
.LBB55_317:
                                        ; implicit-def: $vgpr1
.LBB55_318:
	s_and_b32 vcc_lo, exec_lo, s25
	s_cbranch_vccz .LBB55_434
; %bb.319:
	s_cmp_eq_u32 s0, 44
	s_cbranch_scc0 .LBB55_433
; %bb.320:
	s_wait_loadcnt 0x0
	global_load_u8 v1, v[4:5], off
	s_mov_b32 s24, 0
	s_mov_b32 s1, -1
	s_wait_loadcnt 0x0
	v_lshlrev_b32_e32 v3, 23, v1
	v_cmp_ne_u32_e32 vcc_lo, 0xff, v1
	s_delay_alu instid0(VALU_DEP_2) | instskip(NEXT) | instid1(VALU_DEP_1)
	v_cvt_f16_f32_e32 v3, v3
	v_cndmask_b32_e32 v3, 0x7e00, v3, vcc_lo
	v_cmp_ne_u32_e32 vcc_lo, 0, v1
	s_delay_alu instid0(VALU_DEP_2)
	v_cndmask_b32_e32 v1, 0, v3, vcc_lo
	s_branch .LBB55_434
.LBB55_321:
	s_mov_b32 s41, -1
	s_mov_b32 s27, 0
	s_mov_b32 s1, s18
.LBB55_322:
	s_and_b32 vcc_lo, exec_lo, s41
	s_cbranch_vccz .LBB55_327
; %bb.323:
	s_cmp_eq_u32 s26, 44
	s_mov_b32 s1, -1
	s_cbranch_scc0 .LBB55_327
; %bb.324:
	s_wait_xcnt 0x0
	v_cndmask_b32_e64 v5, 0, 1.0, s0
	s_mov_b32 s27, exec_lo
	s_delay_alu instid0(VALU_DEP_1) | instskip(NEXT) | instid1(VALU_DEP_1)
	v_dual_mov_b32 v4, 0xff :: v_dual_lshrrev_b32 v1, 23, v5
	v_cmpx_ne_u32_e32 0xff, v1
; %bb.325:
	v_and_b32_e32 v4, 0x400000, v5
	v_and_or_b32 v5, 0x3fffff, v5, v1
	s_delay_alu instid0(VALU_DEP_2) | instskip(NEXT) | instid1(VALU_DEP_2)
	v_cmp_ne_u32_e32 vcc_lo, 0, v4
	v_cmp_ne_u32_e64 s1, 0, v5
	s_and_b32 s1, vcc_lo, s1
	s_delay_alu instid0(SALU_CYCLE_1) | instskip(NEXT) | instid1(VALU_DEP_1)
	v_cndmask_b32_e64 v4, 0, 1, s1
	v_add_nc_u32_e32 v4, v1, v4
; %bb.326:
	s_or_b32 exec_lo, exec_lo, s27
	s_mov_b32 s27, -1
	s_mov_b32 s1, 0
	global_store_b8 v[2:3], v4, off
.LBB55_327:
	s_mov_b32 s41, 0
.LBB55_328:
	s_delay_alu instid0(SALU_CYCLE_1)
	s_and_b32 vcc_lo, exec_lo, s41
	s_cbranch_vccz .LBB55_331
; %bb.329:
	s_cmp_eq_u32 s26, 29
	s_mov_b32 s1, -1
	s_cbranch_scc0 .LBB55_331
; %bb.330:
	s_mov_b32 s1, 0
	s_wait_xcnt 0x0
	v_cndmask_b32_e64 v4, 0, 1, s0
	v_mov_b32_e32 v5, s1
	s_mov_b32 s27, -1
	s_mov_b32 s41, 0
	global_store_b64 v[2:3], v[4:5], off
	s_branch .LBB55_332
.LBB55_331:
	s_mov_b32 s41, 0
.LBB55_332:
	s_delay_alu instid0(SALU_CYCLE_1)
	s_and_b32 vcc_lo, exec_lo, s41
	s_cbranch_vccz .LBB55_348
; %bb.333:
	s_cmp_lt_i32 s26, 27
	s_mov_b32 s27, -1
	s_cbranch_scc1 .LBB55_339
; %bb.334:
	s_cmp_gt_i32 s26, 27
	s_cbranch_scc0 .LBB55_336
; %bb.335:
	s_wait_xcnt 0x0
	v_cndmask_b32_e64 v1, 0, 1, s0
	s_mov_b32 s27, 0
	global_store_b32 v[2:3], v1, off
.LBB55_336:
	s_and_not1_b32 vcc_lo, exec_lo, s27
	s_cbranch_vccnz .LBB55_338
; %bb.337:
	s_wait_xcnt 0x0
	v_cndmask_b32_e64 v1, 0, 1, s0
	global_store_b16 v[2:3], v1, off
.LBB55_338:
	s_mov_b32 s27, 0
.LBB55_339:
	s_delay_alu instid0(SALU_CYCLE_1)
	s_and_not1_b32 vcc_lo, exec_lo, s27
	s_cbranch_vccnz .LBB55_347
; %bb.340:
	s_wait_xcnt 0x0
	v_cndmask_b32_e64 v4, 0, 1.0, s0
	v_mov_b32_e32 v5, 0x80
	s_mov_b32 s27, exec_lo
	s_delay_alu instid0(VALU_DEP_2)
	v_cmpx_gt_u32_e32 0x43800000, v4
	s_cbranch_execz .LBB55_346
; %bb.341:
	s_mov_b32 s41, 0
	s_mov_b32 s42, exec_lo
                                        ; implicit-def: $vgpr1
	v_cmpx_lt_u32_e32 0x3bffffff, v4
	s_xor_b32 s42, exec_lo, s42
	s_cbranch_execz .LBB55_576
; %bb.342:
	v_bfe_u32 v1, v4, 20, 1
	s_mov_b32 s41, exec_lo
	s_delay_alu instid0(VALU_DEP_1) | instskip(NEXT) | instid1(VALU_DEP_1)
	v_add3_u32 v1, v4, v1, 0x487ffff
                                        ; implicit-def: $vgpr4
	v_lshrrev_b32_e32 v1, 20, v1
	s_and_not1_saveexec_b32 s42, s42
	s_cbranch_execnz .LBB55_577
.LBB55_343:
	s_or_b32 exec_lo, exec_lo, s42
	v_mov_b32_e32 v5, 0
	s_and_saveexec_b32 s42, s41
.LBB55_344:
	v_mov_b32_e32 v5, v1
.LBB55_345:
	s_or_b32 exec_lo, exec_lo, s42
.LBB55_346:
	s_delay_alu instid0(SALU_CYCLE_1)
	s_or_b32 exec_lo, exec_lo, s27
	global_store_b8 v[2:3], v5, off
.LBB55_347:
	s_mov_b32 s27, -1
.LBB55_348:
	s_mov_b32 s41, 0
.LBB55_349:
	s_delay_alu instid0(SALU_CYCLE_1)
	s_and_b32 vcc_lo, exec_lo, s41
	s_cbranch_vccz .LBB55_390
; %bb.350:
	s_cmp_gt_i32 s26, 22
	s_mov_b32 s41, -1
	s_cbranch_scc0 .LBB55_382
; %bb.351:
	s_cmp_lt_i32 s26, 24
	s_mov_b32 s27, -1
	s_cbranch_scc1 .LBB55_371
; %bb.352:
	s_cmp_gt_i32 s26, 24
	s_cbranch_scc0 .LBB55_360
; %bb.353:
	s_wait_xcnt 0x0
	v_cndmask_b32_e64 v4, 0, 1.0, s0
	v_mov_b32_e32 v5, 0x80
	s_mov_b32 s27, exec_lo
	s_delay_alu instid0(VALU_DEP_2)
	v_cmpx_gt_u32_e32 0x47800000, v4
	s_cbranch_execz .LBB55_359
; %bb.354:
	s_mov_b32 s41, 0
	s_mov_b32 s42, exec_lo
                                        ; implicit-def: $vgpr1
	v_cmpx_lt_u32_e32 0x37ffffff, v4
	s_xor_b32 s42, exec_lo, s42
	s_cbranch_execz .LBB55_579
; %bb.355:
	v_bfe_u32 v1, v4, 21, 1
	s_mov_b32 s41, exec_lo
	s_delay_alu instid0(VALU_DEP_1) | instskip(NEXT) | instid1(VALU_DEP_1)
	v_add3_u32 v1, v4, v1, 0x88fffff
                                        ; implicit-def: $vgpr4
	v_lshrrev_b32_e32 v1, 21, v1
	s_and_not1_saveexec_b32 s42, s42
	s_cbranch_execnz .LBB55_580
.LBB55_356:
	s_or_b32 exec_lo, exec_lo, s42
	v_mov_b32_e32 v5, 0
	s_and_saveexec_b32 s42, s41
.LBB55_357:
	v_mov_b32_e32 v5, v1
.LBB55_358:
	s_or_b32 exec_lo, exec_lo, s42
.LBB55_359:
	s_delay_alu instid0(SALU_CYCLE_1)
	s_or_b32 exec_lo, exec_lo, s27
	s_mov_b32 s27, 0
	global_store_b8 v[2:3], v5, off
.LBB55_360:
	s_and_b32 vcc_lo, exec_lo, s27
	s_cbranch_vccz .LBB55_370
; %bb.361:
	s_wait_xcnt 0x0
	v_cndmask_b32_e64 v4, 0, 1.0, s0
	s_mov_b32 s27, exec_lo
                                        ; implicit-def: $vgpr1
	s_delay_alu instid0(VALU_DEP_1)
	v_cmpx_gt_u32_e32 0x43f00000, v4
	s_xor_b32 s27, exec_lo, s27
	s_cbranch_execz .LBB55_367
; %bb.362:
	s_mov_b32 s41, exec_lo
                                        ; implicit-def: $vgpr1
	v_cmpx_lt_u32_e32 0x3c7fffff, v4
	s_xor_b32 s41, exec_lo, s41
; %bb.363:
	v_bfe_u32 v1, v4, 20, 1
	s_delay_alu instid0(VALU_DEP_1) | instskip(NEXT) | instid1(VALU_DEP_1)
	v_add3_u32 v1, v4, v1, 0x407ffff
	v_and_b32_e32 v4, 0xff00000, v1
	v_lshrrev_b32_e32 v1, 20, v1
	s_delay_alu instid0(VALU_DEP_2) | instskip(NEXT) | instid1(VALU_DEP_2)
	v_cmp_ne_u32_e32 vcc_lo, 0x7f00000, v4
                                        ; implicit-def: $vgpr4
	v_cndmask_b32_e32 v1, 0x7e, v1, vcc_lo
; %bb.364:
	s_and_not1_saveexec_b32 s41, s41
; %bb.365:
	v_add_f32_e32 v1, 0x46800000, v4
; %bb.366:
	s_or_b32 exec_lo, exec_lo, s41
                                        ; implicit-def: $vgpr4
.LBB55_367:
	s_and_not1_saveexec_b32 s27, s27
; %bb.368:
	v_mov_b32_e32 v1, 0x7f
	v_cmp_lt_u32_e32 vcc_lo, 0x7f800000, v4
	s_delay_alu instid0(VALU_DEP_2)
	v_cndmask_b32_e32 v1, 0x7e, v1, vcc_lo
; %bb.369:
	s_or_b32 exec_lo, exec_lo, s27
	global_store_b8 v[2:3], v1, off
.LBB55_370:
	s_mov_b32 s27, 0
.LBB55_371:
	s_delay_alu instid0(SALU_CYCLE_1)
	s_and_not1_b32 vcc_lo, exec_lo, s27
	s_cbranch_vccnz .LBB55_381
; %bb.372:
	s_wait_xcnt 0x0
	v_cndmask_b32_e64 v4, 0, 1.0, s0
	s_mov_b32 s27, exec_lo
                                        ; implicit-def: $vgpr1
	s_delay_alu instid0(VALU_DEP_1)
	v_cmpx_gt_u32_e32 0x47800000, v4
	s_xor_b32 s27, exec_lo, s27
	s_cbranch_execz .LBB55_378
; %bb.373:
	s_mov_b32 s41, exec_lo
                                        ; implicit-def: $vgpr1
	v_cmpx_lt_u32_e32 0x387fffff, v4
	s_xor_b32 s41, exec_lo, s41
; %bb.374:
	v_bfe_u32 v1, v4, 21, 1
	s_delay_alu instid0(VALU_DEP_1) | instskip(NEXT) | instid1(VALU_DEP_1)
	v_add3_u32 v1, v4, v1, 0x80fffff
                                        ; implicit-def: $vgpr4
	v_lshrrev_b32_e32 v1, 21, v1
; %bb.375:
	s_and_not1_saveexec_b32 s41, s41
; %bb.376:
	v_add_f32_e32 v1, 0x43000000, v4
; %bb.377:
	s_or_b32 exec_lo, exec_lo, s41
                                        ; implicit-def: $vgpr4
.LBB55_378:
	s_and_not1_saveexec_b32 s27, s27
; %bb.379:
	v_mov_b32_e32 v1, 0x7f
	v_cmp_lt_u32_e32 vcc_lo, 0x7f800000, v4
	s_delay_alu instid0(VALU_DEP_2)
	v_cndmask_b32_e32 v1, 0x7c, v1, vcc_lo
; %bb.380:
	s_or_b32 exec_lo, exec_lo, s27
	global_store_b8 v[2:3], v1, off
.LBB55_381:
	s_mov_b32 s41, 0
	s_mov_b32 s27, -1
.LBB55_382:
	s_and_not1_b32 vcc_lo, exec_lo, s41
	s_cbranch_vccnz .LBB55_390
; %bb.383:
	s_cmp_gt_i32 s26, 14
	s_mov_b32 s41, -1
	s_cbranch_scc0 .LBB55_387
; %bb.384:
	s_cmp_eq_u32 s26, 15
	s_mov_b32 s1, -1
	s_cbranch_scc0 .LBB55_386
; %bb.385:
	s_wait_xcnt 0x0
	v_cndmask_b32_e64 v1, 0, 1.0, s0
	s_mov_b32 s27, -1
	s_mov_b32 s1, 0
	s_delay_alu instid0(VALU_DEP_1) | instskip(NEXT) | instid1(VALU_DEP_1)
	v_bfe_u32 v4, v1, 16, 1
	v_add3_u32 v1, v1, v4, 0x7fff
	global_store_d16_hi_b16 v[2:3], v1, off
.LBB55_386:
	s_mov_b32 s41, 0
.LBB55_387:
	s_delay_alu instid0(SALU_CYCLE_1)
	s_and_b32 vcc_lo, exec_lo, s41
	s_cbranch_vccz .LBB55_390
; %bb.388:
	s_cmp_eq_u32 s26, 11
	s_mov_b32 s1, -1
	s_cbranch_scc0 .LBB55_390
; %bb.389:
	s_wait_xcnt 0x0
	v_cndmask_b32_e64 v1, 0, 1, s0
	s_mov_b32 s27, -1
	s_mov_b32 s1, 0
	global_store_b8 v[2:3], v1, off
.LBB55_390:
	s_mov_b32 s26, 0
.LBB55_391:
	s_delay_alu instid0(SALU_CYCLE_1)
	s_and_b32 vcc_lo, exec_lo, s26
	s_cbranch_vccz .LBB55_430
; %bb.392:
	s_and_b32 s25, 0xffff, s25
	s_mov_b32 s26, -1
	s_cmp_lt_i32 s25, 5
	s_cbranch_scc1 .LBB55_413
; %bb.393:
	s_cmp_lt_i32 s25, 8
	s_cbranch_scc1 .LBB55_403
; %bb.394:
	;; [unrolled: 3-line block ×3, first 2 shown]
	s_cmp_gt_i32 s25, 9
	s_cbranch_scc0 .LBB55_397
; %bb.396:
	s_wait_xcnt 0x0
	v_cndmask_b32_e64 v1, 0, 1, s0
	v_mov_b32_e32 v6, 0
	s_mov_b32 s26, 0
	s_delay_alu instid0(VALU_DEP_2) | instskip(NEXT) | instid1(VALU_DEP_2)
	v_cvt_f64_u32_e32 v[4:5], v1
	v_mov_b32_e32 v7, v6
	global_store_b128 v[2:3], v[4:7], off
.LBB55_397:
	s_and_not1_b32 vcc_lo, exec_lo, s26
	s_cbranch_vccnz .LBB55_399
; %bb.398:
	s_wait_xcnt 0x0
	v_cndmask_b32_e64 v4, 0, 1.0, s0
	v_mov_b32_e32 v5, 0
	global_store_b64 v[2:3], v[4:5], off
.LBB55_399:
	s_mov_b32 s26, 0
.LBB55_400:
	s_delay_alu instid0(SALU_CYCLE_1)
	s_and_not1_b32 vcc_lo, exec_lo, s26
	s_cbranch_vccnz .LBB55_402
; %bb.401:
	s_wait_xcnt 0x0
	v_cndmask_b32_e64 v1, 0, 1.0, s0
	s_delay_alu instid0(VALU_DEP_1) | instskip(NEXT) | instid1(VALU_DEP_1)
	v_cvt_f16_f32_e32 v1, v1
	v_and_b32_e32 v1, 0xffff, v1
	global_store_b32 v[2:3], v1, off
.LBB55_402:
	s_mov_b32 s26, 0
.LBB55_403:
	s_delay_alu instid0(SALU_CYCLE_1)
	s_and_not1_b32 vcc_lo, exec_lo, s26
	s_cbranch_vccnz .LBB55_412
; %bb.404:
	s_cmp_lt_i32 s25, 6
	s_mov_b32 s26, -1
	s_cbranch_scc1 .LBB55_410
; %bb.405:
	s_cmp_gt_i32 s25, 6
	s_cbranch_scc0 .LBB55_407
; %bb.406:
	s_wait_xcnt 0x0
	v_cndmask_b32_e64 v1, 0, 1, s0
	s_mov_b32 s26, 0
	s_delay_alu instid0(VALU_DEP_1)
	v_cvt_f64_u32_e32 v[4:5], v1
	global_store_b64 v[2:3], v[4:5], off
.LBB55_407:
	s_and_not1_b32 vcc_lo, exec_lo, s26
	s_cbranch_vccnz .LBB55_409
; %bb.408:
	s_wait_xcnt 0x0
	v_cndmask_b32_e64 v1, 0, 1.0, s0
	global_store_b32 v[2:3], v1, off
.LBB55_409:
	s_mov_b32 s26, 0
.LBB55_410:
	s_delay_alu instid0(SALU_CYCLE_1)
	s_and_not1_b32 vcc_lo, exec_lo, s26
	s_cbranch_vccnz .LBB55_412
; %bb.411:
	s_wait_xcnt 0x0
	v_cndmask_b32_e64 v1, 0, 1.0, s0
	s_delay_alu instid0(VALU_DEP_1)
	v_cvt_f16_f32_e32 v1, v1
	global_store_b16 v[2:3], v1, off
.LBB55_412:
	s_mov_b32 s26, 0
.LBB55_413:
	s_delay_alu instid0(SALU_CYCLE_1)
	s_and_not1_b32 vcc_lo, exec_lo, s26
	s_cbranch_vccnz .LBB55_429
; %bb.414:
	s_cmp_lt_i32 s25, 2
	s_mov_b32 s26, -1
	s_cbranch_scc1 .LBB55_424
; %bb.415:
	s_cmp_lt_i32 s25, 3
	s_cbranch_scc1 .LBB55_421
; %bb.416:
	s_cmp_gt_i32 s25, 3
	s_cbranch_scc0 .LBB55_418
; %bb.417:
	s_mov_b32 s26, 0
	s_wait_xcnt 0x0
	v_cndmask_b32_e64 v4, 0, 1, s0
	v_mov_b32_e32 v5, s26
	global_store_b64 v[2:3], v[4:5], off
.LBB55_418:
	s_and_not1_b32 vcc_lo, exec_lo, s26
	s_cbranch_vccnz .LBB55_420
; %bb.419:
	s_wait_xcnt 0x0
	v_cndmask_b32_e64 v1, 0, 1, s0
	global_store_b32 v[2:3], v1, off
.LBB55_420:
	s_mov_b32 s26, 0
.LBB55_421:
	s_delay_alu instid0(SALU_CYCLE_1)
	s_and_not1_b32 vcc_lo, exec_lo, s26
	s_cbranch_vccnz .LBB55_423
; %bb.422:
	s_wait_xcnt 0x0
	v_cndmask_b32_e64 v1, 0, 1, s0
	global_store_b16 v[2:3], v1, off
.LBB55_423:
	s_mov_b32 s26, 0
.LBB55_424:
	s_delay_alu instid0(SALU_CYCLE_1)
	s_and_not1_b32 vcc_lo, exec_lo, s26
	s_cbranch_vccnz .LBB55_429
; %bb.425:
	s_wait_xcnt 0x0
	v_cndmask_b32_e64 v1, 0, 1, s0
	s_cmp_gt_i32 s25, 0
	s_mov_b32 s0, -1
	s_cbranch_scc0 .LBB55_427
; %bb.426:
	s_mov_b32 s0, 0
	global_store_b8 v[2:3], v1, off
.LBB55_427:
	s_and_not1_b32 vcc_lo, exec_lo, s0
	s_cbranch_vccnz .LBB55_429
; %bb.428:
	global_store_b8 v[2:3], v1, off
.LBB55_429:
	s_mov_b32 s27, -1
.LBB55_430:
	s_delay_alu instid0(SALU_CYCLE_1)
	s_and_not1_b32 vcc_lo, exec_lo, s27
	s_cbranch_vccnz .LBB55_432
; %bb.431:
	v_add_nc_u32_e32 v0, 0x80, v0
	s_mov_b32 s0, -1
	s_branch .LBB55_545
.LBB55_432:
	s_mov_b32 s0, 0
	s_branch .LBB55_544
.LBB55_433:
	s_mov_b32 s24, -1
                                        ; implicit-def: $vgpr1
.LBB55_434:
	s_mov_b32 s25, 0
.LBB55_435:
	s_delay_alu instid0(SALU_CYCLE_1)
	s_and_b32 vcc_lo, exec_lo, s25
	s_cbranch_vccz .LBB55_439
; %bb.436:
	s_cmp_eq_u32 s0, 29
	s_cbranch_scc0 .LBB55_438
; %bb.437:
	global_load_b64 v[6:7], v[4:5], off
	s_mov_b32 s1, -1
	s_mov_b32 s24, 0
	s_mov_b32 s25, 0
	s_wait_loadcnt 0x0
	v_clz_i32_u32_e32 v1, v7
	s_delay_alu instid0(VALU_DEP_1) | instskip(NEXT) | instid1(VALU_DEP_1)
	v_min_u32_e32 v1, 32, v1
	v_lshlrev_b64_e32 v[6:7], v1, v[6:7]
	v_sub_nc_u32_e32 v1, 32, v1
	s_delay_alu instid0(VALU_DEP_2) | instskip(NEXT) | instid1(VALU_DEP_1)
	v_min_u32_e32 v3, 1, v6
	v_or_b32_e32 v3, v7, v3
	s_delay_alu instid0(VALU_DEP_1) | instskip(NEXT) | instid1(VALU_DEP_1)
	v_cvt_f32_u32_e32 v3, v3
	v_ldexp_f32 v1, v3, v1
	s_delay_alu instid0(VALU_DEP_1)
	v_cvt_f16_f32_e32 v1, v1
	s_branch .LBB55_440
.LBB55_438:
	s_mov_b32 s24, -1
                                        ; implicit-def: $vgpr1
.LBB55_439:
	s_mov_b32 s25, 0
.LBB55_440:
	s_delay_alu instid0(SALU_CYCLE_1)
	s_and_b32 vcc_lo, exec_lo, s25
	s_cbranch_vccz .LBB55_458
; %bb.441:
	s_cmp_lt_i32 s0, 27
	s_cbranch_scc1 .LBB55_444
; %bb.442:
	s_cmp_gt_i32 s0, 27
	s_cbranch_scc0 .LBB55_445
; %bb.443:
	s_wait_loadcnt 0x0
	global_load_b32 v1, v[4:5], off
	s_mov_b32 s1, 0
	s_wait_loadcnt 0x0
	v_cvt_f32_u32_e32 v1, v1
	s_delay_alu instid0(VALU_DEP_1)
	v_cvt_f16_f32_e32 v1, v1
	s_branch .LBB55_446
.LBB55_444:
	s_mov_b32 s1, -1
                                        ; implicit-def: $vgpr1
	s_branch .LBB55_449
.LBB55_445:
	s_mov_b32 s1, -1
                                        ; implicit-def: $vgpr1
.LBB55_446:
	s_delay_alu instid0(SALU_CYCLE_1)
	s_and_not1_b32 vcc_lo, exec_lo, s1
	s_cbranch_vccnz .LBB55_448
; %bb.447:
	s_wait_loadcnt 0x0
	global_load_u16 v1, v[4:5], off
	s_wait_loadcnt 0x0
	v_cvt_f16_u16_e32 v1, v1
.LBB55_448:
	s_mov_b32 s1, 0
.LBB55_449:
	s_delay_alu instid0(SALU_CYCLE_1)
	s_and_not1_b32 vcc_lo, exec_lo, s1
	s_cbranch_vccnz .LBB55_457
; %bb.450:
	global_load_u8 v3, v[4:5], off
	s_mov_b32 s1, 0
	s_mov_b32 s25, exec_lo
	s_wait_loadcnt 0x0
	v_cmpx_lt_i16_e32 0x7f, v3
	s_xor_b32 s25, exec_lo, s25
	s_cbranch_execz .LBB55_471
; %bb.451:
	s_mov_b32 s1, -1
	s_mov_b32 s26, exec_lo
	v_cmpx_eq_u16_e32 0x80, v3
; %bb.452:
	s_xor_b32 s1, exec_lo, -1
; %bb.453:
	s_or_b32 exec_lo, exec_lo, s26
	s_delay_alu instid0(SALU_CYCLE_1)
	s_and_b32 s1, s1, exec_lo
	s_or_saveexec_b32 s25, s25
	v_mov_b32_e32 v1, 0x7e00
	s_xor_b32 exec_lo, exec_lo, s25
	s_cbranch_execnz .LBB55_472
.LBB55_454:
	s_or_b32 exec_lo, exec_lo, s25
	s_and_saveexec_b32 s25, s1
	s_cbranch_execz .LBB55_456
.LBB55_455:
	v_and_b32_e32 v1, 0xffff, v3
	s_delay_alu instid0(VALU_DEP_1) | instskip(SKIP_1) | instid1(VALU_DEP_2)
	v_and_b32_e32 v6, 7, v1
	v_bfe_u32 v9, v1, 3, 4
	v_clz_i32_u32_e32 v7, v6
	s_delay_alu instid0(VALU_DEP_2) | instskip(NEXT) | instid1(VALU_DEP_2)
	v_cmp_eq_u32_e32 vcc_lo, 0, v9
	v_min_u32_e32 v7, 32, v7
	s_delay_alu instid0(VALU_DEP_1) | instskip(NEXT) | instid1(VALU_DEP_1)
	v_subrev_nc_u32_e32 v8, 28, v7
	v_dual_lshlrev_b32 v1, v8, v1 :: v_dual_sub_nc_u32 v7, 29, v7
	s_delay_alu instid0(VALU_DEP_1) | instskip(NEXT) | instid1(VALU_DEP_1)
	v_dual_lshlrev_b32 v3, 24, v3 :: v_dual_bitop2_b32 v1, 7, v1 bitop3:0x40
	v_dual_cndmask_b32 v1, v6, v1, vcc_lo :: v_dual_cndmask_b32 v7, v9, v7, vcc_lo
	s_delay_alu instid0(VALU_DEP_2) | instskip(NEXT) | instid1(VALU_DEP_2)
	v_and_b32_e32 v3, 0x80000000, v3
	v_lshlrev_b32_e32 v1, 20, v1
	s_delay_alu instid0(VALU_DEP_3) | instskip(NEXT) | instid1(VALU_DEP_1)
	v_lshl_add_u32 v6, v7, 23, 0x3b800000
	v_or3_b32 v1, v3, v6, v1
	s_delay_alu instid0(VALU_DEP_1)
	v_cvt_f16_f32_e32 v1, v1
.LBB55_456:
	s_or_b32 exec_lo, exec_lo, s25
.LBB55_457:
	s_mov_b32 s1, -1
.LBB55_458:
	s_mov_b32 s25, 0
.LBB55_459:
	s_delay_alu instid0(SALU_CYCLE_1)
	s_and_b32 vcc_lo, exec_lo, s25
	s_cbranch_vccz .LBB55_494
; %bb.460:
	s_cmp_gt_i32 s0, 22
	s_cbranch_scc0 .LBB55_470
; %bb.461:
	s_cmp_lt_i32 s0, 24
	s_cbranch_scc1 .LBB55_473
; %bb.462:
	s_cmp_gt_i32 s0, 24
	s_cbranch_scc0 .LBB55_474
; %bb.463:
	global_load_u8 v3, v[4:5], off
	s_mov_b32 s1, 0
	s_mov_b32 s25, exec_lo
	s_wait_loadcnt 0x0
	v_cmpx_lt_i16_e32 0x7f, v3
	s_xor_b32 s25, exec_lo, s25
	s_cbranch_execz .LBB55_486
; %bb.464:
	s_mov_b32 s1, -1
	s_mov_b32 s26, exec_lo
	v_cmpx_eq_u16_e32 0x80, v3
; %bb.465:
	s_xor_b32 s1, exec_lo, -1
; %bb.466:
	s_or_b32 exec_lo, exec_lo, s26
	s_delay_alu instid0(SALU_CYCLE_1)
	s_and_b32 s1, s1, exec_lo
	s_or_saveexec_b32 s25, s25
	v_mov_b32_e32 v1, 0x7e00
	s_xor_b32 exec_lo, exec_lo, s25
	s_cbranch_execnz .LBB55_487
.LBB55_467:
	s_or_b32 exec_lo, exec_lo, s25
	s_and_saveexec_b32 s25, s1
	s_cbranch_execz .LBB55_469
.LBB55_468:
	v_and_b32_e32 v1, 0xffff, v3
	s_delay_alu instid0(VALU_DEP_1) | instskip(SKIP_1) | instid1(VALU_DEP_2)
	v_and_b32_e32 v6, 3, v1
	v_bfe_u32 v9, v1, 2, 5
	v_clz_i32_u32_e32 v7, v6
	s_delay_alu instid0(VALU_DEP_2) | instskip(NEXT) | instid1(VALU_DEP_2)
	v_cmp_eq_u32_e32 vcc_lo, 0, v9
	v_min_u32_e32 v7, 32, v7
	s_delay_alu instid0(VALU_DEP_1) | instskip(NEXT) | instid1(VALU_DEP_1)
	v_subrev_nc_u32_e32 v8, 29, v7
	v_dual_lshlrev_b32 v1, v8, v1 :: v_dual_sub_nc_u32 v7, 30, v7
	s_delay_alu instid0(VALU_DEP_1) | instskip(NEXT) | instid1(VALU_DEP_1)
	v_dual_lshlrev_b32 v3, 24, v3 :: v_dual_bitop2_b32 v1, 3, v1 bitop3:0x40
	v_dual_cndmask_b32 v1, v6, v1, vcc_lo :: v_dual_cndmask_b32 v7, v9, v7, vcc_lo
	s_delay_alu instid0(VALU_DEP_2) | instskip(NEXT) | instid1(VALU_DEP_2)
	v_and_b32_e32 v3, 0x80000000, v3
	v_lshlrev_b32_e32 v1, 21, v1
	s_delay_alu instid0(VALU_DEP_3) | instskip(NEXT) | instid1(VALU_DEP_1)
	v_lshl_add_u32 v6, v7, 23, 0x37800000
	v_or3_b32 v1, v3, v6, v1
	s_delay_alu instid0(VALU_DEP_1)
	v_cvt_f16_f32_e32 v1, v1
.LBB55_469:
	s_or_b32 exec_lo, exec_lo, s25
	s_mov_b32 s1, 0
	s_branch .LBB55_475
.LBB55_470:
	s_mov_b32 s25, -1
                                        ; implicit-def: $vgpr1
	s_branch .LBB55_481
.LBB55_471:
	s_or_saveexec_b32 s25, s25
	v_mov_b32_e32 v1, 0x7e00
	s_xor_b32 exec_lo, exec_lo, s25
	s_cbranch_execz .LBB55_454
.LBB55_472:
	v_cmp_ne_u16_e32 vcc_lo, 0, v3
	v_mov_b32_e32 v1, v3
	s_and_not1_b32 s1, s1, exec_lo
	s_and_b32 s26, vcc_lo, exec_lo
	s_delay_alu instid0(SALU_CYCLE_1)
	s_or_b32 s1, s1, s26
	s_or_b32 exec_lo, exec_lo, s25
	s_and_saveexec_b32 s25, s1
	s_cbranch_execnz .LBB55_455
	s_branch .LBB55_456
.LBB55_473:
	s_mov_b32 s1, -1
                                        ; implicit-def: $vgpr1
	s_branch .LBB55_478
.LBB55_474:
	s_mov_b32 s1, -1
                                        ; implicit-def: $vgpr1
.LBB55_475:
	s_delay_alu instid0(SALU_CYCLE_1)
	s_and_b32 vcc_lo, exec_lo, s1
	s_cbranch_vccz .LBB55_477
; %bb.476:
	s_wait_loadcnt 0x0
	global_load_u8 v1, v[4:5], off
	s_wait_loadcnt 0x0
	v_lshlrev_b32_e32 v1, 24, v1
	s_delay_alu instid0(VALU_DEP_1) | instskip(NEXT) | instid1(VALU_DEP_1)
	v_and_b32_e32 v3, 0x7f000000, v1
	v_clz_i32_u32_e32 v6, v3
	v_cmp_ne_u32_e32 vcc_lo, 0, v3
	v_add_nc_u32_e32 v8, 0x1000000, v3
	s_delay_alu instid0(VALU_DEP_3) | instskip(NEXT) | instid1(VALU_DEP_1)
	v_min_u32_e32 v6, 32, v6
	v_sub_nc_u32_e64 v6, v6, 4 clamp
	s_delay_alu instid0(VALU_DEP_1) | instskip(NEXT) | instid1(VALU_DEP_1)
	v_dual_lshlrev_b32 v7, v6, v3 :: v_dual_lshlrev_b32 v6, 23, v6
	v_lshrrev_b32_e32 v7, 4, v7
	s_delay_alu instid0(VALU_DEP_1) | instskip(NEXT) | instid1(VALU_DEP_1)
	v_dual_sub_nc_u32 v6, v7, v6 :: v_dual_ashrrev_i32 v7, 8, v8
	v_add_nc_u32_e32 v6, 0x3c000000, v6
	s_delay_alu instid0(VALU_DEP_1) | instskip(NEXT) | instid1(VALU_DEP_1)
	v_and_or_b32 v6, 0x7f800000, v7, v6
	v_cndmask_b32_e32 v3, 0, v6, vcc_lo
	s_delay_alu instid0(VALU_DEP_1) | instskip(NEXT) | instid1(VALU_DEP_1)
	v_and_or_b32 v1, 0x80000000, v1, v3
	v_cvt_f16_f32_e32 v1, v1
.LBB55_477:
	s_mov_b32 s1, 0
.LBB55_478:
	s_delay_alu instid0(SALU_CYCLE_1)
	s_and_not1_b32 vcc_lo, exec_lo, s1
	s_cbranch_vccnz .LBB55_480
; %bb.479:
	s_wait_loadcnt 0x0
	global_load_u8 v1, v[4:5], off
	s_wait_loadcnt 0x0
	v_lshlrev_b32_e32 v3, 25, v1
	v_lshlrev_b16 v1, 8, v1
	s_delay_alu instid0(VALU_DEP_1) | instskip(SKIP_1) | instid1(VALU_DEP_2)
	v_and_or_b32 v7, 0x7f00, v1, 0.5
	v_bfe_i32 v1, v1, 0, 16
	v_add_f32_e32 v7, -0.5, v7
	v_lshrrev_b32_e32 v6, 4, v3
	v_cmp_gt_u32_e32 vcc_lo, 0x8000000, v3
	s_delay_alu instid0(VALU_DEP_2) | instskip(NEXT) | instid1(VALU_DEP_1)
	v_or_b32_e32 v6, 0x70000000, v6
	v_mul_f32_e32 v6, 0x7800000, v6
	s_delay_alu instid0(VALU_DEP_1) | instskip(NEXT) | instid1(VALU_DEP_1)
	v_cndmask_b32_e32 v3, v6, v7, vcc_lo
	v_and_or_b32 v1, 0x80000000, v1, v3
	s_delay_alu instid0(VALU_DEP_1)
	v_cvt_f16_f32_e32 v1, v1
.LBB55_480:
	s_mov_b32 s25, 0
	s_mov_b32 s1, -1
.LBB55_481:
	s_and_not1_b32 vcc_lo, exec_lo, s25
	s_cbranch_vccnz .LBB55_494
; %bb.482:
	s_cmp_gt_i32 s0, 14
	s_cbranch_scc0 .LBB55_485
; %bb.483:
	s_cmp_eq_u32 s0, 15
	s_cbranch_scc0 .LBB55_488
; %bb.484:
	s_wait_loadcnt 0x0
	global_load_u16 v1, v[4:5], off
	s_mov_b32 s1, -1
	s_mov_b32 s24, 0
	s_wait_loadcnt 0x0
	v_lshlrev_b32_e32 v1, 16, v1
	s_delay_alu instid0(VALU_DEP_1)
	v_cvt_f16_f32_e32 v1, v1
	s_branch .LBB55_489
.LBB55_485:
	s_mov_b32 s25, -1
                                        ; implicit-def: $vgpr1
	s_branch .LBB55_490
.LBB55_486:
	s_or_saveexec_b32 s25, s25
	v_mov_b32_e32 v1, 0x7e00
	s_xor_b32 exec_lo, exec_lo, s25
	s_cbranch_execz .LBB55_467
.LBB55_487:
	v_cmp_ne_u16_e32 vcc_lo, 0, v3
	v_mov_b32_e32 v1, v3
	s_and_not1_b32 s1, s1, exec_lo
	s_and_b32 s26, vcc_lo, exec_lo
	s_delay_alu instid0(SALU_CYCLE_1)
	s_or_b32 s1, s1, s26
	s_or_b32 exec_lo, exec_lo, s25
	s_and_saveexec_b32 s25, s1
	s_cbranch_execnz .LBB55_468
	s_branch .LBB55_469
.LBB55_488:
	s_mov_b32 s24, -1
                                        ; implicit-def: $vgpr1
.LBB55_489:
	s_mov_b32 s25, 0
.LBB55_490:
	s_delay_alu instid0(SALU_CYCLE_1)
	s_and_b32 vcc_lo, exec_lo, s25
	s_cbranch_vccz .LBB55_494
; %bb.491:
	s_cmp_eq_u32 s0, 11
	s_cbranch_scc0 .LBB55_493
; %bb.492:
	s_wait_loadcnt 0x0
	global_load_u8 v1, v[4:5], off
	s_mov_b32 s24, 0
	s_mov_b32 s1, -1
	s_wait_loadcnt 0x0
	v_cmp_ne_u16_e32 vcc_lo, 0, v1
	v_cndmask_b32_e64 v1, 0, 0x3c00, vcc_lo
	s_branch .LBB55_494
.LBB55_493:
	s_mov_b32 s24, -1
                                        ; implicit-def: $vgpr1
.LBB55_494:
	s_branch .LBB55_296
.LBB55_495:
	s_cmp_lt_i32 s0, 5
	s_cbranch_scc1 .LBB55_500
; %bb.496:
	s_cmp_lt_i32 s0, 8
	s_cbranch_scc1 .LBB55_501
; %bb.497:
	;; [unrolled: 3-line block ×3, first 2 shown]
	s_cmp_gt_i32 s0, 9
	s_cbranch_scc0 .LBB55_503
; %bb.499:
	global_load_b64 v[6:7], v[4:5], off
	s_mov_b32 s1, 0
	s_wait_loadcnt 0x0
	v_and_or_b32 v1, 0x1ff, v7, v6
	v_lshrrev_b32_e32 v3, 8, v7
	v_bfe_u32 v6, v7, 20, 11
	s_delay_alu instid0(VALU_DEP_3) | instskip(NEXT) | instid1(VALU_DEP_2)
	v_cmp_ne_u32_e32 vcc_lo, 0, v1
	v_sub_nc_u32_e32 v8, 0x3f1, v6
	v_add_nc_u32_e32 v6, 0xfffffc10, v6
	v_cndmask_b32_e64 v1, 0, 1, vcc_lo
	s_delay_alu instid0(VALU_DEP_1) | instskip(NEXT) | instid1(VALU_DEP_4)
	v_and_or_b32 v1, 0xffe, v3, v1
	v_med3_i32 v3, v8, 0, 13
	s_delay_alu instid0(VALU_DEP_2) | instskip(NEXT) | instid1(VALU_DEP_1)
	v_or_b32_e32 v8, 0x1000, v1
	v_lshrrev_b32_e32 v9, v3, v8
	s_delay_alu instid0(VALU_DEP_1) | instskip(NEXT) | instid1(VALU_DEP_1)
	v_lshlrev_b32_e32 v3, v3, v9
	v_cmp_ne_u32_e32 vcc_lo, v3, v8
	v_lshl_or_b32 v8, v6, 12, v1
	v_cndmask_b32_e64 v3, 0, 1, vcc_lo
	v_cmp_gt_i32_e32 vcc_lo, 1, v6
	s_delay_alu instid0(VALU_DEP_2) | instskip(NEXT) | instid1(VALU_DEP_1)
	v_or_b32_e32 v3, v9, v3
	v_cndmask_b32_e32 v3, v8, v3, vcc_lo
	s_delay_alu instid0(VALU_DEP_1) | instskip(NEXT) | instid1(VALU_DEP_1)
	v_dual_lshrrev_b32 v3, 2, v3 :: v_dual_bitop2_b32 v8, 7, v3 bitop3:0x40
	v_cmp_lt_i32_e32 vcc_lo, 5, v8
	v_cndmask_b32_e64 v9, 0, 1, vcc_lo
	v_cmp_eq_u32_e32 vcc_lo, 3, v8
	v_cndmask_b32_e64 v8, 0, 1, vcc_lo
	v_cmp_ne_u32_e32 vcc_lo, 0, v1
	s_delay_alu instid0(VALU_DEP_2) | instskip(SKIP_1) | instid1(VALU_DEP_2)
	v_or_b32_e32 v8, v8, v9
	v_mov_b32_e32 v9, 0x7e00
	v_add_nc_u32_e32 v3, v3, v8
	s_delay_alu instid0(VALU_DEP_2) | instskip(SKIP_1) | instid1(VALU_DEP_3)
	v_cndmask_b32_e32 v1, 0x7c00, v9, vcc_lo
	v_cmp_gt_i32_e32 vcc_lo, 31, v6
	v_cndmask_b32_e32 v3, 0x7c00, v3, vcc_lo
	v_cmp_eq_u32_e32 vcc_lo, 0x40f, v6
	s_delay_alu instid0(VALU_DEP_2) | instskip(NEXT) | instid1(VALU_DEP_1)
	v_dual_cndmask_b32 v1, v3, v1, vcc_lo :: v_dual_lshrrev_b32 v3, 16, v7
	v_and_or_b32 v1, 0x8000, v3, v1
	s_branch .LBB55_504
.LBB55_500:
	s_mov_b32 s1, -1
                                        ; implicit-def: $vgpr1
	s_branch .LBB55_522
.LBB55_501:
	s_mov_b32 s1, -1
                                        ; implicit-def: $vgpr1
	s_branch .LBB55_510
.LBB55_502:
	s_mov_b32 s1, -1
                                        ; implicit-def: $vgpr1
	s_branch .LBB55_507
.LBB55_503:
	s_mov_b32 s1, -1
                                        ; implicit-def: $vgpr1
.LBB55_504:
	s_delay_alu instid0(SALU_CYCLE_1)
	s_and_not1_b32 vcc_lo, exec_lo, s1
	s_cbranch_vccnz .LBB55_506
; %bb.505:
	s_wait_loadcnt 0x0
	global_load_b32 v1, v[4:5], off
	s_wait_loadcnt 0x0
	v_cvt_f16_f32_e32 v1, v1
.LBB55_506:
	s_mov_b32 s1, 0
.LBB55_507:
	s_delay_alu instid0(SALU_CYCLE_1)
	s_and_not1_b32 vcc_lo, exec_lo, s1
	s_cbranch_vccnz .LBB55_509
; %bb.508:
	s_wait_loadcnt 0x0
	global_load_b32 v1, v[4:5], off
.LBB55_509:
	s_mov_b32 s1, 0
.LBB55_510:
	s_delay_alu instid0(SALU_CYCLE_1)
	s_and_not1_b32 vcc_lo, exec_lo, s1
	s_cbranch_vccnz .LBB55_521
; %bb.511:
	s_cmp_lt_i32 s0, 6
	s_cbranch_scc1 .LBB55_514
; %bb.512:
	s_cmp_gt_i32 s0, 6
	s_cbranch_scc0 .LBB55_515
; %bb.513:
	global_load_b64 v[6:7], v[4:5], off
	s_mov_b32 s1, 0
	s_wait_loadcnt 0x0
	v_and_or_b32 v1, 0x1ff, v7, v6
	v_lshrrev_b32_e32 v3, 8, v7
	v_bfe_u32 v6, v7, 20, 11
	s_delay_alu instid0(VALU_DEP_3) | instskip(NEXT) | instid1(VALU_DEP_2)
	v_cmp_ne_u32_e32 vcc_lo, 0, v1
	v_sub_nc_u32_e32 v8, 0x3f1, v6
	v_add_nc_u32_e32 v6, 0xfffffc10, v6
	v_cndmask_b32_e64 v1, 0, 1, vcc_lo
	s_delay_alu instid0(VALU_DEP_1) | instskip(NEXT) | instid1(VALU_DEP_4)
	v_and_or_b32 v1, 0xffe, v3, v1
	v_med3_i32 v3, v8, 0, 13
	s_delay_alu instid0(VALU_DEP_2) | instskip(NEXT) | instid1(VALU_DEP_1)
	v_or_b32_e32 v8, 0x1000, v1
	v_lshrrev_b32_e32 v9, v3, v8
	s_delay_alu instid0(VALU_DEP_1) | instskip(NEXT) | instid1(VALU_DEP_1)
	v_lshlrev_b32_e32 v3, v3, v9
	v_cmp_ne_u32_e32 vcc_lo, v3, v8
	v_lshl_or_b32 v8, v6, 12, v1
	v_cndmask_b32_e64 v3, 0, 1, vcc_lo
	v_cmp_gt_i32_e32 vcc_lo, 1, v6
	s_delay_alu instid0(VALU_DEP_2) | instskip(NEXT) | instid1(VALU_DEP_1)
	v_or_b32_e32 v3, v9, v3
	v_cndmask_b32_e32 v3, v8, v3, vcc_lo
	s_delay_alu instid0(VALU_DEP_1) | instskip(NEXT) | instid1(VALU_DEP_1)
	v_dual_lshrrev_b32 v3, 2, v3 :: v_dual_bitop2_b32 v8, 7, v3 bitop3:0x40
	v_cmp_lt_i32_e32 vcc_lo, 5, v8
	v_cndmask_b32_e64 v9, 0, 1, vcc_lo
	v_cmp_eq_u32_e32 vcc_lo, 3, v8
	v_cndmask_b32_e64 v8, 0, 1, vcc_lo
	v_cmp_ne_u32_e32 vcc_lo, 0, v1
	s_delay_alu instid0(VALU_DEP_2) | instskip(SKIP_1) | instid1(VALU_DEP_2)
	v_or_b32_e32 v8, v8, v9
	v_mov_b32_e32 v9, 0x7e00
	v_add_nc_u32_e32 v3, v3, v8
	s_delay_alu instid0(VALU_DEP_2) | instskip(SKIP_1) | instid1(VALU_DEP_3)
	v_cndmask_b32_e32 v1, 0x7c00, v9, vcc_lo
	v_cmp_gt_i32_e32 vcc_lo, 31, v6
	v_cndmask_b32_e32 v3, 0x7c00, v3, vcc_lo
	v_cmp_eq_u32_e32 vcc_lo, 0x40f, v6
	s_delay_alu instid0(VALU_DEP_2) | instskip(NEXT) | instid1(VALU_DEP_1)
	v_dual_cndmask_b32 v1, v3, v1, vcc_lo :: v_dual_lshrrev_b32 v3, 16, v7
	v_and_or_b32 v1, 0x8000, v3, v1
	s_branch .LBB55_516
.LBB55_514:
	s_mov_b32 s1, -1
                                        ; implicit-def: $vgpr1
	s_branch .LBB55_519
.LBB55_515:
	s_mov_b32 s1, -1
                                        ; implicit-def: $vgpr1
.LBB55_516:
	s_delay_alu instid0(SALU_CYCLE_1)
	s_and_not1_b32 vcc_lo, exec_lo, s1
	s_cbranch_vccnz .LBB55_518
; %bb.517:
	s_wait_loadcnt 0x0
	global_load_b32 v1, v[4:5], off
	s_wait_loadcnt 0x0
	v_cvt_f16_f32_e32 v1, v1
.LBB55_518:
	s_mov_b32 s1, 0
.LBB55_519:
	s_delay_alu instid0(SALU_CYCLE_1)
	s_and_not1_b32 vcc_lo, exec_lo, s1
	s_cbranch_vccnz .LBB55_521
; %bb.520:
	s_wait_loadcnt 0x0
	global_load_u16 v1, v[4:5], off
.LBB55_521:
	s_mov_b32 s1, 0
.LBB55_522:
	s_delay_alu instid0(SALU_CYCLE_1)
	s_and_not1_b32 vcc_lo, exec_lo, s1
	s_cbranch_vccnz .LBB55_542
; %bb.523:
	s_cmp_lt_i32 s0, 2
	s_cbranch_scc1 .LBB55_527
; %bb.524:
	s_cmp_lt_i32 s0, 3
	s_cbranch_scc1 .LBB55_528
; %bb.525:
	s_cmp_gt_i32 s0, 3
	s_cbranch_scc0 .LBB55_529
; %bb.526:
	global_load_b64 v[6:7], v[4:5], off
	s_mov_b32 s1, 0
	s_wait_loadcnt 0x0
	v_xor_b32_e32 v1, v6, v7
	v_cls_i32_e32 v3, v7
	s_delay_alu instid0(VALU_DEP_2) | instskip(NEXT) | instid1(VALU_DEP_1)
	v_ashrrev_i32_e32 v1, 31, v1
	v_add_nc_u32_e32 v1, 32, v1
	s_delay_alu instid0(VALU_DEP_1) | instskip(NEXT) | instid1(VALU_DEP_1)
	v_add_min_u32_e64 v1, v3, -1, v1
	v_lshlrev_b64_e32 v[6:7], v1, v[6:7]
	v_sub_nc_u32_e32 v1, 32, v1
	s_delay_alu instid0(VALU_DEP_2) | instskip(NEXT) | instid1(VALU_DEP_1)
	v_min_u32_e32 v3, 1, v6
	v_or_b32_e32 v3, v7, v3
	s_delay_alu instid0(VALU_DEP_1) | instskip(NEXT) | instid1(VALU_DEP_1)
	v_cvt_f32_i32_e32 v3, v3
	v_ldexp_f32 v1, v3, v1
	s_delay_alu instid0(VALU_DEP_1)
	v_cvt_f16_f32_e32 v1, v1
	s_branch .LBB55_530
.LBB55_527:
	s_mov_b32 s1, -1
                                        ; implicit-def: $vgpr1
	s_branch .LBB55_536
.LBB55_528:
	s_mov_b32 s1, -1
                                        ; implicit-def: $vgpr1
	s_branch .LBB55_533
.LBB55_529:
	s_mov_b32 s1, -1
                                        ; implicit-def: $vgpr1
.LBB55_530:
	s_delay_alu instid0(SALU_CYCLE_1)
	s_and_not1_b32 vcc_lo, exec_lo, s1
	s_cbranch_vccnz .LBB55_532
; %bb.531:
	s_wait_loadcnt 0x0
	global_load_b32 v1, v[4:5], off
	s_wait_loadcnt 0x0
	v_cvt_f32_i32_e32 v1, v1
	s_delay_alu instid0(VALU_DEP_1)
	v_cvt_f16_f32_e32 v1, v1
.LBB55_532:
	s_mov_b32 s1, 0
.LBB55_533:
	s_delay_alu instid0(SALU_CYCLE_1)
	s_and_not1_b32 vcc_lo, exec_lo, s1
	s_cbranch_vccnz .LBB55_535
; %bb.534:
	s_wait_loadcnt 0x0
	global_load_u16 v1, v[4:5], off
	s_wait_loadcnt 0x0
	v_cvt_f16_i16_e32 v1, v1
.LBB55_535:
	s_mov_b32 s1, 0
.LBB55_536:
	s_delay_alu instid0(SALU_CYCLE_1)
	s_and_not1_b32 vcc_lo, exec_lo, s1
	s_cbranch_vccnz .LBB55_542
; %bb.537:
	s_cmp_gt_i32 s0, 0
	s_mov_b32 s0, 0
	s_cbranch_scc0 .LBB55_539
; %bb.538:
	s_wait_loadcnt 0x0
	global_load_i8 v1, v[4:5], off
	s_wait_loadcnt 0x0
	v_cvt_f16_i16_e32 v1, v1
	s_branch .LBB55_540
.LBB55_539:
	s_mov_b32 s0, -1
                                        ; implicit-def: $vgpr1
.LBB55_540:
	s_delay_alu instid0(SALU_CYCLE_1)
	s_and_not1_b32 vcc_lo, exec_lo, s0
	s_cbranch_vccnz .LBB55_542
; %bb.541:
	s_wait_loadcnt 0x0
	global_load_u8 v1, v[4:5], off
	s_wait_loadcnt 0x0
	v_cvt_f16_u16_e32 v1, v1
.LBB55_542:
	s_branch .LBB55_297
.LBB55_543:
	s_mov_b32 s0, 0
	s_mov_b32 s1, s18
.LBB55_544:
                                        ; implicit-def: $vgpr0
.LBB55_545:
	s_and_not1_b32 s25, s18, exec_lo
	s_and_b32 s1, s1, exec_lo
	s_and_not1_b32 s26, s39, exec_lo
	s_and_b32 s24, s24, exec_lo
	s_or_b32 s42, s25, s1
	s_or_b32 s41, s26, s24
	s_or_not1_b32 s0, s0, exec_lo
.LBB55_546:
	s_wait_xcnt 0x0
	s_or_b32 exec_lo, exec_lo, s43
	s_mov_b32 s1, 0
	s_mov_b32 s24, 0
	;; [unrolled: 1-line block ×3, first 2 shown]
                                        ; implicit-def: $vgpr4_vgpr5
                                        ; implicit-def: $vgpr2
                                        ; implicit-def: $vgpr6
	s_and_saveexec_b32 s43, s0
	s_cbranch_execz .LBB55_927
; %bb.547:
	s_mov_b32 s25, -1
	s_mov_b32 s26, s41
	s_mov_b32 s27, s42
	s_mov_b32 s44, exec_lo
	v_cmpx_gt_i32_e64 s36, v0
	s_cbranch_execz .LBB55_824
; %bb.548:
	s_and_not1_b32 vcc_lo, exec_lo, s31
	s_cbranch_vccnz .LBB55_554
; %bb.549:
	s_and_not1_b32 vcc_lo, exec_lo, s38
	s_cbranch_vccnz .LBB55_555
; %bb.550:
	s_add_co_i32 s1, s37, 1
	s_cmp_eq_u32 s29, 2
	s_cbranch_scc1 .LBB55_556
; %bb.551:
	v_dual_mov_b32 v2, 0 :: v_dual_mov_b32 v4, 0
	s_wait_loadcnt 0x0
	v_mov_b32_e32 v1, v0
	s_and_b32 s0, s1, 28
	s_mov_b32 s45, 0
	s_mov_b64 s[24:25], s[2:3]
	s_mov_b64 s[26:27], s[22:23]
.LBB55_552:                             ; =>This Inner Loop Header: Depth=1
	s_clause 0x1
	s_load_b256 s[48:55], s[24:25], 0x4
	s_load_b128 s[64:67], s[24:25], 0x24
	s_load_b256 s[56:63], s[26:27], 0x0
	s_add_co_i32 s45, s45, 4
	s_wait_xcnt 0x0
	s_add_nc_u64 s[24:25], s[24:25], 48
	s_cmp_eq_u32 s0, s45
	s_add_nc_u64 s[26:27], s[26:27], 32
	s_wait_kmcnt 0x0
	v_mul_hi_u32 v3, s49, v1
	s_delay_alu instid0(VALU_DEP_1) | instskip(NEXT) | instid1(VALU_DEP_1)
	v_add_nc_u32_e32 v3, v1, v3
	v_lshrrev_b32_e32 v3, s50, v3
	s_delay_alu instid0(VALU_DEP_1) | instskip(NEXT) | instid1(VALU_DEP_1)
	v_mul_hi_u32 v5, s52, v3
	v_add_nc_u32_e32 v5, v3, v5
	s_delay_alu instid0(VALU_DEP_1) | instskip(NEXT) | instid1(VALU_DEP_1)
	v_lshrrev_b32_e32 v5, s53, v5
	v_mul_hi_u32 v6, s55, v5
	s_delay_alu instid0(VALU_DEP_1) | instskip(SKIP_1) | instid1(VALU_DEP_1)
	v_add_nc_u32_e32 v6, v5, v6
	v_mul_lo_u32 v7, v3, s48
	v_sub_nc_u32_e32 v1, v1, v7
	v_mul_lo_u32 v7, v5, s51
	s_delay_alu instid0(VALU_DEP_4) | instskip(NEXT) | instid1(VALU_DEP_3)
	v_lshrrev_b32_e32 v6, s64, v6
	v_mad_u32 v4, v1, s57, v4
	v_mad_u32 v1, v1, s56, v2
	s_delay_alu instid0(VALU_DEP_4) | instskip(NEXT) | instid1(VALU_DEP_4)
	v_sub_nc_u32_e32 v2, v3, v7
	v_mul_hi_u32 v8, s66, v6
	v_mul_lo_u32 v3, v6, s54
	s_delay_alu instid0(VALU_DEP_3) | instskip(SKIP_1) | instid1(VALU_DEP_3)
	v_mad_u32 v4, v2, s59, v4
	v_mad_u32 v2, v2, s58, v1
	v_dual_add_nc_u32 v7, v6, v8 :: v_dual_sub_nc_u32 v3, v5, v3
	s_delay_alu instid0(VALU_DEP_1) | instskip(NEXT) | instid1(VALU_DEP_2)
	v_lshrrev_b32_e32 v1, s67, v7
	v_mad_u32 v4, v3, s61, v4
	s_delay_alu instid0(VALU_DEP_4) | instskip(NEXT) | instid1(VALU_DEP_3)
	v_mad_u32 v2, v3, s60, v2
	v_mul_lo_u32 v5, v1, s65
	s_delay_alu instid0(VALU_DEP_1) | instskip(NEXT) | instid1(VALU_DEP_1)
	v_sub_nc_u32_e32 v3, v6, v5
	v_mad_u32 v4, v3, s63, v4
	s_delay_alu instid0(VALU_DEP_4)
	v_mad_u32 v2, v3, s62, v2
	s_cbranch_scc0 .LBB55_552
; %bb.553:
	s_delay_alu instid0(VALU_DEP_2)
	v_mov_b32_e32 v3, v4
	s_branch .LBB55_557
.LBB55_554:
	s_mov_b32 s0, -1
                                        ; implicit-def: $vgpr4
                                        ; implicit-def: $vgpr2
	s_branch .LBB55_562
.LBB55_555:
	v_dual_mov_b32 v4, 0 :: v_dual_mov_b32 v2, 0
	s_branch .LBB55_561
.LBB55_556:
	v_mov_b64_e32 v[2:3], 0
	s_wait_loadcnt 0x0
	v_mov_b32_e32 v1, v0
	s_mov_b32 s0, 0
                                        ; implicit-def: $vgpr4
.LBB55_557:
	s_and_b32 s26, s1, 3
	s_mov_b32 s1, 0
	s_cmp_eq_u32 s26, 0
	s_cbranch_scc1 .LBB55_561
; %bb.558:
	s_lshl_b32 s24, s0, 3
	s_mov_b32 s25, s1
	s_mul_u64 s[46:47], s[0:1], 12
	s_add_nc_u64 s[24:25], s[2:3], s[24:25]
	s_delay_alu instid0(SALU_CYCLE_1)
	s_add_nc_u64 s[0:1], s[24:25], 0xc4
	s_add_nc_u64 s[24:25], s[2:3], s[46:47]
.LBB55_559:                             ; =>This Inner Loop Header: Depth=1
	s_load_b96 s[48:50], s[24:25], 0x4
	s_load_b64 s[46:47], s[0:1], 0x0
	s_add_co_i32 s26, s26, -1
	s_wait_xcnt 0x0
	s_add_nc_u64 s[24:25], s[24:25], 12
	s_cmp_lg_u32 s26, 0
	s_add_nc_u64 s[0:1], s[0:1], 8
	s_wait_kmcnt 0x0
	v_mul_hi_u32 v4, s49, v1
	s_delay_alu instid0(VALU_DEP_1) | instskip(NEXT) | instid1(VALU_DEP_1)
	v_add_nc_u32_e32 v4, v1, v4
	v_lshrrev_b32_e32 v4, s50, v4
	s_delay_alu instid0(VALU_DEP_1) | instskip(NEXT) | instid1(VALU_DEP_1)
	v_mul_lo_u32 v5, v4, s48
	v_sub_nc_u32_e32 v1, v1, v5
	s_delay_alu instid0(VALU_DEP_1)
	v_mad_u32 v3, v1, s47, v3
	v_mad_u32 v2, v1, s46, v2
	v_mov_b32_e32 v1, v4
	s_cbranch_scc1 .LBB55_559
; %bb.560:
	s_delay_alu instid0(VALU_DEP_3)
	v_mov_b32_e32 v4, v3
.LBB55_561:
	s_mov_b32 s0, 0
.LBB55_562:
	s_delay_alu instid0(SALU_CYCLE_1)
	s_and_not1_b32 vcc_lo, exec_lo, s0
	s_cbranch_vccnz .LBB55_565
; %bb.563:
	s_wait_loadcnt 0x0
	v_mov_b32_e32 v1, 0
	s_and_not1_b32 vcc_lo, exec_lo, s35
	s_delay_alu instid0(VALU_DEP_1) | instskip(NEXT) | instid1(VALU_DEP_1)
	v_mul_u64_e32 v[2:3], s[16:17], v[0:1]
	v_add_nc_u32_e32 v2, v0, v3
	s_delay_alu instid0(VALU_DEP_1) | instskip(NEXT) | instid1(VALU_DEP_1)
	v_lshrrev_b32_e32 v6, s14, v2
	v_mul_lo_u32 v2, v6, s12
	s_delay_alu instid0(VALU_DEP_1) | instskip(NEXT) | instid1(VALU_DEP_1)
	v_sub_nc_u32_e32 v2, v0, v2
	v_mul_lo_u32 v4, v2, s9
	v_mul_lo_u32 v2, v2, s8
	s_cbranch_vccnz .LBB55_565
; %bb.564:
	v_mov_b32_e32 v7, v1
	s_delay_alu instid0(VALU_DEP_1) | instskip(NEXT) | instid1(VALU_DEP_1)
	v_mul_u64_e32 v[8:9], s[20:21], v[6:7]
	v_add_nc_u32_e32 v1, v6, v9
	s_delay_alu instid0(VALU_DEP_1) | instskip(NEXT) | instid1(VALU_DEP_1)
	v_lshrrev_b32_e32 v1, s19, v1
	v_mul_lo_u32 v1, v1, s15
	s_delay_alu instid0(VALU_DEP_1) | instskip(NEXT) | instid1(VALU_DEP_1)
	v_sub_nc_u32_e32 v1, v6, v1
	v_mad_u32 v2, v1, s10, v2
	v_mad_u32 v4, v1, s11, v4
.LBB55_565:
	v_mov_b32_e32 v5, 0
	s_and_b32 s0, 0xffff, s13
	s_delay_alu instid0(SALU_CYCLE_1) | instskip(NEXT) | instid1(VALU_DEP_1)
	s_cmp_lt_i32 s0, 11
	v_add_nc_u64_e32 v[4:5], s[6:7], v[4:5]
	s_cbranch_scc1 .LBB55_572
; %bb.566:
	s_cmp_gt_i32 s0, 25
	s_cbranch_scc0 .LBB55_573
; %bb.567:
	s_cmp_gt_i32 s0, 28
	s_cbranch_scc0 .LBB55_574
	;; [unrolled: 3-line block ×4, first 2 shown]
; %bb.570:
	s_cmp_eq_u32 s0, 46
	s_mov_b32 s25, 0
	s_cbranch_scc0 .LBB55_581
; %bb.571:
	s_wait_loadcnt 0x0
	global_load_b32 v1, v[4:5], off
	s_mov_b32 s1, -1
	s_mov_b32 s24, 0
	s_wait_loadcnt 0x0
	v_lshlrev_b32_e32 v1, 16, v1
	s_delay_alu instid0(VALU_DEP_1)
	v_cvt_f16_f32_e32 v1, v1
	s_branch .LBB55_583
.LBB55_572:
	s_mov_b32 s25, -1
	s_mov_b32 s1, 0
	s_mov_b32 s24, s41
                                        ; implicit-def: $vgpr1
	s_branch .LBB55_648
.LBB55_573:
	s_mov_b32 s25, -1
	s_mov_b32 s1, 0
	s_mov_b32 s24, s41
                                        ; implicit-def: $vgpr1
	s_branch .LBB55_612
.LBB55_574:
	s_mov_b32 s25, -1
	s_mov_b32 s1, 0
	s_mov_b32 s24, s41
                                        ; implicit-def: $vgpr1
	s_branch .LBB55_593
.LBB55_575:
	s_mov_b32 s25, -1
	s_mov_b32 s1, 0
	s_mov_b32 s24, s41
                                        ; implicit-def: $vgpr1
	s_branch .LBB55_588
.LBB55_576:
	s_and_not1_saveexec_b32 s42, s42
	s_cbranch_execz .LBB55_343
.LBB55_577:
	v_add_f32_e32 v1, 0x46000000, v4
	s_and_not1_b32 s41, s41, exec_lo
	s_delay_alu instid0(VALU_DEP_1) | instskip(NEXT) | instid1(VALU_DEP_1)
	v_and_b32_e32 v1, 0xff, v1
	v_cmp_ne_u32_e32 vcc_lo, 0, v1
	s_and_b32 s44, vcc_lo, exec_lo
	s_delay_alu instid0(SALU_CYCLE_1)
	s_or_b32 s41, s41, s44
	s_or_b32 exec_lo, exec_lo, s42
	v_mov_b32_e32 v5, 0
	s_and_saveexec_b32 s42, s41
	s_cbranch_execnz .LBB55_344
	s_branch .LBB55_345
.LBB55_578:
	s_mov_b32 s25, -1
	s_mov_b32 s1, 0
	s_mov_b32 s24, s41
	s_branch .LBB55_582
.LBB55_579:
	s_and_not1_saveexec_b32 s42, s42
	s_cbranch_execz .LBB55_356
.LBB55_580:
	v_add_f32_e32 v1, 0x42800000, v4
	s_and_not1_b32 s41, s41, exec_lo
	s_delay_alu instid0(VALU_DEP_1) | instskip(NEXT) | instid1(VALU_DEP_1)
	v_and_b32_e32 v1, 0xff, v1
	v_cmp_ne_u32_e32 vcc_lo, 0, v1
	s_and_b32 s44, vcc_lo, exec_lo
	s_delay_alu instid0(SALU_CYCLE_1)
	s_or_b32 s41, s41, s44
	s_or_b32 exec_lo, exec_lo, s42
	v_mov_b32_e32 v5, 0
	s_and_saveexec_b32 s42, s41
	s_cbranch_execnz .LBB55_357
	s_branch .LBB55_358
.LBB55_581:
	s_mov_b32 s24, -1
	s_mov_b32 s1, 0
.LBB55_582:
                                        ; implicit-def: $vgpr1
.LBB55_583:
	s_and_b32 vcc_lo, exec_lo, s25
	s_cbranch_vccz .LBB55_587
; %bb.584:
	s_cmp_eq_u32 s0, 44
	s_cbranch_scc0 .LBB55_586
; %bb.585:
	s_wait_loadcnt 0x0
	global_load_u8 v1, v[4:5], off
	s_mov_b32 s24, 0
	s_mov_b32 s1, -1
	s_wait_loadcnt 0x0
	v_lshlrev_b32_e32 v3, 23, v1
	v_cmp_ne_u32_e32 vcc_lo, 0xff, v1
	s_delay_alu instid0(VALU_DEP_2) | instskip(NEXT) | instid1(VALU_DEP_1)
	v_cvt_f16_f32_e32 v3, v3
	v_cndmask_b32_e32 v3, 0x7e00, v3, vcc_lo
	v_cmp_ne_u32_e32 vcc_lo, 0, v1
	s_delay_alu instid0(VALU_DEP_2)
	v_cndmask_b32_e32 v1, 0, v3, vcc_lo
	s_branch .LBB55_587
.LBB55_586:
	s_mov_b32 s24, -1
                                        ; implicit-def: $vgpr1
.LBB55_587:
	s_mov_b32 s25, 0
.LBB55_588:
	s_delay_alu instid0(SALU_CYCLE_1)
	s_and_b32 vcc_lo, exec_lo, s25
	s_cbranch_vccz .LBB55_592
; %bb.589:
	s_cmp_eq_u32 s0, 29
	s_cbranch_scc0 .LBB55_591
; %bb.590:
	global_load_b64 v[6:7], v[4:5], off
	s_mov_b32 s1, -1
	s_mov_b32 s24, 0
	s_mov_b32 s25, 0
	s_wait_loadcnt 0x0
	v_clz_i32_u32_e32 v1, v7
	s_delay_alu instid0(VALU_DEP_1) | instskip(NEXT) | instid1(VALU_DEP_1)
	v_min_u32_e32 v1, 32, v1
	v_lshlrev_b64_e32 v[6:7], v1, v[6:7]
	v_sub_nc_u32_e32 v1, 32, v1
	s_delay_alu instid0(VALU_DEP_2) | instskip(NEXT) | instid1(VALU_DEP_1)
	v_min_u32_e32 v3, 1, v6
	v_or_b32_e32 v3, v7, v3
	s_delay_alu instid0(VALU_DEP_1) | instskip(NEXT) | instid1(VALU_DEP_1)
	v_cvt_f32_u32_e32 v3, v3
	v_ldexp_f32 v1, v3, v1
	s_delay_alu instid0(VALU_DEP_1)
	v_cvt_f16_f32_e32 v1, v1
	s_branch .LBB55_593
.LBB55_591:
	s_mov_b32 s24, -1
                                        ; implicit-def: $vgpr1
.LBB55_592:
	s_mov_b32 s25, 0
.LBB55_593:
	s_delay_alu instid0(SALU_CYCLE_1)
	s_and_b32 vcc_lo, exec_lo, s25
	s_cbranch_vccz .LBB55_611
; %bb.594:
	s_cmp_lt_i32 s0, 27
	s_cbranch_scc1 .LBB55_597
; %bb.595:
	s_cmp_gt_i32 s0, 27
	s_cbranch_scc0 .LBB55_598
; %bb.596:
	s_wait_loadcnt 0x0
	global_load_b32 v1, v[4:5], off
	s_mov_b32 s1, 0
	s_wait_loadcnt 0x0
	v_cvt_f32_u32_e32 v1, v1
	s_delay_alu instid0(VALU_DEP_1)
	v_cvt_f16_f32_e32 v1, v1
	s_branch .LBB55_599
.LBB55_597:
	s_mov_b32 s1, -1
                                        ; implicit-def: $vgpr1
	s_branch .LBB55_602
.LBB55_598:
	s_mov_b32 s1, -1
                                        ; implicit-def: $vgpr1
.LBB55_599:
	s_delay_alu instid0(SALU_CYCLE_1)
	s_and_not1_b32 vcc_lo, exec_lo, s1
	s_cbranch_vccnz .LBB55_601
; %bb.600:
	s_wait_loadcnt 0x0
	global_load_u16 v1, v[4:5], off
	s_wait_loadcnt 0x0
	v_cvt_f16_u16_e32 v1, v1
.LBB55_601:
	s_mov_b32 s1, 0
.LBB55_602:
	s_delay_alu instid0(SALU_CYCLE_1)
	s_and_not1_b32 vcc_lo, exec_lo, s1
	s_cbranch_vccnz .LBB55_610
; %bb.603:
	global_load_u8 v3, v[4:5], off
	s_mov_b32 s1, 0
	s_mov_b32 s25, exec_lo
	s_wait_loadcnt 0x0
	v_cmpx_lt_i16_e32 0x7f, v3
	s_xor_b32 s25, exec_lo, s25
	s_cbranch_execz .LBB55_624
; %bb.604:
	s_mov_b32 s1, -1
	s_mov_b32 s26, exec_lo
	v_cmpx_eq_u16_e32 0x80, v3
; %bb.605:
	s_xor_b32 s1, exec_lo, -1
; %bb.606:
	s_or_b32 exec_lo, exec_lo, s26
	s_delay_alu instid0(SALU_CYCLE_1)
	s_and_b32 s1, s1, exec_lo
	s_or_saveexec_b32 s25, s25
	v_mov_b32_e32 v1, 0x7e00
	s_xor_b32 exec_lo, exec_lo, s25
	s_cbranch_execnz .LBB55_625
.LBB55_607:
	s_or_b32 exec_lo, exec_lo, s25
	s_and_saveexec_b32 s25, s1
	s_cbranch_execz .LBB55_609
.LBB55_608:
	v_and_b32_e32 v1, 0xffff, v3
	s_delay_alu instid0(VALU_DEP_1) | instskip(SKIP_1) | instid1(VALU_DEP_2)
	v_and_b32_e32 v6, 7, v1
	v_bfe_u32 v9, v1, 3, 4
	v_clz_i32_u32_e32 v7, v6
	s_delay_alu instid0(VALU_DEP_2) | instskip(NEXT) | instid1(VALU_DEP_2)
	v_cmp_eq_u32_e32 vcc_lo, 0, v9
	v_min_u32_e32 v7, 32, v7
	s_delay_alu instid0(VALU_DEP_1) | instskip(NEXT) | instid1(VALU_DEP_1)
	v_subrev_nc_u32_e32 v8, 28, v7
	v_dual_lshlrev_b32 v1, v8, v1 :: v_dual_sub_nc_u32 v7, 29, v7
	s_delay_alu instid0(VALU_DEP_1) | instskip(NEXT) | instid1(VALU_DEP_1)
	v_dual_lshlrev_b32 v3, 24, v3 :: v_dual_bitop2_b32 v1, 7, v1 bitop3:0x40
	v_dual_cndmask_b32 v1, v6, v1, vcc_lo :: v_dual_cndmask_b32 v7, v9, v7, vcc_lo
	s_delay_alu instid0(VALU_DEP_2) | instskip(NEXT) | instid1(VALU_DEP_2)
	v_and_b32_e32 v3, 0x80000000, v3
	v_lshlrev_b32_e32 v1, 20, v1
	s_delay_alu instid0(VALU_DEP_3) | instskip(NEXT) | instid1(VALU_DEP_1)
	v_lshl_add_u32 v6, v7, 23, 0x3b800000
	v_or3_b32 v1, v3, v6, v1
	s_delay_alu instid0(VALU_DEP_1)
	v_cvt_f16_f32_e32 v1, v1
.LBB55_609:
	s_or_b32 exec_lo, exec_lo, s25
.LBB55_610:
	s_mov_b32 s1, -1
.LBB55_611:
	s_mov_b32 s25, 0
.LBB55_612:
	s_delay_alu instid0(SALU_CYCLE_1)
	s_and_b32 vcc_lo, exec_lo, s25
	s_cbranch_vccz .LBB55_647
; %bb.613:
	s_cmp_gt_i32 s0, 22
	s_cbranch_scc0 .LBB55_623
; %bb.614:
	s_cmp_lt_i32 s0, 24
	s_cbranch_scc1 .LBB55_626
; %bb.615:
	s_cmp_gt_i32 s0, 24
	s_cbranch_scc0 .LBB55_627
; %bb.616:
	global_load_u8 v3, v[4:5], off
	s_mov_b32 s1, 0
	s_mov_b32 s25, exec_lo
	s_wait_loadcnt 0x0
	v_cmpx_lt_i16_e32 0x7f, v3
	s_xor_b32 s25, exec_lo, s25
	s_cbranch_execz .LBB55_639
; %bb.617:
	s_mov_b32 s1, -1
	s_mov_b32 s26, exec_lo
	v_cmpx_eq_u16_e32 0x80, v3
; %bb.618:
	s_xor_b32 s1, exec_lo, -1
; %bb.619:
	s_or_b32 exec_lo, exec_lo, s26
	s_delay_alu instid0(SALU_CYCLE_1)
	s_and_b32 s1, s1, exec_lo
	s_or_saveexec_b32 s25, s25
	v_mov_b32_e32 v1, 0x7e00
	s_xor_b32 exec_lo, exec_lo, s25
	s_cbranch_execnz .LBB55_640
.LBB55_620:
	s_or_b32 exec_lo, exec_lo, s25
	s_and_saveexec_b32 s25, s1
	s_cbranch_execz .LBB55_622
.LBB55_621:
	v_and_b32_e32 v1, 0xffff, v3
	s_delay_alu instid0(VALU_DEP_1) | instskip(SKIP_1) | instid1(VALU_DEP_2)
	v_and_b32_e32 v6, 3, v1
	v_bfe_u32 v9, v1, 2, 5
	v_clz_i32_u32_e32 v7, v6
	s_delay_alu instid0(VALU_DEP_2) | instskip(NEXT) | instid1(VALU_DEP_2)
	v_cmp_eq_u32_e32 vcc_lo, 0, v9
	v_min_u32_e32 v7, 32, v7
	s_delay_alu instid0(VALU_DEP_1) | instskip(NEXT) | instid1(VALU_DEP_1)
	v_subrev_nc_u32_e32 v8, 29, v7
	v_dual_lshlrev_b32 v1, v8, v1 :: v_dual_sub_nc_u32 v7, 30, v7
	s_delay_alu instid0(VALU_DEP_1) | instskip(NEXT) | instid1(VALU_DEP_1)
	v_dual_lshlrev_b32 v3, 24, v3 :: v_dual_bitop2_b32 v1, 3, v1 bitop3:0x40
	v_dual_cndmask_b32 v1, v6, v1, vcc_lo :: v_dual_cndmask_b32 v7, v9, v7, vcc_lo
	s_delay_alu instid0(VALU_DEP_2) | instskip(NEXT) | instid1(VALU_DEP_2)
	v_and_b32_e32 v3, 0x80000000, v3
	v_lshlrev_b32_e32 v1, 21, v1
	s_delay_alu instid0(VALU_DEP_3) | instskip(NEXT) | instid1(VALU_DEP_1)
	v_lshl_add_u32 v6, v7, 23, 0x37800000
	v_or3_b32 v1, v3, v6, v1
	s_delay_alu instid0(VALU_DEP_1)
	v_cvt_f16_f32_e32 v1, v1
.LBB55_622:
	s_or_b32 exec_lo, exec_lo, s25
	s_mov_b32 s1, 0
	s_branch .LBB55_628
.LBB55_623:
	s_mov_b32 s25, -1
                                        ; implicit-def: $vgpr1
	s_branch .LBB55_634
.LBB55_624:
	s_or_saveexec_b32 s25, s25
	v_mov_b32_e32 v1, 0x7e00
	s_xor_b32 exec_lo, exec_lo, s25
	s_cbranch_execz .LBB55_607
.LBB55_625:
	v_cmp_ne_u16_e32 vcc_lo, 0, v3
	v_mov_b32_e32 v1, v3
	s_and_not1_b32 s1, s1, exec_lo
	s_and_b32 s26, vcc_lo, exec_lo
	s_delay_alu instid0(SALU_CYCLE_1)
	s_or_b32 s1, s1, s26
	s_or_b32 exec_lo, exec_lo, s25
	s_and_saveexec_b32 s25, s1
	s_cbranch_execnz .LBB55_608
	s_branch .LBB55_609
.LBB55_626:
	s_mov_b32 s1, -1
                                        ; implicit-def: $vgpr1
	s_branch .LBB55_631
.LBB55_627:
	s_mov_b32 s1, -1
                                        ; implicit-def: $vgpr1
.LBB55_628:
	s_delay_alu instid0(SALU_CYCLE_1)
	s_and_b32 vcc_lo, exec_lo, s1
	s_cbranch_vccz .LBB55_630
; %bb.629:
	s_wait_loadcnt 0x0
	global_load_u8 v1, v[4:5], off
	s_wait_loadcnt 0x0
	v_lshlrev_b32_e32 v1, 24, v1
	s_delay_alu instid0(VALU_DEP_1) | instskip(NEXT) | instid1(VALU_DEP_1)
	v_and_b32_e32 v3, 0x7f000000, v1
	v_clz_i32_u32_e32 v6, v3
	v_cmp_ne_u32_e32 vcc_lo, 0, v3
	v_add_nc_u32_e32 v8, 0x1000000, v3
	s_delay_alu instid0(VALU_DEP_3) | instskip(NEXT) | instid1(VALU_DEP_1)
	v_min_u32_e32 v6, 32, v6
	v_sub_nc_u32_e64 v6, v6, 4 clamp
	s_delay_alu instid0(VALU_DEP_1) | instskip(NEXT) | instid1(VALU_DEP_1)
	v_dual_lshlrev_b32 v7, v6, v3 :: v_dual_lshlrev_b32 v6, 23, v6
	v_lshrrev_b32_e32 v7, 4, v7
	s_delay_alu instid0(VALU_DEP_1) | instskip(NEXT) | instid1(VALU_DEP_1)
	v_dual_sub_nc_u32 v6, v7, v6 :: v_dual_ashrrev_i32 v7, 8, v8
	v_add_nc_u32_e32 v6, 0x3c000000, v6
	s_delay_alu instid0(VALU_DEP_1) | instskip(NEXT) | instid1(VALU_DEP_1)
	v_and_or_b32 v6, 0x7f800000, v7, v6
	v_cndmask_b32_e32 v3, 0, v6, vcc_lo
	s_delay_alu instid0(VALU_DEP_1) | instskip(NEXT) | instid1(VALU_DEP_1)
	v_and_or_b32 v1, 0x80000000, v1, v3
	v_cvt_f16_f32_e32 v1, v1
.LBB55_630:
	s_mov_b32 s1, 0
.LBB55_631:
	s_delay_alu instid0(SALU_CYCLE_1)
	s_and_not1_b32 vcc_lo, exec_lo, s1
	s_cbranch_vccnz .LBB55_633
; %bb.632:
	s_wait_loadcnt 0x0
	global_load_u8 v1, v[4:5], off
	s_wait_loadcnt 0x0
	v_lshlrev_b32_e32 v3, 25, v1
	v_lshlrev_b16 v1, 8, v1
	s_delay_alu instid0(VALU_DEP_1) | instskip(SKIP_1) | instid1(VALU_DEP_2)
	v_and_or_b32 v7, 0x7f00, v1, 0.5
	v_bfe_i32 v1, v1, 0, 16
	v_add_f32_e32 v7, -0.5, v7
	v_lshrrev_b32_e32 v6, 4, v3
	v_cmp_gt_u32_e32 vcc_lo, 0x8000000, v3
	s_delay_alu instid0(VALU_DEP_2) | instskip(NEXT) | instid1(VALU_DEP_1)
	v_or_b32_e32 v6, 0x70000000, v6
	v_mul_f32_e32 v6, 0x7800000, v6
	s_delay_alu instid0(VALU_DEP_1) | instskip(NEXT) | instid1(VALU_DEP_1)
	v_cndmask_b32_e32 v3, v6, v7, vcc_lo
	v_and_or_b32 v1, 0x80000000, v1, v3
	s_delay_alu instid0(VALU_DEP_1)
	v_cvt_f16_f32_e32 v1, v1
.LBB55_633:
	s_mov_b32 s25, 0
	s_mov_b32 s1, -1
.LBB55_634:
	s_and_not1_b32 vcc_lo, exec_lo, s25
	s_cbranch_vccnz .LBB55_647
; %bb.635:
	s_cmp_gt_i32 s0, 14
	s_cbranch_scc0 .LBB55_638
; %bb.636:
	s_cmp_eq_u32 s0, 15
	s_cbranch_scc0 .LBB55_641
; %bb.637:
	s_wait_loadcnt 0x0
	global_load_u16 v1, v[4:5], off
	s_mov_b32 s1, -1
	s_mov_b32 s24, 0
	s_wait_loadcnt 0x0
	v_lshlrev_b32_e32 v1, 16, v1
	s_delay_alu instid0(VALU_DEP_1)
	v_cvt_f16_f32_e32 v1, v1
	s_branch .LBB55_642
.LBB55_638:
	s_mov_b32 s25, -1
                                        ; implicit-def: $vgpr1
	s_branch .LBB55_643
.LBB55_639:
	s_or_saveexec_b32 s25, s25
	v_mov_b32_e32 v1, 0x7e00
	s_xor_b32 exec_lo, exec_lo, s25
	s_cbranch_execz .LBB55_620
.LBB55_640:
	v_cmp_ne_u16_e32 vcc_lo, 0, v3
	v_mov_b32_e32 v1, v3
	s_and_not1_b32 s1, s1, exec_lo
	s_and_b32 s26, vcc_lo, exec_lo
	s_delay_alu instid0(SALU_CYCLE_1)
	s_or_b32 s1, s1, s26
	s_or_b32 exec_lo, exec_lo, s25
	s_and_saveexec_b32 s25, s1
	s_cbranch_execnz .LBB55_621
	s_branch .LBB55_622
.LBB55_641:
	s_mov_b32 s24, -1
                                        ; implicit-def: $vgpr1
.LBB55_642:
	s_mov_b32 s25, 0
.LBB55_643:
	s_delay_alu instid0(SALU_CYCLE_1)
	s_and_b32 vcc_lo, exec_lo, s25
	s_cbranch_vccz .LBB55_647
; %bb.644:
	s_cmp_eq_u32 s0, 11
	s_cbranch_scc0 .LBB55_646
; %bb.645:
	s_wait_loadcnt 0x0
	global_load_u8 v1, v[4:5], off
	s_mov_b32 s24, 0
	s_mov_b32 s1, -1
	s_wait_loadcnt 0x0
	v_cmp_ne_u16_e32 vcc_lo, 0, v1
	v_cndmask_b32_e64 v1, 0, 0x3c00, vcc_lo
	s_branch .LBB55_647
.LBB55_646:
	s_mov_b32 s24, -1
                                        ; implicit-def: $vgpr1
.LBB55_647:
	s_mov_b32 s25, 0
.LBB55_648:
	s_delay_alu instid0(SALU_CYCLE_1)
	s_and_b32 vcc_lo, exec_lo, s25
	s_cbranch_vccz .LBB55_697
; %bb.649:
	s_cmp_lt_i32 s0, 5
	s_cbranch_scc1 .LBB55_654
; %bb.650:
	s_cmp_lt_i32 s0, 8
	s_cbranch_scc1 .LBB55_655
	;; [unrolled: 3-line block ×3, first 2 shown]
; %bb.652:
	s_cmp_gt_i32 s0, 9
	s_cbranch_scc0 .LBB55_657
; %bb.653:
	global_load_b64 v[6:7], v[4:5], off
	s_mov_b32 s1, 0
	s_wait_loadcnt 0x0
	v_and_or_b32 v1, 0x1ff, v7, v6
	v_lshrrev_b32_e32 v3, 8, v7
	v_bfe_u32 v6, v7, 20, 11
	s_delay_alu instid0(VALU_DEP_3) | instskip(NEXT) | instid1(VALU_DEP_2)
	v_cmp_ne_u32_e32 vcc_lo, 0, v1
	v_sub_nc_u32_e32 v8, 0x3f1, v6
	v_add_nc_u32_e32 v6, 0xfffffc10, v6
	v_cndmask_b32_e64 v1, 0, 1, vcc_lo
	s_delay_alu instid0(VALU_DEP_1) | instskip(NEXT) | instid1(VALU_DEP_4)
	v_and_or_b32 v1, 0xffe, v3, v1
	v_med3_i32 v3, v8, 0, 13
	s_delay_alu instid0(VALU_DEP_2) | instskip(NEXT) | instid1(VALU_DEP_1)
	v_or_b32_e32 v8, 0x1000, v1
	v_lshrrev_b32_e32 v9, v3, v8
	s_delay_alu instid0(VALU_DEP_1) | instskip(NEXT) | instid1(VALU_DEP_1)
	v_lshlrev_b32_e32 v3, v3, v9
	v_cmp_ne_u32_e32 vcc_lo, v3, v8
	v_lshl_or_b32 v8, v6, 12, v1
	v_cndmask_b32_e64 v3, 0, 1, vcc_lo
	v_cmp_gt_i32_e32 vcc_lo, 1, v6
	s_delay_alu instid0(VALU_DEP_2) | instskip(NEXT) | instid1(VALU_DEP_1)
	v_or_b32_e32 v3, v9, v3
	v_cndmask_b32_e32 v3, v8, v3, vcc_lo
	s_delay_alu instid0(VALU_DEP_1) | instskip(NEXT) | instid1(VALU_DEP_1)
	v_dual_lshrrev_b32 v3, 2, v3 :: v_dual_bitop2_b32 v8, 7, v3 bitop3:0x40
	v_cmp_lt_i32_e32 vcc_lo, 5, v8
	v_cndmask_b32_e64 v9, 0, 1, vcc_lo
	v_cmp_eq_u32_e32 vcc_lo, 3, v8
	v_cndmask_b32_e64 v8, 0, 1, vcc_lo
	v_cmp_ne_u32_e32 vcc_lo, 0, v1
	s_delay_alu instid0(VALU_DEP_2) | instskip(SKIP_1) | instid1(VALU_DEP_2)
	v_or_b32_e32 v8, v8, v9
	v_mov_b32_e32 v9, 0x7e00
	v_add_nc_u32_e32 v3, v3, v8
	s_delay_alu instid0(VALU_DEP_2) | instskip(SKIP_1) | instid1(VALU_DEP_3)
	v_cndmask_b32_e32 v1, 0x7c00, v9, vcc_lo
	v_cmp_gt_i32_e32 vcc_lo, 31, v6
	v_cndmask_b32_e32 v3, 0x7c00, v3, vcc_lo
	v_cmp_eq_u32_e32 vcc_lo, 0x40f, v6
	s_delay_alu instid0(VALU_DEP_2) | instskip(NEXT) | instid1(VALU_DEP_1)
	v_dual_cndmask_b32 v1, v3, v1, vcc_lo :: v_dual_lshrrev_b32 v3, 16, v7
	v_and_or_b32 v1, 0x8000, v3, v1
	s_branch .LBB55_658
.LBB55_654:
	s_mov_b32 s1, -1
                                        ; implicit-def: $vgpr1
	s_branch .LBB55_676
.LBB55_655:
	s_mov_b32 s1, -1
                                        ; implicit-def: $vgpr1
	s_branch .LBB55_664
.LBB55_656:
	s_mov_b32 s1, -1
                                        ; implicit-def: $vgpr1
	s_branch .LBB55_661
.LBB55_657:
	s_mov_b32 s1, -1
                                        ; implicit-def: $vgpr1
.LBB55_658:
	s_delay_alu instid0(SALU_CYCLE_1)
	s_and_not1_b32 vcc_lo, exec_lo, s1
	s_cbranch_vccnz .LBB55_660
; %bb.659:
	s_wait_loadcnt 0x0
	global_load_b32 v1, v[4:5], off
	s_wait_loadcnt 0x0
	v_cvt_f16_f32_e32 v1, v1
.LBB55_660:
	s_mov_b32 s1, 0
.LBB55_661:
	s_delay_alu instid0(SALU_CYCLE_1)
	s_and_not1_b32 vcc_lo, exec_lo, s1
	s_cbranch_vccnz .LBB55_663
; %bb.662:
	s_wait_loadcnt 0x0
	global_load_b32 v1, v[4:5], off
.LBB55_663:
	s_mov_b32 s1, 0
.LBB55_664:
	s_delay_alu instid0(SALU_CYCLE_1)
	s_and_not1_b32 vcc_lo, exec_lo, s1
	s_cbranch_vccnz .LBB55_675
; %bb.665:
	s_cmp_lt_i32 s0, 6
	s_cbranch_scc1 .LBB55_668
; %bb.666:
	s_cmp_gt_i32 s0, 6
	s_cbranch_scc0 .LBB55_669
; %bb.667:
	global_load_b64 v[6:7], v[4:5], off
	s_mov_b32 s1, 0
	s_wait_loadcnt 0x0
	v_and_or_b32 v1, 0x1ff, v7, v6
	v_lshrrev_b32_e32 v3, 8, v7
	v_bfe_u32 v6, v7, 20, 11
	s_delay_alu instid0(VALU_DEP_3) | instskip(NEXT) | instid1(VALU_DEP_2)
	v_cmp_ne_u32_e32 vcc_lo, 0, v1
	v_sub_nc_u32_e32 v8, 0x3f1, v6
	v_add_nc_u32_e32 v6, 0xfffffc10, v6
	v_cndmask_b32_e64 v1, 0, 1, vcc_lo
	s_delay_alu instid0(VALU_DEP_1) | instskip(NEXT) | instid1(VALU_DEP_4)
	v_and_or_b32 v1, 0xffe, v3, v1
	v_med3_i32 v3, v8, 0, 13
	s_delay_alu instid0(VALU_DEP_2) | instskip(NEXT) | instid1(VALU_DEP_1)
	v_or_b32_e32 v8, 0x1000, v1
	v_lshrrev_b32_e32 v9, v3, v8
	s_delay_alu instid0(VALU_DEP_1) | instskip(NEXT) | instid1(VALU_DEP_1)
	v_lshlrev_b32_e32 v3, v3, v9
	v_cmp_ne_u32_e32 vcc_lo, v3, v8
	v_lshl_or_b32 v8, v6, 12, v1
	v_cndmask_b32_e64 v3, 0, 1, vcc_lo
	v_cmp_gt_i32_e32 vcc_lo, 1, v6
	s_delay_alu instid0(VALU_DEP_2) | instskip(NEXT) | instid1(VALU_DEP_1)
	v_or_b32_e32 v3, v9, v3
	v_cndmask_b32_e32 v3, v8, v3, vcc_lo
	s_delay_alu instid0(VALU_DEP_1) | instskip(NEXT) | instid1(VALU_DEP_1)
	v_dual_lshrrev_b32 v3, 2, v3 :: v_dual_bitop2_b32 v8, 7, v3 bitop3:0x40
	v_cmp_lt_i32_e32 vcc_lo, 5, v8
	v_cndmask_b32_e64 v9, 0, 1, vcc_lo
	v_cmp_eq_u32_e32 vcc_lo, 3, v8
	v_cndmask_b32_e64 v8, 0, 1, vcc_lo
	v_cmp_ne_u32_e32 vcc_lo, 0, v1
	s_delay_alu instid0(VALU_DEP_2) | instskip(SKIP_1) | instid1(VALU_DEP_2)
	v_or_b32_e32 v8, v8, v9
	v_mov_b32_e32 v9, 0x7e00
	v_add_nc_u32_e32 v3, v3, v8
	s_delay_alu instid0(VALU_DEP_2) | instskip(SKIP_1) | instid1(VALU_DEP_3)
	v_cndmask_b32_e32 v1, 0x7c00, v9, vcc_lo
	v_cmp_gt_i32_e32 vcc_lo, 31, v6
	v_cndmask_b32_e32 v3, 0x7c00, v3, vcc_lo
	v_cmp_eq_u32_e32 vcc_lo, 0x40f, v6
	s_delay_alu instid0(VALU_DEP_2) | instskip(NEXT) | instid1(VALU_DEP_1)
	v_dual_cndmask_b32 v1, v3, v1, vcc_lo :: v_dual_lshrrev_b32 v3, 16, v7
	v_and_or_b32 v1, 0x8000, v3, v1
	s_branch .LBB55_670
.LBB55_668:
	s_mov_b32 s1, -1
                                        ; implicit-def: $vgpr1
	s_branch .LBB55_673
.LBB55_669:
	s_mov_b32 s1, -1
                                        ; implicit-def: $vgpr1
.LBB55_670:
	s_delay_alu instid0(SALU_CYCLE_1)
	s_and_not1_b32 vcc_lo, exec_lo, s1
	s_cbranch_vccnz .LBB55_672
; %bb.671:
	s_wait_loadcnt 0x0
	global_load_b32 v1, v[4:5], off
	s_wait_loadcnt 0x0
	v_cvt_f16_f32_e32 v1, v1
.LBB55_672:
	s_mov_b32 s1, 0
.LBB55_673:
	s_delay_alu instid0(SALU_CYCLE_1)
	s_and_not1_b32 vcc_lo, exec_lo, s1
	s_cbranch_vccnz .LBB55_675
; %bb.674:
	s_wait_loadcnt 0x0
	global_load_u16 v1, v[4:5], off
.LBB55_675:
	s_mov_b32 s1, 0
.LBB55_676:
	s_delay_alu instid0(SALU_CYCLE_1)
	s_and_not1_b32 vcc_lo, exec_lo, s1
	s_cbranch_vccnz .LBB55_696
; %bb.677:
	s_cmp_lt_i32 s0, 2
	s_cbranch_scc1 .LBB55_681
; %bb.678:
	s_cmp_lt_i32 s0, 3
	s_cbranch_scc1 .LBB55_682
; %bb.679:
	s_cmp_gt_i32 s0, 3
	s_cbranch_scc0 .LBB55_683
; %bb.680:
	global_load_b64 v[6:7], v[4:5], off
	s_mov_b32 s1, 0
	s_wait_loadcnt 0x0
	v_xor_b32_e32 v1, v6, v7
	v_cls_i32_e32 v3, v7
	s_delay_alu instid0(VALU_DEP_2) | instskip(NEXT) | instid1(VALU_DEP_1)
	v_ashrrev_i32_e32 v1, 31, v1
	v_add_nc_u32_e32 v1, 32, v1
	s_delay_alu instid0(VALU_DEP_1) | instskip(NEXT) | instid1(VALU_DEP_1)
	v_add_min_u32_e64 v1, v3, -1, v1
	v_lshlrev_b64_e32 v[6:7], v1, v[6:7]
	v_sub_nc_u32_e32 v1, 32, v1
	s_delay_alu instid0(VALU_DEP_2) | instskip(NEXT) | instid1(VALU_DEP_1)
	v_min_u32_e32 v3, 1, v6
	v_or_b32_e32 v3, v7, v3
	s_delay_alu instid0(VALU_DEP_1) | instskip(NEXT) | instid1(VALU_DEP_1)
	v_cvt_f32_i32_e32 v3, v3
	v_ldexp_f32 v1, v3, v1
	s_delay_alu instid0(VALU_DEP_1)
	v_cvt_f16_f32_e32 v1, v1
	s_branch .LBB55_684
.LBB55_681:
	s_mov_b32 s1, -1
                                        ; implicit-def: $vgpr1
	s_branch .LBB55_690
.LBB55_682:
	s_mov_b32 s1, -1
                                        ; implicit-def: $vgpr1
	s_branch .LBB55_687
.LBB55_683:
	s_mov_b32 s1, -1
                                        ; implicit-def: $vgpr1
.LBB55_684:
	s_delay_alu instid0(SALU_CYCLE_1)
	s_and_not1_b32 vcc_lo, exec_lo, s1
	s_cbranch_vccnz .LBB55_686
; %bb.685:
	s_wait_loadcnt 0x0
	global_load_b32 v1, v[4:5], off
	s_wait_loadcnt 0x0
	v_cvt_f32_i32_e32 v1, v1
	s_delay_alu instid0(VALU_DEP_1)
	v_cvt_f16_f32_e32 v1, v1
.LBB55_686:
	s_mov_b32 s1, 0
.LBB55_687:
	s_delay_alu instid0(SALU_CYCLE_1)
	s_and_not1_b32 vcc_lo, exec_lo, s1
	s_cbranch_vccnz .LBB55_689
; %bb.688:
	s_wait_loadcnt 0x0
	global_load_u16 v1, v[4:5], off
	s_wait_loadcnt 0x0
	v_cvt_f16_i16_e32 v1, v1
.LBB55_689:
	s_mov_b32 s1, 0
.LBB55_690:
	s_delay_alu instid0(SALU_CYCLE_1)
	s_and_not1_b32 vcc_lo, exec_lo, s1
	s_cbranch_vccnz .LBB55_696
; %bb.691:
	s_cmp_gt_i32 s0, 0
	s_mov_b32 s0, 0
	s_cbranch_scc0 .LBB55_693
; %bb.692:
	s_wait_loadcnt 0x0
	global_load_i8 v1, v[4:5], off
	s_wait_loadcnt 0x0
	v_cvt_f16_i16_e32 v1, v1
	s_branch .LBB55_694
.LBB55_693:
	s_mov_b32 s0, -1
                                        ; implicit-def: $vgpr1
.LBB55_694:
	s_delay_alu instid0(SALU_CYCLE_1)
	s_and_not1_b32 vcc_lo, exec_lo, s0
	s_cbranch_vccnz .LBB55_696
; %bb.695:
	s_wait_loadcnt 0x0
	global_load_u8 v1, v[4:5], off
	s_wait_loadcnt 0x0
	v_cvt_f16_u16_e32 v1, v1
.LBB55_696:
	s_mov_b32 s1, -1
.LBB55_697:
	s_delay_alu instid0(SALU_CYCLE_1)
	s_and_not1_b32 vcc_lo, exec_lo, s1
	s_cbranch_vccnz .LBB55_705
; %bb.698:
	v_mov_b32_e32 v3, 0
	s_wait_loadcnt 0x0
	v_cmp_eq_f16_e64 s0, 0x7c00, v1
	s_and_b32 s25, s34, 0xff
	s_delay_alu instid0(SALU_CYCLE_1)
	s_cmp_lt_i32 s25, 11
	v_add_nc_u64_e32 v[2:3], s[4:5], v[2:3]
	s_cbranch_scc1 .LBB55_706
; %bb.699:
	s_and_b32 s26, 0xffff, s25
	s_delay_alu instid0(SALU_CYCLE_1)
	s_cmp_gt_i32 s26, 25
	s_cbranch_scc0 .LBB55_707
; %bb.700:
	s_cmp_gt_i32 s26, 28
	s_cbranch_scc0 .LBB55_708
; %bb.701:
	s_cmp_gt_i32 s26, 43
	s_cbranch_scc0 .LBB55_709
; %bb.702:
	s_cmp_gt_i32 s26, 45
	s_cbranch_scc0 .LBB55_710
; %bb.703:
	s_mov_b32 s45, 0
	s_mov_b32 s1, -1
	s_cmp_eq_u32 s26, 46
	s_mov_b32 s27, 0
	s_cbranch_scc0 .LBB55_711
; %bb.704:
	v_cndmask_b32_e64 v1, 0, 1.0, s0
	s_mov_b32 s27, -1
	s_mov_b32 s1, 0
	s_wait_xcnt 0x0
	s_delay_alu instid0(VALU_DEP_1) | instskip(NEXT) | instid1(VALU_DEP_1)
	v_bfe_u32 v4, v1, 16, 1
	v_add3_u32 v1, v1, v4, 0x7fff
	s_delay_alu instid0(VALU_DEP_1)
	v_lshrrev_b32_e32 v1, 16, v1
	global_store_b32 v[2:3], v1, off
	s_branch .LBB55_711
.LBB55_705:
	s_mov_b32 s0, 0
	s_mov_b32 s1, s42
	s_branch .LBB55_822
.LBB55_706:
	s_mov_b32 s26, -1
	s_mov_b32 s27, 0
	s_mov_b32 s1, s42
	s_branch .LBB55_780
.LBB55_707:
	s_mov_b32 s45, -1
	s_mov_b32 s27, 0
	s_mov_b32 s1, s42
	s_branch .LBB55_738
.LBB55_708:
	s_mov_b32 s45, -1
	s_mov_b32 s27, 0
	s_mov_b32 s1, s42
	s_branch .LBB55_721
.LBB55_709:
	s_mov_b32 s45, -1
	s_mov_b32 s27, 0
	s_mov_b32 s1, s42
	s_branch .LBB55_717
.LBB55_710:
	s_mov_b32 s45, -1
	s_mov_b32 s27, 0
	s_mov_b32 s1, s42
.LBB55_711:
	s_and_b32 vcc_lo, exec_lo, s45
	s_cbranch_vccz .LBB55_716
; %bb.712:
	s_cmp_eq_u32 s26, 44
	s_mov_b32 s1, -1
	s_cbranch_scc0 .LBB55_716
; %bb.713:
	s_wait_xcnt 0x0
	v_cndmask_b32_e64 v5, 0, 1.0, s0
	s_mov_b32 s27, exec_lo
	s_delay_alu instid0(VALU_DEP_1) | instskip(NEXT) | instid1(VALU_DEP_1)
	v_dual_mov_b32 v4, 0xff :: v_dual_lshrrev_b32 v1, 23, v5
	v_cmpx_ne_u32_e32 0xff, v1
; %bb.714:
	v_and_b32_e32 v4, 0x400000, v5
	v_and_or_b32 v5, 0x3fffff, v5, v1
	s_delay_alu instid0(VALU_DEP_2) | instskip(NEXT) | instid1(VALU_DEP_2)
	v_cmp_ne_u32_e32 vcc_lo, 0, v4
	v_cmp_ne_u32_e64 s1, 0, v5
	s_and_b32 s1, vcc_lo, s1
	s_delay_alu instid0(SALU_CYCLE_1) | instskip(NEXT) | instid1(VALU_DEP_1)
	v_cndmask_b32_e64 v4, 0, 1, s1
	v_add_nc_u32_e32 v4, v1, v4
; %bb.715:
	s_or_b32 exec_lo, exec_lo, s27
	s_mov_b32 s27, -1
	s_mov_b32 s1, 0
	global_store_b8 v[2:3], v4, off
.LBB55_716:
	s_mov_b32 s45, 0
.LBB55_717:
	s_delay_alu instid0(SALU_CYCLE_1)
	s_and_b32 vcc_lo, exec_lo, s45
	s_cbranch_vccz .LBB55_720
; %bb.718:
	s_cmp_eq_u32 s26, 29
	s_mov_b32 s1, -1
	s_cbranch_scc0 .LBB55_720
; %bb.719:
	s_mov_b32 s1, 0
	s_wait_xcnt 0x0
	v_cndmask_b32_e64 v4, 0, 1, s0
	v_mov_b32_e32 v5, s1
	s_mov_b32 s27, -1
	s_mov_b32 s45, 0
	global_store_b64 v[2:3], v[4:5], off
	s_branch .LBB55_721
.LBB55_720:
	s_mov_b32 s45, 0
.LBB55_721:
	s_delay_alu instid0(SALU_CYCLE_1)
	s_and_b32 vcc_lo, exec_lo, s45
	s_cbranch_vccz .LBB55_737
; %bb.722:
	s_cmp_lt_i32 s26, 27
	s_mov_b32 s27, -1
	s_cbranch_scc1 .LBB55_728
; %bb.723:
	s_cmp_gt_i32 s26, 27
	s_cbranch_scc0 .LBB55_725
; %bb.724:
	s_wait_xcnt 0x0
	v_cndmask_b32_e64 v1, 0, 1, s0
	s_mov_b32 s27, 0
	global_store_b32 v[2:3], v1, off
.LBB55_725:
	s_and_not1_b32 vcc_lo, exec_lo, s27
	s_cbranch_vccnz .LBB55_727
; %bb.726:
	s_wait_xcnt 0x0
	v_cndmask_b32_e64 v1, 0, 1, s0
	global_store_b16 v[2:3], v1, off
.LBB55_727:
	s_mov_b32 s27, 0
.LBB55_728:
	s_delay_alu instid0(SALU_CYCLE_1)
	s_and_not1_b32 vcc_lo, exec_lo, s27
	s_cbranch_vccnz .LBB55_736
; %bb.729:
	s_wait_xcnt 0x0
	v_cndmask_b32_e64 v4, 0, 1.0, s0
	v_mov_b32_e32 v5, 0x80
	s_mov_b32 s27, exec_lo
	s_delay_alu instid0(VALU_DEP_2)
	v_cmpx_gt_u32_e32 0x43800000, v4
	s_cbranch_execz .LBB55_735
; %bb.730:
	s_mov_b32 s45, 0
	s_mov_b32 s46, exec_lo
                                        ; implicit-def: $vgpr1
	v_cmpx_lt_u32_e32 0x3bffffff, v4
	s_xor_b32 s46, exec_lo, s46
	s_cbranch_execz .LBB55_854
; %bb.731:
	v_bfe_u32 v1, v4, 20, 1
	s_mov_b32 s45, exec_lo
	s_delay_alu instid0(VALU_DEP_1) | instskip(NEXT) | instid1(VALU_DEP_1)
	v_add3_u32 v1, v4, v1, 0x487ffff
                                        ; implicit-def: $vgpr4
	v_lshrrev_b32_e32 v1, 20, v1
	s_and_not1_saveexec_b32 s46, s46
	s_cbranch_execnz .LBB55_855
.LBB55_732:
	s_or_b32 exec_lo, exec_lo, s46
	v_mov_b32_e32 v5, 0
	s_and_saveexec_b32 s46, s45
.LBB55_733:
	v_mov_b32_e32 v5, v1
.LBB55_734:
	s_or_b32 exec_lo, exec_lo, s46
.LBB55_735:
	s_delay_alu instid0(SALU_CYCLE_1)
	s_or_b32 exec_lo, exec_lo, s27
	global_store_b8 v[2:3], v5, off
.LBB55_736:
	s_mov_b32 s27, -1
.LBB55_737:
	s_mov_b32 s45, 0
.LBB55_738:
	s_delay_alu instid0(SALU_CYCLE_1)
	s_and_b32 vcc_lo, exec_lo, s45
	s_cbranch_vccz .LBB55_779
; %bb.739:
	s_cmp_gt_i32 s26, 22
	s_mov_b32 s45, -1
	s_cbranch_scc0 .LBB55_771
; %bb.740:
	s_cmp_lt_i32 s26, 24
	s_mov_b32 s27, -1
	s_cbranch_scc1 .LBB55_760
; %bb.741:
	s_cmp_gt_i32 s26, 24
	s_cbranch_scc0 .LBB55_749
; %bb.742:
	s_wait_xcnt 0x0
	v_cndmask_b32_e64 v4, 0, 1.0, s0
	v_mov_b32_e32 v5, 0x80
	s_mov_b32 s27, exec_lo
	s_delay_alu instid0(VALU_DEP_2)
	v_cmpx_gt_u32_e32 0x47800000, v4
	s_cbranch_execz .LBB55_748
; %bb.743:
	s_mov_b32 s45, 0
	s_mov_b32 s46, exec_lo
                                        ; implicit-def: $vgpr1
	v_cmpx_lt_u32_e32 0x37ffffff, v4
	s_xor_b32 s46, exec_lo, s46
	s_cbranch_execz .LBB55_857
; %bb.744:
	v_bfe_u32 v1, v4, 21, 1
	s_mov_b32 s45, exec_lo
	s_delay_alu instid0(VALU_DEP_1) | instskip(NEXT) | instid1(VALU_DEP_1)
	v_add3_u32 v1, v4, v1, 0x88fffff
                                        ; implicit-def: $vgpr4
	v_lshrrev_b32_e32 v1, 21, v1
	s_and_not1_saveexec_b32 s46, s46
	s_cbranch_execnz .LBB55_858
.LBB55_745:
	s_or_b32 exec_lo, exec_lo, s46
	v_mov_b32_e32 v5, 0
	s_and_saveexec_b32 s46, s45
.LBB55_746:
	v_mov_b32_e32 v5, v1
.LBB55_747:
	s_or_b32 exec_lo, exec_lo, s46
.LBB55_748:
	s_delay_alu instid0(SALU_CYCLE_1)
	s_or_b32 exec_lo, exec_lo, s27
	s_mov_b32 s27, 0
	global_store_b8 v[2:3], v5, off
.LBB55_749:
	s_and_b32 vcc_lo, exec_lo, s27
	s_cbranch_vccz .LBB55_759
; %bb.750:
	s_wait_xcnt 0x0
	v_cndmask_b32_e64 v4, 0, 1.0, s0
	s_mov_b32 s27, exec_lo
                                        ; implicit-def: $vgpr1
	s_delay_alu instid0(VALU_DEP_1)
	v_cmpx_gt_u32_e32 0x43f00000, v4
	s_xor_b32 s27, exec_lo, s27
	s_cbranch_execz .LBB55_756
; %bb.751:
	s_mov_b32 s45, exec_lo
                                        ; implicit-def: $vgpr1
	v_cmpx_lt_u32_e32 0x3c7fffff, v4
	s_xor_b32 s45, exec_lo, s45
; %bb.752:
	v_bfe_u32 v1, v4, 20, 1
	s_delay_alu instid0(VALU_DEP_1) | instskip(NEXT) | instid1(VALU_DEP_1)
	v_add3_u32 v1, v4, v1, 0x407ffff
	v_and_b32_e32 v4, 0xff00000, v1
	v_lshrrev_b32_e32 v1, 20, v1
	s_delay_alu instid0(VALU_DEP_2) | instskip(NEXT) | instid1(VALU_DEP_2)
	v_cmp_ne_u32_e32 vcc_lo, 0x7f00000, v4
                                        ; implicit-def: $vgpr4
	v_cndmask_b32_e32 v1, 0x7e, v1, vcc_lo
; %bb.753:
	s_and_not1_saveexec_b32 s45, s45
; %bb.754:
	v_add_f32_e32 v1, 0x46800000, v4
; %bb.755:
	s_or_b32 exec_lo, exec_lo, s45
                                        ; implicit-def: $vgpr4
.LBB55_756:
	s_and_not1_saveexec_b32 s27, s27
; %bb.757:
	v_mov_b32_e32 v1, 0x7f
	v_cmp_lt_u32_e32 vcc_lo, 0x7f800000, v4
	s_delay_alu instid0(VALU_DEP_2)
	v_cndmask_b32_e32 v1, 0x7e, v1, vcc_lo
; %bb.758:
	s_or_b32 exec_lo, exec_lo, s27
	global_store_b8 v[2:3], v1, off
.LBB55_759:
	s_mov_b32 s27, 0
.LBB55_760:
	s_delay_alu instid0(SALU_CYCLE_1)
	s_and_not1_b32 vcc_lo, exec_lo, s27
	s_cbranch_vccnz .LBB55_770
; %bb.761:
	s_wait_xcnt 0x0
	v_cndmask_b32_e64 v4, 0, 1.0, s0
	s_mov_b32 s27, exec_lo
                                        ; implicit-def: $vgpr1
	s_delay_alu instid0(VALU_DEP_1)
	v_cmpx_gt_u32_e32 0x47800000, v4
	s_xor_b32 s27, exec_lo, s27
	s_cbranch_execz .LBB55_767
; %bb.762:
	s_mov_b32 s45, exec_lo
                                        ; implicit-def: $vgpr1
	v_cmpx_lt_u32_e32 0x387fffff, v4
	s_xor_b32 s45, exec_lo, s45
; %bb.763:
	v_bfe_u32 v1, v4, 21, 1
	s_delay_alu instid0(VALU_DEP_1) | instskip(NEXT) | instid1(VALU_DEP_1)
	v_add3_u32 v1, v4, v1, 0x80fffff
                                        ; implicit-def: $vgpr4
	v_lshrrev_b32_e32 v1, 21, v1
; %bb.764:
	s_and_not1_saveexec_b32 s45, s45
; %bb.765:
	v_add_f32_e32 v1, 0x43000000, v4
; %bb.766:
	s_or_b32 exec_lo, exec_lo, s45
                                        ; implicit-def: $vgpr4
.LBB55_767:
	s_and_not1_saveexec_b32 s27, s27
; %bb.768:
	v_mov_b32_e32 v1, 0x7f
	v_cmp_lt_u32_e32 vcc_lo, 0x7f800000, v4
	s_delay_alu instid0(VALU_DEP_2)
	v_cndmask_b32_e32 v1, 0x7c, v1, vcc_lo
; %bb.769:
	s_or_b32 exec_lo, exec_lo, s27
	global_store_b8 v[2:3], v1, off
.LBB55_770:
	s_mov_b32 s45, 0
	s_mov_b32 s27, -1
.LBB55_771:
	s_and_not1_b32 vcc_lo, exec_lo, s45
	s_cbranch_vccnz .LBB55_779
; %bb.772:
	s_cmp_gt_i32 s26, 14
	s_mov_b32 s45, -1
	s_cbranch_scc0 .LBB55_776
; %bb.773:
	s_cmp_eq_u32 s26, 15
	s_mov_b32 s1, -1
	s_cbranch_scc0 .LBB55_775
; %bb.774:
	s_wait_xcnt 0x0
	v_cndmask_b32_e64 v1, 0, 1.0, s0
	s_mov_b32 s27, -1
	s_mov_b32 s1, 0
	s_delay_alu instid0(VALU_DEP_1) | instskip(NEXT) | instid1(VALU_DEP_1)
	v_bfe_u32 v4, v1, 16, 1
	v_add3_u32 v1, v1, v4, 0x7fff
	global_store_d16_hi_b16 v[2:3], v1, off
.LBB55_775:
	s_mov_b32 s45, 0
.LBB55_776:
	s_delay_alu instid0(SALU_CYCLE_1)
	s_and_b32 vcc_lo, exec_lo, s45
	s_cbranch_vccz .LBB55_779
; %bb.777:
	s_cmp_eq_u32 s26, 11
	s_mov_b32 s1, -1
	s_cbranch_scc0 .LBB55_779
; %bb.778:
	s_wait_xcnt 0x0
	v_cndmask_b32_e64 v1, 0, 1, s0
	s_mov_b32 s27, -1
	s_mov_b32 s1, 0
	global_store_b8 v[2:3], v1, off
.LBB55_779:
	s_mov_b32 s26, 0
.LBB55_780:
	s_delay_alu instid0(SALU_CYCLE_1)
	s_and_b32 vcc_lo, exec_lo, s26
	s_cbranch_vccz .LBB55_819
; %bb.781:
	s_and_b32 s25, 0xffff, s25
	s_mov_b32 s26, -1
	s_cmp_lt_i32 s25, 5
	s_cbranch_scc1 .LBB55_802
; %bb.782:
	s_cmp_lt_i32 s25, 8
	s_cbranch_scc1 .LBB55_792
; %bb.783:
	;; [unrolled: 3-line block ×3, first 2 shown]
	s_cmp_gt_i32 s25, 9
	s_cbranch_scc0 .LBB55_786
; %bb.785:
	s_wait_xcnt 0x0
	v_cndmask_b32_e64 v1, 0, 1, s0
	v_mov_b32_e32 v6, 0
	s_mov_b32 s26, 0
	s_delay_alu instid0(VALU_DEP_2) | instskip(NEXT) | instid1(VALU_DEP_2)
	v_cvt_f64_u32_e32 v[4:5], v1
	v_mov_b32_e32 v7, v6
	global_store_b128 v[2:3], v[4:7], off
.LBB55_786:
	s_and_not1_b32 vcc_lo, exec_lo, s26
	s_cbranch_vccnz .LBB55_788
; %bb.787:
	s_wait_xcnt 0x0
	v_cndmask_b32_e64 v4, 0, 1.0, s0
	v_mov_b32_e32 v5, 0
	global_store_b64 v[2:3], v[4:5], off
.LBB55_788:
	s_mov_b32 s26, 0
.LBB55_789:
	s_delay_alu instid0(SALU_CYCLE_1)
	s_and_not1_b32 vcc_lo, exec_lo, s26
	s_cbranch_vccnz .LBB55_791
; %bb.790:
	s_wait_xcnt 0x0
	v_cndmask_b32_e64 v1, 0, 1.0, s0
	s_delay_alu instid0(VALU_DEP_1) | instskip(NEXT) | instid1(VALU_DEP_1)
	v_cvt_f16_f32_e32 v1, v1
	v_and_b32_e32 v1, 0xffff, v1
	global_store_b32 v[2:3], v1, off
.LBB55_791:
	s_mov_b32 s26, 0
.LBB55_792:
	s_delay_alu instid0(SALU_CYCLE_1)
	s_and_not1_b32 vcc_lo, exec_lo, s26
	s_cbranch_vccnz .LBB55_801
; %bb.793:
	s_cmp_lt_i32 s25, 6
	s_mov_b32 s26, -1
	s_cbranch_scc1 .LBB55_799
; %bb.794:
	s_cmp_gt_i32 s25, 6
	s_cbranch_scc0 .LBB55_796
; %bb.795:
	s_wait_xcnt 0x0
	v_cndmask_b32_e64 v1, 0, 1, s0
	s_mov_b32 s26, 0
	s_delay_alu instid0(VALU_DEP_1)
	v_cvt_f64_u32_e32 v[4:5], v1
	global_store_b64 v[2:3], v[4:5], off
.LBB55_796:
	s_and_not1_b32 vcc_lo, exec_lo, s26
	s_cbranch_vccnz .LBB55_798
; %bb.797:
	s_wait_xcnt 0x0
	v_cndmask_b32_e64 v1, 0, 1.0, s0
	global_store_b32 v[2:3], v1, off
.LBB55_798:
	s_mov_b32 s26, 0
.LBB55_799:
	s_delay_alu instid0(SALU_CYCLE_1)
	s_and_not1_b32 vcc_lo, exec_lo, s26
	s_cbranch_vccnz .LBB55_801
; %bb.800:
	s_wait_xcnt 0x0
	v_cndmask_b32_e64 v1, 0, 1.0, s0
	s_delay_alu instid0(VALU_DEP_1)
	v_cvt_f16_f32_e32 v1, v1
	global_store_b16 v[2:3], v1, off
.LBB55_801:
	s_mov_b32 s26, 0
.LBB55_802:
	s_delay_alu instid0(SALU_CYCLE_1)
	s_and_not1_b32 vcc_lo, exec_lo, s26
	s_cbranch_vccnz .LBB55_818
; %bb.803:
	s_cmp_lt_i32 s25, 2
	s_mov_b32 s26, -1
	s_cbranch_scc1 .LBB55_813
; %bb.804:
	s_cmp_lt_i32 s25, 3
	s_cbranch_scc1 .LBB55_810
; %bb.805:
	s_cmp_gt_i32 s25, 3
	s_cbranch_scc0 .LBB55_807
; %bb.806:
	s_mov_b32 s26, 0
	s_wait_xcnt 0x0
	v_cndmask_b32_e64 v4, 0, 1, s0
	v_mov_b32_e32 v5, s26
	global_store_b64 v[2:3], v[4:5], off
.LBB55_807:
	s_and_not1_b32 vcc_lo, exec_lo, s26
	s_cbranch_vccnz .LBB55_809
; %bb.808:
	s_wait_xcnt 0x0
	v_cndmask_b32_e64 v1, 0, 1, s0
	global_store_b32 v[2:3], v1, off
.LBB55_809:
	s_mov_b32 s26, 0
.LBB55_810:
	s_delay_alu instid0(SALU_CYCLE_1)
	s_and_not1_b32 vcc_lo, exec_lo, s26
	s_cbranch_vccnz .LBB55_812
; %bb.811:
	s_wait_xcnt 0x0
	v_cndmask_b32_e64 v1, 0, 1, s0
	global_store_b16 v[2:3], v1, off
.LBB55_812:
	s_mov_b32 s26, 0
.LBB55_813:
	s_delay_alu instid0(SALU_CYCLE_1)
	s_and_not1_b32 vcc_lo, exec_lo, s26
	s_cbranch_vccnz .LBB55_818
; %bb.814:
	s_wait_xcnt 0x0
	v_cndmask_b32_e64 v1, 0, 1, s0
	s_cmp_gt_i32 s25, 0
	s_mov_b32 s0, -1
	s_cbranch_scc0 .LBB55_816
; %bb.815:
	s_mov_b32 s0, 0
	global_store_b8 v[2:3], v1, off
.LBB55_816:
	s_and_not1_b32 vcc_lo, exec_lo, s0
	s_cbranch_vccnz .LBB55_818
; %bb.817:
	global_store_b8 v[2:3], v1, off
.LBB55_818:
	s_mov_b32 s27, -1
.LBB55_819:
	s_delay_alu instid0(SALU_CYCLE_1)
	s_and_not1_b32 vcc_lo, exec_lo, s27
	s_cbranch_vccnz .LBB55_821
; %bb.820:
	v_add_nc_u32_e32 v0, 0x80, v0
	s_mov_b32 s0, -1
	s_branch .LBB55_823
.LBB55_821:
	s_mov_b32 s0, 0
.LBB55_822:
                                        ; implicit-def: $vgpr0
.LBB55_823:
	s_and_not1_b32 s25, s42, exec_lo
	s_and_b32 s1, s1, exec_lo
	s_and_not1_b32 s26, s41, exec_lo
	s_and_b32 s24, s24, exec_lo
	s_or_b32 s27, s25, s1
	s_or_b32 s26, s26, s24
	s_or_not1_b32 s25, s0, exec_lo
.LBB55_824:
	s_wait_xcnt 0x0
	s_or_b32 exec_lo, exec_lo, s44
	s_mov_b32 s0, 0
	s_mov_b32 s1, 0
	;; [unrolled: 1-line block ×3, first 2 shown]
                                        ; implicit-def: $vgpr4_vgpr5
                                        ; implicit-def: $vgpr2
                                        ; implicit-def: $vgpr6
	s_and_saveexec_b32 s44, s25
	s_cbranch_execz .LBB55_926
; %bb.825:
	v_cmp_gt_i32_e32 vcc_lo, s36, v0
	s_mov_b32 s45, s26
	s_mov_b32 s25, 0
                                        ; implicit-def: $vgpr4_vgpr5
                                        ; implicit-def: $vgpr2
                                        ; implicit-def: $vgpr6
	s_and_saveexec_b32 s36, vcc_lo
	s_cbranch_execz .LBB55_925
; %bb.826:
	s_and_not1_b32 vcc_lo, exec_lo, s31
	s_cbranch_vccnz .LBB55_832
; %bb.827:
	s_and_not1_b32 vcc_lo, exec_lo, s38
	s_cbranch_vccnz .LBB55_833
; %bb.828:
	s_add_co_i32 s37, s37, 1
	s_cmp_eq_u32 s29, 2
	s_cbranch_scc1 .LBB55_834
; %bb.829:
	v_dual_mov_b32 v2, 0 :: v_dual_mov_b32 v4, 0
	s_wait_loadcnt 0x0
	v_mov_b32_e32 v1, v0
	s_and_b32 s0, s37, 28
	s_mov_b64 s[24:25], s[2:3]
.LBB55_830:                             ; =>This Inner Loop Header: Depth=1
	s_clause 0x1
	s_load_b256 s[48:55], s[24:25], 0x4
	s_load_b128 s[64:67], s[24:25], 0x24
	s_load_b256 s[56:63], s[22:23], 0x0
	s_add_co_i32 s1, s1, 4
	s_wait_xcnt 0x0
	s_add_nc_u64 s[24:25], s[24:25], 48
	s_cmp_eq_u32 s0, s1
	s_add_nc_u64 s[22:23], s[22:23], 32
	s_wait_kmcnt 0x0
	v_mul_hi_u32 v3, s49, v1
	s_delay_alu instid0(VALU_DEP_1) | instskip(NEXT) | instid1(VALU_DEP_1)
	v_add_nc_u32_e32 v3, v1, v3
	v_lshrrev_b32_e32 v3, s50, v3
	s_delay_alu instid0(VALU_DEP_1) | instskip(NEXT) | instid1(VALU_DEP_1)
	v_mul_hi_u32 v5, s52, v3
	v_add_nc_u32_e32 v5, v3, v5
	s_delay_alu instid0(VALU_DEP_1) | instskip(NEXT) | instid1(VALU_DEP_1)
	v_lshrrev_b32_e32 v5, s53, v5
	v_mul_hi_u32 v6, s55, v5
	s_delay_alu instid0(VALU_DEP_1) | instskip(SKIP_1) | instid1(VALU_DEP_1)
	v_add_nc_u32_e32 v6, v5, v6
	v_mul_lo_u32 v7, v3, s48
	v_sub_nc_u32_e32 v1, v1, v7
	v_mul_lo_u32 v7, v5, s51
	s_delay_alu instid0(VALU_DEP_4) | instskip(NEXT) | instid1(VALU_DEP_3)
	v_lshrrev_b32_e32 v6, s64, v6
	v_mad_u32 v4, v1, s57, v4
	v_mad_u32 v1, v1, s56, v2
	s_delay_alu instid0(VALU_DEP_4) | instskip(NEXT) | instid1(VALU_DEP_4)
	v_sub_nc_u32_e32 v2, v3, v7
	v_mul_hi_u32 v8, s66, v6
	v_mul_lo_u32 v3, v6, s54
	s_delay_alu instid0(VALU_DEP_3) | instskip(SKIP_1) | instid1(VALU_DEP_3)
	v_mad_u32 v4, v2, s59, v4
	v_mad_u32 v2, v2, s58, v1
	v_dual_add_nc_u32 v7, v6, v8 :: v_dual_sub_nc_u32 v3, v5, v3
	s_delay_alu instid0(VALU_DEP_1) | instskip(NEXT) | instid1(VALU_DEP_2)
	v_lshrrev_b32_e32 v1, s67, v7
	v_mad_u32 v4, v3, s61, v4
	s_delay_alu instid0(VALU_DEP_4) | instskip(NEXT) | instid1(VALU_DEP_3)
	v_mad_u32 v2, v3, s60, v2
	v_mul_lo_u32 v5, v1, s65
	s_delay_alu instid0(VALU_DEP_1) | instskip(NEXT) | instid1(VALU_DEP_1)
	v_sub_nc_u32_e32 v3, v6, v5
	v_mad_u32 v4, v3, s63, v4
	s_delay_alu instid0(VALU_DEP_4)
	v_mad_u32 v2, v3, s62, v2
	s_cbranch_scc0 .LBB55_830
; %bb.831:
	s_delay_alu instid0(VALU_DEP_2)
	v_mov_b32_e32 v3, v4
	s_branch .LBB55_835
.LBB55_832:
	s_mov_b32 s0, -1
                                        ; implicit-def: $vgpr4
                                        ; implicit-def: $vgpr2
	s_branch .LBB55_840
.LBB55_833:
	v_dual_mov_b32 v4, 0 :: v_dual_mov_b32 v2, 0
	s_branch .LBB55_839
.LBB55_834:
	v_mov_b64_e32 v[2:3], 0
	s_wait_loadcnt 0x0
	v_mov_b32_e32 v1, v0
                                        ; implicit-def: $vgpr4
.LBB55_835:
	s_and_b32 s24, s37, 3
	s_mov_b32 s1, 0
	s_cmp_eq_u32 s24, 0
	s_cbranch_scc1 .LBB55_839
; %bb.836:
	s_lshl_b32 s22, s0, 3
	s_mov_b32 s23, s1
	s_mul_u64 s[46:47], s[0:1], 12
	s_add_nc_u64 s[22:23], s[2:3], s[22:23]
	s_delay_alu instid0(SALU_CYCLE_1)
	s_add_nc_u64 s[0:1], s[22:23], 0xc4
	s_add_nc_u64 s[22:23], s[2:3], s[46:47]
.LBB55_837:                             ; =>This Inner Loop Header: Depth=1
	s_load_b96 s[48:50], s[22:23], 0x4
	s_load_b64 s[46:47], s[0:1], 0x0
	s_add_co_i32 s24, s24, -1
	s_wait_xcnt 0x0
	s_add_nc_u64 s[22:23], s[22:23], 12
	s_cmp_lg_u32 s24, 0
	s_add_nc_u64 s[0:1], s[0:1], 8
	s_wait_kmcnt 0x0
	v_mul_hi_u32 v4, s49, v1
	s_delay_alu instid0(VALU_DEP_1) | instskip(NEXT) | instid1(VALU_DEP_1)
	v_add_nc_u32_e32 v4, v1, v4
	v_lshrrev_b32_e32 v4, s50, v4
	s_delay_alu instid0(VALU_DEP_1) | instskip(NEXT) | instid1(VALU_DEP_1)
	v_mul_lo_u32 v5, v4, s48
	v_sub_nc_u32_e32 v1, v1, v5
	s_delay_alu instid0(VALU_DEP_1)
	v_mad_u32 v3, v1, s47, v3
	v_mad_u32 v2, v1, s46, v2
	v_mov_b32_e32 v1, v4
	s_cbranch_scc1 .LBB55_837
; %bb.838:
	s_delay_alu instid0(VALU_DEP_3)
	v_mov_b32_e32 v4, v3
.LBB55_839:
	s_mov_b32 s0, 0
.LBB55_840:
	s_delay_alu instid0(SALU_CYCLE_1)
	s_and_not1_b32 vcc_lo, exec_lo, s0
	s_cbranch_vccnz .LBB55_843
; %bb.841:
	s_wait_loadcnt 0x0
	v_mov_b32_e32 v1, 0
	s_and_not1_b32 vcc_lo, exec_lo, s35
	s_delay_alu instid0(VALU_DEP_1) | instskip(NEXT) | instid1(VALU_DEP_1)
	v_mul_u64_e32 v[2:3], s[16:17], v[0:1]
	v_add_nc_u32_e32 v2, v0, v3
	s_delay_alu instid0(VALU_DEP_1) | instskip(NEXT) | instid1(VALU_DEP_1)
	v_lshrrev_b32_e32 v6, s14, v2
	v_mul_lo_u32 v2, v6, s12
	s_delay_alu instid0(VALU_DEP_1) | instskip(NEXT) | instid1(VALU_DEP_1)
	v_sub_nc_u32_e32 v0, v0, v2
	v_mul_lo_u32 v4, v0, s9
	v_mul_lo_u32 v2, v0, s8
	s_cbranch_vccnz .LBB55_843
; %bb.842:
	v_mov_b32_e32 v7, v1
	s_delay_alu instid0(VALU_DEP_1) | instskip(NEXT) | instid1(VALU_DEP_1)
	v_mul_u64_e32 v[0:1], s[20:21], v[6:7]
	v_add_nc_u32_e32 v0, v6, v1
	s_delay_alu instid0(VALU_DEP_1) | instskip(NEXT) | instid1(VALU_DEP_1)
	v_lshrrev_b32_e32 v0, s19, v0
	v_mul_lo_u32 v0, v0, s15
	s_delay_alu instid0(VALU_DEP_1) | instskip(NEXT) | instid1(VALU_DEP_1)
	v_sub_nc_u32_e32 v0, v6, v0
	v_mad_u32 v2, v0, s10, v2
	v_mad_u32 v4, v0, s11, v4
.LBB55_843:
	v_mov_b32_e32 v5, 0
	s_and_b32 s0, 0xffff, s13
	s_delay_alu instid0(SALU_CYCLE_1) | instskip(NEXT) | instid1(VALU_DEP_1)
	s_cmp_lt_i32 s0, 11
	v_add_nc_u64_e32 v[4:5], s[6:7], v[4:5]
	s_cbranch_scc1 .LBB55_850
; %bb.844:
	s_cmp_gt_i32 s0, 25
	s_mov_b32 s6, 0
	s_cbranch_scc0 .LBB55_851
; %bb.845:
	s_cmp_gt_i32 s0, 28
	s_cbranch_scc0 .LBB55_852
; %bb.846:
	s_cmp_gt_i32 s0, 43
	;; [unrolled: 3-line block ×3, first 2 shown]
	s_cbranch_scc0 .LBB55_856
; %bb.848:
	s_cmp_eq_u32 s0, 46
	s_mov_b32 s8, 0
	s_cbranch_scc0 .LBB55_859
; %bb.849:
	global_load_b32 v0, v[4:5], off
	s_mov_b32 s1, 0
	s_mov_b32 s7, -1
	s_wait_loadcnt 0x0
	v_lshlrev_b32_e32 v0, 16, v0
	s_delay_alu instid0(VALU_DEP_1)
	v_cvt_f16_f32_e32 v6, v0
	s_branch .LBB55_861
.LBB55_850:
	s_mov_b32 s0, -1
	s_mov_b32 s7, 0
	s_mov_b32 s6, 0
	;; [unrolled: 1-line block ×3, first 2 shown]
                                        ; implicit-def: $vgpr6
	s_branch .LBB55_924
.LBB55_851:
	s_mov_b32 s8, -1
	s_mov_b32 s7, 0
	s_mov_b32 s1, s26
                                        ; implicit-def: $vgpr6
	s_branch .LBB55_890
.LBB55_852:
	s_mov_b32 s8, -1
	s_mov_b32 s7, 0
	s_mov_b32 s1, s26
                                        ; implicit-def: $vgpr6
	s_branch .LBB55_871
.LBB55_853:
	s_mov_b32 s8, -1
	s_mov_b32 s7, 0
	s_mov_b32 s1, s26
                                        ; implicit-def: $vgpr6
	s_branch .LBB55_866
.LBB55_854:
	s_and_not1_saveexec_b32 s46, s46
	s_cbranch_execz .LBB55_732
.LBB55_855:
	v_add_f32_e32 v1, 0x46000000, v4
	s_and_not1_b32 s45, s45, exec_lo
	s_delay_alu instid0(VALU_DEP_1) | instskip(NEXT) | instid1(VALU_DEP_1)
	v_and_b32_e32 v1, 0xff, v1
	v_cmp_ne_u32_e32 vcc_lo, 0, v1
	s_and_b32 s47, vcc_lo, exec_lo
	s_delay_alu instid0(SALU_CYCLE_1)
	s_or_b32 s45, s45, s47
	s_or_b32 exec_lo, exec_lo, s46
	v_mov_b32_e32 v5, 0
	s_and_saveexec_b32 s46, s45
	s_cbranch_execnz .LBB55_733
	s_branch .LBB55_734
.LBB55_856:
	s_mov_b32 s8, -1
	s_mov_b32 s7, 0
	s_mov_b32 s1, s26
	s_branch .LBB55_860
.LBB55_857:
	s_and_not1_saveexec_b32 s46, s46
	s_cbranch_execz .LBB55_745
.LBB55_858:
	v_add_f32_e32 v1, 0x42800000, v4
	s_and_not1_b32 s45, s45, exec_lo
	s_delay_alu instid0(VALU_DEP_1) | instskip(NEXT) | instid1(VALU_DEP_1)
	v_and_b32_e32 v1, 0xff, v1
	v_cmp_ne_u32_e32 vcc_lo, 0, v1
	s_and_b32 s47, vcc_lo, exec_lo
	s_delay_alu instid0(SALU_CYCLE_1)
	s_or_b32 s45, s45, s47
	s_or_b32 exec_lo, exec_lo, s46
	v_mov_b32_e32 v5, 0
	s_and_saveexec_b32 s46, s45
	s_cbranch_execnz .LBB55_746
	s_branch .LBB55_747
.LBB55_859:
	s_mov_b32 s1, -1
	s_mov_b32 s7, 0
.LBB55_860:
                                        ; implicit-def: $vgpr6
.LBB55_861:
	s_and_b32 vcc_lo, exec_lo, s8
	s_cbranch_vccz .LBB55_865
; %bb.862:
	s_cmp_eq_u32 s0, 44
	s_cbranch_scc0 .LBB55_864
; %bb.863:
	global_load_u8 v0, v[4:5], off
	s_mov_b32 s1, 0
	s_mov_b32 s7, -1
	s_wait_loadcnt 0x0
	v_lshlrev_b32_e32 v1, 23, v0
	v_cmp_ne_u32_e32 vcc_lo, 0xff, v0
	s_delay_alu instid0(VALU_DEP_2) | instskip(NEXT) | instid1(VALU_DEP_1)
	v_cvt_f16_f32_e32 v1, v1
	v_cndmask_b32_e32 v1, 0x7e00, v1, vcc_lo
	v_cmp_ne_u32_e32 vcc_lo, 0, v0
	s_delay_alu instid0(VALU_DEP_2)
	v_cndmask_b32_e32 v6, 0, v1, vcc_lo
	s_branch .LBB55_865
.LBB55_864:
	s_mov_b32 s1, -1
                                        ; implicit-def: $vgpr6
.LBB55_865:
	s_mov_b32 s8, 0
.LBB55_866:
	s_delay_alu instid0(SALU_CYCLE_1)
	s_and_b32 vcc_lo, exec_lo, s8
	s_cbranch_vccz .LBB55_870
; %bb.867:
	s_cmp_eq_u32 s0, 29
	s_cbranch_scc0 .LBB55_869
; %bb.868:
	s_wait_loadcnt 0x0
	global_load_b64 v[0:1], v[4:5], off
	s_mov_b32 s1, 0
	s_mov_b32 s7, -1
	s_mov_b32 s8, 0
	s_wait_loadcnt 0x0
	v_clz_i32_u32_e32 v3, v1
	s_delay_alu instid0(VALU_DEP_1) | instskip(NEXT) | instid1(VALU_DEP_1)
	v_min_u32_e32 v3, 32, v3
	v_lshlrev_b64_e32 v[0:1], v3, v[0:1]
	s_delay_alu instid0(VALU_DEP_1) | instskip(NEXT) | instid1(VALU_DEP_1)
	v_min_u32_e32 v0, 1, v0
	v_dual_sub_nc_u32 v1, 32, v3 :: v_dual_bitop2_b32 v0, v1, v0 bitop3:0x54
	s_delay_alu instid0(VALU_DEP_1) | instskip(NEXT) | instid1(VALU_DEP_1)
	v_cvt_f32_u32_e32 v0, v0
	v_ldexp_f32 v0, v0, v1
	s_delay_alu instid0(VALU_DEP_1)
	v_cvt_f16_f32_e32 v6, v0
	s_branch .LBB55_871
.LBB55_869:
	s_mov_b32 s1, -1
                                        ; implicit-def: $vgpr6
.LBB55_870:
	s_mov_b32 s8, 0
.LBB55_871:
	s_delay_alu instid0(SALU_CYCLE_1)
	s_and_b32 vcc_lo, exec_lo, s8
	s_cbranch_vccz .LBB55_889
; %bb.872:
	s_cmp_lt_i32 s0, 27
	s_cbranch_scc1 .LBB55_875
; %bb.873:
	s_cmp_gt_i32 s0, 27
	s_cbranch_scc0 .LBB55_876
; %bb.874:
	global_load_b32 v0, v[4:5], off
	s_mov_b32 s7, 0
	s_wait_loadcnt 0x0
	v_cvt_f32_u32_e32 v0, v0
	s_delay_alu instid0(VALU_DEP_1)
	v_cvt_f16_f32_e32 v6, v0
	s_branch .LBB55_877
.LBB55_875:
	s_mov_b32 s7, -1
                                        ; implicit-def: $vgpr6
	s_branch .LBB55_880
.LBB55_876:
	s_mov_b32 s7, -1
                                        ; implicit-def: $vgpr6
.LBB55_877:
	s_delay_alu instid0(SALU_CYCLE_1)
	s_and_not1_b32 vcc_lo, exec_lo, s7
	s_cbranch_vccnz .LBB55_879
; %bb.878:
	global_load_u16 v0, v[4:5], off
	s_wait_loadcnt 0x0
	v_cvt_f16_u16_e32 v6, v0
.LBB55_879:
	s_mov_b32 s7, 0
.LBB55_880:
	s_delay_alu instid0(SALU_CYCLE_1)
	s_and_not1_b32 vcc_lo, exec_lo, s7
	s_cbranch_vccnz .LBB55_888
; %bb.881:
	global_load_u8 v0, v[4:5], off
	s_mov_b32 s7, 0
	s_mov_b32 s8, exec_lo
	s_wait_loadcnt 0x0
	v_cmpx_lt_i16_e32 0x7f, v0
	s_xor_b32 s8, exec_lo, s8
	s_cbranch_execz .LBB55_902
; %bb.882:
	s_mov_b32 s7, -1
	s_mov_b32 s9, exec_lo
	v_cmpx_eq_u16_e32 0x80, v0
; %bb.883:
	s_xor_b32 s7, exec_lo, -1
; %bb.884:
	s_or_b32 exec_lo, exec_lo, s9
	s_delay_alu instid0(SALU_CYCLE_1)
	s_and_b32 s7, s7, exec_lo
	s_or_saveexec_b32 s8, s8
	v_mov_b32_e32 v6, 0x7e00
	s_xor_b32 exec_lo, exec_lo, s8
	s_cbranch_execnz .LBB55_903
.LBB55_885:
	s_or_b32 exec_lo, exec_lo, s8
	s_and_saveexec_b32 s8, s7
	s_cbranch_execz .LBB55_887
.LBB55_886:
	v_and_b32_e32 v1, 0xffff, v0
	s_delay_alu instid0(VALU_DEP_1) | instskip(SKIP_1) | instid1(VALU_DEP_2)
	v_and_b32_e32 v3, 7, v1
	v_bfe_u32 v8, v1, 3, 4
	v_clz_i32_u32_e32 v6, v3
	s_delay_alu instid0(VALU_DEP_2) | instskip(NEXT) | instid1(VALU_DEP_2)
	v_cmp_eq_u32_e32 vcc_lo, 0, v8
	v_min_u32_e32 v6, 32, v6
	s_delay_alu instid0(VALU_DEP_1) | instskip(NEXT) | instid1(VALU_DEP_1)
	v_subrev_nc_u32_e32 v7, 28, v6
	v_dual_lshlrev_b32 v1, v7, v1 :: v_dual_sub_nc_u32 v6, 29, v6
	s_delay_alu instid0(VALU_DEP_1) | instskip(NEXT) | instid1(VALU_DEP_1)
	v_dual_lshlrev_b32 v0, 24, v0 :: v_dual_bitop2_b32 v1, 7, v1 bitop3:0x40
	v_dual_cndmask_b32 v6, v8, v6 :: v_dual_cndmask_b32 v1, v3, v1
	s_delay_alu instid0(VALU_DEP_2) | instskip(NEXT) | instid1(VALU_DEP_2)
	v_and_b32_e32 v0, 0x80000000, v0
	v_lshl_add_u32 v3, v6, 23, 0x3b800000
	s_delay_alu instid0(VALU_DEP_3) | instskip(NEXT) | instid1(VALU_DEP_1)
	v_lshlrev_b32_e32 v1, 20, v1
	v_or3_b32 v0, v0, v3, v1
	s_delay_alu instid0(VALU_DEP_1)
	v_cvt_f16_f32_e32 v6, v0
.LBB55_887:
	s_or_b32 exec_lo, exec_lo, s8
.LBB55_888:
	s_mov_b32 s7, -1
.LBB55_889:
	s_mov_b32 s8, 0
.LBB55_890:
	s_delay_alu instid0(SALU_CYCLE_1)
	s_and_b32 vcc_lo, exec_lo, s8
	s_cbranch_vccz .LBB55_923
; %bb.891:
	s_cmp_gt_i32 s0, 22
	s_cbranch_scc0 .LBB55_901
; %bb.892:
	s_cmp_lt_i32 s0, 24
	s_cbranch_scc1 .LBB55_904
; %bb.893:
	s_cmp_gt_i32 s0, 24
	s_cbranch_scc0 .LBB55_905
; %bb.894:
	global_load_u8 v0, v[4:5], off
	s_mov_b32 s7, exec_lo
	s_wait_loadcnt 0x0
	v_cmpx_lt_i16_e32 0x7f, v0
	s_xor_b32 s7, exec_lo, s7
	s_cbranch_execz .LBB55_917
; %bb.895:
	s_mov_b32 s6, -1
	s_mov_b32 s8, exec_lo
	v_cmpx_eq_u16_e32 0x80, v0
; %bb.896:
	s_xor_b32 s6, exec_lo, -1
; %bb.897:
	s_or_b32 exec_lo, exec_lo, s8
	s_delay_alu instid0(SALU_CYCLE_1)
	s_and_b32 s6, s6, exec_lo
	s_or_saveexec_b32 s7, s7
	v_mov_b32_e32 v6, 0x7e00
	s_xor_b32 exec_lo, exec_lo, s7
	s_cbranch_execnz .LBB55_918
.LBB55_898:
	s_or_b32 exec_lo, exec_lo, s7
	s_and_saveexec_b32 s7, s6
	s_cbranch_execz .LBB55_900
.LBB55_899:
	v_and_b32_e32 v1, 0xffff, v0
	s_delay_alu instid0(VALU_DEP_1) | instskip(SKIP_1) | instid1(VALU_DEP_2)
	v_and_b32_e32 v3, 3, v1
	v_bfe_u32 v8, v1, 2, 5
	v_clz_i32_u32_e32 v6, v3
	s_delay_alu instid0(VALU_DEP_2) | instskip(NEXT) | instid1(VALU_DEP_2)
	v_cmp_eq_u32_e32 vcc_lo, 0, v8
	v_min_u32_e32 v6, 32, v6
	s_delay_alu instid0(VALU_DEP_1) | instskip(NEXT) | instid1(VALU_DEP_1)
	v_subrev_nc_u32_e32 v7, 29, v6
	v_dual_lshlrev_b32 v1, v7, v1 :: v_dual_sub_nc_u32 v6, 30, v6
	s_delay_alu instid0(VALU_DEP_1) | instskip(NEXT) | instid1(VALU_DEP_1)
	v_dual_lshlrev_b32 v0, 24, v0 :: v_dual_bitop2_b32 v1, 3, v1 bitop3:0x40
	v_dual_cndmask_b32 v6, v8, v6 :: v_dual_cndmask_b32 v1, v3, v1
	s_delay_alu instid0(VALU_DEP_2) | instskip(NEXT) | instid1(VALU_DEP_2)
	v_and_b32_e32 v0, 0x80000000, v0
	v_lshl_add_u32 v3, v6, 23, 0x37800000
	s_delay_alu instid0(VALU_DEP_3) | instskip(NEXT) | instid1(VALU_DEP_1)
	v_lshlrev_b32_e32 v1, 21, v1
	v_or3_b32 v0, v0, v3, v1
	s_delay_alu instid0(VALU_DEP_1)
	v_cvt_f16_f32_e32 v6, v0
.LBB55_900:
	s_or_b32 exec_lo, exec_lo, s7
	s_mov_b32 s6, 0
	s_branch .LBB55_906
.LBB55_901:
	s_mov_b32 s6, -1
                                        ; implicit-def: $vgpr6
	s_branch .LBB55_912
.LBB55_902:
	s_or_saveexec_b32 s8, s8
	v_mov_b32_e32 v6, 0x7e00
	s_xor_b32 exec_lo, exec_lo, s8
	s_cbranch_execz .LBB55_885
.LBB55_903:
	v_cmp_ne_u16_e32 vcc_lo, 0, v0
	v_mov_b32_e32 v6, v0
	s_and_not1_b32 s7, s7, exec_lo
	s_and_b32 s9, vcc_lo, exec_lo
	s_delay_alu instid0(SALU_CYCLE_1)
	s_or_b32 s7, s7, s9
	s_or_b32 exec_lo, exec_lo, s8
	s_and_saveexec_b32 s8, s7
	s_cbranch_execnz .LBB55_886
	s_branch .LBB55_887
.LBB55_904:
	s_mov_b32 s6, -1
                                        ; implicit-def: $vgpr6
	s_branch .LBB55_909
.LBB55_905:
	s_mov_b32 s6, -1
                                        ; implicit-def: $vgpr6
.LBB55_906:
	s_delay_alu instid0(SALU_CYCLE_1)
	s_and_b32 vcc_lo, exec_lo, s6
	s_cbranch_vccz .LBB55_908
; %bb.907:
	global_load_u8 v0, v[4:5], off
	s_wait_loadcnt 0x0
	v_lshlrev_b32_e32 v0, 24, v0
	s_delay_alu instid0(VALU_DEP_1) | instskip(NEXT) | instid1(VALU_DEP_1)
	v_and_b32_e32 v1, 0x7f000000, v0
	v_clz_i32_u32_e32 v3, v1
	v_add_nc_u32_e32 v7, 0x1000000, v1
	v_cmp_ne_u32_e32 vcc_lo, 0, v1
	s_delay_alu instid0(VALU_DEP_3) | instskip(NEXT) | instid1(VALU_DEP_1)
	v_min_u32_e32 v3, 32, v3
	v_sub_nc_u32_e64 v3, v3, 4 clamp
	s_delay_alu instid0(VALU_DEP_1) | instskip(NEXT) | instid1(VALU_DEP_1)
	v_dual_lshlrev_b32 v6, v3, v1 :: v_dual_lshlrev_b32 v3, 23, v3
	v_lshrrev_b32_e32 v6, 4, v6
	s_delay_alu instid0(VALU_DEP_1) | instskip(SKIP_1) | instid1(VALU_DEP_2)
	v_sub_nc_u32_e32 v3, v6, v3
	v_ashrrev_i32_e32 v6, 8, v7
	v_add_nc_u32_e32 v3, 0x3c000000, v3
	s_delay_alu instid0(VALU_DEP_1) | instskip(NEXT) | instid1(VALU_DEP_1)
	v_and_or_b32 v3, 0x7f800000, v6, v3
	v_cndmask_b32_e32 v1, 0, v3, vcc_lo
	s_delay_alu instid0(VALU_DEP_1) | instskip(NEXT) | instid1(VALU_DEP_1)
	v_and_or_b32 v0, 0x80000000, v0, v1
	v_cvt_f16_f32_e32 v6, v0
.LBB55_908:
	s_mov_b32 s6, 0
.LBB55_909:
	s_delay_alu instid0(SALU_CYCLE_1)
	s_and_not1_b32 vcc_lo, exec_lo, s6
	s_cbranch_vccnz .LBB55_911
; %bb.910:
	global_load_u8 v0, v[4:5], off
	s_wait_loadcnt 0x0
	v_lshlrev_b32_e32 v1, 25, v0
	v_lshlrev_b16 v0, 8, v0
	s_delay_alu instid0(VALU_DEP_1) | instskip(SKIP_1) | instid1(VALU_DEP_2)
	v_and_or_b32 v6, 0x7f00, v0, 0.5
	v_bfe_i32 v0, v0, 0, 16
	v_dual_add_f32 v6, -0.5, v6 :: v_dual_lshrrev_b32 v3, 4, v1
	v_cmp_gt_u32_e32 vcc_lo, 0x8000000, v1
	s_delay_alu instid0(VALU_DEP_2) | instskip(NEXT) | instid1(VALU_DEP_1)
	v_or_b32_e32 v3, 0x70000000, v3
	v_mul_f32_e32 v3, 0x7800000, v3
	s_delay_alu instid0(VALU_DEP_1) | instskip(NEXT) | instid1(VALU_DEP_1)
	v_cndmask_b32_e32 v1, v3, v6, vcc_lo
	v_and_or_b32 v0, 0x80000000, v0, v1
	s_delay_alu instid0(VALU_DEP_1)
	v_cvt_f16_f32_e32 v6, v0
.LBB55_911:
	s_mov_b32 s6, 0
	s_mov_b32 s7, -1
.LBB55_912:
	s_and_not1_b32 vcc_lo, exec_lo, s6
	s_mov_b32 s6, 0
	s_cbranch_vccnz .LBB55_923
; %bb.913:
	s_cmp_gt_i32 s0, 14
	s_cbranch_scc0 .LBB55_916
; %bb.914:
	s_cmp_eq_u32 s0, 15
	s_cbranch_scc0 .LBB55_919
; %bb.915:
	global_load_u16 v0, v[4:5], off
	s_mov_b32 s1, 0
	s_mov_b32 s7, -1
	s_wait_loadcnt 0x0
	v_lshlrev_b32_e32 v0, 16, v0
	s_delay_alu instid0(VALU_DEP_1)
	v_cvt_f16_f32_e32 v6, v0
	s_branch .LBB55_921
.LBB55_916:
	s_mov_b32 s6, -1
	s_branch .LBB55_920
.LBB55_917:
	s_or_saveexec_b32 s7, s7
	v_mov_b32_e32 v6, 0x7e00
	s_xor_b32 exec_lo, exec_lo, s7
	s_cbranch_execz .LBB55_898
.LBB55_918:
	v_cmp_ne_u16_e32 vcc_lo, 0, v0
	v_mov_b32_e32 v6, v0
	s_and_not1_b32 s6, s6, exec_lo
	s_and_b32 s8, vcc_lo, exec_lo
	s_delay_alu instid0(SALU_CYCLE_1)
	s_or_b32 s6, s6, s8
	s_or_b32 exec_lo, exec_lo, s7
	s_and_saveexec_b32 s7, s6
	s_cbranch_execnz .LBB55_899
	s_branch .LBB55_900
.LBB55_919:
	s_mov_b32 s1, -1
.LBB55_920:
                                        ; implicit-def: $vgpr6
.LBB55_921:
	s_and_b32 vcc_lo, exec_lo, s6
	s_mov_b32 s6, 0
	s_cbranch_vccz .LBB55_923
; %bb.922:
	s_cmp_lg_u32 s0, 11
	s_mov_b32 s6, -1
	s_cselect_b32 s0, -1, 0
	s_and_not1_b32 s1, s1, exec_lo
	s_and_b32 s0, s0, exec_lo
	s_delay_alu instid0(SALU_CYCLE_1)
	s_or_b32 s1, s1, s0
.LBB55_923:
	s_mov_b32 s0, 0
.LBB55_924:
	s_and_b32 s24, s7, exec_lo
	s_and_not1_b32 s7, s26, exec_lo
	s_and_b32 s1, s1, exec_lo
	s_and_b32 s25, s0, exec_lo
	;; [unrolled: 1-line block ×3, first 2 shown]
	s_or_b32 s45, s7, s1
.LBB55_925:
	s_wait_xcnt 0x0
	s_or_b32 exec_lo, exec_lo, s36
	s_delay_alu instid0(SALU_CYCLE_1)
	s_and_not1_b32 s6, s26, exec_lo
	s_and_b32 s7, s45, exec_lo
	s_and_b32 s24, s24, exec_lo
	;; [unrolled: 1-line block ×4, first 2 shown]
	s_or_b32 s26, s6, s7
.LBB55_926:
	s_or_b32 exec_lo, exec_lo, s44
	s_delay_alu instid0(SALU_CYCLE_1)
	s_and_not1_b32 s6, s42, exec_lo
	s_and_b32 s7, s27, exec_lo
	s_and_b32 s25, s24, exec_lo
	s_or_b32 s42, s6, s7
	s_and_not1_b32 s6, s41, exec_lo
	s_and_b32 s7, s26, exec_lo
	s_and_b32 s24, s1, exec_lo
	;; [unrolled: 1-line block ×3, first 2 shown]
	s_or_b32 s41, s6, s7
.LBB55_927:
	s_or_b32 exec_lo, exec_lo, s43
	s_delay_alu instid0(SALU_CYCLE_1)
	s_and_not1_b32 s0, s18, exec_lo
	s_and_b32 s6, s42, exec_lo
	s_and_b32 s7, s41, exec_lo
	s_or_b32 s18, s0, s6
	s_and_not1_b32 s6, s39, exec_lo
	s_and_b32 s0, s25, exec_lo
	s_and_b32 s25, s24, exec_lo
	;; [unrolled: 1-line block ×3, first 2 shown]
	s_or_b32 s39, s6, s7
	s_or_b32 exec_lo, exec_lo, s40
	s_mov_b32 s1, 0
	s_and_saveexec_b32 s6, s39
	s_cbranch_execz .LBB55_276
.LBB55_928:
	s_mov_b32 s1, exec_lo
	s_and_not1_b32 s17, s17, exec_lo
	s_trap 2
	s_or_b32 exec_lo, exec_lo, s6
	s_and_saveexec_b32 s6, s17
	s_delay_alu instid0(SALU_CYCLE_1)
	s_xor_b32 s6, exec_lo, s6
	s_cbranch_execnz .LBB55_277
.LBB55_929:
	s_or_b32 exec_lo, exec_lo, s6
	s_and_saveexec_b32 s6, s25
	s_cbranch_execz .LBB55_975
.LBB55_930:
	s_sext_i32_i16 s7, s13
	s_delay_alu instid0(SALU_CYCLE_1)
	s_cmp_lt_i32 s7, 5
	s_cbranch_scc1 .LBB55_935
; %bb.931:
	s_cmp_lt_i32 s7, 8
	s_cbranch_scc1 .LBB55_936
; %bb.932:
	;; [unrolled: 3-line block ×3, first 2 shown]
	s_cmp_gt_i32 s7, 9
	s_cbranch_scc0 .LBB55_938
; %bb.934:
	s_wait_loadcnt 0x0
	global_load_b64 v[0:1], v[4:5], off
	s_mov_b32 s7, 0
	s_wait_loadcnt 0x0
	v_and_or_b32 v0, 0x1ff, v1, v0
	v_lshrrev_b32_e32 v3, 8, v1
	v_bfe_u32 v6, v1, 20, 11
	v_lshrrev_b32_e32 v1, 16, v1
	s_delay_alu instid0(VALU_DEP_4) | instskip(NEXT) | instid1(VALU_DEP_3)
	v_cmp_ne_u32_e32 vcc_lo, 0, v0
	v_sub_nc_u32_e32 v7, 0x3f1, v6
	v_cndmask_b32_e64 v0, 0, 1, vcc_lo
	s_delay_alu instid0(VALU_DEP_1) | instskip(NEXT) | instid1(VALU_DEP_3)
	v_and_or_b32 v0, 0xffe, v3, v0
	v_med3_i32 v3, v7, 0, 13
	s_delay_alu instid0(VALU_DEP_2) | instskip(NEXT) | instid1(VALU_DEP_1)
	v_or_b32_e32 v7, 0x1000, v0
	v_lshrrev_b32_e32 v8, v3, v7
	s_delay_alu instid0(VALU_DEP_1) | instskip(NEXT) | instid1(VALU_DEP_1)
	v_lshlrev_b32_e32 v3, v3, v8
	v_cmp_ne_u32_e32 vcc_lo, v3, v7
	v_cndmask_b32_e64 v3, 0, 1, vcc_lo
	s_delay_alu instid0(VALU_DEP_1) | instskip(SKIP_1) | instid1(VALU_DEP_1)
	v_or_b32_e32 v3, v8, v3
	v_add_nc_u32_e32 v6, 0xfffffc10, v6
	v_lshl_or_b32 v7, v6, 12, v0
	v_cmp_gt_i32_e32 vcc_lo, 1, v6
	s_delay_alu instid0(VALU_DEP_2) | instskip(NEXT) | instid1(VALU_DEP_1)
	v_cndmask_b32_e32 v3, v7, v3, vcc_lo
	v_dual_lshrrev_b32 v3, 2, v3 :: v_dual_bitop2_b32 v7, 7, v3 bitop3:0x40
	s_delay_alu instid0(VALU_DEP_1) | instskip(SKIP_4) | instid1(VALU_DEP_2)
	v_cmp_lt_i32_e32 vcc_lo, 5, v7
	v_cndmask_b32_e64 v8, 0, 1, vcc_lo
	v_cmp_eq_u32_e32 vcc_lo, 3, v7
	v_cndmask_b32_e64 v7, 0, 1, vcc_lo
	v_cmp_ne_u32_e32 vcc_lo, 0, v0
	v_or_b32_e32 v7, v7, v8
	s_delay_alu instid0(VALU_DEP_1) | instskip(NEXT) | instid1(VALU_DEP_1)
	v_dual_mov_b32 v8, 0x7e00 :: v_dual_add_nc_u32 v3, v3, v7
	v_cndmask_b32_e32 v0, 0x7c00, v8, vcc_lo
	v_cmp_gt_i32_e32 vcc_lo, 31, v6
	s_delay_alu instid0(VALU_DEP_3) | instskip(SKIP_1) | instid1(VALU_DEP_2)
	v_cndmask_b32_e32 v3, 0x7c00, v3, vcc_lo
	v_cmp_eq_u32_e32 vcc_lo, 0x40f, v6
	v_cndmask_b32_e32 v0, v3, v0, vcc_lo
	s_delay_alu instid0(VALU_DEP_1)
	v_and_or_b32 v6, 0x8000, v1, v0
	s_branch .LBB55_939
.LBB55_935:
                                        ; implicit-def: $vgpr6
	s_branch .LBB55_956
.LBB55_936:
                                        ; implicit-def: $vgpr6
	s_branch .LBB55_945
.LBB55_937:
	s_mov_b32 s7, -1
                                        ; implicit-def: $vgpr6
	s_branch .LBB55_942
.LBB55_938:
	s_mov_b32 s7, -1
                                        ; implicit-def: $vgpr6
.LBB55_939:
	s_delay_alu instid0(SALU_CYCLE_1)
	s_and_not1_b32 vcc_lo, exec_lo, s7
	s_cbranch_vccnz .LBB55_941
; %bb.940:
	global_load_b32 v0, v[4:5], off
	s_wait_loadcnt 0x0
	v_cvt_f16_f32_e32 v6, v0
.LBB55_941:
	s_mov_b32 s7, 0
.LBB55_942:
	s_delay_alu instid0(SALU_CYCLE_1)
	s_and_not1_b32 vcc_lo, exec_lo, s7
	s_cbranch_vccnz .LBB55_944
; %bb.943:
	global_load_b32 v6, v[4:5], off
.LBB55_944:
	s_cbranch_execnz .LBB55_955
.LBB55_945:
	s_sext_i32_i16 s7, s13
	s_delay_alu instid0(SALU_CYCLE_1)
	s_cmp_lt_i32 s7, 6
	s_cbranch_scc1 .LBB55_948
; %bb.946:
	s_cmp_gt_i32 s7, 6
	s_cbranch_scc0 .LBB55_949
; %bb.947:
	s_wait_loadcnt 0x0
	global_load_b64 v[0:1], v[4:5], off
	s_mov_b32 s7, 0
	s_wait_loadcnt 0x0
	v_and_or_b32 v0, 0x1ff, v1, v0
	v_lshrrev_b32_e32 v3, 8, v1
	v_bfe_u32 v6, v1, 20, 11
	v_lshrrev_b32_e32 v1, 16, v1
	s_delay_alu instid0(VALU_DEP_4) | instskip(NEXT) | instid1(VALU_DEP_3)
	v_cmp_ne_u32_e32 vcc_lo, 0, v0
	v_sub_nc_u32_e32 v7, 0x3f1, v6
	v_cndmask_b32_e64 v0, 0, 1, vcc_lo
	s_delay_alu instid0(VALU_DEP_1) | instskip(NEXT) | instid1(VALU_DEP_3)
	v_and_or_b32 v0, 0xffe, v3, v0
	v_med3_i32 v3, v7, 0, 13
	s_delay_alu instid0(VALU_DEP_2) | instskip(NEXT) | instid1(VALU_DEP_1)
	v_or_b32_e32 v7, 0x1000, v0
	v_lshrrev_b32_e32 v8, v3, v7
	s_delay_alu instid0(VALU_DEP_1) | instskip(NEXT) | instid1(VALU_DEP_1)
	v_lshlrev_b32_e32 v3, v3, v8
	v_cmp_ne_u32_e32 vcc_lo, v3, v7
	v_cndmask_b32_e64 v3, 0, 1, vcc_lo
	s_delay_alu instid0(VALU_DEP_1) | instskip(SKIP_1) | instid1(VALU_DEP_1)
	v_or_b32_e32 v3, v8, v3
	v_add_nc_u32_e32 v6, 0xfffffc10, v6
	v_lshl_or_b32 v7, v6, 12, v0
	v_cmp_gt_i32_e32 vcc_lo, 1, v6
	s_delay_alu instid0(VALU_DEP_2) | instskip(NEXT) | instid1(VALU_DEP_1)
	v_cndmask_b32_e32 v3, v7, v3, vcc_lo
	v_dual_lshrrev_b32 v3, 2, v3 :: v_dual_bitop2_b32 v7, 7, v3 bitop3:0x40
	s_delay_alu instid0(VALU_DEP_1) | instskip(SKIP_4) | instid1(VALU_DEP_2)
	v_cmp_lt_i32_e32 vcc_lo, 5, v7
	v_cndmask_b32_e64 v8, 0, 1, vcc_lo
	v_cmp_eq_u32_e32 vcc_lo, 3, v7
	v_cndmask_b32_e64 v7, 0, 1, vcc_lo
	v_cmp_ne_u32_e32 vcc_lo, 0, v0
	v_or_b32_e32 v7, v7, v8
	s_delay_alu instid0(VALU_DEP_1) | instskip(NEXT) | instid1(VALU_DEP_1)
	v_dual_mov_b32 v8, 0x7e00 :: v_dual_add_nc_u32 v3, v3, v7
	v_cndmask_b32_e32 v0, 0x7c00, v8, vcc_lo
	v_cmp_gt_i32_e32 vcc_lo, 31, v6
	s_delay_alu instid0(VALU_DEP_3) | instskip(SKIP_1) | instid1(VALU_DEP_2)
	v_cndmask_b32_e32 v3, 0x7c00, v3, vcc_lo
	v_cmp_eq_u32_e32 vcc_lo, 0x40f, v6
	v_cndmask_b32_e32 v0, v3, v0, vcc_lo
	s_delay_alu instid0(VALU_DEP_1)
	v_and_or_b32 v6, 0x8000, v1, v0
	s_branch .LBB55_950
.LBB55_948:
	s_mov_b32 s7, -1
                                        ; implicit-def: $vgpr6
	s_branch .LBB55_953
.LBB55_949:
	s_mov_b32 s7, -1
                                        ; implicit-def: $vgpr6
.LBB55_950:
	s_delay_alu instid0(SALU_CYCLE_1)
	s_and_not1_b32 vcc_lo, exec_lo, s7
	s_cbranch_vccnz .LBB55_952
; %bb.951:
	global_load_b32 v0, v[4:5], off
	s_wait_loadcnt 0x0
	v_cvt_f16_f32_e32 v6, v0
.LBB55_952:
	s_mov_b32 s7, 0
.LBB55_953:
	s_delay_alu instid0(SALU_CYCLE_1)
	s_and_not1_b32 vcc_lo, exec_lo, s7
	s_cbranch_vccnz .LBB55_955
; %bb.954:
	s_wait_loadcnt 0x0
	global_load_u16 v6, v[4:5], off
.LBB55_955:
	s_cbranch_execnz .LBB55_974
.LBB55_956:
	s_sext_i32_i16 s7, s13
	s_delay_alu instid0(SALU_CYCLE_1)
	s_cmp_lt_i32 s7, 2
	s_cbranch_scc1 .LBB55_960
; %bb.957:
	s_cmp_lt_i32 s7, 3
	s_cbranch_scc1 .LBB55_961
; %bb.958:
	s_cmp_gt_i32 s7, 3
	s_cbranch_scc0 .LBB55_962
; %bb.959:
	s_wait_loadcnt 0x0
	global_load_b64 v[0:1], v[4:5], off
	s_mov_b32 s7, 0
	s_wait_loadcnt 0x0
	v_xor_b32_e32 v3, v0, v1
	v_cls_i32_e32 v6, v1
	s_delay_alu instid0(VALU_DEP_2) | instskip(NEXT) | instid1(VALU_DEP_1)
	v_ashrrev_i32_e32 v3, 31, v3
	v_add_nc_u32_e32 v3, 32, v3
	s_delay_alu instid0(VALU_DEP_1) | instskip(NEXT) | instid1(VALU_DEP_1)
	v_add_min_u32_e64 v3, v6, -1, v3
	v_lshlrev_b64_e32 v[0:1], v3, v[0:1]
	s_delay_alu instid0(VALU_DEP_1) | instskip(NEXT) | instid1(VALU_DEP_1)
	v_min_u32_e32 v0, 1, v0
	v_dual_sub_nc_u32 v1, 32, v3 :: v_dual_bitop2_b32 v0, v1, v0 bitop3:0x54
	s_delay_alu instid0(VALU_DEP_1) | instskip(NEXT) | instid1(VALU_DEP_1)
	v_cvt_f32_i32_e32 v0, v0
	v_ldexp_f32 v0, v0, v1
	s_delay_alu instid0(VALU_DEP_1)
	v_cvt_f16_f32_e32 v6, v0
	s_branch .LBB55_963
.LBB55_960:
                                        ; implicit-def: $vgpr6
	s_branch .LBB55_969
.LBB55_961:
	s_mov_b32 s7, -1
                                        ; implicit-def: $vgpr6
	s_branch .LBB55_966
.LBB55_962:
	s_mov_b32 s7, -1
                                        ; implicit-def: $vgpr6
.LBB55_963:
	s_delay_alu instid0(SALU_CYCLE_1)
	s_and_not1_b32 vcc_lo, exec_lo, s7
	s_cbranch_vccnz .LBB55_965
; %bb.964:
	global_load_b32 v0, v[4:5], off
	s_wait_loadcnt 0x0
	v_cvt_f32_i32_e32 v0, v0
	s_delay_alu instid0(VALU_DEP_1)
	v_cvt_f16_f32_e32 v6, v0
.LBB55_965:
	s_mov_b32 s7, 0
.LBB55_966:
	s_delay_alu instid0(SALU_CYCLE_1)
	s_and_not1_b32 vcc_lo, exec_lo, s7
	s_cbranch_vccnz .LBB55_968
; %bb.967:
	global_load_u16 v0, v[4:5], off
	s_wait_loadcnt 0x0
	v_cvt_f16_i16_e32 v6, v0
.LBB55_968:
	s_cbranch_execnz .LBB55_974
.LBB55_969:
	s_sext_i32_i16 s7, s13
	s_delay_alu instid0(SALU_CYCLE_1)
	s_cmp_gt_i32 s7, 0
	s_mov_b32 s7, 0
	s_cbranch_scc0 .LBB55_971
; %bb.970:
	global_load_i8 v0, v[4:5], off
	s_wait_loadcnt 0x0
	v_cvt_f16_i16_e32 v6, v0
	s_branch .LBB55_972
.LBB55_971:
	s_mov_b32 s7, -1
                                        ; implicit-def: $vgpr6
.LBB55_972:
	s_delay_alu instid0(SALU_CYCLE_1)
	s_and_not1_b32 vcc_lo, exec_lo, s7
	s_cbranch_vccnz .LBB55_974
; %bb.973:
	global_load_u8 v0, v[4:5], off
	s_wait_loadcnt 0x0
	v_cvt_f16_u16_e32 v6, v0
.LBB55_974:
	s_or_b32 s0, s0, exec_lo
.LBB55_975:
	s_wait_xcnt 0x0
	s_or_b32 exec_lo, exec_lo, s6
	s_mov_b32 s10, 0
	s_mov_b32 s9, 0
                                        ; implicit-def: $sgpr6
                                        ; implicit-def: $sgpr7
                                        ; implicit-def: $vgpr0_vgpr1
	s_and_saveexec_b32 s8, s0
	s_cbranch_execz .LBB55_983
; %bb.976:
	v_mov_b32_e32 v3, 0
	s_wait_loadcnt 0x0
	v_cmp_eq_f16_e64 s6, 0x7c00, v6
	s_and_b32 s7, s34, 0xff
	s_delay_alu instid0(SALU_CYCLE_1)
	s_cmp_lt_i32 s7, 11
	v_add_nc_u64_e32 v[0:1], s[4:5], v[2:3]
	s_cbranch_scc1 .LBB55_986
; %bb.977:
	s_and_b32 s4, 0xffff, s7
	s_mov_b32 s5, -1
	s_cmp_gt_i32 s4, 25
	s_mov_b32 s0, s18
	s_cbranch_scc0 .LBB55_1014
; %bb.978:
	s_cmp_gt_i32 s4, 28
	s_mov_b32 s0, s18
	s_cbranch_scc0 .LBB55_998
; %bb.979:
	s_cmp_gt_i32 s4, 43
	s_mov_b32 s0, s18
	s_cbranch_scc0 .LBB55_994
; %bb.980:
	s_cmp_gt_i32 s4, 45
	s_mov_b32 s0, s18
	s_cbranch_scc0 .LBB55_988
; %bb.981:
	s_cmp_eq_u32 s4, 46
	s_mov_b32 s0, -1
	s_cbranch_scc0 .LBB55_987
; %bb.982:
	v_cndmask_b32_e64 v2, 0, 1.0, s6
	s_mov_b32 s0, 0
	s_mov_b32 s5, 0
	s_delay_alu instid0(VALU_DEP_1) | instskip(NEXT) | instid1(VALU_DEP_1)
	v_bfe_u32 v3, v2, 16, 1
	v_add3_u32 v2, v2, v3, 0x7fff
	s_delay_alu instid0(VALU_DEP_1)
	v_lshrrev_b32_e32 v2, 16, v2
	global_store_b32 v[0:1], v2, off
	s_branch .LBB55_988
.LBB55_983:
	s_or_b32 exec_lo, exec_lo, s8
	s_and_saveexec_b32 s0, s18
	s_cbranch_execnz .LBB55_1056
.LBB55_984:
	s_or_b32 exec_lo, exec_lo, s0
	s_and_saveexec_b32 s0, s10
	s_delay_alu instid0(SALU_CYCLE_1)
	s_xor_b32 s0, exec_lo, s0
	s_cbranch_execz .LBB55_1057
.LBB55_985:
	v_cndmask_b32_e64 v2, 0, 1, s6
	s_wait_loadcnt 0x0
	global_store_b8 v[0:1], v2, off
	s_wait_xcnt 0x0
	s_or_b32 exec_lo, exec_lo, s0
	s_and_saveexec_b32 s0, s9
	s_delay_alu instid0(SALU_CYCLE_1)
	s_xor_b32 s0, exec_lo, s0
	s_cbranch_execz .LBB55_1095
	s_branch .LBB55_1058
.LBB55_986:
	s_mov_b32 s5, -1
	s_mov_b32 s0, s18
	s_branch .LBB55_1055
.LBB55_987:
	s_mov_b32 s5, 0
.LBB55_988:
	s_delay_alu instid0(SALU_CYCLE_1)
	s_and_b32 vcc_lo, exec_lo, s5
	s_cbranch_vccz .LBB55_993
; %bb.989:
	s_cmp_eq_u32 s4, 44
	s_mov_b32 s0, -1
	s_cbranch_scc0 .LBB55_993
; %bb.990:
	v_cndmask_b32_e64 v4, 0, 1.0, s6
	s_mov_b32 s5, exec_lo
	s_wait_xcnt 0x0
	s_delay_alu instid0(VALU_DEP_1) | instskip(NEXT) | instid1(VALU_DEP_1)
	v_dual_mov_b32 v3, 0xff :: v_dual_lshrrev_b32 v2, 23, v4
	v_cmpx_ne_u32_e32 0xff, v2
; %bb.991:
	v_and_b32_e32 v3, 0x400000, v4
	v_and_or_b32 v4, 0x3fffff, v4, v2
	s_delay_alu instid0(VALU_DEP_2) | instskip(NEXT) | instid1(VALU_DEP_2)
	v_cmp_ne_u32_e32 vcc_lo, 0, v3
	v_cmp_ne_u32_e64 s0, 0, v4
	s_and_b32 s0, vcc_lo, s0
	s_delay_alu instid0(SALU_CYCLE_1) | instskip(NEXT) | instid1(VALU_DEP_1)
	v_cndmask_b32_e64 v3, 0, 1, s0
	v_add_nc_u32_e32 v3, v2, v3
; %bb.992:
	s_or_b32 exec_lo, exec_lo, s5
	s_mov_b32 s0, 0
	global_store_b8 v[0:1], v3, off
.LBB55_993:
	s_mov_b32 s5, 0
.LBB55_994:
	s_delay_alu instid0(SALU_CYCLE_1)
	s_and_b32 vcc_lo, exec_lo, s5
	s_cbranch_vccz .LBB55_997
; %bb.995:
	s_cmp_eq_u32 s4, 29
	s_mov_b32 s0, -1
	s_cbranch_scc0 .LBB55_997
; %bb.996:
	s_mov_b32 s0, 0
	s_wait_xcnt 0x0
	v_cndmask_b32_e64 v2, 0, 1, s6
	v_mov_b32_e32 v3, s0
	s_mov_b32 s5, 0
	global_store_b64 v[0:1], v[2:3], off
	s_branch .LBB55_998
.LBB55_997:
	s_mov_b32 s5, 0
.LBB55_998:
	s_delay_alu instid0(SALU_CYCLE_1)
	s_and_b32 vcc_lo, exec_lo, s5
	s_cbranch_vccz .LBB55_1013
; %bb.999:
	s_cmp_lt_i32 s4, 27
	s_mov_b32 s5, -1
	s_cbranch_scc1 .LBB55_1005
; %bb.1000:
	s_cmp_gt_i32 s4, 27
	s_cbranch_scc0 .LBB55_1002
; %bb.1001:
	s_wait_xcnt 0x0
	v_cndmask_b32_e64 v2, 0, 1, s6
	s_mov_b32 s5, 0
	global_store_b32 v[0:1], v2, off
.LBB55_1002:
	s_and_not1_b32 vcc_lo, exec_lo, s5
	s_cbranch_vccnz .LBB55_1004
; %bb.1003:
	s_wait_xcnt 0x0
	v_cndmask_b32_e64 v2, 0, 1, s6
	global_store_b16 v[0:1], v2, off
.LBB55_1004:
	s_mov_b32 s5, 0
.LBB55_1005:
	s_delay_alu instid0(SALU_CYCLE_1)
	s_and_not1_b32 vcc_lo, exec_lo, s5
	s_cbranch_vccnz .LBB55_1013
; %bb.1006:
	s_wait_xcnt 0x0
	v_cndmask_b32_e64 v3, 0, 1.0, s6
	v_mov_b32_e32 v4, 0x80
	s_mov_b32 s5, exec_lo
	s_delay_alu instid0(VALU_DEP_2)
	v_cmpx_gt_u32_e32 0x43800000, v3
	s_cbranch_execz .LBB55_1012
; %bb.1007:
	s_mov_b32 s10, exec_lo
                                        ; implicit-def: $vgpr2
	v_cmpx_lt_u32_e32 0x3bffffff, v3
	s_xor_b32 s10, exec_lo, s10
	s_cbranch_execz .LBB55_1170
; %bb.1008:
	v_bfe_u32 v2, v3, 20, 1
	s_mov_b32 s9, exec_lo
	s_delay_alu instid0(VALU_DEP_1) | instskip(NEXT) | instid1(VALU_DEP_1)
	v_add3_u32 v2, v3, v2, 0x487ffff
                                        ; implicit-def: $vgpr3
	v_lshrrev_b32_e32 v2, 20, v2
	s_and_not1_saveexec_b32 s10, s10
	s_cbranch_execnz .LBB55_1171
.LBB55_1009:
	s_or_b32 exec_lo, exec_lo, s10
	v_mov_b32_e32 v4, 0
	s_and_saveexec_b32 s10, s9
.LBB55_1010:
	v_mov_b32_e32 v4, v2
.LBB55_1011:
	s_or_b32 exec_lo, exec_lo, s10
.LBB55_1012:
	s_delay_alu instid0(SALU_CYCLE_1)
	s_or_b32 exec_lo, exec_lo, s5
	global_store_b8 v[0:1], v4, off
.LBB55_1013:
	s_mov_b32 s5, 0
.LBB55_1014:
	s_delay_alu instid0(SALU_CYCLE_1)
	s_and_b32 vcc_lo, exec_lo, s5
	s_mov_b32 s5, 0
	s_cbranch_vccz .LBB55_1054
; %bb.1015:
	s_cmp_gt_i32 s4, 22
	s_mov_b32 s9, -1
	s_cbranch_scc0 .LBB55_1047
; %bb.1016:
	s_cmp_lt_i32 s4, 24
	s_cbranch_scc1 .LBB55_1036
; %bb.1017:
	s_cmp_gt_i32 s4, 24
	s_cbranch_scc0 .LBB55_1025
; %bb.1018:
	s_wait_xcnt 0x0
	v_cndmask_b32_e64 v3, 0, 1.0, s6
	v_mov_b32_e32 v4, 0x80
	s_mov_b32 s9, exec_lo
	s_delay_alu instid0(VALU_DEP_2)
	v_cmpx_gt_u32_e32 0x47800000, v3
	s_cbranch_execz .LBB55_1024
; %bb.1019:
	s_mov_b32 s10, 0
	s_mov_b32 s11, exec_lo
                                        ; implicit-def: $vgpr2
	v_cmpx_lt_u32_e32 0x37ffffff, v3
	s_xor_b32 s11, exec_lo, s11
	s_cbranch_execz .LBB55_1296
; %bb.1020:
	v_bfe_u32 v2, v3, 21, 1
	s_mov_b32 s10, exec_lo
	s_delay_alu instid0(VALU_DEP_1) | instskip(NEXT) | instid1(VALU_DEP_1)
	v_add3_u32 v2, v3, v2, 0x88fffff
                                        ; implicit-def: $vgpr3
	v_lshrrev_b32_e32 v2, 21, v2
	s_and_not1_saveexec_b32 s11, s11
	s_cbranch_execnz .LBB55_1297
.LBB55_1021:
	s_or_b32 exec_lo, exec_lo, s11
	v_mov_b32_e32 v4, 0
	s_and_saveexec_b32 s11, s10
.LBB55_1022:
	v_mov_b32_e32 v4, v2
.LBB55_1023:
	s_or_b32 exec_lo, exec_lo, s11
.LBB55_1024:
	s_delay_alu instid0(SALU_CYCLE_1)
	s_or_b32 exec_lo, exec_lo, s9
	s_mov_b32 s9, 0
	global_store_b8 v[0:1], v4, off
.LBB55_1025:
	s_and_b32 vcc_lo, exec_lo, s9
	s_cbranch_vccz .LBB55_1035
; %bb.1026:
	s_wait_xcnt 0x0
	v_cndmask_b32_e64 v3, 0, 1.0, s6
	s_mov_b32 s9, exec_lo
                                        ; implicit-def: $vgpr2
	s_delay_alu instid0(VALU_DEP_1)
	v_cmpx_gt_u32_e32 0x43f00000, v3
	s_xor_b32 s9, exec_lo, s9
	s_cbranch_execz .LBB55_1032
; %bb.1027:
	s_mov_b32 s10, exec_lo
                                        ; implicit-def: $vgpr2
	v_cmpx_lt_u32_e32 0x3c7fffff, v3
	s_xor_b32 s10, exec_lo, s10
; %bb.1028:
	v_bfe_u32 v2, v3, 20, 1
	s_delay_alu instid0(VALU_DEP_1) | instskip(NEXT) | instid1(VALU_DEP_1)
	v_add3_u32 v2, v3, v2, 0x407ffff
	v_and_b32_e32 v3, 0xff00000, v2
	v_lshrrev_b32_e32 v2, 20, v2
	s_delay_alu instid0(VALU_DEP_2) | instskip(NEXT) | instid1(VALU_DEP_2)
	v_cmp_ne_u32_e32 vcc_lo, 0x7f00000, v3
                                        ; implicit-def: $vgpr3
	v_cndmask_b32_e32 v2, 0x7e, v2, vcc_lo
; %bb.1029:
	s_and_not1_saveexec_b32 s10, s10
; %bb.1030:
	v_add_f32_e32 v2, 0x46800000, v3
; %bb.1031:
	s_or_b32 exec_lo, exec_lo, s10
                                        ; implicit-def: $vgpr3
.LBB55_1032:
	s_and_not1_saveexec_b32 s9, s9
; %bb.1033:
	v_mov_b32_e32 v2, 0x7f
	v_cmp_lt_u32_e32 vcc_lo, 0x7f800000, v3
	s_delay_alu instid0(VALU_DEP_2)
	v_cndmask_b32_e32 v2, 0x7e, v2, vcc_lo
; %bb.1034:
	s_or_b32 exec_lo, exec_lo, s9
	global_store_b8 v[0:1], v2, off
.LBB55_1035:
	s_mov_b32 s9, 0
.LBB55_1036:
	s_delay_alu instid0(SALU_CYCLE_1)
	s_and_not1_b32 vcc_lo, exec_lo, s9
	s_cbranch_vccnz .LBB55_1046
; %bb.1037:
	s_wait_xcnt 0x0
	v_cndmask_b32_e64 v3, 0, 1.0, s6
	s_mov_b32 s9, exec_lo
                                        ; implicit-def: $vgpr2
	s_delay_alu instid0(VALU_DEP_1)
	v_cmpx_gt_u32_e32 0x47800000, v3
	s_xor_b32 s9, exec_lo, s9
	s_cbranch_execz .LBB55_1043
; %bb.1038:
	s_mov_b32 s10, exec_lo
                                        ; implicit-def: $vgpr2
	v_cmpx_lt_u32_e32 0x387fffff, v3
	s_xor_b32 s10, exec_lo, s10
; %bb.1039:
	v_bfe_u32 v2, v3, 21, 1
	s_delay_alu instid0(VALU_DEP_1) | instskip(NEXT) | instid1(VALU_DEP_1)
	v_add3_u32 v2, v3, v2, 0x80fffff
                                        ; implicit-def: $vgpr3
	v_lshrrev_b32_e32 v2, 21, v2
; %bb.1040:
	s_and_not1_saveexec_b32 s10, s10
; %bb.1041:
	v_add_f32_e32 v2, 0x43000000, v3
; %bb.1042:
	s_or_b32 exec_lo, exec_lo, s10
                                        ; implicit-def: $vgpr3
.LBB55_1043:
	s_and_not1_saveexec_b32 s9, s9
; %bb.1044:
	v_mov_b32_e32 v2, 0x7f
	v_cmp_lt_u32_e32 vcc_lo, 0x7f800000, v3
	s_delay_alu instid0(VALU_DEP_2)
	v_cndmask_b32_e32 v2, 0x7c, v2, vcc_lo
; %bb.1045:
	s_or_b32 exec_lo, exec_lo, s9
	global_store_b8 v[0:1], v2, off
.LBB55_1046:
	s_mov_b32 s9, 0
.LBB55_1047:
	s_delay_alu instid0(SALU_CYCLE_1)
	s_and_not1_b32 vcc_lo, exec_lo, s9
	s_mov_b32 s10, 0
	s_cbranch_vccnz .LBB55_1055
; %bb.1048:
	s_cmp_gt_i32 s4, 14
	s_mov_b32 s9, -1
	s_cbranch_scc0 .LBB55_1052
; %bb.1049:
	s_cmp_eq_u32 s4, 15
	s_mov_b32 s0, -1
	s_cbranch_scc0 .LBB55_1051
; %bb.1050:
	s_wait_xcnt 0x0
	v_cndmask_b32_e64 v2, 0, 1.0, s6
	s_mov_b32 s0, 0
	s_delay_alu instid0(VALU_DEP_1) | instskip(NEXT) | instid1(VALU_DEP_1)
	v_bfe_u32 v3, v2, 16, 1
	v_add3_u32 v2, v2, v3, 0x7fff
	global_store_d16_hi_b16 v[0:1], v2, off
.LBB55_1051:
	s_mov_b32 s9, 0
.LBB55_1052:
	s_delay_alu instid0(SALU_CYCLE_1)
	s_and_b32 vcc_lo, exec_lo, s9
	s_cbranch_vccz .LBB55_1055
; %bb.1053:
	s_cmp_lg_u32 s4, 11
	s_mov_b32 s10, -1
	s_cselect_b32 s4, -1, 0
	s_and_not1_b32 s0, s0, exec_lo
	s_and_b32 s4, s4, exec_lo
	s_delay_alu instid0(SALU_CYCLE_1)
	s_or_b32 s0, s0, s4
	s_branch .LBB55_1055
.LBB55_1054:
	s_mov_b32 s10, 0
.LBB55_1055:
	s_and_not1_b32 s4, s18, exec_lo
	s_and_b32 s0, s0, exec_lo
	s_and_b32 s9, s5, exec_lo
	;; [unrolled: 1-line block ×3, first 2 shown]
	s_or_b32 s18, s4, s0
	s_wait_xcnt 0x0
	s_or_b32 exec_lo, exec_lo, s8
	s_and_saveexec_b32 s0, s18
	s_cbranch_execz .LBB55_984
.LBB55_1056:
	s_or_b32 s1, s1, exec_lo
	s_and_not1_b32 s10, s10, exec_lo
	s_trap 2
	s_or_b32 exec_lo, exec_lo, s0
	s_and_saveexec_b32 s0, s10
	s_delay_alu instid0(SALU_CYCLE_1)
	s_xor_b32 s0, exec_lo, s0
	s_cbranch_execnz .LBB55_985
.LBB55_1057:
	s_or_b32 exec_lo, exec_lo, s0
	s_and_saveexec_b32 s0, s9
	s_delay_alu instid0(SALU_CYCLE_1)
	s_xor_b32 s0, exec_lo, s0
	s_cbranch_execz .LBB55_1095
.LBB55_1058:
	s_sext_i32_i16 s5, s7
	s_mov_b32 s4, -1
	s_cmp_lt_i32 s5, 5
	s_cbranch_scc1 .LBB55_1079
; %bb.1059:
	s_cmp_lt_i32 s5, 8
	s_cbranch_scc1 .LBB55_1069
; %bb.1060:
	;; [unrolled: 3-line block ×3, first 2 shown]
	s_cmp_gt_i32 s5, 9
	s_cbranch_scc0 .LBB55_1063
; %bb.1062:
	v_cndmask_b32_e64 v2, 0, 1, s6
	v_mov_b32_e32 v4, 0
	s_mov_b32 s4, 0
	s_delay_alu instid0(VALU_DEP_2) | instskip(NEXT) | instid1(VALU_DEP_2)
	v_cvt_f64_u32_e32 v[2:3], v2
	v_mov_b32_e32 v5, v4
	s_wait_loadcnt 0x0
	global_store_b128 v[0:1], v[2:5], off
.LBB55_1063:
	s_and_not1_b32 vcc_lo, exec_lo, s4
	s_cbranch_vccnz .LBB55_1065
; %bb.1064:
	s_wait_xcnt 0x0
	v_cndmask_b32_e64 v2, 0, 1.0, s6
	v_mov_b32_e32 v3, 0
	s_wait_loadcnt 0x0
	global_store_b64 v[0:1], v[2:3], off
.LBB55_1065:
	s_mov_b32 s4, 0
.LBB55_1066:
	s_delay_alu instid0(SALU_CYCLE_1)
	s_and_not1_b32 vcc_lo, exec_lo, s4
	s_cbranch_vccnz .LBB55_1068
; %bb.1067:
	s_wait_xcnt 0x0
	v_cndmask_b32_e64 v2, 0, 1.0, s6
	s_delay_alu instid0(VALU_DEP_1) | instskip(NEXT) | instid1(VALU_DEP_1)
	v_cvt_f16_f32_e32 v2, v2
	v_and_b32_e32 v2, 0xffff, v2
	s_wait_loadcnt 0x0
	global_store_b32 v[0:1], v2, off
.LBB55_1068:
	s_mov_b32 s4, 0
.LBB55_1069:
	s_delay_alu instid0(SALU_CYCLE_1)
	s_and_not1_b32 vcc_lo, exec_lo, s4
	s_cbranch_vccnz .LBB55_1078
; %bb.1070:
	s_sext_i32_i16 s5, s7
	s_mov_b32 s4, -1
	s_cmp_lt_i32 s5, 6
	s_cbranch_scc1 .LBB55_1076
; %bb.1071:
	s_cmp_gt_i32 s5, 6
	s_cbranch_scc0 .LBB55_1073
; %bb.1072:
	s_wait_xcnt 0x0
	v_cndmask_b32_e64 v2, 0, 1, s6
	s_mov_b32 s4, 0
	s_delay_alu instid0(VALU_DEP_1)
	v_cvt_f64_u32_e32 v[2:3], v2
	s_wait_loadcnt 0x0
	global_store_b64 v[0:1], v[2:3], off
.LBB55_1073:
	s_and_not1_b32 vcc_lo, exec_lo, s4
	s_cbranch_vccnz .LBB55_1075
; %bb.1074:
	s_wait_xcnt 0x0
	v_cndmask_b32_e64 v2, 0, 1.0, s6
	s_wait_loadcnt 0x0
	global_store_b32 v[0:1], v2, off
.LBB55_1075:
	s_mov_b32 s4, 0
.LBB55_1076:
	s_delay_alu instid0(SALU_CYCLE_1)
	s_and_not1_b32 vcc_lo, exec_lo, s4
	s_cbranch_vccnz .LBB55_1078
; %bb.1077:
	s_wait_xcnt 0x0
	v_cndmask_b32_e64 v2, 0, 1.0, s6
	s_delay_alu instid0(VALU_DEP_1)
	v_cvt_f16_f32_e32 v2, v2
	s_wait_loadcnt 0x0
	global_store_b16 v[0:1], v2, off
.LBB55_1078:
	s_mov_b32 s4, 0
.LBB55_1079:
	s_delay_alu instid0(SALU_CYCLE_1)
	s_and_not1_b32 vcc_lo, exec_lo, s4
	s_cbranch_vccnz .LBB55_1095
; %bb.1080:
	s_sext_i32_i16 s5, s7
	s_mov_b32 s4, -1
	s_cmp_lt_i32 s5, 2
	s_cbranch_scc1 .LBB55_1090
; %bb.1081:
	s_cmp_lt_i32 s5, 3
	s_cbranch_scc1 .LBB55_1087
; %bb.1082:
	s_cmp_gt_i32 s5, 3
	s_cbranch_scc0 .LBB55_1084
; %bb.1083:
	s_mov_b32 s4, 0
	s_wait_xcnt 0x0
	v_cndmask_b32_e64 v2, 0, 1, s6
	v_mov_b32_e32 v3, s4
	s_wait_loadcnt 0x0
	global_store_b64 v[0:1], v[2:3], off
.LBB55_1084:
	s_and_not1_b32 vcc_lo, exec_lo, s4
	s_cbranch_vccnz .LBB55_1086
; %bb.1085:
	s_wait_xcnt 0x0
	v_cndmask_b32_e64 v2, 0, 1, s6
	s_wait_loadcnt 0x0
	global_store_b32 v[0:1], v2, off
.LBB55_1086:
	s_mov_b32 s4, 0
.LBB55_1087:
	s_delay_alu instid0(SALU_CYCLE_1)
	s_and_not1_b32 vcc_lo, exec_lo, s4
	s_cbranch_vccnz .LBB55_1089
; %bb.1088:
	s_wait_xcnt 0x0
	v_cndmask_b32_e64 v2, 0, 1, s6
	s_wait_loadcnt 0x0
	global_store_b16 v[0:1], v2, off
.LBB55_1089:
	s_mov_b32 s4, 0
.LBB55_1090:
	s_delay_alu instid0(SALU_CYCLE_1)
	s_and_not1_b32 vcc_lo, exec_lo, s4
	s_cbranch_vccnz .LBB55_1095
; %bb.1091:
	s_sext_i32_i16 s4, s7
	s_delay_alu instid0(SALU_CYCLE_1)
	s_cmp_gt_i32 s4, 0
	s_mov_b32 s4, -1
	s_cbranch_scc0 .LBB55_1093
; %bb.1092:
	s_wait_xcnt 0x0
	v_cndmask_b32_e64 v2, 0, 1, s6
	s_mov_b32 s4, 0
	s_wait_loadcnt 0x0
	global_store_b8 v[0:1], v2, off
.LBB55_1093:
	s_and_not1_b32 vcc_lo, exec_lo, s4
	s_cbranch_vccnz .LBB55_1095
; %bb.1094:
	s_wait_xcnt 0x0
	v_cndmask_b32_e64 v2, 0, 1, s6
	s_wait_loadcnt 0x0
	global_store_b8 v[0:1], v2, off
.LBB55_1095:
	s_wait_xcnt 0x0
	s_or_b32 exec_lo, exec_lo, s0
	s_delay_alu instid0(SALU_CYCLE_1)
	s_and_b32 s8, s1, exec_lo
                                        ; implicit-def: $vgpr9
                                        ; implicit-def: $vgpr0
.LBB55_1096:
	s_or_saveexec_b32 s9, s33
	s_mov_b32 s0, 0
                                        ; implicit-def: $sgpr1
                                        ; implicit-def: $vgpr2_vgpr3
                                        ; implicit-def: $sgpr6
	s_xor_b32 exec_lo, exec_lo, s9
	s_cbranch_execz .LBB55_2108
; %bb.1097:
	s_wait_loadcnt 0x0
	v_cndmask_b32_e64 v1, 0, 1, s31
	s_and_not1_b32 vcc_lo, exec_lo, s31
	s_cbranch_vccnz .LBB55_1103
; %bb.1098:
	s_cmp_lg_u32 s28, 0
	s_mov_b32 s10, 0
	s_cbranch_scc0 .LBB55_1104
; %bb.1099:
	s_min_u32 s1, s29, 15
	s_delay_alu instid0(SALU_CYCLE_1)
	s_add_co_i32 s1, s1, 1
	s_cmp_eq_u32 s29, 2
	s_cbranch_scc1 .LBB55_1105
; %bb.1100:
	v_dual_mov_b32 v6, 0 :: v_dual_mov_b32 v14, 0
	v_mov_b32_e32 v2, v0
	s_and_b32 s0, s1, 28
	s_add_nc_u64 s[4:5], s[2:3], 0xc4
	s_mov_b32 s11, 0
	s_mov_b64 s[6:7], s[2:3]
.LBB55_1101:                            ; =>This Inner Loop Header: Depth=1
	s_clause 0x1
	s_load_b256 s[12:19], s[6:7], 0x4
	s_load_b128 s[36:39], s[6:7], 0x24
	s_load_b256 s[20:27], s[4:5], 0x0
	s_add_co_i32 s11, s11, 4
	s_wait_xcnt 0x0
	s_add_nc_u64 s[6:7], s[6:7], 48
	s_cmp_lg_u32 s0, s11
	s_add_nc_u64 s[4:5], s[4:5], 32
	s_wait_kmcnt 0x0
	v_mul_hi_u32 v3, s13, v2
	s_delay_alu instid0(VALU_DEP_1) | instskip(NEXT) | instid1(VALU_DEP_1)
	v_add_nc_u32_e32 v3, v2, v3
	v_lshrrev_b32_e32 v3, s14, v3
	s_delay_alu instid0(VALU_DEP_1) | instskip(NEXT) | instid1(VALU_DEP_1)
	v_mul_hi_u32 v4, s16, v3
	v_add_nc_u32_e32 v4, v3, v4
	s_delay_alu instid0(VALU_DEP_1) | instskip(NEXT) | instid1(VALU_DEP_1)
	v_lshrrev_b32_e32 v4, s17, v4
	v_mul_hi_u32 v5, s19, v4
	s_delay_alu instid0(VALU_DEP_1) | instskip(SKIP_1) | instid1(VALU_DEP_1)
	v_add_nc_u32_e32 v5, v4, v5
	v_mul_lo_u32 v7, v3, s12
	v_sub_nc_u32_e32 v2, v2, v7
	v_mul_lo_u32 v7, v4, s15
	s_delay_alu instid0(VALU_DEP_4) | instskip(NEXT) | instid1(VALU_DEP_3)
	v_lshrrev_b32_e32 v5, s36, v5
	v_mad_u32 v10, v2, s21, v14
	v_mad_u32 v2, v2, s20, v6
	s_delay_alu instid0(VALU_DEP_4) | instskip(NEXT) | instid1(VALU_DEP_4)
	v_sub_nc_u32_e32 v3, v3, v7
	v_mul_hi_u32 v8, s38, v5
	v_mul_lo_u32 v6, v5, s18
	s_delay_alu instid0(VALU_DEP_1) | instskip(NEXT) | instid1(VALU_DEP_4)
	v_dual_add_nc_u32 v7, v5, v8 :: v_dual_sub_nc_u32 v4, v4, v6
	v_mad_u32 v8, v3, s23, v10
	v_mad_u32 v3, v3, s22, v2
	s_delay_alu instid0(VALU_DEP_3) | instskip(NEXT) | instid1(VALU_DEP_1)
	v_lshrrev_b32_e32 v2, s39, v7
	v_mul_lo_u32 v6, v2, s37
	s_delay_alu instid0(VALU_DEP_4) | instskip(NEXT) | instid1(VALU_DEP_4)
	v_mad_u32 v7, v4, s25, v8
	v_mad_u32 v3, v4, s24, v3
	s_delay_alu instid0(VALU_DEP_3) | instskip(NEXT) | instid1(VALU_DEP_1)
	v_sub_nc_u32_e32 v4, v5, v6
	v_mad_u32 v14, v4, s27, v7
	s_delay_alu instid0(VALU_DEP_3)
	v_mad_u32 v6, v4, s26, v3
	s_cbranch_scc1 .LBB55_1101
; %bb.1102:
	s_delay_alu instid0(VALU_DEP_2)
	v_mov_b32_e32 v7, v14
	s_and_b32 s6, s1, 3
	s_mov_b32 s1, 0
	s_cmp_eq_u32 s6, 0
	s_cbranch_scc0 .LBB55_1106
	s_branch .LBB55_1109
.LBB55_1103:
	s_mov_b32 s10, -1
                                        ; implicit-def: $vgpr14
                                        ; implicit-def: $vgpr6
	s_branch .LBB55_1109
.LBB55_1104:
	v_dual_mov_b32 v14, 0 :: v_dual_mov_b32 v6, 0
	s_branch .LBB55_1109
.LBB55_1105:
	v_mov_b64_e32 v[6:7], 0
	v_mov_b32_e32 v2, v0
                                        ; implicit-def: $vgpr14
	s_and_b32 s6, s1, 3
	s_mov_b32 s1, 0
	s_cmp_eq_u32 s6, 0
	s_cbranch_scc1 .LBB55_1109
.LBB55_1106:
	s_lshl_b32 s4, s0, 3
	s_mov_b32 s5, s1
	s_mul_u64 s[12:13], s[0:1], 12
	s_add_nc_u64 s[4:5], s[2:3], s[4:5]
	s_delay_alu instid0(SALU_CYCLE_1)
	s_add_nc_u64 s[0:1], s[4:5], 0xc4
	s_add_nc_u64 s[4:5], s[2:3], s[12:13]
.LBB55_1107:                            ; =>This Inner Loop Header: Depth=1
	s_load_b96 s[12:14], s[4:5], 0x4
	s_add_co_i32 s6, s6, -1
	s_wait_xcnt 0x0
	s_add_nc_u64 s[4:5], s[4:5], 12
	s_cmp_lg_u32 s6, 0
	s_wait_kmcnt 0x0
	v_mul_hi_u32 v3, s13, v2
	s_delay_alu instid0(VALU_DEP_1) | instskip(NEXT) | instid1(VALU_DEP_1)
	v_add_nc_u32_e32 v3, v2, v3
	v_lshrrev_b32_e32 v3, s14, v3
	s_load_b64 s[14:15], s[0:1], 0x0
	s_wait_xcnt 0x0
	s_add_nc_u64 s[0:1], s[0:1], 8
	s_delay_alu instid0(VALU_DEP_1) | instskip(NEXT) | instid1(VALU_DEP_1)
	v_mul_lo_u32 v4, v3, s12
	v_sub_nc_u32_e32 v2, v2, v4
	s_wait_kmcnt 0x0
	s_delay_alu instid0(VALU_DEP_1)
	v_mad_u32 v7, v2, s15, v7
	v_mad_u32 v6, v2, s14, v6
	v_mov_b32_e32 v2, v3
	s_cbranch_scc1 .LBB55_1107
; %bb.1108:
	s_delay_alu instid0(VALU_DEP_3)
	v_mov_b32_e32 v14, v7
.LBB55_1109:
	s_and_not1_b32 vcc_lo, exec_lo, s10
	s_cbranch_vccnz .LBB55_1112
; %bb.1110:
	s_clause 0x1
	s_load_b96 s[4:6], s[2:3], 0x4
	s_load_b64 s[0:1], s[2:3], 0xc4
	s_cmp_lt_u32 s28, 2
	s_wait_kmcnt 0x0
	v_mul_hi_u32 v2, s5, v0
	s_delay_alu instid0(VALU_DEP_1) | instskip(NEXT) | instid1(VALU_DEP_1)
	v_add_nc_u32_e32 v2, v0, v2
	v_lshrrev_b32_e32 v2, s6, v2
	s_delay_alu instid0(VALU_DEP_1) | instskip(NEXT) | instid1(VALU_DEP_1)
	v_mul_lo_u32 v3, v2, s4
	v_sub_nc_u32_e32 v3, v0, v3
	s_delay_alu instid0(VALU_DEP_1)
	v_mul_lo_u32 v14, v3, s1
	v_mul_lo_u32 v6, v3, s0
	s_cbranch_scc1 .LBB55_1112
; %bb.1111:
	s_clause 0x1
	s_load_b96 s[4:6], s[2:3], 0x10
	s_load_b64 s[0:1], s[2:3], 0xcc
	s_wait_kmcnt 0x0
	v_mul_hi_u32 v3, s5, v2
	s_delay_alu instid0(VALU_DEP_1) | instskip(NEXT) | instid1(VALU_DEP_1)
	v_add_nc_u32_e32 v3, v2, v3
	v_lshrrev_b32_e32 v3, s6, v3
	s_delay_alu instid0(VALU_DEP_1) | instskip(NEXT) | instid1(VALU_DEP_1)
	v_mul_lo_u32 v3, v3, s4
	v_sub_nc_u32_e32 v2, v2, v3
	s_delay_alu instid0(VALU_DEP_1)
	v_mad_u32 v6, v2, s0, v6
	v_mad_u32 v14, v2, s1, v14
.LBB55_1112:
	v_cmp_ne_u32_e32 vcc_lo, 1, v1
	v_add_nc_u32_e32 v2, 0x80, v0
	s_cbranch_vccnz .LBB55_1118
; %bb.1113:
	s_cmp_lg_u32 s28, 0
	s_mov_b32 s10, 0
	s_cbranch_scc0 .LBB55_1119
; %bb.1114:
	s_min_u32 s1, s29, 15
	s_delay_alu instid0(SALU_CYCLE_1)
	s_add_co_i32 s1, s1, 1
	s_cmp_eq_u32 s29, 2
	s_cbranch_scc1 .LBB55_1120
; %bb.1115:
	v_dual_mov_b32 v4, 0 :: v_dual_mov_b32 v12, 0
	v_mov_b32_e32 v3, v2
	s_and_b32 s0, s1, 28
	s_add_nc_u64 s[4:5], s[2:3], 0xc4
	s_mov_b32 s11, 0
	s_mov_b64 s[6:7], s[2:3]
.LBB55_1116:                            ; =>This Inner Loop Header: Depth=1
	s_clause 0x1
	s_load_b256 s[12:19], s[6:7], 0x4
	s_load_b128 s[36:39], s[6:7], 0x24
	s_load_b256 s[20:27], s[4:5], 0x0
	s_add_co_i32 s11, s11, 4
	s_wait_xcnt 0x0
	s_add_nc_u64 s[6:7], s[6:7], 48
	s_cmp_lg_u32 s0, s11
	s_add_nc_u64 s[4:5], s[4:5], 32
	s_wait_kmcnt 0x0
	v_mul_hi_u32 v5, s13, v3
	s_delay_alu instid0(VALU_DEP_1) | instskip(NEXT) | instid1(VALU_DEP_1)
	v_add_nc_u32_e32 v5, v3, v5
	v_lshrrev_b32_e32 v5, s14, v5
	s_delay_alu instid0(VALU_DEP_1) | instskip(NEXT) | instid1(VALU_DEP_1)
	v_mul_hi_u32 v7, s16, v5
	v_add_nc_u32_e32 v7, v5, v7
	s_delay_alu instid0(VALU_DEP_1) | instskip(NEXT) | instid1(VALU_DEP_1)
	v_lshrrev_b32_e32 v7, s17, v7
	v_mul_hi_u32 v8, s19, v7
	s_delay_alu instid0(VALU_DEP_1) | instskip(SKIP_1) | instid1(VALU_DEP_1)
	v_add_nc_u32_e32 v8, v7, v8
	v_mul_lo_u32 v10, v5, s12
	v_sub_nc_u32_e32 v3, v3, v10
	v_mul_lo_u32 v10, v7, s15
	s_delay_alu instid0(VALU_DEP_4) | instskip(NEXT) | instid1(VALU_DEP_3)
	v_lshrrev_b32_e32 v8, s36, v8
	v_mad_u32 v12, v3, s21, v12
	v_mad_u32 v3, v3, s20, v4
	s_delay_alu instid0(VALU_DEP_4) | instskip(NEXT) | instid1(VALU_DEP_4)
	v_sub_nc_u32_e32 v4, v5, v10
	v_mul_hi_u32 v11, s38, v8
	v_mul_lo_u32 v5, v8, s18
	s_delay_alu instid0(VALU_DEP_1) | instskip(NEXT) | instid1(VALU_DEP_4)
	v_dual_add_nc_u32 v10, v8, v11 :: v_dual_sub_nc_u32 v5, v7, v5
	v_mad_u32 v11, v4, s23, v12
	v_mad_u32 v4, v4, s22, v3
	s_delay_alu instid0(VALU_DEP_3) | instskip(NEXT) | instid1(VALU_DEP_1)
	v_lshrrev_b32_e32 v3, s39, v10
	v_mul_lo_u32 v7, v3, s37
	s_delay_alu instid0(VALU_DEP_4) | instskip(NEXT) | instid1(VALU_DEP_4)
	v_mad_u32 v10, v5, s25, v11
	v_mad_u32 v4, v5, s24, v4
	s_delay_alu instid0(VALU_DEP_3) | instskip(NEXT) | instid1(VALU_DEP_1)
	v_sub_nc_u32_e32 v5, v8, v7
	v_mad_u32 v12, v5, s27, v10
	s_delay_alu instid0(VALU_DEP_3)
	v_mad_u32 v4, v5, s26, v4
	s_cbranch_scc1 .LBB55_1116
; %bb.1117:
	s_delay_alu instid0(VALU_DEP_2)
	v_mov_b32_e32 v5, v12
	s_and_b32 s6, s1, 3
	s_mov_b32 s1, 0
	s_cmp_eq_u32 s6, 0
	s_cbranch_scc0 .LBB55_1121
	s_branch .LBB55_1124
.LBB55_1118:
	s_mov_b32 s10, -1
                                        ; implicit-def: $vgpr12
                                        ; implicit-def: $vgpr4
	s_branch .LBB55_1124
.LBB55_1119:
	v_dual_mov_b32 v12, 0 :: v_dual_mov_b32 v4, 0
	s_branch .LBB55_1124
.LBB55_1120:
	v_mov_b64_e32 v[4:5], 0
	v_mov_b32_e32 v3, v2
	s_mov_b32 s0, 0
                                        ; implicit-def: $vgpr12
	s_and_b32 s6, s1, 3
	s_mov_b32 s1, 0
	s_cmp_eq_u32 s6, 0
	s_cbranch_scc1 .LBB55_1124
.LBB55_1121:
	s_lshl_b32 s4, s0, 3
	s_mov_b32 s5, s1
	s_mul_u64 s[12:13], s[0:1], 12
	s_add_nc_u64 s[4:5], s[2:3], s[4:5]
	s_delay_alu instid0(SALU_CYCLE_1)
	s_add_nc_u64 s[0:1], s[4:5], 0xc4
	s_add_nc_u64 s[4:5], s[2:3], s[12:13]
.LBB55_1122:                            ; =>This Inner Loop Header: Depth=1
	s_load_b96 s[12:14], s[4:5], 0x4
	s_add_co_i32 s6, s6, -1
	s_wait_xcnt 0x0
	s_add_nc_u64 s[4:5], s[4:5], 12
	s_cmp_lg_u32 s6, 0
	s_wait_kmcnt 0x0
	v_mul_hi_u32 v7, s13, v3
	s_delay_alu instid0(VALU_DEP_1) | instskip(NEXT) | instid1(VALU_DEP_1)
	v_add_nc_u32_e32 v7, v3, v7
	v_lshrrev_b32_e32 v7, s14, v7
	s_load_b64 s[14:15], s[0:1], 0x0
	s_wait_xcnt 0x0
	s_add_nc_u64 s[0:1], s[0:1], 8
	s_delay_alu instid0(VALU_DEP_1) | instskip(NEXT) | instid1(VALU_DEP_1)
	v_mul_lo_u32 v8, v7, s12
	v_sub_nc_u32_e32 v3, v3, v8
	s_wait_kmcnt 0x0
	s_delay_alu instid0(VALU_DEP_1)
	v_mad_u32 v5, v3, s15, v5
	v_mad_u32 v4, v3, s14, v4
	v_mov_b32_e32 v3, v7
	s_cbranch_scc1 .LBB55_1122
; %bb.1123:
	s_delay_alu instid0(VALU_DEP_3)
	v_mov_b32_e32 v12, v5
.LBB55_1124:
	s_and_not1_b32 vcc_lo, exec_lo, s10
	s_cbranch_vccnz .LBB55_1127
; %bb.1125:
	s_clause 0x1
	s_load_b96 s[4:6], s[2:3], 0x4
	s_load_b64 s[0:1], s[2:3], 0xc4
	s_cmp_lt_u32 s28, 2
	s_wait_kmcnt 0x0
	v_mul_hi_u32 v3, s5, v2
	s_delay_alu instid0(VALU_DEP_1) | instskip(NEXT) | instid1(VALU_DEP_1)
	v_add_nc_u32_e32 v3, v2, v3
	v_lshrrev_b32_e32 v3, s6, v3
	s_delay_alu instid0(VALU_DEP_1) | instskip(NEXT) | instid1(VALU_DEP_1)
	v_mul_lo_u32 v4, v3, s4
	v_sub_nc_u32_e32 v2, v2, v4
	s_delay_alu instid0(VALU_DEP_1)
	v_mul_lo_u32 v12, v2, s1
	v_mul_lo_u32 v4, v2, s0
	s_cbranch_scc1 .LBB55_1127
; %bb.1126:
	s_clause 0x1
	s_load_b96 s[4:6], s[2:3], 0x10
	s_load_b64 s[0:1], s[2:3], 0xcc
	s_wait_kmcnt 0x0
	v_mul_hi_u32 v2, s5, v3
	s_delay_alu instid0(VALU_DEP_1) | instskip(NEXT) | instid1(VALU_DEP_1)
	v_add_nc_u32_e32 v2, v3, v2
	v_lshrrev_b32_e32 v2, s6, v2
	s_delay_alu instid0(VALU_DEP_1) | instskip(NEXT) | instid1(VALU_DEP_1)
	v_mul_lo_u32 v2, v2, s4
	v_sub_nc_u32_e32 v2, v3, v2
	s_delay_alu instid0(VALU_DEP_1)
	v_mad_u32 v4, v2, s0, v4
	v_mad_u32 v12, v2, s1, v12
.LBB55_1127:
	v_cmp_ne_u32_e32 vcc_lo, 1, v1
	v_add_nc_u32_e32 v0, 0x100, v0
	s_cbranch_vccnz .LBB55_1133
; %bb.1128:
	s_cmp_lg_u32 s28, 0
	s_mov_b32 s10, 0
	s_cbranch_scc0 .LBB55_1134
; %bb.1129:
	s_min_u32 s1, s29, 15
	s_delay_alu instid0(SALU_CYCLE_1)
	s_add_co_i32 s1, s1, 1
	s_cmp_eq_u32 s29, 2
	s_cbranch_scc1 .LBB55_1135
; %bb.1130:
	v_dual_mov_b32 v2, 0 :: v_dual_mov_b32 v10, 0
	v_mov_b32_e32 v5, v0
	s_and_b32 s0, s1, 28
	s_add_nc_u64 s[4:5], s[2:3], 0xc4
	s_mov_b32 s11, 0
	s_mov_b64 s[6:7], s[2:3]
.LBB55_1131:                            ; =>This Inner Loop Header: Depth=1
	s_clause 0x1
	s_load_b256 s[12:19], s[6:7], 0x4
	s_load_b128 s[36:39], s[6:7], 0x24
	s_load_b256 s[20:27], s[4:5], 0x0
	s_add_co_i32 s11, s11, 4
	s_wait_xcnt 0x0
	s_add_nc_u64 s[6:7], s[6:7], 48
	s_cmp_lg_u32 s0, s11
	s_add_nc_u64 s[4:5], s[4:5], 32
	s_wait_kmcnt 0x0
	v_mul_hi_u32 v3, s13, v5
	s_delay_alu instid0(VALU_DEP_1) | instskip(NEXT) | instid1(VALU_DEP_1)
	v_add_nc_u32_e32 v3, v5, v3
	v_lshrrev_b32_e32 v3, s14, v3
	s_delay_alu instid0(VALU_DEP_1) | instskip(NEXT) | instid1(VALU_DEP_1)
	v_mul_hi_u32 v7, s16, v3
	v_add_nc_u32_e32 v7, v3, v7
	s_delay_alu instid0(VALU_DEP_1) | instskip(NEXT) | instid1(VALU_DEP_1)
	v_lshrrev_b32_e32 v7, s17, v7
	v_mul_hi_u32 v8, s19, v7
	s_delay_alu instid0(VALU_DEP_1) | instskip(NEXT) | instid1(VALU_DEP_1)
	v_add_nc_u32_e32 v8, v7, v8
	v_lshrrev_b32_e32 v8, s36, v8
	v_mul_lo_u32 v11, v3, s12
	s_delay_alu instid0(VALU_DEP_2) | instskip(NEXT) | instid1(VALU_DEP_2)
	v_mul_hi_u32 v13, s38, v8
	v_sub_nc_u32_e32 v5, v5, v11
	s_delay_alu instid0(VALU_DEP_1) | instskip(SKIP_1) | instid1(VALU_DEP_4)
	v_mad_u32 v10, v5, s21, v10
	v_mad_u32 v2, v5, s20, v2
	v_add_nc_u32_e32 v5, v8, v13
	s_delay_alu instid0(VALU_DEP_1) | instskip(SKIP_1) | instid1(VALU_DEP_1)
	v_lshrrev_b32_e32 v5, s39, v5
	v_mul_lo_u32 v11, v7, s15
	v_sub_nc_u32_e32 v3, v3, v11
	v_mul_lo_u32 v11, v8, s18
	s_delay_alu instid0(VALU_DEP_2) | instskip(SKIP_1) | instid1(VALU_DEP_3)
	v_mad_u32 v10, v3, s23, v10
	v_mad_u32 v2, v3, s22, v2
	v_sub_nc_u32_e32 v3, v7, v11
	v_mul_lo_u32 v7, v5, s37
	s_delay_alu instid0(VALU_DEP_2) | instskip(NEXT) | instid1(VALU_DEP_4)
	v_mad_u32 v10, v3, s25, v10
	v_mad_u32 v2, v3, s24, v2
	s_delay_alu instid0(VALU_DEP_3) | instskip(NEXT) | instid1(VALU_DEP_1)
	v_sub_nc_u32_e32 v3, v8, v7
	v_mad_u32 v10, v3, s27, v10
	s_delay_alu instid0(VALU_DEP_3)
	v_mad_u32 v2, v3, s26, v2
	s_cbranch_scc1 .LBB55_1131
; %bb.1132:
	s_delay_alu instid0(VALU_DEP_2)
	v_mov_b32_e32 v3, v10
	s_and_b32 s6, s1, 3
	s_mov_b32 s1, 0
	s_cmp_eq_u32 s6, 0
	s_cbranch_scc0 .LBB55_1136
	s_branch .LBB55_1139
.LBB55_1133:
	s_mov_b32 s10, -1
                                        ; implicit-def: $vgpr10
                                        ; implicit-def: $vgpr2
	s_branch .LBB55_1139
.LBB55_1134:
	v_dual_mov_b32 v10, 0 :: v_dual_mov_b32 v2, 0
	s_branch .LBB55_1139
.LBB55_1135:
	v_mov_b64_e32 v[2:3], 0
	v_mov_b32_e32 v5, v0
	s_mov_b32 s0, 0
                                        ; implicit-def: $vgpr10
	s_and_b32 s6, s1, 3
	s_mov_b32 s1, 0
	s_cmp_eq_u32 s6, 0
	s_cbranch_scc1 .LBB55_1139
.LBB55_1136:
	s_lshl_b32 s4, s0, 3
	s_mov_b32 s5, s1
	s_mul_u64 s[12:13], s[0:1], 12
	s_add_nc_u64 s[4:5], s[2:3], s[4:5]
	s_delay_alu instid0(SALU_CYCLE_1)
	s_add_nc_u64 s[0:1], s[4:5], 0xc4
	s_add_nc_u64 s[4:5], s[2:3], s[12:13]
.LBB55_1137:                            ; =>This Inner Loop Header: Depth=1
	s_load_b96 s[12:14], s[4:5], 0x4
	s_add_co_i32 s6, s6, -1
	s_wait_xcnt 0x0
	s_add_nc_u64 s[4:5], s[4:5], 12
	s_cmp_lg_u32 s6, 0
	s_wait_kmcnt 0x0
	v_mul_hi_u32 v7, s13, v5
	s_delay_alu instid0(VALU_DEP_1) | instskip(NEXT) | instid1(VALU_DEP_1)
	v_add_nc_u32_e32 v7, v5, v7
	v_lshrrev_b32_e32 v7, s14, v7
	s_load_b64 s[14:15], s[0:1], 0x0
	s_wait_xcnt 0x0
	s_add_nc_u64 s[0:1], s[0:1], 8
	s_delay_alu instid0(VALU_DEP_1) | instskip(NEXT) | instid1(VALU_DEP_1)
	v_mul_lo_u32 v8, v7, s12
	v_sub_nc_u32_e32 v5, v5, v8
	s_wait_kmcnt 0x0
	s_delay_alu instid0(VALU_DEP_1)
	v_mad_u32 v3, v5, s15, v3
	v_mad_u32 v2, v5, s14, v2
	v_mov_b32_e32 v5, v7
	s_cbranch_scc1 .LBB55_1137
; %bb.1138:
	s_delay_alu instid0(VALU_DEP_3)
	v_mov_b32_e32 v10, v3
.LBB55_1139:
	s_and_not1_b32 vcc_lo, exec_lo, s10
	s_cbranch_vccnz .LBB55_1142
; %bb.1140:
	s_clause 0x1
	s_load_b96 s[4:6], s[2:3], 0x4
	s_load_b64 s[0:1], s[2:3], 0xc4
	s_cmp_lt_u32 s28, 2
	s_wait_kmcnt 0x0
	v_mul_hi_u32 v2, s5, v0
	s_delay_alu instid0(VALU_DEP_1) | instskip(NEXT) | instid1(VALU_DEP_1)
	v_add_nc_u32_e32 v2, v0, v2
	v_lshrrev_b32_e32 v3, s6, v2
	s_delay_alu instid0(VALU_DEP_1) | instskip(NEXT) | instid1(VALU_DEP_1)
	v_mul_lo_u32 v2, v3, s4
	v_sub_nc_u32_e32 v0, v0, v2
	s_delay_alu instid0(VALU_DEP_1)
	v_mul_lo_u32 v10, v0, s1
	v_mul_lo_u32 v2, v0, s0
	s_cbranch_scc1 .LBB55_1142
; %bb.1141:
	s_clause 0x1
	s_load_b96 s[4:6], s[2:3], 0x10
	s_load_b64 s[0:1], s[2:3], 0xcc
	s_wait_kmcnt 0x0
	v_mul_hi_u32 v0, s5, v3
	s_delay_alu instid0(VALU_DEP_1) | instskip(NEXT) | instid1(VALU_DEP_1)
	v_add_nc_u32_e32 v0, v3, v0
	v_lshrrev_b32_e32 v0, s6, v0
	s_delay_alu instid0(VALU_DEP_1) | instskip(NEXT) | instid1(VALU_DEP_1)
	v_mul_lo_u32 v0, v0, s4
	v_sub_nc_u32_e32 v0, v3, v0
	s_delay_alu instid0(VALU_DEP_1)
	v_mad_u32 v2, v0, s0, v2
	v_mad_u32 v10, v0, s1, v10
.LBB55_1142:
	v_cmp_ne_u32_e32 vcc_lo, 1, v1
	s_cbranch_vccnz .LBB55_1148
; %bb.1143:
	s_cmp_lg_u32 s28, 0
	s_mov_b32 s10, 0
	s_cbranch_scc0 .LBB55_1149
; %bb.1144:
	s_min_u32 s1, s29, 15
	s_delay_alu instid0(SALU_CYCLE_1)
	s_add_co_i32 s1, s1, 1
	s_cmp_eq_u32 s29, 2
	s_cbranch_scc1 .LBB55_1150
; %bb.1145:
	v_dual_mov_b32 v0, 0 :: v_dual_mov_b32 v8, 0
	v_mov_b32_e32 v3, v9
	s_and_b32 s0, s1, 28
	s_add_nc_u64 s[4:5], s[2:3], 0xc4
	s_mov_b32 s11, 0
	s_mov_b64 s[6:7], s[2:3]
.LBB55_1146:                            ; =>This Inner Loop Header: Depth=1
	s_clause 0x1
	s_load_b256 s[12:19], s[6:7], 0x4
	s_load_b128 s[36:39], s[6:7], 0x24
	s_load_b256 s[20:27], s[4:5], 0x0
	s_add_co_i32 s11, s11, 4
	s_wait_xcnt 0x0
	s_add_nc_u64 s[6:7], s[6:7], 48
	s_cmp_lg_u32 s0, s11
	s_add_nc_u64 s[4:5], s[4:5], 32
	s_wait_kmcnt 0x0
	v_mul_hi_u32 v1, s13, v3
	s_delay_alu instid0(VALU_DEP_1) | instskip(NEXT) | instid1(VALU_DEP_1)
	v_add_nc_u32_e32 v1, v3, v1
	v_lshrrev_b32_e32 v1, s14, v1
	s_delay_alu instid0(VALU_DEP_1) | instskip(NEXT) | instid1(VALU_DEP_1)
	v_mul_lo_u32 v11, v1, s12
	v_sub_nc_u32_e32 v3, v3, v11
	v_mul_hi_u32 v5, s16, v1
	s_delay_alu instid0(VALU_DEP_2) | instskip(SKIP_1) | instid1(VALU_DEP_3)
	v_mad_u32 v8, v3, s21, v8
	v_mad_u32 v0, v3, s20, v0
	v_add_nc_u32_e32 v5, v1, v5
	s_delay_alu instid0(VALU_DEP_1) | instskip(NEXT) | instid1(VALU_DEP_1)
	v_lshrrev_b32_e32 v5, s17, v5
	v_mul_lo_u32 v11, v5, s15
	s_delay_alu instid0(VALU_DEP_1) | instskip(SKIP_1) | instid1(VALU_DEP_2)
	v_sub_nc_u32_e32 v1, v1, v11
	v_mul_hi_u32 v7, s19, v5
	v_mad_u32 v8, v1, s23, v8
	v_mad_u32 v0, v1, s22, v0
	s_delay_alu instid0(VALU_DEP_3) | instskip(NEXT) | instid1(VALU_DEP_1)
	v_add_nc_u32_e32 v7, v5, v7
	v_lshrrev_b32_e32 v7, s36, v7
	s_delay_alu instid0(VALU_DEP_1) | instskip(SKIP_1) | instid1(VALU_DEP_1)
	v_mul_hi_u32 v13, s38, v7
	v_mul_lo_u32 v11, v7, s18
	v_dual_add_nc_u32 v3, v7, v13 :: v_dual_sub_nc_u32 v1, v5, v11
	s_delay_alu instid0(VALU_DEP_1) | instskip(NEXT) | instid1(VALU_DEP_2)
	v_lshrrev_b32_e32 v3, s39, v3
	v_mad_u32 v8, v1, s25, v8
	v_mad_u32 v0, v1, s24, v0
	s_delay_alu instid0(VALU_DEP_3) | instskip(NEXT) | instid1(VALU_DEP_1)
	v_mul_lo_u32 v5, v3, s37
	v_sub_nc_u32_e32 v1, v7, v5
	s_delay_alu instid0(VALU_DEP_1) | instskip(NEXT) | instid1(VALU_DEP_4)
	v_mad_u32 v8, v1, s27, v8
	v_mad_u32 v0, v1, s26, v0
	s_cbranch_scc1 .LBB55_1146
; %bb.1147:
	s_delay_alu instid0(VALU_DEP_2)
	v_mov_b32_e32 v1, v8
	s_and_b32 s6, s1, 3
	s_mov_b32 s1, 0
	s_cmp_eq_u32 s6, 0
	s_cbranch_scc0 .LBB55_1151
	s_branch .LBB55_1154
.LBB55_1148:
	s_mov_b32 s10, -1
                                        ; implicit-def: $vgpr8
                                        ; implicit-def: $vgpr0
	s_branch .LBB55_1154
.LBB55_1149:
	v_dual_mov_b32 v8, 0 :: v_dual_mov_b32 v0, 0
	s_branch .LBB55_1154
.LBB55_1150:
	v_mov_b64_e32 v[0:1], 0
	v_mov_b32_e32 v3, v9
	s_mov_b32 s0, 0
                                        ; implicit-def: $vgpr8
	s_and_b32 s6, s1, 3
	s_mov_b32 s1, 0
	s_cmp_eq_u32 s6, 0
	s_cbranch_scc1 .LBB55_1154
.LBB55_1151:
	s_lshl_b32 s4, s0, 3
	s_mov_b32 s5, s1
	s_mul_u64 s[12:13], s[0:1], 12
	s_add_nc_u64 s[4:5], s[2:3], s[4:5]
	s_delay_alu instid0(SALU_CYCLE_1)
	s_add_nc_u64 s[0:1], s[4:5], 0xc4
	s_add_nc_u64 s[4:5], s[2:3], s[12:13]
.LBB55_1152:                            ; =>This Inner Loop Header: Depth=1
	s_load_b96 s[12:14], s[4:5], 0x4
	s_add_co_i32 s6, s6, -1
	s_wait_xcnt 0x0
	s_add_nc_u64 s[4:5], s[4:5], 12
	s_cmp_lg_u32 s6, 0
	s_wait_kmcnt 0x0
	v_mul_hi_u32 v5, s13, v3
	s_delay_alu instid0(VALU_DEP_1) | instskip(NEXT) | instid1(VALU_DEP_1)
	v_add_nc_u32_e32 v5, v3, v5
	v_lshrrev_b32_e32 v5, s14, v5
	s_load_b64 s[14:15], s[0:1], 0x0
	s_wait_xcnt 0x0
	s_add_nc_u64 s[0:1], s[0:1], 8
	s_delay_alu instid0(VALU_DEP_1) | instskip(NEXT) | instid1(VALU_DEP_1)
	v_mul_lo_u32 v7, v5, s12
	v_sub_nc_u32_e32 v3, v3, v7
	s_wait_kmcnt 0x0
	s_delay_alu instid0(VALU_DEP_1)
	v_mad_u32 v1, v3, s15, v1
	v_mad_u32 v0, v3, s14, v0
	v_mov_b32_e32 v3, v5
	s_cbranch_scc1 .LBB55_1152
; %bb.1153:
	s_delay_alu instid0(VALU_DEP_3)
	v_mov_b32_e32 v8, v1
.LBB55_1154:
	s_and_not1_b32 vcc_lo, exec_lo, s10
	s_cbranch_vccnz .LBB55_1157
; %bb.1155:
	s_clause 0x1
	s_load_b96 s[4:6], s[2:3], 0x4
	s_load_b64 s[0:1], s[2:3], 0xc4
	s_cmp_lt_u32 s28, 2
	s_wait_kmcnt 0x0
	v_mul_hi_u32 v0, s5, v9
	s_delay_alu instid0(VALU_DEP_1) | instskip(NEXT) | instid1(VALU_DEP_1)
	v_add_nc_u32_e32 v0, v9, v0
	v_lshrrev_b32_e32 v1, s6, v0
	s_delay_alu instid0(VALU_DEP_1) | instskip(NEXT) | instid1(VALU_DEP_1)
	v_mul_lo_u32 v0, v1, s4
	v_sub_nc_u32_e32 v0, v9, v0
	s_delay_alu instid0(VALU_DEP_1)
	v_mul_lo_u32 v8, v0, s1
	v_mul_lo_u32 v0, v0, s0
	s_cbranch_scc1 .LBB55_1157
; %bb.1156:
	s_clause 0x1
	s_load_b96 s[4:6], s[2:3], 0x10
	s_load_b64 s[0:1], s[2:3], 0xcc
	s_wait_kmcnt 0x0
	v_mul_hi_u32 v3, s5, v1
	s_delay_alu instid0(VALU_DEP_1) | instskip(NEXT) | instid1(VALU_DEP_1)
	v_add_nc_u32_e32 v3, v1, v3
	v_lshrrev_b32_e32 v3, s6, v3
	s_delay_alu instid0(VALU_DEP_1) | instskip(NEXT) | instid1(VALU_DEP_1)
	v_mul_lo_u32 v3, v3, s4
	v_sub_nc_u32_e32 v1, v1, v3
	s_delay_alu instid0(VALU_DEP_1)
	v_mad_u32 v0, v1, s0, v0
	v_mad_u32 v8, v1, s1, v8
.LBB55_1157:
	v_mov_b32_e32 v15, 0
	s_load_b128 s[4:7], s[2:3], 0x148
	global_load_u8 v1, v15, s[2:3] offset:346
	s_wait_kmcnt 0x0
	v_add_nc_u64_e32 v[14:15], s[6:7], v[14:15]
	s_wait_loadcnt 0x0
	v_and_b32_e32 v3, 0xffff, v1
	v_readfirstlane_b32 s0, v1
	s_delay_alu instid0(VALU_DEP_2)
	v_cmp_gt_i32_e32 vcc_lo, 11, v3
	s_cbranch_vccnz .LBB55_1164
; %bb.1158:
	s_and_b32 s1, 0xffff, s0
	s_mov_b32 s11, 0
	s_cmp_gt_i32 s1, 25
	s_cbranch_scc0 .LBB55_1166
; %bb.1159:
	s_cmp_gt_i32 s1, 28
	s_cbranch_scc0 .LBB55_1167
; %bb.1160:
	;; [unrolled: 3-line block ×4, first 2 shown]
	s_cmp_eq_u32 s1, 46
	s_mov_b32 s13, 0
	s_cbranch_scc0 .LBB55_1172
; %bb.1163:
	global_load_b32 v1, v[14:15], off
	s_mov_b32 s10, 0
	s_mov_b32 s12, -1
	s_wait_loadcnt 0x0
	v_lshlrev_b32_e32 v1, 16, v1
	s_delay_alu instid0(VALU_DEP_1)
	v_cvt_f16_f32_e32 v1, v1
	s_branch .LBB55_1174
.LBB55_1164:
	s_mov_b32 s12, 0
	s_mov_b32 s10, s8
                                        ; implicit-def: $vgpr1
	s_cbranch_execnz .LBB55_1237
.LBB55_1165:
	s_and_not1_b32 vcc_lo, exec_lo, s12
	s_cbranch_vccz .LBB55_1282
	s_branch .LBB55_2106
.LBB55_1166:
	s_mov_b32 s12, 0
	s_mov_b32 s10, 0
                                        ; implicit-def: $vgpr1
	s_cbranch_execnz .LBB55_1202
	s_branch .LBB55_1233
.LBB55_1167:
	s_mov_b32 s13, -1
	s_mov_b32 s12, 0
	s_mov_b32 s10, 0
                                        ; implicit-def: $vgpr1
	s_branch .LBB55_1183
.LBB55_1168:
	s_mov_b32 s12, 0
	s_mov_b32 s10, 0
                                        ; implicit-def: $vgpr1
	s_cbranch_execnz .LBB55_1179
	s_branch .LBB55_1182
.LBB55_1169:
	s_mov_b32 s13, -1
	s_mov_b32 s12, 0
	s_mov_b32 s10, 0
	s_branch .LBB55_1173
.LBB55_1170:
	s_and_not1_saveexec_b32 s10, s10
	s_cbranch_execz .LBB55_1009
.LBB55_1171:
	v_add_f32_e32 v2, 0x46000000, v3
	s_and_not1_b32 s9, s9, exec_lo
	s_delay_alu instid0(VALU_DEP_1) | instskip(NEXT) | instid1(VALU_DEP_1)
	v_and_b32_e32 v2, 0xff, v2
	v_cmp_ne_u32_e32 vcc_lo, 0, v2
	s_and_b32 s11, vcc_lo, exec_lo
	s_delay_alu instid0(SALU_CYCLE_1)
	s_or_b32 s9, s9, s11
	s_or_b32 exec_lo, exec_lo, s10
	v_mov_b32_e32 v4, 0
	s_and_saveexec_b32 s10, s9
	s_cbranch_execnz .LBB55_1010
	s_branch .LBB55_1011
.LBB55_1172:
	s_mov_b32 s10, -1
	s_mov_b32 s12, 0
.LBB55_1173:
                                        ; implicit-def: $vgpr1
.LBB55_1174:
	s_and_b32 vcc_lo, exec_lo, s13
	s_cbranch_vccz .LBB55_1177
; %bb.1175:
	s_cmp_eq_u32 s1, 44
	s_cbranch_scc0 .LBB55_1178
; %bb.1176:
	global_load_u8 v1, v[14:15], off
	s_mov_b32 s10, 0
	s_mov_b32 s12, -1
	s_wait_loadcnt 0x0
	v_lshlrev_b32_e32 v3, 23, v1
	v_cmp_ne_u32_e32 vcc_lo, 0xff, v1
	s_delay_alu instid0(VALU_DEP_2) | instskip(NEXT) | instid1(VALU_DEP_1)
	v_cvt_f16_f32_e32 v3, v3
	v_cndmask_b32_e32 v3, 0x7e00, v3, vcc_lo
	v_cmp_ne_u32_e32 vcc_lo, 0, v1
	s_delay_alu instid0(VALU_DEP_2)
	v_cndmask_b32_e32 v1, 0, v3, vcc_lo
.LBB55_1177:
	s_branch .LBB55_1182
.LBB55_1178:
	s_mov_b32 s10, -1
                                        ; implicit-def: $vgpr1
	s_branch .LBB55_1182
.LBB55_1179:
	s_cmp_eq_u32 s1, 29
	s_cbranch_scc0 .LBB55_1181
; %bb.1180:
	global_load_b64 v[16:17], v[14:15], off
	s_mov_b32 s10, 0
	s_mov_b32 s12, -1
	s_mov_b32 s13, 0
	s_wait_loadcnt 0x0
	v_clz_i32_u32_e32 v1, v17
	s_delay_alu instid0(VALU_DEP_1) | instskip(NEXT) | instid1(VALU_DEP_1)
	v_min_u32_e32 v1, 32, v1
	v_lshlrev_b64_e32 v[16:17], v1, v[16:17]
	v_sub_nc_u32_e32 v1, 32, v1
	s_delay_alu instid0(VALU_DEP_2) | instskip(NEXT) | instid1(VALU_DEP_1)
	v_min_u32_e32 v3, 1, v16
	v_or_b32_e32 v3, v17, v3
	s_delay_alu instid0(VALU_DEP_1) | instskip(NEXT) | instid1(VALU_DEP_1)
	v_cvt_f32_u32_e32 v3, v3
	v_ldexp_f32 v1, v3, v1
	s_delay_alu instid0(VALU_DEP_1)
	v_cvt_f16_f32_e32 v1, v1
	s_branch .LBB55_1183
.LBB55_1181:
	s_mov_b32 s10, -1
                                        ; implicit-def: $vgpr1
.LBB55_1182:
	s_mov_b32 s13, 0
.LBB55_1183:
	s_delay_alu instid0(SALU_CYCLE_1)
	s_and_b32 vcc_lo, exec_lo, s13
	s_cbranch_vccz .LBB55_1201
; %bb.1184:
	s_cmp_lt_i32 s1, 27
	s_cbranch_scc1 .LBB55_1187
; %bb.1185:
	s_cmp_gt_i32 s1, 27
	s_cbranch_scc0 .LBB55_1188
; %bb.1186:
	global_load_b32 v1, v[14:15], off
	s_mov_b32 s12, 0
	s_wait_loadcnt 0x0
	v_cvt_f32_u32_e32 v1, v1
	s_delay_alu instid0(VALU_DEP_1)
	v_cvt_f16_f32_e32 v1, v1
	s_branch .LBB55_1189
.LBB55_1187:
	s_mov_b32 s12, -1
                                        ; implicit-def: $vgpr1
	s_branch .LBB55_1192
.LBB55_1188:
	s_mov_b32 s12, -1
                                        ; implicit-def: $vgpr1
.LBB55_1189:
	s_delay_alu instid0(SALU_CYCLE_1)
	s_and_not1_b32 vcc_lo, exec_lo, s12
	s_cbranch_vccnz .LBB55_1191
; %bb.1190:
	global_load_u16 v1, v[14:15], off
	s_wait_loadcnt 0x0
	v_cvt_f16_u16_e32 v1, v1
.LBB55_1191:
	s_mov_b32 s12, 0
.LBB55_1192:
	s_delay_alu instid0(SALU_CYCLE_1)
	s_and_not1_b32 vcc_lo, exec_lo, s12
	s_cbranch_vccnz .LBB55_1200
; %bb.1193:
	global_load_u8 v3, v[14:15], off
	s_mov_b32 s12, 0
	s_mov_b32 s13, exec_lo
	s_wait_loadcnt 0x0
	v_cmpx_lt_i16_e32 0x7f, v3
	s_xor_b32 s13, exec_lo, s13
	s_cbranch_execz .LBB55_1213
; %bb.1194:
	s_mov_b32 s12, -1
	s_mov_b32 s14, exec_lo
	v_cmpx_eq_u16_e32 0x80, v3
; %bb.1195:
	s_xor_b32 s12, exec_lo, -1
; %bb.1196:
	s_or_b32 exec_lo, exec_lo, s14
	s_delay_alu instid0(SALU_CYCLE_1)
	s_and_b32 s12, s12, exec_lo
	s_or_saveexec_b32 s13, s13
	v_mov_b32_e32 v1, 0x7e00
	s_xor_b32 exec_lo, exec_lo, s13
	s_cbranch_execnz .LBB55_1214
.LBB55_1197:
	s_or_b32 exec_lo, exec_lo, s13
	s_and_saveexec_b32 s13, s12
	s_cbranch_execz .LBB55_1199
.LBB55_1198:
	v_and_b32_e32 v1, 0xffff, v3
	s_delay_alu instid0(VALU_DEP_1) | instskip(SKIP_1) | instid1(VALU_DEP_2)
	v_and_b32_e32 v5, 7, v1
	v_bfe_u32 v11, v1, 3, 4
	v_clz_i32_u32_e32 v7, v5
	s_delay_alu instid0(VALU_DEP_2) | instskip(NEXT) | instid1(VALU_DEP_2)
	v_cmp_eq_u32_e32 vcc_lo, 0, v11
	v_min_u32_e32 v7, 32, v7
	s_delay_alu instid0(VALU_DEP_1) | instskip(NEXT) | instid1(VALU_DEP_1)
	v_subrev_nc_u32_e32 v9, 28, v7
	v_dual_lshlrev_b32 v1, v9, v1 :: v_dual_sub_nc_u32 v7, 29, v7
	s_delay_alu instid0(VALU_DEP_1) | instskip(NEXT) | instid1(VALU_DEP_1)
	v_dual_lshlrev_b32 v3, 24, v3 :: v_dual_bitop2_b32 v1, 7, v1 bitop3:0x40
	v_dual_cndmask_b32 v1, v5, v1, vcc_lo :: v_dual_cndmask_b32 v7, v11, v7, vcc_lo
	s_delay_alu instid0(VALU_DEP_2) | instskip(NEXT) | instid1(VALU_DEP_2)
	v_and_b32_e32 v3, 0x80000000, v3
	v_lshlrev_b32_e32 v1, 20, v1
	s_delay_alu instid0(VALU_DEP_3) | instskip(NEXT) | instid1(VALU_DEP_1)
	v_lshl_add_u32 v5, v7, 23, 0x3b800000
	v_or3_b32 v1, v3, v5, v1
	s_delay_alu instid0(VALU_DEP_1)
	v_cvt_f16_f32_e32 v1, v1
.LBB55_1199:
	s_or_b32 exec_lo, exec_lo, s13
.LBB55_1200:
	s_mov_b32 s12, -1
.LBB55_1201:
	s_branch .LBB55_1233
.LBB55_1202:
	s_cmp_gt_i32 s1, 22
	s_cbranch_scc0 .LBB55_1212
; %bb.1203:
	s_cmp_lt_i32 s1, 24
	s_cbranch_scc1 .LBB55_1215
; %bb.1204:
	s_cmp_gt_i32 s1, 24
	s_cbranch_scc0 .LBB55_1216
; %bb.1205:
	global_load_u8 v3, v[14:15], off
	s_mov_b32 s12, exec_lo
	s_wait_loadcnt 0x0
	v_cmpx_lt_i16_e32 0x7f, v3
	s_xor_b32 s12, exec_lo, s12
	s_cbranch_execz .LBB55_1227
; %bb.1206:
	s_mov_b32 s11, -1
	s_mov_b32 s13, exec_lo
	v_cmpx_eq_u16_e32 0x80, v3
; %bb.1207:
	s_xor_b32 s11, exec_lo, -1
; %bb.1208:
	s_or_b32 exec_lo, exec_lo, s13
	s_delay_alu instid0(SALU_CYCLE_1)
	s_and_b32 s11, s11, exec_lo
	s_or_saveexec_b32 s12, s12
	v_mov_b32_e32 v1, 0x7e00
	s_xor_b32 exec_lo, exec_lo, s12
	s_cbranch_execnz .LBB55_1228
.LBB55_1209:
	s_or_b32 exec_lo, exec_lo, s12
	s_and_saveexec_b32 s12, s11
	s_cbranch_execz .LBB55_1211
.LBB55_1210:
	v_and_b32_e32 v1, 0xffff, v3
	s_delay_alu instid0(VALU_DEP_1) | instskip(SKIP_1) | instid1(VALU_DEP_2)
	v_and_b32_e32 v5, 3, v1
	v_bfe_u32 v11, v1, 2, 5
	v_clz_i32_u32_e32 v7, v5
	s_delay_alu instid0(VALU_DEP_2) | instskip(NEXT) | instid1(VALU_DEP_2)
	v_cmp_eq_u32_e32 vcc_lo, 0, v11
	v_min_u32_e32 v7, 32, v7
	s_delay_alu instid0(VALU_DEP_1) | instskip(NEXT) | instid1(VALU_DEP_1)
	v_subrev_nc_u32_e32 v9, 29, v7
	v_dual_lshlrev_b32 v1, v9, v1 :: v_dual_sub_nc_u32 v7, 30, v7
	s_delay_alu instid0(VALU_DEP_1) | instskip(NEXT) | instid1(VALU_DEP_1)
	v_dual_lshlrev_b32 v3, 24, v3 :: v_dual_bitop2_b32 v1, 3, v1 bitop3:0x40
	v_dual_cndmask_b32 v1, v5, v1, vcc_lo :: v_dual_cndmask_b32 v7, v11, v7, vcc_lo
	s_delay_alu instid0(VALU_DEP_2) | instskip(NEXT) | instid1(VALU_DEP_2)
	v_and_b32_e32 v3, 0x80000000, v3
	v_lshlrev_b32_e32 v1, 21, v1
	s_delay_alu instid0(VALU_DEP_3) | instskip(NEXT) | instid1(VALU_DEP_1)
	v_lshl_add_u32 v5, v7, 23, 0x37800000
	v_or3_b32 v1, v3, v5, v1
	s_delay_alu instid0(VALU_DEP_1)
	v_cvt_f16_f32_e32 v1, v1
.LBB55_1211:
	s_or_b32 exec_lo, exec_lo, s12
	s_mov_b32 s11, 0
	s_branch .LBB55_1217
.LBB55_1212:
                                        ; implicit-def: $vgpr1
	s_mov_b32 s11, 0
	s_branch .LBB55_1223
.LBB55_1213:
	s_or_saveexec_b32 s13, s13
	v_mov_b32_e32 v1, 0x7e00
	s_xor_b32 exec_lo, exec_lo, s13
	s_cbranch_execz .LBB55_1197
.LBB55_1214:
	v_cmp_ne_u16_e32 vcc_lo, 0, v3
	v_mov_b32_e32 v1, v3
	s_and_not1_b32 s12, s12, exec_lo
	s_and_b32 s14, vcc_lo, exec_lo
	s_delay_alu instid0(SALU_CYCLE_1)
	s_or_b32 s12, s12, s14
	s_or_b32 exec_lo, exec_lo, s13
	s_and_saveexec_b32 s13, s12
	s_cbranch_execnz .LBB55_1198
	s_branch .LBB55_1199
.LBB55_1215:
	s_mov_b32 s11, -1
                                        ; implicit-def: $vgpr1
	s_branch .LBB55_1220
.LBB55_1216:
	s_mov_b32 s11, -1
                                        ; implicit-def: $vgpr1
.LBB55_1217:
	s_delay_alu instid0(SALU_CYCLE_1)
	s_and_b32 vcc_lo, exec_lo, s11
	s_cbranch_vccz .LBB55_1219
; %bb.1218:
	global_load_u8 v1, v[14:15], off
	s_wait_loadcnt 0x0
	v_lshlrev_b32_e32 v1, 24, v1
	s_delay_alu instid0(VALU_DEP_1) | instskip(NEXT) | instid1(VALU_DEP_1)
	v_and_b32_e32 v3, 0x7f000000, v1
	v_clz_i32_u32_e32 v5, v3
	v_add_nc_u32_e32 v9, 0x1000000, v3
	v_cmp_ne_u32_e32 vcc_lo, 0, v3
	s_delay_alu instid0(VALU_DEP_3) | instskip(NEXT) | instid1(VALU_DEP_1)
	v_min_u32_e32 v5, 32, v5
	v_sub_nc_u32_e64 v5, v5, 4 clamp
	s_delay_alu instid0(VALU_DEP_1) | instskip(NEXT) | instid1(VALU_DEP_1)
	v_dual_lshlrev_b32 v7, v5, v3 :: v_dual_lshlrev_b32 v5, 23, v5
	v_lshrrev_b32_e32 v7, 4, v7
	s_delay_alu instid0(VALU_DEP_1) | instskip(SKIP_1) | instid1(VALU_DEP_2)
	v_sub_nc_u32_e32 v5, v7, v5
	v_ashrrev_i32_e32 v7, 8, v9
	v_add_nc_u32_e32 v5, 0x3c000000, v5
	s_delay_alu instid0(VALU_DEP_1) | instskip(NEXT) | instid1(VALU_DEP_1)
	v_and_or_b32 v5, 0x7f800000, v7, v5
	v_cndmask_b32_e32 v3, 0, v5, vcc_lo
	s_delay_alu instid0(VALU_DEP_1) | instskip(NEXT) | instid1(VALU_DEP_1)
	v_and_or_b32 v1, 0x80000000, v1, v3
	v_cvt_f16_f32_e32 v1, v1
.LBB55_1219:
	s_mov_b32 s11, 0
.LBB55_1220:
	s_delay_alu instid0(SALU_CYCLE_1)
	s_and_not1_b32 vcc_lo, exec_lo, s11
	s_cbranch_vccnz .LBB55_1222
; %bb.1221:
	global_load_u8 v1, v[14:15], off
	s_wait_loadcnt 0x0
	v_lshlrev_b32_e32 v3, 25, v1
	v_lshlrev_b16 v1, 8, v1
	s_delay_alu instid0(VALU_DEP_1) | instskip(SKIP_1) | instid1(VALU_DEP_2)
	v_and_or_b32 v7, 0x7f00, v1, 0.5
	v_bfe_i32 v1, v1, 0, 16
	v_add_f32_e32 v7, -0.5, v7
	v_lshrrev_b32_e32 v5, 4, v3
	v_cmp_gt_u32_e32 vcc_lo, 0x8000000, v3
	s_delay_alu instid0(VALU_DEP_2) | instskip(NEXT) | instid1(VALU_DEP_1)
	v_or_b32_e32 v5, 0x70000000, v5
	v_mul_f32_e32 v5, 0x7800000, v5
	s_delay_alu instid0(VALU_DEP_1) | instskip(NEXT) | instid1(VALU_DEP_1)
	v_cndmask_b32_e32 v3, v5, v7, vcc_lo
	v_and_or_b32 v1, 0x80000000, v1, v3
	s_delay_alu instid0(VALU_DEP_1)
	v_cvt_f16_f32_e32 v1, v1
.LBB55_1222:
	s_mov_b32 s12, -1
	s_mov_b32 s11, 0
	s_cbranch_execnz .LBB55_1233
.LBB55_1223:
	s_cmp_gt_i32 s1, 14
	s_cbranch_scc0 .LBB55_1226
; %bb.1224:
	s_cmp_eq_u32 s1, 15
	s_cbranch_scc0 .LBB55_1229
; %bb.1225:
	global_load_u16 v1, v[14:15], off
	s_mov_b32 s10, 0
	s_mov_b32 s12, -1
	s_wait_loadcnt 0x0
	v_lshlrev_b32_e32 v1, 16, v1
	s_delay_alu instid0(VALU_DEP_1)
	v_cvt_f16_f32_e32 v1, v1
	s_branch .LBB55_1231
.LBB55_1226:
	s_mov_b32 s11, -1
	s_branch .LBB55_1230
.LBB55_1227:
	s_or_saveexec_b32 s12, s12
	v_mov_b32_e32 v1, 0x7e00
	s_xor_b32 exec_lo, exec_lo, s12
	s_cbranch_execz .LBB55_1209
.LBB55_1228:
	v_cmp_ne_u16_e32 vcc_lo, 0, v3
	v_mov_b32_e32 v1, v3
	s_and_not1_b32 s11, s11, exec_lo
	s_and_b32 s13, vcc_lo, exec_lo
	s_delay_alu instid0(SALU_CYCLE_1)
	s_or_b32 s11, s11, s13
	s_or_b32 exec_lo, exec_lo, s12
	s_and_saveexec_b32 s12, s11
	s_cbranch_execnz .LBB55_1210
	s_branch .LBB55_1211
.LBB55_1229:
	s_mov_b32 s10, -1
.LBB55_1230:
                                        ; implicit-def: $vgpr1
.LBB55_1231:
	s_and_b32 vcc_lo, exec_lo, s11
	s_mov_b32 s11, 0
	s_cbranch_vccz .LBB55_1233
; %bb.1232:
	s_cmp_lg_u32 s1, 11
	s_mov_b32 s11, -1
	s_cselect_b32 s10, -1, 0
.LBB55_1233:
	s_delay_alu instid0(SALU_CYCLE_1)
	s_and_b32 vcc_lo, exec_lo, s10
	s_mov_b32 s10, s8
	s_cbranch_vccnz .LBB55_1294
; %bb.1234:
	s_and_not1_b32 vcc_lo, exec_lo, s11
	s_cbranch_vccnz .LBB55_1236
.LBB55_1235:
	global_load_u8 v1, v[14:15], off
	s_mov_b32 s12, -1
	s_wait_loadcnt 0x0
	v_cmp_ne_u16_e32 vcc_lo, 0, v1
	v_cndmask_b32_e64 v1, 0, 0x3c00, vcc_lo
.LBB55_1236:
	s_branch .LBB55_1165
.LBB55_1237:
	s_and_b32 s1, 0xffff, s0
	s_delay_alu instid0(SALU_CYCLE_1)
	s_cmp_lt_i32 s1, 5
	s_cbranch_scc1 .LBB55_1242
; %bb.1238:
	s_cmp_lt_i32 s1, 8
	s_cbranch_scc1 .LBB55_1243
; %bb.1239:
	;; [unrolled: 3-line block ×3, first 2 shown]
	s_cmp_gt_i32 s1, 9
	s_cbranch_scc0 .LBB55_1245
; %bb.1241:
	global_load_b64 v[16:17], v[14:15], off
	s_mov_b32 s11, 0
	s_wait_loadcnt 0x0
	v_and_or_b32 v1, 0x1ff, v17, v16
	v_lshrrev_b32_e32 v3, 8, v17
	v_bfe_u32 v5, v17, 20, 11
	s_delay_alu instid0(VALU_DEP_3) | instskip(NEXT) | instid1(VALU_DEP_2)
	v_cmp_ne_u32_e32 vcc_lo, 0, v1
	v_sub_nc_u32_e32 v7, 0x3f1, v5
	v_add_nc_u32_e32 v5, 0xfffffc10, v5
	v_cndmask_b32_e64 v1, 0, 1, vcc_lo
	s_delay_alu instid0(VALU_DEP_1) | instskip(NEXT) | instid1(VALU_DEP_4)
	v_and_or_b32 v1, 0xffe, v3, v1
	v_med3_i32 v3, v7, 0, 13
	s_delay_alu instid0(VALU_DEP_2) | instskip(NEXT) | instid1(VALU_DEP_1)
	v_or_b32_e32 v7, 0x1000, v1
	v_lshrrev_b32_e32 v9, v3, v7
	s_delay_alu instid0(VALU_DEP_1) | instskip(NEXT) | instid1(VALU_DEP_1)
	v_lshlrev_b32_e32 v3, v3, v9
	v_cmp_ne_u32_e32 vcc_lo, v3, v7
	v_lshl_or_b32 v7, v5, 12, v1
	v_cndmask_b32_e64 v3, 0, 1, vcc_lo
	v_cmp_gt_i32_e32 vcc_lo, 1, v5
	s_delay_alu instid0(VALU_DEP_2) | instskip(NEXT) | instid1(VALU_DEP_1)
	v_or_b32_e32 v3, v9, v3
	v_cndmask_b32_e32 v3, v7, v3, vcc_lo
	s_delay_alu instid0(VALU_DEP_1) | instskip(NEXT) | instid1(VALU_DEP_1)
	v_and_b32_e32 v7, 7, v3
	v_cmp_lt_i32_e32 vcc_lo, 5, v7
	v_cndmask_b32_e64 v9, 0, 1, vcc_lo
	v_cmp_eq_u32_e32 vcc_lo, 3, v7
	v_cndmask_b32_e64 v7, 0, 1, vcc_lo
	v_cmp_ne_u32_e32 vcc_lo, 0, v1
	s_delay_alu instid0(VALU_DEP_2) | instskip(SKIP_1) | instid1(VALU_DEP_2)
	v_dual_lshrrev_b32 v3, 2, v3 :: v_dual_bitop2_b32 v7, v7, v9 bitop3:0x54
	v_mov_b32_e32 v9, 0x7e00
	v_add_nc_u32_e32 v3, v3, v7
	s_delay_alu instid0(VALU_DEP_2) | instskip(SKIP_1) | instid1(VALU_DEP_3)
	v_cndmask_b32_e32 v1, 0x7c00, v9, vcc_lo
	v_cmp_gt_i32_e32 vcc_lo, 31, v5
	v_cndmask_b32_e32 v3, 0x7c00, v3, vcc_lo
	v_cmp_eq_u32_e32 vcc_lo, 0x40f, v5
	s_delay_alu instid0(VALU_DEP_2) | instskip(SKIP_1) | instid1(VALU_DEP_1)
	v_cndmask_b32_e32 v1, v3, v1, vcc_lo
	v_lshrrev_b32_e32 v3, 16, v17
	v_and_or_b32 v1, 0x8000, v3, v1
	s_branch .LBB55_1246
.LBB55_1242:
                                        ; implicit-def: $vgpr1
	s_branch .LBB55_1263
.LBB55_1243:
                                        ; implicit-def: $vgpr1
	s_branch .LBB55_1252
.LBB55_1244:
	s_mov_b32 s11, -1
                                        ; implicit-def: $vgpr1
	s_branch .LBB55_1249
.LBB55_1245:
	s_mov_b32 s11, -1
                                        ; implicit-def: $vgpr1
.LBB55_1246:
	s_delay_alu instid0(SALU_CYCLE_1)
	s_and_not1_b32 vcc_lo, exec_lo, s11
	s_cbranch_vccnz .LBB55_1248
; %bb.1247:
	global_load_b32 v1, v[14:15], off
	s_wait_loadcnt 0x0
	v_cvt_f16_f32_e32 v1, v1
.LBB55_1248:
	s_mov_b32 s11, 0
.LBB55_1249:
	s_delay_alu instid0(SALU_CYCLE_1)
	s_and_not1_b32 vcc_lo, exec_lo, s11
	s_cbranch_vccnz .LBB55_1251
; %bb.1250:
	global_load_b32 v1, v[14:15], off
.LBB55_1251:
	s_cbranch_execnz .LBB55_1262
.LBB55_1252:
	s_cmp_lt_i32 s1, 6
	s_cbranch_scc1 .LBB55_1255
; %bb.1253:
	s_cmp_gt_i32 s1, 6
	s_cbranch_scc0 .LBB55_1256
; %bb.1254:
	global_load_b64 v[16:17], v[14:15], off
	s_mov_b32 s11, 0
	s_wait_loadcnt 0x0
	v_and_or_b32 v1, 0x1ff, v17, v16
	v_lshrrev_b32_e32 v3, 8, v17
	v_bfe_u32 v5, v17, 20, 11
	s_delay_alu instid0(VALU_DEP_3) | instskip(NEXT) | instid1(VALU_DEP_2)
	v_cmp_ne_u32_e32 vcc_lo, 0, v1
	v_sub_nc_u32_e32 v7, 0x3f1, v5
	v_add_nc_u32_e32 v5, 0xfffffc10, v5
	v_cndmask_b32_e64 v1, 0, 1, vcc_lo
	s_delay_alu instid0(VALU_DEP_1) | instskip(NEXT) | instid1(VALU_DEP_4)
	v_and_or_b32 v1, 0xffe, v3, v1
	v_med3_i32 v3, v7, 0, 13
	s_delay_alu instid0(VALU_DEP_2) | instskip(NEXT) | instid1(VALU_DEP_1)
	v_or_b32_e32 v7, 0x1000, v1
	v_lshrrev_b32_e32 v9, v3, v7
	s_delay_alu instid0(VALU_DEP_1) | instskip(NEXT) | instid1(VALU_DEP_1)
	v_lshlrev_b32_e32 v3, v3, v9
	v_cmp_ne_u32_e32 vcc_lo, v3, v7
	v_lshl_or_b32 v7, v5, 12, v1
	v_cndmask_b32_e64 v3, 0, 1, vcc_lo
	v_cmp_gt_i32_e32 vcc_lo, 1, v5
	s_delay_alu instid0(VALU_DEP_2) | instskip(NEXT) | instid1(VALU_DEP_1)
	v_or_b32_e32 v3, v9, v3
	v_cndmask_b32_e32 v3, v7, v3, vcc_lo
	s_delay_alu instid0(VALU_DEP_1) | instskip(NEXT) | instid1(VALU_DEP_1)
	v_and_b32_e32 v7, 7, v3
	v_cmp_lt_i32_e32 vcc_lo, 5, v7
	v_cndmask_b32_e64 v9, 0, 1, vcc_lo
	v_cmp_eq_u32_e32 vcc_lo, 3, v7
	v_cndmask_b32_e64 v7, 0, 1, vcc_lo
	v_cmp_ne_u32_e32 vcc_lo, 0, v1
	s_delay_alu instid0(VALU_DEP_2) | instskip(SKIP_1) | instid1(VALU_DEP_2)
	v_dual_lshrrev_b32 v3, 2, v3 :: v_dual_bitop2_b32 v7, v7, v9 bitop3:0x54
	v_mov_b32_e32 v9, 0x7e00
	v_add_nc_u32_e32 v3, v3, v7
	s_delay_alu instid0(VALU_DEP_2) | instskip(SKIP_1) | instid1(VALU_DEP_3)
	v_cndmask_b32_e32 v1, 0x7c00, v9, vcc_lo
	v_cmp_gt_i32_e32 vcc_lo, 31, v5
	v_cndmask_b32_e32 v3, 0x7c00, v3, vcc_lo
	v_cmp_eq_u32_e32 vcc_lo, 0x40f, v5
	s_delay_alu instid0(VALU_DEP_2) | instskip(SKIP_1) | instid1(VALU_DEP_1)
	v_cndmask_b32_e32 v1, v3, v1, vcc_lo
	v_lshrrev_b32_e32 v3, 16, v17
	v_and_or_b32 v1, 0x8000, v3, v1
	s_branch .LBB55_1257
.LBB55_1255:
	s_mov_b32 s11, -1
                                        ; implicit-def: $vgpr1
	s_branch .LBB55_1260
.LBB55_1256:
	s_mov_b32 s11, -1
                                        ; implicit-def: $vgpr1
.LBB55_1257:
	s_delay_alu instid0(SALU_CYCLE_1)
	s_and_not1_b32 vcc_lo, exec_lo, s11
	s_cbranch_vccnz .LBB55_1259
; %bb.1258:
	s_wait_loadcnt 0x0
	global_load_b32 v1, v[14:15], off
	s_wait_loadcnt 0x0
	v_cvt_f16_f32_e32 v1, v1
.LBB55_1259:
	s_mov_b32 s11, 0
.LBB55_1260:
	s_delay_alu instid0(SALU_CYCLE_1)
	s_and_not1_b32 vcc_lo, exec_lo, s11
	s_cbranch_vccnz .LBB55_1262
; %bb.1261:
	s_wait_loadcnt 0x0
	global_load_u16 v1, v[14:15], off
.LBB55_1262:
	s_cbranch_execnz .LBB55_1281
.LBB55_1263:
	s_cmp_lt_i32 s1, 2
	s_cbranch_scc1 .LBB55_1267
; %bb.1264:
	s_cmp_lt_i32 s1, 3
	s_cbranch_scc1 .LBB55_1268
; %bb.1265:
	s_cmp_gt_i32 s1, 3
	s_cbranch_scc0 .LBB55_1269
; %bb.1266:
	global_load_b64 v[16:17], v[14:15], off
	s_mov_b32 s11, 0
	s_wait_loadcnt 0x0
	v_xor_b32_e32 v1, v16, v17
	v_cls_i32_e32 v3, v17
	s_delay_alu instid0(VALU_DEP_2) | instskip(NEXT) | instid1(VALU_DEP_1)
	v_ashrrev_i32_e32 v1, 31, v1
	v_add_nc_u32_e32 v1, 32, v1
	s_delay_alu instid0(VALU_DEP_1) | instskip(NEXT) | instid1(VALU_DEP_1)
	v_add_min_u32_e64 v1, v3, -1, v1
	v_lshlrev_b64_e32 v[16:17], v1, v[16:17]
	v_sub_nc_u32_e32 v1, 32, v1
	s_delay_alu instid0(VALU_DEP_2) | instskip(NEXT) | instid1(VALU_DEP_1)
	v_min_u32_e32 v3, 1, v16
	v_or_b32_e32 v3, v17, v3
	s_delay_alu instid0(VALU_DEP_1) | instskip(NEXT) | instid1(VALU_DEP_1)
	v_cvt_f32_i32_e32 v3, v3
	v_ldexp_f32 v1, v3, v1
	s_delay_alu instid0(VALU_DEP_1)
	v_cvt_f16_f32_e32 v1, v1
	s_branch .LBB55_1270
.LBB55_1267:
                                        ; implicit-def: $vgpr1
	s_branch .LBB55_1276
.LBB55_1268:
	s_mov_b32 s11, -1
                                        ; implicit-def: $vgpr1
	s_branch .LBB55_1273
.LBB55_1269:
	s_mov_b32 s11, -1
                                        ; implicit-def: $vgpr1
.LBB55_1270:
	s_delay_alu instid0(SALU_CYCLE_1)
	s_and_not1_b32 vcc_lo, exec_lo, s11
	s_cbranch_vccnz .LBB55_1272
; %bb.1271:
	s_wait_loadcnt 0x0
	global_load_b32 v1, v[14:15], off
	s_wait_loadcnt 0x0
	v_cvt_f32_i32_e32 v1, v1
	s_delay_alu instid0(VALU_DEP_1)
	v_cvt_f16_f32_e32 v1, v1
.LBB55_1272:
	s_mov_b32 s11, 0
.LBB55_1273:
	s_delay_alu instid0(SALU_CYCLE_1)
	s_and_not1_b32 vcc_lo, exec_lo, s11
	s_cbranch_vccnz .LBB55_1275
; %bb.1274:
	s_wait_loadcnt 0x0
	global_load_u16 v1, v[14:15], off
	s_wait_loadcnt 0x0
	v_cvt_f16_i16_e32 v1, v1
.LBB55_1275:
	s_cbranch_execnz .LBB55_1281
.LBB55_1276:
	s_cmp_gt_i32 s1, 0
	s_mov_b32 s1, 0
	s_cbranch_scc0 .LBB55_1278
; %bb.1277:
	s_wait_loadcnt 0x0
	global_load_i8 v1, v[14:15], off
	s_wait_loadcnt 0x0
	v_cvt_f16_i16_e32 v1, v1
	s_branch .LBB55_1279
.LBB55_1278:
	s_mov_b32 s1, -1
                                        ; implicit-def: $vgpr1
.LBB55_1279:
	s_delay_alu instid0(SALU_CYCLE_1)
	s_and_not1_b32 vcc_lo, exec_lo, s1
	s_cbranch_vccnz .LBB55_1281
; %bb.1280:
	s_wait_loadcnt 0x0
	global_load_u8 v1, v[14:15], off
	s_wait_loadcnt 0x0
	v_cvt_f16_u16_e32 v1, v1
.LBB55_1281:
.LBB55_1282:
	v_mov_b32_e32 v13, 0
	s_and_b32 s0, 0xffff, s0
	s_delay_alu instid0(SALU_CYCLE_1) | instskip(NEXT) | instid1(VALU_DEP_1)
	s_cmp_lt_i32 s0, 11
	v_add_nc_u64_e32 v[12:13], s[6:7], v[12:13]
	s_cbranch_scc1 .LBB55_1289
; %bb.1283:
	s_cmp_gt_i32 s0, 25
	s_mov_b32 s11, 0
	s_cbranch_scc0 .LBB55_1291
; %bb.1284:
	s_cmp_gt_i32 s0, 28
	s_cbranch_scc0 .LBB55_1292
; %bb.1285:
	s_cmp_gt_i32 s0, 43
	;; [unrolled: 3-line block ×3, first 2 shown]
	s_cbranch_scc0 .LBB55_1295
; %bb.1287:
	s_cmp_eq_u32 s0, 46
	s_mov_b32 s13, 0
	s_cbranch_scc0 .LBB55_1298
; %bb.1288:
	global_load_b32 v3, v[12:13], off
	s_mov_b32 s1, 0
	s_mov_b32 s12, -1
	s_wait_loadcnt 0x0
	v_lshlrev_b32_e32 v3, 16, v3
	s_delay_alu instid0(VALU_DEP_1)
	v_cvt_f16_f32_e32 v3, v3
	s_branch .LBB55_1300
.LBB55_1289:
	s_mov_b32 s12, 0
                                        ; implicit-def: $vgpr3
	s_cbranch_execnz .LBB55_1365
.LBB55_1290:
	s_and_not1_b32 vcc_lo, exec_lo, s12
	s_cbranch_vccnz .LBB55_2106
	s_branch .LBB55_1412
.LBB55_1291:
	s_mov_b32 s12, 0
	s_mov_b32 s1, 0
                                        ; implicit-def: $vgpr3
	s_cbranch_execnz .LBB55_1329
	s_branch .LBB55_1361
.LBB55_1292:
	s_mov_b32 s13, -1
	s_mov_b32 s12, 0
	s_mov_b32 s1, 0
                                        ; implicit-def: $vgpr3
	s_branch .LBB55_1310
.LBB55_1293:
	s_mov_b32 s13, -1
	s_mov_b32 s12, 0
	s_mov_b32 s1, 0
                                        ; implicit-def: $vgpr3
	s_branch .LBB55_1305
.LBB55_1294:
	s_or_b32 s10, s8, exec_lo
	s_trap 2
	s_cbranch_execz .LBB55_1235
	s_branch .LBB55_1236
.LBB55_1295:
	s_mov_b32 s13, -1
	s_mov_b32 s12, 0
	s_mov_b32 s1, 0
	s_branch .LBB55_1299
.LBB55_1296:
	s_and_not1_saveexec_b32 s11, s11
	s_cbranch_execz .LBB55_1021
.LBB55_1297:
	v_add_f32_e32 v2, 0x42800000, v3
	s_and_not1_b32 s10, s10, exec_lo
	s_delay_alu instid0(VALU_DEP_1) | instskip(NEXT) | instid1(VALU_DEP_1)
	v_and_b32_e32 v2, 0xff, v2
	v_cmp_ne_u32_e32 vcc_lo, 0, v2
	s_and_b32 s12, vcc_lo, exec_lo
	s_delay_alu instid0(SALU_CYCLE_1)
	s_or_b32 s10, s10, s12
	s_or_b32 exec_lo, exec_lo, s11
	v_mov_b32_e32 v4, 0
	s_and_saveexec_b32 s11, s10
	s_cbranch_execnz .LBB55_1022
	s_branch .LBB55_1023
.LBB55_1298:
	s_mov_b32 s1, -1
	s_mov_b32 s12, 0
.LBB55_1299:
                                        ; implicit-def: $vgpr3
.LBB55_1300:
	s_and_b32 vcc_lo, exec_lo, s13
	s_cbranch_vccz .LBB55_1304
; %bb.1301:
	s_cmp_eq_u32 s0, 44
	s_cbranch_scc0 .LBB55_1303
; %bb.1302:
	global_load_u8 v3, v[12:13], off
	s_mov_b32 s1, 0
	s_mov_b32 s12, -1
	s_wait_loadcnt 0x0
	v_lshlrev_b32_e32 v5, 23, v3
	v_cmp_ne_u32_e32 vcc_lo, 0xff, v3
	s_delay_alu instid0(VALU_DEP_2) | instskip(NEXT) | instid1(VALU_DEP_1)
	v_cvt_f16_f32_e32 v5, v5
	v_cndmask_b32_e32 v5, 0x7e00, v5, vcc_lo
	v_cmp_ne_u32_e32 vcc_lo, 0, v3
	s_delay_alu instid0(VALU_DEP_2)
	v_cndmask_b32_e32 v3, 0, v5, vcc_lo
	s_branch .LBB55_1304
.LBB55_1303:
	s_mov_b32 s1, -1
                                        ; implicit-def: $vgpr3
.LBB55_1304:
	s_mov_b32 s13, 0
.LBB55_1305:
	s_delay_alu instid0(SALU_CYCLE_1)
	s_and_b32 vcc_lo, exec_lo, s13
	s_cbranch_vccz .LBB55_1309
; %bb.1306:
	s_cmp_eq_u32 s0, 29
	s_cbranch_scc0 .LBB55_1308
; %bb.1307:
	global_load_b64 v[14:15], v[12:13], off
	s_mov_b32 s1, 0
	s_mov_b32 s12, -1
	s_mov_b32 s13, 0
	s_wait_loadcnt 0x0
	v_clz_i32_u32_e32 v3, v15
	s_delay_alu instid0(VALU_DEP_1) | instskip(NEXT) | instid1(VALU_DEP_1)
	v_min_u32_e32 v3, 32, v3
	v_lshlrev_b64_e32 v[14:15], v3, v[14:15]
	v_sub_nc_u32_e32 v3, 32, v3
	s_delay_alu instid0(VALU_DEP_2) | instskip(NEXT) | instid1(VALU_DEP_1)
	v_min_u32_e32 v5, 1, v14
	v_or_b32_e32 v5, v15, v5
	s_delay_alu instid0(VALU_DEP_1) | instskip(NEXT) | instid1(VALU_DEP_1)
	v_cvt_f32_u32_e32 v5, v5
	v_ldexp_f32 v3, v5, v3
	s_delay_alu instid0(VALU_DEP_1)
	v_cvt_f16_f32_e32 v3, v3
	s_branch .LBB55_1310
.LBB55_1308:
	s_mov_b32 s1, -1
                                        ; implicit-def: $vgpr3
.LBB55_1309:
	s_mov_b32 s13, 0
.LBB55_1310:
	s_delay_alu instid0(SALU_CYCLE_1)
	s_and_b32 vcc_lo, exec_lo, s13
	s_cbranch_vccz .LBB55_1328
; %bb.1311:
	s_cmp_lt_i32 s0, 27
	s_cbranch_scc1 .LBB55_1314
; %bb.1312:
	s_cmp_gt_i32 s0, 27
	s_cbranch_scc0 .LBB55_1315
; %bb.1313:
	global_load_b32 v3, v[12:13], off
	s_mov_b32 s12, 0
	s_wait_loadcnt 0x0
	v_cvt_f32_u32_e32 v3, v3
	s_delay_alu instid0(VALU_DEP_1)
	v_cvt_f16_f32_e32 v3, v3
	s_branch .LBB55_1316
.LBB55_1314:
	s_mov_b32 s12, -1
                                        ; implicit-def: $vgpr3
	s_branch .LBB55_1319
.LBB55_1315:
	s_mov_b32 s12, -1
                                        ; implicit-def: $vgpr3
.LBB55_1316:
	s_delay_alu instid0(SALU_CYCLE_1)
	s_and_not1_b32 vcc_lo, exec_lo, s12
	s_cbranch_vccnz .LBB55_1318
; %bb.1317:
	global_load_u16 v3, v[12:13], off
	s_wait_loadcnt 0x0
	v_cvt_f16_u16_e32 v3, v3
.LBB55_1318:
	s_mov_b32 s12, 0
.LBB55_1319:
	s_delay_alu instid0(SALU_CYCLE_1)
	s_and_not1_b32 vcc_lo, exec_lo, s12
	s_cbranch_vccnz .LBB55_1327
; %bb.1320:
	global_load_u8 v5, v[12:13], off
	s_mov_b32 s12, 0
	s_mov_b32 s13, exec_lo
	s_wait_loadcnt 0x0
	v_cmpx_lt_i16_e32 0x7f, v5
	s_xor_b32 s13, exec_lo, s13
	s_cbranch_execz .LBB55_1340
; %bb.1321:
	s_mov_b32 s12, -1
	s_mov_b32 s14, exec_lo
	v_cmpx_eq_u16_e32 0x80, v5
; %bb.1322:
	s_xor_b32 s12, exec_lo, -1
; %bb.1323:
	s_or_b32 exec_lo, exec_lo, s14
	s_delay_alu instid0(SALU_CYCLE_1)
	s_and_b32 s12, s12, exec_lo
	s_or_saveexec_b32 s13, s13
	v_mov_b32_e32 v3, 0x7e00
	s_xor_b32 exec_lo, exec_lo, s13
	s_cbranch_execnz .LBB55_1341
.LBB55_1324:
	s_or_b32 exec_lo, exec_lo, s13
	s_and_saveexec_b32 s13, s12
	s_cbranch_execz .LBB55_1326
.LBB55_1325:
	v_and_b32_e32 v3, 0xffff, v5
	s_delay_alu instid0(VALU_DEP_1) | instskip(SKIP_1) | instid1(VALU_DEP_2)
	v_and_b32_e32 v7, 7, v3
	v_bfe_u32 v14, v3, 3, 4
	v_clz_i32_u32_e32 v9, v7
	s_delay_alu instid0(VALU_DEP_2) | instskip(NEXT) | instid1(VALU_DEP_2)
	v_cmp_eq_u32_e32 vcc_lo, 0, v14
	v_min_u32_e32 v9, 32, v9
	s_delay_alu instid0(VALU_DEP_1) | instskip(NEXT) | instid1(VALU_DEP_1)
	v_subrev_nc_u32_e32 v11, 28, v9
	v_dual_lshlrev_b32 v3, v11, v3 :: v_dual_sub_nc_u32 v9, 29, v9
	s_delay_alu instid0(VALU_DEP_1) | instskip(NEXT) | instid1(VALU_DEP_1)
	v_dual_lshlrev_b32 v5, 24, v5 :: v_dual_bitop2_b32 v3, 7, v3 bitop3:0x40
	v_dual_cndmask_b32 v3, v7, v3, vcc_lo :: v_dual_cndmask_b32 v9, v14, v9, vcc_lo
	s_delay_alu instid0(VALU_DEP_2) | instskip(NEXT) | instid1(VALU_DEP_2)
	v_and_b32_e32 v5, 0x80000000, v5
	v_lshlrev_b32_e32 v3, 20, v3
	s_delay_alu instid0(VALU_DEP_3) | instskip(NEXT) | instid1(VALU_DEP_1)
	v_lshl_add_u32 v7, v9, 23, 0x3b800000
	v_or3_b32 v3, v5, v7, v3
	s_delay_alu instid0(VALU_DEP_1)
	v_cvt_f16_f32_e32 v3, v3
.LBB55_1326:
	s_or_b32 exec_lo, exec_lo, s13
.LBB55_1327:
	s_mov_b32 s12, -1
.LBB55_1328:
	s_branch .LBB55_1361
.LBB55_1329:
	s_cmp_gt_i32 s0, 22
	s_cbranch_scc0 .LBB55_1339
; %bb.1330:
	s_cmp_lt_i32 s0, 24
	s_cbranch_scc1 .LBB55_1342
; %bb.1331:
	s_cmp_gt_i32 s0, 24
	s_cbranch_scc0 .LBB55_1343
; %bb.1332:
	global_load_u8 v5, v[12:13], off
	s_mov_b32 s12, exec_lo
	s_wait_loadcnt 0x0
	v_cmpx_lt_i16_e32 0x7f, v5
	s_xor_b32 s12, exec_lo, s12
	s_cbranch_execz .LBB55_1355
; %bb.1333:
	s_mov_b32 s11, -1
	s_mov_b32 s13, exec_lo
	v_cmpx_eq_u16_e32 0x80, v5
; %bb.1334:
	s_xor_b32 s11, exec_lo, -1
; %bb.1335:
	s_or_b32 exec_lo, exec_lo, s13
	s_delay_alu instid0(SALU_CYCLE_1)
	s_and_b32 s11, s11, exec_lo
	s_or_saveexec_b32 s12, s12
	v_mov_b32_e32 v3, 0x7e00
	s_xor_b32 exec_lo, exec_lo, s12
	s_cbranch_execnz .LBB55_1356
.LBB55_1336:
	s_or_b32 exec_lo, exec_lo, s12
	s_and_saveexec_b32 s12, s11
	s_cbranch_execz .LBB55_1338
.LBB55_1337:
	v_and_b32_e32 v3, 0xffff, v5
	s_delay_alu instid0(VALU_DEP_1) | instskip(SKIP_1) | instid1(VALU_DEP_2)
	v_and_b32_e32 v7, 3, v3
	v_bfe_u32 v14, v3, 2, 5
	v_clz_i32_u32_e32 v9, v7
	s_delay_alu instid0(VALU_DEP_2) | instskip(NEXT) | instid1(VALU_DEP_2)
	v_cmp_eq_u32_e32 vcc_lo, 0, v14
	v_min_u32_e32 v9, 32, v9
	s_delay_alu instid0(VALU_DEP_1) | instskip(NEXT) | instid1(VALU_DEP_1)
	v_subrev_nc_u32_e32 v11, 29, v9
	v_dual_lshlrev_b32 v3, v11, v3 :: v_dual_sub_nc_u32 v9, 30, v9
	s_delay_alu instid0(VALU_DEP_1) | instskip(NEXT) | instid1(VALU_DEP_1)
	v_dual_lshlrev_b32 v5, 24, v5 :: v_dual_bitop2_b32 v3, 3, v3 bitop3:0x40
	v_dual_cndmask_b32 v3, v7, v3, vcc_lo :: v_dual_cndmask_b32 v9, v14, v9, vcc_lo
	s_delay_alu instid0(VALU_DEP_2) | instskip(NEXT) | instid1(VALU_DEP_2)
	v_and_b32_e32 v5, 0x80000000, v5
	v_lshlrev_b32_e32 v3, 21, v3
	s_delay_alu instid0(VALU_DEP_3) | instskip(NEXT) | instid1(VALU_DEP_1)
	v_lshl_add_u32 v7, v9, 23, 0x37800000
	v_or3_b32 v3, v5, v7, v3
	s_delay_alu instid0(VALU_DEP_1)
	v_cvt_f16_f32_e32 v3, v3
.LBB55_1338:
	s_or_b32 exec_lo, exec_lo, s12
	s_mov_b32 s11, 0
	s_branch .LBB55_1344
.LBB55_1339:
	s_mov_b32 s11, -1
                                        ; implicit-def: $vgpr3
	s_branch .LBB55_1350
.LBB55_1340:
	s_or_saveexec_b32 s13, s13
	v_mov_b32_e32 v3, 0x7e00
	s_xor_b32 exec_lo, exec_lo, s13
	s_cbranch_execz .LBB55_1324
.LBB55_1341:
	v_cmp_ne_u16_e32 vcc_lo, 0, v5
	v_mov_b32_e32 v3, v5
	s_and_not1_b32 s12, s12, exec_lo
	s_and_b32 s14, vcc_lo, exec_lo
	s_delay_alu instid0(SALU_CYCLE_1)
	s_or_b32 s12, s12, s14
	s_or_b32 exec_lo, exec_lo, s13
	s_and_saveexec_b32 s13, s12
	s_cbranch_execnz .LBB55_1325
	s_branch .LBB55_1326
.LBB55_1342:
	s_mov_b32 s11, -1
                                        ; implicit-def: $vgpr3
	s_branch .LBB55_1347
.LBB55_1343:
	s_mov_b32 s11, -1
                                        ; implicit-def: $vgpr3
.LBB55_1344:
	s_delay_alu instid0(SALU_CYCLE_1)
	s_and_b32 vcc_lo, exec_lo, s11
	s_cbranch_vccz .LBB55_1346
; %bb.1345:
	global_load_u8 v3, v[12:13], off
	s_wait_loadcnt 0x0
	v_lshlrev_b32_e32 v3, 24, v3
	s_delay_alu instid0(VALU_DEP_1) | instskip(NEXT) | instid1(VALU_DEP_1)
	v_and_b32_e32 v5, 0x7f000000, v3
	v_clz_i32_u32_e32 v7, v5
	v_add_nc_u32_e32 v11, 0x1000000, v5
	v_cmp_ne_u32_e32 vcc_lo, 0, v5
	s_delay_alu instid0(VALU_DEP_3) | instskip(NEXT) | instid1(VALU_DEP_1)
	v_min_u32_e32 v7, 32, v7
	v_sub_nc_u32_e64 v7, v7, 4 clamp
	s_delay_alu instid0(VALU_DEP_1) | instskip(NEXT) | instid1(VALU_DEP_1)
	v_dual_lshlrev_b32 v9, v7, v5 :: v_dual_lshlrev_b32 v7, 23, v7
	v_lshrrev_b32_e32 v9, 4, v9
	s_delay_alu instid0(VALU_DEP_1) | instskip(SKIP_1) | instid1(VALU_DEP_2)
	v_sub_nc_u32_e32 v7, v9, v7
	v_ashrrev_i32_e32 v9, 8, v11
	v_add_nc_u32_e32 v7, 0x3c000000, v7
	s_delay_alu instid0(VALU_DEP_1) | instskip(NEXT) | instid1(VALU_DEP_1)
	v_and_or_b32 v7, 0x7f800000, v9, v7
	v_cndmask_b32_e32 v5, 0, v7, vcc_lo
	s_delay_alu instid0(VALU_DEP_1) | instskip(NEXT) | instid1(VALU_DEP_1)
	v_and_or_b32 v3, 0x80000000, v3, v5
	v_cvt_f16_f32_e32 v3, v3
.LBB55_1346:
	s_mov_b32 s11, 0
.LBB55_1347:
	s_delay_alu instid0(SALU_CYCLE_1)
	s_and_not1_b32 vcc_lo, exec_lo, s11
	s_cbranch_vccnz .LBB55_1349
; %bb.1348:
	global_load_u8 v3, v[12:13], off
	s_wait_loadcnt 0x0
	v_lshlrev_b32_e32 v5, 25, v3
	v_lshlrev_b16 v3, 8, v3
	s_delay_alu instid0(VALU_DEP_1) | instskip(SKIP_1) | instid1(VALU_DEP_2)
	v_and_or_b32 v9, 0x7f00, v3, 0.5
	v_bfe_i32 v3, v3, 0, 16
	v_add_f32_e32 v9, -0.5, v9
	v_lshrrev_b32_e32 v7, 4, v5
	v_cmp_gt_u32_e32 vcc_lo, 0x8000000, v5
	s_delay_alu instid0(VALU_DEP_2) | instskip(NEXT) | instid1(VALU_DEP_1)
	v_or_b32_e32 v7, 0x70000000, v7
	v_mul_f32_e32 v7, 0x7800000, v7
	s_delay_alu instid0(VALU_DEP_1) | instskip(NEXT) | instid1(VALU_DEP_1)
	v_cndmask_b32_e32 v5, v7, v9, vcc_lo
	v_and_or_b32 v3, 0x80000000, v3, v5
	s_delay_alu instid0(VALU_DEP_1)
	v_cvt_f16_f32_e32 v3, v3
.LBB55_1349:
	s_mov_b32 s11, 0
	s_mov_b32 s12, -1
.LBB55_1350:
	s_and_not1_b32 vcc_lo, exec_lo, s11
	s_mov_b32 s11, 0
	s_cbranch_vccnz .LBB55_1361
; %bb.1351:
	s_cmp_gt_i32 s0, 14
	s_cbranch_scc0 .LBB55_1354
; %bb.1352:
	s_cmp_eq_u32 s0, 15
	s_cbranch_scc0 .LBB55_1357
; %bb.1353:
	global_load_u16 v3, v[12:13], off
	s_mov_b32 s1, 0
	s_mov_b32 s12, -1
	s_wait_loadcnt 0x0
	v_lshlrev_b32_e32 v3, 16, v3
	s_delay_alu instid0(VALU_DEP_1)
	v_cvt_f16_f32_e32 v3, v3
	s_branch .LBB55_1359
.LBB55_1354:
	s_mov_b32 s11, -1
	s_branch .LBB55_1358
.LBB55_1355:
	s_or_saveexec_b32 s12, s12
	v_mov_b32_e32 v3, 0x7e00
	s_xor_b32 exec_lo, exec_lo, s12
	s_cbranch_execz .LBB55_1336
.LBB55_1356:
	v_cmp_ne_u16_e32 vcc_lo, 0, v5
	v_mov_b32_e32 v3, v5
	s_and_not1_b32 s11, s11, exec_lo
	s_and_b32 s13, vcc_lo, exec_lo
	s_delay_alu instid0(SALU_CYCLE_1)
	s_or_b32 s11, s11, s13
	s_or_b32 exec_lo, exec_lo, s12
	s_and_saveexec_b32 s12, s11
	s_cbranch_execnz .LBB55_1337
	s_branch .LBB55_1338
.LBB55_1357:
	s_mov_b32 s1, -1
.LBB55_1358:
                                        ; implicit-def: $vgpr3
.LBB55_1359:
	s_and_b32 vcc_lo, exec_lo, s11
	s_mov_b32 s11, 0
	s_cbranch_vccz .LBB55_1361
; %bb.1360:
	s_cmp_lg_u32 s0, 11
	s_mov_b32 s11, -1
	s_cselect_b32 s1, -1, 0
.LBB55_1361:
	s_delay_alu instid0(SALU_CYCLE_1)
	s_and_b32 vcc_lo, exec_lo, s1
	s_cbranch_vccnz .LBB55_1424
; %bb.1362:
	s_and_not1_b32 vcc_lo, exec_lo, s11
	s_cbranch_vccnz .LBB55_1364
.LBB55_1363:
	global_load_u8 v3, v[12:13], off
	s_mov_b32 s12, -1
	s_wait_loadcnt 0x0
	v_cmp_ne_u16_e32 vcc_lo, 0, v3
	v_cndmask_b32_e64 v3, 0, 0x3c00, vcc_lo
.LBB55_1364:
	s_branch .LBB55_1290
.LBB55_1365:
	s_cmp_lt_i32 s0, 5
	s_cbranch_scc1 .LBB55_1370
; %bb.1366:
	s_cmp_lt_i32 s0, 8
	s_cbranch_scc1 .LBB55_1371
; %bb.1367:
	;; [unrolled: 3-line block ×3, first 2 shown]
	s_cmp_gt_i32 s0, 9
	s_cbranch_scc0 .LBB55_1373
; %bb.1369:
	global_load_b64 v[14:15], v[12:13], off
	s_mov_b32 s1, 0
	s_wait_loadcnt 0x0
	v_and_or_b32 v3, 0x1ff, v15, v14
	v_lshrrev_b32_e32 v5, 8, v15
	v_bfe_u32 v7, v15, 20, 11
	s_delay_alu instid0(VALU_DEP_3) | instskip(NEXT) | instid1(VALU_DEP_2)
	v_cmp_ne_u32_e32 vcc_lo, 0, v3
	v_sub_nc_u32_e32 v9, 0x3f1, v7
	v_add_nc_u32_e32 v7, 0xfffffc10, v7
	v_cndmask_b32_e64 v3, 0, 1, vcc_lo
	s_delay_alu instid0(VALU_DEP_1) | instskip(NEXT) | instid1(VALU_DEP_4)
	v_and_or_b32 v3, 0xffe, v5, v3
	v_med3_i32 v5, v9, 0, 13
	s_delay_alu instid0(VALU_DEP_2) | instskip(NEXT) | instid1(VALU_DEP_1)
	v_or_b32_e32 v9, 0x1000, v3
	v_lshrrev_b32_e32 v11, v5, v9
	s_delay_alu instid0(VALU_DEP_1) | instskip(NEXT) | instid1(VALU_DEP_1)
	v_lshlrev_b32_e32 v5, v5, v11
	v_cmp_ne_u32_e32 vcc_lo, v5, v9
	v_lshl_or_b32 v9, v7, 12, v3
	v_cndmask_b32_e64 v5, 0, 1, vcc_lo
	v_cmp_gt_i32_e32 vcc_lo, 1, v7
	s_delay_alu instid0(VALU_DEP_2) | instskip(NEXT) | instid1(VALU_DEP_1)
	v_or_b32_e32 v5, v11, v5
	v_cndmask_b32_e32 v5, v9, v5, vcc_lo
	s_delay_alu instid0(VALU_DEP_1) | instskip(NEXT) | instid1(VALU_DEP_1)
	v_and_b32_e32 v9, 7, v5
	v_cmp_lt_i32_e32 vcc_lo, 5, v9
	v_cndmask_b32_e64 v11, 0, 1, vcc_lo
	v_cmp_eq_u32_e32 vcc_lo, 3, v9
	v_cndmask_b32_e64 v9, 0, 1, vcc_lo
	v_cmp_ne_u32_e32 vcc_lo, 0, v3
	s_delay_alu instid0(VALU_DEP_2) | instskip(SKIP_1) | instid1(VALU_DEP_2)
	v_dual_lshrrev_b32 v5, 2, v5 :: v_dual_bitop2_b32 v9, v9, v11 bitop3:0x54
	v_mov_b32_e32 v11, 0x7e00
	v_add_nc_u32_e32 v5, v5, v9
	s_delay_alu instid0(VALU_DEP_2) | instskip(SKIP_1) | instid1(VALU_DEP_3)
	v_cndmask_b32_e32 v3, 0x7c00, v11, vcc_lo
	v_cmp_gt_i32_e32 vcc_lo, 31, v7
	v_cndmask_b32_e32 v5, 0x7c00, v5, vcc_lo
	v_cmp_eq_u32_e32 vcc_lo, 0x40f, v7
	s_delay_alu instid0(VALU_DEP_2) | instskip(SKIP_1) | instid1(VALU_DEP_1)
	v_cndmask_b32_e32 v3, v5, v3, vcc_lo
	v_lshrrev_b32_e32 v5, 16, v15
	v_and_or_b32 v3, 0x8000, v5, v3
	s_branch .LBB55_1374
.LBB55_1370:
                                        ; implicit-def: $vgpr3
	s_branch .LBB55_1392
.LBB55_1371:
	s_mov_b32 s1, -1
                                        ; implicit-def: $vgpr3
	s_branch .LBB55_1380
.LBB55_1372:
	s_mov_b32 s1, -1
                                        ; implicit-def: $vgpr3
	s_branch .LBB55_1377
.LBB55_1373:
	s_mov_b32 s1, -1
                                        ; implicit-def: $vgpr3
.LBB55_1374:
	s_delay_alu instid0(SALU_CYCLE_1)
	s_and_not1_b32 vcc_lo, exec_lo, s1
	s_cbranch_vccnz .LBB55_1376
; %bb.1375:
	global_load_b32 v3, v[12:13], off
	s_wait_loadcnt 0x0
	v_cvt_f16_f32_e32 v3, v3
.LBB55_1376:
	s_mov_b32 s1, 0
.LBB55_1377:
	s_delay_alu instid0(SALU_CYCLE_1)
	s_and_not1_b32 vcc_lo, exec_lo, s1
	s_cbranch_vccnz .LBB55_1379
; %bb.1378:
	global_load_b32 v3, v[12:13], off
.LBB55_1379:
	s_mov_b32 s1, 0
.LBB55_1380:
	s_delay_alu instid0(SALU_CYCLE_1)
	s_and_not1_b32 vcc_lo, exec_lo, s1
	s_cbranch_vccnz .LBB55_1391
; %bb.1381:
	s_cmp_lt_i32 s0, 6
	s_cbranch_scc1 .LBB55_1384
; %bb.1382:
	s_cmp_gt_i32 s0, 6
	s_cbranch_scc0 .LBB55_1385
; %bb.1383:
	global_load_b64 v[14:15], v[12:13], off
	s_mov_b32 s1, 0
	s_wait_loadcnt 0x0
	v_and_or_b32 v3, 0x1ff, v15, v14
	v_lshrrev_b32_e32 v5, 8, v15
	v_bfe_u32 v7, v15, 20, 11
	s_delay_alu instid0(VALU_DEP_3) | instskip(NEXT) | instid1(VALU_DEP_2)
	v_cmp_ne_u32_e32 vcc_lo, 0, v3
	v_sub_nc_u32_e32 v9, 0x3f1, v7
	v_add_nc_u32_e32 v7, 0xfffffc10, v7
	v_cndmask_b32_e64 v3, 0, 1, vcc_lo
	s_delay_alu instid0(VALU_DEP_1) | instskip(NEXT) | instid1(VALU_DEP_4)
	v_and_or_b32 v3, 0xffe, v5, v3
	v_med3_i32 v5, v9, 0, 13
	s_delay_alu instid0(VALU_DEP_2) | instskip(NEXT) | instid1(VALU_DEP_1)
	v_or_b32_e32 v9, 0x1000, v3
	v_lshrrev_b32_e32 v11, v5, v9
	s_delay_alu instid0(VALU_DEP_1) | instskip(NEXT) | instid1(VALU_DEP_1)
	v_lshlrev_b32_e32 v5, v5, v11
	v_cmp_ne_u32_e32 vcc_lo, v5, v9
	v_lshl_or_b32 v9, v7, 12, v3
	v_cndmask_b32_e64 v5, 0, 1, vcc_lo
	v_cmp_gt_i32_e32 vcc_lo, 1, v7
	s_delay_alu instid0(VALU_DEP_2) | instskip(NEXT) | instid1(VALU_DEP_1)
	v_or_b32_e32 v5, v11, v5
	v_cndmask_b32_e32 v5, v9, v5, vcc_lo
	s_delay_alu instid0(VALU_DEP_1) | instskip(NEXT) | instid1(VALU_DEP_1)
	v_and_b32_e32 v9, 7, v5
	v_cmp_lt_i32_e32 vcc_lo, 5, v9
	v_cndmask_b32_e64 v11, 0, 1, vcc_lo
	v_cmp_eq_u32_e32 vcc_lo, 3, v9
	v_cndmask_b32_e64 v9, 0, 1, vcc_lo
	v_cmp_ne_u32_e32 vcc_lo, 0, v3
	s_delay_alu instid0(VALU_DEP_2) | instskip(SKIP_1) | instid1(VALU_DEP_2)
	v_dual_lshrrev_b32 v5, 2, v5 :: v_dual_bitop2_b32 v9, v9, v11 bitop3:0x54
	v_mov_b32_e32 v11, 0x7e00
	v_add_nc_u32_e32 v5, v5, v9
	s_delay_alu instid0(VALU_DEP_2) | instskip(SKIP_1) | instid1(VALU_DEP_3)
	v_cndmask_b32_e32 v3, 0x7c00, v11, vcc_lo
	v_cmp_gt_i32_e32 vcc_lo, 31, v7
	v_cndmask_b32_e32 v5, 0x7c00, v5, vcc_lo
	v_cmp_eq_u32_e32 vcc_lo, 0x40f, v7
	s_delay_alu instid0(VALU_DEP_2) | instskip(SKIP_1) | instid1(VALU_DEP_1)
	v_cndmask_b32_e32 v3, v5, v3, vcc_lo
	v_lshrrev_b32_e32 v5, 16, v15
	v_and_or_b32 v3, 0x8000, v5, v3
	s_branch .LBB55_1386
.LBB55_1384:
	s_mov_b32 s1, -1
                                        ; implicit-def: $vgpr3
	s_branch .LBB55_1389
.LBB55_1385:
	s_mov_b32 s1, -1
                                        ; implicit-def: $vgpr3
.LBB55_1386:
	s_delay_alu instid0(SALU_CYCLE_1)
	s_and_not1_b32 vcc_lo, exec_lo, s1
	s_cbranch_vccnz .LBB55_1388
; %bb.1387:
	s_wait_loadcnt 0x0
	global_load_b32 v3, v[12:13], off
	s_wait_loadcnt 0x0
	v_cvt_f16_f32_e32 v3, v3
.LBB55_1388:
	s_mov_b32 s1, 0
.LBB55_1389:
	s_delay_alu instid0(SALU_CYCLE_1)
	s_and_not1_b32 vcc_lo, exec_lo, s1
	s_cbranch_vccnz .LBB55_1391
; %bb.1390:
	s_wait_loadcnt 0x0
	global_load_u16 v3, v[12:13], off
.LBB55_1391:
	s_cbranch_execnz .LBB55_1411
.LBB55_1392:
	s_cmp_lt_i32 s0, 2
	s_cbranch_scc1 .LBB55_1396
; %bb.1393:
	s_cmp_lt_i32 s0, 3
	s_cbranch_scc1 .LBB55_1397
; %bb.1394:
	s_cmp_gt_i32 s0, 3
	s_cbranch_scc0 .LBB55_1398
; %bb.1395:
	global_load_b64 v[14:15], v[12:13], off
	s_mov_b32 s1, 0
	s_wait_loadcnt 0x0
	v_xor_b32_e32 v3, v14, v15
	v_cls_i32_e32 v5, v15
	s_delay_alu instid0(VALU_DEP_2) | instskip(NEXT) | instid1(VALU_DEP_1)
	v_ashrrev_i32_e32 v3, 31, v3
	v_add_nc_u32_e32 v3, 32, v3
	s_delay_alu instid0(VALU_DEP_1) | instskip(NEXT) | instid1(VALU_DEP_1)
	v_add_min_u32_e64 v3, v5, -1, v3
	v_lshlrev_b64_e32 v[14:15], v3, v[14:15]
	v_sub_nc_u32_e32 v3, 32, v3
	s_delay_alu instid0(VALU_DEP_2) | instskip(NEXT) | instid1(VALU_DEP_1)
	v_min_u32_e32 v5, 1, v14
	v_or_b32_e32 v5, v15, v5
	s_delay_alu instid0(VALU_DEP_1) | instskip(NEXT) | instid1(VALU_DEP_1)
	v_cvt_f32_i32_e32 v5, v5
	v_ldexp_f32 v3, v5, v3
	s_delay_alu instid0(VALU_DEP_1)
	v_cvt_f16_f32_e32 v3, v3
	s_branch .LBB55_1399
.LBB55_1396:
	s_mov_b32 s1, -1
                                        ; implicit-def: $vgpr3
	s_branch .LBB55_1405
.LBB55_1397:
	s_mov_b32 s1, -1
                                        ; implicit-def: $vgpr3
	s_branch .LBB55_1402
.LBB55_1398:
	s_mov_b32 s1, -1
                                        ; implicit-def: $vgpr3
.LBB55_1399:
	s_delay_alu instid0(SALU_CYCLE_1)
	s_and_not1_b32 vcc_lo, exec_lo, s1
	s_cbranch_vccnz .LBB55_1401
; %bb.1400:
	s_wait_loadcnt 0x0
	global_load_b32 v3, v[12:13], off
	s_wait_loadcnt 0x0
	v_cvt_f32_i32_e32 v3, v3
	s_delay_alu instid0(VALU_DEP_1)
	v_cvt_f16_f32_e32 v3, v3
.LBB55_1401:
	s_mov_b32 s1, 0
.LBB55_1402:
	s_delay_alu instid0(SALU_CYCLE_1)
	s_and_not1_b32 vcc_lo, exec_lo, s1
	s_cbranch_vccnz .LBB55_1404
; %bb.1403:
	s_wait_loadcnt 0x0
	global_load_u16 v3, v[12:13], off
	s_wait_loadcnt 0x0
	v_cvt_f16_i16_e32 v3, v3
.LBB55_1404:
	s_mov_b32 s1, 0
.LBB55_1405:
	s_delay_alu instid0(SALU_CYCLE_1)
	s_and_not1_b32 vcc_lo, exec_lo, s1
	s_cbranch_vccnz .LBB55_1411
; %bb.1406:
	s_cmp_gt_i32 s0, 0
	s_mov_b32 s1, 0
	s_cbranch_scc0 .LBB55_1408
; %bb.1407:
	s_wait_loadcnt 0x0
	global_load_i8 v3, v[12:13], off
	s_wait_loadcnt 0x0
	v_cvt_f16_i16_e32 v3, v3
	s_branch .LBB55_1409
.LBB55_1408:
	s_mov_b32 s1, -1
                                        ; implicit-def: $vgpr3
.LBB55_1409:
	s_delay_alu instid0(SALU_CYCLE_1)
	s_and_not1_b32 vcc_lo, exec_lo, s1
	s_cbranch_vccnz .LBB55_1411
; %bb.1410:
	s_wait_loadcnt 0x0
	global_load_u8 v3, v[12:13], off
	s_wait_loadcnt 0x0
	v_cvt_f16_u16_e32 v3, v3
.LBB55_1411:
.LBB55_1412:
	v_mov_b32_e32 v11, 0
	s_cmp_lt_i32 s0, 11
	s_delay_alu instid0(VALU_DEP_1)
	v_add_nc_u64_e32 v[10:11], s[6:7], v[10:11]
	s_cbranch_scc1 .LBB55_1419
; %bb.1413:
	s_cmp_gt_i32 s0, 25
	s_mov_b32 s11, 0
	s_cbranch_scc0 .LBB55_1421
; %bb.1414:
	s_cmp_gt_i32 s0, 28
	s_cbranch_scc0 .LBB55_1422
; %bb.1415:
	s_cmp_gt_i32 s0, 43
	s_cbranch_scc0 .LBB55_1423
; %bb.1416:
	s_cmp_gt_i32 s0, 45
	s_cbranch_scc0 .LBB55_1425
; %bb.1417:
	s_cmp_eq_u32 s0, 46
	s_mov_b32 s13, 0
	s_cbranch_scc0 .LBB55_1426
; %bb.1418:
	global_load_b32 v5, v[10:11], off
	s_mov_b32 s1, 0
	s_mov_b32 s12, -1
	s_wait_loadcnt 0x0
	v_lshlrev_b32_e32 v5, 16, v5
	s_wait_xcnt 0x1
	s_delay_alu instid0(VALU_DEP_1)
	v_cvt_f16_f32_e32 v12, v5
	s_branch .LBB55_1428
.LBB55_1419:
	s_mov_b32 s12, 0
                                        ; implicit-def: $vgpr12
	s_cbranch_execnz .LBB55_1494
.LBB55_1420:
	s_and_not1_b32 vcc_lo, exec_lo, s12
	s_cbranch_vccnz .LBB55_2106
	s_branch .LBB55_1542
.LBB55_1421:
	s_mov_b32 s13, -1
	s_mov_b32 s12, 0
	s_mov_b32 s1, 0
                                        ; implicit-def: $vgpr12
	s_branch .LBB55_1457
.LBB55_1422:
	s_mov_b32 s13, -1
	s_mov_b32 s12, 0
	s_mov_b32 s1, 0
                                        ; implicit-def: $vgpr12
	s_branch .LBB55_1438
.LBB55_1423:
	s_mov_b32 s13, -1
	s_mov_b32 s12, 0
	s_mov_b32 s1, 0
                                        ; implicit-def: $vgpr12
	s_branch .LBB55_1433
.LBB55_1424:
	s_or_b32 s10, s10, exec_lo
	s_trap 2
	s_cbranch_execz .LBB55_1363
	s_branch .LBB55_1364
.LBB55_1425:
	s_mov_b32 s13, -1
	s_mov_b32 s12, 0
	s_mov_b32 s1, 0
	s_branch .LBB55_1427
.LBB55_1426:
	s_mov_b32 s1, -1
	s_mov_b32 s12, 0
.LBB55_1427:
                                        ; implicit-def: $vgpr12
.LBB55_1428:
	s_and_b32 vcc_lo, exec_lo, s13
	s_cbranch_vccz .LBB55_1432
; %bb.1429:
	s_cmp_eq_u32 s0, 44
	s_cbranch_scc0 .LBB55_1431
; %bb.1430:
	global_load_u8 v5, v[10:11], off
	s_mov_b32 s1, 0
	s_mov_b32 s12, -1
	s_wait_loadcnt 0x0
	v_lshlrev_b32_e32 v7, 23, v5
	v_cmp_ne_u32_e32 vcc_lo, 0xff, v5
	s_delay_alu instid0(VALU_DEP_2) | instskip(NEXT) | instid1(VALU_DEP_1)
	v_cvt_f16_f32_e32 v7, v7
	v_cndmask_b32_e32 v7, 0x7e00, v7, vcc_lo
	v_cmp_ne_u32_e32 vcc_lo, 0, v5
	s_wait_xcnt 0x1
	s_delay_alu instid0(VALU_DEP_2)
	v_cndmask_b32_e32 v12, 0, v7, vcc_lo
	s_branch .LBB55_1432
.LBB55_1431:
	s_mov_b32 s1, -1
                                        ; implicit-def: $vgpr12
.LBB55_1432:
	s_mov_b32 s13, 0
.LBB55_1433:
	s_delay_alu instid0(SALU_CYCLE_1)
	s_and_b32 vcc_lo, exec_lo, s13
	s_cbranch_vccz .LBB55_1437
; %bb.1434:
	s_cmp_eq_u32 s0, 29
	s_cbranch_scc0 .LBB55_1436
; %bb.1435:
	global_load_b64 v[12:13], v[10:11], off
	s_mov_b32 s1, 0
	s_mov_b32 s12, -1
	s_mov_b32 s13, 0
	s_wait_loadcnt 0x0
	v_clz_i32_u32_e32 v5, v13
	s_delay_alu instid0(VALU_DEP_1) | instskip(NEXT) | instid1(VALU_DEP_1)
	v_min_u32_e32 v5, 32, v5
	v_lshlrev_b64_e32 v[12:13], v5, v[12:13]
	v_sub_nc_u32_e32 v5, 32, v5
	s_delay_alu instid0(VALU_DEP_2) | instskip(NEXT) | instid1(VALU_DEP_1)
	v_min_u32_e32 v7, 1, v12
	v_or_b32_e32 v7, v13, v7
	s_delay_alu instid0(VALU_DEP_1) | instskip(NEXT) | instid1(VALU_DEP_1)
	v_cvt_f32_u32_e32 v7, v7
	v_ldexp_f32 v5, v7, v5
	s_delay_alu instid0(VALU_DEP_1)
	v_cvt_f16_f32_e32 v12, v5
	s_branch .LBB55_1438
.LBB55_1436:
	s_mov_b32 s1, -1
                                        ; implicit-def: $vgpr12
.LBB55_1437:
	s_mov_b32 s13, 0
.LBB55_1438:
	s_delay_alu instid0(SALU_CYCLE_1)
	s_and_b32 vcc_lo, exec_lo, s13
	s_cbranch_vccz .LBB55_1456
; %bb.1439:
	s_cmp_lt_i32 s0, 27
	s_cbranch_scc1 .LBB55_1442
; %bb.1440:
	s_cmp_gt_i32 s0, 27
	s_cbranch_scc0 .LBB55_1443
; %bb.1441:
	global_load_b32 v5, v[10:11], off
	s_mov_b32 s12, 0
	s_wait_loadcnt 0x0
	v_cvt_f32_u32_e32 v5, v5
	s_wait_xcnt 0x1
	s_delay_alu instid0(VALU_DEP_1)
	v_cvt_f16_f32_e32 v12, v5
	s_branch .LBB55_1444
.LBB55_1442:
	s_mov_b32 s12, -1
                                        ; implicit-def: $vgpr12
	s_branch .LBB55_1447
.LBB55_1443:
	s_mov_b32 s12, -1
                                        ; implicit-def: $vgpr12
.LBB55_1444:
	s_delay_alu instid0(SALU_CYCLE_1)
	s_and_not1_b32 vcc_lo, exec_lo, s12
	s_cbranch_vccnz .LBB55_1446
; %bb.1445:
	global_load_u16 v5, v[10:11], off
	s_wait_loadcnt 0x0
	s_wait_xcnt 0x1
	v_cvt_f16_u16_e32 v12, v5
.LBB55_1446:
	s_mov_b32 s12, 0
.LBB55_1447:
	s_delay_alu instid0(SALU_CYCLE_1)
	s_and_not1_b32 vcc_lo, exec_lo, s12
	s_cbranch_vccnz .LBB55_1455
; %bb.1448:
	global_load_u8 v5, v[10:11], off
	s_mov_b32 s12, 0
	s_mov_b32 s13, exec_lo
	s_wait_loadcnt 0x0
	v_cmpx_lt_i16_e32 0x7f, v5
	s_xor_b32 s13, exec_lo, s13
	s_cbranch_execz .LBB55_1469
; %bb.1449:
	s_mov_b32 s12, -1
	s_mov_b32 s14, exec_lo
	v_cmpx_eq_u16_e32 0x80, v5
; %bb.1450:
	s_xor_b32 s12, exec_lo, -1
; %bb.1451:
	s_or_b32 exec_lo, exec_lo, s14
	s_delay_alu instid0(SALU_CYCLE_1)
	s_and_b32 s12, s12, exec_lo
	s_or_saveexec_b32 s13, s13
	v_mov_b32_e32 v12, 0x7e00
	s_xor_b32 exec_lo, exec_lo, s13
	s_cbranch_execnz .LBB55_1470
.LBB55_1452:
	s_or_b32 exec_lo, exec_lo, s13
	s_and_saveexec_b32 s13, s12
	s_cbranch_execz .LBB55_1454
.LBB55_1453:
	v_and_b32_e32 v7, 0xffff, v5
	s_delay_alu instid0(VALU_DEP_1) | instskip(SKIP_1) | instid1(VALU_DEP_2)
	v_and_b32_e32 v9, 7, v7
	v_bfe_u32 v14, v7, 3, 4
	v_clz_i32_u32_e32 v12, v9
	s_delay_alu instid0(VALU_DEP_2) | instskip(NEXT) | instid1(VALU_DEP_2)
	v_cmp_eq_u32_e32 vcc_lo, 0, v14
	v_min_u32_e32 v12, 32, v12
	s_delay_alu instid0(VALU_DEP_1) | instskip(NEXT) | instid1(VALU_DEP_1)
	v_subrev_nc_u32_e32 v13, 28, v12
	v_dual_lshlrev_b32 v7, v13, v7 :: v_dual_sub_nc_u32 v12, 29, v12
	s_delay_alu instid0(VALU_DEP_1) | instskip(NEXT) | instid1(VALU_DEP_1)
	v_dual_lshlrev_b32 v5, 24, v5 :: v_dual_bitop2_b32 v7, 7, v7 bitop3:0x40
	v_dual_cndmask_b32 v12, v14, v12 :: v_dual_cndmask_b32 v7, v9, v7
	s_delay_alu instid0(VALU_DEP_2) | instskip(NEXT) | instid1(VALU_DEP_2)
	v_and_b32_e32 v5, 0x80000000, v5
	v_lshl_add_u32 v9, v12, 23, 0x3b800000
	s_delay_alu instid0(VALU_DEP_3) | instskip(NEXT) | instid1(VALU_DEP_1)
	v_lshlrev_b32_e32 v7, 20, v7
	v_or3_b32 v5, v5, v9, v7
	s_delay_alu instid0(VALU_DEP_1)
	v_cvt_f16_f32_e32 v12, v5
.LBB55_1454:
	s_or_b32 exec_lo, exec_lo, s13
.LBB55_1455:
	s_mov_b32 s12, -1
.LBB55_1456:
	s_mov_b32 s13, 0
.LBB55_1457:
	s_delay_alu instid0(SALU_CYCLE_1)
	s_and_b32 vcc_lo, exec_lo, s13
	s_cbranch_vccz .LBB55_1490
; %bb.1458:
	s_cmp_gt_i32 s0, 22
	s_cbranch_scc0 .LBB55_1468
; %bb.1459:
	s_cmp_lt_i32 s0, 24
	s_cbranch_scc1 .LBB55_1471
; %bb.1460:
	s_cmp_gt_i32 s0, 24
	s_cbranch_scc0 .LBB55_1472
; %bb.1461:
	global_load_u8 v5, v[10:11], off
	s_mov_b32 s12, exec_lo
	s_wait_loadcnt 0x0
	v_cmpx_lt_i16_e32 0x7f, v5
	s_xor_b32 s12, exec_lo, s12
	s_cbranch_execz .LBB55_1484
; %bb.1462:
	s_mov_b32 s11, -1
	s_mov_b32 s13, exec_lo
	v_cmpx_eq_u16_e32 0x80, v5
; %bb.1463:
	s_xor_b32 s11, exec_lo, -1
; %bb.1464:
	s_or_b32 exec_lo, exec_lo, s13
	s_delay_alu instid0(SALU_CYCLE_1)
	s_and_b32 s11, s11, exec_lo
	s_or_saveexec_b32 s12, s12
	v_mov_b32_e32 v12, 0x7e00
	s_xor_b32 exec_lo, exec_lo, s12
	s_cbranch_execnz .LBB55_1485
.LBB55_1465:
	s_or_b32 exec_lo, exec_lo, s12
	s_and_saveexec_b32 s12, s11
	s_cbranch_execz .LBB55_1467
.LBB55_1466:
	v_and_b32_e32 v7, 0xffff, v5
	s_delay_alu instid0(VALU_DEP_1) | instskip(SKIP_1) | instid1(VALU_DEP_2)
	v_and_b32_e32 v9, 3, v7
	v_bfe_u32 v14, v7, 2, 5
	v_clz_i32_u32_e32 v12, v9
	s_delay_alu instid0(VALU_DEP_2) | instskip(NEXT) | instid1(VALU_DEP_2)
	v_cmp_eq_u32_e32 vcc_lo, 0, v14
	v_min_u32_e32 v12, 32, v12
	s_delay_alu instid0(VALU_DEP_1) | instskip(NEXT) | instid1(VALU_DEP_1)
	v_subrev_nc_u32_e32 v13, 29, v12
	v_dual_lshlrev_b32 v7, v13, v7 :: v_dual_sub_nc_u32 v12, 30, v12
	s_delay_alu instid0(VALU_DEP_1) | instskip(NEXT) | instid1(VALU_DEP_1)
	v_dual_lshlrev_b32 v5, 24, v5 :: v_dual_bitop2_b32 v7, 3, v7 bitop3:0x40
	v_dual_cndmask_b32 v12, v14, v12 :: v_dual_cndmask_b32 v7, v9, v7
	s_delay_alu instid0(VALU_DEP_2) | instskip(NEXT) | instid1(VALU_DEP_2)
	v_and_b32_e32 v5, 0x80000000, v5
	v_lshl_add_u32 v9, v12, 23, 0x37800000
	s_delay_alu instid0(VALU_DEP_3) | instskip(NEXT) | instid1(VALU_DEP_1)
	v_lshlrev_b32_e32 v7, 21, v7
	v_or3_b32 v5, v5, v9, v7
	s_delay_alu instid0(VALU_DEP_1)
	v_cvt_f16_f32_e32 v12, v5
.LBB55_1467:
	s_or_b32 exec_lo, exec_lo, s12
	s_mov_b32 s11, 0
	s_branch .LBB55_1473
.LBB55_1468:
	s_mov_b32 s11, -1
                                        ; implicit-def: $vgpr12
	s_branch .LBB55_1479
.LBB55_1469:
	s_or_saveexec_b32 s13, s13
	v_mov_b32_e32 v12, 0x7e00
	s_xor_b32 exec_lo, exec_lo, s13
	s_cbranch_execz .LBB55_1452
.LBB55_1470:
	v_cmp_ne_u16_e32 vcc_lo, 0, v5
	v_mov_b32_e32 v12, v5
	s_and_not1_b32 s12, s12, exec_lo
	s_and_b32 s14, vcc_lo, exec_lo
	s_delay_alu instid0(SALU_CYCLE_1)
	s_or_b32 s12, s12, s14
	s_or_b32 exec_lo, exec_lo, s13
	s_and_saveexec_b32 s13, s12
	s_cbranch_execnz .LBB55_1453
	s_branch .LBB55_1454
.LBB55_1471:
	s_mov_b32 s11, -1
                                        ; implicit-def: $vgpr12
	s_branch .LBB55_1476
.LBB55_1472:
	s_mov_b32 s11, -1
                                        ; implicit-def: $vgpr12
.LBB55_1473:
	s_delay_alu instid0(SALU_CYCLE_1)
	s_and_b32 vcc_lo, exec_lo, s11
	s_cbranch_vccz .LBB55_1475
; %bb.1474:
	global_load_u8 v5, v[10:11], off
	s_wait_loadcnt 0x0
	v_lshlrev_b32_e32 v5, 24, v5
	s_delay_alu instid0(VALU_DEP_1) | instskip(NEXT) | instid1(VALU_DEP_1)
	v_and_b32_e32 v7, 0x7f000000, v5
	v_clz_i32_u32_e32 v9, v7
	s_wait_xcnt 0x1
	v_add_nc_u32_e32 v13, 0x1000000, v7
	v_cmp_ne_u32_e32 vcc_lo, 0, v7
	s_delay_alu instid0(VALU_DEP_3) | instskip(NEXT) | instid1(VALU_DEP_1)
	v_min_u32_e32 v9, 32, v9
	v_sub_nc_u32_e64 v9, v9, 4 clamp
	s_delay_alu instid0(VALU_DEP_1) | instskip(NEXT) | instid1(VALU_DEP_1)
	v_dual_lshlrev_b32 v12, v9, v7 :: v_dual_lshlrev_b32 v9, 23, v9
	v_lshrrev_b32_e32 v12, 4, v12
	s_delay_alu instid0(VALU_DEP_1) | instskip(SKIP_1) | instid1(VALU_DEP_2)
	v_sub_nc_u32_e32 v9, v12, v9
	v_ashrrev_i32_e32 v12, 8, v13
	v_add_nc_u32_e32 v9, 0x3c000000, v9
	s_delay_alu instid0(VALU_DEP_1) | instskip(NEXT) | instid1(VALU_DEP_1)
	v_and_or_b32 v9, 0x7f800000, v12, v9
	v_cndmask_b32_e32 v7, 0, v9, vcc_lo
	s_delay_alu instid0(VALU_DEP_1) | instskip(NEXT) | instid1(VALU_DEP_1)
	v_and_or_b32 v5, 0x80000000, v5, v7
	v_cvt_f16_f32_e32 v12, v5
.LBB55_1475:
	s_mov_b32 s11, 0
.LBB55_1476:
	s_delay_alu instid0(SALU_CYCLE_1)
	s_and_not1_b32 vcc_lo, exec_lo, s11
	s_cbranch_vccnz .LBB55_1478
; %bb.1477:
	global_load_u8 v5, v[10:11], off
	s_wait_loadcnt 0x0
	v_lshlrev_b32_e32 v7, 25, v5
	v_lshlrev_b16 v5, 8, v5
	s_wait_xcnt 0x1
	s_delay_alu instid0(VALU_DEP_1) | instskip(SKIP_1) | instid1(VALU_DEP_2)
	v_and_or_b32 v12, 0x7f00, v5, 0.5
	v_bfe_i32 v5, v5, 0, 16
	v_dual_add_f32 v12, -0.5, v12 :: v_dual_lshrrev_b32 v9, 4, v7
	v_cmp_gt_u32_e32 vcc_lo, 0x8000000, v7
	s_delay_alu instid0(VALU_DEP_2) | instskip(NEXT) | instid1(VALU_DEP_1)
	v_or_b32_e32 v9, 0x70000000, v9
	v_mul_f32_e32 v9, 0x7800000, v9
	s_delay_alu instid0(VALU_DEP_1) | instskip(NEXT) | instid1(VALU_DEP_1)
	v_cndmask_b32_e32 v7, v9, v12, vcc_lo
	v_and_or_b32 v5, 0x80000000, v5, v7
	s_delay_alu instid0(VALU_DEP_1)
	v_cvt_f16_f32_e32 v12, v5
.LBB55_1478:
	s_mov_b32 s11, 0
	s_mov_b32 s12, -1
.LBB55_1479:
	s_and_not1_b32 vcc_lo, exec_lo, s11
	s_mov_b32 s11, 0
	s_cbranch_vccnz .LBB55_1490
; %bb.1480:
	s_cmp_gt_i32 s0, 14
	s_cbranch_scc0 .LBB55_1483
; %bb.1481:
	s_cmp_eq_u32 s0, 15
	s_cbranch_scc0 .LBB55_1486
; %bb.1482:
	global_load_u16 v5, v[10:11], off
	s_mov_b32 s1, 0
	s_mov_b32 s12, -1
	s_wait_loadcnt 0x0
	v_lshlrev_b32_e32 v5, 16, v5
	s_wait_xcnt 0x1
	s_delay_alu instid0(VALU_DEP_1)
	v_cvt_f16_f32_e32 v12, v5
	s_branch .LBB55_1488
.LBB55_1483:
	s_mov_b32 s11, -1
	s_branch .LBB55_1487
.LBB55_1484:
	s_or_saveexec_b32 s12, s12
	v_mov_b32_e32 v12, 0x7e00
	s_xor_b32 exec_lo, exec_lo, s12
	s_cbranch_execz .LBB55_1465
.LBB55_1485:
	v_cmp_ne_u16_e32 vcc_lo, 0, v5
	v_mov_b32_e32 v12, v5
	s_and_not1_b32 s11, s11, exec_lo
	s_and_b32 s13, vcc_lo, exec_lo
	s_delay_alu instid0(SALU_CYCLE_1)
	s_or_b32 s11, s11, s13
	s_or_b32 exec_lo, exec_lo, s12
	s_and_saveexec_b32 s12, s11
	s_cbranch_execnz .LBB55_1466
	s_branch .LBB55_1467
.LBB55_1486:
	s_mov_b32 s1, -1
.LBB55_1487:
                                        ; implicit-def: $vgpr12
.LBB55_1488:
	s_and_b32 vcc_lo, exec_lo, s11
	s_mov_b32 s11, 0
	s_cbranch_vccz .LBB55_1490
; %bb.1489:
	s_cmp_lg_u32 s0, 11
	s_mov_b32 s11, -1
	s_cselect_b32 s1, -1, 0
.LBB55_1490:
	s_delay_alu instid0(SALU_CYCLE_1)
	s_and_b32 vcc_lo, exec_lo, s1
	s_cbranch_vccnz .LBB55_1553
; %bb.1491:
	s_and_not1_b32 vcc_lo, exec_lo, s11
	s_cbranch_vccnz .LBB55_1493
.LBB55_1492:
	global_load_u8 v5, v[10:11], off
	s_mov_b32 s12, -1
	s_wait_loadcnt 0x0
	v_cmp_ne_u16_e32 vcc_lo, 0, v5
	s_wait_xcnt 0x1
	v_cndmask_b32_e64 v12, 0, 0x3c00, vcc_lo
.LBB55_1493:
	s_branch .LBB55_1420
.LBB55_1494:
	s_cmp_lt_i32 s0, 5
	s_cbranch_scc1 .LBB55_1499
; %bb.1495:
	s_cmp_lt_i32 s0, 8
	s_cbranch_scc1 .LBB55_1500
; %bb.1496:
	;; [unrolled: 3-line block ×3, first 2 shown]
	s_cmp_gt_i32 s0, 9
	s_cbranch_scc0 .LBB55_1502
; %bb.1498:
	global_load_b64 v[12:13], v[10:11], off
	s_mov_b32 s1, 0
	s_wait_loadcnt 0x0
	v_and_or_b32 v5, 0x1ff, v13, v12
	v_lshrrev_b32_e32 v7, 8, v13
	v_bfe_u32 v9, v13, 20, 11
	s_delay_alu instid0(VALU_DEP_3) | instskip(NEXT) | instid1(VALU_DEP_2)
	v_cmp_ne_u32_e32 vcc_lo, 0, v5
	v_sub_nc_u32_e32 v12, 0x3f1, v9
	v_add_nc_u32_e32 v9, 0xfffffc10, v9
	v_cndmask_b32_e64 v5, 0, 1, vcc_lo
	s_delay_alu instid0(VALU_DEP_1) | instskip(NEXT) | instid1(VALU_DEP_4)
	v_and_or_b32 v5, 0xffe, v7, v5
	v_med3_i32 v7, v12, 0, 13
	s_delay_alu instid0(VALU_DEP_2) | instskip(NEXT) | instid1(VALU_DEP_1)
	v_or_b32_e32 v12, 0x1000, v5
	v_lshrrev_b32_e32 v14, v7, v12
	s_delay_alu instid0(VALU_DEP_1) | instskip(NEXT) | instid1(VALU_DEP_1)
	v_lshlrev_b32_e32 v7, v7, v14
	v_cmp_ne_u32_e32 vcc_lo, v7, v12
	v_lshl_or_b32 v12, v9, 12, v5
	v_cndmask_b32_e64 v7, 0, 1, vcc_lo
	v_cmp_gt_i32_e32 vcc_lo, 1, v9
	s_delay_alu instid0(VALU_DEP_2) | instskip(NEXT) | instid1(VALU_DEP_1)
	v_or_b32_e32 v7, v14, v7
	v_cndmask_b32_e32 v7, v12, v7, vcc_lo
	s_delay_alu instid0(VALU_DEP_1) | instskip(NEXT) | instid1(VALU_DEP_1)
	v_dual_lshrrev_b32 v7, 2, v7 :: v_dual_bitop2_b32 v12, 7, v7 bitop3:0x40
	v_cmp_lt_i32_e32 vcc_lo, 5, v12
	v_cndmask_b32_e64 v14, 0, 1, vcc_lo
	v_cmp_eq_u32_e32 vcc_lo, 3, v12
	v_cndmask_b32_e64 v12, 0, 1, vcc_lo
	v_cmp_ne_u32_e32 vcc_lo, 0, v5
	s_delay_alu instid0(VALU_DEP_2) | instskip(NEXT) | instid1(VALU_DEP_1)
	v_or_b32_e32 v12, v12, v14
	v_dual_mov_b32 v14, 0x7e00 :: v_dual_add_nc_u32 v7, v7, v12
	s_delay_alu instid0(VALU_DEP_1) | instskip(SKIP_1) | instid1(VALU_DEP_3)
	v_cndmask_b32_e32 v5, 0x7c00, v14, vcc_lo
	v_cmp_gt_i32_e32 vcc_lo, 31, v9
	v_cndmask_b32_e32 v7, 0x7c00, v7, vcc_lo
	v_cmp_eq_u32_e32 vcc_lo, 0x40f, v9
	s_delay_alu instid0(VALU_DEP_2) | instskip(SKIP_1) | instid1(VALU_DEP_1)
	v_cndmask_b32_e32 v5, v7, v5, vcc_lo
	v_lshrrev_b32_e32 v7, 16, v13
	v_and_or_b32 v12, 0x8000, v7, v5
	s_branch .LBB55_1503
.LBB55_1499:
	s_mov_b32 s1, -1
                                        ; implicit-def: $vgpr12
	s_branch .LBB55_1521
.LBB55_1500:
	s_mov_b32 s1, -1
                                        ; implicit-def: $vgpr12
	s_branch .LBB55_1509
.LBB55_1501:
	s_mov_b32 s1, -1
                                        ; implicit-def: $vgpr12
	s_branch .LBB55_1506
.LBB55_1502:
	s_mov_b32 s1, -1
                                        ; implicit-def: $vgpr12
.LBB55_1503:
	s_delay_alu instid0(SALU_CYCLE_1)
	s_and_not1_b32 vcc_lo, exec_lo, s1
	s_cbranch_vccnz .LBB55_1505
; %bb.1504:
	global_load_b32 v5, v[10:11], off
	s_wait_loadcnt 0x0
	s_wait_xcnt 0x1
	v_cvt_f16_f32_e32 v12, v5
.LBB55_1505:
	s_mov_b32 s1, 0
.LBB55_1506:
	s_delay_alu instid0(SALU_CYCLE_1)
	s_and_not1_b32 vcc_lo, exec_lo, s1
	s_cbranch_vccnz .LBB55_1508
; %bb.1507:
	global_load_b32 v12, v[10:11], off
.LBB55_1508:
	s_mov_b32 s1, 0
.LBB55_1509:
	s_delay_alu instid0(SALU_CYCLE_1)
	s_and_not1_b32 vcc_lo, exec_lo, s1
	s_cbranch_vccnz .LBB55_1520
; %bb.1510:
	s_cmp_lt_i32 s0, 6
	s_cbranch_scc1 .LBB55_1513
; %bb.1511:
	s_cmp_gt_i32 s0, 6
	s_cbranch_scc0 .LBB55_1514
; %bb.1512:
	s_wait_loadcnt 0x0
	global_load_b64 v[12:13], v[10:11], off
	s_mov_b32 s1, 0
	s_wait_loadcnt 0x0
	v_and_or_b32 v5, 0x1ff, v13, v12
	v_lshrrev_b32_e32 v7, 8, v13
	v_bfe_u32 v9, v13, 20, 11
	s_delay_alu instid0(VALU_DEP_3) | instskip(NEXT) | instid1(VALU_DEP_2)
	v_cmp_ne_u32_e32 vcc_lo, 0, v5
	v_sub_nc_u32_e32 v12, 0x3f1, v9
	v_add_nc_u32_e32 v9, 0xfffffc10, v9
	v_cndmask_b32_e64 v5, 0, 1, vcc_lo
	s_delay_alu instid0(VALU_DEP_1) | instskip(NEXT) | instid1(VALU_DEP_4)
	v_and_or_b32 v5, 0xffe, v7, v5
	v_med3_i32 v7, v12, 0, 13
	s_delay_alu instid0(VALU_DEP_2) | instskip(NEXT) | instid1(VALU_DEP_1)
	v_or_b32_e32 v12, 0x1000, v5
	v_lshrrev_b32_e32 v14, v7, v12
	s_delay_alu instid0(VALU_DEP_1) | instskip(NEXT) | instid1(VALU_DEP_1)
	v_lshlrev_b32_e32 v7, v7, v14
	v_cmp_ne_u32_e32 vcc_lo, v7, v12
	v_lshl_or_b32 v12, v9, 12, v5
	v_cndmask_b32_e64 v7, 0, 1, vcc_lo
	v_cmp_gt_i32_e32 vcc_lo, 1, v9
	s_delay_alu instid0(VALU_DEP_2) | instskip(NEXT) | instid1(VALU_DEP_1)
	v_or_b32_e32 v7, v14, v7
	v_cndmask_b32_e32 v7, v12, v7, vcc_lo
	s_delay_alu instid0(VALU_DEP_1) | instskip(NEXT) | instid1(VALU_DEP_1)
	v_dual_lshrrev_b32 v7, 2, v7 :: v_dual_bitop2_b32 v12, 7, v7 bitop3:0x40
	v_cmp_lt_i32_e32 vcc_lo, 5, v12
	v_cndmask_b32_e64 v14, 0, 1, vcc_lo
	v_cmp_eq_u32_e32 vcc_lo, 3, v12
	v_cndmask_b32_e64 v12, 0, 1, vcc_lo
	v_cmp_ne_u32_e32 vcc_lo, 0, v5
	s_delay_alu instid0(VALU_DEP_2) | instskip(NEXT) | instid1(VALU_DEP_1)
	v_or_b32_e32 v12, v12, v14
	v_dual_mov_b32 v14, 0x7e00 :: v_dual_add_nc_u32 v7, v7, v12
	s_delay_alu instid0(VALU_DEP_1) | instskip(SKIP_1) | instid1(VALU_DEP_3)
	v_cndmask_b32_e32 v5, 0x7c00, v14, vcc_lo
	v_cmp_gt_i32_e32 vcc_lo, 31, v9
	v_cndmask_b32_e32 v7, 0x7c00, v7, vcc_lo
	v_cmp_eq_u32_e32 vcc_lo, 0x40f, v9
	s_delay_alu instid0(VALU_DEP_2) | instskip(SKIP_1) | instid1(VALU_DEP_1)
	v_cndmask_b32_e32 v5, v7, v5, vcc_lo
	v_lshrrev_b32_e32 v7, 16, v13
	v_and_or_b32 v12, 0x8000, v7, v5
	s_branch .LBB55_1515
.LBB55_1513:
	s_mov_b32 s1, -1
                                        ; implicit-def: $vgpr12
	s_branch .LBB55_1518
.LBB55_1514:
	s_mov_b32 s1, -1
                                        ; implicit-def: $vgpr12
.LBB55_1515:
	s_delay_alu instid0(SALU_CYCLE_1)
	s_and_not1_b32 vcc_lo, exec_lo, s1
	s_cbranch_vccnz .LBB55_1517
; %bb.1516:
	global_load_b32 v5, v[10:11], off
	s_wait_loadcnt 0x0
	s_wait_xcnt 0x1
	v_cvt_f16_f32_e32 v12, v5
.LBB55_1517:
	s_mov_b32 s1, 0
.LBB55_1518:
	s_delay_alu instid0(SALU_CYCLE_1)
	s_and_not1_b32 vcc_lo, exec_lo, s1
	s_cbranch_vccnz .LBB55_1520
; %bb.1519:
	s_wait_loadcnt 0x0
	global_load_u16 v12, v[10:11], off
.LBB55_1520:
	s_mov_b32 s1, 0
.LBB55_1521:
	s_delay_alu instid0(SALU_CYCLE_1)
	s_and_not1_b32 vcc_lo, exec_lo, s1
	s_cbranch_vccnz .LBB55_1541
; %bb.1522:
	s_cmp_lt_i32 s0, 2
	s_cbranch_scc1 .LBB55_1526
; %bb.1523:
	s_cmp_lt_i32 s0, 3
	s_cbranch_scc1 .LBB55_1527
; %bb.1524:
	s_cmp_gt_i32 s0, 3
	s_cbranch_scc0 .LBB55_1528
; %bb.1525:
	s_wait_loadcnt 0x0
	global_load_b64 v[12:13], v[10:11], off
	s_mov_b32 s1, 0
	s_wait_loadcnt 0x0
	v_xor_b32_e32 v5, v12, v13
	v_cls_i32_e32 v7, v13
	s_delay_alu instid0(VALU_DEP_2) | instskip(NEXT) | instid1(VALU_DEP_1)
	v_ashrrev_i32_e32 v5, 31, v5
	v_add_nc_u32_e32 v5, 32, v5
	s_delay_alu instid0(VALU_DEP_1) | instskip(NEXT) | instid1(VALU_DEP_1)
	v_add_min_u32_e64 v5, v7, -1, v5
	v_lshlrev_b64_e32 v[12:13], v5, v[12:13]
	v_sub_nc_u32_e32 v5, 32, v5
	s_delay_alu instid0(VALU_DEP_2) | instskip(NEXT) | instid1(VALU_DEP_1)
	v_min_u32_e32 v7, 1, v12
	v_or_b32_e32 v7, v13, v7
	s_delay_alu instid0(VALU_DEP_1) | instskip(NEXT) | instid1(VALU_DEP_1)
	v_cvt_f32_i32_e32 v7, v7
	v_ldexp_f32 v5, v7, v5
	s_delay_alu instid0(VALU_DEP_1)
	v_cvt_f16_f32_e32 v12, v5
	s_branch .LBB55_1529
.LBB55_1526:
	s_mov_b32 s1, -1
                                        ; implicit-def: $vgpr12
	s_branch .LBB55_1535
.LBB55_1527:
	s_mov_b32 s1, -1
                                        ; implicit-def: $vgpr12
	s_branch .LBB55_1532
.LBB55_1528:
	s_mov_b32 s1, -1
                                        ; implicit-def: $vgpr12
.LBB55_1529:
	s_delay_alu instid0(SALU_CYCLE_1)
	s_and_not1_b32 vcc_lo, exec_lo, s1
	s_cbranch_vccnz .LBB55_1531
; %bb.1530:
	global_load_b32 v5, v[10:11], off
	s_wait_loadcnt 0x0
	v_cvt_f32_i32_e32 v5, v5
	s_wait_xcnt 0x1
	s_delay_alu instid0(VALU_DEP_1)
	v_cvt_f16_f32_e32 v12, v5
.LBB55_1531:
	s_mov_b32 s1, 0
.LBB55_1532:
	s_delay_alu instid0(SALU_CYCLE_1)
	s_and_not1_b32 vcc_lo, exec_lo, s1
	s_cbranch_vccnz .LBB55_1534
; %bb.1533:
	global_load_u16 v5, v[10:11], off
	s_wait_loadcnt 0x0
	s_wait_xcnt 0x1
	v_cvt_f16_i16_e32 v12, v5
.LBB55_1534:
	s_mov_b32 s1, 0
.LBB55_1535:
	s_delay_alu instid0(SALU_CYCLE_1)
	s_and_not1_b32 vcc_lo, exec_lo, s1
	s_cbranch_vccnz .LBB55_1541
; %bb.1536:
	s_cmp_gt_i32 s0, 0
	s_mov_b32 s1, 0
	s_cbranch_scc0 .LBB55_1538
; %bb.1537:
	global_load_i8 v5, v[10:11], off
	s_wait_loadcnt 0x0
	s_wait_xcnt 0x1
	v_cvt_f16_i16_e32 v12, v5
	s_branch .LBB55_1539
.LBB55_1538:
	s_mov_b32 s1, -1
                                        ; implicit-def: $vgpr12
.LBB55_1539:
	s_delay_alu instid0(SALU_CYCLE_1)
	s_and_not1_b32 vcc_lo, exec_lo, s1
	s_cbranch_vccnz .LBB55_1541
; %bb.1540:
	global_load_u8 v5, v[10:11], off
	s_wait_loadcnt 0x0
	s_wait_xcnt 0x1
	v_cvt_f16_u16_e32 v12, v5
.LBB55_1541:
.LBB55_1542:
	v_mov_b32_e32 v9, 0
	s_cmp_lt_i32 s0, 11
	s_delay_alu instid0(VALU_DEP_1)
	v_add_nc_u64_e32 v[8:9], s[6:7], v[8:9]
	s_cbranch_scc1 .LBB55_1549
; %bb.1543:
	s_cmp_gt_i32 s0, 25
	s_mov_b32 s6, 0
	s_cbranch_scc0 .LBB55_1550
; %bb.1544:
	s_cmp_gt_i32 s0, 28
	s_cbranch_scc0 .LBB55_1551
; %bb.1545:
	s_cmp_gt_i32 s0, 43
	;; [unrolled: 3-line block ×3, first 2 shown]
	s_cbranch_scc0 .LBB55_1554
; %bb.1547:
	s_cmp_eq_u32 s0, 46
	s_mov_b32 s11, 0
	s_cbranch_scc0 .LBB55_1555
; %bb.1548:
	global_load_b32 v5, v[8:9], off
	s_mov_b32 s1, 0
	s_mov_b32 s7, -1
	s_wait_loadcnt 0x0
	v_lshlrev_b32_e32 v5, 16, v5
	s_wait_xcnt 0x1
	s_delay_alu instid0(VALU_DEP_1)
	v_cvt_f16_f32_e32 v10, v5
	s_branch .LBB55_1557
.LBB55_1549:
	s_mov_b32 s1, -1
	s_mov_b32 s7, 0
                                        ; implicit-def: $vgpr10
	s_branch .LBB55_1623
.LBB55_1550:
	s_mov_b32 s11, -1
	s_mov_b32 s7, 0
	s_mov_b32 s1, 0
                                        ; implicit-def: $vgpr10
	s_branch .LBB55_1586
.LBB55_1551:
	s_mov_b32 s11, -1
	s_mov_b32 s7, 0
	s_mov_b32 s1, 0
                                        ; implicit-def: $vgpr10
	s_branch .LBB55_1567
.LBB55_1552:
	s_mov_b32 s11, -1
	s_mov_b32 s7, 0
	s_mov_b32 s1, 0
                                        ; implicit-def: $vgpr10
	s_branch .LBB55_1562
.LBB55_1553:
	s_or_b32 s10, s10, exec_lo
	s_trap 2
	s_cbranch_execz .LBB55_1492
	s_branch .LBB55_1493
.LBB55_1554:
	s_mov_b32 s11, -1
	s_mov_b32 s7, 0
	s_mov_b32 s1, 0
	s_branch .LBB55_1556
.LBB55_1555:
	s_mov_b32 s1, -1
	s_mov_b32 s7, 0
.LBB55_1556:
                                        ; implicit-def: $vgpr10
.LBB55_1557:
	s_and_b32 vcc_lo, exec_lo, s11
	s_cbranch_vccz .LBB55_1561
; %bb.1558:
	s_cmp_eq_u32 s0, 44
	s_cbranch_scc0 .LBB55_1560
; %bb.1559:
	global_load_u8 v5, v[8:9], off
	s_mov_b32 s1, 0
	s_mov_b32 s7, -1
	s_wait_loadcnt 0x0
	v_lshlrev_b32_e32 v7, 23, v5
	v_cmp_ne_u32_e32 vcc_lo, 0xff, v5
	s_delay_alu instid0(VALU_DEP_2) | instskip(NEXT) | instid1(VALU_DEP_1)
	v_cvt_f16_f32_e32 v7, v7
	v_cndmask_b32_e32 v7, 0x7e00, v7, vcc_lo
	v_cmp_ne_u32_e32 vcc_lo, 0, v5
	s_wait_xcnt 0x1
	s_delay_alu instid0(VALU_DEP_2)
	v_cndmask_b32_e32 v10, 0, v7, vcc_lo
	s_branch .LBB55_1561
.LBB55_1560:
	s_mov_b32 s1, -1
                                        ; implicit-def: $vgpr10
.LBB55_1561:
	s_mov_b32 s11, 0
.LBB55_1562:
	s_delay_alu instid0(SALU_CYCLE_1)
	s_and_b32 vcc_lo, exec_lo, s11
	s_cbranch_vccz .LBB55_1566
; %bb.1563:
	s_cmp_eq_u32 s0, 29
	s_cbranch_scc0 .LBB55_1565
; %bb.1564:
	global_load_b64 v[10:11], v[8:9], off
	s_mov_b32 s1, 0
	s_mov_b32 s7, -1
	s_mov_b32 s11, 0
	s_wait_loadcnt 0x0
	v_clz_i32_u32_e32 v5, v11
	s_delay_alu instid0(VALU_DEP_1) | instskip(NEXT) | instid1(VALU_DEP_1)
	v_min_u32_e32 v5, 32, v5
	v_lshlrev_b64_e32 v[10:11], v5, v[10:11]
	v_sub_nc_u32_e32 v5, 32, v5
	s_delay_alu instid0(VALU_DEP_2) | instskip(NEXT) | instid1(VALU_DEP_1)
	v_min_u32_e32 v7, 1, v10
	v_or_b32_e32 v7, v11, v7
	s_delay_alu instid0(VALU_DEP_1) | instskip(NEXT) | instid1(VALU_DEP_1)
	v_cvt_f32_u32_e32 v7, v7
	v_ldexp_f32 v5, v7, v5
	s_delay_alu instid0(VALU_DEP_1)
	v_cvt_f16_f32_e32 v10, v5
	s_branch .LBB55_1567
.LBB55_1565:
	s_mov_b32 s1, -1
                                        ; implicit-def: $vgpr10
.LBB55_1566:
	s_mov_b32 s11, 0
.LBB55_1567:
	s_delay_alu instid0(SALU_CYCLE_1)
	s_and_b32 vcc_lo, exec_lo, s11
	s_cbranch_vccz .LBB55_1585
; %bb.1568:
	s_cmp_lt_i32 s0, 27
	s_cbranch_scc1 .LBB55_1571
; %bb.1569:
	s_cmp_gt_i32 s0, 27
	s_cbranch_scc0 .LBB55_1572
; %bb.1570:
	global_load_b32 v5, v[8:9], off
	s_mov_b32 s7, 0
	s_wait_loadcnt 0x0
	v_cvt_f32_u32_e32 v5, v5
	s_wait_xcnt 0x1
	s_delay_alu instid0(VALU_DEP_1)
	v_cvt_f16_f32_e32 v10, v5
	s_branch .LBB55_1573
.LBB55_1571:
	s_mov_b32 s7, -1
                                        ; implicit-def: $vgpr10
	s_branch .LBB55_1576
.LBB55_1572:
	s_mov_b32 s7, -1
                                        ; implicit-def: $vgpr10
.LBB55_1573:
	s_delay_alu instid0(SALU_CYCLE_1)
	s_and_not1_b32 vcc_lo, exec_lo, s7
	s_cbranch_vccnz .LBB55_1575
; %bb.1574:
	global_load_u16 v5, v[8:9], off
	s_wait_loadcnt 0x0
	s_wait_xcnt 0x1
	v_cvt_f16_u16_e32 v10, v5
.LBB55_1575:
	s_mov_b32 s7, 0
.LBB55_1576:
	s_delay_alu instid0(SALU_CYCLE_1)
	s_and_not1_b32 vcc_lo, exec_lo, s7
	s_cbranch_vccnz .LBB55_1584
; %bb.1577:
	global_load_u8 v5, v[8:9], off
	s_mov_b32 s7, 0
	s_mov_b32 s11, exec_lo
	s_wait_loadcnt 0x0
	v_cmpx_lt_i16_e32 0x7f, v5
	s_xor_b32 s11, exec_lo, s11
	s_cbranch_execz .LBB55_1598
; %bb.1578:
	s_mov_b32 s7, -1
	s_mov_b32 s12, exec_lo
	v_cmpx_eq_u16_e32 0x80, v5
; %bb.1579:
	s_xor_b32 s7, exec_lo, -1
; %bb.1580:
	s_or_b32 exec_lo, exec_lo, s12
	s_delay_alu instid0(SALU_CYCLE_1)
	s_and_b32 s7, s7, exec_lo
	s_or_saveexec_b32 s11, s11
	v_mov_b32_e32 v10, 0x7e00
	s_xor_b32 exec_lo, exec_lo, s11
	s_cbranch_execnz .LBB55_1599
.LBB55_1581:
	s_or_b32 exec_lo, exec_lo, s11
	s_and_saveexec_b32 s11, s7
	s_cbranch_execz .LBB55_1583
.LBB55_1582:
	v_and_b32_e32 v7, 0xffff, v5
	s_delay_alu instid0(VALU_DEP_1) | instskip(SKIP_1) | instid1(VALU_DEP_2)
	v_dual_lshlrev_b32 v5, 24, v5 :: v_dual_bitop2_b32 v10, 7, v7 bitop3:0x40
	v_bfe_u32 v14, v7, 3, 4
	v_and_b32_e32 v5, 0x80000000, v5
	s_delay_alu instid0(VALU_DEP_3) | instskip(NEXT) | instid1(VALU_DEP_3)
	v_clz_i32_u32_e32 v11, v10
	v_cmp_eq_u32_e32 vcc_lo, 0, v14
	s_delay_alu instid0(VALU_DEP_2) | instskip(NEXT) | instid1(VALU_DEP_1)
	v_min_u32_e32 v11, 32, v11
	v_subrev_nc_u32_e32 v13, 28, v11
	v_sub_nc_u32_e32 v11, 29, v11
	s_delay_alu instid0(VALU_DEP_2) | instskip(NEXT) | instid1(VALU_DEP_2)
	v_lshlrev_b32_e32 v7, v13, v7
	v_cndmask_b32_e32 v11, v14, v11, vcc_lo
	s_delay_alu instid0(VALU_DEP_2) | instskip(NEXT) | instid1(VALU_DEP_1)
	v_and_b32_e32 v7, 7, v7
	v_cndmask_b32_e32 v7, v10, v7, vcc_lo
	s_delay_alu instid0(VALU_DEP_3) | instskip(NEXT) | instid1(VALU_DEP_2)
	v_lshl_add_u32 v10, v11, 23, 0x3b800000
	v_lshlrev_b32_e32 v7, 20, v7
	s_delay_alu instid0(VALU_DEP_1) | instskip(NEXT) | instid1(VALU_DEP_1)
	v_or3_b32 v5, v5, v10, v7
	v_cvt_f16_f32_e32 v10, v5
.LBB55_1583:
	s_or_b32 exec_lo, exec_lo, s11
.LBB55_1584:
	s_mov_b32 s7, -1
.LBB55_1585:
	s_mov_b32 s11, 0
.LBB55_1586:
	s_delay_alu instid0(SALU_CYCLE_1)
	s_and_b32 vcc_lo, exec_lo, s11
	s_cbranch_vccz .LBB55_1619
; %bb.1587:
	s_cmp_gt_i32 s0, 22
	s_cbranch_scc0 .LBB55_1597
; %bb.1588:
	s_cmp_lt_i32 s0, 24
	s_cbranch_scc1 .LBB55_1600
; %bb.1589:
	s_cmp_gt_i32 s0, 24
	s_cbranch_scc0 .LBB55_1601
; %bb.1590:
	global_load_u8 v5, v[8:9], off
	s_mov_b32 s7, exec_lo
	s_wait_loadcnt 0x0
	v_cmpx_lt_i16_e32 0x7f, v5
	s_xor_b32 s7, exec_lo, s7
	s_cbranch_execz .LBB55_1613
; %bb.1591:
	s_mov_b32 s6, -1
	s_mov_b32 s11, exec_lo
	v_cmpx_eq_u16_e32 0x80, v5
; %bb.1592:
	s_xor_b32 s6, exec_lo, -1
; %bb.1593:
	s_or_b32 exec_lo, exec_lo, s11
	s_delay_alu instid0(SALU_CYCLE_1)
	s_and_b32 s6, s6, exec_lo
	s_or_saveexec_b32 s7, s7
	v_mov_b32_e32 v10, 0x7e00
	s_xor_b32 exec_lo, exec_lo, s7
	s_cbranch_execnz .LBB55_1614
.LBB55_1594:
	s_or_b32 exec_lo, exec_lo, s7
	s_and_saveexec_b32 s7, s6
	s_cbranch_execz .LBB55_1596
.LBB55_1595:
	v_and_b32_e32 v7, 0xffff, v5
	s_delay_alu instid0(VALU_DEP_1) | instskip(SKIP_1) | instid1(VALU_DEP_2)
	v_dual_lshlrev_b32 v5, 24, v5 :: v_dual_bitop2_b32 v10, 3, v7 bitop3:0x40
	v_bfe_u32 v14, v7, 2, 5
	v_and_b32_e32 v5, 0x80000000, v5
	s_delay_alu instid0(VALU_DEP_3) | instskip(NEXT) | instid1(VALU_DEP_3)
	v_clz_i32_u32_e32 v11, v10
	v_cmp_eq_u32_e32 vcc_lo, 0, v14
	s_delay_alu instid0(VALU_DEP_2) | instskip(NEXT) | instid1(VALU_DEP_1)
	v_min_u32_e32 v11, 32, v11
	v_subrev_nc_u32_e32 v13, 29, v11
	v_sub_nc_u32_e32 v11, 30, v11
	s_delay_alu instid0(VALU_DEP_2) | instskip(NEXT) | instid1(VALU_DEP_2)
	v_lshlrev_b32_e32 v7, v13, v7
	v_cndmask_b32_e32 v11, v14, v11, vcc_lo
	s_delay_alu instid0(VALU_DEP_2) | instskip(NEXT) | instid1(VALU_DEP_1)
	v_and_b32_e32 v7, 3, v7
	v_cndmask_b32_e32 v7, v10, v7, vcc_lo
	s_delay_alu instid0(VALU_DEP_3) | instskip(NEXT) | instid1(VALU_DEP_2)
	v_lshl_add_u32 v10, v11, 23, 0x37800000
	v_lshlrev_b32_e32 v7, 21, v7
	s_delay_alu instid0(VALU_DEP_1) | instskip(NEXT) | instid1(VALU_DEP_1)
	v_or3_b32 v5, v5, v10, v7
	v_cvt_f16_f32_e32 v10, v5
.LBB55_1596:
	s_or_b32 exec_lo, exec_lo, s7
	s_mov_b32 s6, 0
	s_branch .LBB55_1602
.LBB55_1597:
	s_mov_b32 s6, -1
                                        ; implicit-def: $vgpr10
	s_branch .LBB55_1608
.LBB55_1598:
	s_or_saveexec_b32 s11, s11
	v_mov_b32_e32 v10, 0x7e00
	s_xor_b32 exec_lo, exec_lo, s11
	s_cbranch_execz .LBB55_1581
.LBB55_1599:
	v_cmp_ne_u16_e32 vcc_lo, 0, v5
	v_mov_b32_e32 v10, v5
	s_and_not1_b32 s7, s7, exec_lo
	s_and_b32 s12, vcc_lo, exec_lo
	s_delay_alu instid0(SALU_CYCLE_1)
	s_or_b32 s7, s7, s12
	s_or_b32 exec_lo, exec_lo, s11
	s_and_saveexec_b32 s11, s7
	s_cbranch_execnz .LBB55_1582
	s_branch .LBB55_1583
.LBB55_1600:
	s_mov_b32 s6, -1
                                        ; implicit-def: $vgpr10
	s_branch .LBB55_1605
.LBB55_1601:
	s_mov_b32 s6, -1
                                        ; implicit-def: $vgpr10
.LBB55_1602:
	s_delay_alu instid0(SALU_CYCLE_1)
	s_and_b32 vcc_lo, exec_lo, s6
	s_cbranch_vccz .LBB55_1604
; %bb.1603:
	global_load_u8 v5, v[8:9], off
	s_wait_loadcnt 0x0
	v_lshlrev_b32_e32 v5, 24, v5
	s_delay_alu instid0(VALU_DEP_1) | instskip(SKIP_1) | instid1(VALU_DEP_1)
	v_and_b32_e32 v7, 0x7f000000, v5
	s_wait_xcnt 0x1
	v_clz_i32_u32_e32 v10, v7
	v_add_nc_u32_e32 v13, 0x1000000, v7
	v_cmp_ne_u32_e32 vcc_lo, 0, v7
	s_delay_alu instid0(VALU_DEP_3) | instskip(NEXT) | instid1(VALU_DEP_1)
	v_min_u32_e32 v10, 32, v10
	v_sub_nc_u32_e64 v10, v10, 4 clamp
	s_delay_alu instid0(VALU_DEP_1) | instskip(NEXT) | instid1(VALU_DEP_1)
	v_dual_lshlrev_b32 v11, v10, v7 :: v_dual_lshlrev_b32 v10, 23, v10
	v_lshrrev_b32_e32 v11, 4, v11
	s_delay_alu instid0(VALU_DEP_1) | instskip(NEXT) | instid1(VALU_DEP_1)
	v_dual_sub_nc_u32 v10, v11, v10 :: v_dual_ashrrev_i32 v11, 8, v13
	v_add_nc_u32_e32 v10, 0x3c000000, v10
	s_delay_alu instid0(VALU_DEP_1) | instskip(NEXT) | instid1(VALU_DEP_1)
	v_and_or_b32 v10, 0x7f800000, v11, v10
	v_cndmask_b32_e32 v7, 0, v10, vcc_lo
	s_delay_alu instid0(VALU_DEP_1) | instskip(NEXT) | instid1(VALU_DEP_1)
	v_and_or_b32 v5, 0x80000000, v5, v7
	v_cvt_f16_f32_e32 v10, v5
.LBB55_1604:
	s_mov_b32 s6, 0
.LBB55_1605:
	s_delay_alu instid0(SALU_CYCLE_1)
	s_and_not1_b32 vcc_lo, exec_lo, s6
	s_cbranch_vccnz .LBB55_1607
; %bb.1606:
	global_load_u8 v5, v[8:9], off
	s_wait_loadcnt 0x0
	v_lshlrev_b32_e32 v7, 25, v5
	v_lshlrev_b16 v5, 8, v5
	s_wait_xcnt 0x1
	s_delay_alu instid0(VALU_DEP_1) | instskip(SKIP_1) | instid1(VALU_DEP_2)
	v_and_or_b32 v11, 0x7f00, v5, 0.5
	v_bfe_i32 v5, v5, 0, 16
	v_add_f32_e32 v11, -0.5, v11
	v_lshrrev_b32_e32 v10, 4, v7
	v_cmp_gt_u32_e32 vcc_lo, 0x8000000, v7
	s_delay_alu instid0(VALU_DEP_2) | instskip(NEXT) | instid1(VALU_DEP_1)
	v_or_b32_e32 v10, 0x70000000, v10
	v_mul_f32_e32 v10, 0x7800000, v10
	s_delay_alu instid0(VALU_DEP_1) | instskip(NEXT) | instid1(VALU_DEP_1)
	v_cndmask_b32_e32 v7, v10, v11, vcc_lo
	v_and_or_b32 v5, 0x80000000, v5, v7
	s_delay_alu instid0(VALU_DEP_1)
	v_cvt_f16_f32_e32 v10, v5
.LBB55_1607:
	s_mov_b32 s6, 0
	s_mov_b32 s7, -1
.LBB55_1608:
	s_and_not1_b32 vcc_lo, exec_lo, s6
	s_mov_b32 s6, 0
	s_cbranch_vccnz .LBB55_1619
; %bb.1609:
	s_cmp_gt_i32 s0, 14
	s_cbranch_scc0 .LBB55_1612
; %bb.1610:
	s_cmp_eq_u32 s0, 15
	s_cbranch_scc0 .LBB55_1615
; %bb.1611:
	global_load_u16 v5, v[8:9], off
	s_mov_b32 s1, 0
	s_mov_b32 s7, -1
	s_wait_loadcnt 0x0
	v_lshlrev_b32_e32 v5, 16, v5
	s_wait_xcnt 0x1
	s_delay_alu instid0(VALU_DEP_1)
	v_cvt_f16_f32_e32 v10, v5
	s_branch .LBB55_1617
.LBB55_1612:
	s_mov_b32 s6, -1
	s_branch .LBB55_1616
.LBB55_1613:
	s_or_saveexec_b32 s7, s7
	v_mov_b32_e32 v10, 0x7e00
	s_xor_b32 exec_lo, exec_lo, s7
	s_cbranch_execz .LBB55_1594
.LBB55_1614:
	v_cmp_ne_u16_e32 vcc_lo, 0, v5
	v_mov_b32_e32 v10, v5
	s_and_not1_b32 s6, s6, exec_lo
	s_and_b32 s11, vcc_lo, exec_lo
	s_delay_alu instid0(SALU_CYCLE_1)
	s_or_b32 s6, s6, s11
	s_or_b32 exec_lo, exec_lo, s7
	s_and_saveexec_b32 s7, s6
	s_cbranch_execnz .LBB55_1595
	s_branch .LBB55_1596
.LBB55_1615:
	s_mov_b32 s1, -1
.LBB55_1616:
                                        ; implicit-def: $vgpr10
.LBB55_1617:
	s_and_b32 vcc_lo, exec_lo, s6
	s_mov_b32 s6, 0
	s_cbranch_vccz .LBB55_1619
; %bb.1618:
	s_cmp_lg_u32 s0, 11
	s_mov_b32 s6, -1
	s_cselect_b32 s1, -1, 0
.LBB55_1619:
	s_delay_alu instid0(SALU_CYCLE_1)
	s_and_b32 vcc_lo, exec_lo, s1
	s_cbranch_vccnz .LBB55_2152
; %bb.1620:
	s_and_not1_b32 vcc_lo, exec_lo, s6
	s_cbranch_vccnz .LBB55_1622
.LBB55_1621:
	global_load_u8 v5, v[8:9], off
	s_mov_b32 s7, -1
	s_wait_loadcnt 0x0
	v_cmp_ne_u16_e32 vcc_lo, 0, v5
	s_wait_xcnt 0x1
	v_cndmask_b32_e64 v10, 0, 0x3c00, vcc_lo
.LBB55_1622:
	s_mov_b32 s1, 0
.LBB55_1623:
	s_delay_alu instid0(SALU_CYCLE_1)
	s_and_b32 vcc_lo, exec_lo, s1
	s_cbranch_vccz .LBB55_1672
; %bb.1624:
	s_cmp_lt_i32 s0, 5
	s_cbranch_scc1 .LBB55_1629
; %bb.1625:
	s_cmp_lt_i32 s0, 8
	s_cbranch_scc1 .LBB55_1630
	;; [unrolled: 3-line block ×3, first 2 shown]
; %bb.1627:
	s_cmp_gt_i32 s0, 9
	s_cbranch_scc0 .LBB55_1632
; %bb.1628:
	global_load_b64 v[10:11], v[8:9], off
	s_mov_b32 s1, 0
	s_wait_loadcnt 0x0
	v_and_or_b32 v5, 0x1ff, v11, v10
	v_lshrrev_b32_e32 v7, 8, v11
	v_bfe_u32 v10, v11, 20, 11
	s_delay_alu instid0(VALU_DEP_3) | instskip(NEXT) | instid1(VALU_DEP_2)
	v_cmp_ne_u32_e32 vcc_lo, 0, v5
	v_sub_nc_u32_e32 v13, 0x3f1, v10
	v_add_nc_u32_e32 v10, 0xfffffc10, v10
	v_cndmask_b32_e64 v5, 0, 1, vcc_lo
	s_delay_alu instid0(VALU_DEP_1) | instskip(NEXT) | instid1(VALU_DEP_4)
	v_and_or_b32 v5, 0xffe, v7, v5
	v_med3_i32 v7, v13, 0, 13
	s_delay_alu instid0(VALU_DEP_2) | instskip(NEXT) | instid1(VALU_DEP_1)
	v_or_b32_e32 v13, 0x1000, v5
	v_lshrrev_b32_e32 v14, v7, v13
	s_delay_alu instid0(VALU_DEP_1) | instskip(NEXT) | instid1(VALU_DEP_1)
	v_lshlrev_b32_e32 v7, v7, v14
	v_cmp_ne_u32_e32 vcc_lo, v7, v13
	v_lshl_or_b32 v13, v10, 12, v5
	v_cndmask_b32_e64 v7, 0, 1, vcc_lo
	v_cmp_gt_i32_e32 vcc_lo, 1, v10
	s_delay_alu instid0(VALU_DEP_2) | instskip(NEXT) | instid1(VALU_DEP_1)
	v_or_b32_e32 v7, v14, v7
	v_cndmask_b32_e32 v7, v13, v7, vcc_lo
	s_delay_alu instid0(VALU_DEP_1) | instskip(NEXT) | instid1(VALU_DEP_1)
	v_dual_lshrrev_b32 v7, 2, v7 :: v_dual_bitop2_b32 v13, 7, v7 bitop3:0x40
	v_cmp_lt_i32_e32 vcc_lo, 5, v13
	v_cndmask_b32_e64 v14, 0, 1, vcc_lo
	v_cmp_eq_u32_e32 vcc_lo, 3, v13
	v_cndmask_b32_e64 v13, 0, 1, vcc_lo
	v_cmp_ne_u32_e32 vcc_lo, 0, v5
	s_delay_alu instid0(VALU_DEP_2) | instskip(NEXT) | instid1(VALU_DEP_1)
	v_or_b32_e32 v13, v13, v14
	v_dual_mov_b32 v14, 0x7e00 :: v_dual_add_nc_u32 v7, v7, v13
	s_delay_alu instid0(VALU_DEP_1) | instskip(SKIP_1) | instid1(VALU_DEP_3)
	v_cndmask_b32_e32 v5, 0x7c00, v14, vcc_lo
	v_cmp_gt_i32_e32 vcc_lo, 31, v10
	v_cndmask_b32_e32 v7, 0x7c00, v7, vcc_lo
	v_cmp_eq_u32_e32 vcc_lo, 0x40f, v10
	s_delay_alu instid0(VALU_DEP_2) | instskip(NEXT) | instid1(VALU_DEP_1)
	v_dual_cndmask_b32 v5, v7, v5, vcc_lo :: v_dual_lshrrev_b32 v7, 16, v11
	v_and_or_b32 v10, 0x8000, v7, v5
	s_branch .LBB55_1633
.LBB55_1629:
	s_mov_b32 s1, -1
                                        ; implicit-def: $vgpr10
	s_branch .LBB55_1651
.LBB55_1630:
	s_mov_b32 s1, -1
                                        ; implicit-def: $vgpr10
	s_branch .LBB55_1639
.LBB55_1631:
	s_mov_b32 s1, -1
                                        ; implicit-def: $vgpr10
	s_branch .LBB55_1636
.LBB55_1632:
	s_mov_b32 s1, -1
                                        ; implicit-def: $vgpr10
.LBB55_1633:
	s_delay_alu instid0(SALU_CYCLE_1)
	s_and_not1_b32 vcc_lo, exec_lo, s1
	s_cbranch_vccnz .LBB55_1635
; %bb.1634:
	global_load_b32 v5, v[8:9], off
	s_wait_loadcnt 0x0
	s_wait_xcnt 0x1
	v_cvt_f16_f32_e32 v10, v5
.LBB55_1635:
	s_mov_b32 s1, 0
.LBB55_1636:
	s_delay_alu instid0(SALU_CYCLE_1)
	s_and_not1_b32 vcc_lo, exec_lo, s1
	s_cbranch_vccnz .LBB55_1638
; %bb.1637:
	global_load_b32 v10, v[8:9], off
.LBB55_1638:
	s_mov_b32 s1, 0
.LBB55_1639:
	s_delay_alu instid0(SALU_CYCLE_1)
	s_and_not1_b32 vcc_lo, exec_lo, s1
	s_cbranch_vccnz .LBB55_1650
; %bb.1640:
	s_cmp_lt_i32 s0, 6
	s_cbranch_scc1 .LBB55_1643
; %bb.1641:
	s_cmp_gt_i32 s0, 6
	s_cbranch_scc0 .LBB55_1644
; %bb.1642:
	s_wait_loadcnt 0x0
	global_load_b64 v[10:11], v[8:9], off
	s_mov_b32 s1, 0
	s_wait_loadcnt 0x0
	v_and_or_b32 v5, 0x1ff, v11, v10
	v_lshrrev_b32_e32 v7, 8, v11
	v_bfe_u32 v10, v11, 20, 11
	s_delay_alu instid0(VALU_DEP_3) | instskip(NEXT) | instid1(VALU_DEP_2)
	v_cmp_ne_u32_e32 vcc_lo, 0, v5
	v_sub_nc_u32_e32 v13, 0x3f1, v10
	v_add_nc_u32_e32 v10, 0xfffffc10, v10
	v_cndmask_b32_e64 v5, 0, 1, vcc_lo
	s_delay_alu instid0(VALU_DEP_1) | instskip(NEXT) | instid1(VALU_DEP_4)
	v_and_or_b32 v5, 0xffe, v7, v5
	v_med3_i32 v7, v13, 0, 13
	s_delay_alu instid0(VALU_DEP_2) | instskip(NEXT) | instid1(VALU_DEP_1)
	v_or_b32_e32 v13, 0x1000, v5
	v_lshrrev_b32_e32 v14, v7, v13
	s_delay_alu instid0(VALU_DEP_1) | instskip(NEXT) | instid1(VALU_DEP_1)
	v_lshlrev_b32_e32 v7, v7, v14
	v_cmp_ne_u32_e32 vcc_lo, v7, v13
	v_lshl_or_b32 v13, v10, 12, v5
	v_cndmask_b32_e64 v7, 0, 1, vcc_lo
	v_cmp_gt_i32_e32 vcc_lo, 1, v10
	s_delay_alu instid0(VALU_DEP_2) | instskip(NEXT) | instid1(VALU_DEP_1)
	v_or_b32_e32 v7, v14, v7
	v_cndmask_b32_e32 v7, v13, v7, vcc_lo
	s_delay_alu instid0(VALU_DEP_1) | instskip(NEXT) | instid1(VALU_DEP_1)
	v_dual_lshrrev_b32 v7, 2, v7 :: v_dual_bitop2_b32 v13, 7, v7 bitop3:0x40
	v_cmp_lt_i32_e32 vcc_lo, 5, v13
	v_cndmask_b32_e64 v14, 0, 1, vcc_lo
	v_cmp_eq_u32_e32 vcc_lo, 3, v13
	v_cndmask_b32_e64 v13, 0, 1, vcc_lo
	v_cmp_ne_u32_e32 vcc_lo, 0, v5
	s_delay_alu instid0(VALU_DEP_2) | instskip(NEXT) | instid1(VALU_DEP_1)
	v_or_b32_e32 v13, v13, v14
	v_dual_mov_b32 v14, 0x7e00 :: v_dual_add_nc_u32 v7, v7, v13
	s_delay_alu instid0(VALU_DEP_1) | instskip(SKIP_1) | instid1(VALU_DEP_3)
	v_cndmask_b32_e32 v5, 0x7c00, v14, vcc_lo
	v_cmp_gt_i32_e32 vcc_lo, 31, v10
	v_cndmask_b32_e32 v7, 0x7c00, v7, vcc_lo
	v_cmp_eq_u32_e32 vcc_lo, 0x40f, v10
	s_delay_alu instid0(VALU_DEP_2) | instskip(NEXT) | instid1(VALU_DEP_1)
	v_dual_cndmask_b32 v5, v7, v5, vcc_lo :: v_dual_lshrrev_b32 v7, 16, v11
	v_and_or_b32 v10, 0x8000, v7, v5
	s_branch .LBB55_1645
.LBB55_1643:
	s_mov_b32 s1, -1
                                        ; implicit-def: $vgpr10
	s_branch .LBB55_1648
.LBB55_1644:
	s_mov_b32 s1, -1
                                        ; implicit-def: $vgpr10
.LBB55_1645:
	s_delay_alu instid0(SALU_CYCLE_1)
	s_and_not1_b32 vcc_lo, exec_lo, s1
	s_cbranch_vccnz .LBB55_1647
; %bb.1646:
	global_load_b32 v5, v[8:9], off
	s_wait_loadcnt 0x0
	s_wait_xcnt 0x1
	v_cvt_f16_f32_e32 v10, v5
.LBB55_1647:
	s_mov_b32 s1, 0
.LBB55_1648:
	s_delay_alu instid0(SALU_CYCLE_1)
	s_and_not1_b32 vcc_lo, exec_lo, s1
	s_cbranch_vccnz .LBB55_1650
; %bb.1649:
	s_wait_loadcnt 0x0
	global_load_u16 v10, v[8:9], off
.LBB55_1650:
	s_mov_b32 s1, 0
.LBB55_1651:
	s_delay_alu instid0(SALU_CYCLE_1)
	s_and_not1_b32 vcc_lo, exec_lo, s1
	s_cbranch_vccnz .LBB55_1671
; %bb.1652:
	s_cmp_lt_i32 s0, 2
	s_cbranch_scc1 .LBB55_1656
; %bb.1653:
	s_cmp_lt_i32 s0, 3
	s_cbranch_scc1 .LBB55_1657
; %bb.1654:
	s_cmp_gt_i32 s0, 3
	s_cbranch_scc0 .LBB55_1658
; %bb.1655:
	s_wait_loadcnt 0x0
	global_load_b64 v[10:11], v[8:9], off
	s_mov_b32 s1, 0
	s_wait_loadcnt 0x0
	v_xor_b32_e32 v5, v10, v11
	v_cls_i32_e32 v7, v11
	s_delay_alu instid0(VALU_DEP_2) | instskip(NEXT) | instid1(VALU_DEP_1)
	v_ashrrev_i32_e32 v5, 31, v5
	v_add_nc_u32_e32 v5, 32, v5
	s_delay_alu instid0(VALU_DEP_1) | instskip(NEXT) | instid1(VALU_DEP_1)
	v_add_min_u32_e64 v5, v7, -1, v5
	v_lshlrev_b64_e32 v[10:11], v5, v[10:11]
	v_sub_nc_u32_e32 v5, 32, v5
	s_delay_alu instid0(VALU_DEP_2) | instskip(NEXT) | instid1(VALU_DEP_1)
	v_min_u32_e32 v7, 1, v10
	v_or_b32_e32 v7, v11, v7
	s_delay_alu instid0(VALU_DEP_1) | instskip(NEXT) | instid1(VALU_DEP_1)
	v_cvt_f32_i32_e32 v7, v7
	v_ldexp_f32 v5, v7, v5
	s_delay_alu instid0(VALU_DEP_1)
	v_cvt_f16_f32_e32 v10, v5
	s_branch .LBB55_1659
.LBB55_1656:
	s_mov_b32 s1, -1
                                        ; implicit-def: $vgpr10
	s_branch .LBB55_1665
.LBB55_1657:
	s_mov_b32 s1, -1
                                        ; implicit-def: $vgpr10
	s_branch .LBB55_1662
.LBB55_1658:
	s_mov_b32 s1, -1
                                        ; implicit-def: $vgpr10
.LBB55_1659:
	s_delay_alu instid0(SALU_CYCLE_1)
	s_and_not1_b32 vcc_lo, exec_lo, s1
	s_cbranch_vccnz .LBB55_1661
; %bb.1660:
	global_load_b32 v5, v[8:9], off
	s_wait_loadcnt 0x0
	v_cvt_f32_i32_e32 v5, v5
	s_wait_xcnt 0x1
	s_delay_alu instid0(VALU_DEP_1)
	v_cvt_f16_f32_e32 v10, v5
.LBB55_1661:
	s_mov_b32 s1, 0
.LBB55_1662:
	s_delay_alu instid0(SALU_CYCLE_1)
	s_and_not1_b32 vcc_lo, exec_lo, s1
	s_cbranch_vccnz .LBB55_1664
; %bb.1663:
	global_load_u16 v5, v[8:9], off
	s_wait_loadcnt 0x0
	s_wait_xcnt 0x1
	v_cvt_f16_i16_e32 v10, v5
.LBB55_1664:
	s_mov_b32 s1, 0
.LBB55_1665:
	s_delay_alu instid0(SALU_CYCLE_1)
	s_and_not1_b32 vcc_lo, exec_lo, s1
	s_cbranch_vccnz .LBB55_1671
; %bb.1666:
	s_cmp_gt_i32 s0, 0
	s_mov_b32 s0, 0
	s_cbranch_scc0 .LBB55_1668
; %bb.1667:
	global_load_i8 v5, v[8:9], off
	s_wait_loadcnt 0x0
	s_wait_xcnt 0x1
	v_cvt_f16_i16_e32 v10, v5
	s_branch .LBB55_1669
.LBB55_1668:
	s_mov_b32 s0, -1
                                        ; implicit-def: $vgpr10
.LBB55_1669:
	s_delay_alu instid0(SALU_CYCLE_1)
	s_and_not1_b32 vcc_lo, exec_lo, s0
	s_cbranch_vccnz .LBB55_1671
; %bb.1670:
	global_load_u8 v5, v[8:9], off
	s_wait_loadcnt 0x0
	s_wait_xcnt 0x1
	v_cvt_f16_u16_e32 v10, v5
.LBB55_1671:
	s_mov_b32 s7, -1
.LBB55_1672:
	s_delay_alu instid0(SALU_CYCLE_1)
	s_and_not1_b32 vcc_lo, exec_lo, s7
	s_cbranch_vccnz .LBB55_2106
; %bb.1673:
	v_mov_b32_e32 v7, 0
	s_wait_loadcnt 0x0
	v_cmp_eq_f16_e64 s0, 0x7c00, v1
	global_load_u8 v5, v7, s[2:3] offset:345
	s_wait_xcnt 0x0
	v_add_nc_u64_e32 v[6:7], s[4:5], v[6:7]
	s_wait_loadcnt 0x0
	v_and_b32_e32 v8, 0xffff, v5
	v_readfirstlane_b32 s6, v5
	s_delay_alu instid0(VALU_DEP_2)
	v_cmp_gt_i32_e32 vcc_lo, 11, v8
	s_cbranch_vccnz .LBB55_1751
; %bb.1674:
	s_and_b32 s2, 0xffff, s6
	s_mov_b32 s11, -1
	s_mov_b32 s3, 0
	s_cmp_gt_i32 s2, 25
	s_mov_b32 s7, 0
	s_mov_b32 s1, 0
	s_cbranch_scc0 .LBB55_1707
; %bb.1675:
	s_cmp_gt_i32 s2, 28
	s_cbranch_scc0 .LBB55_1690
; %bb.1676:
	s_cmp_gt_i32 s2, 43
	;; [unrolled: 3-line block ×3, first 2 shown]
	s_cbranch_scc0 .LBB55_1680
; %bb.1678:
	s_mov_b32 s1, -1
	s_mov_b32 s11, 0
	s_cmp_eq_u32 s2, 46
	s_cbranch_scc0 .LBB55_1680
; %bb.1679:
	v_cndmask_b32_e64 v1, 0, 1.0, s0
	s_mov_b32 s1, 0
	s_mov_b32 s7, -1
	s_delay_alu instid0(VALU_DEP_1) | instskip(NEXT) | instid1(VALU_DEP_1)
	v_bfe_u32 v5, v1, 16, 1
	v_add3_u32 v1, v1, v5, 0x7fff
	s_delay_alu instid0(VALU_DEP_1)
	v_lshrrev_b32_e32 v1, 16, v1
	global_store_b32 v[6:7], v1, off
.LBB55_1680:
	s_and_b32 vcc_lo, exec_lo, s11
	s_cbranch_vccz .LBB55_1685
; %bb.1681:
	s_cmp_eq_u32 s2, 44
	s_mov_b32 s1, -1
	s_cbranch_scc0 .LBB55_1685
; %bb.1682:
	v_cndmask_b32_e64 v8, 0, 1.0, s0
	v_mov_b32_e32 v5, 0xff
	s_mov_b32 s7, exec_lo
	s_wait_xcnt 0x0
	s_delay_alu instid0(VALU_DEP_2) | instskip(NEXT) | instid1(VALU_DEP_1)
	v_lshrrev_b32_e32 v1, 23, v8
	v_cmpx_ne_u32_e32 0xff, v1
; %bb.1683:
	v_and_b32_e32 v5, 0x400000, v8
	v_and_or_b32 v8, 0x3fffff, v8, v1
	s_delay_alu instid0(VALU_DEP_2) | instskip(NEXT) | instid1(VALU_DEP_2)
	v_cmp_ne_u32_e32 vcc_lo, 0, v5
	v_cmp_ne_u32_e64 s1, 0, v8
	s_and_b32 s1, vcc_lo, s1
	s_delay_alu instid0(SALU_CYCLE_1) | instskip(NEXT) | instid1(VALU_DEP_1)
	v_cndmask_b32_e64 v5, 0, 1, s1
	v_add_nc_u32_e32 v5, v1, v5
; %bb.1684:
	s_or_b32 exec_lo, exec_lo, s7
	s_mov_b32 s1, 0
	s_mov_b32 s7, -1
	global_store_b8 v[6:7], v5, off
.LBB55_1685:
	s_mov_b32 s11, 0
.LBB55_1686:
	s_delay_alu instid0(SALU_CYCLE_1)
	s_and_b32 vcc_lo, exec_lo, s11
	s_cbranch_vccz .LBB55_1689
; %bb.1687:
	s_cmp_eq_u32 s2, 29
	s_mov_b32 s1, -1
	s_cbranch_scc0 .LBB55_1689
; %bb.1688:
	s_mov_b32 s1, 0
	v_cndmask_b32_e64 v8, 0, 1, s0
	v_mov_b32_e32 v9, s1
	s_mov_b32 s7, -1
	global_store_b64 v[6:7], v[8:9], off
.LBB55_1689:
	s_mov_b32 s11, 0
.LBB55_1690:
	s_delay_alu instid0(SALU_CYCLE_1)
	s_and_b32 vcc_lo, exec_lo, s11
	s_cbranch_vccz .LBB55_1706
; %bb.1691:
	s_cmp_lt_i32 s2, 27
	s_mov_b32 s7, -1
	s_cbranch_scc1 .LBB55_1697
; %bb.1692:
	s_cmp_gt_i32 s2, 27
	s_cbranch_scc0 .LBB55_1694
; %bb.1693:
	s_wait_xcnt 0x0
	v_cndmask_b32_e64 v1, 0, 1, s0
	s_mov_b32 s7, 0
	global_store_b32 v[6:7], v1, off
.LBB55_1694:
	s_and_not1_b32 vcc_lo, exec_lo, s7
	s_cbranch_vccnz .LBB55_1696
; %bb.1695:
	s_wait_xcnt 0x0
	v_cndmask_b32_e64 v1, 0, 1, s0
	global_store_b16 v[6:7], v1, off
.LBB55_1696:
	s_mov_b32 s7, 0
.LBB55_1697:
	s_delay_alu instid0(SALU_CYCLE_1)
	s_and_not1_b32 vcc_lo, exec_lo, s7
	s_cbranch_vccnz .LBB55_1705
; %bb.1698:
	s_wait_xcnt 0x0
	v_cndmask_b32_e64 v5, 0, 1.0, s0
	v_mov_b32_e32 v8, 0x80
	s_mov_b32 s7, exec_lo
	s_delay_alu instid0(VALU_DEP_2)
	v_cmpx_gt_u32_e32 0x43800000, v5
	s_cbranch_execz .LBB55_1704
; %bb.1699:
	s_mov_b32 s11, 0
	s_mov_b32 s12, exec_lo
                                        ; implicit-def: $vgpr1
	v_cmpx_lt_u32_e32 0x3bffffff, v5
	s_xor_b32 s12, exec_lo, s12
	s_cbranch_execz .LBB55_2153
; %bb.1700:
	v_bfe_u32 v1, v5, 20, 1
	s_mov_b32 s11, exec_lo
	s_delay_alu instid0(VALU_DEP_1) | instskip(NEXT) | instid1(VALU_DEP_1)
	v_add3_u32 v1, v5, v1, 0x487ffff
                                        ; implicit-def: $vgpr5
	v_lshrrev_b32_e32 v1, 20, v1
	s_and_not1_saveexec_b32 s12, s12
	s_cbranch_execnz .LBB55_2154
.LBB55_1701:
	s_or_b32 exec_lo, exec_lo, s12
	v_mov_b32_e32 v8, 0
	s_and_saveexec_b32 s12, s11
.LBB55_1702:
	v_mov_b32_e32 v8, v1
.LBB55_1703:
	s_or_b32 exec_lo, exec_lo, s12
.LBB55_1704:
	s_delay_alu instid0(SALU_CYCLE_1)
	s_or_b32 exec_lo, exec_lo, s7
	global_store_b8 v[6:7], v8, off
.LBB55_1705:
	s_mov_b32 s7, -1
.LBB55_1706:
	s_mov_b32 s11, 0
.LBB55_1707:
	s_delay_alu instid0(SALU_CYCLE_1)
	s_and_b32 vcc_lo, exec_lo, s11
	s_cbranch_vccz .LBB55_1747
; %bb.1708:
	s_cmp_gt_i32 s2, 22
	s_mov_b32 s3, -1
	s_cbranch_scc0 .LBB55_1740
; %bb.1709:
	s_cmp_lt_i32 s2, 24
	s_cbranch_scc1 .LBB55_1729
; %bb.1710:
	s_cmp_gt_i32 s2, 24
	s_cbranch_scc0 .LBB55_1718
; %bb.1711:
	s_wait_xcnt 0x0
	v_cndmask_b32_e64 v5, 0, 1.0, s0
	v_mov_b32_e32 v8, 0x80
	s_mov_b32 s3, exec_lo
	s_delay_alu instid0(VALU_DEP_2)
	v_cmpx_gt_u32_e32 0x47800000, v5
	s_cbranch_execz .LBB55_1717
; %bb.1712:
	s_mov_b32 s7, 0
	s_mov_b32 s11, exec_lo
                                        ; implicit-def: $vgpr1
	v_cmpx_lt_u32_e32 0x37ffffff, v5
	s_xor_b32 s11, exec_lo, s11
	s_cbranch_execz .LBB55_2156
; %bb.1713:
	v_bfe_u32 v1, v5, 21, 1
	s_mov_b32 s7, exec_lo
	s_delay_alu instid0(VALU_DEP_1) | instskip(NEXT) | instid1(VALU_DEP_1)
	v_add3_u32 v1, v5, v1, 0x88fffff
                                        ; implicit-def: $vgpr5
	v_lshrrev_b32_e32 v1, 21, v1
	s_and_not1_saveexec_b32 s11, s11
	s_cbranch_execnz .LBB55_2157
.LBB55_1714:
	s_or_b32 exec_lo, exec_lo, s11
	v_mov_b32_e32 v8, 0
	s_and_saveexec_b32 s11, s7
.LBB55_1715:
	v_mov_b32_e32 v8, v1
.LBB55_1716:
	s_or_b32 exec_lo, exec_lo, s11
.LBB55_1717:
	s_delay_alu instid0(SALU_CYCLE_1)
	s_or_b32 exec_lo, exec_lo, s3
	s_mov_b32 s3, 0
	global_store_b8 v[6:7], v8, off
.LBB55_1718:
	s_and_b32 vcc_lo, exec_lo, s3
	s_cbranch_vccz .LBB55_1728
; %bb.1719:
	s_wait_xcnt 0x0
	v_cndmask_b32_e64 v5, 0, 1.0, s0
	s_mov_b32 s3, exec_lo
                                        ; implicit-def: $vgpr1
	s_delay_alu instid0(VALU_DEP_1)
	v_cmpx_gt_u32_e32 0x43f00000, v5
	s_xor_b32 s3, exec_lo, s3
	s_cbranch_execz .LBB55_1725
; %bb.1720:
	s_mov_b32 s7, exec_lo
                                        ; implicit-def: $vgpr1
	v_cmpx_lt_u32_e32 0x3c7fffff, v5
	s_xor_b32 s7, exec_lo, s7
; %bb.1721:
	v_bfe_u32 v1, v5, 20, 1
	s_delay_alu instid0(VALU_DEP_1) | instskip(NEXT) | instid1(VALU_DEP_1)
	v_add3_u32 v1, v5, v1, 0x407ffff
	v_and_b32_e32 v5, 0xff00000, v1
	v_lshrrev_b32_e32 v1, 20, v1
	s_delay_alu instid0(VALU_DEP_2) | instskip(NEXT) | instid1(VALU_DEP_2)
	v_cmp_ne_u32_e32 vcc_lo, 0x7f00000, v5
                                        ; implicit-def: $vgpr5
	v_cndmask_b32_e32 v1, 0x7e, v1, vcc_lo
; %bb.1722:
	s_and_not1_saveexec_b32 s7, s7
; %bb.1723:
	v_add_f32_e32 v1, 0x46800000, v5
; %bb.1724:
	s_or_b32 exec_lo, exec_lo, s7
                                        ; implicit-def: $vgpr5
.LBB55_1725:
	s_and_not1_saveexec_b32 s3, s3
; %bb.1726:
	v_mov_b32_e32 v1, 0x7f
	v_cmp_lt_u32_e32 vcc_lo, 0x7f800000, v5
	s_delay_alu instid0(VALU_DEP_2)
	v_cndmask_b32_e32 v1, 0x7e, v1, vcc_lo
; %bb.1727:
	s_or_b32 exec_lo, exec_lo, s3
	global_store_b8 v[6:7], v1, off
.LBB55_1728:
	s_mov_b32 s3, 0
.LBB55_1729:
	s_delay_alu instid0(SALU_CYCLE_1)
	s_and_not1_b32 vcc_lo, exec_lo, s3
	s_cbranch_vccnz .LBB55_1739
; %bb.1730:
	s_wait_xcnt 0x0
	v_cndmask_b32_e64 v5, 0, 1.0, s0
	s_mov_b32 s3, exec_lo
                                        ; implicit-def: $vgpr1
	s_delay_alu instid0(VALU_DEP_1)
	v_cmpx_gt_u32_e32 0x47800000, v5
	s_xor_b32 s3, exec_lo, s3
	s_cbranch_execz .LBB55_1736
; %bb.1731:
	s_mov_b32 s7, exec_lo
                                        ; implicit-def: $vgpr1
	v_cmpx_lt_u32_e32 0x387fffff, v5
	s_xor_b32 s7, exec_lo, s7
; %bb.1732:
	v_bfe_u32 v1, v5, 21, 1
	s_delay_alu instid0(VALU_DEP_1) | instskip(NEXT) | instid1(VALU_DEP_1)
	v_add3_u32 v1, v5, v1, 0x80fffff
                                        ; implicit-def: $vgpr5
	v_lshrrev_b32_e32 v1, 21, v1
; %bb.1733:
	s_and_not1_saveexec_b32 s7, s7
; %bb.1734:
	v_add_f32_e32 v1, 0x43000000, v5
; %bb.1735:
	s_or_b32 exec_lo, exec_lo, s7
                                        ; implicit-def: $vgpr5
.LBB55_1736:
	s_and_not1_saveexec_b32 s3, s3
; %bb.1737:
	v_mov_b32_e32 v1, 0x7f
	v_cmp_lt_u32_e32 vcc_lo, 0x7f800000, v5
	s_delay_alu instid0(VALU_DEP_2)
	v_cndmask_b32_e32 v1, 0x7c, v1, vcc_lo
; %bb.1738:
	s_or_b32 exec_lo, exec_lo, s3
	global_store_b8 v[6:7], v1, off
.LBB55_1739:
	s_mov_b32 s3, 0
	s_mov_b32 s7, -1
.LBB55_1740:
	s_and_not1_b32 vcc_lo, exec_lo, s3
	s_mov_b32 s3, 0
	s_cbranch_vccnz .LBB55_1747
; %bb.1741:
	s_cmp_gt_i32 s2, 14
	s_mov_b32 s3, -1
	s_cbranch_scc0 .LBB55_1745
; %bb.1742:
	s_cmp_eq_u32 s2, 15
	s_mov_b32 s1, -1
	s_cbranch_scc0 .LBB55_1744
; %bb.1743:
	s_wait_xcnt 0x0
	v_cndmask_b32_e64 v1, 0, 1.0, s0
	s_mov_b32 s1, 0
	s_mov_b32 s7, -1
	s_delay_alu instid0(VALU_DEP_1) | instskip(NEXT) | instid1(VALU_DEP_1)
	v_bfe_u32 v5, v1, 16, 1
	v_add3_u32 v1, v1, v5, 0x7fff
	global_store_d16_hi_b16 v[6:7], v1, off
.LBB55_1744:
	s_mov_b32 s3, 0
.LBB55_1745:
	s_delay_alu instid0(SALU_CYCLE_1)
	s_and_b32 vcc_lo, exec_lo, s3
	s_mov_b32 s3, 0
	s_cbranch_vccz .LBB55_1747
; %bb.1746:
	s_cmp_lg_u32 s2, 11
	s_mov_b32 s3, -1
	s_cselect_b32 s1, -1, 0
.LBB55_1747:
	s_delay_alu instid0(SALU_CYCLE_1)
	s_and_b32 vcc_lo, exec_lo, s1
	s_cbranch_vccnz .LBB55_2155
; %bb.1748:
	s_and_not1_b32 vcc_lo, exec_lo, s3
	s_cbranch_vccnz .LBB55_1750
.LBB55_1749:
	s_wait_xcnt 0x0
	v_cndmask_b32_e64 v1, 0, 1, s0
	s_mov_b32 s7, -1
	global_store_b8 v[6:7], v1, off
.LBB55_1750:
	s_mov_b32 s1, 0
	s_branch .LBB55_1752
.LBB55_1751:
	s_mov_b32 s1, -1
	s_mov_b32 s7, 0
.LBB55_1752:
	s_and_b32 vcc_lo, exec_lo, s1
	s_cbranch_vccz .LBB55_1791
; %bb.1753:
	s_and_b32 s1, 0xffff, s6
	s_mov_b32 s2, -1
	s_cmp_lt_i32 s1, 5
	s_cbranch_scc1 .LBB55_1774
; %bb.1754:
	s_cmp_lt_i32 s1, 8
	s_cbranch_scc1 .LBB55_1764
; %bb.1755:
	;; [unrolled: 3-line block ×3, first 2 shown]
	s_cmp_gt_i32 s1, 9
	s_cbranch_scc0 .LBB55_1758
; %bb.1757:
	s_wait_xcnt 0x0
	v_cndmask_b32_e64 v1, 0, 1, s0
	v_mov_b32_e32 v16, 0
	s_mov_b32 s2, 0
	s_delay_alu instid0(VALU_DEP_2) | instskip(NEXT) | instid1(VALU_DEP_2)
	v_cvt_f64_u32_e32 v[14:15], v1
	v_mov_b32_e32 v17, v16
	global_store_b128 v[6:7], v[14:17], off
.LBB55_1758:
	s_and_not1_b32 vcc_lo, exec_lo, s2
	s_cbranch_vccnz .LBB55_1760
; %bb.1759:
	s_wait_xcnt 0x0
	v_cndmask_b32_e64 v8, 0, 1.0, s0
	v_mov_b32_e32 v9, 0
	global_store_b64 v[6:7], v[8:9], off
.LBB55_1760:
	s_mov_b32 s2, 0
.LBB55_1761:
	s_delay_alu instid0(SALU_CYCLE_1)
	s_and_not1_b32 vcc_lo, exec_lo, s2
	s_cbranch_vccnz .LBB55_1763
; %bb.1762:
	s_wait_xcnt 0x0
	v_cndmask_b32_e64 v1, 0, 1.0, s0
	s_delay_alu instid0(VALU_DEP_1) | instskip(NEXT) | instid1(VALU_DEP_1)
	v_cvt_f16_f32_e32 v1, v1
	v_and_b32_e32 v1, 0xffff, v1
	global_store_b32 v[6:7], v1, off
.LBB55_1763:
	s_mov_b32 s2, 0
.LBB55_1764:
	s_delay_alu instid0(SALU_CYCLE_1)
	s_and_not1_b32 vcc_lo, exec_lo, s2
	s_cbranch_vccnz .LBB55_1773
; %bb.1765:
	s_cmp_lt_i32 s1, 6
	s_mov_b32 s2, -1
	s_cbranch_scc1 .LBB55_1771
; %bb.1766:
	s_cmp_gt_i32 s1, 6
	s_cbranch_scc0 .LBB55_1768
; %bb.1767:
	s_wait_xcnt 0x0
	v_cndmask_b32_e64 v1, 0, 1, s0
	s_mov_b32 s2, 0
	s_delay_alu instid0(VALU_DEP_1)
	v_cvt_f64_u32_e32 v[8:9], v1
	global_store_b64 v[6:7], v[8:9], off
.LBB55_1768:
	s_and_not1_b32 vcc_lo, exec_lo, s2
	s_cbranch_vccnz .LBB55_1770
; %bb.1769:
	s_wait_xcnt 0x0
	v_cndmask_b32_e64 v1, 0, 1.0, s0
	global_store_b32 v[6:7], v1, off
.LBB55_1770:
	s_mov_b32 s2, 0
.LBB55_1771:
	s_delay_alu instid0(SALU_CYCLE_1)
	s_and_not1_b32 vcc_lo, exec_lo, s2
	s_cbranch_vccnz .LBB55_1773
; %bb.1772:
	s_wait_xcnt 0x0
	v_cndmask_b32_e64 v1, 0, 1.0, s0
	s_delay_alu instid0(VALU_DEP_1)
	v_cvt_f16_f32_e32 v1, v1
	global_store_b16 v[6:7], v1, off
.LBB55_1773:
	s_mov_b32 s2, 0
.LBB55_1774:
	s_delay_alu instid0(SALU_CYCLE_1)
	s_and_not1_b32 vcc_lo, exec_lo, s2
	s_cbranch_vccnz .LBB55_1790
; %bb.1775:
	s_cmp_lt_i32 s1, 2
	s_mov_b32 s2, -1
	s_cbranch_scc1 .LBB55_1785
; %bb.1776:
	s_cmp_lt_i32 s1, 3
	s_cbranch_scc1 .LBB55_1782
; %bb.1777:
	s_cmp_gt_i32 s1, 3
	s_cbranch_scc0 .LBB55_1779
; %bb.1778:
	s_mov_b32 s2, 0
	s_wait_xcnt 0x0
	v_cndmask_b32_e64 v8, 0, 1, s0
	v_mov_b32_e32 v9, s2
	global_store_b64 v[6:7], v[8:9], off
.LBB55_1779:
	s_and_not1_b32 vcc_lo, exec_lo, s2
	s_cbranch_vccnz .LBB55_1781
; %bb.1780:
	s_wait_xcnt 0x0
	v_cndmask_b32_e64 v1, 0, 1, s0
	global_store_b32 v[6:7], v1, off
.LBB55_1781:
	s_mov_b32 s2, 0
.LBB55_1782:
	s_delay_alu instid0(SALU_CYCLE_1)
	s_and_not1_b32 vcc_lo, exec_lo, s2
	s_cbranch_vccnz .LBB55_1784
; %bb.1783:
	s_wait_xcnt 0x0
	v_cndmask_b32_e64 v1, 0, 1, s0
	global_store_b16 v[6:7], v1, off
.LBB55_1784:
	s_mov_b32 s2, 0
.LBB55_1785:
	s_delay_alu instid0(SALU_CYCLE_1)
	s_and_not1_b32 vcc_lo, exec_lo, s2
	s_cbranch_vccnz .LBB55_1790
; %bb.1786:
	s_wait_xcnt 0x0
	v_cndmask_b32_e64 v1, 0, 1, s0
	s_cmp_gt_i32 s1, 0
	s_mov_b32 s0, -1
	s_cbranch_scc0 .LBB55_1788
; %bb.1787:
	s_mov_b32 s0, 0
	global_store_b8 v[6:7], v1, off
.LBB55_1788:
	s_and_not1_b32 vcc_lo, exec_lo, s0
	s_cbranch_vccnz .LBB55_1790
; %bb.1789:
	global_store_b8 v[6:7], v1, off
.LBB55_1790:
	s_mov_b32 s7, -1
.LBB55_1791:
	s_delay_alu instid0(SALU_CYCLE_1)
	s_and_not1_b32 vcc_lo, exec_lo, s7
	s_cbranch_vccnz .LBB55_2106
; %bb.1792:
	s_wait_xcnt 0x0
	v_mov_b32_e32 v5, 0
	v_cmp_eq_f16_e64 s0, 0x7c00, v3
	s_and_b32 s2, 0xffff, s6
	s_delay_alu instid0(SALU_CYCLE_1)
	s_cmp_lt_i32 s2, 11
	v_add_nc_u64_e32 v[4:5], s[4:5], v[4:5]
	s_cbranch_scc1 .LBB55_1870
; %bb.1793:
	s_mov_b32 s11, -1
	s_mov_b32 s3, 0
	s_cmp_gt_i32 s2, 25
	s_mov_b32 s7, 0
	s_mov_b32 s1, 0
	s_cbranch_scc0 .LBB55_1826
; %bb.1794:
	s_cmp_gt_i32 s2, 28
	s_cbranch_scc0 .LBB55_1809
; %bb.1795:
	s_cmp_gt_i32 s2, 43
	;; [unrolled: 3-line block ×3, first 2 shown]
	s_cbranch_scc0 .LBB55_1799
; %bb.1797:
	s_mov_b32 s1, -1
	s_mov_b32 s11, 0
	s_cmp_eq_u32 s2, 46
	s_cbranch_scc0 .LBB55_1799
; %bb.1798:
	v_cndmask_b32_e64 v1, 0, 1.0, s0
	s_mov_b32 s1, 0
	s_mov_b32 s7, -1
	s_delay_alu instid0(VALU_DEP_1) | instskip(NEXT) | instid1(VALU_DEP_1)
	v_bfe_u32 v3, v1, 16, 1
	v_add3_u32 v1, v1, v3, 0x7fff
	s_delay_alu instid0(VALU_DEP_1)
	v_lshrrev_b32_e32 v1, 16, v1
	global_store_b32 v[4:5], v1, off
.LBB55_1799:
	s_and_b32 vcc_lo, exec_lo, s11
	s_cbranch_vccz .LBB55_1804
; %bb.1800:
	s_cmp_eq_u32 s2, 44
	s_mov_b32 s1, -1
	s_cbranch_scc0 .LBB55_1804
; %bb.1801:
	v_cndmask_b32_e64 v6, 0, 1.0, s0
	v_mov_b32_e32 v3, 0xff
	s_mov_b32 s7, exec_lo
	s_wait_xcnt 0x0
	s_delay_alu instid0(VALU_DEP_2) | instskip(NEXT) | instid1(VALU_DEP_1)
	v_lshrrev_b32_e32 v1, 23, v6
	v_cmpx_ne_u32_e32 0xff, v1
; %bb.1802:
	v_and_b32_e32 v3, 0x400000, v6
	v_and_or_b32 v6, 0x3fffff, v6, v1
	s_delay_alu instid0(VALU_DEP_2) | instskip(NEXT) | instid1(VALU_DEP_2)
	v_cmp_ne_u32_e32 vcc_lo, 0, v3
	v_cmp_ne_u32_e64 s1, 0, v6
	s_and_b32 s1, vcc_lo, s1
	s_delay_alu instid0(SALU_CYCLE_1) | instskip(NEXT) | instid1(VALU_DEP_1)
	v_cndmask_b32_e64 v3, 0, 1, s1
	v_add_nc_u32_e32 v3, v1, v3
; %bb.1803:
	s_or_b32 exec_lo, exec_lo, s7
	s_mov_b32 s1, 0
	s_mov_b32 s7, -1
	global_store_b8 v[4:5], v3, off
.LBB55_1804:
	s_mov_b32 s11, 0
.LBB55_1805:
	s_delay_alu instid0(SALU_CYCLE_1)
	s_and_b32 vcc_lo, exec_lo, s11
	s_cbranch_vccz .LBB55_1808
; %bb.1806:
	s_cmp_eq_u32 s2, 29
	s_mov_b32 s1, -1
	s_cbranch_scc0 .LBB55_1808
; %bb.1807:
	s_mov_b32 s1, 0
	v_cndmask_b32_e64 v6, 0, 1, s0
	v_mov_b32_e32 v7, s1
	s_mov_b32 s7, -1
	global_store_b64 v[4:5], v[6:7], off
.LBB55_1808:
	s_mov_b32 s11, 0
.LBB55_1809:
	s_delay_alu instid0(SALU_CYCLE_1)
	s_and_b32 vcc_lo, exec_lo, s11
	s_cbranch_vccz .LBB55_1825
; %bb.1810:
	s_cmp_lt_i32 s2, 27
	s_mov_b32 s7, -1
	s_cbranch_scc1 .LBB55_1816
; %bb.1811:
	s_cmp_gt_i32 s2, 27
	s_cbranch_scc0 .LBB55_1813
; %bb.1812:
	s_wait_xcnt 0x0
	v_cndmask_b32_e64 v1, 0, 1, s0
	s_mov_b32 s7, 0
	global_store_b32 v[4:5], v1, off
.LBB55_1813:
	s_and_not1_b32 vcc_lo, exec_lo, s7
	s_cbranch_vccnz .LBB55_1815
; %bb.1814:
	s_wait_xcnt 0x0
	v_cndmask_b32_e64 v1, 0, 1, s0
	global_store_b16 v[4:5], v1, off
.LBB55_1815:
	s_mov_b32 s7, 0
.LBB55_1816:
	s_delay_alu instid0(SALU_CYCLE_1)
	s_and_not1_b32 vcc_lo, exec_lo, s7
	s_cbranch_vccnz .LBB55_1824
; %bb.1817:
	s_wait_xcnt 0x0
	v_cndmask_b32_e64 v3, 0, 1.0, s0
	v_mov_b32_e32 v6, 0x80
	s_mov_b32 s7, exec_lo
	s_delay_alu instid0(VALU_DEP_2)
	v_cmpx_gt_u32_e32 0x43800000, v3
	s_cbranch_execz .LBB55_1823
; %bb.1818:
	s_mov_b32 s11, 0
	s_mov_b32 s12, exec_lo
                                        ; implicit-def: $vgpr1
	v_cmpx_lt_u32_e32 0x3bffffff, v3
	s_xor_b32 s12, exec_lo, s12
	s_cbranch_execz .LBB55_2158
; %bb.1819:
	v_bfe_u32 v1, v3, 20, 1
	s_mov_b32 s11, exec_lo
	s_delay_alu instid0(VALU_DEP_1) | instskip(NEXT) | instid1(VALU_DEP_1)
	v_add3_u32 v1, v3, v1, 0x487ffff
                                        ; implicit-def: $vgpr3
	v_lshrrev_b32_e32 v1, 20, v1
	s_and_not1_saveexec_b32 s12, s12
	s_cbranch_execnz .LBB55_2159
.LBB55_1820:
	s_or_b32 exec_lo, exec_lo, s12
	v_mov_b32_e32 v6, 0
	s_and_saveexec_b32 s12, s11
.LBB55_1821:
	v_mov_b32_e32 v6, v1
.LBB55_1822:
	s_or_b32 exec_lo, exec_lo, s12
.LBB55_1823:
	s_delay_alu instid0(SALU_CYCLE_1)
	s_or_b32 exec_lo, exec_lo, s7
	global_store_b8 v[4:5], v6, off
.LBB55_1824:
	s_mov_b32 s7, -1
.LBB55_1825:
	s_mov_b32 s11, 0
.LBB55_1826:
	s_delay_alu instid0(SALU_CYCLE_1)
	s_and_b32 vcc_lo, exec_lo, s11
	s_cbranch_vccz .LBB55_1866
; %bb.1827:
	s_cmp_gt_i32 s2, 22
	s_mov_b32 s3, -1
	s_cbranch_scc0 .LBB55_1859
; %bb.1828:
	s_cmp_lt_i32 s2, 24
	s_cbranch_scc1 .LBB55_1848
; %bb.1829:
	s_cmp_gt_i32 s2, 24
	s_cbranch_scc0 .LBB55_1837
; %bb.1830:
	s_wait_xcnt 0x0
	v_cndmask_b32_e64 v3, 0, 1.0, s0
	v_mov_b32_e32 v6, 0x80
	s_mov_b32 s3, exec_lo
	s_delay_alu instid0(VALU_DEP_2)
	v_cmpx_gt_u32_e32 0x47800000, v3
	s_cbranch_execz .LBB55_1836
; %bb.1831:
	s_mov_b32 s7, 0
	s_mov_b32 s11, exec_lo
                                        ; implicit-def: $vgpr1
	v_cmpx_lt_u32_e32 0x37ffffff, v3
	s_xor_b32 s11, exec_lo, s11
	s_cbranch_execz .LBB55_2161
; %bb.1832:
	v_bfe_u32 v1, v3, 21, 1
	s_mov_b32 s7, exec_lo
	s_delay_alu instid0(VALU_DEP_1) | instskip(NEXT) | instid1(VALU_DEP_1)
	v_add3_u32 v1, v3, v1, 0x88fffff
                                        ; implicit-def: $vgpr3
	v_lshrrev_b32_e32 v1, 21, v1
	s_and_not1_saveexec_b32 s11, s11
	s_cbranch_execnz .LBB55_2162
.LBB55_1833:
	s_or_b32 exec_lo, exec_lo, s11
	v_mov_b32_e32 v6, 0
	s_and_saveexec_b32 s11, s7
.LBB55_1834:
	v_mov_b32_e32 v6, v1
.LBB55_1835:
	s_or_b32 exec_lo, exec_lo, s11
.LBB55_1836:
	s_delay_alu instid0(SALU_CYCLE_1)
	s_or_b32 exec_lo, exec_lo, s3
	s_mov_b32 s3, 0
	global_store_b8 v[4:5], v6, off
.LBB55_1837:
	s_and_b32 vcc_lo, exec_lo, s3
	s_cbranch_vccz .LBB55_1847
; %bb.1838:
	s_wait_xcnt 0x0
	v_cndmask_b32_e64 v3, 0, 1.0, s0
	s_mov_b32 s3, exec_lo
                                        ; implicit-def: $vgpr1
	s_delay_alu instid0(VALU_DEP_1)
	v_cmpx_gt_u32_e32 0x43f00000, v3
	s_xor_b32 s3, exec_lo, s3
	s_cbranch_execz .LBB55_1844
; %bb.1839:
	s_mov_b32 s7, exec_lo
                                        ; implicit-def: $vgpr1
	v_cmpx_lt_u32_e32 0x3c7fffff, v3
	s_xor_b32 s7, exec_lo, s7
; %bb.1840:
	v_bfe_u32 v1, v3, 20, 1
	s_delay_alu instid0(VALU_DEP_1) | instskip(NEXT) | instid1(VALU_DEP_1)
	v_add3_u32 v1, v3, v1, 0x407ffff
	v_and_b32_e32 v3, 0xff00000, v1
	v_lshrrev_b32_e32 v1, 20, v1
	s_delay_alu instid0(VALU_DEP_2) | instskip(NEXT) | instid1(VALU_DEP_2)
	v_cmp_ne_u32_e32 vcc_lo, 0x7f00000, v3
                                        ; implicit-def: $vgpr3
	v_cndmask_b32_e32 v1, 0x7e, v1, vcc_lo
; %bb.1841:
	s_and_not1_saveexec_b32 s7, s7
; %bb.1842:
	v_add_f32_e32 v1, 0x46800000, v3
; %bb.1843:
	s_or_b32 exec_lo, exec_lo, s7
                                        ; implicit-def: $vgpr3
.LBB55_1844:
	s_and_not1_saveexec_b32 s3, s3
; %bb.1845:
	v_mov_b32_e32 v1, 0x7f
	v_cmp_lt_u32_e32 vcc_lo, 0x7f800000, v3
	s_delay_alu instid0(VALU_DEP_2)
	v_cndmask_b32_e32 v1, 0x7e, v1, vcc_lo
; %bb.1846:
	s_or_b32 exec_lo, exec_lo, s3
	global_store_b8 v[4:5], v1, off
.LBB55_1847:
	s_mov_b32 s3, 0
.LBB55_1848:
	s_delay_alu instid0(SALU_CYCLE_1)
	s_and_not1_b32 vcc_lo, exec_lo, s3
	s_cbranch_vccnz .LBB55_1858
; %bb.1849:
	s_wait_xcnt 0x0
	v_cndmask_b32_e64 v3, 0, 1.0, s0
	s_mov_b32 s3, exec_lo
                                        ; implicit-def: $vgpr1
	s_delay_alu instid0(VALU_DEP_1)
	v_cmpx_gt_u32_e32 0x47800000, v3
	s_xor_b32 s3, exec_lo, s3
	s_cbranch_execz .LBB55_1855
; %bb.1850:
	s_mov_b32 s7, exec_lo
                                        ; implicit-def: $vgpr1
	v_cmpx_lt_u32_e32 0x387fffff, v3
	s_xor_b32 s7, exec_lo, s7
; %bb.1851:
	v_bfe_u32 v1, v3, 21, 1
	s_delay_alu instid0(VALU_DEP_1) | instskip(NEXT) | instid1(VALU_DEP_1)
	v_add3_u32 v1, v3, v1, 0x80fffff
                                        ; implicit-def: $vgpr3
	v_lshrrev_b32_e32 v1, 21, v1
; %bb.1852:
	s_and_not1_saveexec_b32 s7, s7
; %bb.1853:
	v_add_f32_e32 v1, 0x43000000, v3
; %bb.1854:
	s_or_b32 exec_lo, exec_lo, s7
                                        ; implicit-def: $vgpr3
.LBB55_1855:
	s_and_not1_saveexec_b32 s3, s3
; %bb.1856:
	v_mov_b32_e32 v1, 0x7f
	v_cmp_lt_u32_e32 vcc_lo, 0x7f800000, v3
	s_delay_alu instid0(VALU_DEP_2)
	v_cndmask_b32_e32 v1, 0x7c, v1, vcc_lo
; %bb.1857:
	s_or_b32 exec_lo, exec_lo, s3
	global_store_b8 v[4:5], v1, off
.LBB55_1858:
	s_mov_b32 s3, 0
	s_mov_b32 s7, -1
.LBB55_1859:
	s_and_not1_b32 vcc_lo, exec_lo, s3
	s_mov_b32 s3, 0
	s_cbranch_vccnz .LBB55_1866
; %bb.1860:
	s_cmp_gt_i32 s2, 14
	s_mov_b32 s3, -1
	s_cbranch_scc0 .LBB55_1864
; %bb.1861:
	s_cmp_eq_u32 s2, 15
	s_mov_b32 s1, -1
	s_cbranch_scc0 .LBB55_1863
; %bb.1862:
	s_wait_xcnt 0x0
	v_cndmask_b32_e64 v1, 0, 1.0, s0
	s_mov_b32 s1, 0
	s_mov_b32 s7, -1
	s_delay_alu instid0(VALU_DEP_1) | instskip(NEXT) | instid1(VALU_DEP_1)
	v_bfe_u32 v3, v1, 16, 1
	v_add3_u32 v1, v1, v3, 0x7fff
	global_store_d16_hi_b16 v[4:5], v1, off
.LBB55_1863:
	s_mov_b32 s3, 0
.LBB55_1864:
	s_delay_alu instid0(SALU_CYCLE_1)
	s_and_b32 vcc_lo, exec_lo, s3
	s_mov_b32 s3, 0
	s_cbranch_vccz .LBB55_1866
; %bb.1865:
	s_cmp_lg_u32 s2, 11
	s_mov_b32 s3, -1
	s_cselect_b32 s1, -1, 0
.LBB55_1866:
	s_delay_alu instid0(SALU_CYCLE_1)
	s_and_b32 vcc_lo, exec_lo, s1
	s_cbranch_vccnz .LBB55_2160
; %bb.1867:
	s_and_not1_b32 vcc_lo, exec_lo, s3
	s_cbranch_vccnz .LBB55_1869
.LBB55_1868:
	s_wait_xcnt 0x0
	v_cndmask_b32_e64 v1, 0, 1, s0
	s_mov_b32 s7, -1
	global_store_b8 v[4:5], v1, off
.LBB55_1869:
	s_mov_b32 s1, 0
	s_branch .LBB55_1871
.LBB55_1870:
	s_mov_b32 s1, -1
	s_mov_b32 s7, 0
.LBB55_1871:
	s_and_b32 vcc_lo, exec_lo, s1
	s_cbranch_vccz .LBB55_1910
; %bb.1872:
	s_cmp_lt_i32 s2, 5
	s_mov_b32 s1, -1
	s_cbranch_scc1 .LBB55_1893
; %bb.1873:
	s_cmp_lt_i32 s2, 8
	s_cbranch_scc1 .LBB55_1883
; %bb.1874:
	s_cmp_lt_i32 s2, 9
	s_cbranch_scc1 .LBB55_1880
; %bb.1875:
	s_cmp_gt_i32 s2, 9
	s_cbranch_scc0 .LBB55_1877
; %bb.1876:
	s_wait_xcnt 0x0
	v_cndmask_b32_e64 v1, 0, 1, s0
	v_mov_b32_e32 v8, 0
	s_mov_b32 s1, 0
	s_delay_alu instid0(VALU_DEP_2) | instskip(NEXT) | instid1(VALU_DEP_2)
	v_cvt_f64_u32_e32 v[6:7], v1
	v_mov_b32_e32 v9, v8
	global_store_b128 v[4:5], v[6:9], off
.LBB55_1877:
	s_and_not1_b32 vcc_lo, exec_lo, s1
	s_cbranch_vccnz .LBB55_1879
; %bb.1878:
	s_wait_xcnt 0x0
	v_cndmask_b32_e64 v6, 0, 1.0, s0
	v_mov_b32_e32 v7, 0
	global_store_b64 v[4:5], v[6:7], off
.LBB55_1879:
	s_mov_b32 s1, 0
.LBB55_1880:
	s_delay_alu instid0(SALU_CYCLE_1)
	s_and_not1_b32 vcc_lo, exec_lo, s1
	s_cbranch_vccnz .LBB55_1882
; %bb.1881:
	s_wait_xcnt 0x0
	v_cndmask_b32_e64 v1, 0, 1.0, s0
	s_delay_alu instid0(VALU_DEP_1) | instskip(NEXT) | instid1(VALU_DEP_1)
	v_cvt_f16_f32_e32 v1, v1
	v_and_b32_e32 v1, 0xffff, v1
	global_store_b32 v[4:5], v1, off
.LBB55_1882:
	s_mov_b32 s1, 0
.LBB55_1883:
	s_delay_alu instid0(SALU_CYCLE_1)
	s_and_not1_b32 vcc_lo, exec_lo, s1
	s_cbranch_vccnz .LBB55_1892
; %bb.1884:
	s_cmp_lt_i32 s2, 6
	s_mov_b32 s1, -1
	s_cbranch_scc1 .LBB55_1890
; %bb.1885:
	s_cmp_gt_i32 s2, 6
	s_cbranch_scc0 .LBB55_1887
; %bb.1886:
	s_wait_xcnt 0x0
	v_cndmask_b32_e64 v1, 0, 1, s0
	s_mov_b32 s1, 0
	s_delay_alu instid0(VALU_DEP_1)
	v_cvt_f64_u32_e32 v[6:7], v1
	global_store_b64 v[4:5], v[6:7], off
.LBB55_1887:
	s_and_not1_b32 vcc_lo, exec_lo, s1
	s_cbranch_vccnz .LBB55_1889
; %bb.1888:
	s_wait_xcnt 0x0
	v_cndmask_b32_e64 v1, 0, 1.0, s0
	global_store_b32 v[4:5], v1, off
.LBB55_1889:
	s_mov_b32 s1, 0
.LBB55_1890:
	s_delay_alu instid0(SALU_CYCLE_1)
	s_and_not1_b32 vcc_lo, exec_lo, s1
	s_cbranch_vccnz .LBB55_1892
; %bb.1891:
	s_wait_xcnt 0x0
	v_cndmask_b32_e64 v1, 0, 1.0, s0
	s_delay_alu instid0(VALU_DEP_1)
	v_cvt_f16_f32_e32 v1, v1
	global_store_b16 v[4:5], v1, off
.LBB55_1892:
	s_mov_b32 s1, 0
.LBB55_1893:
	s_delay_alu instid0(SALU_CYCLE_1)
	s_and_not1_b32 vcc_lo, exec_lo, s1
	s_cbranch_vccnz .LBB55_1909
; %bb.1894:
	s_cmp_lt_i32 s2, 2
	s_mov_b32 s1, -1
	s_cbranch_scc1 .LBB55_1904
; %bb.1895:
	s_cmp_lt_i32 s2, 3
	s_cbranch_scc1 .LBB55_1901
; %bb.1896:
	s_cmp_gt_i32 s2, 3
	s_cbranch_scc0 .LBB55_1898
; %bb.1897:
	s_mov_b32 s1, 0
	s_wait_xcnt 0x0
	v_cndmask_b32_e64 v6, 0, 1, s0
	v_mov_b32_e32 v7, s1
	global_store_b64 v[4:5], v[6:7], off
.LBB55_1898:
	s_and_not1_b32 vcc_lo, exec_lo, s1
	s_cbranch_vccnz .LBB55_1900
; %bb.1899:
	s_wait_xcnt 0x0
	v_cndmask_b32_e64 v1, 0, 1, s0
	global_store_b32 v[4:5], v1, off
.LBB55_1900:
	s_mov_b32 s1, 0
.LBB55_1901:
	s_delay_alu instid0(SALU_CYCLE_1)
	s_and_not1_b32 vcc_lo, exec_lo, s1
	s_cbranch_vccnz .LBB55_1903
; %bb.1902:
	s_wait_xcnt 0x0
	v_cndmask_b32_e64 v1, 0, 1, s0
	global_store_b16 v[4:5], v1, off
.LBB55_1903:
	s_mov_b32 s1, 0
.LBB55_1904:
	s_delay_alu instid0(SALU_CYCLE_1)
	s_and_not1_b32 vcc_lo, exec_lo, s1
	s_cbranch_vccnz .LBB55_1909
; %bb.1905:
	s_wait_xcnt 0x0
	v_cndmask_b32_e64 v1, 0, 1, s0
	s_cmp_gt_i32 s2, 0
	s_mov_b32 s0, -1
	s_cbranch_scc0 .LBB55_1907
; %bb.1906:
	s_mov_b32 s0, 0
	global_store_b8 v[4:5], v1, off
.LBB55_1907:
	s_and_not1_b32 vcc_lo, exec_lo, s0
	s_cbranch_vccnz .LBB55_1909
; %bb.1908:
	global_store_b8 v[4:5], v1, off
.LBB55_1909:
	s_mov_b32 s7, -1
.LBB55_1910:
	s_delay_alu instid0(SALU_CYCLE_1)
	s_and_not1_b32 vcc_lo, exec_lo, s7
	s_cbranch_vccnz .LBB55_2106
; %bb.1911:
	s_wait_xcnt 0x0
	v_mov_b32_e32 v3, 0
	v_cmp_eq_f16_e64 s0, 0x7c00, v12
	s_cmp_lt_i32 s2, 11
	v_add_nc_u64_e32 v[2:3], s[4:5], v[2:3]
	s_cbranch_scc1 .LBB55_1989
; %bb.1912:
	s_mov_b32 s11, -1
	s_mov_b32 s3, 0
	s_cmp_gt_i32 s2, 25
	s_mov_b32 s7, 0
	s_mov_b32 s1, 0
	s_cbranch_scc0 .LBB55_1945
; %bb.1913:
	s_cmp_gt_i32 s2, 28
	s_cbranch_scc0 .LBB55_1928
; %bb.1914:
	s_cmp_gt_i32 s2, 43
	;; [unrolled: 3-line block ×3, first 2 shown]
	s_cbranch_scc0 .LBB55_1918
; %bb.1916:
	s_mov_b32 s1, -1
	s_mov_b32 s11, 0
	s_cmp_eq_u32 s2, 46
	s_cbranch_scc0 .LBB55_1918
; %bb.1917:
	v_cndmask_b32_e64 v1, 0, 1.0, s0
	s_mov_b32 s1, 0
	s_mov_b32 s7, -1
	s_delay_alu instid0(VALU_DEP_1) | instskip(NEXT) | instid1(VALU_DEP_1)
	v_bfe_u32 v4, v1, 16, 1
	v_add3_u32 v1, v1, v4, 0x7fff
	s_delay_alu instid0(VALU_DEP_1)
	v_lshrrev_b32_e32 v1, 16, v1
	global_store_b32 v[2:3], v1, off
.LBB55_1918:
	s_and_b32 vcc_lo, exec_lo, s11
	s_cbranch_vccz .LBB55_1923
; %bb.1919:
	s_cmp_eq_u32 s2, 44
	s_mov_b32 s1, -1
	s_cbranch_scc0 .LBB55_1923
; %bb.1920:
	v_cndmask_b32_e64 v5, 0, 1.0, s0
	s_mov_b32 s7, exec_lo
	s_wait_xcnt 0x0
	s_delay_alu instid0(VALU_DEP_1) | instskip(NEXT) | instid1(VALU_DEP_1)
	v_dual_mov_b32 v4, 0xff :: v_dual_lshrrev_b32 v1, 23, v5
	v_cmpx_ne_u32_e32 0xff, v1
; %bb.1921:
	v_and_b32_e32 v4, 0x400000, v5
	v_and_or_b32 v5, 0x3fffff, v5, v1
	s_delay_alu instid0(VALU_DEP_2) | instskip(NEXT) | instid1(VALU_DEP_2)
	v_cmp_ne_u32_e32 vcc_lo, 0, v4
	v_cmp_ne_u32_e64 s1, 0, v5
	s_and_b32 s1, vcc_lo, s1
	s_delay_alu instid0(SALU_CYCLE_1) | instskip(NEXT) | instid1(VALU_DEP_1)
	v_cndmask_b32_e64 v4, 0, 1, s1
	v_add_nc_u32_e32 v4, v1, v4
; %bb.1922:
	s_or_b32 exec_lo, exec_lo, s7
	s_mov_b32 s1, 0
	s_mov_b32 s7, -1
	global_store_b8 v[2:3], v4, off
.LBB55_1923:
	s_mov_b32 s11, 0
.LBB55_1924:
	s_delay_alu instid0(SALU_CYCLE_1)
	s_and_b32 vcc_lo, exec_lo, s11
	s_cbranch_vccz .LBB55_1927
; %bb.1925:
	s_cmp_eq_u32 s2, 29
	s_mov_b32 s1, -1
	s_cbranch_scc0 .LBB55_1927
; %bb.1926:
	s_mov_b32 s1, 0
	s_wait_xcnt 0x0
	v_cndmask_b32_e64 v4, 0, 1, s0
	v_mov_b32_e32 v5, s1
	s_mov_b32 s7, -1
	global_store_b64 v[2:3], v[4:5], off
.LBB55_1927:
	s_mov_b32 s11, 0
.LBB55_1928:
	s_delay_alu instid0(SALU_CYCLE_1)
	s_and_b32 vcc_lo, exec_lo, s11
	s_cbranch_vccz .LBB55_1944
; %bb.1929:
	s_cmp_lt_i32 s2, 27
	s_mov_b32 s7, -1
	s_cbranch_scc1 .LBB55_1935
; %bb.1930:
	s_cmp_gt_i32 s2, 27
	s_cbranch_scc0 .LBB55_1932
; %bb.1931:
	s_wait_xcnt 0x0
	v_cndmask_b32_e64 v1, 0, 1, s0
	s_mov_b32 s7, 0
	global_store_b32 v[2:3], v1, off
.LBB55_1932:
	s_and_not1_b32 vcc_lo, exec_lo, s7
	s_cbranch_vccnz .LBB55_1934
; %bb.1933:
	s_wait_xcnt 0x0
	v_cndmask_b32_e64 v1, 0, 1, s0
	global_store_b16 v[2:3], v1, off
.LBB55_1934:
	s_mov_b32 s7, 0
.LBB55_1935:
	s_delay_alu instid0(SALU_CYCLE_1)
	s_and_not1_b32 vcc_lo, exec_lo, s7
	s_cbranch_vccnz .LBB55_1943
; %bb.1936:
	s_wait_xcnt 0x0
	v_cndmask_b32_e64 v4, 0, 1.0, s0
	v_mov_b32_e32 v5, 0x80
	s_mov_b32 s7, exec_lo
	s_delay_alu instid0(VALU_DEP_2)
	v_cmpx_gt_u32_e32 0x43800000, v4
	s_cbranch_execz .LBB55_1942
; %bb.1937:
	s_mov_b32 s11, 0
	s_mov_b32 s12, exec_lo
                                        ; implicit-def: $vgpr1
	v_cmpx_lt_u32_e32 0x3bffffff, v4
	s_xor_b32 s12, exec_lo, s12
	s_cbranch_execz .LBB55_2163
; %bb.1938:
	v_bfe_u32 v1, v4, 20, 1
	s_mov_b32 s11, exec_lo
	s_delay_alu instid0(VALU_DEP_1) | instskip(NEXT) | instid1(VALU_DEP_1)
	v_add3_u32 v1, v4, v1, 0x487ffff
                                        ; implicit-def: $vgpr4
	v_lshrrev_b32_e32 v1, 20, v1
	s_and_not1_saveexec_b32 s12, s12
	s_cbranch_execnz .LBB55_2164
.LBB55_1939:
	s_or_b32 exec_lo, exec_lo, s12
	v_mov_b32_e32 v5, 0
	s_and_saveexec_b32 s12, s11
.LBB55_1940:
	v_mov_b32_e32 v5, v1
.LBB55_1941:
	s_or_b32 exec_lo, exec_lo, s12
.LBB55_1942:
	s_delay_alu instid0(SALU_CYCLE_1)
	s_or_b32 exec_lo, exec_lo, s7
	global_store_b8 v[2:3], v5, off
.LBB55_1943:
	s_mov_b32 s7, -1
.LBB55_1944:
	s_mov_b32 s11, 0
.LBB55_1945:
	s_delay_alu instid0(SALU_CYCLE_1)
	s_and_b32 vcc_lo, exec_lo, s11
	s_cbranch_vccz .LBB55_1985
; %bb.1946:
	s_cmp_gt_i32 s2, 22
	s_mov_b32 s3, -1
	s_cbranch_scc0 .LBB55_1978
; %bb.1947:
	s_cmp_lt_i32 s2, 24
	s_cbranch_scc1 .LBB55_1967
; %bb.1948:
	s_cmp_gt_i32 s2, 24
	s_cbranch_scc0 .LBB55_1956
; %bb.1949:
	s_wait_xcnt 0x0
	v_cndmask_b32_e64 v4, 0, 1.0, s0
	v_mov_b32_e32 v5, 0x80
	s_mov_b32 s3, exec_lo
	s_delay_alu instid0(VALU_DEP_2)
	v_cmpx_gt_u32_e32 0x47800000, v4
	s_cbranch_execz .LBB55_1955
; %bb.1950:
	s_mov_b32 s7, 0
	s_mov_b32 s11, exec_lo
                                        ; implicit-def: $vgpr1
	v_cmpx_lt_u32_e32 0x37ffffff, v4
	s_xor_b32 s11, exec_lo, s11
	s_cbranch_execz .LBB55_2166
; %bb.1951:
	v_bfe_u32 v1, v4, 21, 1
	s_mov_b32 s7, exec_lo
	s_delay_alu instid0(VALU_DEP_1) | instskip(NEXT) | instid1(VALU_DEP_1)
	v_add3_u32 v1, v4, v1, 0x88fffff
                                        ; implicit-def: $vgpr4
	v_lshrrev_b32_e32 v1, 21, v1
	s_and_not1_saveexec_b32 s11, s11
	s_cbranch_execnz .LBB55_2167
.LBB55_1952:
	s_or_b32 exec_lo, exec_lo, s11
	v_mov_b32_e32 v5, 0
	s_and_saveexec_b32 s11, s7
.LBB55_1953:
	v_mov_b32_e32 v5, v1
.LBB55_1954:
	s_or_b32 exec_lo, exec_lo, s11
.LBB55_1955:
	s_delay_alu instid0(SALU_CYCLE_1)
	s_or_b32 exec_lo, exec_lo, s3
	s_mov_b32 s3, 0
	global_store_b8 v[2:3], v5, off
.LBB55_1956:
	s_and_b32 vcc_lo, exec_lo, s3
	s_cbranch_vccz .LBB55_1966
; %bb.1957:
	s_wait_xcnt 0x0
	v_cndmask_b32_e64 v4, 0, 1.0, s0
	s_mov_b32 s3, exec_lo
                                        ; implicit-def: $vgpr1
	s_delay_alu instid0(VALU_DEP_1)
	v_cmpx_gt_u32_e32 0x43f00000, v4
	s_xor_b32 s3, exec_lo, s3
	s_cbranch_execz .LBB55_1963
; %bb.1958:
	s_mov_b32 s7, exec_lo
                                        ; implicit-def: $vgpr1
	v_cmpx_lt_u32_e32 0x3c7fffff, v4
	s_xor_b32 s7, exec_lo, s7
; %bb.1959:
	v_bfe_u32 v1, v4, 20, 1
	s_delay_alu instid0(VALU_DEP_1) | instskip(NEXT) | instid1(VALU_DEP_1)
	v_add3_u32 v1, v4, v1, 0x407ffff
	v_and_b32_e32 v4, 0xff00000, v1
	v_lshrrev_b32_e32 v1, 20, v1
	s_delay_alu instid0(VALU_DEP_2) | instskip(NEXT) | instid1(VALU_DEP_2)
	v_cmp_ne_u32_e32 vcc_lo, 0x7f00000, v4
                                        ; implicit-def: $vgpr4
	v_cndmask_b32_e32 v1, 0x7e, v1, vcc_lo
; %bb.1960:
	s_and_not1_saveexec_b32 s7, s7
; %bb.1961:
	v_add_f32_e32 v1, 0x46800000, v4
; %bb.1962:
	s_or_b32 exec_lo, exec_lo, s7
                                        ; implicit-def: $vgpr4
.LBB55_1963:
	s_and_not1_saveexec_b32 s3, s3
; %bb.1964:
	v_mov_b32_e32 v1, 0x7f
	v_cmp_lt_u32_e32 vcc_lo, 0x7f800000, v4
	s_delay_alu instid0(VALU_DEP_2)
	v_cndmask_b32_e32 v1, 0x7e, v1, vcc_lo
; %bb.1965:
	s_or_b32 exec_lo, exec_lo, s3
	global_store_b8 v[2:3], v1, off
.LBB55_1966:
	s_mov_b32 s3, 0
.LBB55_1967:
	s_delay_alu instid0(SALU_CYCLE_1)
	s_and_not1_b32 vcc_lo, exec_lo, s3
	s_cbranch_vccnz .LBB55_1977
; %bb.1968:
	s_wait_xcnt 0x0
	v_cndmask_b32_e64 v4, 0, 1.0, s0
	s_mov_b32 s3, exec_lo
                                        ; implicit-def: $vgpr1
	s_delay_alu instid0(VALU_DEP_1)
	v_cmpx_gt_u32_e32 0x47800000, v4
	s_xor_b32 s3, exec_lo, s3
	s_cbranch_execz .LBB55_1974
; %bb.1969:
	s_mov_b32 s7, exec_lo
                                        ; implicit-def: $vgpr1
	v_cmpx_lt_u32_e32 0x387fffff, v4
	s_xor_b32 s7, exec_lo, s7
; %bb.1970:
	v_bfe_u32 v1, v4, 21, 1
	s_delay_alu instid0(VALU_DEP_1) | instskip(NEXT) | instid1(VALU_DEP_1)
	v_add3_u32 v1, v4, v1, 0x80fffff
                                        ; implicit-def: $vgpr4
	v_lshrrev_b32_e32 v1, 21, v1
; %bb.1971:
	s_and_not1_saveexec_b32 s7, s7
; %bb.1972:
	v_add_f32_e32 v1, 0x43000000, v4
; %bb.1973:
	s_or_b32 exec_lo, exec_lo, s7
                                        ; implicit-def: $vgpr4
.LBB55_1974:
	s_and_not1_saveexec_b32 s3, s3
; %bb.1975:
	v_mov_b32_e32 v1, 0x7f
	v_cmp_lt_u32_e32 vcc_lo, 0x7f800000, v4
	s_delay_alu instid0(VALU_DEP_2)
	v_cndmask_b32_e32 v1, 0x7c, v1, vcc_lo
; %bb.1976:
	s_or_b32 exec_lo, exec_lo, s3
	global_store_b8 v[2:3], v1, off
.LBB55_1977:
	s_mov_b32 s3, 0
	s_mov_b32 s7, -1
.LBB55_1978:
	s_and_not1_b32 vcc_lo, exec_lo, s3
	s_mov_b32 s3, 0
	s_cbranch_vccnz .LBB55_1985
; %bb.1979:
	s_cmp_gt_i32 s2, 14
	s_mov_b32 s3, -1
	s_cbranch_scc0 .LBB55_1983
; %bb.1980:
	s_cmp_eq_u32 s2, 15
	s_mov_b32 s1, -1
	s_cbranch_scc0 .LBB55_1982
; %bb.1981:
	s_wait_xcnt 0x0
	v_cndmask_b32_e64 v1, 0, 1.0, s0
	s_mov_b32 s1, 0
	s_mov_b32 s7, -1
	s_delay_alu instid0(VALU_DEP_1) | instskip(NEXT) | instid1(VALU_DEP_1)
	v_bfe_u32 v4, v1, 16, 1
	v_add3_u32 v1, v1, v4, 0x7fff
	global_store_d16_hi_b16 v[2:3], v1, off
.LBB55_1982:
	s_mov_b32 s3, 0
.LBB55_1983:
	s_delay_alu instid0(SALU_CYCLE_1)
	s_and_b32 vcc_lo, exec_lo, s3
	s_mov_b32 s3, 0
	s_cbranch_vccz .LBB55_1985
; %bb.1984:
	s_cmp_lg_u32 s2, 11
	s_mov_b32 s3, -1
	s_cselect_b32 s1, -1, 0
.LBB55_1985:
	s_delay_alu instid0(SALU_CYCLE_1)
	s_and_b32 vcc_lo, exec_lo, s1
	s_cbranch_vccnz .LBB55_2165
; %bb.1986:
	s_and_not1_b32 vcc_lo, exec_lo, s3
	s_cbranch_vccnz .LBB55_1988
.LBB55_1987:
	s_wait_xcnt 0x0
	v_cndmask_b32_e64 v1, 0, 1, s0
	s_mov_b32 s7, -1
	global_store_b8 v[2:3], v1, off
.LBB55_1988:
	s_mov_b32 s1, 0
	s_branch .LBB55_1990
.LBB55_1989:
	s_mov_b32 s1, -1
	s_mov_b32 s7, 0
.LBB55_1990:
	s_and_b32 vcc_lo, exec_lo, s1
	s_cbranch_vccz .LBB55_2029
; %bb.1991:
	s_cmp_lt_i32 s2, 5
	s_mov_b32 s1, -1
	s_cbranch_scc1 .LBB55_2012
; %bb.1992:
	s_cmp_lt_i32 s2, 8
	s_cbranch_scc1 .LBB55_2002
; %bb.1993:
	s_cmp_lt_i32 s2, 9
	s_cbranch_scc1 .LBB55_1999
; %bb.1994:
	s_cmp_gt_i32 s2, 9
	s_cbranch_scc0 .LBB55_1996
; %bb.1995:
	s_wait_xcnt 0x0
	v_cndmask_b32_e64 v1, 0, 1, s0
	v_mov_b32_e32 v6, 0
	s_mov_b32 s1, 0
	s_delay_alu instid0(VALU_DEP_2) | instskip(NEXT) | instid1(VALU_DEP_2)
	v_cvt_f64_u32_e32 v[4:5], v1
	v_mov_b32_e32 v7, v6
	global_store_b128 v[2:3], v[4:7], off
.LBB55_1996:
	s_and_not1_b32 vcc_lo, exec_lo, s1
	s_cbranch_vccnz .LBB55_1998
; %bb.1997:
	s_wait_xcnt 0x0
	v_cndmask_b32_e64 v4, 0, 1.0, s0
	v_mov_b32_e32 v5, 0
	global_store_b64 v[2:3], v[4:5], off
.LBB55_1998:
	s_mov_b32 s1, 0
.LBB55_1999:
	s_delay_alu instid0(SALU_CYCLE_1)
	s_and_not1_b32 vcc_lo, exec_lo, s1
	s_cbranch_vccnz .LBB55_2001
; %bb.2000:
	s_wait_xcnt 0x0
	v_cndmask_b32_e64 v1, 0, 1.0, s0
	s_delay_alu instid0(VALU_DEP_1) | instskip(NEXT) | instid1(VALU_DEP_1)
	v_cvt_f16_f32_e32 v1, v1
	v_and_b32_e32 v1, 0xffff, v1
	global_store_b32 v[2:3], v1, off
.LBB55_2001:
	s_mov_b32 s1, 0
.LBB55_2002:
	s_delay_alu instid0(SALU_CYCLE_1)
	s_and_not1_b32 vcc_lo, exec_lo, s1
	s_cbranch_vccnz .LBB55_2011
; %bb.2003:
	s_cmp_lt_i32 s2, 6
	s_mov_b32 s1, -1
	s_cbranch_scc1 .LBB55_2009
; %bb.2004:
	s_cmp_gt_i32 s2, 6
	s_cbranch_scc0 .LBB55_2006
; %bb.2005:
	s_wait_xcnt 0x0
	v_cndmask_b32_e64 v1, 0, 1, s0
	s_mov_b32 s1, 0
	s_delay_alu instid0(VALU_DEP_1)
	v_cvt_f64_u32_e32 v[4:5], v1
	global_store_b64 v[2:3], v[4:5], off
.LBB55_2006:
	s_and_not1_b32 vcc_lo, exec_lo, s1
	s_cbranch_vccnz .LBB55_2008
; %bb.2007:
	s_wait_xcnt 0x0
	v_cndmask_b32_e64 v1, 0, 1.0, s0
	global_store_b32 v[2:3], v1, off
.LBB55_2008:
	s_mov_b32 s1, 0
.LBB55_2009:
	s_delay_alu instid0(SALU_CYCLE_1)
	s_and_not1_b32 vcc_lo, exec_lo, s1
	s_cbranch_vccnz .LBB55_2011
; %bb.2010:
	s_wait_xcnt 0x0
	v_cndmask_b32_e64 v1, 0, 1.0, s0
	s_delay_alu instid0(VALU_DEP_1)
	v_cvt_f16_f32_e32 v1, v1
	global_store_b16 v[2:3], v1, off
.LBB55_2011:
	s_mov_b32 s1, 0
.LBB55_2012:
	s_delay_alu instid0(SALU_CYCLE_1)
	s_and_not1_b32 vcc_lo, exec_lo, s1
	s_cbranch_vccnz .LBB55_2028
; %bb.2013:
	s_cmp_lt_i32 s2, 2
	s_mov_b32 s1, -1
	s_cbranch_scc1 .LBB55_2023
; %bb.2014:
	s_cmp_lt_i32 s2, 3
	s_cbranch_scc1 .LBB55_2020
; %bb.2015:
	s_cmp_gt_i32 s2, 3
	s_cbranch_scc0 .LBB55_2017
; %bb.2016:
	s_mov_b32 s1, 0
	s_wait_xcnt 0x0
	v_cndmask_b32_e64 v4, 0, 1, s0
	v_mov_b32_e32 v5, s1
	global_store_b64 v[2:3], v[4:5], off
.LBB55_2017:
	s_and_not1_b32 vcc_lo, exec_lo, s1
	s_cbranch_vccnz .LBB55_2019
; %bb.2018:
	s_wait_xcnt 0x0
	v_cndmask_b32_e64 v1, 0, 1, s0
	global_store_b32 v[2:3], v1, off
.LBB55_2019:
	s_mov_b32 s1, 0
.LBB55_2020:
	s_delay_alu instid0(SALU_CYCLE_1)
	s_and_not1_b32 vcc_lo, exec_lo, s1
	s_cbranch_vccnz .LBB55_2022
; %bb.2021:
	s_wait_xcnt 0x0
	v_cndmask_b32_e64 v1, 0, 1, s0
	global_store_b16 v[2:3], v1, off
.LBB55_2022:
	s_mov_b32 s1, 0
.LBB55_2023:
	s_delay_alu instid0(SALU_CYCLE_1)
	s_and_not1_b32 vcc_lo, exec_lo, s1
	s_cbranch_vccnz .LBB55_2028
; %bb.2024:
	s_cmp_gt_i32 s2, 0
	s_mov_b32 s1, -1
	s_cbranch_scc0 .LBB55_2026
; %bb.2025:
	s_wait_xcnt 0x0
	v_cndmask_b32_e64 v1, 0, 1, s0
	s_mov_b32 s1, 0
	global_store_b8 v[2:3], v1, off
.LBB55_2026:
	s_and_not1_b32 vcc_lo, exec_lo, s1
	s_cbranch_vccnz .LBB55_2028
; %bb.2027:
	s_wait_xcnt 0x0
	v_cndmask_b32_e64 v1, 0, 1, s0
	global_store_b8 v[2:3], v1, off
.LBB55_2028:
	s_mov_b32 s7, -1
.LBB55_2029:
	s_delay_alu instid0(SALU_CYCLE_1)
	s_and_not1_b32 vcc_lo, exec_lo, s7
	s_cbranch_vccnz .LBB55_2106
; %bb.2030:
	s_wait_xcnt 0x0
	v_mov_b32_e32 v1, 0
	v_cmp_eq_f16_e64 s1, 0x7c00, v10
	s_cmp_lt_i32 s2, 11
	v_add_nc_u64_e32 v[2:3], s[4:5], v[0:1]
	s_cbranch_scc1 .LBB55_2151
; %bb.2031:
	s_mov_b32 s4, -1
	s_mov_b32 s3, 0
	s_cmp_gt_i32 s2, 25
	s_mov_b32 s0, 0
	s_cbranch_scc0 .LBB55_2064
; %bb.2032:
	s_cmp_gt_i32 s2, 28
	s_cbranch_scc0 .LBB55_2048
; %bb.2033:
	s_cmp_gt_i32 s2, 43
	;; [unrolled: 3-line block ×3, first 2 shown]
	s_cbranch_scc0 .LBB55_2038
; %bb.2035:
	s_cmp_eq_u32 s2, 46
	s_mov_b32 s0, -1
	s_cbranch_scc0 .LBB55_2037
; %bb.2036:
	v_cndmask_b32_e64 v0, 0, 1.0, s1
	s_mov_b32 s0, 0
	s_delay_alu instid0(VALU_DEP_1) | instskip(NEXT) | instid1(VALU_DEP_1)
	v_bfe_u32 v1, v0, 16, 1
	v_add3_u32 v0, v0, v1, 0x7fff
	s_delay_alu instid0(VALU_DEP_1)
	v_lshrrev_b32_e32 v0, 16, v0
	global_store_b32 v[2:3], v0, off
.LBB55_2037:
	s_mov_b32 s4, 0
.LBB55_2038:
	s_delay_alu instid0(SALU_CYCLE_1)
	s_and_b32 vcc_lo, exec_lo, s4
	s_cbranch_vccz .LBB55_2043
; %bb.2039:
	s_cmp_eq_u32 s2, 44
	s_mov_b32 s0, -1
	s_cbranch_scc0 .LBB55_2043
; %bb.2040:
	v_cndmask_b32_e64 v4, 0, 1.0, s1
	s_mov_b32 s4, exec_lo
	s_wait_xcnt 0x0
	s_delay_alu instid0(VALU_DEP_1) | instskip(NEXT) | instid1(VALU_DEP_1)
	v_dual_mov_b32 v1, 0xff :: v_dual_lshrrev_b32 v0, 23, v4
	v_cmpx_ne_u32_e32 0xff, v0
; %bb.2041:
	v_and_b32_e32 v1, 0x400000, v4
	v_and_or_b32 v4, 0x3fffff, v4, v0
	s_delay_alu instid0(VALU_DEP_2) | instskip(NEXT) | instid1(VALU_DEP_2)
	v_cmp_ne_u32_e32 vcc_lo, 0, v1
	v_cmp_ne_u32_e64 s0, 0, v4
	s_and_b32 s0, vcc_lo, s0
	s_delay_alu instid0(SALU_CYCLE_1) | instskip(NEXT) | instid1(VALU_DEP_1)
	v_cndmask_b32_e64 v1, 0, 1, s0
	v_add_nc_u32_e32 v1, v0, v1
; %bb.2042:
	s_or_b32 exec_lo, exec_lo, s4
	s_mov_b32 s0, 0
	global_store_b8 v[2:3], v1, off
.LBB55_2043:
	s_mov_b32 s4, 0
.LBB55_2044:
	s_delay_alu instid0(SALU_CYCLE_1)
	s_and_b32 vcc_lo, exec_lo, s4
	s_cbranch_vccz .LBB55_2047
; %bb.2045:
	s_cmp_eq_u32 s2, 29
	s_mov_b32 s0, -1
	s_cbranch_scc0 .LBB55_2047
; %bb.2046:
	s_mov_b32 s0, 0
	s_wait_xcnt 0x0
	v_cndmask_b32_e64 v0, 0, 1, s1
	v_mov_b32_e32 v1, s0
	global_store_b64 v[2:3], v[0:1], off
.LBB55_2047:
	s_mov_b32 s4, 0
.LBB55_2048:
	s_delay_alu instid0(SALU_CYCLE_1)
	s_and_b32 vcc_lo, exec_lo, s4
	s_cbranch_vccz .LBB55_2063
; %bb.2049:
	s_cmp_lt_i32 s2, 27
	s_mov_b32 s4, -1
	s_cbranch_scc1 .LBB55_2055
; %bb.2050:
	s_cmp_gt_i32 s2, 27
	s_cbranch_scc0 .LBB55_2052
; %bb.2051:
	s_wait_xcnt 0x0
	v_cndmask_b32_e64 v0, 0, 1, s1
	s_mov_b32 s4, 0
	global_store_b32 v[2:3], v0, off
.LBB55_2052:
	s_and_not1_b32 vcc_lo, exec_lo, s4
	s_cbranch_vccnz .LBB55_2054
; %bb.2053:
	s_wait_xcnt 0x0
	v_cndmask_b32_e64 v0, 0, 1, s1
	global_store_b16 v[2:3], v0, off
.LBB55_2054:
	s_mov_b32 s4, 0
.LBB55_2055:
	s_delay_alu instid0(SALU_CYCLE_1)
	s_and_not1_b32 vcc_lo, exec_lo, s4
	s_cbranch_vccnz .LBB55_2063
; %bb.2056:
	s_wait_xcnt 0x0
	v_cndmask_b32_e64 v1, 0, 1.0, s1
	v_mov_b32_e32 v4, 0x80
	s_mov_b32 s4, exec_lo
	s_delay_alu instid0(VALU_DEP_2)
	v_cmpx_gt_u32_e32 0x43800000, v1
	s_cbranch_execz .LBB55_2062
; %bb.2057:
	s_mov_b32 s5, 0
	s_mov_b32 s7, exec_lo
                                        ; implicit-def: $vgpr0
	v_cmpx_lt_u32_e32 0x3bffffff, v1
	s_xor_b32 s7, exec_lo, s7
	s_cbranch_execz .LBB55_2168
; %bb.2058:
	v_bfe_u32 v0, v1, 20, 1
	s_mov_b32 s5, exec_lo
	s_delay_alu instid0(VALU_DEP_1) | instskip(NEXT) | instid1(VALU_DEP_1)
	v_add3_u32 v0, v1, v0, 0x487ffff
                                        ; implicit-def: $vgpr1
	v_lshrrev_b32_e32 v0, 20, v0
	s_and_not1_saveexec_b32 s7, s7
	s_cbranch_execnz .LBB55_2169
.LBB55_2059:
	s_or_b32 exec_lo, exec_lo, s7
	v_mov_b32_e32 v4, 0
	s_and_saveexec_b32 s7, s5
.LBB55_2060:
	v_mov_b32_e32 v4, v0
.LBB55_2061:
	s_or_b32 exec_lo, exec_lo, s7
.LBB55_2062:
	s_delay_alu instid0(SALU_CYCLE_1)
	s_or_b32 exec_lo, exec_lo, s4
	global_store_b8 v[2:3], v4, off
.LBB55_2063:
	s_mov_b32 s4, 0
.LBB55_2064:
	s_delay_alu instid0(SALU_CYCLE_1)
	s_and_b32 vcc_lo, exec_lo, s4
	s_cbranch_vccz .LBB55_2104
; %bb.2065:
	s_cmp_gt_i32 s2, 22
	s_mov_b32 s3, -1
	s_cbranch_scc0 .LBB55_2097
; %bb.2066:
	s_cmp_lt_i32 s2, 24
	s_cbranch_scc1 .LBB55_2086
; %bb.2067:
	s_cmp_gt_i32 s2, 24
	s_cbranch_scc0 .LBB55_2075
; %bb.2068:
	s_wait_xcnt 0x0
	v_cndmask_b32_e64 v1, 0, 1.0, s1
	v_mov_b32_e32 v4, 0x80
	s_mov_b32 s3, exec_lo
	s_delay_alu instid0(VALU_DEP_2)
	v_cmpx_gt_u32_e32 0x47800000, v1
	s_cbranch_execz .LBB55_2074
; %bb.2069:
	s_mov_b32 s4, 0
	s_mov_b32 s5, exec_lo
                                        ; implicit-def: $vgpr0
	v_cmpx_lt_u32_e32 0x37ffffff, v1
	s_xor_b32 s5, exec_lo, s5
	s_cbranch_execz .LBB55_2171
; %bb.2070:
	v_bfe_u32 v0, v1, 21, 1
	s_mov_b32 s4, exec_lo
	s_delay_alu instid0(VALU_DEP_1) | instskip(NEXT) | instid1(VALU_DEP_1)
	v_add3_u32 v0, v1, v0, 0x88fffff
                                        ; implicit-def: $vgpr1
	v_lshrrev_b32_e32 v0, 21, v0
	s_and_not1_saveexec_b32 s5, s5
	s_cbranch_execnz .LBB55_2172
.LBB55_2071:
	s_or_b32 exec_lo, exec_lo, s5
	v_mov_b32_e32 v4, 0
	s_and_saveexec_b32 s5, s4
.LBB55_2072:
	v_mov_b32_e32 v4, v0
.LBB55_2073:
	s_or_b32 exec_lo, exec_lo, s5
.LBB55_2074:
	s_delay_alu instid0(SALU_CYCLE_1)
	s_or_b32 exec_lo, exec_lo, s3
	s_mov_b32 s3, 0
	global_store_b8 v[2:3], v4, off
.LBB55_2075:
	s_and_b32 vcc_lo, exec_lo, s3
	s_cbranch_vccz .LBB55_2085
; %bb.2076:
	s_wait_xcnt 0x0
	v_cndmask_b32_e64 v1, 0, 1.0, s1
	s_mov_b32 s3, exec_lo
                                        ; implicit-def: $vgpr0
	s_delay_alu instid0(VALU_DEP_1)
	v_cmpx_gt_u32_e32 0x43f00000, v1
	s_xor_b32 s3, exec_lo, s3
	s_cbranch_execz .LBB55_2082
; %bb.2077:
	s_mov_b32 s4, exec_lo
                                        ; implicit-def: $vgpr0
	v_cmpx_lt_u32_e32 0x3c7fffff, v1
	s_xor_b32 s4, exec_lo, s4
; %bb.2078:
	v_bfe_u32 v0, v1, 20, 1
	s_delay_alu instid0(VALU_DEP_1) | instskip(NEXT) | instid1(VALU_DEP_1)
	v_add3_u32 v0, v1, v0, 0x407ffff
	v_and_b32_e32 v1, 0xff00000, v0
	v_lshrrev_b32_e32 v0, 20, v0
	s_delay_alu instid0(VALU_DEP_2) | instskip(NEXT) | instid1(VALU_DEP_2)
	v_cmp_ne_u32_e32 vcc_lo, 0x7f00000, v1
                                        ; implicit-def: $vgpr1
	v_cndmask_b32_e32 v0, 0x7e, v0, vcc_lo
; %bb.2079:
	s_and_not1_saveexec_b32 s4, s4
; %bb.2080:
	v_add_f32_e32 v0, 0x46800000, v1
; %bb.2081:
	s_or_b32 exec_lo, exec_lo, s4
                                        ; implicit-def: $vgpr1
.LBB55_2082:
	s_and_not1_saveexec_b32 s3, s3
; %bb.2083:
	v_mov_b32_e32 v0, 0x7f
	v_cmp_lt_u32_e32 vcc_lo, 0x7f800000, v1
	s_delay_alu instid0(VALU_DEP_2)
	v_cndmask_b32_e32 v0, 0x7e, v0, vcc_lo
; %bb.2084:
	s_or_b32 exec_lo, exec_lo, s3
	global_store_b8 v[2:3], v0, off
.LBB55_2085:
	s_mov_b32 s3, 0
.LBB55_2086:
	s_delay_alu instid0(SALU_CYCLE_1)
	s_and_not1_b32 vcc_lo, exec_lo, s3
	s_cbranch_vccnz .LBB55_2096
; %bb.2087:
	s_wait_xcnt 0x0
	v_cndmask_b32_e64 v1, 0, 1.0, s1
	s_mov_b32 s3, exec_lo
                                        ; implicit-def: $vgpr0
	s_delay_alu instid0(VALU_DEP_1)
	v_cmpx_gt_u32_e32 0x47800000, v1
	s_xor_b32 s3, exec_lo, s3
	s_cbranch_execz .LBB55_2093
; %bb.2088:
	s_mov_b32 s4, exec_lo
                                        ; implicit-def: $vgpr0
	v_cmpx_lt_u32_e32 0x387fffff, v1
	s_xor_b32 s4, exec_lo, s4
; %bb.2089:
	v_bfe_u32 v0, v1, 21, 1
	s_delay_alu instid0(VALU_DEP_1) | instskip(NEXT) | instid1(VALU_DEP_1)
	v_add3_u32 v0, v1, v0, 0x80fffff
                                        ; implicit-def: $vgpr1
	v_lshrrev_b32_e32 v0, 21, v0
; %bb.2090:
	s_and_not1_saveexec_b32 s4, s4
; %bb.2091:
	v_add_f32_e32 v0, 0x43000000, v1
; %bb.2092:
	s_or_b32 exec_lo, exec_lo, s4
                                        ; implicit-def: $vgpr1
.LBB55_2093:
	s_and_not1_saveexec_b32 s3, s3
; %bb.2094:
	v_mov_b32_e32 v0, 0x7f
	v_cmp_lt_u32_e32 vcc_lo, 0x7f800000, v1
	s_delay_alu instid0(VALU_DEP_2)
	v_cndmask_b32_e32 v0, 0x7c, v0, vcc_lo
; %bb.2095:
	s_or_b32 exec_lo, exec_lo, s3
	global_store_b8 v[2:3], v0, off
.LBB55_2096:
	s_mov_b32 s3, 0
.LBB55_2097:
	s_delay_alu instid0(SALU_CYCLE_1)
	s_and_not1_b32 vcc_lo, exec_lo, s3
	s_mov_b32 s3, 0
	s_cbranch_vccnz .LBB55_2104
; %bb.2098:
	s_cmp_gt_i32 s2, 14
	s_mov_b32 s3, -1
	s_cbranch_scc0 .LBB55_2102
; %bb.2099:
	s_cmp_eq_u32 s2, 15
	s_mov_b32 s0, -1
	s_cbranch_scc0 .LBB55_2101
; %bb.2100:
	s_wait_xcnt 0x0
	v_cndmask_b32_e64 v0, 0, 1.0, s1
	s_mov_b32 s0, 0
	s_delay_alu instid0(VALU_DEP_1) | instskip(NEXT) | instid1(VALU_DEP_1)
	v_bfe_u32 v1, v0, 16, 1
	v_add3_u32 v0, v0, v1, 0x7fff
	global_store_d16_hi_b16 v[2:3], v0, off
.LBB55_2101:
	s_mov_b32 s3, 0
.LBB55_2102:
	s_delay_alu instid0(SALU_CYCLE_1)
	s_and_b32 vcc_lo, exec_lo, s3
	s_mov_b32 s3, 0
	s_cbranch_vccz .LBB55_2104
; %bb.2103:
	s_cmp_lg_u32 s2, 11
	s_mov_b32 s3, -1
	s_cselect_b32 s0, -1, 0
.LBB55_2104:
	s_delay_alu instid0(SALU_CYCLE_1)
	s_and_b32 vcc_lo, exec_lo, s0
	s_cbranch_vccnz .LBB55_2170
.LBB55_2105:
	s_mov_b32 s0, 0
	s_branch .LBB55_2107
.LBB55_2106:
	s_mov_b32 s0, 0
	s_mov_b32 s3, 0
                                        ; implicit-def: $sgpr1
                                        ; implicit-def: $vgpr2_vgpr3
                                        ; implicit-def: $sgpr6
.LBB55_2107:
	s_and_not1_b32 s2, s8, exec_lo
	s_and_b32 s4, s10, exec_lo
	s_and_b32 s0, s0, exec_lo
	;; [unrolled: 1-line block ×3, first 2 shown]
	s_or_b32 s8, s2, s4
.LBB55_2108:
	s_wait_xcnt 0x0
	s_or_b32 exec_lo, exec_lo, s9
	s_and_saveexec_b32 s2, s8
	s_cbranch_execz .LBB55_2111
; %bb.2109:
	; divergent unreachable
	s_or_b32 exec_lo, exec_lo, s2
	s_and_saveexec_b32 s2, s30
	s_delay_alu instid0(SALU_CYCLE_1)
	s_xor_b32 s2, exec_lo, s2
	s_cbranch_execnz .LBB55_2112
.LBB55_2110:
	s_or_b32 exec_lo, exec_lo, s2
	s_and_saveexec_b32 s2, s0
	s_cbranch_execnz .LBB55_2113
	s_branch .LBB55_2150
.LBB55_2111:
	s_or_b32 exec_lo, exec_lo, s2
	s_and_saveexec_b32 s2, s30
	s_delay_alu instid0(SALU_CYCLE_1)
	s_xor_b32 s2, exec_lo, s2
	s_cbranch_execz .LBB55_2110
.LBB55_2112:
	v_cndmask_b32_e64 v0, 0, 1, s1
	s_wait_loadcnt 0x0
	global_store_b8 v[2:3], v0, off
	s_wait_xcnt 0x0
	s_or_b32 exec_lo, exec_lo, s2
	s_and_saveexec_b32 s2, s0
	s_cbranch_execz .LBB55_2150
.LBB55_2113:
	s_sext_i32_i16 s2, s6
	s_mov_b32 s0, -1
	s_cmp_lt_i32 s2, 5
	s_cbranch_scc1 .LBB55_2134
; %bb.2114:
	s_cmp_lt_i32 s2, 8
	s_cbranch_scc1 .LBB55_2124
; %bb.2115:
	;; [unrolled: 3-line block ×3, first 2 shown]
	s_cmp_gt_i32 s2, 9
	s_cbranch_scc0 .LBB55_2118
; %bb.2117:
	v_cndmask_b32_e64 v0, 0, 1, s1
	s_wait_loadcnt 0x0
	v_mov_b32_e32 v6, 0
	s_mov_b32 s0, 0
	s_delay_alu instid0(VALU_DEP_2) | instskip(NEXT) | instid1(VALU_DEP_2)
	v_cvt_f64_u32_e32 v[4:5], v0
	v_mov_b32_e32 v7, v6
	global_store_b128 v[2:3], v[4:7], off
.LBB55_2118:
	s_and_not1_b32 vcc_lo, exec_lo, s0
	s_cbranch_vccnz .LBB55_2120
; %bb.2119:
	v_cndmask_b32_e64 v0, 0, 1.0, s1
	s_wait_loadcnt 0x0
	v_mov_b32_e32 v1, 0
	global_store_b64 v[2:3], v[0:1], off
.LBB55_2120:
	s_mov_b32 s0, 0
.LBB55_2121:
	s_delay_alu instid0(SALU_CYCLE_1)
	s_and_not1_b32 vcc_lo, exec_lo, s0
	s_cbranch_vccnz .LBB55_2123
; %bb.2122:
	s_wait_xcnt 0x0
	v_cndmask_b32_e64 v0, 0, 1.0, s1
	s_delay_alu instid0(VALU_DEP_1) | instskip(NEXT) | instid1(VALU_DEP_1)
	v_cvt_f16_f32_e32 v0, v0
	v_and_b32_e32 v0, 0xffff, v0
	s_wait_loadcnt 0x0
	global_store_b32 v[2:3], v0, off
.LBB55_2123:
	s_mov_b32 s0, 0
.LBB55_2124:
	s_delay_alu instid0(SALU_CYCLE_1)
	s_and_not1_b32 vcc_lo, exec_lo, s0
	s_cbranch_vccnz .LBB55_2133
; %bb.2125:
	s_sext_i32_i16 s2, s6
	s_mov_b32 s0, -1
	s_cmp_lt_i32 s2, 6
	s_cbranch_scc1 .LBB55_2131
; %bb.2126:
	s_cmp_gt_i32 s2, 6
	s_cbranch_scc0 .LBB55_2128
; %bb.2127:
	s_wait_xcnt 0x0
	v_cndmask_b32_e64 v0, 0, 1, s1
	s_mov_b32 s0, 0
	s_wait_loadcnt 0x0
	s_delay_alu instid0(VALU_DEP_1)
	v_cvt_f64_u32_e32 v[0:1], v0
	global_store_b64 v[2:3], v[0:1], off
.LBB55_2128:
	s_and_not1_b32 vcc_lo, exec_lo, s0
	s_cbranch_vccnz .LBB55_2130
; %bb.2129:
	s_wait_xcnt 0x0
	v_cndmask_b32_e64 v0, 0, 1.0, s1
	s_wait_loadcnt 0x0
	global_store_b32 v[2:3], v0, off
.LBB55_2130:
	s_mov_b32 s0, 0
.LBB55_2131:
	s_delay_alu instid0(SALU_CYCLE_1)
	s_and_not1_b32 vcc_lo, exec_lo, s0
	s_cbranch_vccnz .LBB55_2133
; %bb.2132:
	s_wait_xcnt 0x0
	v_cndmask_b32_e64 v0, 0, 1.0, s1
	s_delay_alu instid0(VALU_DEP_1)
	v_cvt_f16_f32_e32 v0, v0
	s_wait_loadcnt 0x0
	global_store_b16 v[2:3], v0, off
.LBB55_2133:
	s_mov_b32 s0, 0
.LBB55_2134:
	s_delay_alu instid0(SALU_CYCLE_1)
	s_and_not1_b32 vcc_lo, exec_lo, s0
	s_cbranch_vccnz .LBB55_2150
; %bb.2135:
	s_sext_i32_i16 s2, s6
	s_mov_b32 s0, -1
	s_cmp_lt_i32 s2, 2
	s_cbranch_scc1 .LBB55_2145
; %bb.2136:
	s_cmp_lt_i32 s2, 3
	s_cbranch_scc1 .LBB55_2142
; %bb.2137:
	s_cmp_gt_i32 s2, 3
	s_cbranch_scc0 .LBB55_2139
; %bb.2138:
	s_mov_b32 s0, 0
	s_wait_xcnt 0x0
	v_cndmask_b32_e64 v0, 0, 1, s1
	s_wait_loadcnt 0x0
	v_mov_b32_e32 v1, s0
	global_store_b64 v[2:3], v[0:1], off
.LBB55_2139:
	s_and_not1_b32 vcc_lo, exec_lo, s0
	s_cbranch_vccnz .LBB55_2141
; %bb.2140:
	s_wait_xcnt 0x0
	v_cndmask_b32_e64 v0, 0, 1, s1
	s_wait_loadcnt 0x0
	global_store_b32 v[2:3], v0, off
.LBB55_2141:
	s_mov_b32 s0, 0
.LBB55_2142:
	s_delay_alu instid0(SALU_CYCLE_1)
	s_and_not1_b32 vcc_lo, exec_lo, s0
	s_cbranch_vccnz .LBB55_2144
; %bb.2143:
	s_wait_xcnt 0x0
	v_cndmask_b32_e64 v0, 0, 1, s1
	s_wait_loadcnt 0x0
	global_store_b16 v[2:3], v0, off
.LBB55_2144:
	s_mov_b32 s0, 0
.LBB55_2145:
	s_delay_alu instid0(SALU_CYCLE_1)
	s_and_not1_b32 vcc_lo, exec_lo, s0
	s_cbranch_vccnz .LBB55_2150
; %bb.2146:
	s_sext_i32_i16 s0, s6
	s_delay_alu instid0(SALU_CYCLE_1)
	s_cmp_gt_i32 s0, 0
	s_mov_b32 s0, -1
	s_cbranch_scc0 .LBB55_2148
; %bb.2147:
	s_wait_xcnt 0x0
	v_cndmask_b32_e64 v0, 0, 1, s1
	s_mov_b32 s0, 0
	s_wait_loadcnt 0x0
	global_store_b8 v[2:3], v0, off
.LBB55_2148:
	s_and_not1_b32 vcc_lo, exec_lo, s0
	s_cbranch_vccnz .LBB55_2150
; %bb.2149:
	s_wait_xcnt 0x0
	v_cndmask_b32_e64 v0, 0, 1, s1
	s_wait_loadcnt 0x0
	global_store_b8 v[2:3], v0, off
	s_endpgm
.LBB55_2150:
	s_endpgm
.LBB55_2151:
	s_mov_b32 s3, 0
	s_mov_b32 s0, -1
	s_branch .LBB55_2107
.LBB55_2152:
	s_or_b32 s10, s10, exec_lo
	s_trap 2
	s_cbranch_execz .LBB55_1621
	s_branch .LBB55_1622
.LBB55_2153:
	s_and_not1_saveexec_b32 s12, s12
	s_cbranch_execz .LBB55_1701
.LBB55_2154:
	v_add_f32_e32 v1, 0x46000000, v5
	s_and_not1_b32 s11, s11, exec_lo
	s_delay_alu instid0(VALU_DEP_1) | instskip(NEXT) | instid1(VALU_DEP_1)
	v_and_b32_e32 v1, 0xff, v1
	v_cmp_ne_u32_e32 vcc_lo, 0, v1
	s_and_b32 s13, vcc_lo, exec_lo
	s_delay_alu instid0(SALU_CYCLE_1)
	s_or_b32 s11, s11, s13
	s_or_b32 exec_lo, exec_lo, s12
	v_mov_b32_e32 v8, 0
	s_and_saveexec_b32 s12, s11
	s_cbranch_execnz .LBB55_1702
	s_branch .LBB55_1703
.LBB55_2155:
	s_or_b32 s10, s10, exec_lo
	s_trap 2
	s_cbranch_execz .LBB55_1749
	s_branch .LBB55_1750
.LBB55_2156:
	s_and_not1_saveexec_b32 s11, s11
	s_cbranch_execz .LBB55_1714
.LBB55_2157:
	v_add_f32_e32 v1, 0x42800000, v5
	s_and_not1_b32 s7, s7, exec_lo
	s_delay_alu instid0(VALU_DEP_1) | instskip(NEXT) | instid1(VALU_DEP_1)
	v_and_b32_e32 v1, 0xff, v1
	v_cmp_ne_u32_e32 vcc_lo, 0, v1
	s_and_b32 s12, vcc_lo, exec_lo
	s_delay_alu instid0(SALU_CYCLE_1)
	s_or_b32 s7, s7, s12
	s_or_b32 exec_lo, exec_lo, s11
	v_mov_b32_e32 v8, 0
	s_and_saveexec_b32 s11, s7
	s_cbranch_execnz .LBB55_1715
	s_branch .LBB55_1716
.LBB55_2158:
	s_and_not1_saveexec_b32 s12, s12
	s_cbranch_execz .LBB55_1820
.LBB55_2159:
	v_add_f32_e32 v1, 0x46000000, v3
	s_and_not1_b32 s11, s11, exec_lo
	s_delay_alu instid0(VALU_DEP_1) | instskip(NEXT) | instid1(VALU_DEP_1)
	v_and_b32_e32 v1, 0xff, v1
	v_cmp_ne_u32_e32 vcc_lo, 0, v1
	s_and_b32 s13, vcc_lo, exec_lo
	s_delay_alu instid0(SALU_CYCLE_1)
	s_or_b32 s11, s11, s13
	s_or_b32 exec_lo, exec_lo, s12
	v_mov_b32_e32 v6, 0
	s_and_saveexec_b32 s12, s11
	s_cbranch_execnz .LBB55_1821
	s_branch .LBB55_1822
.LBB55_2160:
	s_or_b32 s10, s10, exec_lo
	s_trap 2
	s_cbranch_execz .LBB55_1868
	s_branch .LBB55_1869
.LBB55_2161:
	s_and_not1_saveexec_b32 s11, s11
	s_cbranch_execz .LBB55_1833
.LBB55_2162:
	v_add_f32_e32 v1, 0x42800000, v3
	s_and_not1_b32 s7, s7, exec_lo
	s_delay_alu instid0(VALU_DEP_1) | instskip(NEXT) | instid1(VALU_DEP_1)
	v_and_b32_e32 v1, 0xff, v1
	v_cmp_ne_u32_e32 vcc_lo, 0, v1
	s_and_b32 s12, vcc_lo, exec_lo
	s_delay_alu instid0(SALU_CYCLE_1)
	s_or_b32 s7, s7, s12
	s_or_b32 exec_lo, exec_lo, s11
	v_mov_b32_e32 v6, 0
	s_and_saveexec_b32 s11, s7
	s_cbranch_execnz .LBB55_1834
	s_branch .LBB55_1835
.LBB55_2163:
	s_and_not1_saveexec_b32 s12, s12
	s_cbranch_execz .LBB55_1939
.LBB55_2164:
	v_add_f32_e32 v1, 0x46000000, v4
	s_and_not1_b32 s11, s11, exec_lo
	s_delay_alu instid0(VALU_DEP_1) | instskip(NEXT) | instid1(VALU_DEP_1)
	v_and_b32_e32 v1, 0xff, v1
	v_cmp_ne_u32_e32 vcc_lo, 0, v1
	s_and_b32 s13, vcc_lo, exec_lo
	s_delay_alu instid0(SALU_CYCLE_1)
	s_or_b32 s11, s11, s13
	s_or_b32 exec_lo, exec_lo, s12
	v_mov_b32_e32 v5, 0
	s_and_saveexec_b32 s12, s11
	s_cbranch_execnz .LBB55_1940
	s_branch .LBB55_1941
.LBB55_2165:
	s_or_b32 s10, s10, exec_lo
	s_trap 2
	s_cbranch_execz .LBB55_1987
	s_branch .LBB55_1988
.LBB55_2166:
	s_and_not1_saveexec_b32 s11, s11
	s_cbranch_execz .LBB55_1952
.LBB55_2167:
	v_add_f32_e32 v1, 0x42800000, v4
	s_and_not1_b32 s7, s7, exec_lo
	s_delay_alu instid0(VALU_DEP_1) | instskip(NEXT) | instid1(VALU_DEP_1)
	v_and_b32_e32 v1, 0xff, v1
	v_cmp_ne_u32_e32 vcc_lo, 0, v1
	s_and_b32 s12, vcc_lo, exec_lo
	s_delay_alu instid0(SALU_CYCLE_1)
	s_or_b32 s7, s7, s12
	s_or_b32 exec_lo, exec_lo, s11
	v_mov_b32_e32 v5, 0
	s_and_saveexec_b32 s11, s7
	s_cbranch_execnz .LBB55_1953
	s_branch .LBB55_1954
.LBB55_2168:
	s_and_not1_saveexec_b32 s7, s7
	s_cbranch_execz .LBB55_2059
.LBB55_2169:
	v_add_f32_e32 v0, 0x46000000, v1
	s_and_not1_b32 s5, s5, exec_lo
	s_delay_alu instid0(VALU_DEP_1) | instskip(NEXT) | instid1(VALU_DEP_1)
	v_and_b32_e32 v0, 0xff, v0
	v_cmp_ne_u32_e32 vcc_lo, 0, v0
	s_and_b32 s11, vcc_lo, exec_lo
	s_delay_alu instid0(SALU_CYCLE_1)
	s_or_b32 s5, s5, s11
	s_or_b32 exec_lo, exec_lo, s7
	v_mov_b32_e32 v4, 0
	s_and_saveexec_b32 s7, s5
	s_cbranch_execnz .LBB55_2060
	s_branch .LBB55_2061
.LBB55_2170:
	s_mov_b32 s3, 0
	s_or_b32 s10, s10, exec_lo
	s_trap 2
	s_branch .LBB55_2105
.LBB55_2171:
	s_and_not1_saveexec_b32 s5, s5
	s_cbranch_execz .LBB55_2071
.LBB55_2172:
	v_add_f32_e32 v0, 0x42800000, v1
	s_and_not1_b32 s4, s4, exec_lo
	s_delay_alu instid0(VALU_DEP_1) | instskip(NEXT) | instid1(VALU_DEP_1)
	v_and_b32_e32 v0, 0xff, v0
	v_cmp_ne_u32_e32 vcc_lo, 0, v0
	s_and_b32 s7, vcc_lo, exec_lo
	s_delay_alu instid0(SALU_CYCLE_1)
	s_or_b32 s4, s4, s7
	s_or_b32 exec_lo, exec_lo, s5
	v_mov_b32_e32 v4, 0
	s_and_saveexec_b32 s5, s4
	s_cbranch_execnz .LBB55_2072
	s_branch .LBB55_2073
	.section	.rodata,"a",@progbits
	.p2align	6, 0x0
	.amdhsa_kernel _ZN2at6native32elementwise_kernel_manual_unrollILi128ELi4EZNS0_15gpu_kernel_implIZZZNS0_12_GLOBAL__N_120isposinf_kernel_implERNS_18TensorIteratorBaseEENKUlvE_clEvENKUlvE1_clEvEUlN3c104HalfEE_EEvS5_RKT_EUlibE0_EEviT1_
		.amdhsa_group_segment_fixed_size 0
		.amdhsa_private_segment_fixed_size 0
		.amdhsa_kernarg_size 360
		.amdhsa_user_sgpr_count 2
		.amdhsa_user_sgpr_dispatch_ptr 0
		.amdhsa_user_sgpr_queue_ptr 0
		.amdhsa_user_sgpr_kernarg_segment_ptr 1
		.amdhsa_user_sgpr_dispatch_id 0
		.amdhsa_user_sgpr_kernarg_preload_length 0
		.amdhsa_user_sgpr_kernarg_preload_offset 0
		.amdhsa_user_sgpr_private_segment_size 0
		.amdhsa_wavefront_size32 1
		.amdhsa_uses_dynamic_stack 0
		.amdhsa_enable_private_segment 0
		.amdhsa_system_sgpr_workgroup_id_x 1
		.amdhsa_system_sgpr_workgroup_id_y 0
		.amdhsa_system_sgpr_workgroup_id_z 0
		.amdhsa_system_sgpr_workgroup_info 0
		.amdhsa_system_vgpr_workitem_id 0
		.amdhsa_next_free_vgpr 18
		.amdhsa_next_free_sgpr 68
		.amdhsa_named_barrier_count 0
		.amdhsa_reserve_vcc 1
		.amdhsa_float_round_mode_32 0
		.amdhsa_float_round_mode_16_64 0
		.amdhsa_float_denorm_mode_32 3
		.amdhsa_float_denorm_mode_16_64 3
		.amdhsa_fp16_overflow 0
		.amdhsa_memory_ordered 1
		.amdhsa_forward_progress 1
		.amdhsa_inst_pref_size 255
		.amdhsa_round_robin_scheduling 0
		.amdhsa_exception_fp_ieee_invalid_op 0
		.amdhsa_exception_fp_denorm_src 0
		.amdhsa_exception_fp_ieee_div_zero 0
		.amdhsa_exception_fp_ieee_overflow 0
		.amdhsa_exception_fp_ieee_underflow 0
		.amdhsa_exception_fp_ieee_inexact 0
		.amdhsa_exception_int_div_zero 0
	.end_amdhsa_kernel
	.section	.text._ZN2at6native32elementwise_kernel_manual_unrollILi128ELi4EZNS0_15gpu_kernel_implIZZZNS0_12_GLOBAL__N_120isposinf_kernel_implERNS_18TensorIteratorBaseEENKUlvE_clEvENKUlvE1_clEvEUlN3c104HalfEE_EEvS5_RKT_EUlibE0_EEviT1_,"axG",@progbits,_ZN2at6native32elementwise_kernel_manual_unrollILi128ELi4EZNS0_15gpu_kernel_implIZZZNS0_12_GLOBAL__N_120isposinf_kernel_implERNS_18TensorIteratorBaseEENKUlvE_clEvENKUlvE1_clEvEUlN3c104HalfEE_EEvS5_RKT_EUlibE0_EEviT1_,comdat
.Lfunc_end55:
	.size	_ZN2at6native32elementwise_kernel_manual_unrollILi128ELi4EZNS0_15gpu_kernel_implIZZZNS0_12_GLOBAL__N_120isposinf_kernel_implERNS_18TensorIteratorBaseEENKUlvE_clEvENKUlvE1_clEvEUlN3c104HalfEE_EEvS5_RKT_EUlibE0_EEviT1_, .Lfunc_end55-_ZN2at6native32elementwise_kernel_manual_unrollILi128ELi4EZNS0_15gpu_kernel_implIZZZNS0_12_GLOBAL__N_120isposinf_kernel_implERNS_18TensorIteratorBaseEENKUlvE_clEvENKUlvE1_clEvEUlN3c104HalfEE_EEvS5_RKT_EUlibE0_EEviT1_
                                        ; -- End function
	.set _ZN2at6native32elementwise_kernel_manual_unrollILi128ELi4EZNS0_15gpu_kernel_implIZZZNS0_12_GLOBAL__N_120isposinf_kernel_implERNS_18TensorIteratorBaseEENKUlvE_clEvENKUlvE1_clEvEUlN3c104HalfEE_EEvS5_RKT_EUlibE0_EEviT1_.num_vgpr, 18
	.set _ZN2at6native32elementwise_kernel_manual_unrollILi128ELi4EZNS0_15gpu_kernel_implIZZZNS0_12_GLOBAL__N_120isposinf_kernel_implERNS_18TensorIteratorBaseEENKUlvE_clEvENKUlvE1_clEvEUlN3c104HalfEE_EEvS5_RKT_EUlibE0_EEviT1_.num_agpr, 0
	.set _ZN2at6native32elementwise_kernel_manual_unrollILi128ELi4EZNS0_15gpu_kernel_implIZZZNS0_12_GLOBAL__N_120isposinf_kernel_implERNS_18TensorIteratorBaseEENKUlvE_clEvENKUlvE1_clEvEUlN3c104HalfEE_EEvS5_RKT_EUlibE0_EEviT1_.numbered_sgpr, 68
	.set _ZN2at6native32elementwise_kernel_manual_unrollILi128ELi4EZNS0_15gpu_kernel_implIZZZNS0_12_GLOBAL__N_120isposinf_kernel_implERNS_18TensorIteratorBaseEENKUlvE_clEvENKUlvE1_clEvEUlN3c104HalfEE_EEvS5_RKT_EUlibE0_EEviT1_.num_named_barrier, 0
	.set _ZN2at6native32elementwise_kernel_manual_unrollILi128ELi4EZNS0_15gpu_kernel_implIZZZNS0_12_GLOBAL__N_120isposinf_kernel_implERNS_18TensorIteratorBaseEENKUlvE_clEvENKUlvE1_clEvEUlN3c104HalfEE_EEvS5_RKT_EUlibE0_EEviT1_.private_seg_size, 0
	.set _ZN2at6native32elementwise_kernel_manual_unrollILi128ELi4EZNS0_15gpu_kernel_implIZZZNS0_12_GLOBAL__N_120isposinf_kernel_implERNS_18TensorIteratorBaseEENKUlvE_clEvENKUlvE1_clEvEUlN3c104HalfEE_EEvS5_RKT_EUlibE0_EEviT1_.uses_vcc, 1
	.set _ZN2at6native32elementwise_kernel_manual_unrollILi128ELi4EZNS0_15gpu_kernel_implIZZZNS0_12_GLOBAL__N_120isposinf_kernel_implERNS_18TensorIteratorBaseEENKUlvE_clEvENKUlvE1_clEvEUlN3c104HalfEE_EEvS5_RKT_EUlibE0_EEviT1_.uses_flat_scratch, 0
	.set _ZN2at6native32elementwise_kernel_manual_unrollILi128ELi4EZNS0_15gpu_kernel_implIZZZNS0_12_GLOBAL__N_120isposinf_kernel_implERNS_18TensorIteratorBaseEENKUlvE_clEvENKUlvE1_clEvEUlN3c104HalfEE_EEvS5_RKT_EUlibE0_EEviT1_.has_dyn_sized_stack, 0
	.set _ZN2at6native32elementwise_kernel_manual_unrollILi128ELi4EZNS0_15gpu_kernel_implIZZZNS0_12_GLOBAL__N_120isposinf_kernel_implERNS_18TensorIteratorBaseEENKUlvE_clEvENKUlvE1_clEvEUlN3c104HalfEE_EEvS5_RKT_EUlibE0_EEviT1_.has_recursion, 0
	.set _ZN2at6native32elementwise_kernel_manual_unrollILi128ELi4EZNS0_15gpu_kernel_implIZZZNS0_12_GLOBAL__N_120isposinf_kernel_implERNS_18TensorIteratorBaseEENKUlvE_clEvENKUlvE1_clEvEUlN3c104HalfEE_EEvS5_RKT_EUlibE0_EEviT1_.has_indirect_call, 0
	.section	.AMDGPU.csdata,"",@progbits
; Kernel info:
; codeLenInByte = 46608
; TotalNumSgprs: 70
; NumVgprs: 18
; ScratchSize: 0
; MemoryBound: 0
; FloatMode: 240
; IeeeMode: 1
; LDSByteSize: 0 bytes/workgroup (compile time only)
; SGPRBlocks: 0
; VGPRBlocks: 1
; NumSGPRsForWavesPerEU: 70
; NumVGPRsForWavesPerEU: 18
; NamedBarCnt: 0
; Occupancy: 16
; WaveLimiterHint : 1
; COMPUTE_PGM_RSRC2:SCRATCH_EN: 0
; COMPUTE_PGM_RSRC2:USER_SGPR: 2
; COMPUTE_PGM_RSRC2:TRAP_HANDLER: 0
; COMPUTE_PGM_RSRC2:TGID_X_EN: 1
; COMPUTE_PGM_RSRC2:TGID_Y_EN: 0
; COMPUTE_PGM_RSRC2:TGID_Z_EN: 0
; COMPUTE_PGM_RSRC2:TIDIG_COMP_CNT: 0
	.section	.text._ZN2at6native29vectorized_elementwise_kernelILi16EZZZNS0_12_GLOBAL__N_120isposinf_kernel_implERNS_18TensorIteratorBaseEENKUlvE_clEvENKUlvE2_clEvEUlN3c108BFloat16EE_St5arrayIPcLm2EEEEviT0_T1_,"axG",@progbits,_ZN2at6native29vectorized_elementwise_kernelILi16EZZZNS0_12_GLOBAL__N_120isposinf_kernel_implERNS_18TensorIteratorBaseEENKUlvE_clEvENKUlvE2_clEvEUlN3c108BFloat16EE_St5arrayIPcLm2EEEEviT0_T1_,comdat
	.globl	_ZN2at6native29vectorized_elementwise_kernelILi16EZZZNS0_12_GLOBAL__N_120isposinf_kernel_implERNS_18TensorIteratorBaseEENKUlvE_clEvENKUlvE2_clEvEUlN3c108BFloat16EE_St5arrayIPcLm2EEEEviT0_T1_ ; -- Begin function _ZN2at6native29vectorized_elementwise_kernelILi16EZZZNS0_12_GLOBAL__N_120isposinf_kernel_implERNS_18TensorIteratorBaseEENKUlvE_clEvENKUlvE2_clEvEUlN3c108BFloat16EE_St5arrayIPcLm2EEEEviT0_T1_
	.p2align	8
	.type	_ZN2at6native29vectorized_elementwise_kernelILi16EZZZNS0_12_GLOBAL__N_120isposinf_kernel_implERNS_18TensorIteratorBaseEENKUlvE_clEvENKUlvE2_clEvEUlN3c108BFloat16EE_St5arrayIPcLm2EEEEviT0_T1_,@function
_ZN2at6native29vectorized_elementwise_kernelILi16EZZZNS0_12_GLOBAL__N_120isposinf_kernel_implERNS_18TensorIteratorBaseEENKUlvE_clEvENKUlvE2_clEvEUlN3c108BFloat16EE_St5arrayIPcLm2EEEEviT0_T1_: ; @_ZN2at6native29vectorized_elementwise_kernelILi16EZZZNS0_12_GLOBAL__N_120isposinf_kernel_implERNS_18TensorIteratorBaseEENKUlvE_clEvENKUlvE2_clEvEUlN3c108BFloat16EE_St5arrayIPcLm2EEEEviT0_T1_
; %bb.0:
	s_clause 0x1
	s_load_b32 s3, s[0:1], 0x0
	s_load_b128 s[4:7], s[0:1], 0x8
	s_wait_xcnt 0x0
	s_bfe_u32 s0, ttmp6, 0x4000c
	s_and_b32 s1, ttmp6, 15
	s_add_co_i32 s0, s0, 1
	s_getreg_b32 s2, hwreg(HW_REG_IB_STS2, 6, 4)
	s_mul_i32 s0, ttmp9, s0
	s_delay_alu instid0(SALU_CYCLE_1) | instskip(SKIP_2) | instid1(SALU_CYCLE_1)
	s_add_co_i32 s1, s1, s0
	s_cmp_eq_u32 s2, 0
	s_cselect_b32 s0, ttmp9, s1
	s_lshl_b32 s2, s0, 12
	s_mov_b32 s0, -1
	s_wait_kmcnt 0x0
	s_sub_co_i32 s1, s3, s2
	s_delay_alu instid0(SALU_CYCLE_1)
	s_cmp_gt_i32 s1, 0xfff
	s_cbranch_scc0 .LBB56_2
; %bb.1:
	s_ashr_i32 s3, s2, 31
	v_lshlrev_b32_e32 v1, 5, v0
	s_lshl_b64 s[8:9], s[2:3], 1
	s_mov_b32 s0, 0
	s_add_nc_u64 s[8:9], s[6:7], s[8:9]
	s_clause 0x1
	global_load_b128 v[2:5], v1, s[8:9]
	global_load_b128 v[6:9], v1, s[8:9] offset:16
	s_wait_xcnt 0x0
	s_add_nc_u64 s[8:9], s[4:5], s[2:3]
	s_wait_loadcnt 0x1
	v_and_b32_e32 v1, 0xffff0000, v4
	v_lshlrev_b32_e32 v4, 16, v4
	v_and_b32_e32 v10, 0xffff0000, v5
	v_and_b32_e32 v11, 0xffff0000, v2
	v_lshlrev_b32_e32 v2, 16, v2
	v_cmp_eq_f32_e32 vcc_lo, 0x7f800000, v1
	v_lshlrev_b32_e32 v5, 16, v5
	v_and_b32_e32 v12, 0xffff0000, v3
	v_lshlrev_b32_e32 v3, 16, v3
	s_wait_loadcnt 0x0
	v_and_b32_e32 v13, 0xffff0000, v8
	v_cndmask_b32_e64 v1, 0, 1, vcc_lo
	v_cmp_eq_f32_e32 vcc_lo, 0x7f800000, v4
	v_lshlrev_b32_e32 v8, 16, v8
	v_and_b32_e32 v14, 0xffff0000, v9
	v_lshlrev_b32_e32 v9, 16, v9
	v_and_b32_e32 v15, 0xffff0000, v6
	v_cndmask_b32_e64 v4, 0, 1, vcc_lo
	v_cmp_eq_f32_e32 vcc_lo, 0x7f800000, v10
	v_lshlrev_b32_e32 v6, 16, v6
	v_and_b32_e32 v16, 0xffff0000, v7
	v_lshlrev_b16 v1, 8, v1
	v_lshlrev_b32_e32 v7, 16, v7
	v_cndmask_b32_e64 v10, 0, 1, vcc_lo
	v_cmp_eq_f32_e32 vcc_lo, 0x7f800000, v5
	s_delay_alu instid0(VALU_DEP_4) | instskip(NEXT) | instid1(VALU_DEP_3)
	v_or_b32_e32 v1, v4, v1
	v_lshlrev_b16 v10, 8, v10
	v_cndmask_b32_e64 v5, 0, 1, vcc_lo
	v_cmp_eq_f32_e32 vcc_lo, 0x7f800000, v11
	s_delay_alu instid0(VALU_DEP_4) | instskip(SKIP_2) | instid1(VALU_DEP_2)
	v_and_b32_e32 v1, 0xffff, v1
	v_cndmask_b32_e64 v11, 0, 1, vcc_lo
	v_cmp_eq_f32_e32 vcc_lo, 0x7f800000, v2
	v_lshlrev_b16 v11, 8, v11
	v_cndmask_b32_e64 v2, 0, 1, vcc_lo
	v_cmp_eq_f32_e32 vcc_lo, 0x7f800000, v12
	v_cndmask_b32_e64 v12, 0, 1, vcc_lo
	v_cmp_eq_f32_e32 vcc_lo, 0x7f800000, v3
	s_delay_alu instid0(VALU_DEP_2) | instskip(SKIP_4) | instid1(VALU_DEP_2)
	v_lshlrev_b16 v12, 8, v12
	v_cndmask_b32_e64 v3, 0, 1, vcc_lo
	v_cmp_eq_f32_e32 vcc_lo, 0x7f800000, v13
	v_cndmask_b32_e64 v13, 0, 1, vcc_lo
	v_cmp_eq_f32_e32 vcc_lo, 0x7f800000, v8
	v_lshlrev_b16 v13, 8, v13
	v_cndmask_b32_e64 v8, 0, 1, vcc_lo
	v_cmp_eq_f32_e32 vcc_lo, 0x7f800000, v14
	v_cndmask_b32_e64 v14, 0, 1, vcc_lo
	v_cmp_eq_f32_e32 vcc_lo, 0x7f800000, v9
	s_delay_alu instid0(VALU_DEP_2) | instskip(SKIP_4) | instid1(VALU_DEP_2)
	v_lshlrev_b16 v14, 8, v14
	v_cndmask_b32_e64 v9, 0, 1, vcc_lo
	v_cmp_eq_f32_e32 vcc_lo, 0x7f800000, v15
	v_cndmask_b32_e64 v15, 0, 1, vcc_lo
	v_cmp_eq_f32_e32 vcc_lo, 0x7f800000, v6
	v_lshlrev_b16 v15, 8, v15
	v_cndmask_b32_e64 v6, 0, 1, vcc_lo
	v_cmp_eq_f32_e32 vcc_lo, 0x7f800000, v16
	s_delay_alu instid0(VALU_DEP_2) | instskip(SKIP_2) | instid1(VALU_DEP_3)
	v_or_b32_e32 v6, v6, v15
	v_cndmask_b32_e64 v16, 0, 1, vcc_lo
	v_cmp_eq_f32_e32 vcc_lo, 0x7f800000, v7
	v_and_b32_e32 v6, 0xffff, v6
	s_delay_alu instid0(VALU_DEP_3) | instskip(SKIP_1) | instid1(VALU_DEP_1)
	v_lshlrev_b16 v16, 8, v16
	v_cndmask_b32_e64 v7, 0, 1, vcc_lo
	v_or_b32_e32 v7, v7, v16
	s_delay_alu instid0(VALU_DEP_1) | instskip(SKIP_2) | instid1(VALU_DEP_3)
	v_dual_lshlrev_b32 v7, 16, v7 :: v_dual_bitop2_b32 v3, v3, v12 bitop3:0x54
	v_or_b32_e32 v4, v5, v10
	v_or_b32_e32 v5, v8, v13
	v_dual_lshlrev_b32 v9, 16, v3 :: v_dual_bitop2_b32 v8, v9, v14 bitop3:0x54
	s_delay_alu instid0(VALU_DEP_3) | instskip(NEXT) | instid1(VALU_DEP_2)
	v_dual_lshlrev_b32 v4, 16, v4 :: v_dual_bitop2_b32 v2, v2, v11 bitop3:0x54
	v_lshlrev_b32_e32 v8, 16, v8
	s_delay_alu instid0(VALU_DEP_4) | instskip(NEXT) | instid1(VALU_DEP_3)
	v_and_b32_e32 v5, 0xffff, v5
	v_and_b32_e32 v2, 0xffff, v2
	s_delay_alu instid0(VALU_DEP_4) | instskip(SKIP_1) | instid1(VALU_DEP_4)
	v_or_b32_e32 v3, v1, v4
	v_or_b32_e32 v4, v6, v7
	;; [unrolled: 1-line block ×3, first 2 shown]
	s_delay_alu instid0(VALU_DEP_4)
	v_or_b32_e32 v2, v2, v9
	global_store_b128 v0, v[2:5], s[8:9] scale_offset
.LBB56_2:
	s_and_not1_b32 vcc_lo, exec_lo, s0
	s_cbranch_vccnz .LBB56_52
; %bb.3:
	v_cmp_gt_i32_e32 vcc_lo, s1, v0
	s_wait_xcnt 0x0
	v_dual_mov_b32 v3, v0 :: v_dual_bitop2_b32 v1, s2, v0 bitop3:0x54
	v_or_b32_e32 v2, 0x100, v0
	s_mov_b32 s3, 0
	s_mov_b32 s9, 0
	s_and_saveexec_b32 s8, vcc_lo
	s_cbranch_execz .LBB56_5
; %bb.4:
	global_load_u16 v3, v1, s[6:7] scale_offset
	s_wait_loadcnt 0x0
	v_lshlrev_b32_e32 v3, 16, v3
	s_delay_alu instid0(VALU_DEP_1)
	v_cmp_eq_f32_e64 s0, 0x7f800000, v3
	v_or_b32_e32 v3, 0x100, v0
	s_and_b32 s9, s0, exec_lo
.LBB56_5:
	s_wait_xcnt 0x0
	s_or_b32 exec_lo, exec_lo, s8
	s_delay_alu instid0(SALU_CYCLE_1)
	s_mov_b32 s8, exec_lo
	v_cmpx_gt_i32_e64 s1, v3
	s_cbranch_execz .LBB56_7
; %bb.6:
	v_add_nc_u32_e32 v4, s2, v3
	v_add_nc_u32_e32 v3, 0x100, v3
	global_load_u16 v4, v4, s[6:7] scale_offset
	s_wait_loadcnt 0x0
	v_lshlrev_b32_e32 v4, 16, v4
	s_delay_alu instid0(VALU_DEP_1)
	v_cmp_eq_f32_e64 s0, 0x7f800000, v4
	s_and_b32 s3, s0, exec_lo
.LBB56_7:
	s_or_b32 exec_lo, exec_lo, s8
	s_mov_b32 s10, 0
	s_mov_b32 s11, 0
	s_mov_b32 s8, exec_lo
	v_cmpx_gt_i32_e64 s1, v3
	s_cbranch_execz .LBB56_9
; %bb.8:
	v_add_nc_u32_e32 v4, s2, v3
	v_add_nc_u32_e32 v3, 0x100, v3
	global_load_u16 v4, v4, s[6:7] scale_offset
	s_wait_loadcnt 0x0
	v_lshlrev_b32_e32 v4, 16, v4
	s_delay_alu instid0(VALU_DEP_1)
	v_cmp_eq_f32_e64 s0, 0x7f800000, v4
	s_and_b32 s11, s0, exec_lo
.LBB56_9:
	s_or_b32 exec_lo, exec_lo, s8
	s_delay_alu instid0(SALU_CYCLE_1)
	s_mov_b32 s8, exec_lo
	v_cmpx_gt_i32_e64 s1, v3
	s_cbranch_execz .LBB56_11
; %bb.10:
	v_add_nc_u32_e32 v4, s2, v3
	v_add_nc_u32_e32 v3, 0x100, v3
	global_load_u16 v4, v4, s[6:7] scale_offset
	s_wait_loadcnt 0x0
	v_lshlrev_b32_e32 v4, 16, v4
	s_delay_alu instid0(VALU_DEP_1)
	v_cmp_eq_f32_e64 s0, 0x7f800000, v4
	s_and_b32 s10, s0, exec_lo
.LBB56_11:
	s_or_b32 exec_lo, exec_lo, s8
	s_mov_b32 s12, 0
	s_mov_b32 s14, 0
	s_mov_b32 s8, exec_lo
	v_cmpx_gt_i32_e64 s1, v3
	s_cbranch_execz .LBB56_13
; %bb.12:
	v_add_nc_u32_e32 v4, s2, v3
	v_add_nc_u32_e32 v3, 0x100, v3
	global_load_u16 v4, v4, s[6:7] scale_offset
	s_wait_loadcnt 0x0
	v_lshlrev_b32_e32 v4, 16, v4
	s_delay_alu instid0(VALU_DEP_1)
	v_cmp_eq_f32_e64 s0, 0x7f800000, v4
	s_and_b32 s14, s0, exec_lo
.LBB56_13:
	;; [unrolled: 31-line block ×7, first 2 shown]
	s_or_b32 exec_lo, exec_lo, s23
	s_delay_alu instid0(SALU_CYCLE_1)
	s_mov_b32 s23, exec_lo
	v_cmpx_gt_i32_e64 s1, v3
	s_cbranch_execz .LBB56_35
; %bb.34:
	v_add_nc_u32_e32 v3, s2, v3
	global_load_u16 v3, v3, s[6:7] scale_offset
	s_wait_loadcnt 0x0
	v_lshlrev_b32_e32 v3, 16, v3
	s_delay_alu instid0(VALU_DEP_1)
	v_cmp_eq_f32_e64 s0, 0x7f800000, v3
	s_and_b32 s19, s0, exec_lo
.LBB56_35:
	s_or_b32 exec_lo, exec_lo, s23
	v_cndmask_b32_e64 v5, 0, 1, s14
	v_cndmask_b32_e64 v3, 0, 1, s9
	;; [unrolled: 1-line block ×3, first 2 shown]
	v_or_b32_e32 v10, 0x400, v0
	v_cndmask_b32_e64 v9, 0, 1, s12
	v_bitop3_b16 v5, v5, 0, 0xff00 bitop3:0xf8
	v_or_b32_e32 v6, 0x200, v0
	v_lshlrev_b16 v4, 8, v4
	v_cmp_gt_i32_e64 s0, s1, v10
	v_lshlrev_b16 v9, 8, v9
	v_and_b32_e32 v5, 0xffff, v5
	v_cndmask_b32_e32 v3, 0, v3, vcc_lo
	v_cndmask_b32_e64 v7, 0, 1, s11
	v_or_b32_e32 v10, 0xc00, v0
	v_or_b32_e32 v11, 0x500, v0
	s_delay_alu instid0(VALU_DEP_4) | instskip(SKIP_3) | instid1(VALU_DEP_4)
	v_dual_cndmask_b32 v5, 0, v5, s0 :: v_dual_bitop2_b32 v4, v3, v4 bitop3:0x54
	v_cmp_gt_i32_e64 s0, s1, v2
	v_cndmask_b32_e64 v12, 0, 1, s21
	v_cndmask_b32_e64 v8, 0, 1, s10
	v_bitop3_b16 v9, v5, v9, 0xff bitop3:0xec
	v_and_b32_e32 v4, 0xffff, v4
	v_cndmask_b32_e64 v13, 0, 1, s20
	v_cndmask_b32_e64 v14, 0, 1, s18
	v_lshlrev_b16 v8, 8, v8
	v_and_b32_e32 v9, 0xffff, v9
	v_cndmask_b32_e64 v3, v3, v4, s0
	v_cmp_gt_i32_e64 s0, s1, v6
	v_cndmask_b32_e64 v4, 0, 1, s17
	s_delay_alu instid0(VALU_DEP_3) | instskip(NEXT) | instid1(VALU_DEP_1)
	v_lshl_or_b32 v7, v7, 16, v3
	v_cndmask_b32_e64 v3, v3, v7, s0
	v_cmp_gt_i32_e64 s0, s1, v10
	v_lshlrev_b16 v7, 8, v13
	v_or_b32_e32 v10, 0x800, v0
	v_or_b32_e32 v13, 0xd00, v0
	s_delay_alu instid0(VALU_DEP_4) | instskip(SKIP_2) | instid1(VALU_DEP_2)
	v_cndmask_b32_e64 v6, 0, v12, s0
	v_cmp_gt_i32_e64 s0, s1, v11
	v_cndmask_b32_e64 v11, 0, 1, s15
	v_dual_cndmask_b32 v5, v5, v9, s0 :: v_dual_lshrrev_b32 v9, 16, v3
	s_delay_alu instid0(VALU_DEP_4) | instskip(SKIP_1) | instid1(VALU_DEP_3)
	v_bitop3_b16 v7, v6, v7, 0xff bitop3:0xec
	v_cmp_gt_i32_e64 s0, s1, v10
	v_bitop3_b16 v8, v9, v8, 0xff bitop3:0xec
	s_delay_alu instid0(VALU_DEP_4) | instskip(NEXT) | instid1(VALU_DEP_4)
	v_lshrrev_b32_e32 v12, 16, v5
	v_and_b32_e32 v7, 0xffff, v7
	v_cndmask_b32_e64 v9, 0, 1, s13
	s_delay_alu instid0(VALU_DEP_4) | instskip(NEXT) | instid1(VALU_DEP_4)
	v_lshlrev_b32_e32 v8, 16, v8
	v_bitop3_b16 v4, v4, v12, 0xff00 bitop3:0xf8
	v_cndmask_b32_e64 v10, 0, v11, s0
	v_cmp_gt_i32_e64 s0, s1, v13
	v_lshlrev_b16 v9, 8, v9
	v_or_b32_e32 v11, 0x900, v0
	v_lshlrev_b32_e32 v4, 16, v4
	v_cndmask_b32_e64 v13, 0, 1, s22
	v_and_or_b32 v8, 0xffff, v3, v8
	s_delay_alu instid0(VALU_DEP_3) | instskip(SKIP_2) | instid1(VALU_DEP_1)
	v_and_or_b32 v4, 0xffff, v5, v4
	v_cndmask_b32_e64 v6, v6, v7, s0
	v_or_b32_e32 v7, 0x600, v0
	v_cmp_gt_i32_e64 s0, s1, v7
	s_delay_alu instid0(VALU_DEP_1) | instskip(NEXT) | instid1(VALU_DEP_4)
	v_dual_cndmask_b32 v4, v5, v4, s0 :: v_dual_bitop2_b32 v9, v10, v9 bitop3:0x54
	v_lshrrev_b32_e32 v12, 16, v6
	v_cmp_gt_i32_e64 s0, s1, v11
	s_delay_alu instid0(VALU_DEP_3) | instskip(NEXT) | instid1(VALU_DEP_3)
	v_and_b32_e32 v9, 0xffff, v9
	v_bitop3_b16 v5, v13, v12, 0xff00 bitop3:0xf8
	v_or_b32_e32 v12, 0xa00, v0
	v_lshrrev_b32_e32 v11, 16, v4
	v_or_b32_e32 v13, 0xe00, v0
	v_dual_cndmask_b32 v7, v10, v9, s0 :: v_dual_lshlrev_b32 v9, 16, v14
	v_lshlrev_b32_e32 v5, 16, v5
	v_cmp_gt_i32_e64 s0, s1, v12
	v_cndmask_b32_e64 v10, 0, 1, s8
	s_delay_alu instid0(VALU_DEP_4) | instskip(NEXT) | instid1(VALU_DEP_4)
	v_and_or_b32 v9, 0x1ff, v7, v9
	v_and_or_b32 v5, 0xffff, v6, v5
	s_delay_alu instid0(VALU_DEP_3) | instskip(NEXT) | instid1(VALU_DEP_3)
	v_lshlrev_b16 v10, 8, v10
	v_cndmask_b32_e64 v7, v7, v9, s0
	v_cmp_gt_i32_e64 s0, s1, v13
	v_cndmask_b32_e64 v9, 0, 1, s16
	v_or_b32_e32 v13, 0x300, v0
	s_delay_alu instid0(VALU_DEP_3)
	v_cndmask_b32_e64 v12, v6, v5, s0
	v_cndmask_b32_e64 v5, 0, 1, s19
	v_bitop3_b16 v6, v11, v10, 0xff bitop3:0xec
	v_lshlrev_b16 v9, 8, v9
	v_cmp_gt_i32_e64 s0, s1, v13
	v_dual_lshrrev_b32 v11, 16, v12 :: v_dual_lshrrev_b32 v10, 16, v7
	v_lshlrev_b16 v5, 8, v5
	s_delay_alu instid0(VALU_DEP_2) | instskip(NEXT) | instid1(VALU_DEP_4)
	v_bitop3_b16 v9, v10, v9, 0xff bitop3:0xec
	v_dual_lshlrev_b32 v10, 16, v6 :: v_dual_cndmask_b32 v6, v3, v8, s0
	s_delay_alu instid0(VALU_DEP_3) | instskip(SKIP_2) | instid1(VALU_DEP_3)
	v_bitop3_b16 v5, v11, v5, 0xff bitop3:0xec
	v_or_b32_e32 v8, 0x700, v0
	v_or_b32_e32 v11, 0xf00, v0
	v_lshlrev_b32_e32 v5, 16, v5
	s_delay_alu instid0(VALU_DEP_3) | instskip(SKIP_4) | instid1(VALU_DEP_3)
	v_cmp_gt_i32_e64 s0, s1, v8
	v_lshlrev_b32_e32 v3, 16, v9
	v_and_or_b32 v9, 0xffff, v4, v10
	v_or_b32_e32 v10, 0xb00, v0
	v_and_or_b32 v13, 0xffff, v12, v5
	v_cndmask_b32_e64 v5, v4, v9, s0
	v_and_or_b32 v3, 0xffff, v7, v3
	s_delay_alu instid0(VALU_DEP_4) | instskip(NEXT) | instid1(VALU_DEP_1)
	v_cmp_gt_i32_e64 s0, s1, v10
	v_cndmask_b32_e64 v4, v7, v3, s0
	v_cmp_gt_i32_e64 s0, s1, v11
	s_delay_alu instid0(VALU_DEP_1)
	v_cndmask_b32_e64 v3, v12, v13, s0
	s_and_saveexec_b32 s0, vcc_lo
	s_cbranch_execnz .LBB56_53
; %bb.36:
	s_or_b32 exec_lo, exec_lo, s0
	s_delay_alu instid0(SALU_CYCLE_1)
	s_mov_b32 s0, exec_lo
	v_cmpx_gt_i32_e64 s1, v0
	s_cbranch_execnz .LBB56_54
.LBB56_37:
	s_or_b32 exec_lo, exec_lo, s0
	s_delay_alu instid0(SALU_CYCLE_1)
	s_mov_b32 s0, exec_lo
	v_cmpx_gt_i32_e64 s1, v0
	s_cbranch_execnz .LBB56_55
.LBB56_38:
	s_or_b32 exec_lo, exec_lo, s0
	s_delay_alu instid0(SALU_CYCLE_1)
	s_mov_b32 s0, exec_lo
	v_cmpx_gt_i32_e64 s1, v0
	s_cbranch_execnz .LBB56_56
.LBB56_39:
	s_or_b32 exec_lo, exec_lo, s0
	s_delay_alu instid0(SALU_CYCLE_1)
	s_mov_b32 s0, exec_lo
	v_cmpx_gt_i32_e64 s1, v0
	s_cbranch_execnz .LBB56_57
.LBB56_40:
	s_or_b32 exec_lo, exec_lo, s0
	s_delay_alu instid0(SALU_CYCLE_1)
	s_mov_b32 s0, exec_lo
	v_cmpx_gt_i32_e64 s1, v0
	s_cbranch_execnz .LBB56_58
.LBB56_41:
	s_or_b32 exec_lo, exec_lo, s0
	s_delay_alu instid0(SALU_CYCLE_1)
	s_mov_b32 s0, exec_lo
	v_cmpx_gt_i32_e64 s1, v0
	s_cbranch_execnz .LBB56_59
.LBB56_42:
	s_or_b32 exec_lo, exec_lo, s0
	s_delay_alu instid0(SALU_CYCLE_1)
	s_mov_b32 s0, exec_lo
	v_cmpx_gt_i32_e64 s1, v0
	s_cbranch_execnz .LBB56_60
.LBB56_43:
	s_or_b32 exec_lo, exec_lo, s0
	s_delay_alu instid0(SALU_CYCLE_1)
	s_mov_b32 s0, exec_lo
	v_cmpx_gt_i32_e64 s1, v0
	s_cbranch_execnz .LBB56_61
.LBB56_44:
	s_or_b32 exec_lo, exec_lo, s0
	s_delay_alu instid0(SALU_CYCLE_1)
	s_mov_b32 s0, exec_lo
	v_cmpx_gt_i32_e64 s1, v0
	s_cbranch_execnz .LBB56_62
.LBB56_45:
	s_or_b32 exec_lo, exec_lo, s0
	s_delay_alu instid0(SALU_CYCLE_1)
	s_mov_b32 s0, exec_lo
	v_cmpx_gt_i32_e64 s1, v0
	s_cbranch_execnz .LBB56_63
.LBB56_46:
	s_or_b32 exec_lo, exec_lo, s0
	s_delay_alu instid0(SALU_CYCLE_1)
	s_mov_b32 s0, exec_lo
	v_cmpx_gt_i32_e64 s1, v0
	s_cbranch_execnz .LBB56_64
.LBB56_47:
	s_or_b32 exec_lo, exec_lo, s0
	s_delay_alu instid0(SALU_CYCLE_1)
	s_mov_b32 s0, exec_lo
	v_cmpx_gt_i32_e64 s1, v0
	s_cbranch_execnz .LBB56_65
.LBB56_48:
	s_or_b32 exec_lo, exec_lo, s0
	s_delay_alu instid0(SALU_CYCLE_1)
	s_mov_b32 s0, exec_lo
	v_cmpx_gt_i32_e64 s1, v0
	s_cbranch_execnz .LBB56_66
.LBB56_49:
	s_or_b32 exec_lo, exec_lo, s0
	s_delay_alu instid0(SALU_CYCLE_1)
	s_mov_b32 s0, exec_lo
	v_cmpx_gt_i32_e64 s1, v0
	s_cbranch_execnz .LBB56_67
.LBB56_50:
	s_or_b32 exec_lo, exec_lo, s0
	s_delay_alu instid0(SALU_CYCLE_1)
	s_mov_b32 s0, exec_lo
	v_cmpx_gt_i32_e64 s1, v0
	s_cbranch_execz .LBB56_52
.LBB56_51:
	v_dual_lshrrev_b32 v1, 24, v3 :: v_dual_add_nc_u32 v0, s2, v0
	global_store_b8 v0, v1, s[4:5]
.LBB56_52:
	s_endpgm
.LBB56_53:
	v_mov_b32_e32 v0, v2
	global_store_b8 v1, v6, s[4:5]
	s_wait_xcnt 0x0
	s_or_b32 exec_lo, exec_lo, s0
	s_delay_alu instid0(SALU_CYCLE_1)
	s_mov_b32 s0, exec_lo
	v_cmpx_gt_i32_e64 s1, v0
	s_cbranch_execz .LBB56_37
.LBB56_54:
	v_dual_lshrrev_b32 v1, 8, v6 :: v_dual_add_nc_u32 v2, s2, v0
	v_add_nc_u32_e32 v0, 0x100, v0
	global_store_b8 v2, v1, s[4:5]
	s_wait_xcnt 0x0
	s_or_b32 exec_lo, exec_lo, s0
	s_delay_alu instid0(SALU_CYCLE_1)
	s_mov_b32 s0, exec_lo
	v_cmpx_gt_i32_e64 s1, v0
	s_cbranch_execz .LBB56_38
.LBB56_55:
	v_add_nc_u32_e32 v1, s2, v0
	v_add_nc_u32_e32 v0, 0x100, v0
	global_store_d16_hi_b8 v1, v6, s[4:5]
	s_wait_xcnt 0x0
	s_or_b32 exec_lo, exec_lo, s0
	s_delay_alu instid0(SALU_CYCLE_1)
	s_mov_b32 s0, exec_lo
	v_cmpx_gt_i32_e64 s1, v0
	s_cbranch_execz .LBB56_39
.LBB56_56:
	v_dual_lshrrev_b32 v1, 24, v6 :: v_dual_add_nc_u32 v2, s2, v0
	v_add_nc_u32_e32 v0, 0x100, v0
	global_store_b8 v2, v1, s[4:5]
	s_wait_xcnt 0x0
	s_or_b32 exec_lo, exec_lo, s0
	s_delay_alu instid0(SALU_CYCLE_1)
	s_mov_b32 s0, exec_lo
	v_cmpx_gt_i32_e64 s1, v0
	s_cbranch_execz .LBB56_40
.LBB56_57:
	v_add_nc_u32_e32 v1, s2, v0
	v_add_nc_u32_e32 v0, 0x100, v0
	global_store_b8 v1, v5, s[4:5]
	s_wait_xcnt 0x0
	s_or_b32 exec_lo, exec_lo, s0
	s_delay_alu instid0(SALU_CYCLE_1)
	s_mov_b32 s0, exec_lo
	v_cmpx_gt_i32_e64 s1, v0
	s_cbranch_execz .LBB56_41
.LBB56_58:
	v_dual_lshrrev_b32 v1, 8, v5 :: v_dual_add_nc_u32 v2, s2, v0
	v_add_nc_u32_e32 v0, 0x100, v0
	global_store_b8 v2, v1, s[4:5]
	s_wait_xcnt 0x0
	s_or_b32 exec_lo, exec_lo, s0
	s_delay_alu instid0(SALU_CYCLE_1)
	s_mov_b32 s0, exec_lo
	v_cmpx_gt_i32_e64 s1, v0
	s_cbranch_execz .LBB56_42
.LBB56_59:
	v_add_nc_u32_e32 v1, s2, v0
	v_add_nc_u32_e32 v0, 0x100, v0
	global_store_d16_hi_b8 v1, v5, s[4:5]
	s_wait_xcnt 0x0
	s_or_b32 exec_lo, exec_lo, s0
	s_delay_alu instid0(SALU_CYCLE_1)
	s_mov_b32 s0, exec_lo
	v_cmpx_gt_i32_e64 s1, v0
	s_cbranch_execz .LBB56_43
.LBB56_60:
	v_dual_lshrrev_b32 v1, 24, v5 :: v_dual_add_nc_u32 v2, s2, v0
	v_add_nc_u32_e32 v0, 0x100, v0
	global_store_b8 v2, v1, s[4:5]
	s_wait_xcnt 0x0
	s_or_b32 exec_lo, exec_lo, s0
	s_delay_alu instid0(SALU_CYCLE_1)
	s_mov_b32 s0, exec_lo
	v_cmpx_gt_i32_e64 s1, v0
	s_cbranch_execz .LBB56_44
.LBB56_61:
	v_add_nc_u32_e32 v1, s2, v0
	v_add_nc_u32_e32 v0, 0x100, v0
	global_store_b8 v1, v4, s[4:5]
	s_wait_xcnt 0x0
	s_or_b32 exec_lo, exec_lo, s0
	s_delay_alu instid0(SALU_CYCLE_1)
	s_mov_b32 s0, exec_lo
	v_cmpx_gt_i32_e64 s1, v0
	s_cbranch_execz .LBB56_45
.LBB56_62:
	v_lshrrev_b32_e32 v1, 8, v4
	v_add_nc_u32_e32 v2, s2, v0
	v_add_nc_u32_e32 v0, 0x100, v0
	global_store_b8 v2, v1, s[4:5]
	s_wait_xcnt 0x0
	s_or_b32 exec_lo, exec_lo, s0
	s_delay_alu instid0(SALU_CYCLE_1)
	s_mov_b32 s0, exec_lo
	v_cmpx_gt_i32_e64 s1, v0
	s_cbranch_execz .LBB56_46
.LBB56_63:
	v_add_nc_u32_e32 v1, s2, v0
	v_add_nc_u32_e32 v0, 0x100, v0
	global_store_d16_hi_b8 v1, v4, s[4:5]
	s_wait_xcnt 0x0
	s_or_b32 exec_lo, exec_lo, s0
	s_delay_alu instid0(SALU_CYCLE_1)
	s_mov_b32 s0, exec_lo
	v_cmpx_gt_i32_e64 s1, v0
	s_cbranch_execz .LBB56_47
.LBB56_64:
	v_lshrrev_b32_e32 v1, 24, v4
	v_add_nc_u32_e32 v2, s2, v0
	v_add_nc_u32_e32 v0, 0x100, v0
	global_store_b8 v2, v1, s[4:5]
	s_wait_xcnt 0x0
	s_or_b32 exec_lo, exec_lo, s0
	s_delay_alu instid0(SALU_CYCLE_1)
	s_mov_b32 s0, exec_lo
	v_cmpx_gt_i32_e64 s1, v0
	s_cbranch_execz .LBB56_48
.LBB56_65:
	v_add_nc_u32_e32 v1, s2, v0
	v_add_nc_u32_e32 v0, 0x100, v0
	global_store_b8 v1, v3, s[4:5]
	s_wait_xcnt 0x0
	s_or_b32 exec_lo, exec_lo, s0
	s_delay_alu instid0(SALU_CYCLE_1)
	s_mov_b32 s0, exec_lo
	v_cmpx_gt_i32_e64 s1, v0
	s_cbranch_execz .LBB56_49
.LBB56_66:
	v_dual_lshrrev_b32 v1, 8, v3 :: v_dual_add_nc_u32 v2, s2, v0
	v_add_nc_u32_e32 v0, 0x100, v0
	global_store_b8 v2, v1, s[4:5]
	s_wait_xcnt 0x0
	s_or_b32 exec_lo, exec_lo, s0
	s_delay_alu instid0(SALU_CYCLE_1)
	s_mov_b32 s0, exec_lo
	v_cmpx_gt_i32_e64 s1, v0
	s_cbranch_execz .LBB56_50
.LBB56_67:
	v_add_nc_u32_e32 v1, s2, v0
	v_add_nc_u32_e32 v0, 0x100, v0
	global_store_d16_hi_b8 v1, v3, s[4:5]
	s_wait_xcnt 0x0
	s_or_b32 exec_lo, exec_lo, s0
	s_delay_alu instid0(SALU_CYCLE_1)
	s_mov_b32 s0, exec_lo
	v_cmpx_gt_i32_e64 s1, v0
	s_cbranch_execnz .LBB56_51
	s_branch .LBB56_52
	.section	.rodata,"a",@progbits
	.p2align	6, 0x0
	.amdhsa_kernel _ZN2at6native29vectorized_elementwise_kernelILi16EZZZNS0_12_GLOBAL__N_120isposinf_kernel_implERNS_18TensorIteratorBaseEENKUlvE_clEvENKUlvE2_clEvEUlN3c108BFloat16EE_St5arrayIPcLm2EEEEviT0_T1_
		.amdhsa_group_segment_fixed_size 0
		.amdhsa_private_segment_fixed_size 0
		.amdhsa_kernarg_size 24
		.amdhsa_user_sgpr_count 2
		.amdhsa_user_sgpr_dispatch_ptr 0
		.amdhsa_user_sgpr_queue_ptr 0
		.amdhsa_user_sgpr_kernarg_segment_ptr 1
		.amdhsa_user_sgpr_dispatch_id 0
		.amdhsa_user_sgpr_kernarg_preload_length 0
		.amdhsa_user_sgpr_kernarg_preload_offset 0
		.amdhsa_user_sgpr_private_segment_size 0
		.amdhsa_wavefront_size32 1
		.amdhsa_uses_dynamic_stack 0
		.amdhsa_enable_private_segment 0
		.amdhsa_system_sgpr_workgroup_id_x 1
		.amdhsa_system_sgpr_workgroup_id_y 0
		.amdhsa_system_sgpr_workgroup_id_z 0
		.amdhsa_system_sgpr_workgroup_info 0
		.amdhsa_system_vgpr_workitem_id 0
		.amdhsa_next_free_vgpr 17
		.amdhsa_next_free_sgpr 24
		.amdhsa_named_barrier_count 0
		.amdhsa_reserve_vcc 1
		.amdhsa_float_round_mode_32 0
		.amdhsa_float_round_mode_16_64 0
		.amdhsa_float_denorm_mode_32 3
		.amdhsa_float_denorm_mode_16_64 3
		.amdhsa_fp16_overflow 0
		.amdhsa_memory_ordered 1
		.amdhsa_forward_progress 1
		.amdhsa_inst_pref_size 33
		.amdhsa_round_robin_scheduling 0
		.amdhsa_exception_fp_ieee_invalid_op 0
		.amdhsa_exception_fp_denorm_src 0
		.amdhsa_exception_fp_ieee_div_zero 0
		.amdhsa_exception_fp_ieee_overflow 0
		.amdhsa_exception_fp_ieee_underflow 0
		.amdhsa_exception_fp_ieee_inexact 0
		.amdhsa_exception_int_div_zero 0
	.end_amdhsa_kernel
	.section	.text._ZN2at6native29vectorized_elementwise_kernelILi16EZZZNS0_12_GLOBAL__N_120isposinf_kernel_implERNS_18TensorIteratorBaseEENKUlvE_clEvENKUlvE2_clEvEUlN3c108BFloat16EE_St5arrayIPcLm2EEEEviT0_T1_,"axG",@progbits,_ZN2at6native29vectorized_elementwise_kernelILi16EZZZNS0_12_GLOBAL__N_120isposinf_kernel_implERNS_18TensorIteratorBaseEENKUlvE_clEvENKUlvE2_clEvEUlN3c108BFloat16EE_St5arrayIPcLm2EEEEviT0_T1_,comdat
.Lfunc_end56:
	.size	_ZN2at6native29vectorized_elementwise_kernelILi16EZZZNS0_12_GLOBAL__N_120isposinf_kernel_implERNS_18TensorIteratorBaseEENKUlvE_clEvENKUlvE2_clEvEUlN3c108BFloat16EE_St5arrayIPcLm2EEEEviT0_T1_, .Lfunc_end56-_ZN2at6native29vectorized_elementwise_kernelILi16EZZZNS0_12_GLOBAL__N_120isposinf_kernel_implERNS_18TensorIteratorBaseEENKUlvE_clEvENKUlvE2_clEvEUlN3c108BFloat16EE_St5arrayIPcLm2EEEEviT0_T1_
                                        ; -- End function
	.set _ZN2at6native29vectorized_elementwise_kernelILi16EZZZNS0_12_GLOBAL__N_120isposinf_kernel_implERNS_18TensorIteratorBaseEENKUlvE_clEvENKUlvE2_clEvEUlN3c108BFloat16EE_St5arrayIPcLm2EEEEviT0_T1_.num_vgpr, 17
	.set _ZN2at6native29vectorized_elementwise_kernelILi16EZZZNS0_12_GLOBAL__N_120isposinf_kernel_implERNS_18TensorIteratorBaseEENKUlvE_clEvENKUlvE2_clEvEUlN3c108BFloat16EE_St5arrayIPcLm2EEEEviT0_T1_.num_agpr, 0
	.set _ZN2at6native29vectorized_elementwise_kernelILi16EZZZNS0_12_GLOBAL__N_120isposinf_kernel_implERNS_18TensorIteratorBaseEENKUlvE_clEvENKUlvE2_clEvEUlN3c108BFloat16EE_St5arrayIPcLm2EEEEviT0_T1_.numbered_sgpr, 24
	.set _ZN2at6native29vectorized_elementwise_kernelILi16EZZZNS0_12_GLOBAL__N_120isposinf_kernel_implERNS_18TensorIteratorBaseEENKUlvE_clEvENKUlvE2_clEvEUlN3c108BFloat16EE_St5arrayIPcLm2EEEEviT0_T1_.num_named_barrier, 0
	.set _ZN2at6native29vectorized_elementwise_kernelILi16EZZZNS0_12_GLOBAL__N_120isposinf_kernel_implERNS_18TensorIteratorBaseEENKUlvE_clEvENKUlvE2_clEvEUlN3c108BFloat16EE_St5arrayIPcLm2EEEEviT0_T1_.private_seg_size, 0
	.set _ZN2at6native29vectorized_elementwise_kernelILi16EZZZNS0_12_GLOBAL__N_120isposinf_kernel_implERNS_18TensorIteratorBaseEENKUlvE_clEvENKUlvE2_clEvEUlN3c108BFloat16EE_St5arrayIPcLm2EEEEviT0_T1_.uses_vcc, 1
	.set _ZN2at6native29vectorized_elementwise_kernelILi16EZZZNS0_12_GLOBAL__N_120isposinf_kernel_implERNS_18TensorIteratorBaseEENKUlvE_clEvENKUlvE2_clEvEUlN3c108BFloat16EE_St5arrayIPcLm2EEEEviT0_T1_.uses_flat_scratch, 0
	.set _ZN2at6native29vectorized_elementwise_kernelILi16EZZZNS0_12_GLOBAL__N_120isposinf_kernel_implERNS_18TensorIteratorBaseEENKUlvE_clEvENKUlvE2_clEvEUlN3c108BFloat16EE_St5arrayIPcLm2EEEEviT0_T1_.has_dyn_sized_stack, 0
	.set _ZN2at6native29vectorized_elementwise_kernelILi16EZZZNS0_12_GLOBAL__N_120isposinf_kernel_implERNS_18TensorIteratorBaseEENKUlvE_clEvENKUlvE2_clEvEUlN3c108BFloat16EE_St5arrayIPcLm2EEEEviT0_T1_.has_recursion, 0
	.set _ZN2at6native29vectorized_elementwise_kernelILi16EZZZNS0_12_GLOBAL__N_120isposinf_kernel_implERNS_18TensorIteratorBaseEENKUlvE_clEvENKUlvE2_clEvEUlN3c108BFloat16EE_St5arrayIPcLm2EEEEviT0_T1_.has_indirect_call, 0
	.section	.AMDGPU.csdata,"",@progbits
; Kernel info:
; codeLenInByte = 4148
; TotalNumSgprs: 26
; NumVgprs: 17
; ScratchSize: 0
; MemoryBound: 0
; FloatMode: 240
; IeeeMode: 1
; LDSByteSize: 0 bytes/workgroup (compile time only)
; SGPRBlocks: 0
; VGPRBlocks: 1
; NumSGPRsForWavesPerEU: 26
; NumVGPRsForWavesPerEU: 17
; NamedBarCnt: 0
; Occupancy: 16
; WaveLimiterHint : 0
; COMPUTE_PGM_RSRC2:SCRATCH_EN: 0
; COMPUTE_PGM_RSRC2:USER_SGPR: 2
; COMPUTE_PGM_RSRC2:TRAP_HANDLER: 0
; COMPUTE_PGM_RSRC2:TGID_X_EN: 1
; COMPUTE_PGM_RSRC2:TGID_Y_EN: 0
; COMPUTE_PGM_RSRC2:TGID_Z_EN: 0
; COMPUTE_PGM_RSRC2:TIDIG_COMP_CNT: 0
	.section	.text._ZN2at6native29vectorized_elementwise_kernelILi8EZZZNS0_12_GLOBAL__N_120isposinf_kernel_implERNS_18TensorIteratorBaseEENKUlvE_clEvENKUlvE2_clEvEUlN3c108BFloat16EE_St5arrayIPcLm2EEEEviT0_T1_,"axG",@progbits,_ZN2at6native29vectorized_elementwise_kernelILi8EZZZNS0_12_GLOBAL__N_120isposinf_kernel_implERNS_18TensorIteratorBaseEENKUlvE_clEvENKUlvE2_clEvEUlN3c108BFloat16EE_St5arrayIPcLm2EEEEviT0_T1_,comdat
	.globl	_ZN2at6native29vectorized_elementwise_kernelILi8EZZZNS0_12_GLOBAL__N_120isposinf_kernel_implERNS_18TensorIteratorBaseEENKUlvE_clEvENKUlvE2_clEvEUlN3c108BFloat16EE_St5arrayIPcLm2EEEEviT0_T1_ ; -- Begin function _ZN2at6native29vectorized_elementwise_kernelILi8EZZZNS0_12_GLOBAL__N_120isposinf_kernel_implERNS_18TensorIteratorBaseEENKUlvE_clEvENKUlvE2_clEvEUlN3c108BFloat16EE_St5arrayIPcLm2EEEEviT0_T1_
	.p2align	8
	.type	_ZN2at6native29vectorized_elementwise_kernelILi8EZZZNS0_12_GLOBAL__N_120isposinf_kernel_implERNS_18TensorIteratorBaseEENKUlvE_clEvENKUlvE2_clEvEUlN3c108BFloat16EE_St5arrayIPcLm2EEEEviT0_T1_,@function
_ZN2at6native29vectorized_elementwise_kernelILi8EZZZNS0_12_GLOBAL__N_120isposinf_kernel_implERNS_18TensorIteratorBaseEENKUlvE_clEvENKUlvE2_clEvEUlN3c108BFloat16EE_St5arrayIPcLm2EEEEviT0_T1_: ; @_ZN2at6native29vectorized_elementwise_kernelILi8EZZZNS0_12_GLOBAL__N_120isposinf_kernel_implERNS_18TensorIteratorBaseEENKUlvE_clEvENKUlvE2_clEvEUlN3c108BFloat16EE_St5arrayIPcLm2EEEEviT0_T1_
; %bb.0:
	s_clause 0x1
	s_load_b32 s3, s[0:1], 0x0
	s_load_b128 s[4:7], s[0:1], 0x8
	s_wait_xcnt 0x0
	s_bfe_u32 s0, ttmp6, 0x4000c
	s_and_b32 s1, ttmp6, 15
	s_add_co_i32 s0, s0, 1
	s_getreg_b32 s2, hwreg(HW_REG_IB_STS2, 6, 4)
	s_mul_i32 s0, ttmp9, s0
	s_delay_alu instid0(SALU_CYCLE_1) | instskip(SKIP_2) | instid1(SALU_CYCLE_1)
	s_add_co_i32 s1, s1, s0
	s_cmp_eq_u32 s2, 0
	s_cselect_b32 s0, ttmp9, s1
	s_lshl_b32 s2, s0, 12
	s_mov_b32 s0, -1
	s_wait_kmcnt 0x0
	s_sub_co_i32 s1, s3, s2
	s_delay_alu instid0(SALU_CYCLE_1)
	s_cmp_gt_i32 s1, 0xfff
	s_cbranch_scc0 .LBB57_2
; %bb.1:
	s_ashr_i32 s3, s2, 31
	s_mov_b32 s0, 0
	s_lshl_b64 s[8:9], s[2:3], 1
	s_delay_alu instid0(SALU_CYCLE_1)
	s_add_nc_u64 s[8:9], s[6:7], s[8:9]
	s_clause 0x1
	global_load_b128 v[2:5], v0, s[8:9] scale_offset
	global_load_b128 v[6:9], v0, s[8:9] offset:4096 scale_offset
	s_wait_xcnt 0x0
	s_add_nc_u64 s[8:9], s[4:5], s[2:3]
	s_wait_loadcnt 0x1
	v_and_b32_e32 v1, 0xffff0000, v2
	v_lshlrev_b32_e32 v2, 16, v2
	v_and_b32_e32 v10, 0xffff0000, v3
	v_lshlrev_b32_e32 v3, 16, v3
	v_and_b32_e32 v11, 0xffff0000, v4
	v_cmp_eq_f32_e32 vcc_lo, 0x7f800000, v1
	v_lshlrev_b32_e32 v4, 16, v4
	v_and_b32_e32 v12, 0xffff0000, v5
	v_lshlrev_b32_e32 v5, 16, v5
	s_wait_loadcnt 0x0
	v_and_b32_e32 v13, 0xffff0000, v6
	v_cndmask_b32_e64 v1, 0, 1, vcc_lo
	v_cmp_eq_f32_e32 vcc_lo, 0x7f800000, v2
	v_lshlrev_b32_e32 v6, 16, v6
	v_and_b32_e32 v14, 0xffff0000, v7
	v_lshlrev_b32_e32 v7, 16, v7
	v_and_b32_e32 v15, 0xffff0000, v8
	v_cndmask_b32_e64 v2, 0, 1, vcc_lo
	v_cmp_eq_f32_e32 vcc_lo, 0x7f800000, v10
	v_lshlrev_b32_e32 v8, 16, v8
	v_and_b32_e32 v16, 0xffff0000, v9
	v_lshlrev_b32_e32 v9, 16, v9
	v_lshlrev_b16 v1, 8, v1
	v_cndmask_b32_e64 v10, 0, 1, vcc_lo
	v_cmp_eq_f32_e32 vcc_lo, 0x7f800000, v3
	s_delay_alu instid0(VALU_DEP_3) | instskip(NEXT) | instid1(VALU_DEP_3)
	v_or_b32_e32 v1, v2, v1
	v_lshlrev_b16 v10, 8, v10
	v_cndmask_b32_e64 v3, 0, 1, vcc_lo
	v_cmp_eq_f32_e32 vcc_lo, 0x7f800000, v11
	s_delay_alu instid0(VALU_DEP_2) | instskip(SKIP_2) | instid1(VALU_DEP_2)
	v_or_b32_e32 v2, v3, v10
	v_cndmask_b32_e64 v11, 0, 1, vcc_lo
	v_cmp_eq_f32_e32 vcc_lo, 0x7f800000, v4
	v_lshlrev_b16 v11, 8, v11
	v_cndmask_b32_e64 v4, 0, 1, vcc_lo
	v_cmp_eq_f32_e32 vcc_lo, 0x7f800000, v12
	s_delay_alu instid0(VALU_DEP_2) | instskip(SKIP_2) | instid1(VALU_DEP_2)
	v_or_b32_e32 v3, v4, v11
	v_cndmask_b32_e64 v12, 0, 1, vcc_lo
	v_cmp_eq_f32_e32 vcc_lo, 0x7f800000, v5
	v_lshlrev_b16 v12, 8, v12
	v_cndmask_b32_e64 v5, 0, 1, vcc_lo
	v_cmp_eq_f32_e32 vcc_lo, 0x7f800000, v13
	s_delay_alu instid0(VALU_DEP_2) | instskip(SKIP_2) | instid1(VALU_DEP_3)
	v_or_b32_e32 v4, v5, v12
	v_cndmask_b32_e64 v13, 0, 1, vcc_lo
	v_cmp_eq_f32_e32 vcc_lo, 0x7f800000, v6
	v_lshlrev_b32_e32 v4, 16, v4
	s_delay_alu instid0(VALU_DEP_3) | instskip(SKIP_4) | instid1(VALU_DEP_4)
	v_lshlrev_b16 v13, 8, v13
	v_cndmask_b32_e64 v6, 0, 1, vcc_lo
	v_cmp_eq_f32_e32 vcc_lo, 0x7f800000, v14
	v_lshlrev_b32_e32 v2, 16, v2
	v_and_b32_e32 v1, 0xffff, v1
	v_or_b32_e32 v5, v6, v13
	v_cndmask_b32_e64 v14, 0, 1, vcc_lo
	v_cmp_eq_f32_e32 vcc_lo, 0x7f800000, v7
	s_delay_alu instid0(VALU_DEP_4) | instskip(NEXT) | instid1(VALU_DEP_3)
	v_or_b32_e32 v2, v1, v2
	v_lshlrev_b16 v14, 8, v14
	v_cndmask_b32_e64 v7, 0, 1, vcc_lo
	v_cmp_eq_f32_e32 vcc_lo, 0x7f800000, v15
	s_delay_alu instid0(VALU_DEP_2) | instskip(SKIP_2) | instid1(VALU_DEP_3)
	v_or_b32_e32 v6, v7, v14
	v_cndmask_b32_e64 v15, 0, 1, vcc_lo
	v_cmp_eq_f32_e32 vcc_lo, 0x7f800000, v8
	v_lshlrev_b32_e32 v6, 16, v6
	s_delay_alu instid0(VALU_DEP_3) | instskip(SKIP_3) | instid1(VALU_DEP_3)
	v_lshlrev_b16 v15, 8, v15
	v_cndmask_b32_e64 v8, 0, 1, vcc_lo
	v_cmp_eq_f32_e32 vcc_lo, 0x7f800000, v16
	v_and_b32_e32 v3, 0xffff, v3
	v_or_b32_e32 v7, v8, v15
	v_cndmask_b32_e64 v16, 0, 1, vcc_lo
	v_cmp_eq_f32_e32 vcc_lo, 0x7f800000, v9
	s_delay_alu instid0(VALU_DEP_4) | instskip(NEXT) | instid1(VALU_DEP_4)
	v_or_b32_e32 v3, v3, v4
	v_and_b32_e32 v7, 0xffff, v7
	s_delay_alu instid0(VALU_DEP_4) | instskip(SKIP_1) | instid1(VALU_DEP_1)
	v_lshlrev_b16 v16, 8, v16
	v_cndmask_b32_e64 v9, 0, 1, vcc_lo
	v_or_b32_e32 v8, v9, v16
	s_delay_alu instid0(VALU_DEP_1) | instskip(SKIP_1) | instid1(VALU_DEP_1)
	v_lshlrev_b32_e32 v8, 16, v8
	v_and_b32_e32 v5, 0xffff, v5
	v_or_b32_e32 v4, v5, v6
	s_delay_alu instid0(VALU_DEP_3)
	v_or_b32_e32 v5, v7, v8
	s_clause 0x1
	global_store_b64 v0, v[2:3], s[8:9] scale_offset
	global_store_b64 v0, v[4:5], s[8:9] offset:2048 scale_offset
.LBB57_2:
	s_and_not1_b32 vcc_lo, exec_lo, s0
	s_cbranch_vccnz .LBB57_52
; %bb.3:
	v_cmp_gt_i32_e32 vcc_lo, s1, v0
	s_wait_xcnt 0x1
	v_dual_mov_b32 v3, v0 :: v_dual_bitop2_b32 v1, s2, v0 bitop3:0x54
	v_or_b32_e32 v2, 0x100, v0
	s_mov_b32 s3, 0
	s_wait_xcnt 0x0
	s_mov_b32 s9, 0
	s_and_saveexec_b32 s8, vcc_lo
	s_cbranch_execz .LBB57_5
; %bb.4:
	global_load_u16 v3, v1, s[6:7] scale_offset
	s_wait_loadcnt 0x0
	v_lshlrev_b32_e32 v3, 16, v3
	s_delay_alu instid0(VALU_DEP_1)
	v_cmp_eq_f32_e64 s0, 0x7f800000, v3
	v_or_b32_e32 v3, 0x100, v0
	s_and_b32 s9, s0, exec_lo
.LBB57_5:
	s_wait_xcnt 0x0
	s_or_b32 exec_lo, exec_lo, s8
	s_delay_alu instid0(SALU_CYCLE_1)
	s_mov_b32 s8, exec_lo
	v_cmpx_gt_i32_e64 s1, v3
	s_cbranch_execz .LBB57_7
; %bb.6:
	v_add_nc_u32_e32 v4, s2, v3
	v_add_nc_u32_e32 v3, 0x100, v3
	global_load_u16 v4, v4, s[6:7] scale_offset
	s_wait_loadcnt 0x0
	v_lshlrev_b32_e32 v4, 16, v4
	s_delay_alu instid0(VALU_DEP_1)
	v_cmp_eq_f32_e64 s0, 0x7f800000, v4
	s_and_b32 s3, s0, exec_lo
.LBB57_7:
	s_or_b32 exec_lo, exec_lo, s8
	s_mov_b32 s10, 0
	s_mov_b32 s11, 0
	s_mov_b32 s8, exec_lo
	v_cmpx_gt_i32_e64 s1, v3
	s_cbranch_execz .LBB57_9
; %bb.8:
	v_add_nc_u32_e32 v4, s2, v3
	v_add_nc_u32_e32 v3, 0x100, v3
	global_load_u16 v4, v4, s[6:7] scale_offset
	s_wait_loadcnt 0x0
	v_lshlrev_b32_e32 v4, 16, v4
	s_delay_alu instid0(VALU_DEP_1)
	v_cmp_eq_f32_e64 s0, 0x7f800000, v4
	s_and_b32 s11, s0, exec_lo
.LBB57_9:
	s_or_b32 exec_lo, exec_lo, s8
	s_delay_alu instid0(SALU_CYCLE_1)
	s_mov_b32 s8, exec_lo
	v_cmpx_gt_i32_e64 s1, v3
	s_cbranch_execz .LBB57_11
; %bb.10:
	v_add_nc_u32_e32 v4, s2, v3
	v_add_nc_u32_e32 v3, 0x100, v3
	global_load_u16 v4, v4, s[6:7] scale_offset
	s_wait_loadcnt 0x0
	v_lshlrev_b32_e32 v4, 16, v4
	s_delay_alu instid0(VALU_DEP_1)
	v_cmp_eq_f32_e64 s0, 0x7f800000, v4
	s_and_b32 s10, s0, exec_lo
.LBB57_11:
	s_or_b32 exec_lo, exec_lo, s8
	s_mov_b32 s12, 0
	s_mov_b32 s14, 0
	s_mov_b32 s8, exec_lo
	v_cmpx_gt_i32_e64 s1, v3
	s_cbranch_execz .LBB57_13
; %bb.12:
	v_add_nc_u32_e32 v4, s2, v3
	v_add_nc_u32_e32 v3, 0x100, v3
	global_load_u16 v4, v4, s[6:7] scale_offset
	s_wait_loadcnt 0x0
	v_lshlrev_b32_e32 v4, 16, v4
	s_delay_alu instid0(VALU_DEP_1)
	v_cmp_eq_f32_e64 s0, 0x7f800000, v4
	s_and_b32 s14, s0, exec_lo
.LBB57_13:
	;; [unrolled: 31-line block ×7, first 2 shown]
	s_or_b32 exec_lo, exec_lo, s23
	s_delay_alu instid0(SALU_CYCLE_1)
	s_mov_b32 s23, exec_lo
	v_cmpx_gt_i32_e64 s1, v3
	s_cbranch_execz .LBB57_35
; %bb.34:
	v_add_nc_u32_e32 v3, s2, v3
	global_load_u16 v3, v3, s[6:7] scale_offset
	s_wait_loadcnt 0x0
	v_lshlrev_b32_e32 v3, 16, v3
	s_delay_alu instid0(VALU_DEP_1)
	v_cmp_eq_f32_e64 s0, 0x7f800000, v3
	s_and_b32 s19, s0, exec_lo
.LBB57_35:
	s_or_b32 exec_lo, exec_lo, s23
	v_cndmask_b32_e64 v5, 0, 1, s14
	v_cndmask_b32_e64 v3, 0, 1, s9
	;; [unrolled: 1-line block ×3, first 2 shown]
	v_or_b32_e32 v10, 0x400, v0
	v_cndmask_b32_e64 v9, 0, 1, s12
	v_bitop3_b16 v5, v5, 0, 0xff00 bitop3:0xf8
	v_or_b32_e32 v6, 0x200, v0
	v_lshlrev_b16 v4, 8, v4
	v_cmp_gt_i32_e64 s0, s1, v10
	v_lshlrev_b16 v9, 8, v9
	v_and_b32_e32 v5, 0xffff, v5
	v_cndmask_b32_e32 v3, 0, v3, vcc_lo
	v_cndmask_b32_e64 v7, 0, 1, s11
	v_or_b32_e32 v10, 0xc00, v0
	v_or_b32_e32 v11, 0x500, v0
	s_delay_alu instid0(VALU_DEP_4) | instskip(SKIP_3) | instid1(VALU_DEP_4)
	v_dual_cndmask_b32 v5, 0, v5, s0 :: v_dual_bitop2_b32 v4, v3, v4 bitop3:0x54
	v_cmp_gt_i32_e64 s0, s1, v2
	v_cndmask_b32_e64 v12, 0, 1, s21
	v_cndmask_b32_e64 v8, 0, 1, s10
	v_bitop3_b16 v9, v5, v9, 0xff bitop3:0xec
	v_and_b32_e32 v4, 0xffff, v4
	v_cndmask_b32_e64 v13, 0, 1, s20
	v_cndmask_b32_e64 v14, 0, 1, s18
	v_lshlrev_b16 v8, 8, v8
	v_and_b32_e32 v9, 0xffff, v9
	v_cndmask_b32_e64 v3, v3, v4, s0
	v_cmp_gt_i32_e64 s0, s1, v6
	v_cndmask_b32_e64 v4, 0, 1, s17
	s_delay_alu instid0(VALU_DEP_3) | instskip(NEXT) | instid1(VALU_DEP_1)
	v_lshl_or_b32 v7, v7, 16, v3
	v_cndmask_b32_e64 v3, v3, v7, s0
	v_cmp_gt_i32_e64 s0, s1, v10
	v_lshlrev_b16 v7, 8, v13
	v_or_b32_e32 v10, 0x800, v0
	v_or_b32_e32 v13, 0xd00, v0
	s_delay_alu instid0(VALU_DEP_4) | instskip(SKIP_2) | instid1(VALU_DEP_2)
	v_cndmask_b32_e64 v6, 0, v12, s0
	v_cmp_gt_i32_e64 s0, s1, v11
	v_cndmask_b32_e64 v11, 0, 1, s15
	v_dual_cndmask_b32 v5, v5, v9, s0 :: v_dual_lshrrev_b32 v9, 16, v3
	s_delay_alu instid0(VALU_DEP_4) | instskip(SKIP_1) | instid1(VALU_DEP_3)
	v_bitop3_b16 v7, v6, v7, 0xff bitop3:0xec
	v_cmp_gt_i32_e64 s0, s1, v10
	v_bitop3_b16 v8, v9, v8, 0xff bitop3:0xec
	s_delay_alu instid0(VALU_DEP_4) | instskip(NEXT) | instid1(VALU_DEP_4)
	v_lshrrev_b32_e32 v12, 16, v5
	v_and_b32_e32 v7, 0xffff, v7
	v_cndmask_b32_e64 v9, 0, 1, s13
	s_delay_alu instid0(VALU_DEP_4) | instskip(NEXT) | instid1(VALU_DEP_4)
	v_lshlrev_b32_e32 v8, 16, v8
	v_bitop3_b16 v4, v4, v12, 0xff00 bitop3:0xf8
	v_cndmask_b32_e64 v10, 0, v11, s0
	v_cmp_gt_i32_e64 s0, s1, v13
	v_lshlrev_b16 v9, 8, v9
	v_or_b32_e32 v11, 0x900, v0
	v_lshlrev_b32_e32 v4, 16, v4
	v_cndmask_b32_e64 v13, 0, 1, s22
	v_and_or_b32 v8, 0xffff, v3, v8
	s_delay_alu instid0(VALU_DEP_3) | instskip(SKIP_2) | instid1(VALU_DEP_1)
	v_and_or_b32 v4, 0xffff, v5, v4
	v_cndmask_b32_e64 v6, v6, v7, s0
	v_or_b32_e32 v7, 0x600, v0
	v_cmp_gt_i32_e64 s0, s1, v7
	s_delay_alu instid0(VALU_DEP_1) | instskip(NEXT) | instid1(VALU_DEP_4)
	v_dual_cndmask_b32 v4, v5, v4, s0 :: v_dual_bitop2_b32 v9, v10, v9 bitop3:0x54
	v_lshrrev_b32_e32 v12, 16, v6
	v_cmp_gt_i32_e64 s0, s1, v11
	s_delay_alu instid0(VALU_DEP_3) | instskip(NEXT) | instid1(VALU_DEP_3)
	v_and_b32_e32 v9, 0xffff, v9
	v_bitop3_b16 v5, v13, v12, 0xff00 bitop3:0xf8
	v_or_b32_e32 v12, 0xa00, v0
	v_lshrrev_b32_e32 v11, 16, v4
	v_or_b32_e32 v13, 0xe00, v0
	v_dual_cndmask_b32 v7, v10, v9, s0 :: v_dual_lshlrev_b32 v9, 16, v14
	v_lshlrev_b32_e32 v5, 16, v5
	v_cmp_gt_i32_e64 s0, s1, v12
	v_cndmask_b32_e64 v10, 0, 1, s8
	s_delay_alu instid0(VALU_DEP_4) | instskip(NEXT) | instid1(VALU_DEP_4)
	v_and_or_b32 v9, 0x1ff, v7, v9
	v_and_or_b32 v5, 0xffff, v6, v5
	s_delay_alu instid0(VALU_DEP_3) | instskip(NEXT) | instid1(VALU_DEP_3)
	v_lshlrev_b16 v10, 8, v10
	v_cndmask_b32_e64 v7, v7, v9, s0
	v_cmp_gt_i32_e64 s0, s1, v13
	v_cndmask_b32_e64 v9, 0, 1, s16
	v_or_b32_e32 v13, 0x300, v0
	s_delay_alu instid0(VALU_DEP_3)
	v_cndmask_b32_e64 v12, v6, v5, s0
	v_cndmask_b32_e64 v5, 0, 1, s19
	v_bitop3_b16 v6, v11, v10, 0xff bitop3:0xec
	v_lshlrev_b16 v9, 8, v9
	v_cmp_gt_i32_e64 s0, s1, v13
	v_dual_lshrrev_b32 v11, 16, v12 :: v_dual_lshrrev_b32 v10, 16, v7
	v_lshlrev_b16 v5, 8, v5
	s_delay_alu instid0(VALU_DEP_2) | instskip(NEXT) | instid1(VALU_DEP_4)
	v_bitop3_b16 v9, v10, v9, 0xff bitop3:0xec
	v_dual_lshlrev_b32 v10, 16, v6 :: v_dual_cndmask_b32 v6, v3, v8, s0
	s_delay_alu instid0(VALU_DEP_3) | instskip(SKIP_2) | instid1(VALU_DEP_3)
	v_bitop3_b16 v5, v11, v5, 0xff bitop3:0xec
	v_or_b32_e32 v8, 0x700, v0
	v_or_b32_e32 v11, 0xf00, v0
	v_lshlrev_b32_e32 v5, 16, v5
	s_delay_alu instid0(VALU_DEP_3) | instskip(SKIP_4) | instid1(VALU_DEP_3)
	v_cmp_gt_i32_e64 s0, s1, v8
	v_lshlrev_b32_e32 v3, 16, v9
	v_and_or_b32 v9, 0xffff, v4, v10
	v_or_b32_e32 v10, 0xb00, v0
	v_and_or_b32 v13, 0xffff, v12, v5
	v_cndmask_b32_e64 v5, v4, v9, s0
	v_and_or_b32 v3, 0xffff, v7, v3
	s_delay_alu instid0(VALU_DEP_4) | instskip(NEXT) | instid1(VALU_DEP_1)
	v_cmp_gt_i32_e64 s0, s1, v10
	v_cndmask_b32_e64 v4, v7, v3, s0
	v_cmp_gt_i32_e64 s0, s1, v11
	s_delay_alu instid0(VALU_DEP_1)
	v_cndmask_b32_e64 v3, v12, v13, s0
	s_and_saveexec_b32 s0, vcc_lo
	s_cbranch_execnz .LBB57_53
; %bb.36:
	s_or_b32 exec_lo, exec_lo, s0
	s_delay_alu instid0(SALU_CYCLE_1)
	s_mov_b32 s0, exec_lo
	v_cmpx_gt_i32_e64 s1, v0
	s_cbranch_execnz .LBB57_54
.LBB57_37:
	s_or_b32 exec_lo, exec_lo, s0
	s_delay_alu instid0(SALU_CYCLE_1)
	s_mov_b32 s0, exec_lo
	v_cmpx_gt_i32_e64 s1, v0
	s_cbranch_execnz .LBB57_55
.LBB57_38:
	s_or_b32 exec_lo, exec_lo, s0
	s_delay_alu instid0(SALU_CYCLE_1)
	s_mov_b32 s0, exec_lo
	v_cmpx_gt_i32_e64 s1, v0
	s_cbranch_execnz .LBB57_56
.LBB57_39:
	s_or_b32 exec_lo, exec_lo, s0
	s_delay_alu instid0(SALU_CYCLE_1)
	s_mov_b32 s0, exec_lo
	v_cmpx_gt_i32_e64 s1, v0
	s_cbranch_execnz .LBB57_57
.LBB57_40:
	s_or_b32 exec_lo, exec_lo, s0
	s_delay_alu instid0(SALU_CYCLE_1)
	s_mov_b32 s0, exec_lo
	v_cmpx_gt_i32_e64 s1, v0
	s_cbranch_execnz .LBB57_58
.LBB57_41:
	s_or_b32 exec_lo, exec_lo, s0
	s_delay_alu instid0(SALU_CYCLE_1)
	s_mov_b32 s0, exec_lo
	v_cmpx_gt_i32_e64 s1, v0
	s_cbranch_execnz .LBB57_59
.LBB57_42:
	s_or_b32 exec_lo, exec_lo, s0
	s_delay_alu instid0(SALU_CYCLE_1)
	s_mov_b32 s0, exec_lo
	v_cmpx_gt_i32_e64 s1, v0
	s_cbranch_execnz .LBB57_60
.LBB57_43:
	s_or_b32 exec_lo, exec_lo, s0
	s_delay_alu instid0(SALU_CYCLE_1)
	s_mov_b32 s0, exec_lo
	v_cmpx_gt_i32_e64 s1, v0
	s_cbranch_execnz .LBB57_61
.LBB57_44:
	s_or_b32 exec_lo, exec_lo, s0
	s_delay_alu instid0(SALU_CYCLE_1)
	s_mov_b32 s0, exec_lo
	v_cmpx_gt_i32_e64 s1, v0
	s_cbranch_execnz .LBB57_62
.LBB57_45:
	s_or_b32 exec_lo, exec_lo, s0
	s_delay_alu instid0(SALU_CYCLE_1)
	s_mov_b32 s0, exec_lo
	v_cmpx_gt_i32_e64 s1, v0
	s_cbranch_execnz .LBB57_63
.LBB57_46:
	s_or_b32 exec_lo, exec_lo, s0
	s_delay_alu instid0(SALU_CYCLE_1)
	s_mov_b32 s0, exec_lo
	v_cmpx_gt_i32_e64 s1, v0
	s_cbranch_execnz .LBB57_64
.LBB57_47:
	s_or_b32 exec_lo, exec_lo, s0
	s_delay_alu instid0(SALU_CYCLE_1)
	s_mov_b32 s0, exec_lo
	v_cmpx_gt_i32_e64 s1, v0
	s_cbranch_execnz .LBB57_65
.LBB57_48:
	s_or_b32 exec_lo, exec_lo, s0
	s_delay_alu instid0(SALU_CYCLE_1)
	s_mov_b32 s0, exec_lo
	v_cmpx_gt_i32_e64 s1, v0
	s_cbranch_execnz .LBB57_66
.LBB57_49:
	s_or_b32 exec_lo, exec_lo, s0
	s_delay_alu instid0(SALU_CYCLE_1)
	s_mov_b32 s0, exec_lo
	v_cmpx_gt_i32_e64 s1, v0
	s_cbranch_execnz .LBB57_67
.LBB57_50:
	s_or_b32 exec_lo, exec_lo, s0
	s_delay_alu instid0(SALU_CYCLE_1)
	s_mov_b32 s0, exec_lo
	v_cmpx_gt_i32_e64 s1, v0
	s_cbranch_execz .LBB57_52
.LBB57_51:
	v_dual_lshrrev_b32 v1, 24, v3 :: v_dual_add_nc_u32 v0, s2, v0
	global_store_b8 v0, v1, s[4:5]
.LBB57_52:
	s_endpgm
.LBB57_53:
	v_mov_b32_e32 v0, v2
	global_store_b8 v1, v6, s[4:5]
	s_wait_xcnt 0x0
	s_or_b32 exec_lo, exec_lo, s0
	s_delay_alu instid0(SALU_CYCLE_1)
	s_mov_b32 s0, exec_lo
	v_cmpx_gt_i32_e64 s1, v0
	s_cbranch_execz .LBB57_37
.LBB57_54:
	v_dual_lshrrev_b32 v1, 8, v6 :: v_dual_add_nc_u32 v2, s2, v0
	v_add_nc_u32_e32 v0, 0x100, v0
	global_store_b8 v2, v1, s[4:5]
	s_wait_xcnt 0x0
	s_or_b32 exec_lo, exec_lo, s0
	s_delay_alu instid0(SALU_CYCLE_1)
	s_mov_b32 s0, exec_lo
	v_cmpx_gt_i32_e64 s1, v0
	s_cbranch_execz .LBB57_38
.LBB57_55:
	v_add_nc_u32_e32 v1, s2, v0
	v_add_nc_u32_e32 v0, 0x100, v0
	global_store_d16_hi_b8 v1, v6, s[4:5]
	s_wait_xcnt 0x0
	s_or_b32 exec_lo, exec_lo, s0
	s_delay_alu instid0(SALU_CYCLE_1)
	s_mov_b32 s0, exec_lo
	v_cmpx_gt_i32_e64 s1, v0
	s_cbranch_execz .LBB57_39
.LBB57_56:
	v_dual_lshrrev_b32 v1, 24, v6 :: v_dual_add_nc_u32 v2, s2, v0
	v_add_nc_u32_e32 v0, 0x100, v0
	global_store_b8 v2, v1, s[4:5]
	s_wait_xcnt 0x0
	s_or_b32 exec_lo, exec_lo, s0
	s_delay_alu instid0(SALU_CYCLE_1)
	s_mov_b32 s0, exec_lo
	v_cmpx_gt_i32_e64 s1, v0
	s_cbranch_execz .LBB57_40
.LBB57_57:
	v_add_nc_u32_e32 v1, s2, v0
	v_add_nc_u32_e32 v0, 0x100, v0
	global_store_b8 v1, v5, s[4:5]
	s_wait_xcnt 0x0
	s_or_b32 exec_lo, exec_lo, s0
	s_delay_alu instid0(SALU_CYCLE_1)
	s_mov_b32 s0, exec_lo
	v_cmpx_gt_i32_e64 s1, v0
	s_cbranch_execz .LBB57_41
.LBB57_58:
	v_dual_lshrrev_b32 v1, 8, v5 :: v_dual_add_nc_u32 v2, s2, v0
	v_add_nc_u32_e32 v0, 0x100, v0
	global_store_b8 v2, v1, s[4:5]
	s_wait_xcnt 0x0
	s_or_b32 exec_lo, exec_lo, s0
	s_delay_alu instid0(SALU_CYCLE_1)
	s_mov_b32 s0, exec_lo
	v_cmpx_gt_i32_e64 s1, v0
	s_cbranch_execz .LBB57_42
.LBB57_59:
	v_add_nc_u32_e32 v1, s2, v0
	v_add_nc_u32_e32 v0, 0x100, v0
	global_store_d16_hi_b8 v1, v5, s[4:5]
	s_wait_xcnt 0x0
	s_or_b32 exec_lo, exec_lo, s0
	s_delay_alu instid0(SALU_CYCLE_1)
	s_mov_b32 s0, exec_lo
	v_cmpx_gt_i32_e64 s1, v0
	s_cbranch_execz .LBB57_43
.LBB57_60:
	v_dual_lshrrev_b32 v1, 24, v5 :: v_dual_add_nc_u32 v2, s2, v0
	v_add_nc_u32_e32 v0, 0x100, v0
	global_store_b8 v2, v1, s[4:5]
	s_wait_xcnt 0x0
	s_or_b32 exec_lo, exec_lo, s0
	s_delay_alu instid0(SALU_CYCLE_1)
	s_mov_b32 s0, exec_lo
	v_cmpx_gt_i32_e64 s1, v0
	s_cbranch_execz .LBB57_44
.LBB57_61:
	v_add_nc_u32_e32 v1, s2, v0
	v_add_nc_u32_e32 v0, 0x100, v0
	global_store_b8 v1, v4, s[4:5]
	s_wait_xcnt 0x0
	s_or_b32 exec_lo, exec_lo, s0
	s_delay_alu instid0(SALU_CYCLE_1)
	s_mov_b32 s0, exec_lo
	v_cmpx_gt_i32_e64 s1, v0
	s_cbranch_execz .LBB57_45
.LBB57_62:
	v_lshrrev_b32_e32 v1, 8, v4
	v_add_nc_u32_e32 v2, s2, v0
	v_add_nc_u32_e32 v0, 0x100, v0
	global_store_b8 v2, v1, s[4:5]
	s_wait_xcnt 0x0
	s_or_b32 exec_lo, exec_lo, s0
	s_delay_alu instid0(SALU_CYCLE_1)
	s_mov_b32 s0, exec_lo
	v_cmpx_gt_i32_e64 s1, v0
	s_cbranch_execz .LBB57_46
.LBB57_63:
	v_add_nc_u32_e32 v1, s2, v0
	v_add_nc_u32_e32 v0, 0x100, v0
	global_store_d16_hi_b8 v1, v4, s[4:5]
	s_wait_xcnt 0x0
	s_or_b32 exec_lo, exec_lo, s0
	s_delay_alu instid0(SALU_CYCLE_1)
	s_mov_b32 s0, exec_lo
	v_cmpx_gt_i32_e64 s1, v0
	s_cbranch_execz .LBB57_47
.LBB57_64:
	v_lshrrev_b32_e32 v1, 24, v4
	v_add_nc_u32_e32 v2, s2, v0
	v_add_nc_u32_e32 v0, 0x100, v0
	global_store_b8 v2, v1, s[4:5]
	s_wait_xcnt 0x0
	s_or_b32 exec_lo, exec_lo, s0
	s_delay_alu instid0(SALU_CYCLE_1)
	s_mov_b32 s0, exec_lo
	v_cmpx_gt_i32_e64 s1, v0
	s_cbranch_execz .LBB57_48
.LBB57_65:
	v_add_nc_u32_e32 v1, s2, v0
	v_add_nc_u32_e32 v0, 0x100, v0
	global_store_b8 v1, v3, s[4:5]
	s_wait_xcnt 0x0
	s_or_b32 exec_lo, exec_lo, s0
	s_delay_alu instid0(SALU_CYCLE_1)
	s_mov_b32 s0, exec_lo
	v_cmpx_gt_i32_e64 s1, v0
	s_cbranch_execz .LBB57_49
.LBB57_66:
	v_dual_lshrrev_b32 v1, 8, v3 :: v_dual_add_nc_u32 v2, s2, v0
	v_add_nc_u32_e32 v0, 0x100, v0
	global_store_b8 v2, v1, s[4:5]
	s_wait_xcnt 0x0
	s_or_b32 exec_lo, exec_lo, s0
	s_delay_alu instid0(SALU_CYCLE_1)
	s_mov_b32 s0, exec_lo
	v_cmpx_gt_i32_e64 s1, v0
	s_cbranch_execz .LBB57_50
.LBB57_67:
	v_add_nc_u32_e32 v1, s2, v0
	v_add_nc_u32_e32 v0, 0x100, v0
	global_store_d16_hi_b8 v1, v3, s[4:5]
	s_wait_xcnt 0x0
	s_or_b32 exec_lo, exec_lo, s0
	s_delay_alu instid0(SALU_CYCLE_1)
	s_mov_b32 s0, exec_lo
	v_cmpx_gt_i32_e64 s1, v0
	s_cbranch_execnz .LBB57_51
	s_branch .LBB57_52
	.section	.rodata,"a",@progbits
	.p2align	6, 0x0
	.amdhsa_kernel _ZN2at6native29vectorized_elementwise_kernelILi8EZZZNS0_12_GLOBAL__N_120isposinf_kernel_implERNS_18TensorIteratorBaseEENKUlvE_clEvENKUlvE2_clEvEUlN3c108BFloat16EE_St5arrayIPcLm2EEEEviT0_T1_
		.amdhsa_group_segment_fixed_size 0
		.amdhsa_private_segment_fixed_size 0
		.amdhsa_kernarg_size 24
		.amdhsa_user_sgpr_count 2
		.amdhsa_user_sgpr_dispatch_ptr 0
		.amdhsa_user_sgpr_queue_ptr 0
		.amdhsa_user_sgpr_kernarg_segment_ptr 1
		.amdhsa_user_sgpr_dispatch_id 0
		.amdhsa_user_sgpr_kernarg_preload_length 0
		.amdhsa_user_sgpr_kernarg_preload_offset 0
		.amdhsa_user_sgpr_private_segment_size 0
		.amdhsa_wavefront_size32 1
		.amdhsa_uses_dynamic_stack 0
		.amdhsa_enable_private_segment 0
		.amdhsa_system_sgpr_workgroup_id_x 1
		.amdhsa_system_sgpr_workgroup_id_y 0
		.amdhsa_system_sgpr_workgroup_id_z 0
		.amdhsa_system_sgpr_workgroup_info 0
		.amdhsa_system_vgpr_workitem_id 0
		.amdhsa_next_free_vgpr 17
		.amdhsa_next_free_sgpr 24
		.amdhsa_named_barrier_count 0
		.amdhsa_reserve_vcc 1
		.amdhsa_float_round_mode_32 0
		.amdhsa_float_round_mode_16_64 0
		.amdhsa_float_denorm_mode_32 3
		.amdhsa_float_denorm_mode_16_64 3
		.amdhsa_fp16_overflow 0
		.amdhsa_memory_ordered 1
		.amdhsa_forward_progress 1
		.amdhsa_inst_pref_size 33
		.amdhsa_round_robin_scheduling 0
		.amdhsa_exception_fp_ieee_invalid_op 0
		.amdhsa_exception_fp_denorm_src 0
		.amdhsa_exception_fp_ieee_div_zero 0
		.amdhsa_exception_fp_ieee_overflow 0
		.amdhsa_exception_fp_ieee_underflow 0
		.amdhsa_exception_fp_ieee_inexact 0
		.amdhsa_exception_int_div_zero 0
	.end_amdhsa_kernel
	.section	.text._ZN2at6native29vectorized_elementwise_kernelILi8EZZZNS0_12_GLOBAL__N_120isposinf_kernel_implERNS_18TensorIteratorBaseEENKUlvE_clEvENKUlvE2_clEvEUlN3c108BFloat16EE_St5arrayIPcLm2EEEEviT0_T1_,"axG",@progbits,_ZN2at6native29vectorized_elementwise_kernelILi8EZZZNS0_12_GLOBAL__N_120isposinf_kernel_implERNS_18TensorIteratorBaseEENKUlvE_clEvENKUlvE2_clEvEUlN3c108BFloat16EE_St5arrayIPcLm2EEEEviT0_T1_,comdat
.Lfunc_end57:
	.size	_ZN2at6native29vectorized_elementwise_kernelILi8EZZZNS0_12_GLOBAL__N_120isposinf_kernel_implERNS_18TensorIteratorBaseEENKUlvE_clEvENKUlvE2_clEvEUlN3c108BFloat16EE_St5arrayIPcLm2EEEEviT0_T1_, .Lfunc_end57-_ZN2at6native29vectorized_elementwise_kernelILi8EZZZNS0_12_GLOBAL__N_120isposinf_kernel_implERNS_18TensorIteratorBaseEENKUlvE_clEvENKUlvE2_clEvEUlN3c108BFloat16EE_St5arrayIPcLm2EEEEviT0_T1_
                                        ; -- End function
	.set _ZN2at6native29vectorized_elementwise_kernelILi8EZZZNS0_12_GLOBAL__N_120isposinf_kernel_implERNS_18TensorIteratorBaseEENKUlvE_clEvENKUlvE2_clEvEUlN3c108BFloat16EE_St5arrayIPcLm2EEEEviT0_T1_.num_vgpr, 17
	.set _ZN2at6native29vectorized_elementwise_kernelILi8EZZZNS0_12_GLOBAL__N_120isposinf_kernel_implERNS_18TensorIteratorBaseEENKUlvE_clEvENKUlvE2_clEvEUlN3c108BFloat16EE_St5arrayIPcLm2EEEEviT0_T1_.num_agpr, 0
	.set _ZN2at6native29vectorized_elementwise_kernelILi8EZZZNS0_12_GLOBAL__N_120isposinf_kernel_implERNS_18TensorIteratorBaseEENKUlvE_clEvENKUlvE2_clEvEUlN3c108BFloat16EE_St5arrayIPcLm2EEEEviT0_T1_.numbered_sgpr, 24
	.set _ZN2at6native29vectorized_elementwise_kernelILi8EZZZNS0_12_GLOBAL__N_120isposinf_kernel_implERNS_18TensorIteratorBaseEENKUlvE_clEvENKUlvE2_clEvEUlN3c108BFloat16EE_St5arrayIPcLm2EEEEviT0_T1_.num_named_barrier, 0
	.set _ZN2at6native29vectorized_elementwise_kernelILi8EZZZNS0_12_GLOBAL__N_120isposinf_kernel_implERNS_18TensorIteratorBaseEENKUlvE_clEvENKUlvE2_clEvEUlN3c108BFloat16EE_St5arrayIPcLm2EEEEviT0_T1_.private_seg_size, 0
	.set _ZN2at6native29vectorized_elementwise_kernelILi8EZZZNS0_12_GLOBAL__N_120isposinf_kernel_implERNS_18TensorIteratorBaseEENKUlvE_clEvENKUlvE2_clEvEUlN3c108BFloat16EE_St5arrayIPcLm2EEEEviT0_T1_.uses_vcc, 1
	.set _ZN2at6native29vectorized_elementwise_kernelILi8EZZZNS0_12_GLOBAL__N_120isposinf_kernel_implERNS_18TensorIteratorBaseEENKUlvE_clEvENKUlvE2_clEvEUlN3c108BFloat16EE_St5arrayIPcLm2EEEEviT0_T1_.uses_flat_scratch, 0
	.set _ZN2at6native29vectorized_elementwise_kernelILi8EZZZNS0_12_GLOBAL__N_120isposinf_kernel_implERNS_18TensorIteratorBaseEENKUlvE_clEvENKUlvE2_clEvEUlN3c108BFloat16EE_St5arrayIPcLm2EEEEviT0_T1_.has_dyn_sized_stack, 0
	.set _ZN2at6native29vectorized_elementwise_kernelILi8EZZZNS0_12_GLOBAL__N_120isposinf_kernel_implERNS_18TensorIteratorBaseEENKUlvE_clEvENKUlvE2_clEvEUlN3c108BFloat16EE_St5arrayIPcLm2EEEEviT0_T1_.has_recursion, 0
	.set _ZN2at6native29vectorized_elementwise_kernelILi8EZZZNS0_12_GLOBAL__N_120isposinf_kernel_implERNS_18TensorIteratorBaseEENKUlvE_clEvENKUlvE2_clEvEUlN3c108BFloat16EE_St5arrayIPcLm2EEEEviT0_T1_.has_indirect_call, 0
	.section	.AMDGPU.csdata,"",@progbits
; Kernel info:
; codeLenInByte = 4160
; TotalNumSgprs: 26
; NumVgprs: 17
; ScratchSize: 0
; MemoryBound: 0
; FloatMode: 240
; IeeeMode: 1
; LDSByteSize: 0 bytes/workgroup (compile time only)
; SGPRBlocks: 0
; VGPRBlocks: 1
; NumSGPRsForWavesPerEU: 26
; NumVGPRsForWavesPerEU: 17
; NamedBarCnt: 0
; Occupancy: 16
; WaveLimiterHint : 1
; COMPUTE_PGM_RSRC2:SCRATCH_EN: 0
; COMPUTE_PGM_RSRC2:USER_SGPR: 2
; COMPUTE_PGM_RSRC2:TRAP_HANDLER: 0
; COMPUTE_PGM_RSRC2:TGID_X_EN: 1
; COMPUTE_PGM_RSRC2:TGID_Y_EN: 0
; COMPUTE_PGM_RSRC2:TGID_Z_EN: 0
; COMPUTE_PGM_RSRC2:TIDIG_COMP_CNT: 0
	.section	.text._ZN2at6native29vectorized_elementwise_kernelILi4EZZZNS0_12_GLOBAL__N_120isposinf_kernel_implERNS_18TensorIteratorBaseEENKUlvE_clEvENKUlvE2_clEvEUlN3c108BFloat16EE_St5arrayIPcLm2EEEEviT0_T1_,"axG",@progbits,_ZN2at6native29vectorized_elementwise_kernelILi4EZZZNS0_12_GLOBAL__N_120isposinf_kernel_implERNS_18TensorIteratorBaseEENKUlvE_clEvENKUlvE2_clEvEUlN3c108BFloat16EE_St5arrayIPcLm2EEEEviT0_T1_,comdat
	.globl	_ZN2at6native29vectorized_elementwise_kernelILi4EZZZNS0_12_GLOBAL__N_120isposinf_kernel_implERNS_18TensorIteratorBaseEENKUlvE_clEvENKUlvE2_clEvEUlN3c108BFloat16EE_St5arrayIPcLm2EEEEviT0_T1_ ; -- Begin function _ZN2at6native29vectorized_elementwise_kernelILi4EZZZNS0_12_GLOBAL__N_120isposinf_kernel_implERNS_18TensorIteratorBaseEENKUlvE_clEvENKUlvE2_clEvEUlN3c108BFloat16EE_St5arrayIPcLm2EEEEviT0_T1_
	.p2align	8
	.type	_ZN2at6native29vectorized_elementwise_kernelILi4EZZZNS0_12_GLOBAL__N_120isposinf_kernel_implERNS_18TensorIteratorBaseEENKUlvE_clEvENKUlvE2_clEvEUlN3c108BFloat16EE_St5arrayIPcLm2EEEEviT0_T1_,@function
_ZN2at6native29vectorized_elementwise_kernelILi4EZZZNS0_12_GLOBAL__N_120isposinf_kernel_implERNS_18TensorIteratorBaseEENKUlvE_clEvENKUlvE2_clEvEUlN3c108BFloat16EE_St5arrayIPcLm2EEEEviT0_T1_: ; @_ZN2at6native29vectorized_elementwise_kernelILi4EZZZNS0_12_GLOBAL__N_120isposinf_kernel_implERNS_18TensorIteratorBaseEENKUlvE_clEvENKUlvE2_clEvEUlN3c108BFloat16EE_St5arrayIPcLm2EEEEviT0_T1_
; %bb.0:
	s_clause 0x1
	s_load_b32 s3, s[0:1], 0x0
	s_load_b128 s[4:7], s[0:1], 0x8
	s_wait_xcnt 0x0
	s_bfe_u32 s0, ttmp6, 0x4000c
	s_and_b32 s1, ttmp6, 15
	s_add_co_i32 s0, s0, 1
	s_getreg_b32 s2, hwreg(HW_REG_IB_STS2, 6, 4)
	s_mul_i32 s0, ttmp9, s0
	s_delay_alu instid0(SALU_CYCLE_1) | instskip(SKIP_2) | instid1(SALU_CYCLE_1)
	s_add_co_i32 s1, s1, s0
	s_cmp_eq_u32 s2, 0
	s_cselect_b32 s0, ttmp9, s1
	s_lshl_b32 s2, s0, 12
	s_mov_b32 s0, -1
	s_wait_kmcnt 0x0
	s_sub_co_i32 s1, s3, s2
	s_delay_alu instid0(SALU_CYCLE_1)
	s_cmp_gt_i32 s1, 0xfff
	s_cbranch_scc0 .LBB58_2
; %bb.1:
	s_ashr_i32 s3, s2, 31
	s_mov_b32 s0, 0
	s_lshl_b64 s[8:9], s[2:3], 1
	s_delay_alu instid0(SALU_CYCLE_1)
	s_add_nc_u64 s[8:9], s[6:7], s[8:9]
	s_clause 0x3
	global_load_b64 v[2:3], v0, s[8:9] scale_offset
	global_load_b64 v[4:5], v0, s[8:9] offset:2048 scale_offset
	global_load_b64 v[6:7], v0, s[8:9] offset:4096 scale_offset
	;; [unrolled: 1-line block ×3, first 2 shown]
	s_wait_xcnt 0x0
	s_add_nc_u64 s[8:9], s[4:5], s[2:3]
	s_wait_loadcnt 0x3
	v_dual_lshlrev_b32 v1, 16, v2 :: v_dual_lshlrev_b32 v10, 16, v3
	s_wait_loadcnt 0x1
	v_dual_lshlrev_b32 v13, 16, v6 :: v_dual_lshlrev_b32 v14, 16, v7
	s_wait_loadcnt 0x0
	v_and_b32_e32 v15, 0xffff0000, v8
	v_dual_lshlrev_b32 v8, 16, v8 :: v_dual_lshlrev_b32 v16, 16, v9
	v_and_b32_e32 v9, 0xffff0000, v9
	v_and_b32_e32 v6, 0xffff0000, v6
	s_delay_alu instid0(VALU_DEP_4)
	v_cmp_eq_f32_e32 vcc_lo, 0x7f800000, v15
	v_and_b32_e32 v7, 0xffff0000, v7
	v_dual_lshlrev_b32 v11, 16, v4 :: v_dual_lshlrev_b32 v12, 16, v5
	v_and_b32_e32 v4, 0xffff0000, v4
	v_cndmask_b32_e64 v15, 0, 1, vcc_lo
	v_cmp_eq_f32_e32 vcc_lo, 0x7f800000, v8
	v_and_b32_e32 v5, 0xffff0000, v5
	v_and_b32_e32 v2, 0xffff0000, v2
	;; [unrolled: 1-line block ×3, first 2 shown]
	v_lshlrev_b16 v15, 8, v15
	v_cndmask_b32_e64 v8, 0, 1, vcc_lo
	v_cmp_eq_f32_e32 vcc_lo, 0x7f800000, v9
	v_cndmask_b32_e64 v9, 0, 1, vcc_lo
	v_cmp_eq_f32_e32 vcc_lo, 0x7f800000, v16
	s_delay_alu instid0(VALU_DEP_2) | instskip(SKIP_4) | instid1(VALU_DEP_2)
	v_lshlrev_b16 v9, 8, v9
	v_cndmask_b32_e64 v16, 0, 1, vcc_lo
	v_cmp_eq_f32_e32 vcc_lo, 0x7f800000, v6
	v_cndmask_b32_e64 v6, 0, 1, vcc_lo
	v_cmp_eq_f32_e32 vcc_lo, 0x7f800000, v13
	v_lshlrev_b16 v6, 8, v6
	v_cndmask_b32_e64 v13, 0, 1, vcc_lo
	v_cmp_eq_f32_e32 vcc_lo, 0x7f800000, v7
	v_cndmask_b32_e64 v7, 0, 1, vcc_lo
	v_cmp_eq_f32_e32 vcc_lo, 0x7f800000, v14
	s_delay_alu instid0(VALU_DEP_2) | instskip(SKIP_2) | instid1(VALU_DEP_2)
	v_lshlrev_b16 v7, 8, v7
	v_cndmask_b32_e64 v14, 0, 1, vcc_lo
	v_cmp_eq_f32_e32 vcc_lo, 0x7f800000, v4
	v_or_b32_e32 v7, v14, v7
	v_cndmask_b32_e64 v4, 0, 1, vcc_lo
	v_cmp_eq_f32_e32 vcc_lo, 0x7f800000, v11
	s_delay_alu instid0(VALU_DEP_3) | instskip(NEXT) | instid1(VALU_DEP_3)
	v_dual_lshlrev_b32 v7, 16, v7 :: v_dual_bitop2_b32 v9, v16, v9 bitop3:0x54
	v_lshlrev_b16 v4, 8, v4
	v_cndmask_b32_e64 v11, 0, 1, vcc_lo
	v_cmp_eq_f32_e32 vcc_lo, 0x7f800000, v5
	s_delay_alu instid0(VALU_DEP_2) | instskip(SKIP_2) | instid1(VALU_DEP_3)
	v_or_b32_e32 v4, v11, v4
	v_cndmask_b32_e64 v5, 0, 1, vcc_lo
	v_cmp_eq_f32_e32 vcc_lo, 0x7f800000, v12
	v_and_b32_e32 v4, 0xffff, v4
	s_delay_alu instid0(VALU_DEP_3) | instskip(SKIP_2) | instid1(VALU_DEP_2)
	v_lshlrev_b16 v5, 8, v5
	v_cndmask_b32_e64 v12, 0, 1, vcc_lo
	v_cmp_eq_f32_e32 vcc_lo, 0x7f800000, v2
	v_or_b32_e32 v5, v12, v5
	v_cndmask_b32_e64 v2, 0, 1, vcc_lo
	v_cmp_eq_f32_e32 vcc_lo, 0x7f800000, v1
	s_delay_alu instid0(VALU_DEP_3) | instskip(NEXT) | instid1(VALU_DEP_3)
	v_dual_lshlrev_b32 v5, 16, v5 :: v_dual_bitop2_b32 v6, v13, v6 bitop3:0x54
	v_lshlrev_b16 v2, 8, v2
	v_cndmask_b32_e64 v1, 0, 1, vcc_lo
	v_cmp_eq_f32_e32 vcc_lo, 0x7f800000, v3
	s_delay_alu instid0(VALU_DEP_4) | instskip(NEXT) | instid1(VALU_DEP_3)
	v_and_b32_e32 v6, 0xffff, v6
	v_or_b32_e32 v1, v1, v2
	v_cndmask_b32_e64 v3, 0, 1, vcc_lo
	v_cmp_eq_f32_e32 vcc_lo, 0x7f800000, v10
	s_delay_alu instid0(VALU_DEP_3) | instskip(NEXT) | instid1(VALU_DEP_3)
	v_and_b32_e32 v1, 0xffff, v1
	v_lshlrev_b16 v3, 8, v3
	v_cndmask_b32_e64 v10, 0, 1, vcc_lo
	s_delay_alu instid0(VALU_DEP_1) | instskip(NEXT) | instid1(VALU_DEP_1)
	v_or_b32_e32 v2, v10, v3
	v_dual_lshlrev_b32 v2, 16, v2 :: v_dual_bitop2_b32 v8, v8, v15 bitop3:0x54
	s_delay_alu instid0(VALU_DEP_1) | instskip(NEXT) | instid1(VALU_DEP_2)
	v_and_b32_e32 v3, 0xffff, v8
	v_dual_lshlrev_b32 v8, 16, v9 :: v_dual_bitop2_b32 v1, v1, v2 bitop3:0x54
	v_or_b32_e32 v2, v4, v5
	v_or_b32_e32 v4, v6, v7
	s_delay_alu instid0(VALU_DEP_3)
	v_or_b32_e32 v3, v3, v8
	s_clause 0x3
	global_store_b32 v0, v1, s[8:9] scale_offset
	global_store_b32 v0, v2, s[8:9] offset:1024 scale_offset
	global_store_b32 v0, v4, s[8:9] offset:2048 scale_offset
	;; [unrolled: 1-line block ×3, first 2 shown]
.LBB58_2:
	s_and_not1_b32 vcc_lo, exec_lo, s0
	s_cbranch_vccnz .LBB58_52
; %bb.3:
	v_cmp_gt_i32_e32 vcc_lo, s1, v0
	s_wait_xcnt 0x0
	v_dual_mov_b32 v3, v0 :: v_dual_bitop2_b32 v1, s2, v0 bitop3:0x54
	v_or_b32_e32 v2, 0x100, v0
	s_mov_b32 s3, 0
	s_mov_b32 s9, 0
	s_and_saveexec_b32 s8, vcc_lo
	s_cbranch_execz .LBB58_5
; %bb.4:
	global_load_u16 v3, v1, s[6:7] scale_offset
	s_wait_loadcnt 0x0
	v_lshlrev_b32_e32 v3, 16, v3
	s_delay_alu instid0(VALU_DEP_1)
	v_cmp_eq_f32_e64 s0, 0x7f800000, v3
	v_or_b32_e32 v3, 0x100, v0
	s_and_b32 s9, s0, exec_lo
.LBB58_5:
	s_wait_xcnt 0x0
	s_or_b32 exec_lo, exec_lo, s8
	s_delay_alu instid0(SALU_CYCLE_1)
	s_mov_b32 s8, exec_lo
	v_cmpx_gt_i32_e64 s1, v3
	s_cbranch_execz .LBB58_7
; %bb.6:
	v_add_nc_u32_e32 v4, s2, v3
	v_add_nc_u32_e32 v3, 0x100, v3
	global_load_u16 v4, v4, s[6:7] scale_offset
	s_wait_loadcnt 0x0
	v_lshlrev_b32_e32 v4, 16, v4
	s_delay_alu instid0(VALU_DEP_1)
	v_cmp_eq_f32_e64 s0, 0x7f800000, v4
	s_and_b32 s3, s0, exec_lo
.LBB58_7:
	s_or_b32 exec_lo, exec_lo, s8
	s_mov_b32 s10, 0
	s_mov_b32 s11, 0
	s_mov_b32 s8, exec_lo
	v_cmpx_gt_i32_e64 s1, v3
	s_cbranch_execz .LBB58_9
; %bb.8:
	v_add_nc_u32_e32 v4, s2, v3
	v_add_nc_u32_e32 v3, 0x100, v3
	global_load_u16 v4, v4, s[6:7] scale_offset
	s_wait_loadcnt 0x0
	v_lshlrev_b32_e32 v4, 16, v4
	s_delay_alu instid0(VALU_DEP_1)
	v_cmp_eq_f32_e64 s0, 0x7f800000, v4
	s_and_b32 s11, s0, exec_lo
.LBB58_9:
	s_or_b32 exec_lo, exec_lo, s8
	s_delay_alu instid0(SALU_CYCLE_1)
	s_mov_b32 s8, exec_lo
	v_cmpx_gt_i32_e64 s1, v3
	s_cbranch_execz .LBB58_11
; %bb.10:
	v_add_nc_u32_e32 v4, s2, v3
	v_add_nc_u32_e32 v3, 0x100, v3
	global_load_u16 v4, v4, s[6:7] scale_offset
	s_wait_loadcnt 0x0
	v_lshlrev_b32_e32 v4, 16, v4
	s_delay_alu instid0(VALU_DEP_1)
	v_cmp_eq_f32_e64 s0, 0x7f800000, v4
	s_and_b32 s10, s0, exec_lo
.LBB58_11:
	s_or_b32 exec_lo, exec_lo, s8
	s_mov_b32 s12, 0
	s_mov_b32 s14, 0
	s_mov_b32 s8, exec_lo
	v_cmpx_gt_i32_e64 s1, v3
	s_cbranch_execz .LBB58_13
; %bb.12:
	v_add_nc_u32_e32 v4, s2, v3
	v_add_nc_u32_e32 v3, 0x100, v3
	global_load_u16 v4, v4, s[6:7] scale_offset
	s_wait_loadcnt 0x0
	v_lshlrev_b32_e32 v4, 16, v4
	s_delay_alu instid0(VALU_DEP_1)
	v_cmp_eq_f32_e64 s0, 0x7f800000, v4
	s_and_b32 s14, s0, exec_lo
.LBB58_13:
	;; [unrolled: 31-line block ×7, first 2 shown]
	s_or_b32 exec_lo, exec_lo, s23
	s_delay_alu instid0(SALU_CYCLE_1)
	s_mov_b32 s23, exec_lo
	v_cmpx_gt_i32_e64 s1, v3
	s_cbranch_execz .LBB58_35
; %bb.34:
	v_add_nc_u32_e32 v3, s2, v3
	global_load_u16 v3, v3, s[6:7] scale_offset
	s_wait_loadcnt 0x0
	v_lshlrev_b32_e32 v3, 16, v3
	s_delay_alu instid0(VALU_DEP_1)
	v_cmp_eq_f32_e64 s0, 0x7f800000, v3
	s_and_b32 s19, s0, exec_lo
.LBB58_35:
	s_or_b32 exec_lo, exec_lo, s23
	v_cndmask_b32_e64 v5, 0, 1, s14
	v_cndmask_b32_e64 v3, 0, 1, s9
	;; [unrolled: 1-line block ×3, first 2 shown]
	v_or_b32_e32 v10, 0x400, v0
	v_cndmask_b32_e64 v9, 0, 1, s12
	v_bitop3_b16 v5, v5, 0, 0xff00 bitop3:0xf8
	v_or_b32_e32 v6, 0x200, v0
	v_lshlrev_b16 v4, 8, v4
	v_cmp_gt_i32_e64 s0, s1, v10
	v_lshlrev_b16 v9, 8, v9
	v_and_b32_e32 v5, 0xffff, v5
	v_cndmask_b32_e32 v3, 0, v3, vcc_lo
	v_cndmask_b32_e64 v7, 0, 1, s11
	v_or_b32_e32 v10, 0xc00, v0
	v_or_b32_e32 v11, 0x500, v0
	s_delay_alu instid0(VALU_DEP_4) | instskip(SKIP_3) | instid1(VALU_DEP_4)
	v_dual_cndmask_b32 v5, 0, v5, s0 :: v_dual_bitop2_b32 v4, v3, v4 bitop3:0x54
	v_cmp_gt_i32_e64 s0, s1, v2
	v_cndmask_b32_e64 v12, 0, 1, s21
	v_cndmask_b32_e64 v8, 0, 1, s10
	v_bitop3_b16 v9, v5, v9, 0xff bitop3:0xec
	v_and_b32_e32 v4, 0xffff, v4
	v_cndmask_b32_e64 v13, 0, 1, s20
	v_cndmask_b32_e64 v14, 0, 1, s18
	v_lshlrev_b16 v8, 8, v8
	v_and_b32_e32 v9, 0xffff, v9
	v_cndmask_b32_e64 v3, v3, v4, s0
	v_cmp_gt_i32_e64 s0, s1, v6
	v_cndmask_b32_e64 v4, 0, 1, s17
	s_delay_alu instid0(VALU_DEP_3) | instskip(NEXT) | instid1(VALU_DEP_1)
	v_lshl_or_b32 v7, v7, 16, v3
	v_cndmask_b32_e64 v3, v3, v7, s0
	v_cmp_gt_i32_e64 s0, s1, v10
	v_lshlrev_b16 v7, 8, v13
	v_or_b32_e32 v10, 0x800, v0
	v_or_b32_e32 v13, 0xd00, v0
	s_delay_alu instid0(VALU_DEP_4) | instskip(SKIP_2) | instid1(VALU_DEP_2)
	v_cndmask_b32_e64 v6, 0, v12, s0
	v_cmp_gt_i32_e64 s0, s1, v11
	v_cndmask_b32_e64 v11, 0, 1, s15
	v_dual_cndmask_b32 v5, v5, v9, s0 :: v_dual_lshrrev_b32 v9, 16, v3
	s_delay_alu instid0(VALU_DEP_4) | instskip(SKIP_1) | instid1(VALU_DEP_3)
	v_bitop3_b16 v7, v6, v7, 0xff bitop3:0xec
	v_cmp_gt_i32_e64 s0, s1, v10
	v_bitop3_b16 v8, v9, v8, 0xff bitop3:0xec
	s_delay_alu instid0(VALU_DEP_4) | instskip(NEXT) | instid1(VALU_DEP_4)
	v_lshrrev_b32_e32 v12, 16, v5
	v_and_b32_e32 v7, 0xffff, v7
	v_cndmask_b32_e64 v9, 0, 1, s13
	s_delay_alu instid0(VALU_DEP_4) | instskip(NEXT) | instid1(VALU_DEP_4)
	v_lshlrev_b32_e32 v8, 16, v8
	v_bitop3_b16 v4, v4, v12, 0xff00 bitop3:0xf8
	v_cndmask_b32_e64 v10, 0, v11, s0
	v_cmp_gt_i32_e64 s0, s1, v13
	v_lshlrev_b16 v9, 8, v9
	v_or_b32_e32 v11, 0x900, v0
	v_lshlrev_b32_e32 v4, 16, v4
	v_cndmask_b32_e64 v13, 0, 1, s22
	v_and_or_b32 v8, 0xffff, v3, v8
	s_delay_alu instid0(VALU_DEP_3) | instskip(SKIP_2) | instid1(VALU_DEP_1)
	v_and_or_b32 v4, 0xffff, v5, v4
	v_cndmask_b32_e64 v6, v6, v7, s0
	v_or_b32_e32 v7, 0x600, v0
	v_cmp_gt_i32_e64 s0, s1, v7
	s_delay_alu instid0(VALU_DEP_1) | instskip(NEXT) | instid1(VALU_DEP_4)
	v_dual_cndmask_b32 v4, v5, v4, s0 :: v_dual_bitop2_b32 v9, v10, v9 bitop3:0x54
	v_lshrrev_b32_e32 v12, 16, v6
	v_cmp_gt_i32_e64 s0, s1, v11
	s_delay_alu instid0(VALU_DEP_3) | instskip(NEXT) | instid1(VALU_DEP_3)
	v_and_b32_e32 v9, 0xffff, v9
	v_bitop3_b16 v5, v13, v12, 0xff00 bitop3:0xf8
	v_or_b32_e32 v12, 0xa00, v0
	v_lshrrev_b32_e32 v11, 16, v4
	v_or_b32_e32 v13, 0xe00, v0
	v_dual_cndmask_b32 v7, v10, v9, s0 :: v_dual_lshlrev_b32 v9, 16, v14
	v_lshlrev_b32_e32 v5, 16, v5
	v_cmp_gt_i32_e64 s0, s1, v12
	v_cndmask_b32_e64 v10, 0, 1, s8
	s_delay_alu instid0(VALU_DEP_4) | instskip(NEXT) | instid1(VALU_DEP_4)
	v_and_or_b32 v9, 0x1ff, v7, v9
	v_and_or_b32 v5, 0xffff, v6, v5
	s_delay_alu instid0(VALU_DEP_3) | instskip(NEXT) | instid1(VALU_DEP_3)
	v_lshlrev_b16 v10, 8, v10
	v_cndmask_b32_e64 v7, v7, v9, s0
	v_cmp_gt_i32_e64 s0, s1, v13
	v_cndmask_b32_e64 v9, 0, 1, s16
	v_or_b32_e32 v13, 0x300, v0
	s_delay_alu instid0(VALU_DEP_3)
	v_cndmask_b32_e64 v12, v6, v5, s0
	v_cndmask_b32_e64 v5, 0, 1, s19
	v_bitop3_b16 v6, v11, v10, 0xff bitop3:0xec
	v_lshlrev_b16 v9, 8, v9
	v_cmp_gt_i32_e64 s0, s1, v13
	v_dual_lshrrev_b32 v11, 16, v12 :: v_dual_lshrrev_b32 v10, 16, v7
	v_lshlrev_b16 v5, 8, v5
	s_delay_alu instid0(VALU_DEP_2) | instskip(NEXT) | instid1(VALU_DEP_4)
	v_bitop3_b16 v9, v10, v9, 0xff bitop3:0xec
	v_dual_lshlrev_b32 v10, 16, v6 :: v_dual_cndmask_b32 v6, v3, v8, s0
	s_delay_alu instid0(VALU_DEP_3) | instskip(SKIP_2) | instid1(VALU_DEP_3)
	v_bitop3_b16 v5, v11, v5, 0xff bitop3:0xec
	v_or_b32_e32 v8, 0x700, v0
	v_or_b32_e32 v11, 0xf00, v0
	v_lshlrev_b32_e32 v5, 16, v5
	s_delay_alu instid0(VALU_DEP_3) | instskip(SKIP_4) | instid1(VALU_DEP_3)
	v_cmp_gt_i32_e64 s0, s1, v8
	v_lshlrev_b32_e32 v3, 16, v9
	v_and_or_b32 v9, 0xffff, v4, v10
	v_or_b32_e32 v10, 0xb00, v0
	v_and_or_b32 v13, 0xffff, v12, v5
	v_cndmask_b32_e64 v5, v4, v9, s0
	v_and_or_b32 v3, 0xffff, v7, v3
	s_delay_alu instid0(VALU_DEP_4) | instskip(NEXT) | instid1(VALU_DEP_1)
	v_cmp_gt_i32_e64 s0, s1, v10
	v_cndmask_b32_e64 v4, v7, v3, s0
	v_cmp_gt_i32_e64 s0, s1, v11
	s_delay_alu instid0(VALU_DEP_1)
	v_cndmask_b32_e64 v3, v12, v13, s0
	s_and_saveexec_b32 s0, vcc_lo
	s_cbranch_execnz .LBB58_53
; %bb.36:
	s_or_b32 exec_lo, exec_lo, s0
	s_delay_alu instid0(SALU_CYCLE_1)
	s_mov_b32 s0, exec_lo
	v_cmpx_gt_i32_e64 s1, v0
	s_cbranch_execnz .LBB58_54
.LBB58_37:
	s_or_b32 exec_lo, exec_lo, s0
	s_delay_alu instid0(SALU_CYCLE_1)
	s_mov_b32 s0, exec_lo
	v_cmpx_gt_i32_e64 s1, v0
	s_cbranch_execnz .LBB58_55
.LBB58_38:
	s_or_b32 exec_lo, exec_lo, s0
	s_delay_alu instid0(SALU_CYCLE_1)
	s_mov_b32 s0, exec_lo
	v_cmpx_gt_i32_e64 s1, v0
	s_cbranch_execnz .LBB58_56
.LBB58_39:
	s_or_b32 exec_lo, exec_lo, s0
	s_delay_alu instid0(SALU_CYCLE_1)
	s_mov_b32 s0, exec_lo
	v_cmpx_gt_i32_e64 s1, v0
	s_cbranch_execnz .LBB58_57
.LBB58_40:
	s_or_b32 exec_lo, exec_lo, s0
	s_delay_alu instid0(SALU_CYCLE_1)
	s_mov_b32 s0, exec_lo
	v_cmpx_gt_i32_e64 s1, v0
	s_cbranch_execnz .LBB58_58
.LBB58_41:
	s_or_b32 exec_lo, exec_lo, s0
	s_delay_alu instid0(SALU_CYCLE_1)
	s_mov_b32 s0, exec_lo
	v_cmpx_gt_i32_e64 s1, v0
	s_cbranch_execnz .LBB58_59
.LBB58_42:
	s_or_b32 exec_lo, exec_lo, s0
	s_delay_alu instid0(SALU_CYCLE_1)
	s_mov_b32 s0, exec_lo
	v_cmpx_gt_i32_e64 s1, v0
	s_cbranch_execnz .LBB58_60
.LBB58_43:
	s_or_b32 exec_lo, exec_lo, s0
	s_delay_alu instid0(SALU_CYCLE_1)
	s_mov_b32 s0, exec_lo
	v_cmpx_gt_i32_e64 s1, v0
	s_cbranch_execnz .LBB58_61
.LBB58_44:
	s_or_b32 exec_lo, exec_lo, s0
	s_delay_alu instid0(SALU_CYCLE_1)
	s_mov_b32 s0, exec_lo
	v_cmpx_gt_i32_e64 s1, v0
	s_cbranch_execnz .LBB58_62
.LBB58_45:
	s_or_b32 exec_lo, exec_lo, s0
	s_delay_alu instid0(SALU_CYCLE_1)
	s_mov_b32 s0, exec_lo
	v_cmpx_gt_i32_e64 s1, v0
	s_cbranch_execnz .LBB58_63
.LBB58_46:
	s_or_b32 exec_lo, exec_lo, s0
	s_delay_alu instid0(SALU_CYCLE_1)
	s_mov_b32 s0, exec_lo
	v_cmpx_gt_i32_e64 s1, v0
	s_cbranch_execnz .LBB58_64
.LBB58_47:
	s_or_b32 exec_lo, exec_lo, s0
	s_delay_alu instid0(SALU_CYCLE_1)
	s_mov_b32 s0, exec_lo
	v_cmpx_gt_i32_e64 s1, v0
	s_cbranch_execnz .LBB58_65
.LBB58_48:
	s_or_b32 exec_lo, exec_lo, s0
	s_delay_alu instid0(SALU_CYCLE_1)
	s_mov_b32 s0, exec_lo
	v_cmpx_gt_i32_e64 s1, v0
	s_cbranch_execnz .LBB58_66
.LBB58_49:
	s_or_b32 exec_lo, exec_lo, s0
	s_delay_alu instid0(SALU_CYCLE_1)
	s_mov_b32 s0, exec_lo
	v_cmpx_gt_i32_e64 s1, v0
	s_cbranch_execnz .LBB58_67
.LBB58_50:
	s_or_b32 exec_lo, exec_lo, s0
	s_delay_alu instid0(SALU_CYCLE_1)
	s_mov_b32 s0, exec_lo
	v_cmpx_gt_i32_e64 s1, v0
	s_cbranch_execz .LBB58_52
.LBB58_51:
	v_dual_lshrrev_b32 v1, 24, v3 :: v_dual_add_nc_u32 v0, s2, v0
	global_store_b8 v0, v1, s[4:5]
.LBB58_52:
	s_endpgm
.LBB58_53:
	v_mov_b32_e32 v0, v2
	global_store_b8 v1, v6, s[4:5]
	s_wait_xcnt 0x0
	s_or_b32 exec_lo, exec_lo, s0
	s_delay_alu instid0(SALU_CYCLE_1)
	s_mov_b32 s0, exec_lo
	v_cmpx_gt_i32_e64 s1, v0
	s_cbranch_execz .LBB58_37
.LBB58_54:
	v_dual_lshrrev_b32 v1, 8, v6 :: v_dual_add_nc_u32 v2, s2, v0
	v_add_nc_u32_e32 v0, 0x100, v0
	global_store_b8 v2, v1, s[4:5]
	s_wait_xcnt 0x0
	s_or_b32 exec_lo, exec_lo, s0
	s_delay_alu instid0(SALU_CYCLE_1)
	s_mov_b32 s0, exec_lo
	v_cmpx_gt_i32_e64 s1, v0
	s_cbranch_execz .LBB58_38
.LBB58_55:
	v_add_nc_u32_e32 v1, s2, v0
	v_add_nc_u32_e32 v0, 0x100, v0
	global_store_d16_hi_b8 v1, v6, s[4:5]
	s_wait_xcnt 0x0
	s_or_b32 exec_lo, exec_lo, s0
	s_delay_alu instid0(SALU_CYCLE_1)
	s_mov_b32 s0, exec_lo
	v_cmpx_gt_i32_e64 s1, v0
	s_cbranch_execz .LBB58_39
.LBB58_56:
	v_dual_lshrrev_b32 v1, 24, v6 :: v_dual_add_nc_u32 v2, s2, v0
	v_add_nc_u32_e32 v0, 0x100, v0
	global_store_b8 v2, v1, s[4:5]
	s_wait_xcnt 0x0
	s_or_b32 exec_lo, exec_lo, s0
	s_delay_alu instid0(SALU_CYCLE_1)
	s_mov_b32 s0, exec_lo
	v_cmpx_gt_i32_e64 s1, v0
	s_cbranch_execz .LBB58_40
.LBB58_57:
	v_add_nc_u32_e32 v1, s2, v0
	v_add_nc_u32_e32 v0, 0x100, v0
	global_store_b8 v1, v5, s[4:5]
	s_wait_xcnt 0x0
	s_or_b32 exec_lo, exec_lo, s0
	s_delay_alu instid0(SALU_CYCLE_1)
	s_mov_b32 s0, exec_lo
	v_cmpx_gt_i32_e64 s1, v0
	s_cbranch_execz .LBB58_41
.LBB58_58:
	v_dual_lshrrev_b32 v1, 8, v5 :: v_dual_add_nc_u32 v2, s2, v0
	v_add_nc_u32_e32 v0, 0x100, v0
	global_store_b8 v2, v1, s[4:5]
	s_wait_xcnt 0x0
	s_or_b32 exec_lo, exec_lo, s0
	s_delay_alu instid0(SALU_CYCLE_1)
	s_mov_b32 s0, exec_lo
	v_cmpx_gt_i32_e64 s1, v0
	s_cbranch_execz .LBB58_42
.LBB58_59:
	v_add_nc_u32_e32 v1, s2, v0
	v_add_nc_u32_e32 v0, 0x100, v0
	global_store_d16_hi_b8 v1, v5, s[4:5]
	s_wait_xcnt 0x0
	s_or_b32 exec_lo, exec_lo, s0
	s_delay_alu instid0(SALU_CYCLE_1)
	s_mov_b32 s0, exec_lo
	v_cmpx_gt_i32_e64 s1, v0
	s_cbranch_execz .LBB58_43
.LBB58_60:
	v_dual_lshrrev_b32 v1, 24, v5 :: v_dual_add_nc_u32 v2, s2, v0
	v_add_nc_u32_e32 v0, 0x100, v0
	global_store_b8 v2, v1, s[4:5]
	s_wait_xcnt 0x0
	s_or_b32 exec_lo, exec_lo, s0
	s_delay_alu instid0(SALU_CYCLE_1)
	s_mov_b32 s0, exec_lo
	v_cmpx_gt_i32_e64 s1, v0
	s_cbranch_execz .LBB58_44
.LBB58_61:
	v_add_nc_u32_e32 v1, s2, v0
	v_add_nc_u32_e32 v0, 0x100, v0
	global_store_b8 v1, v4, s[4:5]
	s_wait_xcnt 0x0
	s_or_b32 exec_lo, exec_lo, s0
	s_delay_alu instid0(SALU_CYCLE_1)
	s_mov_b32 s0, exec_lo
	v_cmpx_gt_i32_e64 s1, v0
	s_cbranch_execz .LBB58_45
.LBB58_62:
	v_lshrrev_b32_e32 v1, 8, v4
	v_add_nc_u32_e32 v2, s2, v0
	v_add_nc_u32_e32 v0, 0x100, v0
	global_store_b8 v2, v1, s[4:5]
	s_wait_xcnt 0x0
	s_or_b32 exec_lo, exec_lo, s0
	s_delay_alu instid0(SALU_CYCLE_1)
	s_mov_b32 s0, exec_lo
	v_cmpx_gt_i32_e64 s1, v0
	s_cbranch_execz .LBB58_46
.LBB58_63:
	v_add_nc_u32_e32 v1, s2, v0
	v_add_nc_u32_e32 v0, 0x100, v0
	global_store_d16_hi_b8 v1, v4, s[4:5]
	s_wait_xcnt 0x0
	s_or_b32 exec_lo, exec_lo, s0
	s_delay_alu instid0(SALU_CYCLE_1)
	s_mov_b32 s0, exec_lo
	v_cmpx_gt_i32_e64 s1, v0
	s_cbranch_execz .LBB58_47
.LBB58_64:
	v_lshrrev_b32_e32 v1, 24, v4
	v_add_nc_u32_e32 v2, s2, v0
	v_add_nc_u32_e32 v0, 0x100, v0
	global_store_b8 v2, v1, s[4:5]
	s_wait_xcnt 0x0
	s_or_b32 exec_lo, exec_lo, s0
	s_delay_alu instid0(SALU_CYCLE_1)
	s_mov_b32 s0, exec_lo
	v_cmpx_gt_i32_e64 s1, v0
	s_cbranch_execz .LBB58_48
.LBB58_65:
	v_add_nc_u32_e32 v1, s2, v0
	v_add_nc_u32_e32 v0, 0x100, v0
	global_store_b8 v1, v3, s[4:5]
	s_wait_xcnt 0x0
	s_or_b32 exec_lo, exec_lo, s0
	s_delay_alu instid0(SALU_CYCLE_1)
	s_mov_b32 s0, exec_lo
	v_cmpx_gt_i32_e64 s1, v0
	s_cbranch_execz .LBB58_49
.LBB58_66:
	v_dual_lshrrev_b32 v1, 8, v3 :: v_dual_add_nc_u32 v2, s2, v0
	v_add_nc_u32_e32 v0, 0x100, v0
	global_store_b8 v2, v1, s[4:5]
	s_wait_xcnt 0x0
	s_or_b32 exec_lo, exec_lo, s0
	s_delay_alu instid0(SALU_CYCLE_1)
	s_mov_b32 s0, exec_lo
	v_cmpx_gt_i32_e64 s1, v0
	s_cbranch_execz .LBB58_50
.LBB58_67:
	v_add_nc_u32_e32 v1, s2, v0
	v_add_nc_u32_e32 v0, 0x100, v0
	global_store_d16_hi_b8 v1, v3, s[4:5]
	s_wait_xcnt 0x0
	s_or_b32 exec_lo, exec_lo, s0
	s_delay_alu instid0(SALU_CYCLE_1)
	s_mov_b32 s0, exec_lo
	v_cmpx_gt_i32_e64 s1, v0
	s_cbranch_execnz .LBB58_51
	s_branch .LBB58_52
	.section	.rodata,"a",@progbits
	.p2align	6, 0x0
	.amdhsa_kernel _ZN2at6native29vectorized_elementwise_kernelILi4EZZZNS0_12_GLOBAL__N_120isposinf_kernel_implERNS_18TensorIteratorBaseEENKUlvE_clEvENKUlvE2_clEvEUlN3c108BFloat16EE_St5arrayIPcLm2EEEEviT0_T1_
		.amdhsa_group_segment_fixed_size 0
		.amdhsa_private_segment_fixed_size 0
		.amdhsa_kernarg_size 24
		.amdhsa_user_sgpr_count 2
		.amdhsa_user_sgpr_dispatch_ptr 0
		.amdhsa_user_sgpr_queue_ptr 0
		.amdhsa_user_sgpr_kernarg_segment_ptr 1
		.amdhsa_user_sgpr_dispatch_id 0
		.amdhsa_user_sgpr_kernarg_preload_length 0
		.amdhsa_user_sgpr_kernarg_preload_offset 0
		.amdhsa_user_sgpr_private_segment_size 0
		.amdhsa_wavefront_size32 1
		.amdhsa_uses_dynamic_stack 0
		.amdhsa_enable_private_segment 0
		.amdhsa_system_sgpr_workgroup_id_x 1
		.amdhsa_system_sgpr_workgroup_id_y 0
		.amdhsa_system_sgpr_workgroup_id_z 0
		.amdhsa_system_sgpr_workgroup_info 0
		.amdhsa_system_vgpr_workitem_id 0
		.amdhsa_next_free_vgpr 17
		.amdhsa_next_free_sgpr 24
		.amdhsa_named_barrier_count 0
		.amdhsa_reserve_vcc 1
		.amdhsa_float_round_mode_32 0
		.amdhsa_float_round_mode_16_64 0
		.amdhsa_float_denorm_mode_32 3
		.amdhsa_float_denorm_mode_16_64 3
		.amdhsa_fp16_overflow 0
		.amdhsa_memory_ordered 1
		.amdhsa_forward_progress 1
		.amdhsa_inst_pref_size 34
		.amdhsa_round_robin_scheduling 0
		.amdhsa_exception_fp_ieee_invalid_op 0
		.amdhsa_exception_fp_denorm_src 0
		.amdhsa_exception_fp_ieee_div_zero 0
		.amdhsa_exception_fp_ieee_overflow 0
		.amdhsa_exception_fp_ieee_underflow 0
		.amdhsa_exception_fp_ieee_inexact 0
		.amdhsa_exception_int_div_zero 0
	.end_amdhsa_kernel
	.section	.text._ZN2at6native29vectorized_elementwise_kernelILi4EZZZNS0_12_GLOBAL__N_120isposinf_kernel_implERNS_18TensorIteratorBaseEENKUlvE_clEvENKUlvE2_clEvEUlN3c108BFloat16EE_St5arrayIPcLm2EEEEviT0_T1_,"axG",@progbits,_ZN2at6native29vectorized_elementwise_kernelILi4EZZZNS0_12_GLOBAL__N_120isposinf_kernel_implERNS_18TensorIteratorBaseEENKUlvE_clEvENKUlvE2_clEvEUlN3c108BFloat16EE_St5arrayIPcLm2EEEEviT0_T1_,comdat
.Lfunc_end58:
	.size	_ZN2at6native29vectorized_elementwise_kernelILi4EZZZNS0_12_GLOBAL__N_120isposinf_kernel_implERNS_18TensorIteratorBaseEENKUlvE_clEvENKUlvE2_clEvEUlN3c108BFloat16EE_St5arrayIPcLm2EEEEviT0_T1_, .Lfunc_end58-_ZN2at6native29vectorized_elementwise_kernelILi4EZZZNS0_12_GLOBAL__N_120isposinf_kernel_implERNS_18TensorIteratorBaseEENKUlvE_clEvENKUlvE2_clEvEUlN3c108BFloat16EE_St5arrayIPcLm2EEEEviT0_T1_
                                        ; -- End function
	.set _ZN2at6native29vectorized_elementwise_kernelILi4EZZZNS0_12_GLOBAL__N_120isposinf_kernel_implERNS_18TensorIteratorBaseEENKUlvE_clEvENKUlvE2_clEvEUlN3c108BFloat16EE_St5arrayIPcLm2EEEEviT0_T1_.num_vgpr, 17
	.set _ZN2at6native29vectorized_elementwise_kernelILi4EZZZNS0_12_GLOBAL__N_120isposinf_kernel_implERNS_18TensorIteratorBaseEENKUlvE_clEvENKUlvE2_clEvEUlN3c108BFloat16EE_St5arrayIPcLm2EEEEviT0_T1_.num_agpr, 0
	.set _ZN2at6native29vectorized_elementwise_kernelILi4EZZZNS0_12_GLOBAL__N_120isposinf_kernel_implERNS_18TensorIteratorBaseEENKUlvE_clEvENKUlvE2_clEvEUlN3c108BFloat16EE_St5arrayIPcLm2EEEEviT0_T1_.numbered_sgpr, 24
	.set _ZN2at6native29vectorized_elementwise_kernelILi4EZZZNS0_12_GLOBAL__N_120isposinf_kernel_implERNS_18TensorIteratorBaseEENKUlvE_clEvENKUlvE2_clEvEUlN3c108BFloat16EE_St5arrayIPcLm2EEEEviT0_T1_.num_named_barrier, 0
	.set _ZN2at6native29vectorized_elementwise_kernelILi4EZZZNS0_12_GLOBAL__N_120isposinf_kernel_implERNS_18TensorIteratorBaseEENKUlvE_clEvENKUlvE2_clEvEUlN3c108BFloat16EE_St5arrayIPcLm2EEEEviT0_T1_.private_seg_size, 0
	.set _ZN2at6native29vectorized_elementwise_kernelILi4EZZZNS0_12_GLOBAL__N_120isposinf_kernel_implERNS_18TensorIteratorBaseEENKUlvE_clEvENKUlvE2_clEvEUlN3c108BFloat16EE_St5arrayIPcLm2EEEEviT0_T1_.uses_vcc, 1
	.set _ZN2at6native29vectorized_elementwise_kernelILi4EZZZNS0_12_GLOBAL__N_120isposinf_kernel_implERNS_18TensorIteratorBaseEENKUlvE_clEvENKUlvE2_clEvEUlN3c108BFloat16EE_St5arrayIPcLm2EEEEviT0_T1_.uses_flat_scratch, 0
	.set _ZN2at6native29vectorized_elementwise_kernelILi4EZZZNS0_12_GLOBAL__N_120isposinf_kernel_implERNS_18TensorIteratorBaseEENKUlvE_clEvENKUlvE2_clEvEUlN3c108BFloat16EE_St5arrayIPcLm2EEEEviT0_T1_.has_dyn_sized_stack, 0
	.set _ZN2at6native29vectorized_elementwise_kernelILi4EZZZNS0_12_GLOBAL__N_120isposinf_kernel_implERNS_18TensorIteratorBaseEENKUlvE_clEvENKUlvE2_clEvEUlN3c108BFloat16EE_St5arrayIPcLm2EEEEviT0_T1_.has_recursion, 0
	.set _ZN2at6native29vectorized_elementwise_kernelILi4EZZZNS0_12_GLOBAL__N_120isposinf_kernel_implERNS_18TensorIteratorBaseEENKUlvE_clEvENKUlvE2_clEvEUlN3c108BFloat16EE_St5arrayIPcLm2EEEEviT0_T1_.has_indirect_call, 0
	.section	.AMDGPU.csdata,"",@progbits
; Kernel info:
; codeLenInByte = 4240
; TotalNumSgprs: 26
; NumVgprs: 17
; ScratchSize: 0
; MemoryBound: 0
; FloatMode: 240
; IeeeMode: 1
; LDSByteSize: 0 bytes/workgroup (compile time only)
; SGPRBlocks: 0
; VGPRBlocks: 1
; NumSGPRsForWavesPerEU: 26
; NumVGPRsForWavesPerEU: 17
; NamedBarCnt: 0
; Occupancy: 16
; WaveLimiterHint : 1
; COMPUTE_PGM_RSRC2:SCRATCH_EN: 0
; COMPUTE_PGM_RSRC2:USER_SGPR: 2
; COMPUTE_PGM_RSRC2:TRAP_HANDLER: 0
; COMPUTE_PGM_RSRC2:TGID_X_EN: 1
; COMPUTE_PGM_RSRC2:TGID_Y_EN: 0
; COMPUTE_PGM_RSRC2:TGID_Z_EN: 0
; COMPUTE_PGM_RSRC2:TIDIG_COMP_CNT: 0
	.section	.text._ZN2at6native29vectorized_elementwise_kernelILi2EZZZNS0_12_GLOBAL__N_120isposinf_kernel_implERNS_18TensorIteratorBaseEENKUlvE_clEvENKUlvE2_clEvEUlN3c108BFloat16EE_St5arrayIPcLm2EEEEviT0_T1_,"axG",@progbits,_ZN2at6native29vectorized_elementwise_kernelILi2EZZZNS0_12_GLOBAL__N_120isposinf_kernel_implERNS_18TensorIteratorBaseEENKUlvE_clEvENKUlvE2_clEvEUlN3c108BFloat16EE_St5arrayIPcLm2EEEEviT0_T1_,comdat
	.globl	_ZN2at6native29vectorized_elementwise_kernelILi2EZZZNS0_12_GLOBAL__N_120isposinf_kernel_implERNS_18TensorIteratorBaseEENKUlvE_clEvENKUlvE2_clEvEUlN3c108BFloat16EE_St5arrayIPcLm2EEEEviT0_T1_ ; -- Begin function _ZN2at6native29vectorized_elementwise_kernelILi2EZZZNS0_12_GLOBAL__N_120isposinf_kernel_implERNS_18TensorIteratorBaseEENKUlvE_clEvENKUlvE2_clEvEUlN3c108BFloat16EE_St5arrayIPcLm2EEEEviT0_T1_
	.p2align	8
	.type	_ZN2at6native29vectorized_elementwise_kernelILi2EZZZNS0_12_GLOBAL__N_120isposinf_kernel_implERNS_18TensorIteratorBaseEENKUlvE_clEvENKUlvE2_clEvEUlN3c108BFloat16EE_St5arrayIPcLm2EEEEviT0_T1_,@function
_ZN2at6native29vectorized_elementwise_kernelILi2EZZZNS0_12_GLOBAL__N_120isposinf_kernel_implERNS_18TensorIteratorBaseEENKUlvE_clEvENKUlvE2_clEvEUlN3c108BFloat16EE_St5arrayIPcLm2EEEEviT0_T1_: ; @_ZN2at6native29vectorized_elementwise_kernelILi2EZZZNS0_12_GLOBAL__N_120isposinf_kernel_implERNS_18TensorIteratorBaseEENKUlvE_clEvENKUlvE2_clEvEUlN3c108BFloat16EE_St5arrayIPcLm2EEEEviT0_T1_
; %bb.0:
	s_clause 0x1
	s_load_b32 s3, s[0:1], 0x0
	s_load_b128 s[4:7], s[0:1], 0x8
	s_wait_xcnt 0x0
	s_bfe_u32 s0, ttmp6, 0x4000c
	s_and_b32 s1, ttmp6, 15
	s_add_co_i32 s0, s0, 1
	s_getreg_b32 s2, hwreg(HW_REG_IB_STS2, 6, 4)
	s_mul_i32 s0, ttmp9, s0
	s_delay_alu instid0(SALU_CYCLE_1) | instskip(SKIP_2) | instid1(SALU_CYCLE_1)
	s_add_co_i32 s1, s1, s0
	s_cmp_eq_u32 s2, 0
	s_cselect_b32 s0, ttmp9, s1
	s_lshl_b32 s2, s0, 12
	s_mov_b32 s0, -1
	s_wait_kmcnt 0x0
	s_sub_co_i32 s1, s3, s2
	s_delay_alu instid0(SALU_CYCLE_1)
	s_cmp_gt_i32 s1, 0xfff
	s_cbranch_scc0 .LBB59_2
; %bb.1:
	s_ashr_i32 s3, s2, 31
	s_mov_b32 s0, 0
	s_lshl_b64 s[8:9], s[2:3], 1
	s_delay_alu instid0(SALU_CYCLE_1)
	s_add_nc_u64 s[8:9], s[6:7], s[8:9]
	s_clause 0x7
	global_load_b32 v1, v0, s[8:9] scale_offset
	global_load_b32 v2, v0, s[8:9] offset:1024 scale_offset
	global_load_b32 v3, v0, s[8:9] offset:2048 scale_offset
	;; [unrolled: 1-line block ×7, first 2 shown]
	s_wait_xcnt 0x0
	s_add_nc_u64 s[8:9], s[4:5], s[2:3]
	s_wait_loadcnt 0x6
	v_dual_lshlrev_b32 v9, 16, v1 :: v_dual_lshlrev_b32 v10, 16, v2
	s_wait_loadcnt 0x4
	v_dual_lshlrev_b32 v11, 16, v3 :: v_dual_lshlrev_b32 v12, 16, v4
	s_wait_loadcnt 0x2
	v_dual_lshlrev_b32 v13, 16, v5 :: v_dual_lshlrev_b32 v14, 16, v6
	s_wait_loadcnt 0x1
	v_and_b32_e32 v15, 0xffff0000, v7
	s_wait_loadcnt 0x0
	v_dual_lshlrev_b32 v7, 16, v7 :: v_dual_lshlrev_b32 v16, 16, v8
	v_and_b32_e32 v8, 0xffff0000, v8
	v_and_b32_e32 v6, 0xffff0000, v6
	v_cmp_eq_f32_e32 vcc_lo, 0x7f800000, v15
	v_and_b32_e32 v5, 0xffff0000, v5
	v_and_b32_e32 v4, 0xffff0000, v4
	;; [unrolled: 1-line block ×4, first 2 shown]
	v_cndmask_b32_e64 v15, 0, 1, vcc_lo
	v_cmp_eq_f32_e32 vcc_lo, 0x7f800000, v7
	v_and_b32_e32 v1, 0xffff0000, v1
	s_delay_alu instid0(VALU_DEP_3) | instskip(SKIP_2) | instid1(VALU_DEP_2)
	v_lshlrev_b16 v15, 8, v15
	v_cndmask_b32_e64 v7, 0, 1, vcc_lo
	v_cmp_eq_f32_e32 vcc_lo, 0x7f800000, v8
	v_or_b32_e32 v7, v7, v15
	v_cndmask_b32_e64 v8, 0, 1, vcc_lo
	v_cmp_eq_f32_e32 vcc_lo, 0x7f800000, v16
	s_delay_alu instid0(VALU_DEP_2) | instskip(SKIP_2) | instid1(VALU_DEP_2)
	v_lshlrev_b16 v8, 8, v8
	v_cndmask_b32_e64 v16, 0, 1, vcc_lo
	v_cmp_eq_f32_e32 vcc_lo, 0x7f800000, v6
	v_or_b32_e32 v8, v16, v8
	v_cndmask_b32_e64 v6, 0, 1, vcc_lo
	v_cmp_eq_f32_e32 vcc_lo, 0x7f800000, v14
	s_delay_alu instid0(VALU_DEP_2) | instskip(SKIP_2) | instid1(VALU_DEP_2)
	;; [unrolled: 7-line block ×6, first 2 shown]
	v_lshlrev_b16 v2, 8, v2
	v_cndmask_b32_e64 v10, 0, 1, vcc_lo
	v_cmp_eq_f32_e32 vcc_lo, 0x7f800000, v1
	v_or_b32_e32 v2, v10, v2
	v_cndmask_b32_e64 v1, 0, 1, vcc_lo
	v_cmp_eq_f32_e32 vcc_lo, 0x7f800000, v9
	s_delay_alu instid0(VALU_DEP_2) | instskip(SKIP_1) | instid1(VALU_DEP_1)
	v_lshlrev_b16 v1, 8, v1
	v_cndmask_b32_e64 v9, 0, 1, vcc_lo
	v_or_b32_e32 v1, v9, v1
	s_clause 0x7
	global_store_b16 v0, v1, s[8:9] scale_offset
	global_store_b16 v0, v2, s[8:9] offset:512 scale_offset
	global_store_b16 v0, v3, s[8:9] offset:1024 scale_offset
	;; [unrolled: 1-line block ×7, first 2 shown]
.LBB59_2:
	s_and_not1_b32 vcc_lo, exec_lo, s0
	s_cbranch_vccnz .LBB59_52
; %bb.3:
	v_cmp_gt_i32_e32 vcc_lo, s1, v0
	s_wait_xcnt 0x5
	v_dual_mov_b32 v3, v0 :: v_dual_bitop2_b32 v1, s2, v0 bitop3:0x54
	v_or_b32_e32 v2, 0x100, v0
	s_mov_b32 s3, 0
	s_wait_xcnt 0x0
	s_mov_b32 s9, 0
	s_and_saveexec_b32 s8, vcc_lo
	s_cbranch_execz .LBB59_5
; %bb.4:
	global_load_u16 v3, v1, s[6:7] scale_offset
	s_wait_loadcnt 0x0
	v_lshlrev_b32_e32 v3, 16, v3
	s_delay_alu instid0(VALU_DEP_1)
	v_cmp_eq_f32_e64 s0, 0x7f800000, v3
	v_or_b32_e32 v3, 0x100, v0
	s_and_b32 s9, s0, exec_lo
.LBB59_5:
	s_wait_xcnt 0x0
	s_or_b32 exec_lo, exec_lo, s8
	s_delay_alu instid0(SALU_CYCLE_1)
	s_mov_b32 s8, exec_lo
	v_cmpx_gt_i32_e64 s1, v3
	s_cbranch_execz .LBB59_7
; %bb.6:
	v_add_nc_u32_e32 v4, s2, v3
	v_add_nc_u32_e32 v3, 0x100, v3
	global_load_u16 v4, v4, s[6:7] scale_offset
	s_wait_loadcnt 0x0
	v_lshlrev_b32_e32 v4, 16, v4
	s_delay_alu instid0(VALU_DEP_1)
	v_cmp_eq_f32_e64 s0, 0x7f800000, v4
	s_and_b32 s3, s0, exec_lo
.LBB59_7:
	s_or_b32 exec_lo, exec_lo, s8
	s_mov_b32 s10, 0
	s_mov_b32 s11, 0
	s_mov_b32 s8, exec_lo
	v_cmpx_gt_i32_e64 s1, v3
	s_cbranch_execz .LBB59_9
; %bb.8:
	v_add_nc_u32_e32 v4, s2, v3
	v_add_nc_u32_e32 v3, 0x100, v3
	global_load_u16 v4, v4, s[6:7] scale_offset
	s_wait_loadcnt 0x0
	v_lshlrev_b32_e32 v4, 16, v4
	s_delay_alu instid0(VALU_DEP_1)
	v_cmp_eq_f32_e64 s0, 0x7f800000, v4
	s_and_b32 s11, s0, exec_lo
.LBB59_9:
	s_or_b32 exec_lo, exec_lo, s8
	s_delay_alu instid0(SALU_CYCLE_1)
	s_mov_b32 s8, exec_lo
	v_cmpx_gt_i32_e64 s1, v3
	s_cbranch_execz .LBB59_11
; %bb.10:
	v_add_nc_u32_e32 v4, s2, v3
	v_add_nc_u32_e32 v3, 0x100, v3
	global_load_u16 v4, v4, s[6:7] scale_offset
	s_wait_loadcnt 0x0
	v_lshlrev_b32_e32 v4, 16, v4
	s_delay_alu instid0(VALU_DEP_1)
	v_cmp_eq_f32_e64 s0, 0x7f800000, v4
	s_and_b32 s10, s0, exec_lo
.LBB59_11:
	s_or_b32 exec_lo, exec_lo, s8
	s_mov_b32 s12, 0
	s_mov_b32 s14, 0
	s_mov_b32 s8, exec_lo
	v_cmpx_gt_i32_e64 s1, v3
	s_cbranch_execz .LBB59_13
; %bb.12:
	v_add_nc_u32_e32 v4, s2, v3
	v_add_nc_u32_e32 v3, 0x100, v3
	global_load_u16 v4, v4, s[6:7] scale_offset
	s_wait_loadcnt 0x0
	v_lshlrev_b32_e32 v4, 16, v4
	s_delay_alu instid0(VALU_DEP_1)
	v_cmp_eq_f32_e64 s0, 0x7f800000, v4
	s_and_b32 s14, s0, exec_lo
.LBB59_13:
	;; [unrolled: 31-line block ×7, first 2 shown]
	s_or_b32 exec_lo, exec_lo, s23
	s_delay_alu instid0(SALU_CYCLE_1)
	s_mov_b32 s23, exec_lo
	v_cmpx_gt_i32_e64 s1, v3
	s_cbranch_execz .LBB59_35
; %bb.34:
	v_add_nc_u32_e32 v3, s2, v3
	global_load_u16 v3, v3, s[6:7] scale_offset
	s_wait_loadcnt 0x0
	v_lshlrev_b32_e32 v3, 16, v3
	s_delay_alu instid0(VALU_DEP_1)
	v_cmp_eq_f32_e64 s0, 0x7f800000, v3
	s_and_b32 s19, s0, exec_lo
.LBB59_35:
	s_or_b32 exec_lo, exec_lo, s23
	v_cndmask_b32_e64 v5, 0, 1, s14
	v_cndmask_b32_e64 v3, 0, 1, s9
	;; [unrolled: 1-line block ×3, first 2 shown]
	v_or_b32_e32 v10, 0x400, v0
	v_cndmask_b32_e64 v9, 0, 1, s12
	v_bitop3_b16 v5, v5, 0, 0xff00 bitop3:0xf8
	v_or_b32_e32 v6, 0x200, v0
	v_lshlrev_b16 v4, 8, v4
	v_cmp_gt_i32_e64 s0, s1, v10
	v_lshlrev_b16 v9, 8, v9
	v_and_b32_e32 v5, 0xffff, v5
	v_cndmask_b32_e32 v3, 0, v3, vcc_lo
	v_cndmask_b32_e64 v7, 0, 1, s11
	v_or_b32_e32 v10, 0xc00, v0
	v_or_b32_e32 v11, 0x500, v0
	s_delay_alu instid0(VALU_DEP_4) | instskip(SKIP_3) | instid1(VALU_DEP_4)
	v_dual_cndmask_b32 v5, 0, v5, s0 :: v_dual_bitop2_b32 v4, v3, v4 bitop3:0x54
	v_cmp_gt_i32_e64 s0, s1, v2
	v_cndmask_b32_e64 v12, 0, 1, s21
	v_cndmask_b32_e64 v8, 0, 1, s10
	v_bitop3_b16 v9, v5, v9, 0xff bitop3:0xec
	v_and_b32_e32 v4, 0xffff, v4
	v_cndmask_b32_e64 v13, 0, 1, s20
	v_cndmask_b32_e64 v14, 0, 1, s18
	v_lshlrev_b16 v8, 8, v8
	v_and_b32_e32 v9, 0xffff, v9
	v_cndmask_b32_e64 v3, v3, v4, s0
	v_cmp_gt_i32_e64 s0, s1, v6
	v_cndmask_b32_e64 v4, 0, 1, s17
	s_delay_alu instid0(VALU_DEP_3) | instskip(NEXT) | instid1(VALU_DEP_1)
	v_lshl_or_b32 v7, v7, 16, v3
	v_cndmask_b32_e64 v3, v3, v7, s0
	v_cmp_gt_i32_e64 s0, s1, v10
	v_lshlrev_b16 v7, 8, v13
	v_or_b32_e32 v10, 0x800, v0
	v_or_b32_e32 v13, 0xd00, v0
	s_delay_alu instid0(VALU_DEP_4) | instskip(SKIP_2) | instid1(VALU_DEP_2)
	v_cndmask_b32_e64 v6, 0, v12, s0
	v_cmp_gt_i32_e64 s0, s1, v11
	v_cndmask_b32_e64 v11, 0, 1, s15
	v_dual_cndmask_b32 v5, v5, v9, s0 :: v_dual_lshrrev_b32 v9, 16, v3
	s_delay_alu instid0(VALU_DEP_4) | instskip(SKIP_1) | instid1(VALU_DEP_3)
	v_bitop3_b16 v7, v6, v7, 0xff bitop3:0xec
	v_cmp_gt_i32_e64 s0, s1, v10
	v_bitop3_b16 v8, v9, v8, 0xff bitop3:0xec
	s_delay_alu instid0(VALU_DEP_4) | instskip(NEXT) | instid1(VALU_DEP_4)
	v_lshrrev_b32_e32 v12, 16, v5
	v_and_b32_e32 v7, 0xffff, v7
	v_cndmask_b32_e64 v9, 0, 1, s13
	s_delay_alu instid0(VALU_DEP_4) | instskip(NEXT) | instid1(VALU_DEP_4)
	v_lshlrev_b32_e32 v8, 16, v8
	v_bitop3_b16 v4, v4, v12, 0xff00 bitop3:0xf8
	v_cndmask_b32_e64 v10, 0, v11, s0
	v_cmp_gt_i32_e64 s0, s1, v13
	v_lshlrev_b16 v9, 8, v9
	v_or_b32_e32 v11, 0x900, v0
	v_lshlrev_b32_e32 v4, 16, v4
	v_cndmask_b32_e64 v13, 0, 1, s22
	v_and_or_b32 v8, 0xffff, v3, v8
	s_delay_alu instid0(VALU_DEP_3) | instskip(SKIP_2) | instid1(VALU_DEP_1)
	v_and_or_b32 v4, 0xffff, v5, v4
	v_cndmask_b32_e64 v6, v6, v7, s0
	v_or_b32_e32 v7, 0x600, v0
	v_cmp_gt_i32_e64 s0, s1, v7
	s_delay_alu instid0(VALU_DEP_1) | instskip(NEXT) | instid1(VALU_DEP_4)
	v_dual_cndmask_b32 v4, v5, v4, s0 :: v_dual_bitop2_b32 v9, v10, v9 bitop3:0x54
	v_lshrrev_b32_e32 v12, 16, v6
	v_cmp_gt_i32_e64 s0, s1, v11
	s_delay_alu instid0(VALU_DEP_3) | instskip(NEXT) | instid1(VALU_DEP_3)
	v_and_b32_e32 v9, 0xffff, v9
	v_bitop3_b16 v5, v13, v12, 0xff00 bitop3:0xf8
	v_or_b32_e32 v12, 0xa00, v0
	v_lshrrev_b32_e32 v11, 16, v4
	v_or_b32_e32 v13, 0xe00, v0
	v_dual_cndmask_b32 v7, v10, v9, s0 :: v_dual_lshlrev_b32 v9, 16, v14
	v_lshlrev_b32_e32 v5, 16, v5
	v_cmp_gt_i32_e64 s0, s1, v12
	v_cndmask_b32_e64 v10, 0, 1, s8
	s_delay_alu instid0(VALU_DEP_4) | instskip(NEXT) | instid1(VALU_DEP_4)
	v_and_or_b32 v9, 0x1ff, v7, v9
	v_and_or_b32 v5, 0xffff, v6, v5
	s_delay_alu instid0(VALU_DEP_3) | instskip(NEXT) | instid1(VALU_DEP_3)
	v_lshlrev_b16 v10, 8, v10
	v_cndmask_b32_e64 v7, v7, v9, s0
	v_cmp_gt_i32_e64 s0, s1, v13
	v_cndmask_b32_e64 v9, 0, 1, s16
	v_or_b32_e32 v13, 0x300, v0
	s_delay_alu instid0(VALU_DEP_3)
	v_cndmask_b32_e64 v12, v6, v5, s0
	v_cndmask_b32_e64 v5, 0, 1, s19
	v_bitop3_b16 v6, v11, v10, 0xff bitop3:0xec
	v_lshlrev_b16 v9, 8, v9
	v_cmp_gt_i32_e64 s0, s1, v13
	v_dual_lshrrev_b32 v11, 16, v12 :: v_dual_lshrrev_b32 v10, 16, v7
	v_lshlrev_b16 v5, 8, v5
	s_delay_alu instid0(VALU_DEP_2) | instskip(NEXT) | instid1(VALU_DEP_4)
	v_bitop3_b16 v9, v10, v9, 0xff bitop3:0xec
	v_dual_lshlrev_b32 v10, 16, v6 :: v_dual_cndmask_b32 v6, v3, v8, s0
	s_delay_alu instid0(VALU_DEP_3) | instskip(SKIP_2) | instid1(VALU_DEP_3)
	v_bitop3_b16 v5, v11, v5, 0xff bitop3:0xec
	v_or_b32_e32 v8, 0x700, v0
	v_or_b32_e32 v11, 0xf00, v0
	v_lshlrev_b32_e32 v5, 16, v5
	s_delay_alu instid0(VALU_DEP_3) | instskip(SKIP_4) | instid1(VALU_DEP_3)
	v_cmp_gt_i32_e64 s0, s1, v8
	v_lshlrev_b32_e32 v3, 16, v9
	v_and_or_b32 v9, 0xffff, v4, v10
	v_or_b32_e32 v10, 0xb00, v0
	v_and_or_b32 v13, 0xffff, v12, v5
	v_cndmask_b32_e64 v5, v4, v9, s0
	v_and_or_b32 v3, 0xffff, v7, v3
	s_delay_alu instid0(VALU_DEP_4) | instskip(NEXT) | instid1(VALU_DEP_1)
	v_cmp_gt_i32_e64 s0, s1, v10
	v_cndmask_b32_e64 v4, v7, v3, s0
	v_cmp_gt_i32_e64 s0, s1, v11
	s_delay_alu instid0(VALU_DEP_1)
	v_cndmask_b32_e64 v3, v12, v13, s0
	s_and_saveexec_b32 s0, vcc_lo
	s_cbranch_execnz .LBB59_53
; %bb.36:
	s_or_b32 exec_lo, exec_lo, s0
	s_delay_alu instid0(SALU_CYCLE_1)
	s_mov_b32 s0, exec_lo
	v_cmpx_gt_i32_e64 s1, v0
	s_cbranch_execnz .LBB59_54
.LBB59_37:
	s_or_b32 exec_lo, exec_lo, s0
	s_delay_alu instid0(SALU_CYCLE_1)
	s_mov_b32 s0, exec_lo
	v_cmpx_gt_i32_e64 s1, v0
	s_cbranch_execnz .LBB59_55
.LBB59_38:
	s_or_b32 exec_lo, exec_lo, s0
	s_delay_alu instid0(SALU_CYCLE_1)
	s_mov_b32 s0, exec_lo
	v_cmpx_gt_i32_e64 s1, v0
	s_cbranch_execnz .LBB59_56
.LBB59_39:
	s_or_b32 exec_lo, exec_lo, s0
	s_delay_alu instid0(SALU_CYCLE_1)
	s_mov_b32 s0, exec_lo
	v_cmpx_gt_i32_e64 s1, v0
	s_cbranch_execnz .LBB59_57
.LBB59_40:
	s_or_b32 exec_lo, exec_lo, s0
	s_delay_alu instid0(SALU_CYCLE_1)
	s_mov_b32 s0, exec_lo
	v_cmpx_gt_i32_e64 s1, v0
	s_cbranch_execnz .LBB59_58
.LBB59_41:
	s_or_b32 exec_lo, exec_lo, s0
	s_delay_alu instid0(SALU_CYCLE_1)
	s_mov_b32 s0, exec_lo
	v_cmpx_gt_i32_e64 s1, v0
	s_cbranch_execnz .LBB59_59
.LBB59_42:
	s_or_b32 exec_lo, exec_lo, s0
	s_delay_alu instid0(SALU_CYCLE_1)
	s_mov_b32 s0, exec_lo
	v_cmpx_gt_i32_e64 s1, v0
	s_cbranch_execnz .LBB59_60
.LBB59_43:
	s_or_b32 exec_lo, exec_lo, s0
	s_delay_alu instid0(SALU_CYCLE_1)
	s_mov_b32 s0, exec_lo
	v_cmpx_gt_i32_e64 s1, v0
	s_cbranch_execnz .LBB59_61
.LBB59_44:
	s_or_b32 exec_lo, exec_lo, s0
	s_delay_alu instid0(SALU_CYCLE_1)
	s_mov_b32 s0, exec_lo
	v_cmpx_gt_i32_e64 s1, v0
	s_cbranch_execnz .LBB59_62
.LBB59_45:
	s_or_b32 exec_lo, exec_lo, s0
	s_delay_alu instid0(SALU_CYCLE_1)
	s_mov_b32 s0, exec_lo
	v_cmpx_gt_i32_e64 s1, v0
	s_cbranch_execnz .LBB59_63
.LBB59_46:
	s_or_b32 exec_lo, exec_lo, s0
	s_delay_alu instid0(SALU_CYCLE_1)
	s_mov_b32 s0, exec_lo
	v_cmpx_gt_i32_e64 s1, v0
	s_cbranch_execnz .LBB59_64
.LBB59_47:
	s_or_b32 exec_lo, exec_lo, s0
	s_delay_alu instid0(SALU_CYCLE_1)
	s_mov_b32 s0, exec_lo
	v_cmpx_gt_i32_e64 s1, v0
	s_cbranch_execnz .LBB59_65
.LBB59_48:
	s_or_b32 exec_lo, exec_lo, s0
	s_delay_alu instid0(SALU_CYCLE_1)
	s_mov_b32 s0, exec_lo
	v_cmpx_gt_i32_e64 s1, v0
	s_cbranch_execnz .LBB59_66
.LBB59_49:
	s_or_b32 exec_lo, exec_lo, s0
	s_delay_alu instid0(SALU_CYCLE_1)
	s_mov_b32 s0, exec_lo
	v_cmpx_gt_i32_e64 s1, v0
	s_cbranch_execnz .LBB59_67
.LBB59_50:
	s_or_b32 exec_lo, exec_lo, s0
	s_delay_alu instid0(SALU_CYCLE_1)
	s_mov_b32 s0, exec_lo
	v_cmpx_gt_i32_e64 s1, v0
	s_cbranch_execz .LBB59_52
.LBB59_51:
	v_dual_lshrrev_b32 v1, 24, v3 :: v_dual_add_nc_u32 v0, s2, v0
	global_store_b8 v0, v1, s[4:5]
.LBB59_52:
	s_endpgm
.LBB59_53:
	v_mov_b32_e32 v0, v2
	global_store_b8 v1, v6, s[4:5]
	s_wait_xcnt 0x0
	s_or_b32 exec_lo, exec_lo, s0
	s_delay_alu instid0(SALU_CYCLE_1)
	s_mov_b32 s0, exec_lo
	v_cmpx_gt_i32_e64 s1, v0
	s_cbranch_execz .LBB59_37
.LBB59_54:
	v_dual_lshrrev_b32 v1, 8, v6 :: v_dual_add_nc_u32 v2, s2, v0
	v_add_nc_u32_e32 v0, 0x100, v0
	global_store_b8 v2, v1, s[4:5]
	s_wait_xcnt 0x0
	s_or_b32 exec_lo, exec_lo, s0
	s_delay_alu instid0(SALU_CYCLE_1)
	s_mov_b32 s0, exec_lo
	v_cmpx_gt_i32_e64 s1, v0
	s_cbranch_execz .LBB59_38
.LBB59_55:
	v_add_nc_u32_e32 v1, s2, v0
	v_add_nc_u32_e32 v0, 0x100, v0
	global_store_d16_hi_b8 v1, v6, s[4:5]
	s_wait_xcnt 0x0
	s_or_b32 exec_lo, exec_lo, s0
	s_delay_alu instid0(SALU_CYCLE_1)
	s_mov_b32 s0, exec_lo
	v_cmpx_gt_i32_e64 s1, v0
	s_cbranch_execz .LBB59_39
.LBB59_56:
	v_dual_lshrrev_b32 v1, 24, v6 :: v_dual_add_nc_u32 v2, s2, v0
	v_add_nc_u32_e32 v0, 0x100, v0
	global_store_b8 v2, v1, s[4:5]
	s_wait_xcnt 0x0
	s_or_b32 exec_lo, exec_lo, s0
	s_delay_alu instid0(SALU_CYCLE_1)
	s_mov_b32 s0, exec_lo
	v_cmpx_gt_i32_e64 s1, v0
	s_cbranch_execz .LBB59_40
.LBB59_57:
	v_add_nc_u32_e32 v1, s2, v0
	v_add_nc_u32_e32 v0, 0x100, v0
	global_store_b8 v1, v5, s[4:5]
	s_wait_xcnt 0x0
	s_or_b32 exec_lo, exec_lo, s0
	s_delay_alu instid0(SALU_CYCLE_1)
	s_mov_b32 s0, exec_lo
	v_cmpx_gt_i32_e64 s1, v0
	s_cbranch_execz .LBB59_41
.LBB59_58:
	v_dual_lshrrev_b32 v1, 8, v5 :: v_dual_add_nc_u32 v2, s2, v0
	v_add_nc_u32_e32 v0, 0x100, v0
	global_store_b8 v2, v1, s[4:5]
	s_wait_xcnt 0x0
	s_or_b32 exec_lo, exec_lo, s0
	s_delay_alu instid0(SALU_CYCLE_1)
	s_mov_b32 s0, exec_lo
	v_cmpx_gt_i32_e64 s1, v0
	s_cbranch_execz .LBB59_42
.LBB59_59:
	v_add_nc_u32_e32 v1, s2, v0
	v_add_nc_u32_e32 v0, 0x100, v0
	global_store_d16_hi_b8 v1, v5, s[4:5]
	s_wait_xcnt 0x0
	s_or_b32 exec_lo, exec_lo, s0
	s_delay_alu instid0(SALU_CYCLE_1)
	s_mov_b32 s0, exec_lo
	v_cmpx_gt_i32_e64 s1, v0
	s_cbranch_execz .LBB59_43
.LBB59_60:
	v_dual_lshrrev_b32 v1, 24, v5 :: v_dual_add_nc_u32 v2, s2, v0
	v_add_nc_u32_e32 v0, 0x100, v0
	global_store_b8 v2, v1, s[4:5]
	s_wait_xcnt 0x0
	s_or_b32 exec_lo, exec_lo, s0
	s_delay_alu instid0(SALU_CYCLE_1)
	s_mov_b32 s0, exec_lo
	v_cmpx_gt_i32_e64 s1, v0
	s_cbranch_execz .LBB59_44
.LBB59_61:
	v_add_nc_u32_e32 v1, s2, v0
	v_add_nc_u32_e32 v0, 0x100, v0
	global_store_b8 v1, v4, s[4:5]
	s_wait_xcnt 0x0
	s_or_b32 exec_lo, exec_lo, s0
	s_delay_alu instid0(SALU_CYCLE_1)
	s_mov_b32 s0, exec_lo
	v_cmpx_gt_i32_e64 s1, v0
	s_cbranch_execz .LBB59_45
.LBB59_62:
	v_lshrrev_b32_e32 v1, 8, v4
	v_add_nc_u32_e32 v2, s2, v0
	v_add_nc_u32_e32 v0, 0x100, v0
	global_store_b8 v2, v1, s[4:5]
	s_wait_xcnt 0x0
	s_or_b32 exec_lo, exec_lo, s0
	s_delay_alu instid0(SALU_CYCLE_1)
	s_mov_b32 s0, exec_lo
	v_cmpx_gt_i32_e64 s1, v0
	s_cbranch_execz .LBB59_46
.LBB59_63:
	v_add_nc_u32_e32 v1, s2, v0
	v_add_nc_u32_e32 v0, 0x100, v0
	global_store_d16_hi_b8 v1, v4, s[4:5]
	s_wait_xcnt 0x0
	s_or_b32 exec_lo, exec_lo, s0
	s_delay_alu instid0(SALU_CYCLE_1)
	s_mov_b32 s0, exec_lo
	v_cmpx_gt_i32_e64 s1, v0
	s_cbranch_execz .LBB59_47
.LBB59_64:
	v_lshrrev_b32_e32 v1, 24, v4
	v_add_nc_u32_e32 v2, s2, v0
	v_add_nc_u32_e32 v0, 0x100, v0
	global_store_b8 v2, v1, s[4:5]
	s_wait_xcnt 0x0
	s_or_b32 exec_lo, exec_lo, s0
	s_delay_alu instid0(SALU_CYCLE_1)
	s_mov_b32 s0, exec_lo
	v_cmpx_gt_i32_e64 s1, v0
	s_cbranch_execz .LBB59_48
.LBB59_65:
	v_add_nc_u32_e32 v1, s2, v0
	v_add_nc_u32_e32 v0, 0x100, v0
	global_store_b8 v1, v3, s[4:5]
	s_wait_xcnt 0x0
	s_or_b32 exec_lo, exec_lo, s0
	s_delay_alu instid0(SALU_CYCLE_1)
	s_mov_b32 s0, exec_lo
	v_cmpx_gt_i32_e64 s1, v0
	s_cbranch_execz .LBB59_49
.LBB59_66:
	v_dual_lshrrev_b32 v1, 8, v3 :: v_dual_add_nc_u32 v2, s2, v0
	v_add_nc_u32_e32 v0, 0x100, v0
	global_store_b8 v2, v1, s[4:5]
	s_wait_xcnt 0x0
	s_or_b32 exec_lo, exec_lo, s0
	s_delay_alu instid0(SALU_CYCLE_1)
	s_mov_b32 s0, exec_lo
	v_cmpx_gt_i32_e64 s1, v0
	s_cbranch_execz .LBB59_50
.LBB59_67:
	v_add_nc_u32_e32 v1, s2, v0
	v_add_nc_u32_e32 v0, 0x100, v0
	global_store_d16_hi_b8 v1, v3, s[4:5]
	s_wait_xcnt 0x0
	s_or_b32 exec_lo, exec_lo, s0
	s_delay_alu instid0(SALU_CYCLE_1)
	s_mov_b32 s0, exec_lo
	v_cmpx_gt_i32_e64 s1, v0
	s_cbranch_execnz .LBB59_51
	s_branch .LBB59_52
	.section	.rodata,"a",@progbits
	.p2align	6, 0x0
	.amdhsa_kernel _ZN2at6native29vectorized_elementwise_kernelILi2EZZZNS0_12_GLOBAL__N_120isposinf_kernel_implERNS_18TensorIteratorBaseEENKUlvE_clEvENKUlvE2_clEvEUlN3c108BFloat16EE_St5arrayIPcLm2EEEEviT0_T1_
		.amdhsa_group_segment_fixed_size 0
		.amdhsa_private_segment_fixed_size 0
		.amdhsa_kernarg_size 24
		.amdhsa_user_sgpr_count 2
		.amdhsa_user_sgpr_dispatch_ptr 0
		.amdhsa_user_sgpr_queue_ptr 0
		.amdhsa_user_sgpr_kernarg_segment_ptr 1
		.amdhsa_user_sgpr_dispatch_id 0
		.amdhsa_user_sgpr_kernarg_preload_length 0
		.amdhsa_user_sgpr_kernarg_preload_offset 0
		.amdhsa_user_sgpr_private_segment_size 0
		.amdhsa_wavefront_size32 1
		.amdhsa_uses_dynamic_stack 0
		.amdhsa_enable_private_segment 0
		.amdhsa_system_sgpr_workgroup_id_x 1
		.amdhsa_system_sgpr_workgroup_id_y 0
		.amdhsa_system_sgpr_workgroup_id_z 0
		.amdhsa_system_sgpr_workgroup_info 0
		.amdhsa_system_vgpr_workitem_id 0
		.amdhsa_next_free_vgpr 17
		.amdhsa_next_free_sgpr 24
		.amdhsa_named_barrier_count 0
		.amdhsa_reserve_vcc 1
		.amdhsa_float_round_mode_32 0
		.amdhsa_float_round_mode_16_64 0
		.amdhsa_float_denorm_mode_32 3
		.amdhsa_float_denorm_mode_16_64 3
		.amdhsa_fp16_overflow 0
		.amdhsa_memory_ordered 1
		.amdhsa_forward_progress 1
		.amdhsa_inst_pref_size 34
		.amdhsa_round_robin_scheduling 0
		.amdhsa_exception_fp_ieee_invalid_op 0
		.amdhsa_exception_fp_denorm_src 0
		.amdhsa_exception_fp_ieee_div_zero 0
		.amdhsa_exception_fp_ieee_overflow 0
		.amdhsa_exception_fp_ieee_underflow 0
		.amdhsa_exception_fp_ieee_inexact 0
		.amdhsa_exception_int_div_zero 0
	.end_amdhsa_kernel
	.section	.text._ZN2at6native29vectorized_elementwise_kernelILi2EZZZNS0_12_GLOBAL__N_120isposinf_kernel_implERNS_18TensorIteratorBaseEENKUlvE_clEvENKUlvE2_clEvEUlN3c108BFloat16EE_St5arrayIPcLm2EEEEviT0_T1_,"axG",@progbits,_ZN2at6native29vectorized_elementwise_kernelILi2EZZZNS0_12_GLOBAL__N_120isposinf_kernel_implERNS_18TensorIteratorBaseEENKUlvE_clEvENKUlvE2_clEvEUlN3c108BFloat16EE_St5arrayIPcLm2EEEEviT0_T1_,comdat
.Lfunc_end59:
	.size	_ZN2at6native29vectorized_elementwise_kernelILi2EZZZNS0_12_GLOBAL__N_120isposinf_kernel_implERNS_18TensorIteratorBaseEENKUlvE_clEvENKUlvE2_clEvEUlN3c108BFloat16EE_St5arrayIPcLm2EEEEviT0_T1_, .Lfunc_end59-_ZN2at6native29vectorized_elementwise_kernelILi2EZZZNS0_12_GLOBAL__N_120isposinf_kernel_implERNS_18TensorIteratorBaseEENKUlvE_clEvENKUlvE2_clEvEUlN3c108BFloat16EE_St5arrayIPcLm2EEEEviT0_T1_
                                        ; -- End function
	.set _ZN2at6native29vectorized_elementwise_kernelILi2EZZZNS0_12_GLOBAL__N_120isposinf_kernel_implERNS_18TensorIteratorBaseEENKUlvE_clEvENKUlvE2_clEvEUlN3c108BFloat16EE_St5arrayIPcLm2EEEEviT0_T1_.num_vgpr, 17
	.set _ZN2at6native29vectorized_elementwise_kernelILi2EZZZNS0_12_GLOBAL__N_120isposinf_kernel_implERNS_18TensorIteratorBaseEENKUlvE_clEvENKUlvE2_clEvEUlN3c108BFloat16EE_St5arrayIPcLm2EEEEviT0_T1_.num_agpr, 0
	.set _ZN2at6native29vectorized_elementwise_kernelILi2EZZZNS0_12_GLOBAL__N_120isposinf_kernel_implERNS_18TensorIteratorBaseEENKUlvE_clEvENKUlvE2_clEvEUlN3c108BFloat16EE_St5arrayIPcLm2EEEEviT0_T1_.numbered_sgpr, 24
	.set _ZN2at6native29vectorized_elementwise_kernelILi2EZZZNS0_12_GLOBAL__N_120isposinf_kernel_implERNS_18TensorIteratorBaseEENKUlvE_clEvENKUlvE2_clEvEUlN3c108BFloat16EE_St5arrayIPcLm2EEEEviT0_T1_.num_named_barrier, 0
	.set _ZN2at6native29vectorized_elementwise_kernelILi2EZZZNS0_12_GLOBAL__N_120isposinf_kernel_implERNS_18TensorIteratorBaseEENKUlvE_clEvENKUlvE2_clEvEUlN3c108BFloat16EE_St5arrayIPcLm2EEEEviT0_T1_.private_seg_size, 0
	.set _ZN2at6native29vectorized_elementwise_kernelILi2EZZZNS0_12_GLOBAL__N_120isposinf_kernel_implERNS_18TensorIteratorBaseEENKUlvE_clEvENKUlvE2_clEvEUlN3c108BFloat16EE_St5arrayIPcLm2EEEEviT0_T1_.uses_vcc, 1
	.set _ZN2at6native29vectorized_elementwise_kernelILi2EZZZNS0_12_GLOBAL__N_120isposinf_kernel_implERNS_18TensorIteratorBaseEENKUlvE_clEvENKUlvE2_clEvEUlN3c108BFloat16EE_St5arrayIPcLm2EEEEviT0_T1_.uses_flat_scratch, 0
	.set _ZN2at6native29vectorized_elementwise_kernelILi2EZZZNS0_12_GLOBAL__N_120isposinf_kernel_implERNS_18TensorIteratorBaseEENKUlvE_clEvENKUlvE2_clEvEUlN3c108BFloat16EE_St5arrayIPcLm2EEEEviT0_T1_.has_dyn_sized_stack, 0
	.set _ZN2at6native29vectorized_elementwise_kernelILi2EZZZNS0_12_GLOBAL__N_120isposinf_kernel_implERNS_18TensorIteratorBaseEENKUlvE_clEvENKUlvE2_clEvEUlN3c108BFloat16EE_St5arrayIPcLm2EEEEviT0_T1_.has_recursion, 0
	.set _ZN2at6native29vectorized_elementwise_kernelILi2EZZZNS0_12_GLOBAL__N_120isposinf_kernel_implERNS_18TensorIteratorBaseEENKUlvE_clEvENKUlvE2_clEvEUlN3c108BFloat16EE_St5arrayIPcLm2EEEEviT0_T1_.has_indirect_call, 0
	.section	.AMDGPU.csdata,"",@progbits
; Kernel info:
; codeLenInByte = 4252
; TotalNumSgprs: 26
; NumVgprs: 17
; ScratchSize: 0
; MemoryBound: 0
; FloatMode: 240
; IeeeMode: 1
; LDSByteSize: 0 bytes/workgroup (compile time only)
; SGPRBlocks: 0
; VGPRBlocks: 1
; NumSGPRsForWavesPerEU: 26
; NumVGPRsForWavesPerEU: 17
; NamedBarCnt: 0
; Occupancy: 16
; WaveLimiterHint : 1
; COMPUTE_PGM_RSRC2:SCRATCH_EN: 0
; COMPUTE_PGM_RSRC2:USER_SGPR: 2
; COMPUTE_PGM_RSRC2:TRAP_HANDLER: 0
; COMPUTE_PGM_RSRC2:TGID_X_EN: 1
; COMPUTE_PGM_RSRC2:TGID_Y_EN: 0
; COMPUTE_PGM_RSRC2:TGID_Z_EN: 0
; COMPUTE_PGM_RSRC2:TIDIG_COMP_CNT: 0
	.section	.text._ZN2at6native27unrolled_elementwise_kernelIZZZNS0_12_GLOBAL__N_120isposinf_kernel_implERNS_18TensorIteratorBaseEENKUlvE_clEvENKUlvE2_clEvEUlN3c108BFloat16EE_St5arrayIPcLm2EELi4E23TrivialOffsetCalculatorILi1EjESE_NS0_6memory15LoadWithoutCastENSF_16StoreWithoutCastEEEviT_T0_T2_T3_T4_T5_,"axG",@progbits,_ZN2at6native27unrolled_elementwise_kernelIZZZNS0_12_GLOBAL__N_120isposinf_kernel_implERNS_18TensorIteratorBaseEENKUlvE_clEvENKUlvE2_clEvEUlN3c108BFloat16EE_St5arrayIPcLm2EELi4E23TrivialOffsetCalculatorILi1EjESE_NS0_6memory15LoadWithoutCastENSF_16StoreWithoutCastEEEviT_T0_T2_T3_T4_T5_,comdat
	.globl	_ZN2at6native27unrolled_elementwise_kernelIZZZNS0_12_GLOBAL__N_120isposinf_kernel_implERNS_18TensorIteratorBaseEENKUlvE_clEvENKUlvE2_clEvEUlN3c108BFloat16EE_St5arrayIPcLm2EELi4E23TrivialOffsetCalculatorILi1EjESE_NS0_6memory15LoadWithoutCastENSF_16StoreWithoutCastEEEviT_T0_T2_T3_T4_T5_ ; -- Begin function _ZN2at6native27unrolled_elementwise_kernelIZZZNS0_12_GLOBAL__N_120isposinf_kernel_implERNS_18TensorIteratorBaseEENKUlvE_clEvENKUlvE2_clEvEUlN3c108BFloat16EE_St5arrayIPcLm2EELi4E23TrivialOffsetCalculatorILi1EjESE_NS0_6memory15LoadWithoutCastENSF_16StoreWithoutCastEEEviT_T0_T2_T3_T4_T5_
	.p2align	8
	.type	_ZN2at6native27unrolled_elementwise_kernelIZZZNS0_12_GLOBAL__N_120isposinf_kernel_implERNS_18TensorIteratorBaseEENKUlvE_clEvENKUlvE2_clEvEUlN3c108BFloat16EE_St5arrayIPcLm2EELi4E23TrivialOffsetCalculatorILi1EjESE_NS0_6memory15LoadWithoutCastENSF_16StoreWithoutCastEEEviT_T0_T2_T3_T4_T5_,@function
_ZN2at6native27unrolled_elementwise_kernelIZZZNS0_12_GLOBAL__N_120isposinf_kernel_implERNS_18TensorIteratorBaseEENKUlvE_clEvENKUlvE2_clEvEUlN3c108BFloat16EE_St5arrayIPcLm2EELi4E23TrivialOffsetCalculatorILi1EjESE_NS0_6memory15LoadWithoutCastENSF_16StoreWithoutCastEEEviT_T0_T2_T3_T4_T5_: ; @_ZN2at6native27unrolled_elementwise_kernelIZZZNS0_12_GLOBAL__N_120isposinf_kernel_implERNS_18TensorIteratorBaseEENKUlvE_clEvENKUlvE2_clEvEUlN3c108BFloat16EE_St5arrayIPcLm2EELi4E23TrivialOffsetCalculatorILi1EjESE_NS0_6memory15LoadWithoutCastENSF_16StoreWithoutCastEEEviT_T0_T2_T3_T4_T5_
; %bb.0:
	s_clause 0x1
	s_load_b32 s2, s[0:1], 0x0
	s_load_b128 s[4:7], s[0:1], 0x8
	s_bfe_u32 s3, ttmp6, 0x4000c
	s_wait_xcnt 0x0
	s_and_b32 s0, ttmp6, 15
	s_add_co_i32 s3, s3, 1
	v_or_b32_e32 v1, 0x100, v0
	s_mul_i32 s1, ttmp9, s3
	s_getreg_b32 s3, hwreg(HW_REG_IB_STS2, 6, 4)
	s_add_co_i32 s0, s0, s1
	s_cmp_eq_u32 s3, 0
	s_mov_b32 s3, 0
	s_cselect_b32 s0, ttmp9, s0
	s_mov_b32 s8, 0
	s_lshl_b32 s1, s0, 10
	s_delay_alu instid0(SALU_CYCLE_1) | instskip(SKIP_2) | instid1(SALU_CYCLE_1)
	v_dual_mov_b32 v3, v0 :: v_dual_bitop2_b32 v2, s1, v0 bitop3:0x54
	s_wait_kmcnt 0x0
	s_sub_co_i32 s2, s2, s1
	v_cmp_gt_i32_e32 vcc_lo, s2, v0
	s_and_saveexec_b32 s9, vcc_lo
	s_cbranch_execz .LBB60_2
; %bb.1:
	global_load_u16 v3, v2, s[6:7] scale_offset
	s_wait_loadcnt 0x0
	v_lshlrev_b32_e32 v3, 16, v3
	s_delay_alu instid0(VALU_DEP_1)
	v_cmp_eq_f32_e64 s0, 0x7f800000, v3
	v_or_b32_e32 v3, 0x100, v0
	s_and_b32 s8, s0, exec_lo
.LBB60_2:
	s_or_b32 exec_lo, exec_lo, s9
	s_delay_alu instid0(SALU_CYCLE_1) | instskip(NEXT) | instid1(VALU_DEP_1)
	s_mov_b32 s9, exec_lo
	v_cmpx_gt_i32_e64 s2, v3
	s_cbranch_execz .LBB60_4
; %bb.3:
	v_add_nc_u32_e32 v4, s1, v3
	v_add_nc_u32_e32 v3, 0x100, v3
	global_load_u16 v4, v4, s[6:7] scale_offset
	s_wait_loadcnt 0x0
	v_lshlrev_b32_e32 v4, 16, v4
	s_delay_alu instid0(VALU_DEP_1)
	v_cmp_eq_f32_e64 s0, 0x7f800000, v4
	s_and_b32 s3, s0, exec_lo
.LBB60_4:
	s_or_b32 exec_lo, exec_lo, s9
	s_mov_b32 s9, 0
	s_mov_b32 s10, 0
	s_mov_b32 s11, exec_lo
	v_cmpx_gt_i32_e64 s2, v3
	s_cbranch_execz .LBB60_6
; %bb.5:
	v_add_nc_u32_e32 v4, s1, v3
	v_add_nc_u32_e32 v3, 0x100, v3
	global_load_u16 v4, v4, s[6:7] scale_offset
	s_wait_loadcnt 0x0
	v_lshlrev_b32_e32 v4, 16, v4
	s_delay_alu instid0(VALU_DEP_1)
	v_cmp_eq_f32_e64 s0, 0x7f800000, v4
	s_and_b32 s10, s0, exec_lo
.LBB60_6:
	s_or_b32 exec_lo, exec_lo, s11
	s_delay_alu instid0(SALU_CYCLE_1)
	s_mov_b32 s11, exec_lo
	v_cmpx_gt_i32_e64 s2, v3
	s_cbranch_execz .LBB60_8
; %bb.7:
	v_add_nc_u32_e32 v3, s1, v3
	global_load_u16 v3, v3, s[6:7] scale_offset
	s_wait_loadcnt 0x0
	v_lshlrev_b32_e32 v3, 16, v3
	s_delay_alu instid0(VALU_DEP_1)
	v_cmp_eq_f32_e64 s0, 0x7f800000, v3
	s_and_b32 s9, s0, exec_lo
.LBB60_8:
	s_or_b32 exec_lo, exec_lo, s11
	v_cndmask_b32_e64 v3, 0, 1, s8
	v_cndmask_b32_e64 v4, 0, 1, s3
	;; [unrolled: 1-line block ×3, first 2 shown]
	v_cmp_gt_i32_e64 s0, s2, v1
	s_delay_alu instid0(VALU_DEP_4) | instskip(NEXT) | instid1(VALU_DEP_4)
	v_cndmask_b32_e32 v3, 0, v3, vcc_lo
	v_lshlrev_b16 v4, 8, v4
	s_delay_alu instid0(VALU_DEP_1) | instskip(NEXT) | instid1(VALU_DEP_1)
	v_dual_lshlrev_b32 v5, 16, v5 :: v_dual_bitop2_b32 v4, v3, v4 bitop3:0x54
	v_and_b32_e32 v4, 0xffff, v4
	s_delay_alu instid0(VALU_DEP_1) | instskip(SKIP_1) | instid1(VALU_DEP_2)
	v_cndmask_b32_e64 v3, v3, v4, s0
	v_or_b32_e32 v4, 0x200, v0
	v_or_b32_e32 v5, v3, v5
	s_delay_alu instid0(VALU_DEP_2) | instskip(SKIP_1) | instid1(VALU_DEP_2)
	v_cmp_gt_i32_e64 s0, s2, v4
	v_cndmask_b32_e64 v4, 0, 1, s9
	v_cndmask_b32_e64 v3, v3, v5, s0
	s_delay_alu instid0(VALU_DEP_2) | instskip(NEXT) | instid1(VALU_DEP_2)
	v_lshlrev_b16 v4, 8, v4
	v_lshrrev_b32_e32 v5, 16, v3
	s_delay_alu instid0(VALU_DEP_1) | instskip(SKIP_1) | instid1(VALU_DEP_2)
	v_bitop3_b16 v4, v5, v4, 0xff bitop3:0xec
	v_or_b32_e32 v5, 0x300, v0
	v_lshlrev_b32_e32 v4, 16, v4
	s_delay_alu instid0(VALU_DEP_2) | instskip(NEXT) | instid1(VALU_DEP_2)
	v_cmp_gt_i32_e64 s0, s2, v5
	v_and_or_b32 v4, 0xffff, v3, v4
	s_delay_alu instid0(VALU_DEP_1)
	v_cndmask_b32_e64 v3, v3, v4, s0
	s_and_saveexec_b32 s0, vcc_lo
	s_cbranch_execnz .LBB60_13
; %bb.9:
	s_or_b32 exec_lo, exec_lo, s0
	s_delay_alu instid0(SALU_CYCLE_1)
	s_mov_b32 s0, exec_lo
	v_cmpx_gt_i32_e64 s2, v0
	s_cbranch_execnz .LBB60_14
.LBB60_10:
	s_or_b32 exec_lo, exec_lo, s0
	s_delay_alu instid0(SALU_CYCLE_1)
	s_mov_b32 s0, exec_lo
	v_cmpx_gt_i32_e64 s2, v0
	s_cbranch_execnz .LBB60_15
.LBB60_11:
	s_or_b32 exec_lo, exec_lo, s0
	s_delay_alu instid0(SALU_CYCLE_1)
	s_mov_b32 s0, exec_lo
	v_cmpx_gt_i32_e64 s2, v0
	s_cbranch_execnz .LBB60_16
.LBB60_12:
	s_endpgm
.LBB60_13:
	v_mov_b32_e32 v0, v1
	global_store_b8 v2, v3, s[4:5]
	s_wait_xcnt 0x0
	s_or_b32 exec_lo, exec_lo, s0
	s_delay_alu instid0(SALU_CYCLE_1)
	s_mov_b32 s0, exec_lo
	v_cmpx_gt_i32_e64 s2, v0
	s_cbranch_execz .LBB60_10
.LBB60_14:
	v_add_nc_u32_e32 v1, 0x100, v0
	v_dual_add_nc_u32 v2, s1, v0 :: v_dual_lshrrev_b32 v4, 8, v3
	s_delay_alu instid0(VALU_DEP_2) | instskip(SKIP_3) | instid1(SALU_CYCLE_1)
	v_mov_b32_e32 v0, v1
	global_store_b8 v2, v4, s[4:5]
	s_wait_xcnt 0x0
	s_or_b32 exec_lo, exec_lo, s0
	s_mov_b32 s0, exec_lo
	v_cmpx_gt_i32_e64 s2, v0
	s_cbranch_execz .LBB60_11
.LBB60_15:
	v_add_nc_u32_e32 v1, 0x100, v0
	s_delay_alu instid0(VALU_DEP_1) | instskip(SKIP_3) | instid1(SALU_CYCLE_1)
	v_dual_add_nc_u32 v2, s1, v0 :: v_dual_mov_b32 v0, v1
	global_store_d16_hi_b8 v2, v3, s[4:5]
	s_wait_xcnt 0x0
	s_or_b32 exec_lo, exec_lo, s0
	s_mov_b32 s0, exec_lo
	v_cmpx_gt_i32_e64 s2, v0
	s_cbranch_execz .LBB60_12
.LBB60_16:
	v_dual_add_nc_u32 v0, s1, v0 :: v_dual_lshrrev_b32 v1, 24, v3
	global_store_b8 v0, v1, s[4:5]
	s_endpgm
	.section	.rodata,"a",@progbits
	.p2align	6, 0x0
	.amdhsa_kernel _ZN2at6native27unrolled_elementwise_kernelIZZZNS0_12_GLOBAL__N_120isposinf_kernel_implERNS_18TensorIteratorBaseEENKUlvE_clEvENKUlvE2_clEvEUlN3c108BFloat16EE_St5arrayIPcLm2EELi4E23TrivialOffsetCalculatorILi1EjESE_NS0_6memory15LoadWithoutCastENSF_16StoreWithoutCastEEEviT_T0_T2_T3_T4_T5_
		.amdhsa_group_segment_fixed_size 0
		.amdhsa_private_segment_fixed_size 0
		.amdhsa_kernarg_size 28
		.amdhsa_user_sgpr_count 2
		.amdhsa_user_sgpr_dispatch_ptr 0
		.amdhsa_user_sgpr_queue_ptr 0
		.amdhsa_user_sgpr_kernarg_segment_ptr 1
		.amdhsa_user_sgpr_dispatch_id 0
		.amdhsa_user_sgpr_kernarg_preload_length 0
		.amdhsa_user_sgpr_kernarg_preload_offset 0
		.amdhsa_user_sgpr_private_segment_size 0
		.amdhsa_wavefront_size32 1
		.amdhsa_uses_dynamic_stack 0
		.amdhsa_enable_private_segment 0
		.amdhsa_system_sgpr_workgroup_id_x 1
		.amdhsa_system_sgpr_workgroup_id_y 0
		.amdhsa_system_sgpr_workgroup_id_z 0
		.amdhsa_system_sgpr_workgroup_info 0
		.amdhsa_system_vgpr_workitem_id 0
		.amdhsa_next_free_vgpr 6
		.amdhsa_next_free_sgpr 12
		.amdhsa_named_barrier_count 0
		.amdhsa_reserve_vcc 1
		.amdhsa_float_round_mode_32 0
		.amdhsa_float_round_mode_16_64 0
		.amdhsa_float_denorm_mode_32 3
		.amdhsa_float_denorm_mode_16_64 3
		.amdhsa_fp16_overflow 0
		.amdhsa_memory_ordered 1
		.amdhsa_forward_progress 1
		.amdhsa_inst_pref_size 7
		.amdhsa_round_robin_scheduling 0
		.amdhsa_exception_fp_ieee_invalid_op 0
		.amdhsa_exception_fp_denorm_src 0
		.amdhsa_exception_fp_ieee_div_zero 0
		.amdhsa_exception_fp_ieee_overflow 0
		.amdhsa_exception_fp_ieee_underflow 0
		.amdhsa_exception_fp_ieee_inexact 0
		.amdhsa_exception_int_div_zero 0
	.end_amdhsa_kernel
	.section	.text._ZN2at6native27unrolled_elementwise_kernelIZZZNS0_12_GLOBAL__N_120isposinf_kernel_implERNS_18TensorIteratorBaseEENKUlvE_clEvENKUlvE2_clEvEUlN3c108BFloat16EE_St5arrayIPcLm2EELi4E23TrivialOffsetCalculatorILi1EjESE_NS0_6memory15LoadWithoutCastENSF_16StoreWithoutCastEEEviT_T0_T2_T3_T4_T5_,"axG",@progbits,_ZN2at6native27unrolled_elementwise_kernelIZZZNS0_12_GLOBAL__N_120isposinf_kernel_implERNS_18TensorIteratorBaseEENKUlvE_clEvENKUlvE2_clEvEUlN3c108BFloat16EE_St5arrayIPcLm2EELi4E23TrivialOffsetCalculatorILi1EjESE_NS0_6memory15LoadWithoutCastENSF_16StoreWithoutCastEEEviT_T0_T2_T3_T4_T5_,comdat
.Lfunc_end60:
	.size	_ZN2at6native27unrolled_elementwise_kernelIZZZNS0_12_GLOBAL__N_120isposinf_kernel_implERNS_18TensorIteratorBaseEENKUlvE_clEvENKUlvE2_clEvEUlN3c108BFloat16EE_St5arrayIPcLm2EELi4E23TrivialOffsetCalculatorILi1EjESE_NS0_6memory15LoadWithoutCastENSF_16StoreWithoutCastEEEviT_T0_T2_T3_T4_T5_, .Lfunc_end60-_ZN2at6native27unrolled_elementwise_kernelIZZZNS0_12_GLOBAL__N_120isposinf_kernel_implERNS_18TensorIteratorBaseEENKUlvE_clEvENKUlvE2_clEvEUlN3c108BFloat16EE_St5arrayIPcLm2EELi4E23TrivialOffsetCalculatorILi1EjESE_NS0_6memory15LoadWithoutCastENSF_16StoreWithoutCastEEEviT_T0_T2_T3_T4_T5_
                                        ; -- End function
	.set _ZN2at6native27unrolled_elementwise_kernelIZZZNS0_12_GLOBAL__N_120isposinf_kernel_implERNS_18TensorIteratorBaseEENKUlvE_clEvENKUlvE2_clEvEUlN3c108BFloat16EE_St5arrayIPcLm2EELi4E23TrivialOffsetCalculatorILi1EjESE_NS0_6memory15LoadWithoutCastENSF_16StoreWithoutCastEEEviT_T0_T2_T3_T4_T5_.num_vgpr, 6
	.set _ZN2at6native27unrolled_elementwise_kernelIZZZNS0_12_GLOBAL__N_120isposinf_kernel_implERNS_18TensorIteratorBaseEENKUlvE_clEvENKUlvE2_clEvEUlN3c108BFloat16EE_St5arrayIPcLm2EELi4E23TrivialOffsetCalculatorILi1EjESE_NS0_6memory15LoadWithoutCastENSF_16StoreWithoutCastEEEviT_T0_T2_T3_T4_T5_.num_agpr, 0
	.set _ZN2at6native27unrolled_elementwise_kernelIZZZNS0_12_GLOBAL__N_120isposinf_kernel_implERNS_18TensorIteratorBaseEENKUlvE_clEvENKUlvE2_clEvEUlN3c108BFloat16EE_St5arrayIPcLm2EELi4E23TrivialOffsetCalculatorILi1EjESE_NS0_6memory15LoadWithoutCastENSF_16StoreWithoutCastEEEviT_T0_T2_T3_T4_T5_.numbered_sgpr, 12
	.set _ZN2at6native27unrolled_elementwise_kernelIZZZNS0_12_GLOBAL__N_120isposinf_kernel_implERNS_18TensorIteratorBaseEENKUlvE_clEvENKUlvE2_clEvEUlN3c108BFloat16EE_St5arrayIPcLm2EELi4E23TrivialOffsetCalculatorILi1EjESE_NS0_6memory15LoadWithoutCastENSF_16StoreWithoutCastEEEviT_T0_T2_T3_T4_T5_.num_named_barrier, 0
	.set _ZN2at6native27unrolled_elementwise_kernelIZZZNS0_12_GLOBAL__N_120isposinf_kernel_implERNS_18TensorIteratorBaseEENKUlvE_clEvENKUlvE2_clEvEUlN3c108BFloat16EE_St5arrayIPcLm2EELi4E23TrivialOffsetCalculatorILi1EjESE_NS0_6memory15LoadWithoutCastENSF_16StoreWithoutCastEEEviT_T0_T2_T3_T4_T5_.private_seg_size, 0
	.set _ZN2at6native27unrolled_elementwise_kernelIZZZNS0_12_GLOBAL__N_120isposinf_kernel_implERNS_18TensorIteratorBaseEENKUlvE_clEvENKUlvE2_clEvEUlN3c108BFloat16EE_St5arrayIPcLm2EELi4E23TrivialOffsetCalculatorILi1EjESE_NS0_6memory15LoadWithoutCastENSF_16StoreWithoutCastEEEviT_T0_T2_T3_T4_T5_.uses_vcc, 1
	.set _ZN2at6native27unrolled_elementwise_kernelIZZZNS0_12_GLOBAL__N_120isposinf_kernel_implERNS_18TensorIteratorBaseEENKUlvE_clEvENKUlvE2_clEvEUlN3c108BFloat16EE_St5arrayIPcLm2EELi4E23TrivialOffsetCalculatorILi1EjESE_NS0_6memory15LoadWithoutCastENSF_16StoreWithoutCastEEEviT_T0_T2_T3_T4_T5_.uses_flat_scratch, 0
	.set _ZN2at6native27unrolled_elementwise_kernelIZZZNS0_12_GLOBAL__N_120isposinf_kernel_implERNS_18TensorIteratorBaseEENKUlvE_clEvENKUlvE2_clEvEUlN3c108BFloat16EE_St5arrayIPcLm2EELi4E23TrivialOffsetCalculatorILi1EjESE_NS0_6memory15LoadWithoutCastENSF_16StoreWithoutCastEEEviT_T0_T2_T3_T4_T5_.has_dyn_sized_stack, 0
	.set _ZN2at6native27unrolled_elementwise_kernelIZZZNS0_12_GLOBAL__N_120isposinf_kernel_implERNS_18TensorIteratorBaseEENKUlvE_clEvENKUlvE2_clEvEUlN3c108BFloat16EE_St5arrayIPcLm2EELi4E23TrivialOffsetCalculatorILi1EjESE_NS0_6memory15LoadWithoutCastENSF_16StoreWithoutCastEEEviT_T0_T2_T3_T4_T5_.has_recursion, 0
	.set _ZN2at6native27unrolled_elementwise_kernelIZZZNS0_12_GLOBAL__N_120isposinf_kernel_implERNS_18TensorIteratorBaseEENKUlvE_clEvENKUlvE2_clEvEUlN3c108BFloat16EE_St5arrayIPcLm2EELi4E23TrivialOffsetCalculatorILi1EjESE_NS0_6memory15LoadWithoutCastENSF_16StoreWithoutCastEEEviT_T0_T2_T3_T4_T5_.has_indirect_call, 0
	.section	.AMDGPU.csdata,"",@progbits
; Kernel info:
; codeLenInByte = 876
; TotalNumSgprs: 14
; NumVgprs: 6
; ScratchSize: 0
; MemoryBound: 0
; FloatMode: 240
; IeeeMode: 1
; LDSByteSize: 0 bytes/workgroup (compile time only)
; SGPRBlocks: 0
; VGPRBlocks: 0
; NumSGPRsForWavesPerEU: 14
; NumVGPRsForWavesPerEU: 6
; NamedBarCnt: 0
; Occupancy: 16
; WaveLimiterHint : 0
; COMPUTE_PGM_RSRC2:SCRATCH_EN: 0
; COMPUTE_PGM_RSRC2:USER_SGPR: 2
; COMPUTE_PGM_RSRC2:TRAP_HANDLER: 0
; COMPUTE_PGM_RSRC2:TGID_X_EN: 1
; COMPUTE_PGM_RSRC2:TGID_Y_EN: 0
; COMPUTE_PGM_RSRC2:TGID_Z_EN: 0
; COMPUTE_PGM_RSRC2:TIDIG_COMP_CNT: 0
	.section	.text._ZN2at6native32elementwise_kernel_manual_unrollILi128ELi8EZNS0_22gpu_kernel_impl_nocastIZZZNS0_12_GLOBAL__N_120isposinf_kernel_implERNS_18TensorIteratorBaseEENKUlvE_clEvENKUlvE2_clEvEUlN3c108BFloat16EE_EEvS5_RKT_EUlibE_EEviT1_,"axG",@progbits,_ZN2at6native32elementwise_kernel_manual_unrollILi128ELi8EZNS0_22gpu_kernel_impl_nocastIZZZNS0_12_GLOBAL__N_120isposinf_kernel_implERNS_18TensorIteratorBaseEENKUlvE_clEvENKUlvE2_clEvEUlN3c108BFloat16EE_EEvS5_RKT_EUlibE_EEviT1_,comdat
	.globl	_ZN2at6native32elementwise_kernel_manual_unrollILi128ELi8EZNS0_22gpu_kernel_impl_nocastIZZZNS0_12_GLOBAL__N_120isposinf_kernel_implERNS_18TensorIteratorBaseEENKUlvE_clEvENKUlvE2_clEvEUlN3c108BFloat16EE_EEvS5_RKT_EUlibE_EEviT1_ ; -- Begin function _ZN2at6native32elementwise_kernel_manual_unrollILi128ELi8EZNS0_22gpu_kernel_impl_nocastIZZZNS0_12_GLOBAL__N_120isposinf_kernel_implERNS_18TensorIteratorBaseEENKUlvE_clEvENKUlvE2_clEvEUlN3c108BFloat16EE_EEvS5_RKT_EUlibE_EEviT1_
	.p2align	8
	.type	_ZN2at6native32elementwise_kernel_manual_unrollILi128ELi8EZNS0_22gpu_kernel_impl_nocastIZZZNS0_12_GLOBAL__N_120isposinf_kernel_implERNS_18TensorIteratorBaseEENKUlvE_clEvENKUlvE2_clEvEUlN3c108BFloat16EE_EEvS5_RKT_EUlibE_EEviT1_,@function
_ZN2at6native32elementwise_kernel_manual_unrollILi128ELi8EZNS0_22gpu_kernel_impl_nocastIZZZNS0_12_GLOBAL__N_120isposinf_kernel_implERNS_18TensorIteratorBaseEENKUlvE_clEvENKUlvE2_clEvEUlN3c108BFloat16EE_EEvS5_RKT_EUlibE_EEviT1_: ; @_ZN2at6native32elementwise_kernel_manual_unrollILi128ELi8EZNS0_22gpu_kernel_impl_nocastIZZZNS0_12_GLOBAL__N_120isposinf_kernel_implERNS_18TensorIteratorBaseEENKUlvE_clEvENKUlvE2_clEvEUlN3c108BFloat16EE_EEvS5_RKT_EUlibE_EEviT1_
; %bb.0:
	s_clause 0x1
	s_load_b32 s28, s[0:1], 0x8
	s_load_b32 s34, s[0:1], 0x0
	s_bfe_u32 s2, ttmp6, 0x4000c
	s_and_b32 s3, ttmp6, 15
	s_add_co_i32 s2, s2, 1
	s_getreg_b32 s4, hwreg(HW_REG_IB_STS2, 6, 4)
	s_mul_i32 s2, ttmp9, s2
	s_add_nc_u64 s[12:13], s[0:1], 8
	s_add_co_i32 s3, s3, s2
	s_cmp_eq_u32 s4, 0
	s_mov_b32 s17, 0
	s_cselect_b32 s2, ttmp9, s3
	s_wait_xcnt 0x0
	s_mov_b32 s0, exec_lo
	v_lshl_or_b32 v0, s2, 10, v0
	s_delay_alu instid0(VALU_DEP_1) | instskip(SKIP_2) | instid1(SALU_CYCLE_1)
	v_or_b32_e32 v16, 0x380, v0
	s_wait_kmcnt 0x0
	s_add_co_i32 s29, s28, -1
	s_cmp_gt_u32 s29, 1
	s_cselect_b32 s30, -1, 0
	v_cmpx_le_i32_e64 s34, v16
	s_xor_b32 s31, exec_lo, s0
	s_cbranch_execz .LBB61_7
; %bb.1:
	s_clause 0x3
	s_load_b128 s[4:7], s[12:13], 0x4
	s_load_b64 s[14:15], s[12:13], 0x14
	s_load_b128 s[8:11], s[12:13], 0xc4
	s_load_b128 s[0:3], s[12:13], 0x148
	s_cmp_lg_u32 s28, 0
	s_add_nc_u64 s[20:21], s[12:13], 0xc4
	s_cselect_b32 s36, -1, 0
	s_min_u32 s35, s29, 15
	s_cmp_gt_u32 s28, 1
	s_mov_b32 s19, s17
	s_cselect_b32 s33, -1, 0
	s_wait_kmcnt 0x0
	s_mov_b32 s16, s5
	s_mov_b32 s18, s14
	s_mov_b32 s5, exec_lo
	v_cmpx_gt_i32_e64 s34, v0
	s_cbranch_execz .LBB61_14
; %bb.2:
	s_and_not1_b32 vcc_lo, exec_lo, s30
	s_cbranch_vccnz .LBB61_21
; %bb.3:
	s_and_not1_b32 vcc_lo, exec_lo, s36
	s_cbranch_vccnz .LBB61_129
; %bb.4:
	s_add_co_i32 s14, s35, 1
	s_cmp_eq_u32 s29, 2
	s_cbranch_scc1 .LBB61_131
; %bb.5:
	v_dual_mov_b32 v2, 0 :: v_dual_mov_b32 v3, 0
	v_mov_b32_e32 v1, v0
	s_and_b32 s22, s14, 28
	s_mov_b32 s23, 0
	s_mov_b64 s[24:25], s[12:13]
	s_mov_b64 s[26:27], s[20:21]
.LBB61_6:                               ; =>This Inner Loop Header: Depth=1
	s_clause 0x1
	s_load_b256 s[40:47], s[24:25], 0x4
	s_load_b128 s[56:59], s[24:25], 0x24
	s_load_b256 s[48:55], s[26:27], 0x0
	s_add_co_i32 s23, s23, 4
	s_wait_xcnt 0x0
	s_add_nc_u64 s[24:25], s[24:25], 48
	s_cmp_lg_u32 s22, s23
	s_add_nc_u64 s[26:27], s[26:27], 32
	s_wait_kmcnt 0x0
	v_mul_hi_u32 v4, s41, v1
	s_delay_alu instid0(VALU_DEP_1) | instskip(NEXT) | instid1(VALU_DEP_1)
	v_add_nc_u32_e32 v4, v1, v4
	v_lshrrev_b32_e32 v4, s42, v4
	s_delay_alu instid0(VALU_DEP_1) | instskip(NEXT) | instid1(VALU_DEP_1)
	v_mul_hi_u32 v5, s44, v4
	v_add_nc_u32_e32 v5, v4, v5
	s_delay_alu instid0(VALU_DEP_1) | instskip(NEXT) | instid1(VALU_DEP_1)
	v_lshrrev_b32_e32 v5, s45, v5
	v_mul_hi_u32 v6, s47, v5
	s_delay_alu instid0(VALU_DEP_1) | instskip(SKIP_1) | instid1(VALU_DEP_1)
	v_add_nc_u32_e32 v6, v5, v6
	v_mul_lo_u32 v7, v4, s40
	v_sub_nc_u32_e32 v1, v1, v7
	v_mul_lo_u32 v7, v5, s43
	s_delay_alu instid0(VALU_DEP_4) | instskip(NEXT) | instid1(VALU_DEP_3)
	v_lshrrev_b32_e32 v6, s56, v6
	v_mad_u32 v3, v1, s49, v3
	v_mad_u32 v1, v1, s48, v2
	s_delay_alu instid0(VALU_DEP_4) | instskip(NEXT) | instid1(VALU_DEP_4)
	v_sub_nc_u32_e32 v2, v4, v7
	v_mul_hi_u32 v8, s58, v6
	v_mul_lo_u32 v4, v6, s46
	s_delay_alu instid0(VALU_DEP_3) | instskip(SKIP_1) | instid1(VALU_DEP_4)
	v_mad_u32 v3, v2, s51, v3
	v_mad_u32 v2, v2, s50, v1
	v_add_nc_u32_e32 v7, v6, v8
	s_delay_alu instid0(VALU_DEP_1) | instskip(NEXT) | instid1(VALU_DEP_1)
	v_dual_sub_nc_u32 v4, v5, v4 :: v_dual_lshrrev_b32 v1, s59, v7
	v_mad_u32 v3, v4, s53, v3
	s_delay_alu instid0(VALU_DEP_4) | instskip(NEXT) | instid1(VALU_DEP_3)
	v_mad_u32 v2, v4, s52, v2
	v_mul_lo_u32 v5, v1, s57
	s_delay_alu instid0(VALU_DEP_1) | instskip(NEXT) | instid1(VALU_DEP_1)
	v_sub_nc_u32_e32 v4, v6, v5
	v_mad_u32 v3, v4, s55, v3
	s_delay_alu instid0(VALU_DEP_4)
	v_mad_u32 v2, v4, s54, v2
	s_cbranch_scc1 .LBB61_6
	s_branch .LBB61_132
.LBB61_7:
	s_and_not1_saveexec_b32 s0, s31
	s_cbranch_execz .LBB61_221
.LBB61_8:
	v_cndmask_b32_e64 v14, 0, 1, s30
	s_and_not1_b32 vcc_lo, exec_lo, s30
	s_cbranch_vccnz .LBB61_20
; %bb.9:
	s_cmp_lg_u32 s28, 0
	s_mov_b32 s6, 0
	s_cbranch_scc0 .LBB61_23
; %bb.10:
	s_min_u32 s1, s29, 15
	s_delay_alu instid0(SALU_CYCLE_1)
	s_add_co_i32 s1, s1, 1
	s_cmp_eq_u32 s29, 2
	s_cbranch_scc1 .LBB61_24
; %bb.11:
	v_dual_mov_b32 v2, 0 :: v_dual_mov_b32 v3, 0
	v_mov_b32_e32 v1, v0
	s_and_b32 s0, s1, 28
	s_add_nc_u64 s[2:3], s[12:13], 0xc4
	s_mov_b32 s7, 0
	s_mov_b64 s[4:5], s[12:13]
.LBB61_12:                              ; =>This Inner Loop Header: Depth=1
	s_clause 0x1
	s_load_b256 s[16:23], s[4:5], 0x4
	s_load_b128 s[8:11], s[4:5], 0x24
	s_load_b256 s[36:43], s[2:3], 0x0
	s_add_co_i32 s7, s7, 4
	s_wait_xcnt 0x0
	s_add_nc_u64 s[4:5], s[4:5], 48
	s_cmp_lg_u32 s0, s7
	s_add_nc_u64 s[2:3], s[2:3], 32
	s_wait_kmcnt 0x0
	v_mul_hi_u32 v4, s17, v1
	s_delay_alu instid0(VALU_DEP_1) | instskip(NEXT) | instid1(VALU_DEP_1)
	v_add_nc_u32_e32 v4, v1, v4
	v_lshrrev_b32_e32 v4, s18, v4
	s_delay_alu instid0(VALU_DEP_1) | instskip(NEXT) | instid1(VALU_DEP_1)
	v_mul_hi_u32 v5, s20, v4
	v_add_nc_u32_e32 v5, v4, v5
	s_delay_alu instid0(VALU_DEP_1) | instskip(NEXT) | instid1(VALU_DEP_1)
	v_lshrrev_b32_e32 v5, s21, v5
	v_mul_hi_u32 v6, s23, v5
	s_delay_alu instid0(VALU_DEP_1) | instskip(SKIP_1) | instid1(VALU_DEP_1)
	v_add_nc_u32_e32 v6, v5, v6
	v_mul_lo_u32 v7, v4, s16
	v_sub_nc_u32_e32 v1, v1, v7
	v_mul_lo_u32 v7, v5, s19
	s_delay_alu instid0(VALU_DEP_4) | instskip(NEXT) | instid1(VALU_DEP_3)
	v_lshrrev_b32_e32 v6, s8, v6
	v_mad_u32 v3, v1, s37, v3
	v_mad_u32 v1, v1, s36, v2
	s_delay_alu instid0(VALU_DEP_4) | instskip(NEXT) | instid1(VALU_DEP_4)
	v_sub_nc_u32_e32 v2, v4, v7
	v_mul_hi_u32 v8, s10, v6
	v_mul_lo_u32 v4, v6, s22
	s_delay_alu instid0(VALU_DEP_3) | instskip(SKIP_1) | instid1(VALU_DEP_4)
	v_mad_u32 v3, v2, s39, v3
	v_mad_u32 v2, v2, s38, v1
	v_add_nc_u32_e32 v7, v6, v8
	s_delay_alu instid0(VALU_DEP_1) | instskip(NEXT) | instid1(VALU_DEP_1)
	v_dual_sub_nc_u32 v4, v5, v4 :: v_dual_lshrrev_b32 v1, s11, v7
	v_mad_u32 v3, v4, s41, v3
	s_delay_alu instid0(VALU_DEP_4) | instskip(NEXT) | instid1(VALU_DEP_3)
	v_mad_u32 v2, v4, s40, v2
	v_mul_lo_u32 v5, v1, s9
	s_delay_alu instid0(VALU_DEP_1) | instskip(NEXT) | instid1(VALU_DEP_1)
	v_sub_nc_u32_e32 v4, v6, v5
	v_mad_u32 v3, v4, s43, v3
	s_delay_alu instid0(VALU_DEP_4)
	v_mad_u32 v2, v4, s42, v2
	s_cbranch_scc1 .LBB61_12
; %bb.13:
	s_and_b32 s4, s1, 3
	s_mov_b32 s1, 0
	s_cmp_eq_u32 s4, 0
	s_cbranch_scc0 .LBB61_25
	s_branch .LBB61_27
.LBB61_14:
	s_or_b32 exec_lo, exec_lo, s5
	s_delay_alu instid0(SALU_CYCLE_1)
	s_mov_b32 s5, exec_lo
	v_cmpx_gt_i32_e64 s34, v0
	s_cbranch_execz .LBB61_139
.LBB61_15:
	s_and_not1_b32 vcc_lo, exec_lo, s30
	s_cbranch_vccnz .LBB61_22
; %bb.16:
	s_and_not1_b32 vcc_lo, exec_lo, s36
	s_cbranch_vccnz .LBB61_130
; %bb.17:
	s_add_co_i32 s14, s35, 1
	s_cmp_eq_u32 s29, 2
	s_cbranch_scc1 .LBB61_147
; %bb.18:
	v_dual_mov_b32 v2, 0 :: v_dual_mov_b32 v3, 0
	v_mov_b32_e32 v1, v0
	s_and_b32 s22, s14, 28
	s_mov_b32 s23, 0
	s_mov_b64 s[24:25], s[12:13]
	s_mov_b64 s[26:27], s[20:21]
.LBB61_19:                              ; =>This Inner Loop Header: Depth=1
	s_clause 0x1
	s_load_b256 s[40:47], s[24:25], 0x4
	s_load_b128 s[56:59], s[24:25], 0x24
	s_load_b256 s[48:55], s[26:27], 0x0
	s_add_co_i32 s23, s23, 4
	s_wait_xcnt 0x0
	s_add_nc_u64 s[24:25], s[24:25], 48
	s_cmp_eq_u32 s22, s23
	s_add_nc_u64 s[26:27], s[26:27], 32
	s_wait_kmcnt 0x0
	v_mul_hi_u32 v4, s41, v1
	s_delay_alu instid0(VALU_DEP_1) | instskip(NEXT) | instid1(VALU_DEP_1)
	v_add_nc_u32_e32 v4, v1, v4
	v_lshrrev_b32_e32 v4, s42, v4
	s_delay_alu instid0(VALU_DEP_1) | instskip(NEXT) | instid1(VALU_DEP_1)
	v_mul_hi_u32 v5, s44, v4
	v_add_nc_u32_e32 v5, v4, v5
	s_delay_alu instid0(VALU_DEP_1) | instskip(NEXT) | instid1(VALU_DEP_1)
	v_lshrrev_b32_e32 v5, s45, v5
	v_mul_hi_u32 v6, s47, v5
	s_delay_alu instid0(VALU_DEP_1) | instskip(SKIP_1) | instid1(VALU_DEP_1)
	v_add_nc_u32_e32 v6, v5, v6
	v_mul_lo_u32 v7, v4, s40
	v_sub_nc_u32_e32 v1, v1, v7
	v_mul_lo_u32 v7, v5, s43
	s_delay_alu instid0(VALU_DEP_4) | instskip(NEXT) | instid1(VALU_DEP_3)
	v_lshrrev_b32_e32 v6, s56, v6
	v_mad_u32 v3, v1, s49, v3
	v_mad_u32 v1, v1, s48, v2
	s_delay_alu instid0(VALU_DEP_4) | instskip(NEXT) | instid1(VALU_DEP_4)
	v_sub_nc_u32_e32 v2, v4, v7
	v_mul_hi_u32 v8, s58, v6
	v_mul_lo_u32 v4, v6, s46
	s_delay_alu instid0(VALU_DEP_3) | instskip(SKIP_1) | instid1(VALU_DEP_4)
	v_mad_u32 v3, v2, s51, v3
	v_mad_u32 v2, v2, s50, v1
	v_add_nc_u32_e32 v7, v6, v8
	s_delay_alu instid0(VALU_DEP_1) | instskip(NEXT) | instid1(VALU_DEP_1)
	v_dual_sub_nc_u32 v4, v5, v4 :: v_dual_lshrrev_b32 v1, s59, v7
	v_mad_u32 v3, v4, s53, v3
	s_delay_alu instid0(VALU_DEP_4) | instskip(NEXT) | instid1(VALU_DEP_3)
	v_mad_u32 v2, v4, s52, v2
	v_mul_lo_u32 v5, v1, s57
	s_delay_alu instid0(VALU_DEP_1) | instskip(NEXT) | instid1(VALU_DEP_1)
	v_sub_nc_u32_e32 v4, v6, v5
	v_mad_u32 v3, v4, s55, v3
	s_delay_alu instid0(VALU_DEP_4)
	v_mad_u32 v2, v4, s54, v2
	s_cbranch_scc0 .LBB61_19
	s_branch .LBB61_148
.LBB61_20:
	s_mov_b32 s6, -1
                                        ; implicit-def: $vgpr3
	s_branch .LBB61_27
.LBB61_21:
                                        ; implicit-def: $vgpr3
	s_branch .LBB61_136
.LBB61_22:
                                        ; implicit-def: $vgpr3
	s_branch .LBB61_152
.LBB61_23:
	v_dual_mov_b32 v3, 0 :: v_dual_mov_b32 v2, 0
	s_branch .LBB61_27
.LBB61_24:
	v_mov_b64_e32 v[2:3], 0
	v_mov_b32_e32 v1, v0
	s_mov_b32 s0, 0
	s_and_b32 s4, s1, 3
	s_mov_b32 s1, 0
	s_cmp_eq_u32 s4, 0
	s_cbranch_scc1 .LBB61_27
.LBB61_25:
	s_lshl_b32 s2, s0, 3
	s_mov_b32 s3, s1
	s_mul_u64 s[8:9], s[0:1], 12
	s_add_nc_u64 s[2:3], s[12:13], s[2:3]
	s_delay_alu instid0(SALU_CYCLE_1)
	s_add_nc_u64 s[0:1], s[2:3], 0xc4
	s_add_nc_u64 s[2:3], s[12:13], s[8:9]
.LBB61_26:                              ; =>This Inner Loop Header: Depth=1
	s_load_b96 s[8:10], s[2:3], 0x4
	s_add_co_i32 s4, s4, -1
	s_wait_xcnt 0x0
	s_add_nc_u64 s[2:3], s[2:3], 12
	s_cmp_lg_u32 s4, 0
	s_wait_kmcnt 0x0
	v_mul_hi_u32 v4, s9, v1
	s_delay_alu instid0(VALU_DEP_1) | instskip(NEXT) | instid1(VALU_DEP_1)
	v_add_nc_u32_e32 v4, v1, v4
	v_lshrrev_b32_e32 v4, s10, v4
	s_load_b64 s[10:11], s[0:1], 0x0
	s_wait_xcnt 0x0
	s_add_nc_u64 s[0:1], s[0:1], 8
	s_delay_alu instid0(VALU_DEP_1) | instskip(NEXT) | instid1(VALU_DEP_1)
	v_mul_lo_u32 v5, v4, s8
	v_sub_nc_u32_e32 v1, v1, v5
	s_wait_kmcnt 0x0
	s_delay_alu instid0(VALU_DEP_1)
	v_mad_u32 v3, v1, s11, v3
	v_mad_u32 v2, v1, s10, v2
	v_mov_b32_e32 v1, v4
	s_cbranch_scc1 .LBB61_26
.LBB61_27:
	s_and_not1_b32 vcc_lo, exec_lo, s6
	s_cbranch_vccnz .LBB61_30
; %bb.28:
	s_clause 0x1
	s_load_b96 s[0:2], s[12:13], 0x4
	s_load_b64 s[4:5], s[12:13], 0xc4
	s_cmp_lt_u32 s28, 2
	s_wait_kmcnt 0x0
	v_mul_hi_u32 v1, s1, v0
	s_delay_alu instid0(VALU_DEP_1) | instskip(NEXT) | instid1(VALU_DEP_1)
	v_add_nc_u32_e32 v1, v0, v1
	v_lshrrev_b32_e32 v1, s2, v1
	s_delay_alu instid0(VALU_DEP_1) | instskip(NEXT) | instid1(VALU_DEP_1)
	v_mul_lo_u32 v2, v1, s0
	v_sub_nc_u32_e32 v2, v0, v2
	s_delay_alu instid0(VALU_DEP_1)
	v_mul_lo_u32 v3, v2, s5
	v_mul_lo_u32 v2, v2, s4
	s_cbranch_scc1 .LBB61_30
; %bb.29:
	s_clause 0x1
	s_load_b96 s[0:2], s[12:13], 0x10
	s_load_b64 s[4:5], s[12:13], 0xcc
	s_wait_kmcnt 0x0
	v_mul_hi_u32 v4, s1, v1
	s_delay_alu instid0(VALU_DEP_1) | instskip(NEXT) | instid1(VALU_DEP_1)
	v_add_nc_u32_e32 v4, v1, v4
	v_lshrrev_b32_e32 v4, s2, v4
	s_delay_alu instid0(VALU_DEP_1) | instskip(NEXT) | instid1(VALU_DEP_1)
	v_mul_lo_u32 v4, v4, s0
	v_sub_nc_u32_e32 v1, v1, v4
	s_delay_alu instid0(VALU_DEP_1)
	v_mad_u32 v2, v1, s4, v2
	v_mad_u32 v3, v1, s5, v3
.LBB61_30:
	v_cmp_ne_u32_e32 vcc_lo, 1, v14
	v_add_nc_u32_e32 v1, 0x80, v0
	s_cbranch_vccnz .LBB61_36
; %bb.31:
	s_cmp_lg_u32 s28, 0
	s_mov_b32 s6, 0
	s_cbranch_scc0 .LBB61_37
; %bb.32:
	s_min_u32 s1, s29, 15
	s_delay_alu instid0(SALU_CYCLE_1)
	s_add_co_i32 s1, s1, 1
	s_cmp_eq_u32 s29, 2
	s_cbranch_scc1 .LBB61_38
; %bb.33:
	v_dual_mov_b32 v4, 0 :: v_dual_mov_b32 v5, 0
	v_mov_b32_e32 v6, v1
	s_and_b32 s0, s1, 28
	s_add_nc_u64 s[2:3], s[12:13], 0xc4
	s_mov_b32 s7, 0
	s_mov_b64 s[4:5], s[12:13]
.LBB61_34:                              ; =>This Inner Loop Header: Depth=1
	s_clause 0x1
	s_load_b256 s[16:23], s[4:5], 0x4
	s_load_b128 s[8:11], s[4:5], 0x24
	s_load_b256 s[36:43], s[2:3], 0x0
	s_add_co_i32 s7, s7, 4
	s_wait_xcnt 0x0
	s_add_nc_u64 s[4:5], s[4:5], 48
	s_cmp_lg_u32 s0, s7
	s_add_nc_u64 s[2:3], s[2:3], 32
	s_wait_kmcnt 0x0
	v_mul_hi_u32 v7, s17, v6
	s_delay_alu instid0(VALU_DEP_1) | instskip(NEXT) | instid1(VALU_DEP_1)
	v_add_nc_u32_e32 v7, v6, v7
	v_lshrrev_b32_e32 v7, s18, v7
	s_delay_alu instid0(VALU_DEP_1) | instskip(NEXT) | instid1(VALU_DEP_1)
	v_mul_hi_u32 v8, s20, v7
	v_add_nc_u32_e32 v8, v7, v8
	s_delay_alu instid0(VALU_DEP_1) | instskip(NEXT) | instid1(VALU_DEP_1)
	v_lshrrev_b32_e32 v8, s21, v8
	v_mul_hi_u32 v9, s23, v8
	s_delay_alu instid0(VALU_DEP_1) | instskip(SKIP_1) | instid1(VALU_DEP_1)
	v_add_nc_u32_e32 v9, v8, v9
	v_mul_lo_u32 v10, v7, s16
	v_sub_nc_u32_e32 v6, v6, v10
	v_mul_lo_u32 v10, v8, s19
	s_delay_alu instid0(VALU_DEP_4) | instskip(NEXT) | instid1(VALU_DEP_3)
	v_lshrrev_b32_e32 v9, s8, v9
	v_mad_u32 v5, v6, s37, v5
	v_mad_u32 v4, v6, s36, v4
	s_delay_alu instid0(VALU_DEP_4) | instskip(NEXT) | instid1(VALU_DEP_4)
	v_sub_nc_u32_e32 v6, v7, v10
	v_mul_hi_u32 v11, s10, v9
	v_mul_lo_u32 v7, v9, s22
	s_delay_alu instid0(VALU_DEP_3) | instskip(SKIP_1) | instid1(VALU_DEP_4)
	v_mad_u32 v5, v6, s39, v5
	v_mad_u32 v4, v6, s38, v4
	v_add_nc_u32_e32 v10, v9, v11
	s_delay_alu instid0(VALU_DEP_1) | instskip(NEXT) | instid1(VALU_DEP_1)
	v_dual_sub_nc_u32 v7, v8, v7 :: v_dual_lshrrev_b32 v6, s11, v10
	v_mad_u32 v5, v7, s41, v5
	s_delay_alu instid0(VALU_DEP_4) | instskip(NEXT) | instid1(VALU_DEP_3)
	v_mad_u32 v4, v7, s40, v4
	v_mul_lo_u32 v8, v6, s9
	s_delay_alu instid0(VALU_DEP_1) | instskip(NEXT) | instid1(VALU_DEP_1)
	v_sub_nc_u32_e32 v7, v9, v8
	v_mad_u32 v5, v7, s43, v5
	s_delay_alu instid0(VALU_DEP_4)
	v_mad_u32 v4, v7, s42, v4
	s_cbranch_scc1 .LBB61_34
; %bb.35:
	s_and_b32 s4, s1, 3
	s_mov_b32 s1, 0
	s_cmp_eq_u32 s4, 0
	s_cbranch_scc0 .LBB61_39
	s_branch .LBB61_41
.LBB61_36:
	s_mov_b32 s6, -1
                                        ; implicit-def: $vgpr5
	s_branch .LBB61_41
.LBB61_37:
	v_dual_mov_b32 v5, 0 :: v_dual_mov_b32 v4, 0
	s_branch .LBB61_41
.LBB61_38:
	v_mov_b64_e32 v[4:5], 0
	v_mov_b32_e32 v6, v1
	s_mov_b32 s0, 0
	s_and_b32 s4, s1, 3
	s_mov_b32 s1, 0
	s_cmp_eq_u32 s4, 0
	s_cbranch_scc1 .LBB61_41
.LBB61_39:
	s_lshl_b32 s2, s0, 3
	s_mov_b32 s3, s1
	s_mul_u64 s[8:9], s[0:1], 12
	s_add_nc_u64 s[2:3], s[12:13], s[2:3]
	s_delay_alu instid0(SALU_CYCLE_1)
	s_add_nc_u64 s[0:1], s[2:3], 0xc4
	s_add_nc_u64 s[2:3], s[12:13], s[8:9]
.LBB61_40:                              ; =>This Inner Loop Header: Depth=1
	s_load_b96 s[8:10], s[2:3], 0x4
	s_add_co_i32 s4, s4, -1
	s_wait_xcnt 0x0
	s_add_nc_u64 s[2:3], s[2:3], 12
	s_cmp_lg_u32 s4, 0
	s_wait_kmcnt 0x0
	v_mul_hi_u32 v7, s9, v6
	s_delay_alu instid0(VALU_DEP_1) | instskip(NEXT) | instid1(VALU_DEP_1)
	v_add_nc_u32_e32 v7, v6, v7
	v_lshrrev_b32_e32 v7, s10, v7
	s_load_b64 s[10:11], s[0:1], 0x0
	s_wait_xcnt 0x0
	s_add_nc_u64 s[0:1], s[0:1], 8
	s_delay_alu instid0(VALU_DEP_1) | instskip(NEXT) | instid1(VALU_DEP_1)
	v_mul_lo_u32 v8, v7, s8
	v_sub_nc_u32_e32 v6, v6, v8
	s_wait_kmcnt 0x0
	s_delay_alu instid0(VALU_DEP_1)
	v_mad_u32 v5, v6, s11, v5
	v_mad_u32 v4, v6, s10, v4
	v_mov_b32_e32 v6, v7
	s_cbranch_scc1 .LBB61_40
.LBB61_41:
	s_and_not1_b32 vcc_lo, exec_lo, s6
	s_cbranch_vccnz .LBB61_44
; %bb.42:
	s_clause 0x1
	s_load_b96 s[0:2], s[12:13], 0x4
	s_load_b64 s[4:5], s[12:13], 0xc4
	s_cmp_lt_u32 s28, 2
	s_wait_kmcnt 0x0
	v_mul_hi_u32 v4, s1, v1
	s_delay_alu instid0(VALU_DEP_1) | instskip(NEXT) | instid1(VALU_DEP_1)
	v_add_nc_u32_e32 v4, v1, v4
	v_lshrrev_b32_e32 v6, s2, v4
	s_delay_alu instid0(VALU_DEP_1) | instskip(NEXT) | instid1(VALU_DEP_1)
	v_mul_lo_u32 v4, v6, s0
	v_sub_nc_u32_e32 v1, v1, v4
	s_delay_alu instid0(VALU_DEP_1)
	v_mul_lo_u32 v5, v1, s5
	v_mul_lo_u32 v4, v1, s4
	s_cbranch_scc1 .LBB61_44
; %bb.43:
	s_clause 0x1
	s_load_b96 s[0:2], s[12:13], 0x10
	s_load_b64 s[4:5], s[12:13], 0xcc
	s_wait_kmcnt 0x0
	v_mul_hi_u32 v1, s1, v6
	s_delay_alu instid0(VALU_DEP_1) | instskip(NEXT) | instid1(VALU_DEP_1)
	v_add_nc_u32_e32 v1, v6, v1
	v_lshrrev_b32_e32 v1, s2, v1
	s_delay_alu instid0(VALU_DEP_1) | instskip(NEXT) | instid1(VALU_DEP_1)
	v_mul_lo_u32 v1, v1, s0
	v_sub_nc_u32_e32 v1, v6, v1
	s_delay_alu instid0(VALU_DEP_1)
	v_mad_u32 v4, v1, s4, v4
	v_mad_u32 v5, v1, s5, v5
.LBB61_44:
	v_cmp_ne_u32_e32 vcc_lo, 1, v14
	v_add_nc_u32_e32 v1, 0x100, v0
	s_cbranch_vccnz .LBB61_50
; %bb.45:
	s_cmp_lg_u32 s28, 0
	s_mov_b32 s6, 0
	s_cbranch_scc0 .LBB61_51
; %bb.46:
	s_min_u32 s1, s29, 15
	s_delay_alu instid0(SALU_CYCLE_1)
	s_add_co_i32 s1, s1, 1
	s_cmp_eq_u32 s29, 2
	s_cbranch_scc1 .LBB61_52
; %bb.47:
	v_dual_mov_b32 v6, 0 :: v_dual_mov_b32 v7, 0
	v_mov_b32_e32 v8, v1
	s_and_b32 s0, s1, 28
	s_add_nc_u64 s[2:3], s[12:13], 0xc4
	s_mov_b32 s7, 0
	s_mov_b64 s[4:5], s[12:13]
.LBB61_48:                              ; =>This Inner Loop Header: Depth=1
	s_clause 0x1
	s_load_b256 s[16:23], s[4:5], 0x4
	s_load_b128 s[8:11], s[4:5], 0x24
	s_load_b256 s[36:43], s[2:3], 0x0
	s_add_co_i32 s7, s7, 4
	s_wait_xcnt 0x0
	s_add_nc_u64 s[4:5], s[4:5], 48
	s_cmp_lg_u32 s0, s7
	s_add_nc_u64 s[2:3], s[2:3], 32
	s_wait_kmcnt 0x0
	v_mul_hi_u32 v9, s17, v8
	s_delay_alu instid0(VALU_DEP_1) | instskip(NEXT) | instid1(VALU_DEP_1)
	v_add_nc_u32_e32 v9, v8, v9
	v_lshrrev_b32_e32 v9, s18, v9
	s_delay_alu instid0(VALU_DEP_1) | instskip(NEXT) | instid1(VALU_DEP_1)
	v_mul_hi_u32 v10, s20, v9
	v_add_nc_u32_e32 v10, v9, v10
	s_delay_alu instid0(VALU_DEP_1) | instskip(NEXT) | instid1(VALU_DEP_1)
	v_lshrrev_b32_e32 v10, s21, v10
	v_mul_hi_u32 v11, s23, v10
	s_delay_alu instid0(VALU_DEP_1) | instskip(SKIP_1) | instid1(VALU_DEP_1)
	v_add_nc_u32_e32 v11, v10, v11
	v_mul_lo_u32 v12, v9, s16
	v_sub_nc_u32_e32 v8, v8, v12
	v_mul_lo_u32 v12, v10, s19
	s_delay_alu instid0(VALU_DEP_4) | instskip(NEXT) | instid1(VALU_DEP_3)
	v_lshrrev_b32_e32 v11, s8, v11
	v_mad_u32 v7, v8, s37, v7
	v_mad_u32 v6, v8, s36, v6
	s_delay_alu instid0(VALU_DEP_4) | instskip(NEXT) | instid1(VALU_DEP_4)
	v_sub_nc_u32_e32 v8, v9, v12
	v_mul_hi_u32 v13, s10, v11
	v_mul_lo_u32 v9, v11, s22
	s_delay_alu instid0(VALU_DEP_3) | instskip(SKIP_1) | instid1(VALU_DEP_4)
	v_mad_u32 v7, v8, s39, v7
	v_mad_u32 v6, v8, s38, v6
	v_add_nc_u32_e32 v12, v11, v13
	s_delay_alu instid0(VALU_DEP_1) | instskip(NEXT) | instid1(VALU_DEP_1)
	v_dual_sub_nc_u32 v9, v10, v9 :: v_dual_lshrrev_b32 v8, s11, v12
	v_mad_u32 v7, v9, s41, v7
	s_delay_alu instid0(VALU_DEP_4) | instskip(NEXT) | instid1(VALU_DEP_3)
	v_mad_u32 v6, v9, s40, v6
	v_mul_lo_u32 v10, v8, s9
	s_delay_alu instid0(VALU_DEP_1) | instskip(NEXT) | instid1(VALU_DEP_1)
	v_sub_nc_u32_e32 v9, v11, v10
	v_mad_u32 v7, v9, s43, v7
	s_delay_alu instid0(VALU_DEP_4)
	v_mad_u32 v6, v9, s42, v6
	s_cbranch_scc1 .LBB61_48
; %bb.49:
	s_and_b32 s4, s1, 3
	s_mov_b32 s1, 0
	s_cmp_eq_u32 s4, 0
	s_cbranch_scc0 .LBB61_53
	s_branch .LBB61_55
.LBB61_50:
	s_mov_b32 s6, -1
                                        ; implicit-def: $vgpr7
	s_branch .LBB61_55
.LBB61_51:
	v_dual_mov_b32 v7, 0 :: v_dual_mov_b32 v6, 0
	s_branch .LBB61_55
.LBB61_52:
	v_mov_b64_e32 v[6:7], 0
	v_mov_b32_e32 v8, v1
	s_mov_b32 s0, 0
	s_and_b32 s4, s1, 3
	s_mov_b32 s1, 0
	s_cmp_eq_u32 s4, 0
	s_cbranch_scc1 .LBB61_55
.LBB61_53:
	s_lshl_b32 s2, s0, 3
	s_mov_b32 s3, s1
	s_mul_u64 s[8:9], s[0:1], 12
	s_add_nc_u64 s[2:3], s[12:13], s[2:3]
	s_delay_alu instid0(SALU_CYCLE_1)
	s_add_nc_u64 s[0:1], s[2:3], 0xc4
	s_add_nc_u64 s[2:3], s[12:13], s[8:9]
.LBB61_54:                              ; =>This Inner Loop Header: Depth=1
	s_load_b96 s[8:10], s[2:3], 0x4
	s_add_co_i32 s4, s4, -1
	s_wait_xcnt 0x0
	s_add_nc_u64 s[2:3], s[2:3], 12
	s_cmp_lg_u32 s4, 0
	s_wait_kmcnt 0x0
	v_mul_hi_u32 v9, s9, v8
	s_delay_alu instid0(VALU_DEP_1) | instskip(NEXT) | instid1(VALU_DEP_1)
	v_add_nc_u32_e32 v9, v8, v9
	v_lshrrev_b32_e32 v9, s10, v9
	s_load_b64 s[10:11], s[0:1], 0x0
	s_wait_xcnt 0x0
	s_add_nc_u64 s[0:1], s[0:1], 8
	s_delay_alu instid0(VALU_DEP_1) | instskip(NEXT) | instid1(VALU_DEP_1)
	v_mul_lo_u32 v10, v9, s8
	v_sub_nc_u32_e32 v8, v8, v10
	s_wait_kmcnt 0x0
	s_delay_alu instid0(VALU_DEP_1)
	v_mad_u32 v7, v8, s11, v7
	v_mad_u32 v6, v8, s10, v6
	v_mov_b32_e32 v8, v9
	s_cbranch_scc1 .LBB61_54
.LBB61_55:
	s_and_not1_b32 vcc_lo, exec_lo, s6
	s_cbranch_vccnz .LBB61_58
; %bb.56:
	s_clause 0x1
	s_load_b96 s[0:2], s[12:13], 0x4
	s_load_b64 s[4:5], s[12:13], 0xc4
	s_cmp_lt_u32 s28, 2
	s_wait_kmcnt 0x0
	v_mul_hi_u32 v6, s1, v1
	s_delay_alu instid0(VALU_DEP_1) | instskip(NEXT) | instid1(VALU_DEP_1)
	v_add_nc_u32_e32 v6, v1, v6
	v_lshrrev_b32_e32 v8, s2, v6
	s_delay_alu instid0(VALU_DEP_1) | instskip(NEXT) | instid1(VALU_DEP_1)
	v_mul_lo_u32 v6, v8, s0
	v_sub_nc_u32_e32 v1, v1, v6
	s_delay_alu instid0(VALU_DEP_1)
	v_mul_lo_u32 v7, v1, s5
	v_mul_lo_u32 v6, v1, s4
	s_cbranch_scc1 .LBB61_58
; %bb.57:
	s_clause 0x1
	s_load_b96 s[0:2], s[12:13], 0x10
	s_load_b64 s[4:5], s[12:13], 0xcc
	s_wait_kmcnt 0x0
	v_mul_hi_u32 v1, s1, v8
	s_delay_alu instid0(VALU_DEP_1) | instskip(NEXT) | instid1(VALU_DEP_1)
	v_add_nc_u32_e32 v1, v8, v1
	v_lshrrev_b32_e32 v1, s2, v1
	s_delay_alu instid0(VALU_DEP_1) | instskip(NEXT) | instid1(VALU_DEP_1)
	v_mul_lo_u32 v1, v1, s0
	v_sub_nc_u32_e32 v1, v8, v1
	s_delay_alu instid0(VALU_DEP_1)
	v_mad_u32 v6, v1, s4, v6
	v_mad_u32 v7, v1, s5, v7
.LBB61_58:
	v_cmp_ne_u32_e32 vcc_lo, 1, v14
	v_add_nc_u32_e32 v1, 0x180, v0
	s_cbranch_vccnz .LBB61_64
; %bb.59:
	s_cmp_lg_u32 s28, 0
	s_mov_b32 s6, 0
	s_cbranch_scc0 .LBB61_65
; %bb.60:
	s_min_u32 s1, s29, 15
	s_delay_alu instid0(SALU_CYCLE_1)
	s_add_co_i32 s1, s1, 1
	s_cmp_eq_u32 s29, 2
	s_cbranch_scc1 .LBB61_66
; %bb.61:
	v_dual_mov_b32 v8, 0 :: v_dual_mov_b32 v9, 0
	v_mov_b32_e32 v10, v1
	s_and_b32 s0, s1, 28
	s_add_nc_u64 s[2:3], s[12:13], 0xc4
	s_mov_b32 s7, 0
	s_mov_b64 s[4:5], s[12:13]
.LBB61_62:                              ; =>This Inner Loop Header: Depth=1
	s_clause 0x1
	s_load_b256 s[16:23], s[4:5], 0x4
	s_load_b128 s[8:11], s[4:5], 0x24
	s_load_b256 s[36:43], s[2:3], 0x0
	s_add_co_i32 s7, s7, 4
	s_wait_xcnt 0x0
	s_add_nc_u64 s[4:5], s[4:5], 48
	s_cmp_lg_u32 s0, s7
	s_add_nc_u64 s[2:3], s[2:3], 32
	s_wait_kmcnt 0x0
	v_mul_hi_u32 v11, s17, v10
	s_delay_alu instid0(VALU_DEP_1) | instskip(NEXT) | instid1(VALU_DEP_1)
	v_add_nc_u32_e32 v11, v10, v11
	v_lshrrev_b32_e32 v11, s18, v11
	s_delay_alu instid0(VALU_DEP_1) | instskip(NEXT) | instid1(VALU_DEP_1)
	v_mul_hi_u32 v12, s20, v11
	v_add_nc_u32_e32 v12, v11, v12
	s_delay_alu instid0(VALU_DEP_1) | instskip(NEXT) | instid1(VALU_DEP_1)
	v_lshrrev_b32_e32 v12, s21, v12
	v_mul_hi_u32 v13, s23, v12
	s_delay_alu instid0(VALU_DEP_1) | instskip(SKIP_1) | instid1(VALU_DEP_1)
	v_add_nc_u32_e32 v13, v12, v13
	v_mul_lo_u32 v15, v11, s16
	v_sub_nc_u32_e32 v10, v10, v15
	v_mul_lo_u32 v15, v12, s19
	s_delay_alu instid0(VALU_DEP_4) | instskip(NEXT) | instid1(VALU_DEP_3)
	v_lshrrev_b32_e32 v13, s8, v13
	v_mad_u32 v9, v10, s37, v9
	v_mad_u32 v8, v10, s36, v8
	s_delay_alu instid0(VALU_DEP_4) | instskip(NEXT) | instid1(VALU_DEP_4)
	v_sub_nc_u32_e32 v10, v11, v15
	v_mul_hi_u32 v17, s10, v13
	v_mul_lo_u32 v11, v13, s22
	s_delay_alu instid0(VALU_DEP_3) | instskip(SKIP_1) | instid1(VALU_DEP_3)
	v_mad_u32 v9, v10, s39, v9
	v_mad_u32 v8, v10, s38, v8
	v_dual_add_nc_u32 v15, v13, v17 :: v_dual_sub_nc_u32 v11, v12, v11
	s_delay_alu instid0(VALU_DEP_1) | instskip(NEXT) | instid1(VALU_DEP_2)
	v_lshrrev_b32_e32 v10, s11, v15
	v_mad_u32 v9, v11, s41, v9
	s_delay_alu instid0(VALU_DEP_4) | instskip(NEXT) | instid1(VALU_DEP_3)
	v_mad_u32 v8, v11, s40, v8
	v_mul_lo_u32 v12, v10, s9
	s_delay_alu instid0(VALU_DEP_1) | instskip(NEXT) | instid1(VALU_DEP_1)
	v_sub_nc_u32_e32 v11, v13, v12
	v_mad_u32 v9, v11, s43, v9
	s_delay_alu instid0(VALU_DEP_4)
	v_mad_u32 v8, v11, s42, v8
	s_cbranch_scc1 .LBB61_62
; %bb.63:
	s_and_b32 s4, s1, 3
	s_mov_b32 s1, 0
	s_cmp_eq_u32 s4, 0
	s_cbranch_scc0 .LBB61_67
	s_branch .LBB61_69
.LBB61_64:
	s_mov_b32 s6, -1
                                        ; implicit-def: $vgpr9
	s_branch .LBB61_69
.LBB61_65:
	v_dual_mov_b32 v9, 0 :: v_dual_mov_b32 v8, 0
	s_branch .LBB61_69
.LBB61_66:
	v_mov_b64_e32 v[8:9], 0
	v_mov_b32_e32 v10, v1
	s_mov_b32 s0, 0
	s_and_b32 s4, s1, 3
	s_mov_b32 s1, 0
	s_cmp_eq_u32 s4, 0
	s_cbranch_scc1 .LBB61_69
.LBB61_67:
	s_lshl_b32 s2, s0, 3
	s_mov_b32 s3, s1
	s_mul_u64 s[8:9], s[0:1], 12
	s_add_nc_u64 s[2:3], s[12:13], s[2:3]
	s_delay_alu instid0(SALU_CYCLE_1)
	s_add_nc_u64 s[0:1], s[2:3], 0xc4
	s_add_nc_u64 s[2:3], s[12:13], s[8:9]
.LBB61_68:                              ; =>This Inner Loop Header: Depth=1
	s_load_b96 s[8:10], s[2:3], 0x4
	s_add_co_i32 s4, s4, -1
	s_wait_xcnt 0x0
	s_add_nc_u64 s[2:3], s[2:3], 12
	s_cmp_lg_u32 s4, 0
	s_wait_kmcnt 0x0
	v_mul_hi_u32 v11, s9, v10
	s_delay_alu instid0(VALU_DEP_1) | instskip(NEXT) | instid1(VALU_DEP_1)
	v_add_nc_u32_e32 v11, v10, v11
	v_lshrrev_b32_e32 v11, s10, v11
	s_load_b64 s[10:11], s[0:1], 0x0
	s_wait_xcnt 0x0
	s_add_nc_u64 s[0:1], s[0:1], 8
	s_delay_alu instid0(VALU_DEP_1) | instskip(NEXT) | instid1(VALU_DEP_1)
	v_mul_lo_u32 v12, v11, s8
	v_sub_nc_u32_e32 v10, v10, v12
	s_wait_kmcnt 0x0
	s_delay_alu instid0(VALU_DEP_1)
	v_mad_u32 v9, v10, s11, v9
	v_mad_u32 v8, v10, s10, v8
	v_mov_b32_e32 v10, v11
	s_cbranch_scc1 .LBB61_68
.LBB61_69:
	s_and_not1_b32 vcc_lo, exec_lo, s6
	s_cbranch_vccnz .LBB61_72
; %bb.70:
	s_clause 0x1
	s_load_b96 s[0:2], s[12:13], 0x4
	s_load_b64 s[4:5], s[12:13], 0xc4
	s_cmp_lt_u32 s28, 2
	s_wait_kmcnt 0x0
	v_mul_hi_u32 v8, s1, v1
	s_delay_alu instid0(VALU_DEP_1) | instskip(NEXT) | instid1(VALU_DEP_1)
	v_add_nc_u32_e32 v8, v1, v8
	v_lshrrev_b32_e32 v10, s2, v8
	s_delay_alu instid0(VALU_DEP_1) | instskip(NEXT) | instid1(VALU_DEP_1)
	v_mul_lo_u32 v8, v10, s0
	v_sub_nc_u32_e32 v1, v1, v8
	s_delay_alu instid0(VALU_DEP_1)
	v_mul_lo_u32 v9, v1, s5
	v_mul_lo_u32 v8, v1, s4
	s_cbranch_scc1 .LBB61_72
; %bb.71:
	s_clause 0x1
	s_load_b96 s[0:2], s[12:13], 0x10
	s_load_b64 s[4:5], s[12:13], 0xcc
	s_wait_kmcnt 0x0
	v_mul_hi_u32 v1, s1, v10
	s_delay_alu instid0(VALU_DEP_1) | instskip(NEXT) | instid1(VALU_DEP_1)
	v_add_nc_u32_e32 v1, v10, v1
	v_lshrrev_b32_e32 v1, s2, v1
	s_delay_alu instid0(VALU_DEP_1) | instskip(NEXT) | instid1(VALU_DEP_1)
	v_mul_lo_u32 v1, v1, s0
	v_sub_nc_u32_e32 v1, v10, v1
	s_delay_alu instid0(VALU_DEP_1)
	v_mad_u32 v8, v1, s4, v8
	v_mad_u32 v9, v1, s5, v9
.LBB61_72:
	v_cmp_ne_u32_e32 vcc_lo, 1, v14
	v_add_nc_u32_e32 v1, 0x200, v0
	s_cbranch_vccnz .LBB61_78
; %bb.73:
	s_cmp_lg_u32 s28, 0
	s_mov_b32 s6, 0
	s_cbranch_scc0 .LBB61_79
; %bb.74:
	s_min_u32 s1, s29, 15
	s_delay_alu instid0(SALU_CYCLE_1)
	s_add_co_i32 s1, s1, 1
	s_cmp_eq_u32 s29, 2
	s_cbranch_scc1 .LBB61_80
; %bb.75:
	v_dual_mov_b32 v10, 0 :: v_dual_mov_b32 v11, 0
	v_mov_b32_e32 v12, v1
	s_and_b32 s0, s1, 28
	s_add_nc_u64 s[2:3], s[12:13], 0xc4
	s_mov_b32 s7, 0
	s_mov_b64 s[4:5], s[12:13]
.LBB61_76:                              ; =>This Inner Loop Header: Depth=1
	s_clause 0x1
	s_load_b256 s[16:23], s[4:5], 0x4
	s_load_b128 s[8:11], s[4:5], 0x24
	s_load_b256 s[36:43], s[2:3], 0x0
	s_add_co_i32 s7, s7, 4
	s_wait_xcnt 0x0
	s_add_nc_u64 s[4:5], s[4:5], 48
	s_cmp_lg_u32 s0, s7
	s_add_nc_u64 s[2:3], s[2:3], 32
	s_wait_kmcnt 0x0
	v_mul_hi_u32 v13, s17, v12
	s_delay_alu instid0(VALU_DEP_1) | instskip(NEXT) | instid1(VALU_DEP_1)
	v_add_nc_u32_e32 v13, v12, v13
	v_lshrrev_b32_e32 v13, s18, v13
	s_delay_alu instid0(VALU_DEP_1) | instskip(NEXT) | instid1(VALU_DEP_1)
	v_mul_lo_u32 v18, v13, s16
	v_sub_nc_u32_e32 v12, v12, v18
	v_mul_hi_u32 v15, s20, v13
	s_delay_alu instid0(VALU_DEP_2) | instskip(SKIP_1) | instid1(VALU_DEP_3)
	v_mad_u32 v11, v12, s37, v11
	v_mad_u32 v10, v12, s36, v10
	v_add_nc_u32_e32 v15, v13, v15
	s_delay_alu instid0(VALU_DEP_1) | instskip(NEXT) | instid1(VALU_DEP_1)
	v_lshrrev_b32_e32 v15, s21, v15
	v_mul_hi_u32 v17, s23, v15
	v_mul_lo_u32 v18, v15, s19
	s_delay_alu instid0(VALU_DEP_1) | instskip(NEXT) | instid1(VALU_DEP_1)
	v_dual_add_nc_u32 v17, v15, v17 :: v_dual_sub_nc_u32 v12, v13, v18
	v_lshrrev_b32_e32 v17, s8, v17
	s_delay_alu instid0(VALU_DEP_2) | instskip(SKIP_1) | instid1(VALU_DEP_3)
	v_mad_u32 v11, v12, s39, v11
	v_mad_u32 v10, v12, s38, v10
	v_mul_hi_u32 v19, s10, v17
	v_mul_lo_u32 v13, v17, s22
	s_delay_alu instid0(VALU_DEP_1) | instskip(NEXT) | instid1(VALU_DEP_1)
	v_dual_add_nc_u32 v18, v17, v19 :: v_dual_sub_nc_u32 v13, v15, v13
	v_lshrrev_b32_e32 v12, s11, v18
	s_delay_alu instid0(VALU_DEP_2) | instskip(SKIP_1) | instid1(VALU_DEP_3)
	v_mad_u32 v11, v13, s41, v11
	v_mad_u32 v10, v13, s40, v10
	v_mul_lo_u32 v15, v12, s9
	s_delay_alu instid0(VALU_DEP_1) | instskip(NEXT) | instid1(VALU_DEP_1)
	v_sub_nc_u32_e32 v13, v17, v15
	v_mad_u32 v11, v13, s43, v11
	s_delay_alu instid0(VALU_DEP_4)
	v_mad_u32 v10, v13, s42, v10
	s_cbranch_scc1 .LBB61_76
; %bb.77:
	s_and_b32 s4, s1, 3
	s_mov_b32 s1, 0
	s_cmp_eq_u32 s4, 0
	s_cbranch_scc0 .LBB61_81
	s_branch .LBB61_83
.LBB61_78:
	s_mov_b32 s6, -1
                                        ; implicit-def: $vgpr11
	s_branch .LBB61_83
.LBB61_79:
	v_dual_mov_b32 v11, 0 :: v_dual_mov_b32 v10, 0
	s_branch .LBB61_83
.LBB61_80:
	v_mov_b64_e32 v[10:11], 0
	v_mov_b32_e32 v12, v1
	s_mov_b32 s0, 0
	s_and_b32 s4, s1, 3
	s_mov_b32 s1, 0
	s_cmp_eq_u32 s4, 0
	s_cbranch_scc1 .LBB61_83
.LBB61_81:
	s_lshl_b32 s2, s0, 3
	s_mov_b32 s3, s1
	s_mul_u64 s[8:9], s[0:1], 12
	s_add_nc_u64 s[2:3], s[12:13], s[2:3]
	s_delay_alu instid0(SALU_CYCLE_1)
	s_add_nc_u64 s[0:1], s[2:3], 0xc4
	s_add_nc_u64 s[2:3], s[12:13], s[8:9]
.LBB61_82:                              ; =>This Inner Loop Header: Depth=1
	s_load_b96 s[8:10], s[2:3], 0x4
	s_add_co_i32 s4, s4, -1
	s_wait_xcnt 0x0
	s_add_nc_u64 s[2:3], s[2:3], 12
	s_cmp_lg_u32 s4, 0
	s_wait_kmcnt 0x0
	v_mul_hi_u32 v13, s9, v12
	s_delay_alu instid0(VALU_DEP_1) | instskip(NEXT) | instid1(VALU_DEP_1)
	v_add_nc_u32_e32 v13, v12, v13
	v_lshrrev_b32_e32 v13, s10, v13
	s_load_b64 s[10:11], s[0:1], 0x0
	s_wait_xcnt 0x0
	s_add_nc_u64 s[0:1], s[0:1], 8
	s_delay_alu instid0(VALU_DEP_1) | instskip(NEXT) | instid1(VALU_DEP_1)
	v_mul_lo_u32 v15, v13, s8
	v_sub_nc_u32_e32 v12, v12, v15
	s_wait_kmcnt 0x0
	s_delay_alu instid0(VALU_DEP_1)
	v_mad_u32 v11, v12, s11, v11
	v_mad_u32 v10, v12, s10, v10
	v_mov_b32_e32 v12, v13
	s_cbranch_scc1 .LBB61_82
.LBB61_83:
	s_and_not1_b32 vcc_lo, exec_lo, s6
	s_cbranch_vccnz .LBB61_86
; %bb.84:
	s_clause 0x1
	s_load_b96 s[0:2], s[12:13], 0x4
	s_load_b64 s[4:5], s[12:13], 0xc4
	s_cmp_lt_u32 s28, 2
	s_wait_kmcnt 0x0
	v_mul_hi_u32 v10, s1, v1
	s_delay_alu instid0(VALU_DEP_1) | instskip(NEXT) | instid1(VALU_DEP_1)
	v_add_nc_u32_e32 v10, v1, v10
	v_lshrrev_b32_e32 v12, s2, v10
	s_delay_alu instid0(VALU_DEP_1) | instskip(NEXT) | instid1(VALU_DEP_1)
	v_mul_lo_u32 v10, v12, s0
	v_sub_nc_u32_e32 v1, v1, v10
	s_delay_alu instid0(VALU_DEP_1)
	v_mul_lo_u32 v11, v1, s5
	v_mul_lo_u32 v10, v1, s4
	s_cbranch_scc1 .LBB61_86
; %bb.85:
	s_clause 0x1
	s_load_b96 s[0:2], s[12:13], 0x10
	s_load_b64 s[4:5], s[12:13], 0xcc
	s_wait_kmcnt 0x0
	v_mul_hi_u32 v1, s1, v12
	s_delay_alu instid0(VALU_DEP_1) | instskip(NEXT) | instid1(VALU_DEP_1)
	v_add_nc_u32_e32 v1, v12, v1
	v_lshrrev_b32_e32 v1, s2, v1
	s_delay_alu instid0(VALU_DEP_1) | instskip(NEXT) | instid1(VALU_DEP_1)
	v_mul_lo_u32 v1, v1, s0
	v_sub_nc_u32_e32 v1, v12, v1
	s_delay_alu instid0(VALU_DEP_1)
	v_mad_u32 v10, v1, s4, v10
	v_mad_u32 v11, v1, s5, v11
.LBB61_86:
	v_cmp_ne_u32_e32 vcc_lo, 1, v14
	v_add_nc_u32_e32 v1, 0x280, v0
	s_cbranch_vccnz .LBB61_92
; %bb.87:
	s_cmp_lg_u32 s28, 0
	s_mov_b32 s6, 0
	s_cbranch_scc0 .LBB61_93
; %bb.88:
	s_min_u32 s1, s29, 15
	s_delay_alu instid0(SALU_CYCLE_1)
	s_add_co_i32 s1, s1, 1
	s_cmp_eq_u32 s29, 2
	s_cbranch_scc1 .LBB61_94
; %bb.89:
	v_dual_mov_b32 v12, 0 :: v_dual_mov_b32 v13, 0
	v_mov_b32_e32 v15, v1
	s_and_b32 s0, s1, 28
	s_add_nc_u64 s[2:3], s[12:13], 0xc4
	s_mov_b32 s7, 0
	s_mov_b64 s[4:5], s[12:13]
.LBB61_90:                              ; =>This Inner Loop Header: Depth=1
	s_clause 0x1
	s_load_b256 s[16:23], s[4:5], 0x4
	s_load_b128 s[8:11], s[4:5], 0x24
	s_load_b256 s[36:43], s[2:3], 0x0
	s_add_co_i32 s7, s7, 4
	s_wait_xcnt 0x0
	s_add_nc_u64 s[4:5], s[4:5], 48
	s_cmp_lg_u32 s0, s7
	s_add_nc_u64 s[2:3], s[2:3], 32
	s_wait_kmcnt 0x0
	v_mul_hi_u32 v17, s17, v15
	s_delay_alu instid0(VALU_DEP_1) | instskip(NEXT) | instid1(VALU_DEP_1)
	v_add_nc_u32_e32 v17, v15, v17
	v_lshrrev_b32_e32 v17, s18, v17
	s_delay_alu instid0(VALU_DEP_1) | instskip(NEXT) | instid1(VALU_DEP_1)
	v_mul_hi_u32 v18, s20, v17
	v_add_nc_u32_e32 v18, v17, v18
	s_delay_alu instid0(VALU_DEP_1) | instskip(NEXT) | instid1(VALU_DEP_1)
	v_lshrrev_b32_e32 v18, s21, v18
	v_mul_hi_u32 v19, s23, v18
	s_delay_alu instid0(VALU_DEP_1) | instskip(SKIP_1) | instid1(VALU_DEP_1)
	v_add_nc_u32_e32 v19, v18, v19
	v_mul_lo_u32 v20, v17, s16
	v_sub_nc_u32_e32 v15, v15, v20
	v_mul_lo_u32 v20, v18, s19
	s_delay_alu instid0(VALU_DEP_4) | instskip(NEXT) | instid1(VALU_DEP_3)
	v_lshrrev_b32_e32 v19, s8, v19
	v_mad_u32 v13, v15, s37, v13
	v_mad_u32 v12, v15, s36, v12
	s_delay_alu instid0(VALU_DEP_4) | instskip(NEXT) | instid1(VALU_DEP_4)
	v_sub_nc_u32_e32 v15, v17, v20
	v_mul_hi_u32 v21, s10, v19
	v_mul_lo_u32 v17, v19, s22
	s_delay_alu instid0(VALU_DEP_3) | instskip(SKIP_1) | instid1(VALU_DEP_4)
	v_mad_u32 v13, v15, s39, v13
	v_mad_u32 v12, v15, s38, v12
	v_add_nc_u32_e32 v20, v19, v21
	s_delay_alu instid0(VALU_DEP_1) | instskip(NEXT) | instid1(VALU_DEP_1)
	v_dual_sub_nc_u32 v17, v18, v17 :: v_dual_lshrrev_b32 v15, s11, v20
	v_mad_u32 v13, v17, s41, v13
	s_delay_alu instid0(VALU_DEP_4) | instskip(NEXT) | instid1(VALU_DEP_3)
	v_mad_u32 v12, v17, s40, v12
	v_mul_lo_u32 v18, v15, s9
	s_delay_alu instid0(VALU_DEP_1) | instskip(NEXT) | instid1(VALU_DEP_1)
	v_sub_nc_u32_e32 v17, v19, v18
	v_mad_u32 v13, v17, s43, v13
	s_delay_alu instid0(VALU_DEP_4)
	v_mad_u32 v12, v17, s42, v12
	s_cbranch_scc1 .LBB61_90
; %bb.91:
	s_and_b32 s4, s1, 3
	s_mov_b32 s1, 0
	s_cmp_eq_u32 s4, 0
	s_cbranch_scc0 .LBB61_95
	s_branch .LBB61_97
.LBB61_92:
	s_mov_b32 s6, -1
                                        ; implicit-def: $vgpr13
	s_branch .LBB61_97
.LBB61_93:
	v_dual_mov_b32 v13, 0 :: v_dual_mov_b32 v12, 0
	s_branch .LBB61_97
.LBB61_94:
	v_mov_b64_e32 v[12:13], 0
	v_mov_b32_e32 v15, v1
	s_mov_b32 s0, 0
	s_and_b32 s4, s1, 3
	s_mov_b32 s1, 0
	s_cmp_eq_u32 s4, 0
	s_cbranch_scc1 .LBB61_97
.LBB61_95:
	s_lshl_b32 s2, s0, 3
	s_mov_b32 s3, s1
	s_mul_u64 s[8:9], s[0:1], 12
	s_add_nc_u64 s[2:3], s[12:13], s[2:3]
	s_delay_alu instid0(SALU_CYCLE_1)
	s_add_nc_u64 s[0:1], s[2:3], 0xc4
	s_add_nc_u64 s[2:3], s[12:13], s[8:9]
.LBB61_96:                              ; =>This Inner Loop Header: Depth=1
	s_load_b96 s[8:10], s[2:3], 0x4
	s_add_co_i32 s4, s4, -1
	s_wait_xcnt 0x0
	s_add_nc_u64 s[2:3], s[2:3], 12
	s_cmp_lg_u32 s4, 0
	s_wait_kmcnt 0x0
	v_mul_hi_u32 v17, s9, v15
	s_delay_alu instid0(VALU_DEP_1) | instskip(NEXT) | instid1(VALU_DEP_1)
	v_add_nc_u32_e32 v17, v15, v17
	v_lshrrev_b32_e32 v17, s10, v17
	s_load_b64 s[10:11], s[0:1], 0x0
	s_wait_xcnt 0x0
	s_add_nc_u64 s[0:1], s[0:1], 8
	s_delay_alu instid0(VALU_DEP_1) | instskip(NEXT) | instid1(VALU_DEP_1)
	v_mul_lo_u32 v18, v17, s8
	v_sub_nc_u32_e32 v15, v15, v18
	s_wait_kmcnt 0x0
	s_delay_alu instid0(VALU_DEP_1)
	v_mad_u32 v13, v15, s11, v13
	v_mad_u32 v12, v15, s10, v12
	v_mov_b32_e32 v15, v17
	s_cbranch_scc1 .LBB61_96
.LBB61_97:
	s_and_not1_b32 vcc_lo, exec_lo, s6
	s_cbranch_vccnz .LBB61_100
; %bb.98:
	s_clause 0x1
	s_load_b96 s[0:2], s[12:13], 0x4
	s_load_b64 s[4:5], s[12:13], 0xc4
	s_cmp_lt_u32 s28, 2
	s_wait_kmcnt 0x0
	v_mul_hi_u32 v12, s1, v1
	s_delay_alu instid0(VALU_DEP_1) | instskip(NEXT) | instid1(VALU_DEP_1)
	v_add_nc_u32_e32 v12, v1, v12
	v_lshrrev_b32_e32 v15, s2, v12
	s_delay_alu instid0(VALU_DEP_1) | instskip(NEXT) | instid1(VALU_DEP_1)
	v_mul_lo_u32 v12, v15, s0
	v_sub_nc_u32_e32 v1, v1, v12
	s_delay_alu instid0(VALU_DEP_1)
	v_mul_lo_u32 v13, v1, s5
	v_mul_lo_u32 v12, v1, s4
	s_cbranch_scc1 .LBB61_100
; %bb.99:
	s_clause 0x1
	s_load_b96 s[0:2], s[12:13], 0x10
	s_load_b64 s[4:5], s[12:13], 0xcc
	s_wait_kmcnt 0x0
	v_mul_hi_u32 v1, s1, v15
	s_delay_alu instid0(VALU_DEP_1) | instskip(NEXT) | instid1(VALU_DEP_1)
	v_add_nc_u32_e32 v1, v15, v1
	v_lshrrev_b32_e32 v1, s2, v1
	s_delay_alu instid0(VALU_DEP_1) | instskip(NEXT) | instid1(VALU_DEP_1)
	v_mul_lo_u32 v1, v1, s0
	v_sub_nc_u32_e32 v1, v15, v1
	s_delay_alu instid0(VALU_DEP_1)
	v_mad_u32 v12, v1, s4, v12
	v_mad_u32 v13, v1, s5, v13
.LBB61_100:
	v_cmp_ne_u32_e32 vcc_lo, 1, v14
	v_add_nc_u32_e32 v15, 0x300, v0
	s_cbranch_vccnz .LBB61_106
; %bb.101:
	s_cmp_lg_u32 s28, 0
	s_mov_b32 s6, 0
	s_cbranch_scc0 .LBB61_107
; %bb.102:
	s_min_u32 s1, s29, 15
	s_delay_alu instid0(SALU_CYCLE_1)
	s_add_co_i32 s1, s1, 1
	s_cmp_eq_u32 s29, 2
	s_cbranch_scc1 .LBB61_108
; %bb.103:
	v_dual_mov_b32 v0, 0 :: v_dual_mov_b32 v1, 0
	v_mov_b32_e32 v17, v15
	s_and_b32 s0, s1, 28
	s_add_nc_u64 s[2:3], s[12:13], 0xc4
	s_mov_b32 s7, 0
	s_mov_b64 s[4:5], s[12:13]
.LBB61_104:                             ; =>This Inner Loop Header: Depth=1
	s_clause 0x1
	s_load_b256 s[16:23], s[4:5], 0x4
	s_load_b128 s[8:11], s[4:5], 0x24
	s_load_b256 s[36:43], s[2:3], 0x0
	s_add_co_i32 s7, s7, 4
	s_wait_xcnt 0x0
	s_add_nc_u64 s[4:5], s[4:5], 48
	s_cmp_lg_u32 s0, s7
	s_add_nc_u64 s[2:3], s[2:3], 32
	s_wait_kmcnt 0x0
	v_mul_hi_u32 v18, s17, v17
	s_delay_alu instid0(VALU_DEP_1) | instskip(NEXT) | instid1(VALU_DEP_1)
	v_add_nc_u32_e32 v18, v17, v18
	v_lshrrev_b32_e32 v18, s18, v18
	s_delay_alu instid0(VALU_DEP_1) | instskip(NEXT) | instid1(VALU_DEP_1)
	v_mul_hi_u32 v19, s20, v18
	v_add_nc_u32_e32 v19, v18, v19
	s_delay_alu instid0(VALU_DEP_1) | instskip(NEXT) | instid1(VALU_DEP_1)
	v_lshrrev_b32_e32 v19, s21, v19
	v_mul_hi_u32 v20, s23, v19
	s_delay_alu instid0(VALU_DEP_1) | instskip(SKIP_1) | instid1(VALU_DEP_1)
	v_add_nc_u32_e32 v20, v19, v20
	v_mul_lo_u32 v21, v18, s16
	v_sub_nc_u32_e32 v17, v17, v21
	v_mul_lo_u32 v21, v19, s19
	s_delay_alu instid0(VALU_DEP_4) | instskip(NEXT) | instid1(VALU_DEP_3)
	v_lshrrev_b32_e32 v20, s8, v20
	v_mad_u32 v1, v17, s37, v1
	v_mad_u32 v0, v17, s36, v0
	s_delay_alu instid0(VALU_DEP_4) | instskip(NEXT) | instid1(VALU_DEP_4)
	v_sub_nc_u32_e32 v17, v18, v21
	v_mul_hi_u32 v22, s10, v20
	v_mul_lo_u32 v18, v20, s22
	s_delay_alu instid0(VALU_DEP_3) | instskip(SKIP_1) | instid1(VALU_DEP_4)
	v_mad_u32 v1, v17, s39, v1
	v_mad_u32 v0, v17, s38, v0
	v_add_nc_u32_e32 v21, v20, v22
	s_delay_alu instid0(VALU_DEP_1) | instskip(NEXT) | instid1(VALU_DEP_1)
	v_dual_sub_nc_u32 v18, v19, v18 :: v_dual_lshrrev_b32 v17, s11, v21
	v_mad_u32 v1, v18, s41, v1
	s_delay_alu instid0(VALU_DEP_4) | instskip(NEXT) | instid1(VALU_DEP_3)
	v_mad_u32 v0, v18, s40, v0
	v_mul_lo_u32 v19, v17, s9
	s_delay_alu instid0(VALU_DEP_1) | instskip(NEXT) | instid1(VALU_DEP_1)
	v_sub_nc_u32_e32 v18, v20, v19
	v_mad_u32 v1, v18, s43, v1
	s_delay_alu instid0(VALU_DEP_4)
	v_mad_u32 v0, v18, s42, v0
	s_cbranch_scc1 .LBB61_104
; %bb.105:
	s_and_b32 s4, s1, 3
	s_mov_b32 s1, 0
	s_cmp_eq_u32 s4, 0
	s_cbranch_scc0 .LBB61_109
	s_branch .LBB61_111
.LBB61_106:
	s_mov_b32 s6, -1
                                        ; implicit-def: $vgpr1
	s_branch .LBB61_111
.LBB61_107:
	v_dual_mov_b32 v1, 0 :: v_dual_mov_b32 v0, 0
	s_branch .LBB61_111
.LBB61_108:
	v_mov_b64_e32 v[0:1], 0
	v_mov_b32_e32 v17, v15
	s_mov_b32 s0, 0
	s_and_b32 s4, s1, 3
	s_mov_b32 s1, 0
	s_cmp_eq_u32 s4, 0
	s_cbranch_scc1 .LBB61_111
.LBB61_109:
	s_lshl_b32 s2, s0, 3
	s_mov_b32 s3, s1
	s_mul_u64 s[8:9], s[0:1], 12
	s_add_nc_u64 s[2:3], s[12:13], s[2:3]
	s_delay_alu instid0(SALU_CYCLE_1)
	s_add_nc_u64 s[0:1], s[2:3], 0xc4
	s_add_nc_u64 s[2:3], s[12:13], s[8:9]
.LBB61_110:                             ; =>This Inner Loop Header: Depth=1
	s_load_b96 s[8:10], s[2:3], 0x4
	s_add_co_i32 s4, s4, -1
	s_wait_xcnt 0x0
	s_add_nc_u64 s[2:3], s[2:3], 12
	s_cmp_lg_u32 s4, 0
	s_wait_kmcnt 0x0
	v_mul_hi_u32 v18, s9, v17
	s_delay_alu instid0(VALU_DEP_1) | instskip(NEXT) | instid1(VALU_DEP_1)
	v_add_nc_u32_e32 v18, v17, v18
	v_lshrrev_b32_e32 v18, s10, v18
	s_load_b64 s[10:11], s[0:1], 0x0
	s_wait_xcnt 0x0
	s_add_nc_u64 s[0:1], s[0:1], 8
	s_delay_alu instid0(VALU_DEP_1) | instskip(NEXT) | instid1(VALU_DEP_1)
	v_mul_lo_u32 v19, v18, s8
	v_sub_nc_u32_e32 v17, v17, v19
	s_wait_kmcnt 0x0
	s_delay_alu instid0(VALU_DEP_1)
	v_mad_u32 v1, v17, s11, v1
	v_mad_u32 v0, v17, s10, v0
	v_mov_b32_e32 v17, v18
	s_cbranch_scc1 .LBB61_110
.LBB61_111:
	s_and_not1_b32 vcc_lo, exec_lo, s6
	s_cbranch_vccnz .LBB61_114
; %bb.112:
	s_clause 0x1
	s_load_b96 s[0:2], s[12:13], 0x4
	s_load_b64 s[4:5], s[12:13], 0xc4
	s_cmp_lt_u32 s28, 2
	s_wait_kmcnt 0x0
	v_mul_hi_u32 v0, s1, v15
	s_delay_alu instid0(VALU_DEP_1) | instskip(NEXT) | instid1(VALU_DEP_1)
	v_add_nc_u32_e32 v0, v15, v0
	v_lshrrev_b32_e32 v17, s2, v0
	s_delay_alu instid0(VALU_DEP_1) | instskip(NEXT) | instid1(VALU_DEP_1)
	v_mul_lo_u32 v0, v17, s0
	v_sub_nc_u32_e32 v0, v15, v0
	s_delay_alu instid0(VALU_DEP_1)
	v_mul_lo_u32 v1, v0, s5
	v_mul_lo_u32 v0, v0, s4
	s_cbranch_scc1 .LBB61_114
; %bb.113:
	s_clause 0x1
	s_load_b96 s[0:2], s[12:13], 0x10
	s_load_b64 s[4:5], s[12:13], 0xcc
	s_wait_kmcnt 0x0
	v_mul_hi_u32 v15, s1, v17
	s_delay_alu instid0(VALU_DEP_1) | instskip(NEXT) | instid1(VALU_DEP_1)
	v_add_nc_u32_e32 v15, v17, v15
	v_lshrrev_b32_e32 v15, s2, v15
	s_delay_alu instid0(VALU_DEP_1) | instskip(NEXT) | instid1(VALU_DEP_1)
	v_mul_lo_u32 v15, v15, s0
	v_sub_nc_u32_e32 v15, v17, v15
	s_delay_alu instid0(VALU_DEP_1)
	v_mad_u32 v0, v15, s4, v0
	v_mad_u32 v1, v15, s5, v1
.LBB61_114:
	v_cmp_ne_u32_e32 vcc_lo, 1, v14
	s_cbranch_vccnz .LBB61_120
; %bb.115:
	s_cmp_lg_u32 s28, 0
	s_mov_b32 s6, 0
	s_cbranch_scc0 .LBB61_121
; %bb.116:
	s_min_u32 s1, s29, 15
	s_delay_alu instid0(SALU_CYCLE_1)
	s_add_co_i32 s1, s1, 1
	s_cmp_eq_u32 s29, 2
	s_cbranch_scc1 .LBB61_122
; %bb.117:
	v_dual_mov_b32 v14, 0 :: v_dual_mov_b32 v15, 0
	v_mov_b32_e32 v17, v16
	s_and_b32 s0, s1, 28
	s_add_nc_u64 s[2:3], s[12:13], 0xc4
	s_mov_b32 s7, 0
	s_mov_b64 s[4:5], s[12:13]
.LBB61_118:                             ; =>This Inner Loop Header: Depth=1
	s_clause 0x1
	s_load_b256 s[16:23], s[4:5], 0x4
	s_load_b128 s[8:11], s[4:5], 0x24
	s_load_b256 s[36:43], s[2:3], 0x0
	s_add_co_i32 s7, s7, 4
	s_wait_xcnt 0x0
	s_add_nc_u64 s[4:5], s[4:5], 48
	s_cmp_lg_u32 s0, s7
	s_add_nc_u64 s[2:3], s[2:3], 32
	s_wait_kmcnt 0x0
	v_mul_hi_u32 v18, s17, v17
	s_delay_alu instid0(VALU_DEP_1) | instskip(NEXT) | instid1(VALU_DEP_1)
	v_add_nc_u32_e32 v18, v17, v18
	v_lshrrev_b32_e32 v18, s18, v18
	s_delay_alu instid0(VALU_DEP_1) | instskip(NEXT) | instid1(VALU_DEP_1)
	v_mul_hi_u32 v19, s20, v18
	v_add_nc_u32_e32 v19, v18, v19
	s_delay_alu instid0(VALU_DEP_1) | instskip(NEXT) | instid1(VALU_DEP_1)
	v_lshrrev_b32_e32 v19, s21, v19
	v_mul_hi_u32 v20, s23, v19
	s_delay_alu instid0(VALU_DEP_1) | instskip(SKIP_1) | instid1(VALU_DEP_1)
	v_add_nc_u32_e32 v20, v19, v20
	v_mul_lo_u32 v21, v18, s16
	v_sub_nc_u32_e32 v17, v17, v21
	v_mul_lo_u32 v21, v19, s19
	s_delay_alu instid0(VALU_DEP_4) | instskip(NEXT) | instid1(VALU_DEP_3)
	v_lshrrev_b32_e32 v20, s8, v20
	v_mad_u32 v15, v17, s37, v15
	v_mad_u32 v14, v17, s36, v14
	s_delay_alu instid0(VALU_DEP_4) | instskip(NEXT) | instid1(VALU_DEP_4)
	v_sub_nc_u32_e32 v17, v18, v21
	v_mul_hi_u32 v22, s10, v20
	v_mul_lo_u32 v18, v20, s22
	s_delay_alu instid0(VALU_DEP_3) | instskip(SKIP_1) | instid1(VALU_DEP_4)
	v_mad_u32 v15, v17, s39, v15
	v_mad_u32 v14, v17, s38, v14
	v_add_nc_u32_e32 v21, v20, v22
	s_delay_alu instid0(VALU_DEP_1) | instskip(NEXT) | instid1(VALU_DEP_1)
	v_dual_sub_nc_u32 v18, v19, v18 :: v_dual_lshrrev_b32 v17, s11, v21
	v_mad_u32 v15, v18, s41, v15
	s_delay_alu instid0(VALU_DEP_4) | instskip(NEXT) | instid1(VALU_DEP_3)
	v_mad_u32 v14, v18, s40, v14
	v_mul_lo_u32 v19, v17, s9
	s_delay_alu instid0(VALU_DEP_1) | instskip(NEXT) | instid1(VALU_DEP_1)
	v_sub_nc_u32_e32 v18, v20, v19
	v_mad_u32 v15, v18, s43, v15
	s_delay_alu instid0(VALU_DEP_4)
	v_mad_u32 v14, v18, s42, v14
	s_cbranch_scc1 .LBB61_118
; %bb.119:
	s_and_b32 s4, s1, 3
	s_mov_b32 s1, 0
	s_cmp_eq_u32 s4, 0
	s_cbranch_scc0 .LBB61_123
	s_branch .LBB61_125
.LBB61_120:
	s_mov_b32 s6, -1
                                        ; implicit-def: $vgpr15
	s_branch .LBB61_125
.LBB61_121:
	v_dual_mov_b32 v15, 0 :: v_dual_mov_b32 v14, 0
	s_branch .LBB61_125
.LBB61_122:
	v_mov_b64_e32 v[14:15], 0
	v_mov_b32_e32 v17, v16
	s_mov_b32 s0, 0
	s_and_b32 s4, s1, 3
	s_mov_b32 s1, 0
	s_cmp_eq_u32 s4, 0
	s_cbranch_scc1 .LBB61_125
.LBB61_123:
	s_lshl_b32 s2, s0, 3
	s_mov_b32 s3, s1
	s_mul_u64 s[8:9], s[0:1], 12
	s_add_nc_u64 s[2:3], s[12:13], s[2:3]
	s_delay_alu instid0(SALU_CYCLE_1)
	s_add_nc_u64 s[0:1], s[2:3], 0xc4
	s_add_nc_u64 s[2:3], s[12:13], s[8:9]
.LBB61_124:                             ; =>This Inner Loop Header: Depth=1
	s_load_b96 s[8:10], s[2:3], 0x4
	s_add_co_i32 s4, s4, -1
	s_wait_xcnt 0x0
	s_add_nc_u64 s[2:3], s[2:3], 12
	s_cmp_lg_u32 s4, 0
	s_wait_kmcnt 0x0
	v_mul_hi_u32 v18, s9, v17
	s_delay_alu instid0(VALU_DEP_1) | instskip(NEXT) | instid1(VALU_DEP_1)
	v_add_nc_u32_e32 v18, v17, v18
	v_lshrrev_b32_e32 v18, s10, v18
	s_load_b64 s[10:11], s[0:1], 0x0
	s_wait_xcnt 0x0
	s_add_nc_u64 s[0:1], s[0:1], 8
	s_delay_alu instid0(VALU_DEP_1) | instskip(NEXT) | instid1(VALU_DEP_1)
	v_mul_lo_u32 v19, v18, s8
	v_sub_nc_u32_e32 v17, v17, v19
	s_wait_kmcnt 0x0
	s_delay_alu instid0(VALU_DEP_1)
	v_mad_u32 v15, v17, s11, v15
	v_mad_u32 v14, v17, s10, v14
	v_mov_b32_e32 v17, v18
	s_cbranch_scc1 .LBB61_124
.LBB61_125:
	s_and_not1_b32 vcc_lo, exec_lo, s6
	s_cbranch_vccnz .LBB61_128
; %bb.126:
	s_clause 0x1
	s_load_b96 s[0:2], s[12:13], 0x4
	s_load_b64 s[4:5], s[12:13], 0xc4
	s_cmp_lt_u32 s28, 2
	s_wait_kmcnt 0x0
	v_mul_hi_u32 v14, s1, v16
	s_delay_alu instid0(VALU_DEP_1) | instskip(NEXT) | instid1(VALU_DEP_1)
	v_add_nc_u32_e32 v14, v16, v14
	v_lshrrev_b32_e32 v17, s2, v14
	s_delay_alu instid0(VALU_DEP_1) | instskip(NEXT) | instid1(VALU_DEP_1)
	v_mul_lo_u32 v14, v17, s0
	v_sub_nc_u32_e32 v14, v16, v14
	s_delay_alu instid0(VALU_DEP_1)
	v_mul_lo_u32 v15, v14, s5
	v_mul_lo_u32 v14, v14, s4
	s_cbranch_scc1 .LBB61_128
; %bb.127:
	s_clause 0x1
	s_load_b96 s[0:2], s[12:13], 0x10
	s_load_b64 s[4:5], s[12:13], 0xcc
	s_wait_kmcnt 0x0
	v_mul_hi_u32 v16, s1, v17
	s_delay_alu instid0(VALU_DEP_1) | instskip(NEXT) | instid1(VALU_DEP_1)
	v_add_nc_u32_e32 v16, v17, v16
	v_lshrrev_b32_e32 v16, s2, v16
	s_delay_alu instid0(VALU_DEP_1) | instskip(NEXT) | instid1(VALU_DEP_1)
	v_mul_lo_u32 v16, v16, s0
	v_sub_nc_u32_e32 v16, v17, v16
	s_delay_alu instid0(VALU_DEP_1)
	v_mad_u32 v14, v16, s4, v14
	v_mad_u32 v15, v16, s5, v15
.LBB61_128:
	s_load_b128 s[0:3], s[12:13], 0x148
	s_wait_kmcnt 0x0
	s_clause 0x7
	global_load_u16 v16, v3, s[2:3]
	global_load_u16 v17, v5, s[2:3]
	;; [unrolled: 1-line block ×8, first 2 shown]
	s_wait_loadcnt 0x6
	s_wait_xcnt 0x1
	v_dual_lshlrev_b32 v1, 16, v16 :: v_dual_lshlrev_b32 v3, 16, v17
	s_wait_loadcnt 0x4
	v_dual_lshlrev_b32 v5, 16, v18 :: v_dual_lshlrev_b32 v7, 16, v19
	s_wait_loadcnt 0x2
	v_dual_lshlrev_b32 v9, 16, v20 :: v_dual_lshlrev_b32 v11, 16, v21
	v_cmp_eq_f32_e32 vcc_lo, 0x7f800000, v1
	s_wait_loadcnt 0x0
	v_dual_lshlrev_b32 v13, 16, v22 :: v_dual_lshlrev_b32 v15, 16, v23
	v_cndmask_b32_e64 v1, 0, 1, vcc_lo
	v_cmp_eq_f32_e32 vcc_lo, 0x7f800000, v3
	v_cndmask_b32_e64 v3, 0, 1, vcc_lo
	v_cmp_eq_f32_e32 vcc_lo, 0x7f800000, v5
	;; [unrolled: 2-line block ×7, first 2 shown]
	v_cndmask_b32_e64 v15, 0, 1, vcc_lo
	s_clause 0x7
	global_store_b8 v2, v1, s[0:1]
	global_store_b8 v4, v3, s[0:1]
	;; [unrolled: 1-line block ×8, first 2 shown]
	s_endpgm
.LBB61_129:
	v_dual_mov_b32 v3, 0 :: v_dual_mov_b32 v2, 0
	s_branch .LBB61_135
.LBB61_130:
	v_dual_mov_b32 v3, 0 :: v_dual_mov_b32 v2, 0
	s_branch .LBB61_151
.LBB61_131:
	v_mov_b64_e32 v[2:3], 0
	v_mov_b32_e32 v1, v0
	s_mov_b32 s22, 0
.LBB61_132:
	s_and_b32 s14, s14, 3
	s_mov_b32 s23, 0
	s_cmp_eq_u32 s14, 0
	s_cbranch_scc1 .LBB61_135
; %bb.133:
	s_lshl_b32 s24, s22, 3
	s_mov_b32 s25, s23
	s_mul_u64 s[26:27], s[22:23], 12
	s_add_nc_u64 s[24:25], s[12:13], s[24:25]
	s_delay_alu instid0(SALU_CYCLE_1)
	s_add_nc_u64 s[22:23], s[24:25], 0xc4
	s_add_nc_u64 s[24:25], s[12:13], s[26:27]
.LBB61_134:                             ; =>This Inner Loop Header: Depth=1
	s_load_b96 s[40:42], s[24:25], 0x4
	s_load_b64 s[26:27], s[22:23], 0x0
	s_add_co_i32 s14, s14, -1
	s_wait_xcnt 0x0
	s_add_nc_u64 s[24:25], s[24:25], 12
	s_cmp_lg_u32 s14, 0
	s_add_nc_u64 s[22:23], s[22:23], 8
	s_wait_kmcnt 0x0
	v_mul_hi_u32 v4, s41, v1
	s_delay_alu instid0(VALU_DEP_1) | instskip(NEXT) | instid1(VALU_DEP_1)
	v_add_nc_u32_e32 v4, v1, v4
	v_lshrrev_b32_e32 v4, s42, v4
	s_delay_alu instid0(VALU_DEP_1) | instskip(NEXT) | instid1(VALU_DEP_1)
	v_mul_lo_u32 v5, v4, s40
	v_sub_nc_u32_e32 v1, v1, v5
	s_delay_alu instid0(VALU_DEP_1)
	v_mad_u32 v3, v1, s27, v3
	v_mad_u32 v2, v1, s26, v2
	v_mov_b32_e32 v1, v4
	s_cbranch_scc1 .LBB61_134
.LBB61_135:
	s_cbranch_execnz .LBB61_138
.LBB61_136:
	v_mov_b32_e32 v1, 0
	s_and_not1_b32 vcc_lo, exec_lo, s33
	s_delay_alu instid0(VALU_DEP_1) | instskip(NEXT) | instid1(VALU_DEP_1)
	v_mul_u64_e32 v[2:3], s[16:17], v[0:1]
	v_add_nc_u32_e32 v2, v0, v3
	s_delay_alu instid0(VALU_DEP_1) | instskip(NEXT) | instid1(VALU_DEP_1)
	v_lshrrev_b32_e32 v4, s6, v2
	v_mul_lo_u32 v2, v4, s4
	s_delay_alu instid0(VALU_DEP_1) | instskip(NEXT) | instid1(VALU_DEP_1)
	v_sub_nc_u32_e32 v2, v0, v2
	v_mul_lo_u32 v3, v2, s9
	v_mul_lo_u32 v2, v2, s8
	s_cbranch_vccnz .LBB61_138
; %bb.137:
	v_mov_b32_e32 v5, v1
	s_delay_alu instid0(VALU_DEP_1) | instskip(NEXT) | instid1(VALU_DEP_1)
	v_mul_u64_e32 v[6:7], s[18:19], v[4:5]
	v_add_nc_u32_e32 v1, v4, v7
	s_delay_alu instid0(VALU_DEP_1) | instskip(NEXT) | instid1(VALU_DEP_1)
	v_lshrrev_b32_e32 v1, s15, v1
	v_mul_lo_u32 v1, v1, s7
	s_delay_alu instid0(VALU_DEP_1) | instskip(NEXT) | instid1(VALU_DEP_1)
	v_sub_nc_u32_e32 v1, v4, v1
	v_mad_u32 v2, v1, s10, v2
	v_mad_u32 v3, v1, s11, v3
.LBB61_138:
	global_load_u16 v1, v3, s[2:3]
	v_add_nc_u32_e32 v0, 0x80, v0
	s_wait_loadcnt 0x0
	v_lshlrev_b32_e32 v1, 16, v1
	s_delay_alu instid0(VALU_DEP_1) | instskip(SKIP_4) | instid1(SALU_CYCLE_1)
	v_cmp_eq_f32_e32 vcc_lo, 0x7f800000, v1
	v_cndmask_b32_e64 v1, 0, 1, vcc_lo
	global_store_b8 v2, v1, s[0:1]
	s_wait_xcnt 0x0
	s_or_b32 exec_lo, exec_lo, s5
	s_mov_b32 s5, exec_lo
	v_cmpx_gt_i32_e64 s34, v0
	s_cbranch_execnz .LBB61_15
.LBB61_139:
	s_or_b32 exec_lo, exec_lo, s5
	s_delay_alu instid0(SALU_CYCLE_1)
	s_mov_b32 s5, exec_lo
	v_cmpx_gt_i32_e64 s34, v0
	s_cbranch_execz .LBB61_155
.LBB61_140:
	s_and_not1_b32 vcc_lo, exec_lo, s30
	s_cbranch_vccnz .LBB61_145
; %bb.141:
	s_and_not1_b32 vcc_lo, exec_lo, s36
	s_cbranch_vccnz .LBB61_146
; %bb.142:
	s_add_co_i32 s14, s35, 1
	s_cmp_eq_u32 s29, 2
	s_cbranch_scc1 .LBB61_163
; %bb.143:
	v_dual_mov_b32 v2, 0 :: v_dual_mov_b32 v3, 0
	v_mov_b32_e32 v1, v0
	s_and_b32 s22, s14, 28
	s_mov_b32 s23, 0
	s_mov_b64 s[24:25], s[12:13]
	s_mov_b64 s[26:27], s[20:21]
.LBB61_144:                             ; =>This Inner Loop Header: Depth=1
	s_clause 0x1
	s_load_b256 s[40:47], s[24:25], 0x4
	s_load_b128 s[56:59], s[24:25], 0x24
	s_load_b256 s[48:55], s[26:27], 0x0
	s_add_co_i32 s23, s23, 4
	s_wait_xcnt 0x0
	s_add_nc_u64 s[24:25], s[24:25], 48
	s_cmp_eq_u32 s22, s23
	s_add_nc_u64 s[26:27], s[26:27], 32
	s_wait_kmcnt 0x0
	v_mul_hi_u32 v4, s41, v1
	s_delay_alu instid0(VALU_DEP_1) | instskip(NEXT) | instid1(VALU_DEP_1)
	v_add_nc_u32_e32 v4, v1, v4
	v_lshrrev_b32_e32 v4, s42, v4
	s_delay_alu instid0(VALU_DEP_1) | instskip(NEXT) | instid1(VALU_DEP_1)
	v_mul_hi_u32 v5, s44, v4
	v_add_nc_u32_e32 v5, v4, v5
	s_delay_alu instid0(VALU_DEP_1) | instskip(NEXT) | instid1(VALU_DEP_1)
	v_lshrrev_b32_e32 v5, s45, v5
	v_mul_hi_u32 v6, s47, v5
	s_delay_alu instid0(VALU_DEP_1) | instskip(SKIP_1) | instid1(VALU_DEP_1)
	v_add_nc_u32_e32 v6, v5, v6
	v_mul_lo_u32 v7, v4, s40
	v_sub_nc_u32_e32 v1, v1, v7
	v_mul_lo_u32 v7, v5, s43
	s_delay_alu instid0(VALU_DEP_4) | instskip(NEXT) | instid1(VALU_DEP_3)
	v_lshrrev_b32_e32 v6, s56, v6
	v_mad_u32 v3, v1, s49, v3
	v_mad_u32 v1, v1, s48, v2
	s_delay_alu instid0(VALU_DEP_4) | instskip(NEXT) | instid1(VALU_DEP_4)
	v_sub_nc_u32_e32 v2, v4, v7
	v_mul_hi_u32 v8, s58, v6
	v_mul_lo_u32 v4, v6, s46
	s_delay_alu instid0(VALU_DEP_3) | instskip(SKIP_1) | instid1(VALU_DEP_4)
	v_mad_u32 v3, v2, s51, v3
	v_mad_u32 v2, v2, s50, v1
	v_add_nc_u32_e32 v7, v6, v8
	s_delay_alu instid0(VALU_DEP_1) | instskip(NEXT) | instid1(VALU_DEP_1)
	v_dual_sub_nc_u32 v4, v5, v4 :: v_dual_lshrrev_b32 v1, s59, v7
	v_mad_u32 v3, v4, s53, v3
	s_delay_alu instid0(VALU_DEP_4) | instskip(NEXT) | instid1(VALU_DEP_3)
	v_mad_u32 v2, v4, s52, v2
	v_mul_lo_u32 v5, v1, s57
	s_delay_alu instid0(VALU_DEP_1) | instskip(NEXT) | instid1(VALU_DEP_1)
	v_sub_nc_u32_e32 v4, v6, v5
	v_mad_u32 v3, v4, s55, v3
	s_delay_alu instid0(VALU_DEP_4)
	v_mad_u32 v2, v4, s54, v2
	s_cbranch_scc0 .LBB61_144
	s_branch .LBB61_164
.LBB61_145:
                                        ; implicit-def: $vgpr3
	s_branch .LBB61_168
.LBB61_146:
	v_dual_mov_b32 v3, 0 :: v_dual_mov_b32 v2, 0
	s_branch .LBB61_167
.LBB61_147:
	v_mov_b64_e32 v[2:3], 0
	v_mov_b32_e32 v1, v0
	s_mov_b32 s22, 0
.LBB61_148:
	s_and_b32 s14, s14, 3
	s_mov_b32 s23, 0
	s_cmp_eq_u32 s14, 0
	s_cbranch_scc1 .LBB61_151
; %bb.149:
	s_lshl_b32 s24, s22, 3
	s_mov_b32 s25, s23
	s_mul_u64 s[26:27], s[22:23], 12
	s_add_nc_u64 s[24:25], s[12:13], s[24:25]
	s_delay_alu instid0(SALU_CYCLE_1)
	s_add_nc_u64 s[22:23], s[24:25], 0xc4
	s_add_nc_u64 s[24:25], s[12:13], s[26:27]
.LBB61_150:                             ; =>This Inner Loop Header: Depth=1
	s_load_b96 s[40:42], s[24:25], 0x4
	s_load_b64 s[26:27], s[22:23], 0x0
	s_add_co_i32 s14, s14, -1
	s_wait_xcnt 0x0
	s_add_nc_u64 s[24:25], s[24:25], 12
	s_cmp_lg_u32 s14, 0
	s_add_nc_u64 s[22:23], s[22:23], 8
	s_wait_kmcnt 0x0
	v_mul_hi_u32 v4, s41, v1
	s_delay_alu instid0(VALU_DEP_1) | instskip(NEXT) | instid1(VALU_DEP_1)
	v_add_nc_u32_e32 v4, v1, v4
	v_lshrrev_b32_e32 v4, s42, v4
	s_delay_alu instid0(VALU_DEP_1) | instskip(NEXT) | instid1(VALU_DEP_1)
	v_mul_lo_u32 v5, v4, s40
	v_sub_nc_u32_e32 v1, v1, v5
	s_delay_alu instid0(VALU_DEP_1)
	v_mad_u32 v3, v1, s27, v3
	v_mad_u32 v2, v1, s26, v2
	v_mov_b32_e32 v1, v4
	s_cbranch_scc1 .LBB61_150
.LBB61_151:
	s_cbranch_execnz .LBB61_154
.LBB61_152:
	v_mov_b32_e32 v1, 0
	s_and_not1_b32 vcc_lo, exec_lo, s33
	s_delay_alu instid0(VALU_DEP_1) | instskip(NEXT) | instid1(VALU_DEP_1)
	v_mul_u64_e32 v[2:3], s[16:17], v[0:1]
	v_add_nc_u32_e32 v2, v0, v3
	s_delay_alu instid0(VALU_DEP_1) | instskip(NEXT) | instid1(VALU_DEP_1)
	v_lshrrev_b32_e32 v4, s6, v2
	v_mul_lo_u32 v2, v4, s4
	s_delay_alu instid0(VALU_DEP_1) | instskip(NEXT) | instid1(VALU_DEP_1)
	v_sub_nc_u32_e32 v2, v0, v2
	v_mul_lo_u32 v3, v2, s9
	v_mul_lo_u32 v2, v2, s8
	s_cbranch_vccnz .LBB61_154
; %bb.153:
	v_mov_b32_e32 v5, v1
	s_delay_alu instid0(VALU_DEP_1) | instskip(NEXT) | instid1(VALU_DEP_1)
	v_mul_u64_e32 v[6:7], s[18:19], v[4:5]
	v_add_nc_u32_e32 v1, v4, v7
	s_delay_alu instid0(VALU_DEP_1) | instskip(NEXT) | instid1(VALU_DEP_1)
	v_lshrrev_b32_e32 v1, s15, v1
	v_mul_lo_u32 v1, v1, s7
	s_delay_alu instid0(VALU_DEP_1) | instskip(NEXT) | instid1(VALU_DEP_1)
	v_sub_nc_u32_e32 v1, v4, v1
	v_mad_u32 v2, v1, s10, v2
	v_mad_u32 v3, v1, s11, v3
.LBB61_154:
	global_load_u16 v1, v3, s[2:3]
	v_add_nc_u32_e32 v0, 0x80, v0
	s_wait_loadcnt 0x0
	v_lshlrev_b32_e32 v1, 16, v1
	s_delay_alu instid0(VALU_DEP_1) | instskip(SKIP_4) | instid1(SALU_CYCLE_1)
	v_cmp_eq_f32_e32 vcc_lo, 0x7f800000, v1
	v_cndmask_b32_e64 v1, 0, 1, vcc_lo
	global_store_b8 v2, v1, s[0:1]
	s_wait_xcnt 0x0
	s_or_b32 exec_lo, exec_lo, s5
	s_mov_b32 s5, exec_lo
	v_cmpx_gt_i32_e64 s34, v0
	s_cbranch_execnz .LBB61_140
.LBB61_155:
	s_or_b32 exec_lo, exec_lo, s5
	s_delay_alu instid0(SALU_CYCLE_1)
	s_mov_b32 s5, exec_lo
	v_cmpx_gt_i32_e64 s34, v0
	s_cbranch_execz .LBB61_171
.LBB61_156:
	s_and_not1_b32 vcc_lo, exec_lo, s30
	s_cbranch_vccnz .LBB61_161
; %bb.157:
	s_and_not1_b32 vcc_lo, exec_lo, s36
	s_cbranch_vccnz .LBB61_162
; %bb.158:
	s_add_co_i32 s14, s35, 1
	s_cmp_eq_u32 s29, 2
	s_cbranch_scc1 .LBB61_179
; %bb.159:
	v_dual_mov_b32 v2, 0 :: v_dual_mov_b32 v3, 0
	v_mov_b32_e32 v1, v0
	s_and_b32 s22, s14, 28
	s_mov_b32 s23, 0
	s_mov_b64 s[24:25], s[12:13]
	s_mov_b64 s[26:27], s[20:21]
.LBB61_160:                             ; =>This Inner Loop Header: Depth=1
	s_clause 0x1
	s_load_b256 s[40:47], s[24:25], 0x4
	s_load_b128 s[56:59], s[24:25], 0x24
	s_load_b256 s[48:55], s[26:27], 0x0
	s_add_co_i32 s23, s23, 4
	s_wait_xcnt 0x0
	s_add_nc_u64 s[24:25], s[24:25], 48
	s_cmp_eq_u32 s22, s23
	s_add_nc_u64 s[26:27], s[26:27], 32
	s_wait_kmcnt 0x0
	v_mul_hi_u32 v4, s41, v1
	s_delay_alu instid0(VALU_DEP_1) | instskip(NEXT) | instid1(VALU_DEP_1)
	v_add_nc_u32_e32 v4, v1, v4
	v_lshrrev_b32_e32 v4, s42, v4
	s_delay_alu instid0(VALU_DEP_1) | instskip(NEXT) | instid1(VALU_DEP_1)
	v_mul_hi_u32 v5, s44, v4
	v_add_nc_u32_e32 v5, v4, v5
	s_delay_alu instid0(VALU_DEP_1) | instskip(NEXT) | instid1(VALU_DEP_1)
	v_lshrrev_b32_e32 v5, s45, v5
	v_mul_hi_u32 v6, s47, v5
	s_delay_alu instid0(VALU_DEP_1) | instskip(SKIP_1) | instid1(VALU_DEP_1)
	v_add_nc_u32_e32 v6, v5, v6
	v_mul_lo_u32 v7, v4, s40
	v_sub_nc_u32_e32 v1, v1, v7
	v_mul_lo_u32 v7, v5, s43
	s_delay_alu instid0(VALU_DEP_4) | instskip(NEXT) | instid1(VALU_DEP_3)
	v_lshrrev_b32_e32 v6, s56, v6
	v_mad_u32 v3, v1, s49, v3
	v_mad_u32 v1, v1, s48, v2
	s_delay_alu instid0(VALU_DEP_4) | instskip(NEXT) | instid1(VALU_DEP_4)
	v_sub_nc_u32_e32 v2, v4, v7
	v_mul_hi_u32 v8, s58, v6
	v_mul_lo_u32 v4, v6, s46
	s_delay_alu instid0(VALU_DEP_3) | instskip(SKIP_1) | instid1(VALU_DEP_4)
	v_mad_u32 v3, v2, s51, v3
	v_mad_u32 v2, v2, s50, v1
	v_add_nc_u32_e32 v7, v6, v8
	s_delay_alu instid0(VALU_DEP_1) | instskip(NEXT) | instid1(VALU_DEP_1)
	v_dual_sub_nc_u32 v4, v5, v4 :: v_dual_lshrrev_b32 v1, s59, v7
	v_mad_u32 v3, v4, s53, v3
	s_delay_alu instid0(VALU_DEP_4) | instskip(NEXT) | instid1(VALU_DEP_3)
	v_mad_u32 v2, v4, s52, v2
	v_mul_lo_u32 v5, v1, s57
	s_delay_alu instid0(VALU_DEP_1) | instskip(NEXT) | instid1(VALU_DEP_1)
	v_sub_nc_u32_e32 v4, v6, v5
	v_mad_u32 v3, v4, s55, v3
	s_delay_alu instid0(VALU_DEP_4)
	v_mad_u32 v2, v4, s54, v2
	s_cbranch_scc0 .LBB61_160
	s_branch .LBB61_180
.LBB61_161:
                                        ; implicit-def: $vgpr3
	s_branch .LBB61_184
.LBB61_162:
	v_dual_mov_b32 v3, 0 :: v_dual_mov_b32 v2, 0
	s_branch .LBB61_183
.LBB61_163:
	v_mov_b64_e32 v[2:3], 0
	v_mov_b32_e32 v1, v0
	s_mov_b32 s22, 0
.LBB61_164:
	s_and_b32 s14, s14, 3
	s_mov_b32 s23, 0
	s_cmp_eq_u32 s14, 0
	s_cbranch_scc1 .LBB61_167
; %bb.165:
	s_lshl_b32 s24, s22, 3
	s_mov_b32 s25, s23
	s_mul_u64 s[26:27], s[22:23], 12
	s_add_nc_u64 s[24:25], s[12:13], s[24:25]
	s_delay_alu instid0(SALU_CYCLE_1)
	s_add_nc_u64 s[22:23], s[24:25], 0xc4
	s_add_nc_u64 s[24:25], s[12:13], s[26:27]
.LBB61_166:                             ; =>This Inner Loop Header: Depth=1
	s_load_b96 s[40:42], s[24:25], 0x4
	s_load_b64 s[26:27], s[22:23], 0x0
	s_add_co_i32 s14, s14, -1
	s_wait_xcnt 0x0
	s_add_nc_u64 s[24:25], s[24:25], 12
	s_cmp_lg_u32 s14, 0
	s_add_nc_u64 s[22:23], s[22:23], 8
	s_wait_kmcnt 0x0
	v_mul_hi_u32 v4, s41, v1
	s_delay_alu instid0(VALU_DEP_1) | instskip(NEXT) | instid1(VALU_DEP_1)
	v_add_nc_u32_e32 v4, v1, v4
	v_lshrrev_b32_e32 v4, s42, v4
	s_delay_alu instid0(VALU_DEP_1) | instskip(NEXT) | instid1(VALU_DEP_1)
	v_mul_lo_u32 v5, v4, s40
	v_sub_nc_u32_e32 v1, v1, v5
	s_delay_alu instid0(VALU_DEP_1)
	v_mad_u32 v3, v1, s27, v3
	v_mad_u32 v2, v1, s26, v2
	v_mov_b32_e32 v1, v4
	s_cbranch_scc1 .LBB61_166
.LBB61_167:
	s_cbranch_execnz .LBB61_170
.LBB61_168:
	v_mov_b32_e32 v1, 0
	s_and_not1_b32 vcc_lo, exec_lo, s33
	s_delay_alu instid0(VALU_DEP_1) | instskip(NEXT) | instid1(VALU_DEP_1)
	v_mul_u64_e32 v[2:3], s[16:17], v[0:1]
	v_add_nc_u32_e32 v2, v0, v3
	s_delay_alu instid0(VALU_DEP_1) | instskip(NEXT) | instid1(VALU_DEP_1)
	v_lshrrev_b32_e32 v4, s6, v2
	v_mul_lo_u32 v2, v4, s4
	s_delay_alu instid0(VALU_DEP_1) | instskip(NEXT) | instid1(VALU_DEP_1)
	v_sub_nc_u32_e32 v2, v0, v2
	v_mul_lo_u32 v3, v2, s9
	v_mul_lo_u32 v2, v2, s8
	s_cbranch_vccnz .LBB61_170
; %bb.169:
	v_mov_b32_e32 v5, v1
	s_delay_alu instid0(VALU_DEP_1) | instskip(NEXT) | instid1(VALU_DEP_1)
	v_mul_u64_e32 v[6:7], s[18:19], v[4:5]
	v_add_nc_u32_e32 v1, v4, v7
	s_delay_alu instid0(VALU_DEP_1) | instskip(NEXT) | instid1(VALU_DEP_1)
	v_lshrrev_b32_e32 v1, s15, v1
	v_mul_lo_u32 v1, v1, s7
	s_delay_alu instid0(VALU_DEP_1) | instskip(NEXT) | instid1(VALU_DEP_1)
	v_sub_nc_u32_e32 v1, v4, v1
	v_mad_u32 v2, v1, s10, v2
	v_mad_u32 v3, v1, s11, v3
.LBB61_170:
	global_load_u16 v1, v3, s[2:3]
	v_add_nc_u32_e32 v0, 0x80, v0
	s_wait_loadcnt 0x0
	v_lshlrev_b32_e32 v1, 16, v1
	s_delay_alu instid0(VALU_DEP_1) | instskip(SKIP_4) | instid1(SALU_CYCLE_1)
	v_cmp_eq_f32_e32 vcc_lo, 0x7f800000, v1
	v_cndmask_b32_e64 v1, 0, 1, vcc_lo
	global_store_b8 v2, v1, s[0:1]
	s_wait_xcnt 0x0
	s_or_b32 exec_lo, exec_lo, s5
	s_mov_b32 s5, exec_lo
	v_cmpx_gt_i32_e64 s34, v0
	s_cbranch_execnz .LBB61_156
.LBB61_171:
	s_or_b32 exec_lo, exec_lo, s5
	s_delay_alu instid0(SALU_CYCLE_1)
	s_mov_b32 s5, exec_lo
	v_cmpx_gt_i32_e64 s34, v0
	s_cbranch_execz .LBB61_187
.LBB61_172:
	s_and_not1_b32 vcc_lo, exec_lo, s30
	s_cbranch_vccnz .LBB61_177
; %bb.173:
	s_and_not1_b32 vcc_lo, exec_lo, s36
	s_cbranch_vccnz .LBB61_178
; %bb.174:
	s_add_co_i32 s14, s35, 1
	s_cmp_eq_u32 s29, 2
	s_cbranch_scc1 .LBB61_195
; %bb.175:
	v_dual_mov_b32 v2, 0 :: v_dual_mov_b32 v3, 0
	v_mov_b32_e32 v1, v0
	s_and_b32 s22, s14, 28
	s_mov_b32 s23, 0
	s_mov_b64 s[24:25], s[12:13]
	s_mov_b64 s[26:27], s[20:21]
.LBB61_176:                             ; =>This Inner Loop Header: Depth=1
	s_clause 0x1
	s_load_b256 s[40:47], s[24:25], 0x4
	s_load_b128 s[56:59], s[24:25], 0x24
	s_load_b256 s[48:55], s[26:27], 0x0
	s_add_co_i32 s23, s23, 4
	s_wait_xcnt 0x0
	s_add_nc_u64 s[24:25], s[24:25], 48
	s_cmp_eq_u32 s22, s23
	s_add_nc_u64 s[26:27], s[26:27], 32
	s_wait_kmcnt 0x0
	v_mul_hi_u32 v4, s41, v1
	s_delay_alu instid0(VALU_DEP_1) | instskip(NEXT) | instid1(VALU_DEP_1)
	v_add_nc_u32_e32 v4, v1, v4
	v_lshrrev_b32_e32 v4, s42, v4
	s_delay_alu instid0(VALU_DEP_1) | instskip(NEXT) | instid1(VALU_DEP_1)
	v_mul_hi_u32 v5, s44, v4
	v_add_nc_u32_e32 v5, v4, v5
	s_delay_alu instid0(VALU_DEP_1) | instskip(NEXT) | instid1(VALU_DEP_1)
	v_lshrrev_b32_e32 v5, s45, v5
	v_mul_hi_u32 v6, s47, v5
	s_delay_alu instid0(VALU_DEP_1) | instskip(SKIP_1) | instid1(VALU_DEP_1)
	v_add_nc_u32_e32 v6, v5, v6
	v_mul_lo_u32 v7, v4, s40
	v_sub_nc_u32_e32 v1, v1, v7
	v_mul_lo_u32 v7, v5, s43
	s_delay_alu instid0(VALU_DEP_4) | instskip(NEXT) | instid1(VALU_DEP_3)
	v_lshrrev_b32_e32 v6, s56, v6
	v_mad_u32 v3, v1, s49, v3
	v_mad_u32 v1, v1, s48, v2
	s_delay_alu instid0(VALU_DEP_4) | instskip(NEXT) | instid1(VALU_DEP_4)
	v_sub_nc_u32_e32 v2, v4, v7
	v_mul_hi_u32 v8, s58, v6
	v_mul_lo_u32 v4, v6, s46
	s_delay_alu instid0(VALU_DEP_3) | instskip(SKIP_1) | instid1(VALU_DEP_4)
	v_mad_u32 v3, v2, s51, v3
	v_mad_u32 v2, v2, s50, v1
	v_add_nc_u32_e32 v7, v6, v8
	s_delay_alu instid0(VALU_DEP_1) | instskip(NEXT) | instid1(VALU_DEP_1)
	v_dual_sub_nc_u32 v4, v5, v4 :: v_dual_lshrrev_b32 v1, s59, v7
	v_mad_u32 v3, v4, s53, v3
	s_delay_alu instid0(VALU_DEP_4) | instskip(NEXT) | instid1(VALU_DEP_3)
	v_mad_u32 v2, v4, s52, v2
	v_mul_lo_u32 v5, v1, s57
	s_delay_alu instid0(VALU_DEP_1) | instskip(NEXT) | instid1(VALU_DEP_1)
	v_sub_nc_u32_e32 v4, v6, v5
	v_mad_u32 v3, v4, s55, v3
	s_delay_alu instid0(VALU_DEP_4)
	v_mad_u32 v2, v4, s54, v2
	s_cbranch_scc0 .LBB61_176
	s_branch .LBB61_196
.LBB61_177:
                                        ; implicit-def: $vgpr3
	s_branch .LBB61_200
.LBB61_178:
	v_dual_mov_b32 v3, 0 :: v_dual_mov_b32 v2, 0
	s_branch .LBB61_199
.LBB61_179:
	v_mov_b64_e32 v[2:3], 0
	v_mov_b32_e32 v1, v0
	s_mov_b32 s22, 0
.LBB61_180:
	s_and_b32 s14, s14, 3
	s_mov_b32 s23, 0
	s_cmp_eq_u32 s14, 0
	s_cbranch_scc1 .LBB61_183
; %bb.181:
	s_lshl_b32 s24, s22, 3
	s_mov_b32 s25, s23
	s_mul_u64 s[26:27], s[22:23], 12
	s_add_nc_u64 s[24:25], s[12:13], s[24:25]
	s_delay_alu instid0(SALU_CYCLE_1)
	s_add_nc_u64 s[22:23], s[24:25], 0xc4
	s_add_nc_u64 s[24:25], s[12:13], s[26:27]
.LBB61_182:                             ; =>This Inner Loop Header: Depth=1
	s_load_b96 s[40:42], s[24:25], 0x4
	s_load_b64 s[26:27], s[22:23], 0x0
	s_add_co_i32 s14, s14, -1
	s_wait_xcnt 0x0
	s_add_nc_u64 s[24:25], s[24:25], 12
	s_cmp_lg_u32 s14, 0
	s_add_nc_u64 s[22:23], s[22:23], 8
	s_wait_kmcnt 0x0
	v_mul_hi_u32 v4, s41, v1
	s_delay_alu instid0(VALU_DEP_1) | instskip(NEXT) | instid1(VALU_DEP_1)
	v_add_nc_u32_e32 v4, v1, v4
	v_lshrrev_b32_e32 v4, s42, v4
	s_delay_alu instid0(VALU_DEP_1) | instskip(NEXT) | instid1(VALU_DEP_1)
	v_mul_lo_u32 v5, v4, s40
	v_sub_nc_u32_e32 v1, v1, v5
	s_delay_alu instid0(VALU_DEP_1)
	v_mad_u32 v3, v1, s27, v3
	v_mad_u32 v2, v1, s26, v2
	v_mov_b32_e32 v1, v4
	s_cbranch_scc1 .LBB61_182
.LBB61_183:
	s_cbranch_execnz .LBB61_186
.LBB61_184:
	v_mov_b32_e32 v1, 0
	s_and_not1_b32 vcc_lo, exec_lo, s33
	s_delay_alu instid0(VALU_DEP_1) | instskip(NEXT) | instid1(VALU_DEP_1)
	v_mul_u64_e32 v[2:3], s[16:17], v[0:1]
	v_add_nc_u32_e32 v2, v0, v3
	s_delay_alu instid0(VALU_DEP_1) | instskip(NEXT) | instid1(VALU_DEP_1)
	v_lshrrev_b32_e32 v4, s6, v2
	v_mul_lo_u32 v2, v4, s4
	s_delay_alu instid0(VALU_DEP_1) | instskip(NEXT) | instid1(VALU_DEP_1)
	v_sub_nc_u32_e32 v2, v0, v2
	v_mul_lo_u32 v3, v2, s9
	v_mul_lo_u32 v2, v2, s8
	s_cbranch_vccnz .LBB61_186
; %bb.185:
	v_mov_b32_e32 v5, v1
	s_delay_alu instid0(VALU_DEP_1) | instskip(NEXT) | instid1(VALU_DEP_1)
	v_mul_u64_e32 v[6:7], s[18:19], v[4:5]
	v_add_nc_u32_e32 v1, v4, v7
	s_delay_alu instid0(VALU_DEP_1) | instskip(NEXT) | instid1(VALU_DEP_1)
	v_lshrrev_b32_e32 v1, s15, v1
	v_mul_lo_u32 v1, v1, s7
	s_delay_alu instid0(VALU_DEP_1) | instskip(NEXT) | instid1(VALU_DEP_1)
	v_sub_nc_u32_e32 v1, v4, v1
	v_mad_u32 v2, v1, s10, v2
	v_mad_u32 v3, v1, s11, v3
.LBB61_186:
	global_load_u16 v1, v3, s[2:3]
	v_add_nc_u32_e32 v0, 0x80, v0
	s_wait_loadcnt 0x0
	v_lshlrev_b32_e32 v1, 16, v1
	s_delay_alu instid0(VALU_DEP_1) | instskip(SKIP_4) | instid1(SALU_CYCLE_1)
	v_cmp_eq_f32_e32 vcc_lo, 0x7f800000, v1
	v_cndmask_b32_e64 v1, 0, 1, vcc_lo
	global_store_b8 v2, v1, s[0:1]
	s_wait_xcnt 0x0
	s_or_b32 exec_lo, exec_lo, s5
	s_mov_b32 s5, exec_lo
	v_cmpx_gt_i32_e64 s34, v0
	s_cbranch_execnz .LBB61_172
.LBB61_187:
	s_or_b32 exec_lo, exec_lo, s5
	s_delay_alu instid0(SALU_CYCLE_1)
	s_mov_b32 s5, exec_lo
	v_cmpx_gt_i32_e64 s34, v0
	s_cbranch_execz .LBB61_203
.LBB61_188:
	s_and_not1_b32 vcc_lo, exec_lo, s30
	s_cbranch_vccnz .LBB61_193
; %bb.189:
	s_and_not1_b32 vcc_lo, exec_lo, s36
	s_cbranch_vccnz .LBB61_194
; %bb.190:
	s_add_co_i32 s14, s35, 1
	s_cmp_eq_u32 s29, 2
	s_cbranch_scc1 .LBB61_211
; %bb.191:
	v_dual_mov_b32 v2, 0 :: v_dual_mov_b32 v3, 0
	v_mov_b32_e32 v1, v0
	s_and_b32 s22, s14, 28
	s_mov_b32 s23, 0
	s_mov_b64 s[24:25], s[12:13]
	s_mov_b64 s[26:27], s[20:21]
.LBB61_192:                             ; =>This Inner Loop Header: Depth=1
	s_clause 0x1
	s_load_b256 s[40:47], s[24:25], 0x4
	s_load_b128 s[56:59], s[24:25], 0x24
	s_load_b256 s[48:55], s[26:27], 0x0
	s_add_co_i32 s23, s23, 4
	s_wait_xcnt 0x0
	s_add_nc_u64 s[24:25], s[24:25], 48
	s_cmp_eq_u32 s22, s23
	s_add_nc_u64 s[26:27], s[26:27], 32
	s_wait_kmcnt 0x0
	v_mul_hi_u32 v4, s41, v1
	s_delay_alu instid0(VALU_DEP_1) | instskip(NEXT) | instid1(VALU_DEP_1)
	v_add_nc_u32_e32 v4, v1, v4
	v_lshrrev_b32_e32 v4, s42, v4
	s_delay_alu instid0(VALU_DEP_1) | instskip(NEXT) | instid1(VALU_DEP_1)
	v_mul_hi_u32 v5, s44, v4
	v_add_nc_u32_e32 v5, v4, v5
	s_delay_alu instid0(VALU_DEP_1) | instskip(NEXT) | instid1(VALU_DEP_1)
	v_lshrrev_b32_e32 v5, s45, v5
	v_mul_hi_u32 v6, s47, v5
	s_delay_alu instid0(VALU_DEP_1) | instskip(SKIP_1) | instid1(VALU_DEP_1)
	v_add_nc_u32_e32 v6, v5, v6
	v_mul_lo_u32 v7, v4, s40
	v_sub_nc_u32_e32 v1, v1, v7
	v_mul_lo_u32 v7, v5, s43
	s_delay_alu instid0(VALU_DEP_4) | instskip(NEXT) | instid1(VALU_DEP_3)
	v_lshrrev_b32_e32 v6, s56, v6
	v_mad_u32 v3, v1, s49, v3
	v_mad_u32 v1, v1, s48, v2
	s_delay_alu instid0(VALU_DEP_4) | instskip(NEXT) | instid1(VALU_DEP_4)
	v_sub_nc_u32_e32 v2, v4, v7
	v_mul_hi_u32 v8, s58, v6
	v_mul_lo_u32 v4, v6, s46
	s_delay_alu instid0(VALU_DEP_3) | instskip(SKIP_1) | instid1(VALU_DEP_4)
	v_mad_u32 v3, v2, s51, v3
	v_mad_u32 v2, v2, s50, v1
	v_add_nc_u32_e32 v7, v6, v8
	s_delay_alu instid0(VALU_DEP_1) | instskip(NEXT) | instid1(VALU_DEP_1)
	v_dual_sub_nc_u32 v4, v5, v4 :: v_dual_lshrrev_b32 v1, s59, v7
	v_mad_u32 v3, v4, s53, v3
	s_delay_alu instid0(VALU_DEP_4) | instskip(NEXT) | instid1(VALU_DEP_3)
	v_mad_u32 v2, v4, s52, v2
	v_mul_lo_u32 v5, v1, s57
	s_delay_alu instid0(VALU_DEP_1) | instskip(NEXT) | instid1(VALU_DEP_1)
	v_sub_nc_u32_e32 v4, v6, v5
	v_mad_u32 v3, v4, s55, v3
	s_delay_alu instid0(VALU_DEP_4)
	v_mad_u32 v2, v4, s54, v2
	s_cbranch_scc0 .LBB61_192
	s_branch .LBB61_212
.LBB61_193:
                                        ; implicit-def: $vgpr3
	s_branch .LBB61_216
.LBB61_194:
	v_dual_mov_b32 v3, 0 :: v_dual_mov_b32 v2, 0
	s_branch .LBB61_215
.LBB61_195:
	v_mov_b64_e32 v[2:3], 0
	v_mov_b32_e32 v1, v0
	s_mov_b32 s22, 0
.LBB61_196:
	s_and_b32 s14, s14, 3
	s_mov_b32 s23, 0
	s_cmp_eq_u32 s14, 0
	s_cbranch_scc1 .LBB61_199
; %bb.197:
	s_lshl_b32 s24, s22, 3
	s_mov_b32 s25, s23
	s_mul_u64 s[26:27], s[22:23], 12
	s_add_nc_u64 s[24:25], s[12:13], s[24:25]
	s_delay_alu instid0(SALU_CYCLE_1)
	s_add_nc_u64 s[22:23], s[24:25], 0xc4
	s_add_nc_u64 s[24:25], s[12:13], s[26:27]
.LBB61_198:                             ; =>This Inner Loop Header: Depth=1
	s_load_b96 s[40:42], s[24:25], 0x4
	s_load_b64 s[26:27], s[22:23], 0x0
	s_add_co_i32 s14, s14, -1
	s_wait_xcnt 0x0
	s_add_nc_u64 s[24:25], s[24:25], 12
	s_cmp_lg_u32 s14, 0
	s_add_nc_u64 s[22:23], s[22:23], 8
	s_wait_kmcnt 0x0
	v_mul_hi_u32 v4, s41, v1
	s_delay_alu instid0(VALU_DEP_1) | instskip(NEXT) | instid1(VALU_DEP_1)
	v_add_nc_u32_e32 v4, v1, v4
	v_lshrrev_b32_e32 v4, s42, v4
	s_delay_alu instid0(VALU_DEP_1) | instskip(NEXT) | instid1(VALU_DEP_1)
	v_mul_lo_u32 v5, v4, s40
	v_sub_nc_u32_e32 v1, v1, v5
	s_delay_alu instid0(VALU_DEP_1)
	v_mad_u32 v3, v1, s27, v3
	v_mad_u32 v2, v1, s26, v2
	v_mov_b32_e32 v1, v4
	s_cbranch_scc1 .LBB61_198
.LBB61_199:
	s_cbranch_execnz .LBB61_202
.LBB61_200:
	v_mov_b32_e32 v1, 0
	s_and_not1_b32 vcc_lo, exec_lo, s33
	s_delay_alu instid0(VALU_DEP_1) | instskip(NEXT) | instid1(VALU_DEP_1)
	v_mul_u64_e32 v[2:3], s[16:17], v[0:1]
	v_add_nc_u32_e32 v2, v0, v3
	s_delay_alu instid0(VALU_DEP_1) | instskip(NEXT) | instid1(VALU_DEP_1)
	v_lshrrev_b32_e32 v4, s6, v2
	v_mul_lo_u32 v2, v4, s4
	s_delay_alu instid0(VALU_DEP_1) | instskip(NEXT) | instid1(VALU_DEP_1)
	v_sub_nc_u32_e32 v2, v0, v2
	v_mul_lo_u32 v3, v2, s9
	v_mul_lo_u32 v2, v2, s8
	s_cbranch_vccnz .LBB61_202
; %bb.201:
	v_mov_b32_e32 v5, v1
	s_delay_alu instid0(VALU_DEP_1) | instskip(NEXT) | instid1(VALU_DEP_1)
	v_mul_u64_e32 v[6:7], s[18:19], v[4:5]
	v_add_nc_u32_e32 v1, v4, v7
	s_delay_alu instid0(VALU_DEP_1) | instskip(NEXT) | instid1(VALU_DEP_1)
	v_lshrrev_b32_e32 v1, s15, v1
	v_mul_lo_u32 v1, v1, s7
	s_delay_alu instid0(VALU_DEP_1) | instskip(NEXT) | instid1(VALU_DEP_1)
	v_sub_nc_u32_e32 v1, v4, v1
	v_mad_u32 v2, v1, s10, v2
	v_mad_u32 v3, v1, s11, v3
.LBB61_202:
	global_load_u16 v1, v3, s[2:3]
	v_add_nc_u32_e32 v0, 0x80, v0
	s_wait_loadcnt 0x0
	v_lshlrev_b32_e32 v1, 16, v1
	s_delay_alu instid0(VALU_DEP_1) | instskip(SKIP_4) | instid1(SALU_CYCLE_1)
	v_cmp_eq_f32_e32 vcc_lo, 0x7f800000, v1
	v_cndmask_b32_e64 v1, 0, 1, vcc_lo
	global_store_b8 v2, v1, s[0:1]
	s_wait_xcnt 0x0
	s_or_b32 exec_lo, exec_lo, s5
	s_mov_b32 s5, exec_lo
	v_cmpx_gt_i32_e64 s34, v0
	s_cbranch_execnz .LBB61_188
.LBB61_203:
	s_or_b32 exec_lo, exec_lo, s5
	s_delay_alu instid0(SALU_CYCLE_1)
	s_mov_b32 s5, exec_lo
	v_cmpx_gt_i32_e64 s34, v0
	s_cbranch_execz .LBB61_219
.LBB61_204:
	s_and_not1_b32 vcc_lo, exec_lo, s30
	s_cbranch_vccnz .LBB61_209
; %bb.205:
	s_and_not1_b32 vcc_lo, exec_lo, s36
	s_cbranch_vccnz .LBB61_210
; %bb.206:
	s_add_co_i32 s14, s35, 1
	s_cmp_eq_u32 s29, 2
	s_cbranch_scc1 .LBB61_222
; %bb.207:
	v_dual_mov_b32 v2, 0 :: v_dual_mov_b32 v3, 0
	v_mov_b32_e32 v1, v0
	s_and_b32 s22, s14, 28
	s_mov_b32 s23, 0
	s_mov_b64 s[24:25], s[12:13]
	s_mov_b64 s[26:27], s[20:21]
.LBB61_208:                             ; =>This Inner Loop Header: Depth=1
	s_clause 0x1
	s_load_b256 s[40:47], s[24:25], 0x4
	s_load_b128 s[56:59], s[24:25], 0x24
	s_load_b256 s[48:55], s[26:27], 0x0
	s_add_co_i32 s23, s23, 4
	s_wait_xcnt 0x0
	s_add_nc_u64 s[24:25], s[24:25], 48
	s_cmp_eq_u32 s22, s23
	s_add_nc_u64 s[26:27], s[26:27], 32
	s_wait_kmcnt 0x0
	v_mul_hi_u32 v4, s41, v1
	s_delay_alu instid0(VALU_DEP_1) | instskip(NEXT) | instid1(VALU_DEP_1)
	v_add_nc_u32_e32 v4, v1, v4
	v_lshrrev_b32_e32 v4, s42, v4
	s_delay_alu instid0(VALU_DEP_1) | instskip(NEXT) | instid1(VALU_DEP_1)
	v_mul_hi_u32 v5, s44, v4
	v_add_nc_u32_e32 v5, v4, v5
	s_delay_alu instid0(VALU_DEP_1) | instskip(NEXT) | instid1(VALU_DEP_1)
	v_lshrrev_b32_e32 v5, s45, v5
	v_mul_hi_u32 v6, s47, v5
	s_delay_alu instid0(VALU_DEP_1) | instskip(SKIP_1) | instid1(VALU_DEP_1)
	v_add_nc_u32_e32 v6, v5, v6
	v_mul_lo_u32 v7, v4, s40
	v_sub_nc_u32_e32 v1, v1, v7
	v_mul_lo_u32 v7, v5, s43
	s_delay_alu instid0(VALU_DEP_4) | instskip(NEXT) | instid1(VALU_DEP_3)
	v_lshrrev_b32_e32 v6, s56, v6
	v_mad_u32 v3, v1, s49, v3
	v_mad_u32 v1, v1, s48, v2
	s_delay_alu instid0(VALU_DEP_4) | instskip(NEXT) | instid1(VALU_DEP_4)
	v_sub_nc_u32_e32 v2, v4, v7
	v_mul_hi_u32 v8, s58, v6
	v_mul_lo_u32 v4, v6, s46
	s_delay_alu instid0(VALU_DEP_3) | instskip(SKIP_1) | instid1(VALU_DEP_4)
	v_mad_u32 v3, v2, s51, v3
	v_mad_u32 v2, v2, s50, v1
	v_add_nc_u32_e32 v7, v6, v8
	s_delay_alu instid0(VALU_DEP_1) | instskip(NEXT) | instid1(VALU_DEP_1)
	v_dual_sub_nc_u32 v4, v5, v4 :: v_dual_lshrrev_b32 v1, s59, v7
	v_mad_u32 v3, v4, s53, v3
	s_delay_alu instid0(VALU_DEP_4) | instskip(NEXT) | instid1(VALU_DEP_3)
	v_mad_u32 v2, v4, s52, v2
	v_mul_lo_u32 v5, v1, s57
	s_delay_alu instid0(VALU_DEP_1) | instskip(NEXT) | instid1(VALU_DEP_1)
	v_sub_nc_u32_e32 v4, v6, v5
	v_mad_u32 v3, v4, s55, v3
	s_delay_alu instid0(VALU_DEP_4)
	v_mad_u32 v2, v4, s54, v2
	s_cbranch_scc0 .LBB61_208
	s_branch .LBB61_223
.LBB61_209:
                                        ; implicit-def: $vgpr3
	s_branch .LBB61_227
.LBB61_210:
	v_dual_mov_b32 v3, 0 :: v_dual_mov_b32 v2, 0
	s_branch .LBB61_226
.LBB61_211:
	v_mov_b64_e32 v[2:3], 0
	v_mov_b32_e32 v1, v0
	s_mov_b32 s22, 0
.LBB61_212:
	s_and_b32 s14, s14, 3
	s_mov_b32 s23, 0
	s_cmp_eq_u32 s14, 0
	s_cbranch_scc1 .LBB61_215
; %bb.213:
	s_lshl_b32 s24, s22, 3
	s_mov_b32 s25, s23
	s_mul_u64 s[26:27], s[22:23], 12
	s_add_nc_u64 s[24:25], s[12:13], s[24:25]
	s_delay_alu instid0(SALU_CYCLE_1)
	s_add_nc_u64 s[22:23], s[24:25], 0xc4
	s_add_nc_u64 s[24:25], s[12:13], s[26:27]
.LBB61_214:                             ; =>This Inner Loop Header: Depth=1
	s_load_b96 s[40:42], s[24:25], 0x4
	s_load_b64 s[26:27], s[22:23], 0x0
	s_add_co_i32 s14, s14, -1
	s_wait_xcnt 0x0
	s_add_nc_u64 s[24:25], s[24:25], 12
	s_cmp_lg_u32 s14, 0
	s_add_nc_u64 s[22:23], s[22:23], 8
	s_wait_kmcnt 0x0
	v_mul_hi_u32 v4, s41, v1
	s_delay_alu instid0(VALU_DEP_1) | instskip(NEXT) | instid1(VALU_DEP_1)
	v_add_nc_u32_e32 v4, v1, v4
	v_lshrrev_b32_e32 v4, s42, v4
	s_delay_alu instid0(VALU_DEP_1) | instskip(NEXT) | instid1(VALU_DEP_1)
	v_mul_lo_u32 v5, v4, s40
	v_sub_nc_u32_e32 v1, v1, v5
	s_delay_alu instid0(VALU_DEP_1)
	v_mad_u32 v3, v1, s27, v3
	v_mad_u32 v2, v1, s26, v2
	v_mov_b32_e32 v1, v4
	s_cbranch_scc1 .LBB61_214
.LBB61_215:
	s_cbranch_execnz .LBB61_218
.LBB61_216:
	v_mov_b32_e32 v1, 0
	s_and_not1_b32 vcc_lo, exec_lo, s33
	s_delay_alu instid0(VALU_DEP_1) | instskip(NEXT) | instid1(VALU_DEP_1)
	v_mul_u64_e32 v[2:3], s[16:17], v[0:1]
	v_add_nc_u32_e32 v2, v0, v3
	s_delay_alu instid0(VALU_DEP_1) | instskip(NEXT) | instid1(VALU_DEP_1)
	v_lshrrev_b32_e32 v4, s6, v2
	v_mul_lo_u32 v2, v4, s4
	s_delay_alu instid0(VALU_DEP_1) | instskip(NEXT) | instid1(VALU_DEP_1)
	v_sub_nc_u32_e32 v2, v0, v2
	v_mul_lo_u32 v3, v2, s9
	v_mul_lo_u32 v2, v2, s8
	s_cbranch_vccnz .LBB61_218
; %bb.217:
	v_mov_b32_e32 v5, v1
	s_delay_alu instid0(VALU_DEP_1) | instskip(NEXT) | instid1(VALU_DEP_1)
	v_mul_u64_e32 v[6:7], s[18:19], v[4:5]
	v_add_nc_u32_e32 v1, v4, v7
	s_delay_alu instid0(VALU_DEP_1) | instskip(NEXT) | instid1(VALU_DEP_1)
	v_lshrrev_b32_e32 v1, s15, v1
	v_mul_lo_u32 v1, v1, s7
	s_delay_alu instid0(VALU_DEP_1) | instskip(NEXT) | instid1(VALU_DEP_1)
	v_sub_nc_u32_e32 v1, v4, v1
	v_mad_u32 v2, v1, s10, v2
	v_mad_u32 v3, v1, s11, v3
.LBB61_218:
	global_load_u16 v1, v3, s[2:3]
	v_add_nc_u32_e32 v0, 0x80, v0
	s_wait_loadcnt 0x0
	v_lshlrev_b32_e32 v1, 16, v1
	s_delay_alu instid0(VALU_DEP_1) | instskip(SKIP_4) | instid1(SALU_CYCLE_1)
	v_cmp_eq_f32_e32 vcc_lo, 0x7f800000, v1
	v_cndmask_b32_e64 v1, 0, 1, vcc_lo
	global_store_b8 v2, v1, s[0:1]
	s_wait_xcnt 0x0
	s_or_b32 exec_lo, exec_lo, s5
	s_mov_b32 s5, exec_lo
	v_cmpx_gt_i32_e64 s34, v0
	s_cbranch_execnz .LBB61_204
.LBB61_219:
	s_or_b32 exec_lo, exec_lo, s5
	s_delay_alu instid0(SALU_CYCLE_1)
	s_mov_b32 s5, exec_lo
	v_cmpx_gt_i32_e64 s34, v0
	s_cbranch_execnz .LBB61_230
.LBB61_220:
	s_or_b32 exec_lo, exec_lo, s5
                                        ; implicit-def: $vgpr16
                                        ; implicit-def: $vgpr0
	s_and_not1_saveexec_b32 s0, s31
	s_cbranch_execnz .LBB61_8
.LBB61_221:
	s_endpgm
.LBB61_222:
	v_mov_b64_e32 v[2:3], 0
	v_mov_b32_e32 v1, v0
	s_mov_b32 s22, 0
.LBB61_223:
	s_and_b32 s14, s14, 3
	s_mov_b32 s23, 0
	s_cmp_eq_u32 s14, 0
	s_cbranch_scc1 .LBB61_226
; %bb.224:
	s_lshl_b32 s24, s22, 3
	s_mov_b32 s25, s23
	s_mul_u64 s[26:27], s[22:23], 12
	s_add_nc_u64 s[24:25], s[12:13], s[24:25]
	s_delay_alu instid0(SALU_CYCLE_1)
	s_add_nc_u64 s[22:23], s[24:25], 0xc4
	s_add_nc_u64 s[24:25], s[12:13], s[26:27]
.LBB61_225:                             ; =>This Inner Loop Header: Depth=1
	s_load_b96 s[40:42], s[24:25], 0x4
	s_load_b64 s[26:27], s[22:23], 0x0
	s_add_co_i32 s14, s14, -1
	s_wait_xcnt 0x0
	s_add_nc_u64 s[24:25], s[24:25], 12
	s_cmp_lg_u32 s14, 0
	s_add_nc_u64 s[22:23], s[22:23], 8
	s_wait_kmcnt 0x0
	v_mul_hi_u32 v4, s41, v1
	s_delay_alu instid0(VALU_DEP_1) | instskip(NEXT) | instid1(VALU_DEP_1)
	v_add_nc_u32_e32 v4, v1, v4
	v_lshrrev_b32_e32 v4, s42, v4
	s_delay_alu instid0(VALU_DEP_1) | instskip(NEXT) | instid1(VALU_DEP_1)
	v_mul_lo_u32 v5, v4, s40
	v_sub_nc_u32_e32 v1, v1, v5
	s_delay_alu instid0(VALU_DEP_1)
	v_mad_u32 v3, v1, s27, v3
	v_mad_u32 v2, v1, s26, v2
	v_mov_b32_e32 v1, v4
	s_cbranch_scc1 .LBB61_225
.LBB61_226:
	s_cbranch_execnz .LBB61_229
.LBB61_227:
	v_mov_b32_e32 v1, 0
	s_and_not1_b32 vcc_lo, exec_lo, s33
	s_delay_alu instid0(VALU_DEP_1) | instskip(NEXT) | instid1(VALU_DEP_1)
	v_mul_u64_e32 v[2:3], s[16:17], v[0:1]
	v_add_nc_u32_e32 v2, v0, v3
	s_delay_alu instid0(VALU_DEP_1) | instskip(NEXT) | instid1(VALU_DEP_1)
	v_lshrrev_b32_e32 v4, s6, v2
	v_mul_lo_u32 v2, v4, s4
	s_delay_alu instid0(VALU_DEP_1) | instskip(NEXT) | instid1(VALU_DEP_1)
	v_sub_nc_u32_e32 v2, v0, v2
	v_mul_lo_u32 v3, v2, s9
	v_mul_lo_u32 v2, v2, s8
	s_cbranch_vccnz .LBB61_229
; %bb.228:
	v_mov_b32_e32 v5, v1
	s_delay_alu instid0(VALU_DEP_1) | instskip(NEXT) | instid1(VALU_DEP_1)
	v_mul_u64_e32 v[6:7], s[18:19], v[4:5]
	v_add_nc_u32_e32 v1, v4, v7
	s_delay_alu instid0(VALU_DEP_1) | instskip(NEXT) | instid1(VALU_DEP_1)
	v_lshrrev_b32_e32 v1, s15, v1
	v_mul_lo_u32 v1, v1, s7
	s_delay_alu instid0(VALU_DEP_1) | instskip(NEXT) | instid1(VALU_DEP_1)
	v_sub_nc_u32_e32 v1, v4, v1
	v_mad_u32 v2, v1, s10, v2
	v_mad_u32 v3, v1, s11, v3
.LBB61_229:
	global_load_u16 v1, v3, s[2:3]
	v_add_nc_u32_e32 v0, 0x80, v0
	s_wait_loadcnt 0x0
	v_lshlrev_b32_e32 v1, 16, v1
	s_delay_alu instid0(VALU_DEP_1) | instskip(SKIP_4) | instid1(SALU_CYCLE_1)
	v_cmp_eq_f32_e32 vcc_lo, 0x7f800000, v1
	v_cndmask_b32_e64 v1, 0, 1, vcc_lo
	global_store_b8 v2, v1, s[0:1]
	s_wait_xcnt 0x0
	s_or_b32 exec_lo, exec_lo, s5
	s_mov_b32 s5, exec_lo
	v_cmpx_gt_i32_e64 s34, v0
	s_cbranch_execz .LBB61_220
.LBB61_230:
	s_and_not1_b32 vcc_lo, exec_lo, s30
	s_cbranch_vccnz .LBB61_235
; %bb.231:
	s_and_not1_b32 vcc_lo, exec_lo, s36
	s_cbranch_vccnz .LBB61_236
; %bb.232:
	s_add_co_i32 s35, s35, 1
	s_cmp_eq_u32 s29, 2
	s_cbranch_scc1 .LBB61_237
; %bb.233:
	v_dual_mov_b32 v2, 0 :: v_dual_mov_b32 v3, 0
	v_mov_b32_e32 v1, v0
	s_and_b32 s22, s35, 28
	s_mov_b32 s14, 0
	s_mov_b64 s[24:25], s[12:13]
.LBB61_234:                             ; =>This Inner Loop Header: Depth=1
	s_clause 0x1
	s_load_b256 s[36:43], s[24:25], 0x4
	s_load_b128 s[52:55], s[24:25], 0x24
	s_load_b256 s[44:51], s[20:21], 0x0
	s_add_co_i32 s14, s14, 4
	s_wait_xcnt 0x0
	s_add_nc_u64 s[24:25], s[24:25], 48
	s_cmp_eq_u32 s22, s14
	s_add_nc_u64 s[20:21], s[20:21], 32
	s_wait_kmcnt 0x0
	v_mul_hi_u32 v4, s37, v1
	s_delay_alu instid0(VALU_DEP_1) | instskip(NEXT) | instid1(VALU_DEP_1)
	v_add_nc_u32_e32 v4, v1, v4
	v_lshrrev_b32_e32 v4, s38, v4
	s_delay_alu instid0(VALU_DEP_1) | instskip(NEXT) | instid1(VALU_DEP_1)
	v_mul_hi_u32 v5, s40, v4
	v_add_nc_u32_e32 v5, v4, v5
	s_delay_alu instid0(VALU_DEP_1) | instskip(NEXT) | instid1(VALU_DEP_1)
	v_lshrrev_b32_e32 v5, s41, v5
	v_mul_hi_u32 v6, s43, v5
	s_delay_alu instid0(VALU_DEP_1) | instskip(SKIP_1) | instid1(VALU_DEP_1)
	v_add_nc_u32_e32 v6, v5, v6
	v_mul_lo_u32 v7, v4, s36
	v_sub_nc_u32_e32 v1, v1, v7
	v_mul_lo_u32 v7, v5, s39
	s_delay_alu instid0(VALU_DEP_4) | instskip(NEXT) | instid1(VALU_DEP_3)
	v_lshrrev_b32_e32 v6, s52, v6
	v_mad_u32 v3, v1, s45, v3
	v_mad_u32 v1, v1, s44, v2
	s_delay_alu instid0(VALU_DEP_4) | instskip(NEXT) | instid1(VALU_DEP_4)
	v_sub_nc_u32_e32 v2, v4, v7
	v_mul_hi_u32 v8, s54, v6
	v_mul_lo_u32 v4, v6, s42
	s_delay_alu instid0(VALU_DEP_3) | instskip(SKIP_1) | instid1(VALU_DEP_4)
	v_mad_u32 v3, v2, s47, v3
	v_mad_u32 v2, v2, s46, v1
	v_add_nc_u32_e32 v7, v6, v8
	s_delay_alu instid0(VALU_DEP_1) | instskip(NEXT) | instid1(VALU_DEP_1)
	v_dual_sub_nc_u32 v4, v5, v4 :: v_dual_lshrrev_b32 v1, s55, v7
	v_mad_u32 v3, v4, s49, v3
	s_delay_alu instid0(VALU_DEP_4) | instskip(NEXT) | instid1(VALU_DEP_3)
	v_mad_u32 v2, v4, s48, v2
	v_mul_lo_u32 v5, v1, s53
	s_delay_alu instid0(VALU_DEP_1) | instskip(NEXT) | instid1(VALU_DEP_1)
	v_sub_nc_u32_e32 v4, v6, v5
	v_mad_u32 v3, v4, s51, v3
	s_delay_alu instid0(VALU_DEP_4)
	v_mad_u32 v2, v4, s50, v2
	s_cbranch_scc0 .LBB61_234
	s_branch .LBB61_238
.LBB61_235:
                                        ; implicit-def: $vgpr3
	s_branch .LBB61_242
.LBB61_236:
	v_dual_mov_b32 v3, 0 :: v_dual_mov_b32 v2, 0
	s_branch .LBB61_241
.LBB61_237:
	v_mov_b64_e32 v[2:3], 0
	v_mov_b32_e32 v1, v0
	s_mov_b32 s22, 0
.LBB61_238:
	s_and_b32 s14, s35, 3
	s_mov_b32 s23, 0
	s_cmp_eq_u32 s14, 0
	s_cbranch_scc1 .LBB61_241
; %bb.239:
	s_lshl_b32 s20, s22, 3
	s_mov_b32 s21, s23
	s_mul_u64 s[22:23], s[22:23], 12
	s_add_nc_u64 s[20:21], s[12:13], s[20:21]
	s_add_nc_u64 s[22:23], s[12:13], s[22:23]
	;; [unrolled: 1-line block ×3, first 2 shown]
.LBB61_240:                             ; =>This Inner Loop Header: Depth=1
	s_load_b96 s[24:26], s[22:23], 0x4
	s_add_co_i32 s14, s14, -1
	s_wait_xcnt 0x0
	s_add_nc_u64 s[22:23], s[22:23], 12
	s_cmp_lg_u32 s14, 0
	s_wait_kmcnt 0x0
	v_mul_hi_u32 v4, s25, v1
	s_delay_alu instid0(VALU_DEP_1) | instskip(NEXT) | instid1(VALU_DEP_1)
	v_add_nc_u32_e32 v4, v1, v4
	v_lshrrev_b32_e32 v4, s26, v4
	s_load_b64 s[26:27], s[20:21], 0x0
	s_wait_xcnt 0x0
	s_add_nc_u64 s[20:21], s[20:21], 8
	s_delay_alu instid0(VALU_DEP_1) | instskip(NEXT) | instid1(VALU_DEP_1)
	v_mul_lo_u32 v5, v4, s24
	v_sub_nc_u32_e32 v1, v1, v5
	s_wait_kmcnt 0x0
	s_delay_alu instid0(VALU_DEP_1)
	v_mad_u32 v3, v1, s27, v3
	v_mad_u32 v2, v1, s26, v2
	v_mov_b32_e32 v1, v4
	s_cbranch_scc1 .LBB61_240
.LBB61_241:
	s_cbranch_execnz .LBB61_244
.LBB61_242:
	v_mov_b32_e32 v1, 0
	s_and_not1_b32 vcc_lo, exec_lo, s33
	s_delay_alu instid0(VALU_DEP_1) | instskip(NEXT) | instid1(VALU_DEP_1)
	v_mul_u64_e32 v[2:3], s[16:17], v[0:1]
	v_add_nc_u32_e32 v2, v0, v3
	s_delay_alu instid0(VALU_DEP_1) | instskip(NEXT) | instid1(VALU_DEP_1)
	v_lshrrev_b32_e32 v4, s6, v2
	v_mul_lo_u32 v2, v4, s4
	s_delay_alu instid0(VALU_DEP_1) | instskip(NEXT) | instid1(VALU_DEP_1)
	v_sub_nc_u32_e32 v0, v0, v2
	v_mul_lo_u32 v3, v0, s9
	v_mul_lo_u32 v2, v0, s8
	s_cbranch_vccnz .LBB61_244
; %bb.243:
	v_mov_b32_e32 v5, v1
	s_delay_alu instid0(VALU_DEP_1) | instskip(NEXT) | instid1(VALU_DEP_1)
	v_mul_u64_e32 v[0:1], s[18:19], v[4:5]
	v_add_nc_u32_e32 v0, v4, v1
	s_delay_alu instid0(VALU_DEP_1) | instskip(NEXT) | instid1(VALU_DEP_1)
	v_lshrrev_b32_e32 v0, s15, v0
	v_mul_lo_u32 v0, v0, s7
	s_delay_alu instid0(VALU_DEP_1) | instskip(NEXT) | instid1(VALU_DEP_1)
	v_sub_nc_u32_e32 v0, v4, v0
	v_mad_u32 v2, v0, s10, v2
	v_mad_u32 v3, v0, s11, v3
.LBB61_244:
	global_load_u16 v0, v3, s[2:3]
	s_wait_loadcnt 0x0
	v_lshlrev_b32_e32 v0, 16, v0
	s_delay_alu instid0(VALU_DEP_1)
	v_cmp_eq_f32_e32 vcc_lo, 0x7f800000, v0
	v_cndmask_b32_e64 v0, 0, 1, vcc_lo
	global_store_b8 v2, v0, s[0:1]
	s_wait_xcnt 0x0
	s_or_b32 exec_lo, exec_lo, s5
                                        ; implicit-def: $vgpr16
                                        ; implicit-def: $vgpr0
	s_and_not1_saveexec_b32 s0, s31
	s_cbranch_execz .LBB61_221
	s_branch .LBB61_8
	.section	.rodata,"a",@progbits
	.p2align	6, 0x0
	.amdhsa_kernel _ZN2at6native32elementwise_kernel_manual_unrollILi128ELi8EZNS0_22gpu_kernel_impl_nocastIZZZNS0_12_GLOBAL__N_120isposinf_kernel_implERNS_18TensorIteratorBaseEENKUlvE_clEvENKUlvE2_clEvEUlN3c108BFloat16EE_EEvS5_RKT_EUlibE_EEviT1_
		.amdhsa_group_segment_fixed_size 0
		.amdhsa_private_segment_fixed_size 0
		.amdhsa_kernarg_size 360
		.amdhsa_user_sgpr_count 2
		.amdhsa_user_sgpr_dispatch_ptr 0
		.amdhsa_user_sgpr_queue_ptr 0
		.amdhsa_user_sgpr_kernarg_segment_ptr 1
		.amdhsa_user_sgpr_dispatch_id 0
		.amdhsa_user_sgpr_kernarg_preload_length 0
		.amdhsa_user_sgpr_kernarg_preload_offset 0
		.amdhsa_user_sgpr_private_segment_size 0
		.amdhsa_wavefront_size32 1
		.amdhsa_uses_dynamic_stack 0
		.amdhsa_enable_private_segment 0
		.amdhsa_system_sgpr_workgroup_id_x 1
		.amdhsa_system_sgpr_workgroup_id_y 0
		.amdhsa_system_sgpr_workgroup_id_z 0
		.amdhsa_system_sgpr_workgroup_info 0
		.amdhsa_system_vgpr_workitem_id 0
		.amdhsa_next_free_vgpr 24
		.amdhsa_next_free_sgpr 60
		.amdhsa_named_barrier_count 0
		.amdhsa_reserve_vcc 1
		.amdhsa_float_round_mode_32 0
		.amdhsa_float_round_mode_16_64 0
		.amdhsa_float_denorm_mode_32 3
		.amdhsa_float_denorm_mode_16_64 3
		.amdhsa_fp16_overflow 0
		.amdhsa_memory_ordered 1
		.amdhsa_forward_progress 1
		.amdhsa_inst_pref_size 99
		.amdhsa_round_robin_scheduling 0
		.amdhsa_exception_fp_ieee_invalid_op 0
		.amdhsa_exception_fp_denorm_src 0
		.amdhsa_exception_fp_ieee_div_zero 0
		.amdhsa_exception_fp_ieee_overflow 0
		.amdhsa_exception_fp_ieee_underflow 0
		.amdhsa_exception_fp_ieee_inexact 0
		.amdhsa_exception_int_div_zero 0
	.end_amdhsa_kernel
	.section	.text._ZN2at6native32elementwise_kernel_manual_unrollILi128ELi8EZNS0_22gpu_kernel_impl_nocastIZZZNS0_12_GLOBAL__N_120isposinf_kernel_implERNS_18TensorIteratorBaseEENKUlvE_clEvENKUlvE2_clEvEUlN3c108BFloat16EE_EEvS5_RKT_EUlibE_EEviT1_,"axG",@progbits,_ZN2at6native32elementwise_kernel_manual_unrollILi128ELi8EZNS0_22gpu_kernel_impl_nocastIZZZNS0_12_GLOBAL__N_120isposinf_kernel_implERNS_18TensorIteratorBaseEENKUlvE_clEvENKUlvE2_clEvEUlN3c108BFloat16EE_EEvS5_RKT_EUlibE_EEviT1_,comdat
.Lfunc_end61:
	.size	_ZN2at6native32elementwise_kernel_manual_unrollILi128ELi8EZNS0_22gpu_kernel_impl_nocastIZZZNS0_12_GLOBAL__N_120isposinf_kernel_implERNS_18TensorIteratorBaseEENKUlvE_clEvENKUlvE2_clEvEUlN3c108BFloat16EE_EEvS5_RKT_EUlibE_EEviT1_, .Lfunc_end61-_ZN2at6native32elementwise_kernel_manual_unrollILi128ELi8EZNS0_22gpu_kernel_impl_nocastIZZZNS0_12_GLOBAL__N_120isposinf_kernel_implERNS_18TensorIteratorBaseEENKUlvE_clEvENKUlvE2_clEvEUlN3c108BFloat16EE_EEvS5_RKT_EUlibE_EEviT1_
                                        ; -- End function
	.set _ZN2at6native32elementwise_kernel_manual_unrollILi128ELi8EZNS0_22gpu_kernel_impl_nocastIZZZNS0_12_GLOBAL__N_120isposinf_kernel_implERNS_18TensorIteratorBaseEENKUlvE_clEvENKUlvE2_clEvEUlN3c108BFloat16EE_EEvS5_RKT_EUlibE_EEviT1_.num_vgpr, 24
	.set _ZN2at6native32elementwise_kernel_manual_unrollILi128ELi8EZNS0_22gpu_kernel_impl_nocastIZZZNS0_12_GLOBAL__N_120isposinf_kernel_implERNS_18TensorIteratorBaseEENKUlvE_clEvENKUlvE2_clEvEUlN3c108BFloat16EE_EEvS5_RKT_EUlibE_EEviT1_.num_agpr, 0
	.set _ZN2at6native32elementwise_kernel_manual_unrollILi128ELi8EZNS0_22gpu_kernel_impl_nocastIZZZNS0_12_GLOBAL__N_120isposinf_kernel_implERNS_18TensorIteratorBaseEENKUlvE_clEvENKUlvE2_clEvEUlN3c108BFloat16EE_EEvS5_RKT_EUlibE_EEviT1_.numbered_sgpr, 60
	.set _ZN2at6native32elementwise_kernel_manual_unrollILi128ELi8EZNS0_22gpu_kernel_impl_nocastIZZZNS0_12_GLOBAL__N_120isposinf_kernel_implERNS_18TensorIteratorBaseEENKUlvE_clEvENKUlvE2_clEvEUlN3c108BFloat16EE_EEvS5_RKT_EUlibE_EEviT1_.num_named_barrier, 0
	.set _ZN2at6native32elementwise_kernel_manual_unrollILi128ELi8EZNS0_22gpu_kernel_impl_nocastIZZZNS0_12_GLOBAL__N_120isposinf_kernel_implERNS_18TensorIteratorBaseEENKUlvE_clEvENKUlvE2_clEvEUlN3c108BFloat16EE_EEvS5_RKT_EUlibE_EEviT1_.private_seg_size, 0
	.set _ZN2at6native32elementwise_kernel_manual_unrollILi128ELi8EZNS0_22gpu_kernel_impl_nocastIZZZNS0_12_GLOBAL__N_120isposinf_kernel_implERNS_18TensorIteratorBaseEENKUlvE_clEvENKUlvE2_clEvEUlN3c108BFloat16EE_EEvS5_RKT_EUlibE_EEviT1_.uses_vcc, 1
	.set _ZN2at6native32elementwise_kernel_manual_unrollILi128ELi8EZNS0_22gpu_kernel_impl_nocastIZZZNS0_12_GLOBAL__N_120isposinf_kernel_implERNS_18TensorIteratorBaseEENKUlvE_clEvENKUlvE2_clEvEUlN3c108BFloat16EE_EEvS5_RKT_EUlibE_EEviT1_.uses_flat_scratch, 0
	.set _ZN2at6native32elementwise_kernel_manual_unrollILi128ELi8EZNS0_22gpu_kernel_impl_nocastIZZZNS0_12_GLOBAL__N_120isposinf_kernel_implERNS_18TensorIteratorBaseEENKUlvE_clEvENKUlvE2_clEvEUlN3c108BFloat16EE_EEvS5_RKT_EUlibE_EEviT1_.has_dyn_sized_stack, 0
	.set _ZN2at6native32elementwise_kernel_manual_unrollILi128ELi8EZNS0_22gpu_kernel_impl_nocastIZZZNS0_12_GLOBAL__N_120isposinf_kernel_implERNS_18TensorIteratorBaseEENKUlvE_clEvENKUlvE2_clEvEUlN3c108BFloat16EE_EEvS5_RKT_EUlibE_EEviT1_.has_recursion, 0
	.set _ZN2at6native32elementwise_kernel_manual_unrollILi128ELi8EZNS0_22gpu_kernel_impl_nocastIZZZNS0_12_GLOBAL__N_120isposinf_kernel_implERNS_18TensorIteratorBaseEENKUlvE_clEvENKUlvE2_clEvEUlN3c108BFloat16EE_EEvS5_RKT_EUlibE_EEviT1_.has_indirect_call, 0
	.section	.AMDGPU.csdata,"",@progbits
; Kernel info:
; codeLenInByte = 12612
; TotalNumSgprs: 62
; NumVgprs: 24
; ScratchSize: 0
; MemoryBound: 0
; FloatMode: 240
; IeeeMode: 1
; LDSByteSize: 0 bytes/workgroup (compile time only)
; SGPRBlocks: 0
; VGPRBlocks: 1
; NumSGPRsForWavesPerEU: 62
; NumVGPRsForWavesPerEU: 24
; NamedBarCnt: 0
; Occupancy: 16
; WaveLimiterHint : 1
; COMPUTE_PGM_RSRC2:SCRATCH_EN: 0
; COMPUTE_PGM_RSRC2:USER_SGPR: 2
; COMPUTE_PGM_RSRC2:TRAP_HANDLER: 0
; COMPUTE_PGM_RSRC2:TGID_X_EN: 1
; COMPUTE_PGM_RSRC2:TGID_Y_EN: 0
; COMPUTE_PGM_RSRC2:TGID_Z_EN: 0
; COMPUTE_PGM_RSRC2:TIDIG_COMP_CNT: 0
	.section	.text._ZN2at6native32elementwise_kernel_manual_unrollILi128ELi4EZNS0_15gpu_kernel_implIZZZNS0_12_GLOBAL__N_120isposinf_kernel_implERNS_18TensorIteratorBaseEENKUlvE_clEvENKUlvE2_clEvEUlN3c108BFloat16EE_EEvS5_RKT_EUlibE_EEviT1_,"axG",@progbits,_ZN2at6native32elementwise_kernel_manual_unrollILi128ELi4EZNS0_15gpu_kernel_implIZZZNS0_12_GLOBAL__N_120isposinf_kernel_implERNS_18TensorIteratorBaseEENKUlvE_clEvENKUlvE2_clEvEUlN3c108BFloat16EE_EEvS5_RKT_EUlibE_EEviT1_,comdat
	.globl	_ZN2at6native32elementwise_kernel_manual_unrollILi128ELi4EZNS0_15gpu_kernel_implIZZZNS0_12_GLOBAL__N_120isposinf_kernel_implERNS_18TensorIteratorBaseEENKUlvE_clEvENKUlvE2_clEvEUlN3c108BFloat16EE_EEvS5_RKT_EUlibE_EEviT1_ ; -- Begin function _ZN2at6native32elementwise_kernel_manual_unrollILi128ELi4EZNS0_15gpu_kernel_implIZZZNS0_12_GLOBAL__N_120isposinf_kernel_implERNS_18TensorIteratorBaseEENKUlvE_clEvENKUlvE2_clEvEUlN3c108BFloat16EE_EEvS5_RKT_EUlibE_EEviT1_
	.p2align	8
	.type	_ZN2at6native32elementwise_kernel_manual_unrollILi128ELi4EZNS0_15gpu_kernel_implIZZZNS0_12_GLOBAL__N_120isposinf_kernel_implERNS_18TensorIteratorBaseEENKUlvE_clEvENKUlvE2_clEvEUlN3c108BFloat16EE_EEvS5_RKT_EUlibE_EEviT1_,@function
_ZN2at6native32elementwise_kernel_manual_unrollILi128ELi4EZNS0_15gpu_kernel_implIZZZNS0_12_GLOBAL__N_120isposinf_kernel_implERNS_18TensorIteratorBaseEENKUlvE_clEvENKUlvE2_clEvEUlN3c108BFloat16EE_EEvS5_RKT_EUlibE_EEviT1_: ; @_ZN2at6native32elementwise_kernel_manual_unrollILi128ELi4EZNS0_15gpu_kernel_implIZZZNS0_12_GLOBAL__N_120isposinf_kernel_implERNS_18TensorIteratorBaseEENKUlvE_clEvENKUlvE2_clEvEUlN3c108BFloat16EE_EEvS5_RKT_EUlibE_EEviT1_
; %bb.0:
	v_mov_b32_e32 v1, 0
	s_bfe_u32 s10, ttmp6, 0x4000c
	s_clause 0x1
	s_load_b32 s13, s[0:1], 0x0
	s_load_b128 s[4:7], s[0:1], 0x8
	s_add_co_i32 s10, s10, 1
	s_and_b32 s9, ttmp6, 15
	global_load_u16 v1, v1, s[0:1] offset:33
	s_load_b64 s[2:3], s[0:1], 0x18
	s_wait_xcnt 0x0
	s_mul_i32 s1, ttmp9, s10
	s_getreg_b32 s11, hwreg(HW_REG_IB_STS2, 6, 4)
	s_add_co_i32 s9, s9, s1
	s_mov_b32 s12, 0
	s_wait_loadcnt 0x0
	v_readfirstlane_b32 s8, v1
	s_and_b32 s0, 0xffff, s8
	s_delay_alu instid0(SALU_CYCLE_1)
	s_lshr_b32 s10, s0, 8
	s_cmp_eq_u32 s11, 0
	s_cselect_b32 s0, ttmp9, s9
	s_mov_b32 s9, 0
	v_lshl_or_b32 v4, s0, 9, v0
	s_mov_b32 s0, exec_lo
	s_delay_alu instid0(VALU_DEP_1) | instskip(SKIP_1) | instid1(VALU_DEP_1)
	v_or_b32_e32 v0, 0x180, v4
	s_wait_kmcnt 0x0
	v_cmpx_le_i32_e64 s13, v0
	s_xor_b32 s11, exec_lo, s0
	s_cbranch_execz .LBB62_1031
; %bb.1:
	s_mov_b32 s1, -1
	s_mov_b32 s16, 0
	s_mov_b32 s14, 0
	s_mov_b32 s15, exec_lo
	v_cmpx_gt_i32_e64 s13, v4
	s_cbranch_execz .LBB62_252
; %bb.2:
	v_mul_lo_u32 v0, v4, s3
	s_and_b32 s0, 0xffff, s10
	s_delay_alu instid0(SALU_CYCLE_1) | instskip(NEXT) | instid1(VALU_DEP_1)
	s_cmp_lt_i32 s0, 11
	v_ashrrev_i32_e32 v1, 31, v0
	s_delay_alu instid0(VALU_DEP_1)
	v_add_nc_u64_e32 v[0:1], s[6:7], v[0:1]
	s_cbranch_scc1 .LBB62_9
; %bb.3:
	s_cmp_gt_i32 s0, 25
	s_cbranch_scc0 .LBB62_18
; %bb.4:
	s_cmp_gt_i32 s0, 28
	s_cbranch_scc0 .LBB62_21
	;; [unrolled: 3-line block ×4, first 2 shown]
; %bb.7:
	s_cmp_eq_u32 s0, 46
	s_cbranch_scc0 .LBB62_27
; %bb.8:
	global_load_b32 v2, v[0:1], off
	s_branch .LBB62_29
.LBB62_9:
	s_mov_b32 s1, 0
                                        ; implicit-def: $vgpr2
	s_cbranch_execnz .LBB62_202
.LBB62_10:
	s_and_not1_b32 vcc_lo, exec_lo, s1
	s_cbranch_vccnz .LBB62_249
.LBB62_11:
	s_wait_xcnt 0x0
	v_mul_lo_u32 v0, v4, s2
	s_and_b32 s12, s8, 0xff
	s_wait_loadcnt 0x0
	v_lshlrev_b32_e32 v2, 16, v2
	s_cmp_lt_i32 s12, 11
	s_delay_alu instid0(VALU_DEP_1) | instskip(NEXT) | instid1(VALU_DEP_3)
	v_cmp_eq_f32_e64 s0, 0x7f800000, v2
	v_ashrrev_i32_e32 v1, 31, v0
	s_delay_alu instid0(VALU_DEP_1)
	v_add_nc_u64_e32 v[0:1], s[4:5], v[0:1]
	s_cbranch_scc1 .LBB62_19
; %bb.12:
	s_and_b32 s17, 0xffff, s12
	s_delay_alu instid0(SALU_CYCLE_1)
	s_cmp_gt_i32 s17, 25
	s_cbranch_scc0 .LBB62_22
; %bb.13:
	s_cmp_gt_i32 s17, 28
	s_cbranch_scc0 .LBB62_24
; %bb.14:
	;; [unrolled: 3-line block ×4, first 2 shown]
	s_mov_b32 s19, 0
	s_mov_b32 s1, -1
	s_cmp_eq_u32 s17, 46
	s_mov_b32 s18, 0
	s_cbranch_scc0 .LBB62_33
; %bb.17:
	v_cndmask_b32_e64 v2, 0, 1.0, s0
	s_mov_b32 s18, -1
	s_mov_b32 s1, 0
	s_delay_alu instid0(VALU_DEP_1) | instskip(NEXT) | instid1(VALU_DEP_1)
	v_bfe_u32 v3, v2, 16, 1
	v_add3_u32 v2, v2, v3, 0x7fff
	s_delay_alu instid0(VALU_DEP_1)
	v_lshrrev_b32_e32 v2, 16, v2
	global_store_b32 v[0:1], v2, off
	s_branch .LBB62_33
.LBB62_18:
	s_mov_b32 s1, 0
                                        ; implicit-def: $vgpr2
	s_cbranch_execnz .LBB62_167
	s_branch .LBB62_201
.LBB62_19:
	s_mov_b32 s1, 0
	s_mov_b32 s18, 0
	s_cbranch_execnz .LBB62_102
.LBB62_20:
	s_and_not1_b32 vcc_lo, exec_lo, s18
	s_cbranch_vccnz .LBB62_250
	s_branch .LBB62_140
.LBB62_21:
	s_mov_b32 s12, -1
	s_mov_b32 s1, 0
                                        ; implicit-def: $vgpr2
	s_branch .LBB62_148
.LBB62_22:
	s_mov_b32 s19, -1
	s_mov_b32 s1, 0
	s_mov_b32 s18, 0
	s_branch .LBB62_60
.LBB62_23:
	s_mov_b32 s12, -1
	s_mov_b32 s1, 0
                                        ; implicit-def: $vgpr2
	s_branch .LBB62_143
.LBB62_24:
	s_mov_b32 s19, -1
	s_mov_b32 s1, 0
	s_mov_b32 s18, 0
	s_branch .LBB62_43
.LBB62_25:
	s_mov_b32 s12, -1
	s_branch .LBB62_28
.LBB62_26:
	s_mov_b32 s19, -1
	s_mov_b32 s1, 0
	s_mov_b32 s18, 0
	s_branch .LBB62_39
.LBB62_27:
	s_mov_b32 s14, -1
.LBB62_28:
	s_mov_b32 s1, 0
                                        ; implicit-def: $vgpr2
.LBB62_29:
	s_and_b32 vcc_lo, exec_lo, s12
	s_cbranch_vccz .LBB62_142
; %bb.30:
	s_cmp_eq_u32 s0, 44
	s_cbranch_scc0 .LBB62_141
; %bb.31:
	s_wait_loadcnt 0x0
	global_load_u8 v2, v[0:1], off
	s_mov_b32 s14, 0
	s_mov_b32 s1, -1
	s_wait_loadcnt 0x0
	v_lshlrev_b32_e32 v3, 23, v2
	v_cmp_ne_u32_e32 vcc_lo, 0xff, v2
	s_delay_alu instid0(VALU_DEP_2) | instskip(SKIP_1) | instid1(VALU_DEP_2)
	v_cndmask_b32_e32 v3, 0x7f800001, v3, vcc_lo
	v_cmp_ne_u32_e32 vcc_lo, 0, v2
	v_cndmask_b32_e32 v2, 0x400000, v3, vcc_lo
	s_delay_alu instid0(VALU_DEP_1) | instskip(NEXT) | instid1(VALU_DEP_1)
	v_add_nc_u32_e32 v3, 0x7fff, v2
	v_lshrrev_b32_e32 v3, 16, v3
	v_cmp_o_f32_e32 vcc_lo, v2, v2
	s_delay_alu instid0(VALU_DEP_2)
	v_cndmask_b32_e32 v2, 0x7fc0, v3, vcc_lo
	s_branch .LBB62_142
.LBB62_32:
	s_mov_b32 s19, -1
	s_mov_b32 s1, 0
	s_mov_b32 s18, 0
.LBB62_33:
	s_and_b32 vcc_lo, exec_lo, s19
	s_cbranch_vccz .LBB62_38
; %bb.34:
	s_cmp_eq_u32 s17, 44
	s_mov_b32 s1, -1
	s_cbranch_scc0 .LBB62_38
; %bb.35:
	v_cndmask_b32_e64 v5, 0, 1.0, s0
	s_mov_b32 s18, exec_lo
	s_wait_xcnt 0x0
	s_delay_alu instid0(VALU_DEP_1) | instskip(NEXT) | instid1(VALU_DEP_1)
	v_dual_mov_b32 v3, 0xff :: v_dual_lshrrev_b32 v2, 23, v5
	v_cmpx_ne_u32_e32 0xff, v2
; %bb.36:
	v_and_b32_e32 v3, 0x400000, v5
	v_and_or_b32 v5, 0x3fffff, v5, v2
	s_delay_alu instid0(VALU_DEP_2) | instskip(NEXT) | instid1(VALU_DEP_2)
	v_cmp_ne_u32_e32 vcc_lo, 0, v3
	v_cmp_ne_u32_e64 s1, 0, v5
	s_and_b32 s1, vcc_lo, s1
	s_delay_alu instid0(SALU_CYCLE_1) | instskip(NEXT) | instid1(VALU_DEP_1)
	v_cndmask_b32_e64 v3, 0, 1, s1
	v_add_nc_u32_e32 v3, v2, v3
; %bb.37:
	s_or_b32 exec_lo, exec_lo, s18
	s_mov_b32 s18, -1
	s_mov_b32 s1, 0
	global_store_b8 v[0:1], v3, off
.LBB62_38:
	s_mov_b32 s19, 0
.LBB62_39:
	s_delay_alu instid0(SALU_CYCLE_1)
	s_and_b32 vcc_lo, exec_lo, s19
	s_cbranch_vccz .LBB62_42
; %bb.40:
	s_cmp_eq_u32 s17, 29
	s_mov_b32 s1, -1
	s_cbranch_scc0 .LBB62_42
; %bb.41:
	s_mov_b32 s1, 0
	s_wait_xcnt 0x0
	v_cndmask_b32_e64 v2, 0, 1, s0
	v_mov_b32_e32 v3, s1
	s_mov_b32 s18, -1
	s_mov_b32 s19, 0
	global_store_b64 v[0:1], v[2:3], off
	s_branch .LBB62_43
.LBB62_42:
	s_mov_b32 s19, 0
.LBB62_43:
	s_delay_alu instid0(SALU_CYCLE_1)
	s_and_b32 vcc_lo, exec_lo, s19
	s_cbranch_vccz .LBB62_59
; %bb.44:
	s_cmp_lt_i32 s17, 27
	s_mov_b32 s18, -1
	s_cbranch_scc1 .LBB62_50
; %bb.45:
	s_cmp_gt_i32 s17, 27
	s_cbranch_scc0 .LBB62_47
; %bb.46:
	s_wait_xcnt 0x0
	v_cndmask_b32_e64 v2, 0, 1, s0
	s_mov_b32 s18, 0
	global_store_b32 v[0:1], v2, off
.LBB62_47:
	s_and_not1_b32 vcc_lo, exec_lo, s18
	s_cbranch_vccnz .LBB62_49
; %bb.48:
	s_wait_xcnt 0x0
	v_cndmask_b32_e64 v2, 0, 1, s0
	global_store_b16 v[0:1], v2, off
.LBB62_49:
	s_mov_b32 s18, 0
.LBB62_50:
	s_delay_alu instid0(SALU_CYCLE_1)
	s_and_not1_b32 vcc_lo, exec_lo, s18
	s_cbranch_vccnz .LBB62_58
; %bb.51:
	s_wait_xcnt 0x0
	v_cndmask_b32_e64 v3, 0, 1.0, s0
	v_mov_b32_e32 v5, 0x80
	s_mov_b32 s18, exec_lo
	s_delay_alu instid0(VALU_DEP_2)
	v_cmpx_gt_u32_e32 0x43800000, v3
	s_cbranch_execz .LBB62_57
; %bb.52:
	s_mov_b32 s19, 0
	s_mov_b32 s20, exec_lo
                                        ; implicit-def: $vgpr2
	v_cmpx_lt_u32_e32 0x3bffffff, v3
	s_xor_b32 s20, exec_lo, s20
	s_cbranch_execz .LBB62_279
; %bb.53:
	v_bfe_u32 v2, v3, 20, 1
	s_mov_b32 s19, exec_lo
	s_delay_alu instid0(VALU_DEP_1) | instskip(NEXT) | instid1(VALU_DEP_1)
	v_add3_u32 v2, v3, v2, 0x487ffff
                                        ; implicit-def: $vgpr3
	v_lshrrev_b32_e32 v2, 20, v2
	s_and_not1_saveexec_b32 s20, s20
	s_cbranch_execnz .LBB62_280
.LBB62_54:
	s_or_b32 exec_lo, exec_lo, s20
	v_mov_b32_e32 v5, 0
	s_and_saveexec_b32 s20, s19
.LBB62_55:
	v_mov_b32_e32 v5, v2
.LBB62_56:
	s_or_b32 exec_lo, exec_lo, s20
.LBB62_57:
	s_delay_alu instid0(SALU_CYCLE_1)
	s_or_b32 exec_lo, exec_lo, s18
	global_store_b8 v[0:1], v5, off
.LBB62_58:
	s_mov_b32 s18, -1
.LBB62_59:
	s_mov_b32 s19, 0
.LBB62_60:
	s_delay_alu instid0(SALU_CYCLE_1)
	s_and_b32 vcc_lo, exec_lo, s19
	s_cbranch_vccz .LBB62_101
; %bb.61:
	s_cmp_gt_i32 s17, 22
	s_mov_b32 s19, -1
	s_cbranch_scc0 .LBB62_93
; %bb.62:
	s_cmp_lt_i32 s17, 24
	s_mov_b32 s18, -1
	s_cbranch_scc1 .LBB62_82
; %bb.63:
	s_cmp_gt_i32 s17, 24
	s_cbranch_scc0 .LBB62_71
; %bb.64:
	s_wait_xcnt 0x0
	v_cndmask_b32_e64 v3, 0, 1.0, s0
	v_mov_b32_e32 v5, 0x80
	s_mov_b32 s18, exec_lo
	s_delay_alu instid0(VALU_DEP_2)
	v_cmpx_gt_u32_e32 0x47800000, v3
	s_cbranch_execz .LBB62_70
; %bb.65:
	s_mov_b32 s19, 0
	s_mov_b32 s20, exec_lo
                                        ; implicit-def: $vgpr2
	v_cmpx_lt_u32_e32 0x37ffffff, v3
	s_xor_b32 s20, exec_lo, s20
	s_cbranch_execz .LBB62_283
; %bb.66:
	v_bfe_u32 v2, v3, 21, 1
	s_mov_b32 s19, exec_lo
	s_delay_alu instid0(VALU_DEP_1) | instskip(NEXT) | instid1(VALU_DEP_1)
	v_add3_u32 v2, v3, v2, 0x88fffff
                                        ; implicit-def: $vgpr3
	v_lshrrev_b32_e32 v2, 21, v2
	s_and_not1_saveexec_b32 s20, s20
	s_cbranch_execnz .LBB62_284
.LBB62_67:
	s_or_b32 exec_lo, exec_lo, s20
	v_mov_b32_e32 v5, 0
	s_and_saveexec_b32 s20, s19
.LBB62_68:
	v_mov_b32_e32 v5, v2
.LBB62_69:
	s_or_b32 exec_lo, exec_lo, s20
.LBB62_70:
	s_delay_alu instid0(SALU_CYCLE_1)
	s_or_b32 exec_lo, exec_lo, s18
	s_mov_b32 s18, 0
	global_store_b8 v[0:1], v5, off
.LBB62_71:
	s_and_b32 vcc_lo, exec_lo, s18
	s_cbranch_vccz .LBB62_81
; %bb.72:
	s_wait_xcnt 0x0
	v_cndmask_b32_e64 v3, 0, 1.0, s0
	s_mov_b32 s18, exec_lo
                                        ; implicit-def: $vgpr2
	s_delay_alu instid0(VALU_DEP_1)
	v_cmpx_gt_u32_e32 0x43f00000, v3
	s_xor_b32 s18, exec_lo, s18
	s_cbranch_execz .LBB62_78
; %bb.73:
	s_mov_b32 s19, exec_lo
                                        ; implicit-def: $vgpr2
	v_cmpx_lt_u32_e32 0x3c7fffff, v3
	s_xor_b32 s19, exec_lo, s19
; %bb.74:
	v_bfe_u32 v2, v3, 20, 1
	s_delay_alu instid0(VALU_DEP_1) | instskip(NEXT) | instid1(VALU_DEP_1)
	v_add3_u32 v2, v3, v2, 0x407ffff
	v_and_b32_e32 v3, 0xff00000, v2
	v_lshrrev_b32_e32 v2, 20, v2
	s_delay_alu instid0(VALU_DEP_2) | instskip(NEXT) | instid1(VALU_DEP_2)
	v_cmp_ne_u32_e32 vcc_lo, 0x7f00000, v3
                                        ; implicit-def: $vgpr3
	v_cndmask_b32_e32 v2, 0x7e, v2, vcc_lo
; %bb.75:
	s_and_not1_saveexec_b32 s19, s19
; %bb.76:
	v_add_f32_e32 v2, 0x46800000, v3
; %bb.77:
	s_or_b32 exec_lo, exec_lo, s19
                                        ; implicit-def: $vgpr3
.LBB62_78:
	s_and_not1_saveexec_b32 s18, s18
; %bb.79:
	v_mov_b32_e32 v2, 0x7f
	v_cmp_lt_u32_e32 vcc_lo, 0x7f800000, v3
	s_delay_alu instid0(VALU_DEP_2)
	v_cndmask_b32_e32 v2, 0x7e, v2, vcc_lo
; %bb.80:
	s_or_b32 exec_lo, exec_lo, s18
	global_store_b8 v[0:1], v2, off
.LBB62_81:
	s_mov_b32 s18, 0
.LBB62_82:
	s_delay_alu instid0(SALU_CYCLE_1)
	s_and_not1_b32 vcc_lo, exec_lo, s18
	s_cbranch_vccnz .LBB62_92
; %bb.83:
	s_wait_xcnt 0x0
	v_cndmask_b32_e64 v3, 0, 1.0, s0
	s_mov_b32 s18, exec_lo
                                        ; implicit-def: $vgpr2
	s_delay_alu instid0(VALU_DEP_1)
	v_cmpx_gt_u32_e32 0x47800000, v3
	s_xor_b32 s18, exec_lo, s18
	s_cbranch_execz .LBB62_89
; %bb.84:
	s_mov_b32 s19, exec_lo
                                        ; implicit-def: $vgpr2
	v_cmpx_lt_u32_e32 0x387fffff, v3
	s_xor_b32 s19, exec_lo, s19
; %bb.85:
	v_bfe_u32 v2, v3, 21, 1
	s_delay_alu instid0(VALU_DEP_1) | instskip(NEXT) | instid1(VALU_DEP_1)
	v_add3_u32 v2, v3, v2, 0x80fffff
                                        ; implicit-def: $vgpr3
	v_lshrrev_b32_e32 v2, 21, v2
; %bb.86:
	s_and_not1_saveexec_b32 s19, s19
; %bb.87:
	v_add_f32_e32 v2, 0x43000000, v3
; %bb.88:
	s_or_b32 exec_lo, exec_lo, s19
                                        ; implicit-def: $vgpr3
.LBB62_89:
	s_and_not1_saveexec_b32 s18, s18
; %bb.90:
	v_mov_b32_e32 v2, 0x7f
	v_cmp_lt_u32_e32 vcc_lo, 0x7f800000, v3
	s_delay_alu instid0(VALU_DEP_2)
	v_cndmask_b32_e32 v2, 0x7c, v2, vcc_lo
; %bb.91:
	s_or_b32 exec_lo, exec_lo, s18
	global_store_b8 v[0:1], v2, off
.LBB62_92:
	s_mov_b32 s19, 0
	s_mov_b32 s18, -1
.LBB62_93:
	s_and_not1_b32 vcc_lo, exec_lo, s19
	s_cbranch_vccnz .LBB62_101
; %bb.94:
	s_cmp_gt_i32 s17, 14
	s_mov_b32 s19, -1
	s_cbranch_scc0 .LBB62_98
; %bb.95:
	s_cmp_eq_u32 s17, 15
	s_mov_b32 s1, -1
	s_cbranch_scc0 .LBB62_97
; %bb.96:
	s_wait_xcnt 0x0
	v_cndmask_b32_e64 v2, 0, 1.0, s0
	s_mov_b32 s18, -1
	s_mov_b32 s1, 0
	s_delay_alu instid0(VALU_DEP_1) | instskip(NEXT) | instid1(VALU_DEP_1)
	v_bfe_u32 v3, v2, 16, 1
	v_add3_u32 v2, v2, v3, 0x7fff
	global_store_d16_hi_b16 v[0:1], v2, off
.LBB62_97:
	s_mov_b32 s19, 0
.LBB62_98:
	s_delay_alu instid0(SALU_CYCLE_1)
	s_and_b32 vcc_lo, exec_lo, s19
	s_cbranch_vccz .LBB62_101
; %bb.99:
	s_cmp_eq_u32 s17, 11
	s_mov_b32 s1, -1
	s_cbranch_scc0 .LBB62_101
; %bb.100:
	s_wait_xcnt 0x0
	v_cndmask_b32_e64 v2, 0, 1, s0
	s_mov_b32 s18, -1
	s_mov_b32 s1, 0
	global_store_b8 v[0:1], v2, off
.LBB62_101:
	s_branch .LBB62_20
.LBB62_102:
	s_and_b32 s12, 0xffff, s12
	s_mov_b32 s17, -1
	s_cmp_lt_i32 s12, 5
	s_cbranch_scc1 .LBB62_123
; %bb.103:
	s_cmp_lt_i32 s12, 8
	s_cbranch_scc1 .LBB62_113
; %bb.104:
	;; [unrolled: 3-line block ×3, first 2 shown]
	s_cmp_gt_i32 s12, 9
	s_cbranch_scc0 .LBB62_107
; %bb.106:
	s_wait_xcnt 0x0
	v_cndmask_b32_e64 v2, 0, 1, s0
	v_mov_b32_e32 v8, 0
	s_mov_b32 s17, 0
	s_delay_alu instid0(VALU_DEP_2) | instskip(NEXT) | instid1(VALU_DEP_2)
	v_cvt_f64_u32_e32 v[6:7], v2
	v_mov_b32_e32 v9, v8
	global_store_b128 v[0:1], v[6:9], off
.LBB62_107:
	s_and_not1_b32 vcc_lo, exec_lo, s17
	s_cbranch_vccnz .LBB62_109
; %bb.108:
	s_wait_xcnt 0x0
	v_cndmask_b32_e64 v2, 0, 1.0, s0
	v_mov_b32_e32 v3, 0
	global_store_b64 v[0:1], v[2:3], off
.LBB62_109:
	s_mov_b32 s17, 0
.LBB62_110:
	s_delay_alu instid0(SALU_CYCLE_1)
	s_and_not1_b32 vcc_lo, exec_lo, s17
	s_cbranch_vccnz .LBB62_112
; %bb.111:
	s_wait_xcnt 0x0
	v_cndmask_b32_e64 v2, 0, 1.0, s0
	s_delay_alu instid0(VALU_DEP_1) | instskip(NEXT) | instid1(VALU_DEP_1)
	v_cvt_f16_f32_e32 v2, v2
	v_and_b32_e32 v2, 0xffff, v2
	global_store_b32 v[0:1], v2, off
.LBB62_112:
	s_mov_b32 s17, 0
.LBB62_113:
	s_delay_alu instid0(SALU_CYCLE_1)
	s_and_not1_b32 vcc_lo, exec_lo, s17
	s_cbranch_vccnz .LBB62_122
; %bb.114:
	s_cmp_lt_i32 s12, 6
	s_mov_b32 s17, -1
	s_cbranch_scc1 .LBB62_120
; %bb.115:
	s_cmp_gt_i32 s12, 6
	s_cbranch_scc0 .LBB62_117
; %bb.116:
	s_wait_xcnt 0x0
	v_cndmask_b32_e64 v2, 0, 1, s0
	s_mov_b32 s17, 0
	s_delay_alu instid0(VALU_DEP_1)
	v_cvt_f64_u32_e32 v[2:3], v2
	global_store_b64 v[0:1], v[2:3], off
.LBB62_117:
	s_and_not1_b32 vcc_lo, exec_lo, s17
	s_cbranch_vccnz .LBB62_119
; %bb.118:
	s_wait_xcnt 0x0
	v_cndmask_b32_e64 v2, 0, 1.0, s0
	global_store_b32 v[0:1], v2, off
.LBB62_119:
	s_mov_b32 s17, 0
.LBB62_120:
	s_delay_alu instid0(SALU_CYCLE_1)
	s_and_not1_b32 vcc_lo, exec_lo, s17
	s_cbranch_vccnz .LBB62_122
; %bb.121:
	s_wait_xcnt 0x0
	v_cndmask_b32_e64 v2, 0, 1.0, s0
	s_delay_alu instid0(VALU_DEP_1)
	v_cvt_f16_f32_e32 v2, v2
	global_store_b16 v[0:1], v2, off
.LBB62_122:
	s_mov_b32 s17, 0
.LBB62_123:
	s_delay_alu instid0(SALU_CYCLE_1)
	s_and_not1_b32 vcc_lo, exec_lo, s17
	s_cbranch_vccnz .LBB62_139
; %bb.124:
	s_cmp_lt_i32 s12, 2
	s_mov_b32 s17, -1
	s_cbranch_scc1 .LBB62_134
; %bb.125:
	s_cmp_lt_i32 s12, 3
	s_cbranch_scc1 .LBB62_131
; %bb.126:
	s_cmp_gt_i32 s12, 3
	s_cbranch_scc0 .LBB62_128
; %bb.127:
	s_mov_b32 s17, 0
	s_wait_xcnt 0x0
	v_cndmask_b32_e64 v2, 0, 1, s0
	v_mov_b32_e32 v3, s17
	global_store_b64 v[0:1], v[2:3], off
.LBB62_128:
	s_and_not1_b32 vcc_lo, exec_lo, s17
	s_cbranch_vccnz .LBB62_130
; %bb.129:
	s_wait_xcnt 0x0
	v_cndmask_b32_e64 v2, 0, 1, s0
	global_store_b32 v[0:1], v2, off
.LBB62_130:
	s_mov_b32 s17, 0
.LBB62_131:
	s_delay_alu instid0(SALU_CYCLE_1)
	s_and_not1_b32 vcc_lo, exec_lo, s17
	s_cbranch_vccnz .LBB62_133
; %bb.132:
	s_wait_xcnt 0x0
	v_cndmask_b32_e64 v2, 0, 1, s0
	global_store_b16 v[0:1], v2, off
.LBB62_133:
	s_mov_b32 s17, 0
.LBB62_134:
	s_delay_alu instid0(SALU_CYCLE_1)
	s_and_not1_b32 vcc_lo, exec_lo, s17
	s_cbranch_vccnz .LBB62_139
; %bb.135:
	s_wait_xcnt 0x0
	v_cndmask_b32_e64 v2, 0, 1, s0
	s_cmp_gt_i32 s12, 0
	s_mov_b32 s0, -1
	s_cbranch_scc0 .LBB62_137
; %bb.136:
	s_mov_b32 s0, 0
	global_store_b8 v[0:1], v2, off
.LBB62_137:
	s_and_not1_b32 vcc_lo, exec_lo, s0
	s_cbranch_vccnz .LBB62_139
; %bb.138:
	global_store_b8 v[0:1], v2, off
.LBB62_139:
.LBB62_140:
	v_add_nc_u32_e32 v4, 0x80, v4
	s_mov_b32 s0, -1
	s_branch .LBB62_251
.LBB62_141:
	s_mov_b32 s14, -1
                                        ; implicit-def: $vgpr2
.LBB62_142:
	s_mov_b32 s12, 0
.LBB62_143:
	s_delay_alu instid0(SALU_CYCLE_1)
	s_and_b32 vcc_lo, exec_lo, s12
	s_cbranch_vccz .LBB62_147
; %bb.144:
	s_cmp_eq_u32 s0, 29
	s_cbranch_scc0 .LBB62_146
; %bb.145:
	s_wait_loadcnt 0x0
	global_load_b64 v[2:3], v[0:1], off
	s_mov_b32 s1, -1
	s_mov_b32 s14, 0
	s_mov_b32 s12, 0
	s_wait_loadcnt 0x0
	v_clz_i32_u32_e32 v5, v3
	s_delay_alu instid0(VALU_DEP_1) | instskip(NEXT) | instid1(VALU_DEP_1)
	v_min_u32_e32 v5, 32, v5
	v_lshlrev_b64_e32 v[2:3], v5, v[2:3]
	s_delay_alu instid0(VALU_DEP_1) | instskip(NEXT) | instid1(VALU_DEP_1)
	v_min_u32_e32 v2, 1, v2
	v_dual_sub_nc_u32 v3, 32, v5 :: v_dual_bitop2_b32 v2, v3, v2 bitop3:0x54
	s_delay_alu instid0(VALU_DEP_1) | instskip(NEXT) | instid1(VALU_DEP_1)
	v_cvt_f32_u32_e32 v2, v2
	v_ldexp_f32 v2, v2, v3
	s_delay_alu instid0(VALU_DEP_1) | instskip(NEXT) | instid1(VALU_DEP_1)
	v_bfe_u32 v3, v2, 16, 1
	v_add3_u32 v2, v2, v3, 0x7fff
	s_delay_alu instid0(VALU_DEP_1)
	v_lshrrev_b32_e32 v2, 16, v2
	s_branch .LBB62_148
.LBB62_146:
	s_mov_b32 s14, -1
                                        ; implicit-def: $vgpr2
.LBB62_147:
	s_mov_b32 s12, 0
.LBB62_148:
	s_delay_alu instid0(SALU_CYCLE_1)
	s_and_b32 vcc_lo, exec_lo, s12
	s_cbranch_vccz .LBB62_166
; %bb.149:
	s_cmp_lt_i32 s0, 27
	s_cbranch_scc1 .LBB62_152
; %bb.150:
	s_cmp_gt_i32 s0, 27
	s_cbranch_scc0 .LBB62_153
; %bb.151:
	s_wait_loadcnt 0x0
	global_load_b32 v2, v[0:1], off
	s_mov_b32 s1, 0
	s_wait_loadcnt 0x0
	v_cvt_f32_u32_e32 v2, v2
	s_delay_alu instid0(VALU_DEP_1) | instskip(NEXT) | instid1(VALU_DEP_1)
	v_bfe_u32 v3, v2, 16, 1
	v_add3_u32 v2, v2, v3, 0x7fff
	s_delay_alu instid0(VALU_DEP_1)
	v_lshrrev_b32_e32 v2, 16, v2
	s_branch .LBB62_154
.LBB62_152:
	s_mov_b32 s1, -1
                                        ; implicit-def: $vgpr2
	s_branch .LBB62_157
.LBB62_153:
	s_mov_b32 s1, -1
                                        ; implicit-def: $vgpr2
.LBB62_154:
	s_delay_alu instid0(SALU_CYCLE_1)
	s_and_not1_b32 vcc_lo, exec_lo, s1
	s_cbranch_vccnz .LBB62_156
; %bb.155:
	s_wait_loadcnt 0x0
	global_load_u16 v2, v[0:1], off
	s_wait_loadcnt 0x0
	v_cvt_f32_u32_e32 v2, v2
	s_delay_alu instid0(VALU_DEP_1) | instskip(NEXT) | instid1(VALU_DEP_1)
	v_bfe_u32 v3, v2, 16, 1
	v_add3_u32 v2, v2, v3, 0x7fff
	s_delay_alu instid0(VALU_DEP_1)
	v_lshrrev_b32_e32 v2, 16, v2
.LBB62_156:
	s_mov_b32 s1, 0
.LBB62_157:
	s_delay_alu instid0(SALU_CYCLE_1)
	s_and_not1_b32 vcc_lo, exec_lo, s1
	s_cbranch_vccnz .LBB62_165
; %bb.158:
	s_wait_loadcnt 0x0
	global_load_u8 v2, v[0:1], off
	s_mov_b32 s1, 0
	s_mov_b32 s12, exec_lo
	s_wait_loadcnt 0x0
	v_cmpx_lt_i16_e32 0x7f, v2
	s_xor_b32 s12, exec_lo, s12
	s_cbranch_execz .LBB62_178
; %bb.159:
	s_mov_b32 s1, -1
	s_mov_b32 s17, exec_lo
	v_cmpx_eq_u16_e32 0x80, v2
; %bb.160:
	s_xor_b32 s1, exec_lo, -1
; %bb.161:
	s_or_b32 exec_lo, exec_lo, s17
	s_delay_alu instid0(SALU_CYCLE_1)
	s_and_b32 s1, s1, exec_lo
	s_or_saveexec_b32 s12, s12
	v_mov_b32_e32 v3, 0x7f800001
	s_xor_b32 exec_lo, exec_lo, s12
	s_cbranch_execnz .LBB62_179
.LBB62_162:
	s_or_b32 exec_lo, exec_lo, s12
	s_and_saveexec_b32 s12, s1
	s_cbranch_execz .LBB62_164
.LBB62_163:
	v_and_b32_e32 v3, 0xffff, v2
	s_delay_alu instid0(VALU_DEP_1) | instskip(SKIP_1) | instid1(VALU_DEP_2)
	v_and_b32_e32 v5, 7, v3
	v_bfe_u32 v8, v3, 3, 4
	v_clz_i32_u32_e32 v6, v5
	s_delay_alu instid0(VALU_DEP_2) | instskip(NEXT) | instid1(VALU_DEP_2)
	v_cmp_eq_u32_e32 vcc_lo, 0, v8
	v_min_u32_e32 v6, 32, v6
	s_delay_alu instid0(VALU_DEP_1) | instskip(NEXT) | instid1(VALU_DEP_1)
	v_subrev_nc_u32_e32 v7, 28, v6
	v_dual_lshlrev_b32 v3, v7, v3 :: v_dual_sub_nc_u32 v6, 29, v6
	s_delay_alu instid0(VALU_DEP_1) | instskip(NEXT) | instid1(VALU_DEP_1)
	v_dual_lshlrev_b32 v2, 24, v2 :: v_dual_bitop2_b32 v3, 7, v3 bitop3:0x40
	v_dual_cndmask_b32 v3, v5, v3 :: v_dual_cndmask_b32 v6, v8, v6
	s_delay_alu instid0(VALU_DEP_2) | instskip(NEXT) | instid1(VALU_DEP_2)
	v_and_b32_e32 v2, 0x80000000, v2
	v_lshlrev_b32_e32 v3, 20, v3
	s_delay_alu instid0(VALU_DEP_3) | instskip(NEXT) | instid1(VALU_DEP_1)
	v_lshl_add_u32 v5, v6, 23, 0x3b800000
	v_or3_b32 v3, v2, v5, v3
.LBB62_164:
	s_or_b32 exec_lo, exec_lo, s12
	s_delay_alu instid0(VALU_DEP_1) | instskip(SKIP_1) | instid1(VALU_DEP_2)
	v_bfe_u32 v2, v3, 16, 1
	v_cmp_o_f32_e32 vcc_lo, v3, v3
	v_add3_u32 v2, v3, v2, 0x7fff
	s_delay_alu instid0(VALU_DEP_1) | instskip(NEXT) | instid1(VALU_DEP_1)
	v_lshrrev_b32_e32 v2, 16, v2
	v_cndmask_b32_e32 v2, 0x7fc0, v2, vcc_lo
.LBB62_165:
	s_mov_b32 s1, -1
.LBB62_166:
	s_branch .LBB62_201
.LBB62_167:
	s_cmp_gt_i32 s0, 22
	s_cbranch_scc0 .LBB62_177
; %bb.168:
	s_cmp_lt_i32 s0, 24
	s_cbranch_scc1 .LBB62_180
; %bb.169:
	s_cmp_gt_i32 s0, 24
	s_cbranch_scc0 .LBB62_181
; %bb.170:
	s_wait_loadcnt 0x0
	global_load_u8 v2, v[0:1], off
	s_mov_b32 s1, 0
	s_mov_b32 s12, exec_lo
	s_wait_loadcnt 0x0
	v_cmpx_lt_i16_e32 0x7f, v2
	s_xor_b32 s12, exec_lo, s12
	s_cbranch_execz .LBB62_193
; %bb.171:
	s_mov_b32 s1, -1
	s_mov_b32 s17, exec_lo
	v_cmpx_eq_u16_e32 0x80, v2
; %bb.172:
	s_xor_b32 s1, exec_lo, -1
; %bb.173:
	s_or_b32 exec_lo, exec_lo, s17
	s_delay_alu instid0(SALU_CYCLE_1)
	s_and_b32 s1, s1, exec_lo
	s_or_saveexec_b32 s12, s12
	v_mov_b32_e32 v3, 0x7f800001
	s_xor_b32 exec_lo, exec_lo, s12
	s_cbranch_execnz .LBB62_194
.LBB62_174:
	s_or_b32 exec_lo, exec_lo, s12
	s_and_saveexec_b32 s12, s1
	s_cbranch_execz .LBB62_176
.LBB62_175:
	v_and_b32_e32 v3, 0xffff, v2
	s_delay_alu instid0(VALU_DEP_1) | instskip(SKIP_1) | instid1(VALU_DEP_2)
	v_and_b32_e32 v5, 3, v3
	v_bfe_u32 v8, v3, 2, 5
	v_clz_i32_u32_e32 v6, v5
	s_delay_alu instid0(VALU_DEP_2) | instskip(NEXT) | instid1(VALU_DEP_2)
	v_cmp_eq_u32_e32 vcc_lo, 0, v8
	v_min_u32_e32 v6, 32, v6
	s_delay_alu instid0(VALU_DEP_1) | instskip(NEXT) | instid1(VALU_DEP_1)
	v_subrev_nc_u32_e32 v7, 29, v6
	v_dual_lshlrev_b32 v3, v7, v3 :: v_dual_sub_nc_u32 v6, 30, v6
	s_delay_alu instid0(VALU_DEP_1) | instskip(NEXT) | instid1(VALU_DEP_1)
	v_dual_lshlrev_b32 v2, 24, v2 :: v_dual_bitop2_b32 v3, 3, v3 bitop3:0x40
	v_dual_cndmask_b32 v3, v5, v3 :: v_dual_cndmask_b32 v6, v8, v6
	s_delay_alu instid0(VALU_DEP_2) | instskip(NEXT) | instid1(VALU_DEP_2)
	v_and_b32_e32 v2, 0x80000000, v2
	v_lshlrev_b32_e32 v3, 21, v3
	s_delay_alu instid0(VALU_DEP_3) | instskip(NEXT) | instid1(VALU_DEP_1)
	v_lshl_add_u32 v5, v6, 23, 0x37800000
	v_or3_b32 v3, v2, v5, v3
.LBB62_176:
	s_or_b32 exec_lo, exec_lo, s12
	s_delay_alu instid0(VALU_DEP_1) | instskip(SKIP_2) | instid1(VALU_DEP_2)
	v_bfe_u32 v2, v3, 16, 1
	v_cmp_o_f32_e32 vcc_lo, v3, v3
	s_mov_b32 s1, 0
	v_add3_u32 v2, v3, v2, 0x7fff
	s_delay_alu instid0(VALU_DEP_1) | instskip(NEXT) | instid1(VALU_DEP_1)
	v_lshrrev_b32_e32 v2, 16, v2
	v_cndmask_b32_e32 v2, 0x7fc0, v2, vcc_lo
	s_branch .LBB62_182
.LBB62_177:
	s_mov_b32 s12, -1
                                        ; implicit-def: $vgpr2
	s_branch .LBB62_188
.LBB62_178:
	s_or_saveexec_b32 s12, s12
	v_mov_b32_e32 v3, 0x7f800001
	s_xor_b32 exec_lo, exec_lo, s12
	s_cbranch_execz .LBB62_162
.LBB62_179:
	v_cmp_ne_u16_e32 vcc_lo, 0, v2
	v_mov_b32_e32 v3, 0
	s_and_not1_b32 s1, s1, exec_lo
	s_and_b32 s17, vcc_lo, exec_lo
	s_delay_alu instid0(SALU_CYCLE_1)
	s_or_b32 s1, s1, s17
	s_or_b32 exec_lo, exec_lo, s12
	s_and_saveexec_b32 s12, s1
	s_cbranch_execnz .LBB62_163
	s_branch .LBB62_164
.LBB62_180:
	s_mov_b32 s1, -1
                                        ; implicit-def: $vgpr2
	s_branch .LBB62_185
.LBB62_181:
	s_mov_b32 s1, -1
                                        ; implicit-def: $vgpr2
.LBB62_182:
	s_delay_alu instid0(SALU_CYCLE_1)
	s_and_b32 vcc_lo, exec_lo, s1
	s_cbranch_vccz .LBB62_184
; %bb.183:
	s_wait_loadcnt 0x0
	global_load_u8 v2, v[0:1], off
	s_wait_loadcnt 0x0
	v_lshlrev_b32_e32 v2, 24, v2
	s_delay_alu instid0(VALU_DEP_1) | instskip(NEXT) | instid1(VALU_DEP_1)
	v_and_b32_e32 v3, 0x7f000000, v2
	v_clz_i32_u32_e32 v5, v3
	v_add_nc_u32_e32 v7, 0x1000000, v3
	v_cmp_ne_u32_e32 vcc_lo, 0, v3
	s_delay_alu instid0(VALU_DEP_3) | instskip(NEXT) | instid1(VALU_DEP_1)
	v_min_u32_e32 v5, 32, v5
	v_sub_nc_u32_e64 v5, v5, 4 clamp
	s_delay_alu instid0(VALU_DEP_1) | instskip(NEXT) | instid1(VALU_DEP_1)
	v_dual_lshlrev_b32 v6, v5, v3 :: v_dual_lshlrev_b32 v5, 23, v5
	v_lshrrev_b32_e32 v6, 4, v6
	s_delay_alu instid0(VALU_DEP_1) | instskip(NEXT) | instid1(VALU_DEP_1)
	v_dual_sub_nc_u32 v5, v6, v5 :: v_dual_ashrrev_i32 v6, 8, v7
	v_add_nc_u32_e32 v5, 0x3c000000, v5
	s_delay_alu instid0(VALU_DEP_1) | instskip(NEXT) | instid1(VALU_DEP_1)
	v_and_or_b32 v5, 0x7f800000, v6, v5
	v_cndmask_b32_e32 v3, 0, v5, vcc_lo
	s_delay_alu instid0(VALU_DEP_1) | instskip(SKIP_1) | instid1(VALU_DEP_2)
	v_and_or_b32 v2, 0x80000000, v2, v3
	v_bfe_u32 v3, v3, 16, 1
	v_cmp_o_f32_e32 vcc_lo, v2, v2
	s_delay_alu instid0(VALU_DEP_2) | instskip(NEXT) | instid1(VALU_DEP_1)
	v_add3_u32 v3, v2, v3, 0x7fff
	v_lshrrev_b32_e32 v3, 16, v3
	s_delay_alu instid0(VALU_DEP_1)
	v_cndmask_b32_e32 v2, 0x7fc0, v3, vcc_lo
.LBB62_184:
	s_mov_b32 s1, 0
.LBB62_185:
	s_delay_alu instid0(SALU_CYCLE_1)
	s_and_not1_b32 vcc_lo, exec_lo, s1
	s_cbranch_vccnz .LBB62_187
; %bb.186:
	s_wait_loadcnt 0x0
	global_load_u8 v2, v[0:1], off
	s_wait_loadcnt 0x0
	v_lshlrev_b32_e32 v3, 25, v2
	v_lshlrev_b16 v2, 8, v2
	s_delay_alu instid0(VALU_DEP_2) | instskip(NEXT) | instid1(VALU_DEP_2)
	v_cmp_gt_u32_e32 vcc_lo, 0x8000000, v3
	v_and_or_b32 v6, 0x7f00, v2, 0.5
	v_lshrrev_b32_e32 v5, 4, v3
	v_bfe_i32 v2, v2, 0, 16
	s_delay_alu instid0(VALU_DEP_3) | instskip(NEXT) | instid1(VALU_DEP_3)
	v_add_f32_e32 v6, -0.5, v6
	v_or_b32_e32 v5, 0x70000000, v5
	s_delay_alu instid0(VALU_DEP_1) | instskip(NEXT) | instid1(VALU_DEP_1)
	v_mul_f32_e32 v5, 0x7800000, v5
	v_cndmask_b32_e32 v3, v5, v6, vcc_lo
	s_delay_alu instid0(VALU_DEP_1) | instskip(SKIP_1) | instid1(VALU_DEP_2)
	v_and_or_b32 v2, 0x80000000, v2, v3
	v_bfe_u32 v3, v3, 16, 1
	v_cmp_o_f32_e32 vcc_lo, v2, v2
	s_delay_alu instid0(VALU_DEP_2) | instskip(NEXT) | instid1(VALU_DEP_1)
	v_add3_u32 v3, v2, v3, 0x7fff
	v_lshrrev_b32_e32 v3, 16, v3
	s_delay_alu instid0(VALU_DEP_1)
	v_cndmask_b32_e32 v2, 0x7fc0, v3, vcc_lo
.LBB62_187:
	s_mov_b32 s12, 0
	s_mov_b32 s1, -1
.LBB62_188:
	s_and_not1_b32 vcc_lo, exec_lo, s12
	s_cbranch_vccnz .LBB62_201
; %bb.189:
	s_cmp_gt_i32 s0, 14
	s_cbranch_scc0 .LBB62_192
; %bb.190:
	s_cmp_eq_u32 s0, 15
	s_cbranch_scc0 .LBB62_195
; %bb.191:
	s_wait_loadcnt 0x0
	global_load_u16 v2, v[0:1], off
	s_mov_b32 s1, -1
	s_mov_b32 s14, 0
	s_branch .LBB62_196
.LBB62_192:
	s_mov_b32 s12, -1
                                        ; implicit-def: $vgpr2
	s_branch .LBB62_197
.LBB62_193:
	s_or_saveexec_b32 s12, s12
	v_mov_b32_e32 v3, 0x7f800001
	s_xor_b32 exec_lo, exec_lo, s12
	s_cbranch_execz .LBB62_174
.LBB62_194:
	v_cmp_ne_u16_e32 vcc_lo, 0, v2
	v_mov_b32_e32 v3, 0
	s_and_not1_b32 s1, s1, exec_lo
	s_and_b32 s17, vcc_lo, exec_lo
	s_delay_alu instid0(SALU_CYCLE_1)
	s_or_b32 s1, s1, s17
	s_or_b32 exec_lo, exec_lo, s12
	s_and_saveexec_b32 s12, s1
	s_cbranch_execnz .LBB62_175
	s_branch .LBB62_176
.LBB62_195:
	s_mov_b32 s14, -1
                                        ; implicit-def: $vgpr2
.LBB62_196:
	s_mov_b32 s12, 0
.LBB62_197:
	s_delay_alu instid0(SALU_CYCLE_1)
	s_and_b32 vcc_lo, exec_lo, s12
	s_cbranch_vccz .LBB62_201
; %bb.198:
	s_cmp_eq_u32 s0, 11
	s_cbranch_scc0 .LBB62_200
; %bb.199:
	s_wait_loadcnt 0x0
	global_load_u8 v2, v[0:1], off
	s_mov_b32 s14, 0
	s_mov_b32 s1, -1
	s_wait_loadcnt 0x0
	v_cmp_ne_u16_e32 vcc_lo, 0, v2
	v_cndmask_b32_e64 v2, 0, 1.0, vcc_lo
	s_delay_alu instid0(VALU_DEP_1)
	v_lshrrev_b32_e32 v2, 16, v2
	s_branch .LBB62_201
.LBB62_200:
	s_mov_b32 s14, -1
                                        ; implicit-def: $vgpr2
.LBB62_201:
	s_branch .LBB62_10
.LBB62_202:
	s_cmp_lt_i32 s0, 5
	s_cbranch_scc1 .LBB62_207
; %bb.203:
	s_cmp_lt_i32 s0, 8
	s_cbranch_scc1 .LBB62_208
; %bb.204:
	;; [unrolled: 3-line block ×3, first 2 shown]
	s_cmp_gt_i32 s0, 9
	s_cbranch_scc0 .LBB62_210
; %bb.206:
	s_wait_loadcnt 0x0
	global_load_b64 v[2:3], v[0:1], off
	s_mov_b32 s1, 0
	s_wait_loadcnt 0x0
	v_cvt_f32_f64_e32 v2, v[2:3]
	s_delay_alu instid0(VALU_DEP_1) | instskip(SKIP_1) | instid1(VALU_DEP_2)
	v_bfe_u32 v3, v2, 16, 1
	v_cmp_o_f32_e32 vcc_lo, v2, v2
	v_add3_u32 v3, v2, v3, 0x7fff
	s_delay_alu instid0(VALU_DEP_1) | instskip(NEXT) | instid1(VALU_DEP_1)
	v_lshrrev_b32_e32 v3, 16, v3
	v_cndmask_b32_e32 v2, 0x7fc0, v3, vcc_lo
	s_branch .LBB62_211
.LBB62_207:
                                        ; implicit-def: $vgpr2
	s_branch .LBB62_229
.LBB62_208:
	s_mov_b32 s1, -1
                                        ; implicit-def: $vgpr2
	s_branch .LBB62_217
.LBB62_209:
	s_mov_b32 s1, -1
                                        ; implicit-def: $vgpr2
	s_branch .LBB62_214
.LBB62_210:
	s_mov_b32 s1, -1
                                        ; implicit-def: $vgpr2
.LBB62_211:
	s_delay_alu instid0(SALU_CYCLE_1)
	s_and_not1_b32 vcc_lo, exec_lo, s1
	s_cbranch_vccnz .LBB62_213
; %bb.212:
	s_wait_loadcnt 0x0
	global_load_b32 v2, v[0:1], off
	s_wait_loadcnt 0x0
	v_bfe_u32 v3, v2, 16, 1
	v_cmp_o_f32_e32 vcc_lo, v2, v2
	s_delay_alu instid0(VALU_DEP_2) | instskip(NEXT) | instid1(VALU_DEP_1)
	v_add3_u32 v3, v2, v3, 0x7fff
	v_lshrrev_b32_e32 v3, 16, v3
	s_delay_alu instid0(VALU_DEP_1)
	v_cndmask_b32_e32 v2, 0x7fc0, v3, vcc_lo
.LBB62_213:
	s_mov_b32 s1, 0
.LBB62_214:
	s_delay_alu instid0(SALU_CYCLE_1)
	s_and_not1_b32 vcc_lo, exec_lo, s1
	s_cbranch_vccnz .LBB62_216
; %bb.215:
	s_wait_loadcnt 0x0
	global_load_b32 v2, v[0:1], off
	s_wait_loadcnt 0x0
	v_cvt_f32_f16_e32 v3, v2
	v_cmp_o_f16_e32 vcc_lo, v2, v2
	s_delay_alu instid0(VALU_DEP_2) | instskip(NEXT) | instid1(VALU_DEP_1)
	v_bfe_u32 v5, v3, 16, 1
	v_add3_u32 v3, v3, v5, 0x7fff
	s_delay_alu instid0(VALU_DEP_1) | instskip(NEXT) | instid1(VALU_DEP_1)
	v_lshrrev_b32_e32 v3, 16, v3
	v_cndmask_b32_e32 v2, 0x7fc0, v3, vcc_lo
.LBB62_216:
	s_mov_b32 s1, 0
.LBB62_217:
	s_delay_alu instid0(SALU_CYCLE_1)
	s_and_not1_b32 vcc_lo, exec_lo, s1
	s_cbranch_vccnz .LBB62_228
; %bb.218:
	s_cmp_lt_i32 s0, 6
	s_cbranch_scc1 .LBB62_221
; %bb.219:
	s_cmp_gt_i32 s0, 6
	s_cbranch_scc0 .LBB62_222
; %bb.220:
	s_wait_loadcnt 0x0
	global_load_b64 v[2:3], v[0:1], off
	s_mov_b32 s1, 0
	s_wait_loadcnt 0x0
	v_cvt_f32_f64_e32 v2, v[2:3]
	s_delay_alu instid0(VALU_DEP_1) | instskip(SKIP_1) | instid1(VALU_DEP_2)
	v_bfe_u32 v3, v2, 16, 1
	v_cmp_o_f32_e32 vcc_lo, v2, v2
	v_add3_u32 v3, v2, v3, 0x7fff
	s_delay_alu instid0(VALU_DEP_1) | instskip(NEXT) | instid1(VALU_DEP_1)
	v_lshrrev_b32_e32 v3, 16, v3
	v_cndmask_b32_e32 v2, 0x7fc0, v3, vcc_lo
	s_branch .LBB62_223
.LBB62_221:
	s_mov_b32 s1, -1
                                        ; implicit-def: $vgpr2
	s_branch .LBB62_226
.LBB62_222:
	s_mov_b32 s1, -1
                                        ; implicit-def: $vgpr2
.LBB62_223:
	s_delay_alu instid0(SALU_CYCLE_1)
	s_and_not1_b32 vcc_lo, exec_lo, s1
	s_cbranch_vccnz .LBB62_225
; %bb.224:
	s_wait_loadcnt 0x0
	global_load_b32 v2, v[0:1], off
	s_wait_loadcnt 0x0
	v_bfe_u32 v3, v2, 16, 1
	v_cmp_o_f32_e32 vcc_lo, v2, v2
	s_delay_alu instid0(VALU_DEP_2) | instskip(NEXT) | instid1(VALU_DEP_1)
	v_add3_u32 v3, v2, v3, 0x7fff
	v_lshrrev_b32_e32 v3, 16, v3
	s_delay_alu instid0(VALU_DEP_1)
	v_cndmask_b32_e32 v2, 0x7fc0, v3, vcc_lo
.LBB62_225:
	s_mov_b32 s1, 0
.LBB62_226:
	s_delay_alu instid0(SALU_CYCLE_1)
	s_and_not1_b32 vcc_lo, exec_lo, s1
	s_cbranch_vccnz .LBB62_228
; %bb.227:
	s_wait_loadcnt 0x0
	global_load_u16 v2, v[0:1], off
	s_wait_loadcnt 0x0
	v_cvt_f32_f16_e32 v3, v2
	v_cmp_o_f16_e32 vcc_lo, v2, v2
	s_delay_alu instid0(VALU_DEP_2) | instskip(NEXT) | instid1(VALU_DEP_1)
	v_bfe_u32 v5, v3, 16, 1
	v_add3_u32 v3, v3, v5, 0x7fff
	s_delay_alu instid0(VALU_DEP_1) | instskip(NEXT) | instid1(VALU_DEP_1)
	v_lshrrev_b32_e32 v3, 16, v3
	v_cndmask_b32_e32 v2, 0x7fc0, v3, vcc_lo
.LBB62_228:
	s_cbranch_execnz .LBB62_248
.LBB62_229:
	s_cmp_lt_i32 s0, 2
	s_cbranch_scc1 .LBB62_233
; %bb.230:
	s_cmp_lt_i32 s0, 3
	s_cbranch_scc1 .LBB62_234
; %bb.231:
	s_cmp_gt_i32 s0, 3
	s_cbranch_scc0 .LBB62_235
; %bb.232:
	s_wait_loadcnt 0x0
	global_load_b64 v[2:3], v[0:1], off
	s_mov_b32 s1, 0
	s_wait_loadcnt 0x0
	v_xor_b32_e32 v5, v2, v3
	v_cls_i32_e32 v6, v3
	s_delay_alu instid0(VALU_DEP_2) | instskip(NEXT) | instid1(VALU_DEP_1)
	v_ashrrev_i32_e32 v5, 31, v5
	v_add_nc_u32_e32 v5, 32, v5
	s_delay_alu instid0(VALU_DEP_1) | instskip(NEXT) | instid1(VALU_DEP_1)
	v_add_min_u32_e64 v5, v6, -1, v5
	v_lshlrev_b64_e32 v[2:3], v5, v[2:3]
	s_delay_alu instid0(VALU_DEP_1) | instskip(NEXT) | instid1(VALU_DEP_1)
	v_min_u32_e32 v2, 1, v2
	v_dual_sub_nc_u32 v3, 32, v5 :: v_dual_bitop2_b32 v2, v3, v2 bitop3:0x54
	s_delay_alu instid0(VALU_DEP_1) | instskip(NEXT) | instid1(VALU_DEP_1)
	v_cvt_f32_i32_e32 v2, v2
	v_ldexp_f32 v2, v2, v3
	s_delay_alu instid0(VALU_DEP_1) | instskip(NEXT) | instid1(VALU_DEP_1)
	v_bfe_u32 v3, v2, 16, 1
	v_add3_u32 v2, v2, v3, 0x7fff
	s_delay_alu instid0(VALU_DEP_1)
	v_lshrrev_b32_e32 v2, 16, v2
	s_branch .LBB62_236
.LBB62_233:
	s_mov_b32 s1, -1
                                        ; implicit-def: $vgpr2
	s_branch .LBB62_242
.LBB62_234:
	s_mov_b32 s1, -1
                                        ; implicit-def: $vgpr2
	s_branch .LBB62_239
.LBB62_235:
	s_mov_b32 s1, -1
                                        ; implicit-def: $vgpr2
.LBB62_236:
	s_delay_alu instid0(SALU_CYCLE_1)
	s_and_not1_b32 vcc_lo, exec_lo, s1
	s_cbranch_vccnz .LBB62_238
; %bb.237:
	s_wait_loadcnt 0x0
	global_load_b32 v2, v[0:1], off
	s_wait_loadcnt 0x0
	v_cvt_f32_i32_e32 v2, v2
	s_delay_alu instid0(VALU_DEP_1) | instskip(NEXT) | instid1(VALU_DEP_1)
	v_bfe_u32 v3, v2, 16, 1
	v_add3_u32 v2, v2, v3, 0x7fff
	s_delay_alu instid0(VALU_DEP_1)
	v_lshrrev_b32_e32 v2, 16, v2
.LBB62_238:
	s_mov_b32 s1, 0
.LBB62_239:
	s_delay_alu instid0(SALU_CYCLE_1)
	s_and_not1_b32 vcc_lo, exec_lo, s1
	s_cbranch_vccnz .LBB62_241
; %bb.240:
	s_wait_loadcnt 0x0
	global_load_i16 v2, v[0:1], off
	s_wait_loadcnt 0x0
	v_cvt_f32_i32_e32 v2, v2
	s_delay_alu instid0(VALU_DEP_1) | instskip(NEXT) | instid1(VALU_DEP_1)
	v_bfe_u32 v3, v2, 16, 1
	v_add3_u32 v2, v2, v3, 0x7fff
	s_delay_alu instid0(VALU_DEP_1)
	v_lshrrev_b32_e32 v2, 16, v2
.LBB62_241:
	s_mov_b32 s1, 0
.LBB62_242:
	s_delay_alu instid0(SALU_CYCLE_1)
	s_and_not1_b32 vcc_lo, exec_lo, s1
	s_cbranch_vccnz .LBB62_248
; %bb.243:
	s_cmp_gt_i32 s0, 0
	s_mov_b32 s0, 0
	s_cbranch_scc0 .LBB62_245
; %bb.244:
	s_wait_loadcnt 0x0
	global_load_i8 v2, v[0:1], off
	s_wait_loadcnt 0x0
	v_cvt_f32_i32_e32 v2, v2
	s_delay_alu instid0(VALU_DEP_1) | instskip(NEXT) | instid1(VALU_DEP_1)
	v_bfe_u32 v3, v2, 16, 1
	v_add3_u32 v2, v2, v3, 0x7fff
	s_delay_alu instid0(VALU_DEP_1)
	v_lshrrev_b32_e32 v2, 16, v2
	s_branch .LBB62_246
.LBB62_245:
	s_mov_b32 s0, -1
                                        ; implicit-def: $vgpr2
.LBB62_246:
	s_delay_alu instid0(SALU_CYCLE_1)
	s_and_not1_b32 vcc_lo, exec_lo, s0
	s_cbranch_vccnz .LBB62_248
; %bb.247:
	global_load_u8 v0, v[0:1], off
	s_wait_loadcnt 0x0
	v_cvt_f32_ubyte0_e32 v0, v0
	s_delay_alu instid0(VALU_DEP_1) | instskip(NEXT) | instid1(VALU_DEP_1)
	v_bfe_u32 v1, v0, 16, 1
	v_add3_u32 v0, v0, v1, 0x7fff
	s_delay_alu instid0(VALU_DEP_1)
	v_lshrrev_b32_e32 v2, 16, v0
.LBB62_248:
	s_branch .LBB62_11
.LBB62_249:
	s_mov_b32 s1, 0
.LBB62_250:
	s_mov_b32 s0, 0
                                        ; implicit-def: $vgpr4
.LBB62_251:
	s_and_b32 s12, s1, exec_lo
	s_and_b32 s14, s14, exec_lo
	s_or_not1_b32 s1, s0, exec_lo
.LBB62_252:
	s_wait_xcnt 0x0
	s_or_b32 exec_lo, exec_lo, s15
	s_mov_b32 s17, 0
	s_mov_b32 s0, 0
                                        ; implicit-def: $vgpr0_vgpr1
                                        ; implicit-def: $vgpr2
	s_and_saveexec_b32 s15, s1
	s_cbranch_execz .LBB62_261
; %bb.253:
	s_mov_b32 s0, -1
	s_mov_b32 s16, s14
	s_mov_b32 s17, s12
	s_mov_b32 s18, exec_lo
	v_cmpx_gt_i32_e64 s13, v4
	s_cbranch_execz .LBB62_515
; %bb.254:
	v_mul_lo_u32 v0, v4, s3
	s_and_b32 s0, 0xffff, s10
	s_delay_alu instid0(SALU_CYCLE_1) | instskip(NEXT) | instid1(VALU_DEP_1)
	s_cmp_lt_i32 s0, 11
	v_ashrrev_i32_e32 v1, 31, v0
	s_delay_alu instid0(VALU_DEP_1)
	v_add_nc_u64_e32 v[0:1], s[6:7], v[0:1]
	s_cbranch_scc1 .LBB62_264
; %bb.255:
	s_cmp_gt_i32 s0, 25
	s_cbranch_scc0 .LBB62_273
; %bb.256:
	s_cmp_gt_i32 s0, 28
	s_cbranch_scc0 .LBB62_275
	;; [unrolled: 3-line block ×4, first 2 shown]
; %bb.259:
	s_cmp_eq_u32 s0, 46
	s_mov_b32 s17, 0
	s_cbranch_scc0 .LBB62_285
; %bb.260:
	s_wait_loadcnt 0x0
	global_load_b32 v2, v[0:1], off
	s_mov_b32 s1, -1
	s_mov_b32 s16, 0
	s_branch .LBB62_287
.LBB62_261:
	s_or_b32 exec_lo, exec_lo, s15
	s_mov_b32 s1, 0
	s_and_saveexec_b32 s13, s14
	s_cbranch_execnz .LBB62_863
.LBB62_262:
	s_or_b32 exec_lo, exec_lo, s13
	s_and_saveexec_b32 s13, s16
	s_delay_alu instid0(SALU_CYCLE_1)
	s_xor_b32 s13, exec_lo, s13
	s_cbranch_execz .LBB62_864
.LBB62_263:
	s_wait_loadcnt 0x0
	global_load_u8 v2, v[0:1], off
	s_or_b32 s0, s0, exec_lo
	s_wait_loadcnt 0x0
	v_cmp_ne_u16_e32 vcc_lo, 0, v2
	v_cndmask_b32_e64 v2, 0, 1.0, vcc_lo
	s_delay_alu instid0(VALU_DEP_1)
	v_lshrrev_b32_e32 v2, 16, v2
	s_wait_xcnt 0x0
	s_or_b32 exec_lo, exec_lo, s13
	s_and_saveexec_b32 s13, s17
	s_cbranch_execz .LBB62_910
	s_branch .LBB62_865
.LBB62_264:
	s_mov_b32 s1, 0
	s_mov_b32 s16, s14
                                        ; implicit-def: $vgpr2
	s_cbranch_execnz .LBB62_464
.LBB62_265:
	s_and_not1_b32 vcc_lo, exec_lo, s1
	s_cbranch_vccnz .LBB62_512
.LBB62_266:
	s_wait_xcnt 0x0
	v_mul_lo_u32 v0, v4, s2
	s_and_b32 s17, s8, 0xff
	s_wait_loadcnt 0x0
	v_lshlrev_b32_e32 v2, 16, v2
	s_cmp_lt_i32 s17, 11
	s_delay_alu instid0(VALU_DEP_1) | instskip(NEXT) | instid1(VALU_DEP_3)
	v_cmp_eq_f32_e64 s0, 0x7f800000, v2
	v_ashrrev_i32_e32 v1, 31, v0
	s_delay_alu instid0(VALU_DEP_1)
	v_add_nc_u64_e32 v[0:1], s[4:5], v[0:1]
	s_cbranch_scc1 .LBB62_274
; %bb.267:
	s_and_b32 s19, 0xffff, s17
	s_delay_alu instid0(SALU_CYCLE_1)
	s_cmp_gt_i32 s19, 25
	s_cbranch_scc0 .LBB62_276
; %bb.268:
	s_cmp_gt_i32 s19, 28
	s_cbranch_scc0 .LBB62_278
; %bb.269:
	;; [unrolled: 3-line block ×4, first 2 shown]
	s_mov_b32 s21, 0
	s_mov_b32 s1, -1
	s_cmp_eq_u32 s19, 46
	s_mov_b32 s20, 0
	s_cbranch_scc0 .LBB62_291
; %bb.272:
	v_cndmask_b32_e64 v2, 0, 1.0, s0
	s_mov_b32 s20, -1
	s_mov_b32 s1, 0
	s_delay_alu instid0(VALU_DEP_1) | instskip(NEXT) | instid1(VALU_DEP_1)
	v_bfe_u32 v3, v2, 16, 1
	v_add3_u32 v2, v2, v3, 0x7fff
	s_delay_alu instid0(VALU_DEP_1)
	v_lshrrev_b32_e32 v2, 16, v2
	global_store_b32 v[0:1], v2, off
	s_branch .LBB62_291
.LBB62_273:
	s_mov_b32 s17, -1
	s_mov_b32 s1, 0
	s_mov_b32 s16, s14
                                        ; implicit-def: $vgpr2
	s_branch .LBB62_428
.LBB62_274:
	s_mov_b32 s19, -1
	s_mov_b32 s20, 0
	s_mov_b32 s1, s12
	s_branch .LBB62_360
.LBB62_275:
	s_mov_b32 s17, -1
	s_mov_b32 s1, 0
	s_mov_b32 s16, s14
                                        ; implicit-def: $vgpr2
	s_branch .LBB62_409
.LBB62_276:
	s_mov_b32 s21, -1
	s_mov_b32 s20, 0
	s_mov_b32 s1, s12
	s_branch .LBB62_318
.LBB62_277:
	s_mov_b32 s17, -1
	s_mov_b32 s1, 0
	s_mov_b32 s16, s14
                                        ; implicit-def: $vgpr2
	s_branch .LBB62_404
.LBB62_278:
	s_mov_b32 s21, -1
	s_mov_b32 s20, 0
	s_mov_b32 s1, s12
	s_branch .LBB62_301
.LBB62_279:
	s_and_not1_saveexec_b32 s20, s20
	s_cbranch_execz .LBB62_54
.LBB62_280:
	v_add_f32_e32 v2, 0x46000000, v3
	s_and_not1_b32 s19, s19, exec_lo
	s_delay_alu instid0(VALU_DEP_1) | instskip(NEXT) | instid1(VALU_DEP_1)
	v_and_b32_e32 v2, 0xff, v2
	v_cmp_ne_u32_e32 vcc_lo, 0, v2
	s_and_b32 s21, vcc_lo, exec_lo
	s_delay_alu instid0(SALU_CYCLE_1)
	s_or_b32 s19, s19, s21
	s_or_b32 exec_lo, exec_lo, s20
	v_mov_b32_e32 v5, 0
	s_and_saveexec_b32 s20, s19
	s_cbranch_execnz .LBB62_55
	s_branch .LBB62_56
.LBB62_281:
	s_mov_b32 s17, -1
	s_mov_b32 s1, 0
	s_mov_b32 s16, s14
	s_branch .LBB62_286
.LBB62_282:
	s_mov_b32 s21, -1
	s_mov_b32 s20, 0
	s_mov_b32 s1, s12
	s_branch .LBB62_297
.LBB62_283:
	s_and_not1_saveexec_b32 s20, s20
	s_cbranch_execz .LBB62_67
.LBB62_284:
	v_add_f32_e32 v2, 0x42800000, v3
	s_and_not1_b32 s19, s19, exec_lo
	s_delay_alu instid0(VALU_DEP_1) | instskip(NEXT) | instid1(VALU_DEP_1)
	v_and_b32_e32 v2, 0xff, v2
	v_cmp_ne_u32_e32 vcc_lo, 0, v2
	s_and_b32 s21, vcc_lo, exec_lo
	s_delay_alu instid0(SALU_CYCLE_1)
	s_or_b32 s19, s19, s21
	s_or_b32 exec_lo, exec_lo, s20
	v_mov_b32_e32 v5, 0
	s_and_saveexec_b32 s20, s19
	s_cbranch_execnz .LBB62_68
	s_branch .LBB62_69
.LBB62_285:
	s_mov_b32 s16, -1
	s_mov_b32 s1, 0
.LBB62_286:
                                        ; implicit-def: $vgpr2
.LBB62_287:
	s_and_b32 vcc_lo, exec_lo, s17
	s_cbranch_vccz .LBB62_403
; %bb.288:
	s_cmp_eq_u32 s0, 44
	s_cbranch_scc0 .LBB62_402
; %bb.289:
	s_wait_loadcnt 0x0
	global_load_u8 v2, v[0:1], off
	s_mov_b32 s16, 0
	s_mov_b32 s1, -1
	s_wait_loadcnt 0x0
	v_lshlrev_b32_e32 v3, 23, v2
	v_cmp_ne_u32_e32 vcc_lo, 0xff, v2
	s_delay_alu instid0(VALU_DEP_2) | instskip(SKIP_1) | instid1(VALU_DEP_2)
	v_cndmask_b32_e32 v3, 0x7f800001, v3, vcc_lo
	v_cmp_ne_u32_e32 vcc_lo, 0, v2
	v_cndmask_b32_e32 v2, 0x400000, v3, vcc_lo
	s_delay_alu instid0(VALU_DEP_1) | instskip(NEXT) | instid1(VALU_DEP_1)
	v_add_nc_u32_e32 v3, 0x7fff, v2
	v_lshrrev_b32_e32 v3, 16, v3
	v_cmp_o_f32_e32 vcc_lo, v2, v2
	s_delay_alu instid0(VALU_DEP_2)
	v_cndmask_b32_e32 v2, 0x7fc0, v3, vcc_lo
	s_branch .LBB62_403
.LBB62_290:
	s_mov_b32 s21, -1
	s_mov_b32 s20, 0
	s_mov_b32 s1, s12
.LBB62_291:
	s_and_b32 vcc_lo, exec_lo, s21
	s_cbranch_vccz .LBB62_296
; %bb.292:
	s_cmp_eq_u32 s19, 44
	s_mov_b32 s1, -1
	s_cbranch_scc0 .LBB62_296
; %bb.293:
	v_cndmask_b32_e64 v5, 0, 1.0, s0
	s_mov_b32 s20, exec_lo
	s_wait_xcnt 0x0
	s_delay_alu instid0(VALU_DEP_1) | instskip(NEXT) | instid1(VALU_DEP_1)
	v_dual_mov_b32 v3, 0xff :: v_dual_lshrrev_b32 v2, 23, v5
	v_cmpx_ne_u32_e32 0xff, v2
; %bb.294:
	v_and_b32_e32 v3, 0x400000, v5
	v_and_or_b32 v5, 0x3fffff, v5, v2
	s_delay_alu instid0(VALU_DEP_2) | instskip(NEXT) | instid1(VALU_DEP_2)
	v_cmp_ne_u32_e32 vcc_lo, 0, v3
	v_cmp_ne_u32_e64 s1, 0, v5
	s_and_b32 s1, vcc_lo, s1
	s_delay_alu instid0(SALU_CYCLE_1) | instskip(NEXT) | instid1(VALU_DEP_1)
	v_cndmask_b32_e64 v3, 0, 1, s1
	v_add_nc_u32_e32 v3, v2, v3
; %bb.295:
	s_or_b32 exec_lo, exec_lo, s20
	s_mov_b32 s20, -1
	s_mov_b32 s1, 0
	global_store_b8 v[0:1], v3, off
.LBB62_296:
	s_mov_b32 s21, 0
.LBB62_297:
	s_delay_alu instid0(SALU_CYCLE_1)
	s_and_b32 vcc_lo, exec_lo, s21
	s_cbranch_vccz .LBB62_300
; %bb.298:
	s_cmp_eq_u32 s19, 29
	s_mov_b32 s1, -1
	s_cbranch_scc0 .LBB62_300
; %bb.299:
	s_mov_b32 s1, 0
	s_wait_xcnt 0x0
	v_cndmask_b32_e64 v2, 0, 1, s0
	v_mov_b32_e32 v3, s1
	s_mov_b32 s20, -1
	s_mov_b32 s21, 0
	global_store_b64 v[0:1], v[2:3], off
	s_branch .LBB62_301
.LBB62_300:
	s_mov_b32 s21, 0
.LBB62_301:
	s_delay_alu instid0(SALU_CYCLE_1)
	s_and_b32 vcc_lo, exec_lo, s21
	s_cbranch_vccz .LBB62_317
; %bb.302:
	s_cmp_lt_i32 s19, 27
	s_mov_b32 s20, -1
	s_cbranch_scc1 .LBB62_308
; %bb.303:
	s_cmp_gt_i32 s19, 27
	s_cbranch_scc0 .LBB62_305
; %bb.304:
	s_wait_xcnt 0x0
	v_cndmask_b32_e64 v2, 0, 1, s0
	s_mov_b32 s20, 0
	global_store_b32 v[0:1], v2, off
.LBB62_305:
	s_and_not1_b32 vcc_lo, exec_lo, s20
	s_cbranch_vccnz .LBB62_307
; %bb.306:
	s_wait_xcnt 0x0
	v_cndmask_b32_e64 v2, 0, 1, s0
	global_store_b16 v[0:1], v2, off
.LBB62_307:
	s_mov_b32 s20, 0
.LBB62_308:
	s_delay_alu instid0(SALU_CYCLE_1)
	s_and_not1_b32 vcc_lo, exec_lo, s20
	s_cbranch_vccnz .LBB62_316
; %bb.309:
	s_wait_xcnt 0x0
	v_cndmask_b32_e64 v3, 0, 1.0, s0
	v_mov_b32_e32 v5, 0x80
	s_mov_b32 s20, exec_lo
	s_delay_alu instid0(VALU_DEP_2)
	v_cmpx_gt_u32_e32 0x43800000, v3
	s_cbranch_execz .LBB62_315
; %bb.310:
	s_mov_b32 s21, 0
	s_mov_b32 s22, exec_lo
                                        ; implicit-def: $vgpr2
	v_cmpx_lt_u32_e32 0x3bffffff, v3
	s_xor_b32 s22, exec_lo, s22
	s_cbranch_execz .LBB62_528
; %bb.311:
	v_bfe_u32 v2, v3, 20, 1
	s_mov_b32 s21, exec_lo
	s_delay_alu instid0(VALU_DEP_1) | instskip(NEXT) | instid1(VALU_DEP_1)
	v_add3_u32 v2, v3, v2, 0x487ffff
                                        ; implicit-def: $vgpr3
	v_lshrrev_b32_e32 v2, 20, v2
	s_and_not1_saveexec_b32 s22, s22
	s_cbranch_execnz .LBB62_529
.LBB62_312:
	s_or_b32 exec_lo, exec_lo, s22
	v_mov_b32_e32 v5, 0
	s_and_saveexec_b32 s22, s21
.LBB62_313:
	v_mov_b32_e32 v5, v2
.LBB62_314:
	s_or_b32 exec_lo, exec_lo, s22
.LBB62_315:
	s_delay_alu instid0(SALU_CYCLE_1)
	s_or_b32 exec_lo, exec_lo, s20
	global_store_b8 v[0:1], v5, off
.LBB62_316:
	s_mov_b32 s20, -1
.LBB62_317:
	s_mov_b32 s21, 0
.LBB62_318:
	s_delay_alu instid0(SALU_CYCLE_1)
	s_and_b32 vcc_lo, exec_lo, s21
	s_cbranch_vccz .LBB62_359
; %bb.319:
	s_cmp_gt_i32 s19, 22
	s_mov_b32 s21, -1
	s_cbranch_scc0 .LBB62_351
; %bb.320:
	s_cmp_lt_i32 s19, 24
	s_mov_b32 s20, -1
	s_cbranch_scc1 .LBB62_340
; %bb.321:
	s_cmp_gt_i32 s19, 24
	s_cbranch_scc0 .LBB62_329
; %bb.322:
	s_wait_xcnt 0x0
	v_cndmask_b32_e64 v3, 0, 1.0, s0
	v_mov_b32_e32 v5, 0x80
	s_mov_b32 s20, exec_lo
	s_delay_alu instid0(VALU_DEP_2)
	v_cmpx_gt_u32_e32 0x47800000, v3
	s_cbranch_execz .LBB62_328
; %bb.323:
	s_mov_b32 s21, 0
	s_mov_b32 s22, exec_lo
                                        ; implicit-def: $vgpr2
	v_cmpx_lt_u32_e32 0x37ffffff, v3
	s_xor_b32 s22, exec_lo, s22
	s_cbranch_execz .LBB62_531
; %bb.324:
	v_bfe_u32 v2, v3, 21, 1
	s_mov_b32 s21, exec_lo
	s_delay_alu instid0(VALU_DEP_1) | instskip(NEXT) | instid1(VALU_DEP_1)
	v_add3_u32 v2, v3, v2, 0x88fffff
                                        ; implicit-def: $vgpr3
	v_lshrrev_b32_e32 v2, 21, v2
	s_and_not1_saveexec_b32 s22, s22
	s_cbranch_execnz .LBB62_532
.LBB62_325:
	s_or_b32 exec_lo, exec_lo, s22
	v_mov_b32_e32 v5, 0
	s_and_saveexec_b32 s22, s21
.LBB62_326:
	v_mov_b32_e32 v5, v2
.LBB62_327:
	s_or_b32 exec_lo, exec_lo, s22
.LBB62_328:
	s_delay_alu instid0(SALU_CYCLE_1)
	s_or_b32 exec_lo, exec_lo, s20
	s_mov_b32 s20, 0
	global_store_b8 v[0:1], v5, off
.LBB62_329:
	s_and_b32 vcc_lo, exec_lo, s20
	s_cbranch_vccz .LBB62_339
; %bb.330:
	s_wait_xcnt 0x0
	v_cndmask_b32_e64 v3, 0, 1.0, s0
	s_mov_b32 s20, exec_lo
                                        ; implicit-def: $vgpr2
	s_delay_alu instid0(VALU_DEP_1)
	v_cmpx_gt_u32_e32 0x43f00000, v3
	s_xor_b32 s20, exec_lo, s20
	s_cbranch_execz .LBB62_336
; %bb.331:
	s_mov_b32 s21, exec_lo
                                        ; implicit-def: $vgpr2
	v_cmpx_lt_u32_e32 0x3c7fffff, v3
	s_xor_b32 s21, exec_lo, s21
; %bb.332:
	v_bfe_u32 v2, v3, 20, 1
	s_delay_alu instid0(VALU_DEP_1) | instskip(NEXT) | instid1(VALU_DEP_1)
	v_add3_u32 v2, v3, v2, 0x407ffff
	v_and_b32_e32 v3, 0xff00000, v2
	v_lshrrev_b32_e32 v2, 20, v2
	s_delay_alu instid0(VALU_DEP_2) | instskip(NEXT) | instid1(VALU_DEP_2)
	v_cmp_ne_u32_e32 vcc_lo, 0x7f00000, v3
                                        ; implicit-def: $vgpr3
	v_cndmask_b32_e32 v2, 0x7e, v2, vcc_lo
; %bb.333:
	s_and_not1_saveexec_b32 s21, s21
; %bb.334:
	v_add_f32_e32 v2, 0x46800000, v3
; %bb.335:
	s_or_b32 exec_lo, exec_lo, s21
                                        ; implicit-def: $vgpr3
.LBB62_336:
	s_and_not1_saveexec_b32 s20, s20
; %bb.337:
	v_mov_b32_e32 v2, 0x7f
	v_cmp_lt_u32_e32 vcc_lo, 0x7f800000, v3
	s_delay_alu instid0(VALU_DEP_2)
	v_cndmask_b32_e32 v2, 0x7e, v2, vcc_lo
; %bb.338:
	s_or_b32 exec_lo, exec_lo, s20
	global_store_b8 v[0:1], v2, off
.LBB62_339:
	s_mov_b32 s20, 0
.LBB62_340:
	s_delay_alu instid0(SALU_CYCLE_1)
	s_and_not1_b32 vcc_lo, exec_lo, s20
	s_cbranch_vccnz .LBB62_350
; %bb.341:
	s_wait_xcnt 0x0
	v_cndmask_b32_e64 v3, 0, 1.0, s0
	s_mov_b32 s20, exec_lo
                                        ; implicit-def: $vgpr2
	s_delay_alu instid0(VALU_DEP_1)
	v_cmpx_gt_u32_e32 0x47800000, v3
	s_xor_b32 s20, exec_lo, s20
	s_cbranch_execz .LBB62_347
; %bb.342:
	s_mov_b32 s21, exec_lo
                                        ; implicit-def: $vgpr2
	v_cmpx_lt_u32_e32 0x387fffff, v3
	s_xor_b32 s21, exec_lo, s21
; %bb.343:
	v_bfe_u32 v2, v3, 21, 1
	s_delay_alu instid0(VALU_DEP_1) | instskip(NEXT) | instid1(VALU_DEP_1)
	v_add3_u32 v2, v3, v2, 0x80fffff
                                        ; implicit-def: $vgpr3
	v_lshrrev_b32_e32 v2, 21, v2
; %bb.344:
	s_and_not1_saveexec_b32 s21, s21
; %bb.345:
	v_add_f32_e32 v2, 0x43000000, v3
; %bb.346:
	s_or_b32 exec_lo, exec_lo, s21
                                        ; implicit-def: $vgpr3
.LBB62_347:
	s_and_not1_saveexec_b32 s20, s20
; %bb.348:
	v_mov_b32_e32 v2, 0x7f
	v_cmp_lt_u32_e32 vcc_lo, 0x7f800000, v3
	s_delay_alu instid0(VALU_DEP_2)
	v_cndmask_b32_e32 v2, 0x7c, v2, vcc_lo
; %bb.349:
	s_or_b32 exec_lo, exec_lo, s20
	global_store_b8 v[0:1], v2, off
.LBB62_350:
	s_mov_b32 s21, 0
	s_mov_b32 s20, -1
.LBB62_351:
	s_and_not1_b32 vcc_lo, exec_lo, s21
	s_cbranch_vccnz .LBB62_359
; %bb.352:
	s_cmp_gt_i32 s19, 14
	s_mov_b32 s21, -1
	s_cbranch_scc0 .LBB62_356
; %bb.353:
	s_cmp_eq_u32 s19, 15
	s_mov_b32 s1, -1
	s_cbranch_scc0 .LBB62_355
; %bb.354:
	s_wait_xcnt 0x0
	v_cndmask_b32_e64 v2, 0, 1.0, s0
	s_mov_b32 s20, -1
	s_mov_b32 s1, 0
	s_delay_alu instid0(VALU_DEP_1) | instskip(NEXT) | instid1(VALU_DEP_1)
	v_bfe_u32 v3, v2, 16, 1
	v_add3_u32 v2, v2, v3, 0x7fff
	global_store_d16_hi_b16 v[0:1], v2, off
.LBB62_355:
	s_mov_b32 s21, 0
.LBB62_356:
	s_delay_alu instid0(SALU_CYCLE_1)
	s_and_b32 vcc_lo, exec_lo, s21
	s_cbranch_vccz .LBB62_359
; %bb.357:
	s_cmp_eq_u32 s19, 11
	s_mov_b32 s1, -1
	s_cbranch_scc0 .LBB62_359
; %bb.358:
	s_wait_xcnt 0x0
	v_cndmask_b32_e64 v2, 0, 1, s0
	s_mov_b32 s20, -1
	s_mov_b32 s1, 0
	global_store_b8 v[0:1], v2, off
.LBB62_359:
	s_mov_b32 s19, 0
.LBB62_360:
	s_delay_alu instid0(SALU_CYCLE_1)
	s_and_b32 vcc_lo, exec_lo, s19
	s_cbranch_vccz .LBB62_399
; %bb.361:
	s_and_b32 s17, 0xffff, s17
	s_mov_b32 s19, -1
	s_cmp_lt_i32 s17, 5
	s_cbranch_scc1 .LBB62_382
; %bb.362:
	s_cmp_lt_i32 s17, 8
	s_cbranch_scc1 .LBB62_372
; %bb.363:
	;; [unrolled: 3-line block ×3, first 2 shown]
	s_cmp_gt_i32 s17, 9
	s_cbranch_scc0 .LBB62_366
; %bb.365:
	s_wait_xcnt 0x0
	v_cndmask_b32_e64 v2, 0, 1, s0
	v_mov_b32_e32 v8, 0
	s_mov_b32 s19, 0
	s_delay_alu instid0(VALU_DEP_2) | instskip(NEXT) | instid1(VALU_DEP_2)
	v_cvt_f64_u32_e32 v[6:7], v2
	v_mov_b32_e32 v9, v8
	global_store_b128 v[0:1], v[6:9], off
.LBB62_366:
	s_and_not1_b32 vcc_lo, exec_lo, s19
	s_cbranch_vccnz .LBB62_368
; %bb.367:
	s_wait_xcnt 0x0
	v_cndmask_b32_e64 v2, 0, 1.0, s0
	v_mov_b32_e32 v3, 0
	global_store_b64 v[0:1], v[2:3], off
.LBB62_368:
	s_mov_b32 s19, 0
.LBB62_369:
	s_delay_alu instid0(SALU_CYCLE_1)
	s_and_not1_b32 vcc_lo, exec_lo, s19
	s_cbranch_vccnz .LBB62_371
; %bb.370:
	s_wait_xcnt 0x0
	v_cndmask_b32_e64 v2, 0, 1.0, s0
	s_delay_alu instid0(VALU_DEP_1) | instskip(NEXT) | instid1(VALU_DEP_1)
	v_cvt_f16_f32_e32 v2, v2
	v_and_b32_e32 v2, 0xffff, v2
	global_store_b32 v[0:1], v2, off
.LBB62_371:
	s_mov_b32 s19, 0
.LBB62_372:
	s_delay_alu instid0(SALU_CYCLE_1)
	s_and_not1_b32 vcc_lo, exec_lo, s19
	s_cbranch_vccnz .LBB62_381
; %bb.373:
	s_cmp_lt_i32 s17, 6
	s_mov_b32 s19, -1
	s_cbranch_scc1 .LBB62_379
; %bb.374:
	s_cmp_gt_i32 s17, 6
	s_cbranch_scc0 .LBB62_376
; %bb.375:
	s_wait_xcnt 0x0
	v_cndmask_b32_e64 v2, 0, 1, s0
	s_mov_b32 s19, 0
	s_delay_alu instid0(VALU_DEP_1)
	v_cvt_f64_u32_e32 v[2:3], v2
	global_store_b64 v[0:1], v[2:3], off
.LBB62_376:
	s_and_not1_b32 vcc_lo, exec_lo, s19
	s_cbranch_vccnz .LBB62_378
; %bb.377:
	s_wait_xcnt 0x0
	v_cndmask_b32_e64 v2, 0, 1.0, s0
	global_store_b32 v[0:1], v2, off
.LBB62_378:
	s_mov_b32 s19, 0
.LBB62_379:
	s_delay_alu instid0(SALU_CYCLE_1)
	s_and_not1_b32 vcc_lo, exec_lo, s19
	s_cbranch_vccnz .LBB62_381
; %bb.380:
	s_wait_xcnt 0x0
	v_cndmask_b32_e64 v2, 0, 1.0, s0
	s_delay_alu instid0(VALU_DEP_1)
	v_cvt_f16_f32_e32 v2, v2
	global_store_b16 v[0:1], v2, off
.LBB62_381:
	s_mov_b32 s19, 0
.LBB62_382:
	s_delay_alu instid0(SALU_CYCLE_1)
	s_and_not1_b32 vcc_lo, exec_lo, s19
	s_cbranch_vccnz .LBB62_398
; %bb.383:
	s_cmp_lt_i32 s17, 2
	s_mov_b32 s19, -1
	s_cbranch_scc1 .LBB62_393
; %bb.384:
	s_cmp_lt_i32 s17, 3
	s_cbranch_scc1 .LBB62_390
; %bb.385:
	s_cmp_gt_i32 s17, 3
	s_cbranch_scc0 .LBB62_387
; %bb.386:
	s_mov_b32 s19, 0
	s_wait_xcnt 0x0
	v_cndmask_b32_e64 v2, 0, 1, s0
	v_mov_b32_e32 v3, s19
	global_store_b64 v[0:1], v[2:3], off
.LBB62_387:
	s_and_not1_b32 vcc_lo, exec_lo, s19
	s_cbranch_vccnz .LBB62_389
; %bb.388:
	s_wait_xcnt 0x0
	v_cndmask_b32_e64 v2, 0, 1, s0
	global_store_b32 v[0:1], v2, off
.LBB62_389:
	s_mov_b32 s19, 0
.LBB62_390:
	s_delay_alu instid0(SALU_CYCLE_1)
	s_and_not1_b32 vcc_lo, exec_lo, s19
	s_cbranch_vccnz .LBB62_392
; %bb.391:
	s_wait_xcnt 0x0
	v_cndmask_b32_e64 v2, 0, 1, s0
	global_store_b16 v[0:1], v2, off
.LBB62_392:
	s_mov_b32 s19, 0
.LBB62_393:
	s_delay_alu instid0(SALU_CYCLE_1)
	s_and_not1_b32 vcc_lo, exec_lo, s19
	s_cbranch_vccnz .LBB62_398
; %bb.394:
	s_wait_xcnt 0x0
	v_cndmask_b32_e64 v2, 0, 1, s0
	s_cmp_gt_i32 s17, 0
	s_mov_b32 s0, -1
	s_cbranch_scc0 .LBB62_396
; %bb.395:
	s_mov_b32 s0, 0
	global_store_b8 v[0:1], v2, off
.LBB62_396:
	s_and_not1_b32 vcc_lo, exec_lo, s0
	s_cbranch_vccnz .LBB62_398
; %bb.397:
	global_store_b8 v[0:1], v2, off
.LBB62_398:
	s_mov_b32 s20, -1
.LBB62_399:
	s_delay_alu instid0(SALU_CYCLE_1)
	s_and_not1_b32 vcc_lo, exec_lo, s20
	s_cbranch_vccnz .LBB62_401
; %bb.400:
	v_add_nc_u32_e32 v4, 0x80, v4
	s_mov_b32 s0, -1
	s_branch .LBB62_514
.LBB62_401:
	s_mov_b32 s0, 0
	s_branch .LBB62_513
.LBB62_402:
	s_mov_b32 s16, -1
                                        ; implicit-def: $vgpr2
.LBB62_403:
	s_mov_b32 s17, 0
.LBB62_404:
	s_delay_alu instid0(SALU_CYCLE_1)
	s_and_b32 vcc_lo, exec_lo, s17
	s_cbranch_vccz .LBB62_408
; %bb.405:
	s_cmp_eq_u32 s0, 29
	s_cbranch_scc0 .LBB62_407
; %bb.406:
	s_wait_loadcnt 0x0
	global_load_b64 v[2:3], v[0:1], off
	s_mov_b32 s1, -1
	s_mov_b32 s16, 0
	s_mov_b32 s17, 0
	s_wait_loadcnt 0x0
	v_clz_i32_u32_e32 v5, v3
	s_delay_alu instid0(VALU_DEP_1) | instskip(NEXT) | instid1(VALU_DEP_1)
	v_min_u32_e32 v5, 32, v5
	v_lshlrev_b64_e32 v[2:3], v5, v[2:3]
	s_delay_alu instid0(VALU_DEP_1) | instskip(NEXT) | instid1(VALU_DEP_1)
	v_min_u32_e32 v2, 1, v2
	v_dual_sub_nc_u32 v3, 32, v5 :: v_dual_bitop2_b32 v2, v3, v2 bitop3:0x54
	s_delay_alu instid0(VALU_DEP_1) | instskip(NEXT) | instid1(VALU_DEP_1)
	v_cvt_f32_u32_e32 v2, v2
	v_ldexp_f32 v2, v2, v3
	s_delay_alu instid0(VALU_DEP_1) | instskip(NEXT) | instid1(VALU_DEP_1)
	v_bfe_u32 v3, v2, 16, 1
	v_add3_u32 v2, v2, v3, 0x7fff
	s_delay_alu instid0(VALU_DEP_1)
	v_lshrrev_b32_e32 v2, 16, v2
	s_branch .LBB62_409
.LBB62_407:
	s_mov_b32 s16, -1
                                        ; implicit-def: $vgpr2
.LBB62_408:
	s_mov_b32 s17, 0
.LBB62_409:
	s_delay_alu instid0(SALU_CYCLE_1)
	s_and_b32 vcc_lo, exec_lo, s17
	s_cbranch_vccz .LBB62_427
; %bb.410:
	s_cmp_lt_i32 s0, 27
	s_cbranch_scc1 .LBB62_413
; %bb.411:
	s_cmp_gt_i32 s0, 27
	s_cbranch_scc0 .LBB62_414
; %bb.412:
	s_wait_loadcnt 0x0
	global_load_b32 v2, v[0:1], off
	s_mov_b32 s1, 0
	s_wait_loadcnt 0x0
	v_cvt_f32_u32_e32 v2, v2
	s_delay_alu instid0(VALU_DEP_1) | instskip(NEXT) | instid1(VALU_DEP_1)
	v_bfe_u32 v3, v2, 16, 1
	v_add3_u32 v2, v2, v3, 0x7fff
	s_delay_alu instid0(VALU_DEP_1)
	v_lshrrev_b32_e32 v2, 16, v2
	s_branch .LBB62_415
.LBB62_413:
	s_mov_b32 s1, -1
                                        ; implicit-def: $vgpr2
	s_branch .LBB62_418
.LBB62_414:
	s_mov_b32 s1, -1
                                        ; implicit-def: $vgpr2
.LBB62_415:
	s_delay_alu instid0(SALU_CYCLE_1)
	s_and_not1_b32 vcc_lo, exec_lo, s1
	s_cbranch_vccnz .LBB62_417
; %bb.416:
	s_wait_loadcnt 0x0
	global_load_u16 v2, v[0:1], off
	s_wait_loadcnt 0x0
	v_cvt_f32_u32_e32 v2, v2
	s_delay_alu instid0(VALU_DEP_1) | instskip(NEXT) | instid1(VALU_DEP_1)
	v_bfe_u32 v3, v2, 16, 1
	v_add3_u32 v2, v2, v3, 0x7fff
	s_delay_alu instid0(VALU_DEP_1)
	v_lshrrev_b32_e32 v2, 16, v2
.LBB62_417:
	s_mov_b32 s1, 0
.LBB62_418:
	s_delay_alu instid0(SALU_CYCLE_1)
	s_and_not1_b32 vcc_lo, exec_lo, s1
	s_cbranch_vccnz .LBB62_426
; %bb.419:
	s_wait_loadcnt 0x0
	global_load_u8 v2, v[0:1], off
	s_mov_b32 s1, 0
	s_mov_b32 s17, exec_lo
	s_wait_loadcnt 0x0
	v_cmpx_lt_i16_e32 0x7f, v2
	s_xor_b32 s17, exec_lo, s17
	s_cbranch_execz .LBB62_440
; %bb.420:
	s_mov_b32 s1, -1
	s_mov_b32 s19, exec_lo
	v_cmpx_eq_u16_e32 0x80, v2
; %bb.421:
	s_xor_b32 s1, exec_lo, -1
; %bb.422:
	s_or_b32 exec_lo, exec_lo, s19
	s_delay_alu instid0(SALU_CYCLE_1)
	s_and_b32 s1, s1, exec_lo
	s_or_saveexec_b32 s17, s17
	v_mov_b32_e32 v3, 0x7f800001
	s_xor_b32 exec_lo, exec_lo, s17
	s_cbranch_execnz .LBB62_441
.LBB62_423:
	s_or_b32 exec_lo, exec_lo, s17
	s_and_saveexec_b32 s17, s1
	s_cbranch_execz .LBB62_425
.LBB62_424:
	v_and_b32_e32 v3, 0xffff, v2
	s_delay_alu instid0(VALU_DEP_1) | instskip(SKIP_1) | instid1(VALU_DEP_2)
	v_and_b32_e32 v5, 7, v3
	v_bfe_u32 v8, v3, 3, 4
	v_clz_i32_u32_e32 v6, v5
	s_delay_alu instid0(VALU_DEP_2) | instskip(NEXT) | instid1(VALU_DEP_2)
	v_cmp_eq_u32_e32 vcc_lo, 0, v8
	v_min_u32_e32 v6, 32, v6
	s_delay_alu instid0(VALU_DEP_1) | instskip(NEXT) | instid1(VALU_DEP_1)
	v_subrev_nc_u32_e32 v7, 28, v6
	v_dual_lshlrev_b32 v3, v7, v3 :: v_dual_sub_nc_u32 v6, 29, v6
	s_delay_alu instid0(VALU_DEP_1) | instskip(NEXT) | instid1(VALU_DEP_1)
	v_dual_lshlrev_b32 v2, 24, v2 :: v_dual_bitop2_b32 v3, 7, v3 bitop3:0x40
	v_dual_cndmask_b32 v3, v5, v3 :: v_dual_cndmask_b32 v6, v8, v6
	s_delay_alu instid0(VALU_DEP_2) | instskip(NEXT) | instid1(VALU_DEP_2)
	v_and_b32_e32 v2, 0x80000000, v2
	v_lshlrev_b32_e32 v3, 20, v3
	s_delay_alu instid0(VALU_DEP_3) | instskip(NEXT) | instid1(VALU_DEP_1)
	v_lshl_add_u32 v5, v6, 23, 0x3b800000
	v_or3_b32 v3, v2, v5, v3
.LBB62_425:
	s_or_b32 exec_lo, exec_lo, s17
	s_delay_alu instid0(VALU_DEP_1) | instskip(SKIP_1) | instid1(VALU_DEP_2)
	v_bfe_u32 v2, v3, 16, 1
	v_cmp_o_f32_e32 vcc_lo, v3, v3
	v_add3_u32 v2, v3, v2, 0x7fff
	s_delay_alu instid0(VALU_DEP_1) | instskip(NEXT) | instid1(VALU_DEP_1)
	v_lshrrev_b32_e32 v2, 16, v2
	v_cndmask_b32_e32 v2, 0x7fc0, v2, vcc_lo
.LBB62_426:
	s_mov_b32 s1, -1
.LBB62_427:
	s_mov_b32 s17, 0
.LBB62_428:
	s_delay_alu instid0(SALU_CYCLE_1)
	s_and_b32 vcc_lo, exec_lo, s17
	s_cbranch_vccz .LBB62_463
; %bb.429:
	s_cmp_gt_i32 s0, 22
	s_cbranch_scc0 .LBB62_439
; %bb.430:
	s_cmp_lt_i32 s0, 24
	s_cbranch_scc1 .LBB62_442
; %bb.431:
	s_cmp_gt_i32 s0, 24
	s_cbranch_scc0 .LBB62_443
; %bb.432:
	s_wait_loadcnt 0x0
	global_load_u8 v2, v[0:1], off
	s_mov_b32 s1, 0
	s_mov_b32 s17, exec_lo
	s_wait_loadcnt 0x0
	v_cmpx_lt_i16_e32 0x7f, v2
	s_xor_b32 s17, exec_lo, s17
	s_cbranch_execz .LBB62_455
; %bb.433:
	s_mov_b32 s1, -1
	s_mov_b32 s19, exec_lo
	v_cmpx_eq_u16_e32 0x80, v2
; %bb.434:
	s_xor_b32 s1, exec_lo, -1
; %bb.435:
	s_or_b32 exec_lo, exec_lo, s19
	s_delay_alu instid0(SALU_CYCLE_1)
	s_and_b32 s1, s1, exec_lo
	s_or_saveexec_b32 s17, s17
	v_mov_b32_e32 v3, 0x7f800001
	s_xor_b32 exec_lo, exec_lo, s17
	s_cbranch_execnz .LBB62_456
.LBB62_436:
	s_or_b32 exec_lo, exec_lo, s17
	s_and_saveexec_b32 s17, s1
	s_cbranch_execz .LBB62_438
.LBB62_437:
	v_and_b32_e32 v3, 0xffff, v2
	s_delay_alu instid0(VALU_DEP_1) | instskip(SKIP_1) | instid1(VALU_DEP_2)
	v_and_b32_e32 v5, 3, v3
	v_bfe_u32 v8, v3, 2, 5
	v_clz_i32_u32_e32 v6, v5
	s_delay_alu instid0(VALU_DEP_2) | instskip(NEXT) | instid1(VALU_DEP_2)
	v_cmp_eq_u32_e32 vcc_lo, 0, v8
	v_min_u32_e32 v6, 32, v6
	s_delay_alu instid0(VALU_DEP_1) | instskip(NEXT) | instid1(VALU_DEP_1)
	v_subrev_nc_u32_e32 v7, 29, v6
	v_dual_lshlrev_b32 v3, v7, v3 :: v_dual_sub_nc_u32 v6, 30, v6
	s_delay_alu instid0(VALU_DEP_1) | instskip(NEXT) | instid1(VALU_DEP_1)
	v_dual_lshlrev_b32 v2, 24, v2 :: v_dual_bitop2_b32 v3, 3, v3 bitop3:0x40
	v_dual_cndmask_b32 v3, v5, v3 :: v_dual_cndmask_b32 v6, v8, v6
	s_delay_alu instid0(VALU_DEP_2) | instskip(NEXT) | instid1(VALU_DEP_2)
	v_and_b32_e32 v2, 0x80000000, v2
	v_lshlrev_b32_e32 v3, 21, v3
	s_delay_alu instid0(VALU_DEP_3) | instskip(NEXT) | instid1(VALU_DEP_1)
	v_lshl_add_u32 v5, v6, 23, 0x37800000
	v_or3_b32 v3, v2, v5, v3
.LBB62_438:
	s_or_b32 exec_lo, exec_lo, s17
	s_delay_alu instid0(VALU_DEP_1) | instskip(SKIP_2) | instid1(VALU_DEP_2)
	v_bfe_u32 v2, v3, 16, 1
	v_cmp_o_f32_e32 vcc_lo, v3, v3
	s_mov_b32 s1, 0
	v_add3_u32 v2, v3, v2, 0x7fff
	s_delay_alu instid0(VALU_DEP_1) | instskip(NEXT) | instid1(VALU_DEP_1)
	v_lshrrev_b32_e32 v2, 16, v2
	v_cndmask_b32_e32 v2, 0x7fc0, v2, vcc_lo
	s_branch .LBB62_444
.LBB62_439:
	s_mov_b32 s17, -1
                                        ; implicit-def: $vgpr2
	s_branch .LBB62_450
.LBB62_440:
	s_or_saveexec_b32 s17, s17
	v_mov_b32_e32 v3, 0x7f800001
	s_xor_b32 exec_lo, exec_lo, s17
	s_cbranch_execz .LBB62_423
.LBB62_441:
	v_cmp_ne_u16_e32 vcc_lo, 0, v2
	v_mov_b32_e32 v3, 0
	s_and_not1_b32 s1, s1, exec_lo
	s_and_b32 s19, vcc_lo, exec_lo
	s_delay_alu instid0(SALU_CYCLE_1)
	s_or_b32 s1, s1, s19
	s_or_b32 exec_lo, exec_lo, s17
	s_and_saveexec_b32 s17, s1
	s_cbranch_execnz .LBB62_424
	s_branch .LBB62_425
.LBB62_442:
	s_mov_b32 s1, -1
                                        ; implicit-def: $vgpr2
	s_branch .LBB62_447
.LBB62_443:
	s_mov_b32 s1, -1
                                        ; implicit-def: $vgpr2
.LBB62_444:
	s_delay_alu instid0(SALU_CYCLE_1)
	s_and_b32 vcc_lo, exec_lo, s1
	s_cbranch_vccz .LBB62_446
; %bb.445:
	s_wait_loadcnt 0x0
	global_load_u8 v2, v[0:1], off
	s_wait_loadcnt 0x0
	v_lshlrev_b32_e32 v2, 24, v2
	s_delay_alu instid0(VALU_DEP_1) | instskip(NEXT) | instid1(VALU_DEP_1)
	v_and_b32_e32 v3, 0x7f000000, v2
	v_clz_i32_u32_e32 v5, v3
	v_add_nc_u32_e32 v7, 0x1000000, v3
	v_cmp_ne_u32_e32 vcc_lo, 0, v3
	s_delay_alu instid0(VALU_DEP_3) | instskip(NEXT) | instid1(VALU_DEP_1)
	v_min_u32_e32 v5, 32, v5
	v_sub_nc_u32_e64 v5, v5, 4 clamp
	s_delay_alu instid0(VALU_DEP_1) | instskip(NEXT) | instid1(VALU_DEP_1)
	v_dual_lshlrev_b32 v6, v5, v3 :: v_dual_lshlrev_b32 v5, 23, v5
	v_lshrrev_b32_e32 v6, 4, v6
	s_delay_alu instid0(VALU_DEP_1) | instskip(NEXT) | instid1(VALU_DEP_1)
	v_dual_sub_nc_u32 v5, v6, v5 :: v_dual_ashrrev_i32 v6, 8, v7
	v_add_nc_u32_e32 v5, 0x3c000000, v5
	s_delay_alu instid0(VALU_DEP_1) | instskip(NEXT) | instid1(VALU_DEP_1)
	v_and_or_b32 v5, 0x7f800000, v6, v5
	v_cndmask_b32_e32 v3, 0, v5, vcc_lo
	s_delay_alu instid0(VALU_DEP_1) | instskip(SKIP_1) | instid1(VALU_DEP_2)
	v_and_or_b32 v2, 0x80000000, v2, v3
	v_bfe_u32 v3, v3, 16, 1
	v_cmp_o_f32_e32 vcc_lo, v2, v2
	s_delay_alu instid0(VALU_DEP_2) | instskip(NEXT) | instid1(VALU_DEP_1)
	v_add3_u32 v3, v2, v3, 0x7fff
	v_lshrrev_b32_e32 v3, 16, v3
	s_delay_alu instid0(VALU_DEP_1)
	v_cndmask_b32_e32 v2, 0x7fc0, v3, vcc_lo
.LBB62_446:
	s_mov_b32 s1, 0
.LBB62_447:
	s_delay_alu instid0(SALU_CYCLE_1)
	s_and_not1_b32 vcc_lo, exec_lo, s1
	s_cbranch_vccnz .LBB62_449
; %bb.448:
	s_wait_loadcnt 0x0
	global_load_u8 v2, v[0:1], off
	s_wait_loadcnt 0x0
	v_lshlrev_b32_e32 v3, 25, v2
	v_lshlrev_b16 v2, 8, v2
	s_delay_alu instid0(VALU_DEP_2) | instskip(NEXT) | instid1(VALU_DEP_2)
	v_cmp_gt_u32_e32 vcc_lo, 0x8000000, v3
	v_and_or_b32 v6, 0x7f00, v2, 0.5
	v_lshrrev_b32_e32 v5, 4, v3
	v_bfe_i32 v2, v2, 0, 16
	s_delay_alu instid0(VALU_DEP_3) | instskip(NEXT) | instid1(VALU_DEP_3)
	v_add_f32_e32 v6, -0.5, v6
	v_or_b32_e32 v5, 0x70000000, v5
	s_delay_alu instid0(VALU_DEP_1) | instskip(NEXT) | instid1(VALU_DEP_1)
	v_mul_f32_e32 v5, 0x7800000, v5
	v_cndmask_b32_e32 v3, v5, v6, vcc_lo
	s_delay_alu instid0(VALU_DEP_1) | instskip(SKIP_1) | instid1(VALU_DEP_2)
	v_and_or_b32 v2, 0x80000000, v2, v3
	v_bfe_u32 v3, v3, 16, 1
	v_cmp_o_f32_e32 vcc_lo, v2, v2
	s_delay_alu instid0(VALU_DEP_2) | instskip(NEXT) | instid1(VALU_DEP_1)
	v_add3_u32 v3, v2, v3, 0x7fff
	v_lshrrev_b32_e32 v3, 16, v3
	s_delay_alu instid0(VALU_DEP_1)
	v_cndmask_b32_e32 v2, 0x7fc0, v3, vcc_lo
.LBB62_449:
	s_mov_b32 s17, 0
	s_mov_b32 s1, -1
.LBB62_450:
	s_and_not1_b32 vcc_lo, exec_lo, s17
	s_cbranch_vccnz .LBB62_463
; %bb.451:
	s_cmp_gt_i32 s0, 14
	s_cbranch_scc0 .LBB62_454
; %bb.452:
	s_cmp_eq_u32 s0, 15
	s_cbranch_scc0 .LBB62_457
; %bb.453:
	s_wait_loadcnt 0x0
	global_load_u16 v2, v[0:1], off
	s_mov_b32 s1, -1
	s_mov_b32 s16, 0
	s_branch .LBB62_458
.LBB62_454:
	s_mov_b32 s17, -1
                                        ; implicit-def: $vgpr2
	s_branch .LBB62_459
.LBB62_455:
	s_or_saveexec_b32 s17, s17
	v_mov_b32_e32 v3, 0x7f800001
	s_xor_b32 exec_lo, exec_lo, s17
	s_cbranch_execz .LBB62_436
.LBB62_456:
	v_cmp_ne_u16_e32 vcc_lo, 0, v2
	v_mov_b32_e32 v3, 0
	s_and_not1_b32 s1, s1, exec_lo
	s_and_b32 s19, vcc_lo, exec_lo
	s_delay_alu instid0(SALU_CYCLE_1)
	s_or_b32 s1, s1, s19
	s_or_b32 exec_lo, exec_lo, s17
	s_and_saveexec_b32 s17, s1
	s_cbranch_execnz .LBB62_437
	s_branch .LBB62_438
.LBB62_457:
	s_mov_b32 s16, -1
                                        ; implicit-def: $vgpr2
.LBB62_458:
	s_mov_b32 s17, 0
.LBB62_459:
	s_delay_alu instid0(SALU_CYCLE_1)
	s_and_b32 vcc_lo, exec_lo, s17
	s_cbranch_vccz .LBB62_463
; %bb.460:
	s_cmp_eq_u32 s0, 11
	s_cbranch_scc0 .LBB62_462
; %bb.461:
	s_wait_loadcnt 0x0
	global_load_u8 v2, v[0:1], off
	s_mov_b32 s16, 0
	s_mov_b32 s1, -1
	s_wait_loadcnt 0x0
	v_cmp_ne_u16_e32 vcc_lo, 0, v2
	v_cndmask_b32_e64 v2, 0, 1.0, vcc_lo
	s_delay_alu instid0(VALU_DEP_1)
	v_lshrrev_b32_e32 v2, 16, v2
	s_branch .LBB62_463
.LBB62_462:
	s_mov_b32 s16, -1
                                        ; implicit-def: $vgpr2
.LBB62_463:
	s_branch .LBB62_265
.LBB62_464:
	s_cmp_lt_i32 s0, 5
	s_cbranch_scc1 .LBB62_469
; %bb.465:
	s_cmp_lt_i32 s0, 8
	s_cbranch_scc1 .LBB62_470
; %bb.466:
	;; [unrolled: 3-line block ×3, first 2 shown]
	s_cmp_gt_i32 s0, 9
	s_cbranch_scc0 .LBB62_472
; %bb.468:
	s_wait_loadcnt 0x0
	global_load_b64 v[2:3], v[0:1], off
	s_mov_b32 s1, 0
	s_wait_loadcnt 0x0
	v_cvt_f32_f64_e32 v2, v[2:3]
	s_delay_alu instid0(VALU_DEP_1) | instskip(SKIP_1) | instid1(VALU_DEP_2)
	v_bfe_u32 v3, v2, 16, 1
	v_cmp_o_f32_e32 vcc_lo, v2, v2
	v_add3_u32 v3, v2, v3, 0x7fff
	s_delay_alu instid0(VALU_DEP_1) | instskip(NEXT) | instid1(VALU_DEP_1)
	v_lshrrev_b32_e32 v3, 16, v3
	v_cndmask_b32_e32 v2, 0x7fc0, v3, vcc_lo
	s_branch .LBB62_473
.LBB62_469:
	s_mov_b32 s1, -1
                                        ; implicit-def: $vgpr2
	s_branch .LBB62_491
.LBB62_470:
	s_mov_b32 s1, -1
                                        ; implicit-def: $vgpr2
	s_branch .LBB62_479
.LBB62_471:
	s_mov_b32 s1, -1
                                        ; implicit-def: $vgpr2
	s_branch .LBB62_476
.LBB62_472:
	s_mov_b32 s1, -1
                                        ; implicit-def: $vgpr2
.LBB62_473:
	s_delay_alu instid0(SALU_CYCLE_1)
	s_and_not1_b32 vcc_lo, exec_lo, s1
	s_cbranch_vccnz .LBB62_475
; %bb.474:
	s_wait_loadcnt 0x0
	global_load_b32 v2, v[0:1], off
	s_wait_loadcnt 0x0
	v_bfe_u32 v3, v2, 16, 1
	v_cmp_o_f32_e32 vcc_lo, v2, v2
	s_delay_alu instid0(VALU_DEP_2) | instskip(NEXT) | instid1(VALU_DEP_1)
	v_add3_u32 v3, v2, v3, 0x7fff
	v_lshrrev_b32_e32 v3, 16, v3
	s_delay_alu instid0(VALU_DEP_1)
	v_cndmask_b32_e32 v2, 0x7fc0, v3, vcc_lo
.LBB62_475:
	s_mov_b32 s1, 0
.LBB62_476:
	s_delay_alu instid0(SALU_CYCLE_1)
	s_and_not1_b32 vcc_lo, exec_lo, s1
	s_cbranch_vccnz .LBB62_478
; %bb.477:
	s_wait_loadcnt 0x0
	global_load_b32 v2, v[0:1], off
	s_wait_loadcnt 0x0
	v_cvt_f32_f16_e32 v3, v2
	v_cmp_o_f16_e32 vcc_lo, v2, v2
	s_delay_alu instid0(VALU_DEP_2) | instskip(NEXT) | instid1(VALU_DEP_1)
	v_bfe_u32 v5, v3, 16, 1
	v_add3_u32 v3, v3, v5, 0x7fff
	s_delay_alu instid0(VALU_DEP_1) | instskip(NEXT) | instid1(VALU_DEP_1)
	v_lshrrev_b32_e32 v3, 16, v3
	v_cndmask_b32_e32 v2, 0x7fc0, v3, vcc_lo
.LBB62_478:
	s_mov_b32 s1, 0
.LBB62_479:
	s_delay_alu instid0(SALU_CYCLE_1)
	s_and_not1_b32 vcc_lo, exec_lo, s1
	s_cbranch_vccnz .LBB62_490
; %bb.480:
	s_cmp_lt_i32 s0, 6
	s_cbranch_scc1 .LBB62_483
; %bb.481:
	s_cmp_gt_i32 s0, 6
	s_cbranch_scc0 .LBB62_484
; %bb.482:
	s_wait_loadcnt 0x0
	global_load_b64 v[2:3], v[0:1], off
	s_mov_b32 s1, 0
	s_wait_loadcnt 0x0
	v_cvt_f32_f64_e32 v2, v[2:3]
	s_delay_alu instid0(VALU_DEP_1) | instskip(SKIP_1) | instid1(VALU_DEP_2)
	v_bfe_u32 v3, v2, 16, 1
	v_cmp_o_f32_e32 vcc_lo, v2, v2
	v_add3_u32 v3, v2, v3, 0x7fff
	s_delay_alu instid0(VALU_DEP_1) | instskip(NEXT) | instid1(VALU_DEP_1)
	v_lshrrev_b32_e32 v3, 16, v3
	v_cndmask_b32_e32 v2, 0x7fc0, v3, vcc_lo
	s_branch .LBB62_485
.LBB62_483:
	s_mov_b32 s1, -1
                                        ; implicit-def: $vgpr2
	s_branch .LBB62_488
.LBB62_484:
	s_mov_b32 s1, -1
                                        ; implicit-def: $vgpr2
.LBB62_485:
	s_delay_alu instid0(SALU_CYCLE_1)
	s_and_not1_b32 vcc_lo, exec_lo, s1
	s_cbranch_vccnz .LBB62_487
; %bb.486:
	s_wait_loadcnt 0x0
	global_load_b32 v2, v[0:1], off
	s_wait_loadcnt 0x0
	v_bfe_u32 v3, v2, 16, 1
	v_cmp_o_f32_e32 vcc_lo, v2, v2
	s_delay_alu instid0(VALU_DEP_2) | instskip(NEXT) | instid1(VALU_DEP_1)
	v_add3_u32 v3, v2, v3, 0x7fff
	v_lshrrev_b32_e32 v3, 16, v3
	s_delay_alu instid0(VALU_DEP_1)
	v_cndmask_b32_e32 v2, 0x7fc0, v3, vcc_lo
.LBB62_487:
	s_mov_b32 s1, 0
.LBB62_488:
	s_delay_alu instid0(SALU_CYCLE_1)
	s_and_not1_b32 vcc_lo, exec_lo, s1
	s_cbranch_vccnz .LBB62_490
; %bb.489:
	s_wait_loadcnt 0x0
	global_load_u16 v2, v[0:1], off
	s_wait_loadcnt 0x0
	v_cvt_f32_f16_e32 v3, v2
	v_cmp_o_f16_e32 vcc_lo, v2, v2
	s_delay_alu instid0(VALU_DEP_2) | instskip(NEXT) | instid1(VALU_DEP_1)
	v_bfe_u32 v5, v3, 16, 1
	v_add3_u32 v3, v3, v5, 0x7fff
	s_delay_alu instid0(VALU_DEP_1) | instskip(NEXT) | instid1(VALU_DEP_1)
	v_lshrrev_b32_e32 v3, 16, v3
	v_cndmask_b32_e32 v2, 0x7fc0, v3, vcc_lo
.LBB62_490:
	s_mov_b32 s1, 0
.LBB62_491:
	s_delay_alu instid0(SALU_CYCLE_1)
	s_and_not1_b32 vcc_lo, exec_lo, s1
	s_cbranch_vccnz .LBB62_511
; %bb.492:
	s_cmp_lt_i32 s0, 2
	s_cbranch_scc1 .LBB62_496
; %bb.493:
	s_cmp_lt_i32 s0, 3
	s_cbranch_scc1 .LBB62_497
; %bb.494:
	s_cmp_gt_i32 s0, 3
	s_cbranch_scc0 .LBB62_498
; %bb.495:
	s_wait_loadcnt 0x0
	global_load_b64 v[2:3], v[0:1], off
	s_mov_b32 s1, 0
	s_wait_loadcnt 0x0
	v_xor_b32_e32 v5, v2, v3
	v_cls_i32_e32 v6, v3
	s_delay_alu instid0(VALU_DEP_2) | instskip(NEXT) | instid1(VALU_DEP_1)
	v_ashrrev_i32_e32 v5, 31, v5
	v_add_nc_u32_e32 v5, 32, v5
	s_delay_alu instid0(VALU_DEP_1) | instskip(NEXT) | instid1(VALU_DEP_1)
	v_add_min_u32_e64 v5, v6, -1, v5
	v_lshlrev_b64_e32 v[2:3], v5, v[2:3]
	s_delay_alu instid0(VALU_DEP_1) | instskip(NEXT) | instid1(VALU_DEP_1)
	v_min_u32_e32 v2, 1, v2
	v_dual_sub_nc_u32 v3, 32, v5 :: v_dual_bitop2_b32 v2, v3, v2 bitop3:0x54
	s_delay_alu instid0(VALU_DEP_1) | instskip(NEXT) | instid1(VALU_DEP_1)
	v_cvt_f32_i32_e32 v2, v2
	v_ldexp_f32 v2, v2, v3
	s_delay_alu instid0(VALU_DEP_1) | instskip(NEXT) | instid1(VALU_DEP_1)
	v_bfe_u32 v3, v2, 16, 1
	v_add3_u32 v2, v2, v3, 0x7fff
	s_delay_alu instid0(VALU_DEP_1)
	v_lshrrev_b32_e32 v2, 16, v2
	s_branch .LBB62_499
.LBB62_496:
	s_mov_b32 s1, -1
                                        ; implicit-def: $vgpr2
	s_branch .LBB62_505
.LBB62_497:
	s_mov_b32 s1, -1
                                        ; implicit-def: $vgpr2
	s_branch .LBB62_502
.LBB62_498:
	s_mov_b32 s1, -1
                                        ; implicit-def: $vgpr2
.LBB62_499:
	s_delay_alu instid0(SALU_CYCLE_1)
	s_and_not1_b32 vcc_lo, exec_lo, s1
	s_cbranch_vccnz .LBB62_501
; %bb.500:
	s_wait_loadcnt 0x0
	global_load_b32 v2, v[0:1], off
	s_wait_loadcnt 0x0
	v_cvt_f32_i32_e32 v2, v2
	s_delay_alu instid0(VALU_DEP_1) | instskip(NEXT) | instid1(VALU_DEP_1)
	v_bfe_u32 v3, v2, 16, 1
	v_add3_u32 v2, v2, v3, 0x7fff
	s_delay_alu instid0(VALU_DEP_1)
	v_lshrrev_b32_e32 v2, 16, v2
.LBB62_501:
	s_mov_b32 s1, 0
.LBB62_502:
	s_delay_alu instid0(SALU_CYCLE_1)
	s_and_not1_b32 vcc_lo, exec_lo, s1
	s_cbranch_vccnz .LBB62_504
; %bb.503:
	s_wait_loadcnt 0x0
	global_load_i16 v2, v[0:1], off
	s_wait_loadcnt 0x0
	v_cvt_f32_i32_e32 v2, v2
	s_delay_alu instid0(VALU_DEP_1) | instskip(NEXT) | instid1(VALU_DEP_1)
	v_bfe_u32 v3, v2, 16, 1
	v_add3_u32 v2, v2, v3, 0x7fff
	s_delay_alu instid0(VALU_DEP_1)
	v_lshrrev_b32_e32 v2, 16, v2
.LBB62_504:
	s_mov_b32 s1, 0
.LBB62_505:
	s_delay_alu instid0(SALU_CYCLE_1)
	s_and_not1_b32 vcc_lo, exec_lo, s1
	s_cbranch_vccnz .LBB62_511
; %bb.506:
	s_cmp_gt_i32 s0, 0
	s_mov_b32 s0, 0
	s_cbranch_scc0 .LBB62_508
; %bb.507:
	s_wait_loadcnt 0x0
	global_load_i8 v2, v[0:1], off
	s_wait_loadcnt 0x0
	v_cvt_f32_i32_e32 v2, v2
	s_delay_alu instid0(VALU_DEP_1) | instskip(NEXT) | instid1(VALU_DEP_1)
	v_bfe_u32 v3, v2, 16, 1
	v_add3_u32 v2, v2, v3, 0x7fff
	s_delay_alu instid0(VALU_DEP_1)
	v_lshrrev_b32_e32 v2, 16, v2
	s_branch .LBB62_509
.LBB62_508:
	s_mov_b32 s0, -1
                                        ; implicit-def: $vgpr2
.LBB62_509:
	s_delay_alu instid0(SALU_CYCLE_1)
	s_and_not1_b32 vcc_lo, exec_lo, s0
	s_cbranch_vccnz .LBB62_511
; %bb.510:
	global_load_u8 v0, v[0:1], off
	s_wait_loadcnt 0x0
	v_cvt_f32_ubyte0_e32 v0, v0
	s_delay_alu instid0(VALU_DEP_1) | instskip(NEXT) | instid1(VALU_DEP_1)
	v_bfe_u32 v1, v0, 16, 1
	v_add3_u32 v0, v0, v1, 0x7fff
	s_delay_alu instid0(VALU_DEP_1)
	v_lshrrev_b32_e32 v2, 16, v0
.LBB62_511:
	s_branch .LBB62_266
.LBB62_512:
	s_mov_b32 s0, 0
	s_mov_b32 s1, s12
.LBB62_513:
                                        ; implicit-def: $vgpr4
.LBB62_514:
	s_and_not1_b32 s17, s12, exec_lo
	s_and_b32 s1, s1, exec_lo
	s_and_not1_b32 s19, s14, exec_lo
	s_and_b32 s16, s16, exec_lo
	s_or_b32 s17, s17, s1
	s_or_b32 s16, s19, s16
	s_or_not1_b32 s0, s0, exec_lo
.LBB62_515:
	s_wait_xcnt 0x0
	s_or_b32 exec_lo, exec_lo, s18
	s_mov_b32 s1, 0
	s_mov_b32 s19, 0
	;; [unrolled: 1-line block ×3, first 2 shown]
                                        ; implicit-def: $vgpr0_vgpr1
                                        ; implicit-def: $vgpr2
	s_and_saveexec_b32 s18, s0
	s_cbranch_execz .LBB62_862
; %bb.516:
	s_mov_b32 s20, -1
	s_mov_b32 s0, s16
	s_mov_b32 s1, s17
	s_mov_b32 s19, exec_lo
	v_cmpx_gt_i32_e64 s13, v4
	s_cbranch_execz .LBB62_776
; %bb.517:
	v_mul_lo_u32 v0, v4, s3
	s_and_b32 s0, 0xffff, s10
	s_delay_alu instid0(SALU_CYCLE_1) | instskip(NEXT) | instid1(VALU_DEP_1)
	s_cmp_lt_i32 s0, 11
	v_ashrrev_i32_e32 v1, 31, v0
	s_delay_alu instid0(VALU_DEP_1)
	v_add_nc_u64_e32 v[0:1], s[6:7], v[0:1]
	s_cbranch_scc1 .LBB62_524
; %bb.518:
	s_cmp_gt_i32 s0, 25
	s_cbranch_scc0 .LBB62_525
; %bb.519:
	s_cmp_gt_i32 s0, 28
	s_cbranch_scc0 .LBB62_526
	;; [unrolled: 3-line block ×4, first 2 shown]
; %bb.522:
	s_cmp_eq_u32 s0, 46
	s_mov_b32 s21, 0
	s_cbranch_scc0 .LBB62_533
; %bb.523:
	s_wait_loadcnt 0x0
	global_load_b32 v2, v[0:1], off
	s_mov_b32 s1, -1
	s_mov_b32 s20, 0
	s_branch .LBB62_535
.LBB62_524:
	s_mov_b32 s21, -1
	s_mov_b32 s1, 0
	s_mov_b32 s20, s16
                                        ; implicit-def: $vgpr2
	s_branch .LBB62_600
.LBB62_525:
	s_mov_b32 s21, -1
	s_mov_b32 s1, 0
	s_mov_b32 s20, s16
                                        ; implicit-def: $vgpr2
	s_branch .LBB62_564
.LBB62_526:
	s_mov_b32 s21, -1
	s_mov_b32 s1, 0
	s_mov_b32 s20, s16
                                        ; implicit-def: $vgpr2
	s_branch .LBB62_545
.LBB62_527:
	s_mov_b32 s21, -1
	s_mov_b32 s1, 0
	s_mov_b32 s20, s16
                                        ; implicit-def: $vgpr2
	s_branch .LBB62_540
.LBB62_528:
	s_and_not1_saveexec_b32 s22, s22
	s_cbranch_execz .LBB62_312
.LBB62_529:
	v_add_f32_e32 v2, 0x46000000, v3
	s_and_not1_b32 s21, s21, exec_lo
	s_delay_alu instid0(VALU_DEP_1) | instskip(NEXT) | instid1(VALU_DEP_1)
	v_and_b32_e32 v2, 0xff, v2
	v_cmp_ne_u32_e32 vcc_lo, 0, v2
	s_and_b32 s23, vcc_lo, exec_lo
	s_delay_alu instid0(SALU_CYCLE_1)
	s_or_b32 s21, s21, s23
	s_or_b32 exec_lo, exec_lo, s22
	v_mov_b32_e32 v5, 0
	s_and_saveexec_b32 s22, s21
	s_cbranch_execnz .LBB62_313
	s_branch .LBB62_314
.LBB62_530:
	s_mov_b32 s21, -1
	s_mov_b32 s1, 0
	s_mov_b32 s20, s16
	s_branch .LBB62_534
.LBB62_531:
	s_and_not1_saveexec_b32 s22, s22
	s_cbranch_execz .LBB62_325
.LBB62_532:
	v_add_f32_e32 v2, 0x42800000, v3
	s_and_not1_b32 s21, s21, exec_lo
	s_delay_alu instid0(VALU_DEP_1) | instskip(NEXT) | instid1(VALU_DEP_1)
	v_and_b32_e32 v2, 0xff, v2
	v_cmp_ne_u32_e32 vcc_lo, 0, v2
	s_and_b32 s23, vcc_lo, exec_lo
	s_delay_alu instid0(SALU_CYCLE_1)
	s_or_b32 s21, s21, s23
	s_or_b32 exec_lo, exec_lo, s22
	v_mov_b32_e32 v5, 0
	s_and_saveexec_b32 s22, s21
	s_cbranch_execnz .LBB62_326
	s_branch .LBB62_327
.LBB62_533:
	s_mov_b32 s1, 0
.LBB62_534:
                                        ; implicit-def: $vgpr2
.LBB62_535:
	s_and_b32 vcc_lo, exec_lo, s21
	s_cbranch_vccz .LBB62_539
; %bb.536:
	s_cmp_eq_u32 s0, 44
	s_cbranch_scc0 .LBB62_538
; %bb.537:
	s_wait_loadcnt 0x0
	global_load_u8 v2, v[0:1], off
	s_mov_b32 s20, 0
	s_mov_b32 s1, -1
	s_wait_loadcnt 0x0
	v_lshlrev_b32_e32 v3, 23, v2
	v_cmp_ne_u32_e32 vcc_lo, 0xff, v2
	s_delay_alu instid0(VALU_DEP_2) | instskip(SKIP_1) | instid1(VALU_DEP_2)
	v_cndmask_b32_e32 v3, 0x7f800001, v3, vcc_lo
	v_cmp_ne_u32_e32 vcc_lo, 0, v2
	v_cndmask_b32_e32 v2, 0x400000, v3, vcc_lo
	s_delay_alu instid0(VALU_DEP_1) | instskip(NEXT) | instid1(VALU_DEP_1)
	v_add_nc_u32_e32 v3, 0x7fff, v2
	v_lshrrev_b32_e32 v3, 16, v3
	v_cmp_o_f32_e32 vcc_lo, v2, v2
	s_delay_alu instid0(VALU_DEP_2)
	v_cndmask_b32_e32 v2, 0x7fc0, v3, vcc_lo
	s_branch .LBB62_539
.LBB62_538:
	s_mov_b32 s20, -1
                                        ; implicit-def: $vgpr2
.LBB62_539:
	s_mov_b32 s21, 0
.LBB62_540:
	s_delay_alu instid0(SALU_CYCLE_1)
	s_and_b32 vcc_lo, exec_lo, s21
	s_cbranch_vccz .LBB62_544
; %bb.541:
	s_cmp_eq_u32 s0, 29
	s_cbranch_scc0 .LBB62_543
; %bb.542:
	s_wait_loadcnt 0x0
	global_load_b64 v[2:3], v[0:1], off
	s_mov_b32 s1, -1
	s_mov_b32 s20, 0
	s_mov_b32 s21, 0
	s_wait_loadcnt 0x0
	v_clz_i32_u32_e32 v5, v3
	s_delay_alu instid0(VALU_DEP_1) | instskip(NEXT) | instid1(VALU_DEP_1)
	v_min_u32_e32 v5, 32, v5
	v_lshlrev_b64_e32 v[2:3], v5, v[2:3]
	s_delay_alu instid0(VALU_DEP_1) | instskip(NEXT) | instid1(VALU_DEP_1)
	v_min_u32_e32 v2, 1, v2
	v_dual_sub_nc_u32 v3, 32, v5 :: v_dual_bitop2_b32 v2, v3, v2 bitop3:0x54
	s_delay_alu instid0(VALU_DEP_1) | instskip(NEXT) | instid1(VALU_DEP_1)
	v_cvt_f32_u32_e32 v2, v2
	v_ldexp_f32 v2, v2, v3
	s_delay_alu instid0(VALU_DEP_1) | instskip(NEXT) | instid1(VALU_DEP_1)
	v_bfe_u32 v3, v2, 16, 1
	v_add3_u32 v2, v2, v3, 0x7fff
	s_delay_alu instid0(VALU_DEP_1)
	v_lshrrev_b32_e32 v2, 16, v2
	s_branch .LBB62_545
.LBB62_543:
	s_mov_b32 s20, -1
                                        ; implicit-def: $vgpr2
.LBB62_544:
	s_mov_b32 s21, 0
.LBB62_545:
	s_delay_alu instid0(SALU_CYCLE_1)
	s_and_b32 vcc_lo, exec_lo, s21
	s_cbranch_vccz .LBB62_563
; %bb.546:
	s_cmp_lt_i32 s0, 27
	s_cbranch_scc1 .LBB62_549
; %bb.547:
	s_cmp_gt_i32 s0, 27
	s_cbranch_scc0 .LBB62_550
; %bb.548:
	s_wait_loadcnt 0x0
	global_load_b32 v2, v[0:1], off
	s_mov_b32 s1, 0
	s_wait_loadcnt 0x0
	v_cvt_f32_u32_e32 v2, v2
	s_delay_alu instid0(VALU_DEP_1) | instskip(NEXT) | instid1(VALU_DEP_1)
	v_bfe_u32 v3, v2, 16, 1
	v_add3_u32 v2, v2, v3, 0x7fff
	s_delay_alu instid0(VALU_DEP_1)
	v_lshrrev_b32_e32 v2, 16, v2
	s_branch .LBB62_551
.LBB62_549:
	s_mov_b32 s1, -1
                                        ; implicit-def: $vgpr2
	s_branch .LBB62_554
.LBB62_550:
	s_mov_b32 s1, -1
                                        ; implicit-def: $vgpr2
.LBB62_551:
	s_delay_alu instid0(SALU_CYCLE_1)
	s_and_not1_b32 vcc_lo, exec_lo, s1
	s_cbranch_vccnz .LBB62_553
; %bb.552:
	s_wait_loadcnt 0x0
	global_load_u16 v2, v[0:1], off
	s_wait_loadcnt 0x0
	v_cvt_f32_u32_e32 v2, v2
	s_delay_alu instid0(VALU_DEP_1) | instskip(NEXT) | instid1(VALU_DEP_1)
	v_bfe_u32 v3, v2, 16, 1
	v_add3_u32 v2, v2, v3, 0x7fff
	s_delay_alu instid0(VALU_DEP_1)
	v_lshrrev_b32_e32 v2, 16, v2
.LBB62_553:
	s_mov_b32 s1, 0
.LBB62_554:
	s_delay_alu instid0(SALU_CYCLE_1)
	s_and_not1_b32 vcc_lo, exec_lo, s1
	s_cbranch_vccnz .LBB62_562
; %bb.555:
	s_wait_loadcnt 0x0
	global_load_u8 v2, v[0:1], off
	s_mov_b32 s1, 0
	s_mov_b32 s21, exec_lo
	s_wait_loadcnt 0x0
	v_cmpx_lt_i16_e32 0x7f, v2
	s_xor_b32 s21, exec_lo, s21
	s_cbranch_execz .LBB62_576
; %bb.556:
	s_mov_b32 s1, -1
	s_mov_b32 s22, exec_lo
	v_cmpx_eq_u16_e32 0x80, v2
; %bb.557:
	s_xor_b32 s1, exec_lo, -1
; %bb.558:
	s_or_b32 exec_lo, exec_lo, s22
	s_delay_alu instid0(SALU_CYCLE_1)
	s_and_b32 s1, s1, exec_lo
	s_or_saveexec_b32 s21, s21
	v_mov_b32_e32 v3, 0x7f800001
	s_xor_b32 exec_lo, exec_lo, s21
	s_cbranch_execnz .LBB62_577
.LBB62_559:
	s_or_b32 exec_lo, exec_lo, s21
	s_and_saveexec_b32 s21, s1
	s_cbranch_execz .LBB62_561
.LBB62_560:
	v_and_b32_e32 v3, 0xffff, v2
	s_delay_alu instid0(VALU_DEP_1) | instskip(SKIP_1) | instid1(VALU_DEP_2)
	v_and_b32_e32 v5, 7, v3
	v_bfe_u32 v8, v3, 3, 4
	v_clz_i32_u32_e32 v6, v5
	s_delay_alu instid0(VALU_DEP_2) | instskip(NEXT) | instid1(VALU_DEP_2)
	v_cmp_eq_u32_e32 vcc_lo, 0, v8
	v_min_u32_e32 v6, 32, v6
	s_delay_alu instid0(VALU_DEP_1) | instskip(NEXT) | instid1(VALU_DEP_1)
	v_subrev_nc_u32_e32 v7, 28, v6
	v_dual_lshlrev_b32 v3, v7, v3 :: v_dual_sub_nc_u32 v6, 29, v6
	s_delay_alu instid0(VALU_DEP_1) | instskip(NEXT) | instid1(VALU_DEP_1)
	v_dual_lshlrev_b32 v2, 24, v2 :: v_dual_bitop2_b32 v3, 7, v3 bitop3:0x40
	v_dual_cndmask_b32 v3, v5, v3 :: v_dual_cndmask_b32 v6, v8, v6
	s_delay_alu instid0(VALU_DEP_2) | instskip(NEXT) | instid1(VALU_DEP_2)
	v_and_b32_e32 v2, 0x80000000, v2
	v_lshlrev_b32_e32 v3, 20, v3
	s_delay_alu instid0(VALU_DEP_3) | instskip(NEXT) | instid1(VALU_DEP_1)
	v_lshl_add_u32 v5, v6, 23, 0x3b800000
	v_or3_b32 v3, v2, v5, v3
.LBB62_561:
	s_or_b32 exec_lo, exec_lo, s21
	s_delay_alu instid0(VALU_DEP_1) | instskip(SKIP_1) | instid1(VALU_DEP_2)
	v_bfe_u32 v2, v3, 16, 1
	v_cmp_o_f32_e32 vcc_lo, v3, v3
	v_add3_u32 v2, v3, v2, 0x7fff
	s_delay_alu instid0(VALU_DEP_1) | instskip(NEXT) | instid1(VALU_DEP_1)
	v_lshrrev_b32_e32 v2, 16, v2
	v_cndmask_b32_e32 v2, 0x7fc0, v2, vcc_lo
.LBB62_562:
	s_mov_b32 s1, -1
.LBB62_563:
	s_mov_b32 s21, 0
.LBB62_564:
	s_delay_alu instid0(SALU_CYCLE_1)
	s_and_b32 vcc_lo, exec_lo, s21
	s_cbranch_vccz .LBB62_599
; %bb.565:
	s_cmp_gt_i32 s0, 22
	s_cbranch_scc0 .LBB62_575
; %bb.566:
	s_cmp_lt_i32 s0, 24
	s_cbranch_scc1 .LBB62_578
; %bb.567:
	s_cmp_gt_i32 s0, 24
	s_cbranch_scc0 .LBB62_579
; %bb.568:
	s_wait_loadcnt 0x0
	global_load_u8 v2, v[0:1], off
	s_mov_b32 s1, 0
	s_mov_b32 s21, exec_lo
	s_wait_loadcnt 0x0
	v_cmpx_lt_i16_e32 0x7f, v2
	s_xor_b32 s21, exec_lo, s21
	s_cbranch_execz .LBB62_591
; %bb.569:
	s_mov_b32 s1, -1
	s_mov_b32 s22, exec_lo
	v_cmpx_eq_u16_e32 0x80, v2
; %bb.570:
	s_xor_b32 s1, exec_lo, -1
; %bb.571:
	s_or_b32 exec_lo, exec_lo, s22
	s_delay_alu instid0(SALU_CYCLE_1)
	s_and_b32 s1, s1, exec_lo
	s_or_saveexec_b32 s21, s21
	v_mov_b32_e32 v3, 0x7f800001
	s_xor_b32 exec_lo, exec_lo, s21
	s_cbranch_execnz .LBB62_592
.LBB62_572:
	s_or_b32 exec_lo, exec_lo, s21
	s_and_saveexec_b32 s21, s1
	s_cbranch_execz .LBB62_574
.LBB62_573:
	v_and_b32_e32 v3, 0xffff, v2
	s_delay_alu instid0(VALU_DEP_1) | instskip(SKIP_1) | instid1(VALU_DEP_2)
	v_and_b32_e32 v5, 3, v3
	v_bfe_u32 v8, v3, 2, 5
	v_clz_i32_u32_e32 v6, v5
	s_delay_alu instid0(VALU_DEP_2) | instskip(NEXT) | instid1(VALU_DEP_2)
	v_cmp_eq_u32_e32 vcc_lo, 0, v8
	v_min_u32_e32 v6, 32, v6
	s_delay_alu instid0(VALU_DEP_1) | instskip(NEXT) | instid1(VALU_DEP_1)
	v_subrev_nc_u32_e32 v7, 29, v6
	v_dual_lshlrev_b32 v3, v7, v3 :: v_dual_sub_nc_u32 v6, 30, v6
	s_delay_alu instid0(VALU_DEP_1) | instskip(NEXT) | instid1(VALU_DEP_1)
	v_dual_lshlrev_b32 v2, 24, v2 :: v_dual_bitop2_b32 v3, 3, v3 bitop3:0x40
	v_dual_cndmask_b32 v3, v5, v3 :: v_dual_cndmask_b32 v6, v8, v6
	s_delay_alu instid0(VALU_DEP_2) | instskip(NEXT) | instid1(VALU_DEP_2)
	v_and_b32_e32 v2, 0x80000000, v2
	v_lshlrev_b32_e32 v3, 21, v3
	s_delay_alu instid0(VALU_DEP_3) | instskip(NEXT) | instid1(VALU_DEP_1)
	v_lshl_add_u32 v5, v6, 23, 0x37800000
	v_or3_b32 v3, v2, v5, v3
.LBB62_574:
	s_or_b32 exec_lo, exec_lo, s21
	s_delay_alu instid0(VALU_DEP_1) | instskip(SKIP_2) | instid1(VALU_DEP_2)
	v_bfe_u32 v2, v3, 16, 1
	v_cmp_o_f32_e32 vcc_lo, v3, v3
	s_mov_b32 s1, 0
	v_add3_u32 v2, v3, v2, 0x7fff
	s_delay_alu instid0(VALU_DEP_1) | instskip(NEXT) | instid1(VALU_DEP_1)
	v_lshrrev_b32_e32 v2, 16, v2
	v_cndmask_b32_e32 v2, 0x7fc0, v2, vcc_lo
	s_branch .LBB62_580
.LBB62_575:
	s_mov_b32 s21, -1
                                        ; implicit-def: $vgpr2
	s_branch .LBB62_586
.LBB62_576:
	s_or_saveexec_b32 s21, s21
	v_mov_b32_e32 v3, 0x7f800001
	s_xor_b32 exec_lo, exec_lo, s21
	s_cbranch_execz .LBB62_559
.LBB62_577:
	v_cmp_ne_u16_e32 vcc_lo, 0, v2
	v_mov_b32_e32 v3, 0
	s_and_not1_b32 s1, s1, exec_lo
	s_and_b32 s22, vcc_lo, exec_lo
	s_delay_alu instid0(SALU_CYCLE_1)
	s_or_b32 s1, s1, s22
	s_or_b32 exec_lo, exec_lo, s21
	s_and_saveexec_b32 s21, s1
	s_cbranch_execnz .LBB62_560
	s_branch .LBB62_561
.LBB62_578:
	s_mov_b32 s1, -1
                                        ; implicit-def: $vgpr2
	s_branch .LBB62_583
.LBB62_579:
	s_mov_b32 s1, -1
                                        ; implicit-def: $vgpr2
.LBB62_580:
	s_delay_alu instid0(SALU_CYCLE_1)
	s_and_b32 vcc_lo, exec_lo, s1
	s_cbranch_vccz .LBB62_582
; %bb.581:
	s_wait_loadcnt 0x0
	global_load_u8 v2, v[0:1], off
	s_wait_loadcnt 0x0
	v_lshlrev_b32_e32 v2, 24, v2
	s_delay_alu instid0(VALU_DEP_1) | instskip(NEXT) | instid1(VALU_DEP_1)
	v_and_b32_e32 v3, 0x7f000000, v2
	v_clz_i32_u32_e32 v5, v3
	v_add_nc_u32_e32 v7, 0x1000000, v3
	v_cmp_ne_u32_e32 vcc_lo, 0, v3
	s_delay_alu instid0(VALU_DEP_3) | instskip(NEXT) | instid1(VALU_DEP_1)
	v_min_u32_e32 v5, 32, v5
	v_sub_nc_u32_e64 v5, v5, 4 clamp
	s_delay_alu instid0(VALU_DEP_1) | instskip(NEXT) | instid1(VALU_DEP_1)
	v_dual_lshlrev_b32 v6, v5, v3 :: v_dual_lshlrev_b32 v5, 23, v5
	v_lshrrev_b32_e32 v6, 4, v6
	s_delay_alu instid0(VALU_DEP_1) | instskip(NEXT) | instid1(VALU_DEP_1)
	v_dual_sub_nc_u32 v5, v6, v5 :: v_dual_ashrrev_i32 v6, 8, v7
	v_add_nc_u32_e32 v5, 0x3c000000, v5
	s_delay_alu instid0(VALU_DEP_1) | instskip(NEXT) | instid1(VALU_DEP_1)
	v_and_or_b32 v5, 0x7f800000, v6, v5
	v_cndmask_b32_e32 v3, 0, v5, vcc_lo
	s_delay_alu instid0(VALU_DEP_1) | instskip(SKIP_1) | instid1(VALU_DEP_2)
	v_and_or_b32 v2, 0x80000000, v2, v3
	v_bfe_u32 v3, v3, 16, 1
	v_cmp_o_f32_e32 vcc_lo, v2, v2
	s_delay_alu instid0(VALU_DEP_2) | instskip(NEXT) | instid1(VALU_DEP_1)
	v_add3_u32 v3, v2, v3, 0x7fff
	v_lshrrev_b32_e32 v3, 16, v3
	s_delay_alu instid0(VALU_DEP_1)
	v_cndmask_b32_e32 v2, 0x7fc0, v3, vcc_lo
.LBB62_582:
	s_mov_b32 s1, 0
.LBB62_583:
	s_delay_alu instid0(SALU_CYCLE_1)
	s_and_not1_b32 vcc_lo, exec_lo, s1
	s_cbranch_vccnz .LBB62_585
; %bb.584:
	s_wait_loadcnt 0x0
	global_load_u8 v2, v[0:1], off
	s_wait_loadcnt 0x0
	v_lshlrev_b32_e32 v3, 25, v2
	v_lshlrev_b16 v2, 8, v2
	s_delay_alu instid0(VALU_DEP_2) | instskip(NEXT) | instid1(VALU_DEP_2)
	v_cmp_gt_u32_e32 vcc_lo, 0x8000000, v3
	v_and_or_b32 v6, 0x7f00, v2, 0.5
	v_lshrrev_b32_e32 v5, 4, v3
	v_bfe_i32 v2, v2, 0, 16
	s_delay_alu instid0(VALU_DEP_3) | instskip(NEXT) | instid1(VALU_DEP_3)
	v_add_f32_e32 v6, -0.5, v6
	v_or_b32_e32 v5, 0x70000000, v5
	s_delay_alu instid0(VALU_DEP_1) | instskip(NEXT) | instid1(VALU_DEP_1)
	v_mul_f32_e32 v5, 0x7800000, v5
	v_cndmask_b32_e32 v3, v5, v6, vcc_lo
	s_delay_alu instid0(VALU_DEP_1) | instskip(SKIP_1) | instid1(VALU_DEP_2)
	v_and_or_b32 v2, 0x80000000, v2, v3
	v_bfe_u32 v3, v3, 16, 1
	v_cmp_o_f32_e32 vcc_lo, v2, v2
	s_delay_alu instid0(VALU_DEP_2) | instskip(NEXT) | instid1(VALU_DEP_1)
	v_add3_u32 v3, v2, v3, 0x7fff
	v_lshrrev_b32_e32 v3, 16, v3
	s_delay_alu instid0(VALU_DEP_1)
	v_cndmask_b32_e32 v2, 0x7fc0, v3, vcc_lo
.LBB62_585:
	s_mov_b32 s21, 0
	s_mov_b32 s1, -1
.LBB62_586:
	s_and_not1_b32 vcc_lo, exec_lo, s21
	s_cbranch_vccnz .LBB62_599
; %bb.587:
	s_cmp_gt_i32 s0, 14
	s_cbranch_scc0 .LBB62_590
; %bb.588:
	s_cmp_eq_u32 s0, 15
	s_cbranch_scc0 .LBB62_593
; %bb.589:
	s_wait_loadcnt 0x0
	global_load_u16 v2, v[0:1], off
	s_mov_b32 s1, -1
	s_mov_b32 s20, 0
	s_branch .LBB62_594
.LBB62_590:
	s_mov_b32 s21, -1
                                        ; implicit-def: $vgpr2
	s_branch .LBB62_595
.LBB62_591:
	s_or_saveexec_b32 s21, s21
	v_mov_b32_e32 v3, 0x7f800001
	s_xor_b32 exec_lo, exec_lo, s21
	s_cbranch_execz .LBB62_572
.LBB62_592:
	v_cmp_ne_u16_e32 vcc_lo, 0, v2
	v_mov_b32_e32 v3, 0
	s_and_not1_b32 s1, s1, exec_lo
	s_and_b32 s22, vcc_lo, exec_lo
	s_delay_alu instid0(SALU_CYCLE_1)
	s_or_b32 s1, s1, s22
	s_or_b32 exec_lo, exec_lo, s21
	s_and_saveexec_b32 s21, s1
	s_cbranch_execnz .LBB62_573
	s_branch .LBB62_574
.LBB62_593:
	s_mov_b32 s20, -1
                                        ; implicit-def: $vgpr2
.LBB62_594:
	s_mov_b32 s21, 0
.LBB62_595:
	s_delay_alu instid0(SALU_CYCLE_1)
	s_and_b32 vcc_lo, exec_lo, s21
	s_cbranch_vccz .LBB62_599
; %bb.596:
	s_cmp_eq_u32 s0, 11
	s_cbranch_scc0 .LBB62_598
; %bb.597:
	s_wait_loadcnt 0x0
	global_load_u8 v2, v[0:1], off
	s_mov_b32 s20, 0
	s_mov_b32 s1, -1
	s_wait_loadcnt 0x0
	v_cmp_ne_u16_e32 vcc_lo, 0, v2
	v_cndmask_b32_e64 v2, 0, 1.0, vcc_lo
	s_delay_alu instid0(VALU_DEP_1)
	v_lshrrev_b32_e32 v2, 16, v2
	s_branch .LBB62_599
.LBB62_598:
	s_mov_b32 s20, -1
                                        ; implicit-def: $vgpr2
.LBB62_599:
	s_mov_b32 s21, 0
.LBB62_600:
	s_delay_alu instid0(SALU_CYCLE_1)
	s_and_b32 vcc_lo, exec_lo, s21
	s_cbranch_vccz .LBB62_649
; %bb.601:
	s_cmp_lt_i32 s0, 5
	s_cbranch_scc1 .LBB62_606
; %bb.602:
	s_cmp_lt_i32 s0, 8
	s_cbranch_scc1 .LBB62_607
	;; [unrolled: 3-line block ×3, first 2 shown]
; %bb.604:
	s_cmp_gt_i32 s0, 9
	s_cbranch_scc0 .LBB62_609
; %bb.605:
	s_wait_loadcnt 0x0
	global_load_b64 v[2:3], v[0:1], off
	s_mov_b32 s1, 0
	s_wait_loadcnt 0x0
	v_cvt_f32_f64_e32 v2, v[2:3]
	s_delay_alu instid0(VALU_DEP_1) | instskip(SKIP_1) | instid1(VALU_DEP_2)
	v_bfe_u32 v3, v2, 16, 1
	v_cmp_o_f32_e32 vcc_lo, v2, v2
	v_add3_u32 v3, v2, v3, 0x7fff
	s_delay_alu instid0(VALU_DEP_1) | instskip(NEXT) | instid1(VALU_DEP_1)
	v_lshrrev_b32_e32 v3, 16, v3
	v_cndmask_b32_e32 v2, 0x7fc0, v3, vcc_lo
	s_branch .LBB62_610
.LBB62_606:
	s_mov_b32 s1, -1
                                        ; implicit-def: $vgpr2
	s_branch .LBB62_628
.LBB62_607:
	s_mov_b32 s1, -1
                                        ; implicit-def: $vgpr2
	s_branch .LBB62_616
.LBB62_608:
	s_mov_b32 s1, -1
                                        ; implicit-def: $vgpr2
	s_branch .LBB62_613
.LBB62_609:
	s_mov_b32 s1, -1
                                        ; implicit-def: $vgpr2
.LBB62_610:
	s_delay_alu instid0(SALU_CYCLE_1)
	s_and_not1_b32 vcc_lo, exec_lo, s1
	s_cbranch_vccnz .LBB62_612
; %bb.611:
	s_wait_loadcnt 0x0
	global_load_b32 v2, v[0:1], off
	s_wait_loadcnt 0x0
	v_bfe_u32 v3, v2, 16, 1
	v_cmp_o_f32_e32 vcc_lo, v2, v2
	s_delay_alu instid0(VALU_DEP_2) | instskip(NEXT) | instid1(VALU_DEP_1)
	v_add3_u32 v3, v2, v3, 0x7fff
	v_lshrrev_b32_e32 v3, 16, v3
	s_delay_alu instid0(VALU_DEP_1)
	v_cndmask_b32_e32 v2, 0x7fc0, v3, vcc_lo
.LBB62_612:
	s_mov_b32 s1, 0
.LBB62_613:
	s_delay_alu instid0(SALU_CYCLE_1)
	s_and_not1_b32 vcc_lo, exec_lo, s1
	s_cbranch_vccnz .LBB62_615
; %bb.614:
	s_wait_loadcnt 0x0
	global_load_b32 v2, v[0:1], off
	s_wait_loadcnt 0x0
	v_cvt_f32_f16_e32 v3, v2
	v_cmp_o_f16_e32 vcc_lo, v2, v2
	s_delay_alu instid0(VALU_DEP_2) | instskip(NEXT) | instid1(VALU_DEP_1)
	v_bfe_u32 v5, v3, 16, 1
	v_add3_u32 v3, v3, v5, 0x7fff
	s_delay_alu instid0(VALU_DEP_1) | instskip(NEXT) | instid1(VALU_DEP_1)
	v_lshrrev_b32_e32 v3, 16, v3
	v_cndmask_b32_e32 v2, 0x7fc0, v3, vcc_lo
.LBB62_615:
	s_mov_b32 s1, 0
.LBB62_616:
	s_delay_alu instid0(SALU_CYCLE_1)
	s_and_not1_b32 vcc_lo, exec_lo, s1
	s_cbranch_vccnz .LBB62_627
; %bb.617:
	s_cmp_lt_i32 s0, 6
	s_cbranch_scc1 .LBB62_620
; %bb.618:
	s_cmp_gt_i32 s0, 6
	s_cbranch_scc0 .LBB62_621
; %bb.619:
	s_wait_loadcnt 0x0
	global_load_b64 v[2:3], v[0:1], off
	s_mov_b32 s1, 0
	s_wait_loadcnt 0x0
	v_cvt_f32_f64_e32 v2, v[2:3]
	s_delay_alu instid0(VALU_DEP_1) | instskip(SKIP_1) | instid1(VALU_DEP_2)
	v_bfe_u32 v3, v2, 16, 1
	v_cmp_o_f32_e32 vcc_lo, v2, v2
	v_add3_u32 v3, v2, v3, 0x7fff
	s_delay_alu instid0(VALU_DEP_1) | instskip(NEXT) | instid1(VALU_DEP_1)
	v_lshrrev_b32_e32 v3, 16, v3
	v_cndmask_b32_e32 v2, 0x7fc0, v3, vcc_lo
	s_branch .LBB62_622
.LBB62_620:
	s_mov_b32 s1, -1
                                        ; implicit-def: $vgpr2
	s_branch .LBB62_625
.LBB62_621:
	s_mov_b32 s1, -1
                                        ; implicit-def: $vgpr2
.LBB62_622:
	s_delay_alu instid0(SALU_CYCLE_1)
	s_and_not1_b32 vcc_lo, exec_lo, s1
	s_cbranch_vccnz .LBB62_624
; %bb.623:
	s_wait_loadcnt 0x0
	global_load_b32 v2, v[0:1], off
	s_wait_loadcnt 0x0
	v_bfe_u32 v3, v2, 16, 1
	v_cmp_o_f32_e32 vcc_lo, v2, v2
	s_delay_alu instid0(VALU_DEP_2) | instskip(NEXT) | instid1(VALU_DEP_1)
	v_add3_u32 v3, v2, v3, 0x7fff
	v_lshrrev_b32_e32 v3, 16, v3
	s_delay_alu instid0(VALU_DEP_1)
	v_cndmask_b32_e32 v2, 0x7fc0, v3, vcc_lo
.LBB62_624:
	s_mov_b32 s1, 0
.LBB62_625:
	s_delay_alu instid0(SALU_CYCLE_1)
	s_and_not1_b32 vcc_lo, exec_lo, s1
	s_cbranch_vccnz .LBB62_627
; %bb.626:
	s_wait_loadcnt 0x0
	global_load_u16 v2, v[0:1], off
	s_wait_loadcnt 0x0
	v_cvt_f32_f16_e32 v3, v2
	v_cmp_o_f16_e32 vcc_lo, v2, v2
	s_delay_alu instid0(VALU_DEP_2) | instskip(NEXT) | instid1(VALU_DEP_1)
	v_bfe_u32 v5, v3, 16, 1
	v_add3_u32 v3, v3, v5, 0x7fff
	s_delay_alu instid0(VALU_DEP_1) | instskip(NEXT) | instid1(VALU_DEP_1)
	v_lshrrev_b32_e32 v3, 16, v3
	v_cndmask_b32_e32 v2, 0x7fc0, v3, vcc_lo
.LBB62_627:
	s_mov_b32 s1, 0
.LBB62_628:
	s_delay_alu instid0(SALU_CYCLE_1)
	s_and_not1_b32 vcc_lo, exec_lo, s1
	s_cbranch_vccnz .LBB62_648
; %bb.629:
	s_cmp_lt_i32 s0, 2
	s_cbranch_scc1 .LBB62_633
; %bb.630:
	s_cmp_lt_i32 s0, 3
	s_cbranch_scc1 .LBB62_634
; %bb.631:
	s_cmp_gt_i32 s0, 3
	s_cbranch_scc0 .LBB62_635
; %bb.632:
	s_wait_loadcnt 0x0
	global_load_b64 v[2:3], v[0:1], off
	s_mov_b32 s1, 0
	s_wait_loadcnt 0x0
	v_xor_b32_e32 v5, v2, v3
	v_cls_i32_e32 v6, v3
	s_delay_alu instid0(VALU_DEP_2) | instskip(NEXT) | instid1(VALU_DEP_1)
	v_ashrrev_i32_e32 v5, 31, v5
	v_add_nc_u32_e32 v5, 32, v5
	s_delay_alu instid0(VALU_DEP_1) | instskip(NEXT) | instid1(VALU_DEP_1)
	v_add_min_u32_e64 v5, v6, -1, v5
	v_lshlrev_b64_e32 v[2:3], v5, v[2:3]
	s_delay_alu instid0(VALU_DEP_1) | instskip(NEXT) | instid1(VALU_DEP_1)
	v_min_u32_e32 v2, 1, v2
	v_dual_sub_nc_u32 v3, 32, v5 :: v_dual_bitop2_b32 v2, v3, v2 bitop3:0x54
	s_delay_alu instid0(VALU_DEP_1) | instskip(NEXT) | instid1(VALU_DEP_1)
	v_cvt_f32_i32_e32 v2, v2
	v_ldexp_f32 v2, v2, v3
	s_delay_alu instid0(VALU_DEP_1) | instskip(NEXT) | instid1(VALU_DEP_1)
	v_bfe_u32 v3, v2, 16, 1
	v_add3_u32 v2, v2, v3, 0x7fff
	s_delay_alu instid0(VALU_DEP_1)
	v_lshrrev_b32_e32 v2, 16, v2
	s_branch .LBB62_636
.LBB62_633:
	s_mov_b32 s1, -1
                                        ; implicit-def: $vgpr2
	s_branch .LBB62_642
.LBB62_634:
	s_mov_b32 s1, -1
                                        ; implicit-def: $vgpr2
	s_branch .LBB62_639
.LBB62_635:
	s_mov_b32 s1, -1
                                        ; implicit-def: $vgpr2
.LBB62_636:
	s_delay_alu instid0(SALU_CYCLE_1)
	s_and_not1_b32 vcc_lo, exec_lo, s1
	s_cbranch_vccnz .LBB62_638
; %bb.637:
	s_wait_loadcnt 0x0
	global_load_b32 v2, v[0:1], off
	s_wait_loadcnt 0x0
	v_cvt_f32_i32_e32 v2, v2
	s_delay_alu instid0(VALU_DEP_1) | instskip(NEXT) | instid1(VALU_DEP_1)
	v_bfe_u32 v3, v2, 16, 1
	v_add3_u32 v2, v2, v3, 0x7fff
	s_delay_alu instid0(VALU_DEP_1)
	v_lshrrev_b32_e32 v2, 16, v2
.LBB62_638:
	s_mov_b32 s1, 0
.LBB62_639:
	s_delay_alu instid0(SALU_CYCLE_1)
	s_and_not1_b32 vcc_lo, exec_lo, s1
	s_cbranch_vccnz .LBB62_641
; %bb.640:
	s_wait_loadcnt 0x0
	global_load_i16 v2, v[0:1], off
	s_wait_loadcnt 0x0
	v_cvt_f32_i32_e32 v2, v2
	s_delay_alu instid0(VALU_DEP_1) | instskip(NEXT) | instid1(VALU_DEP_1)
	v_bfe_u32 v3, v2, 16, 1
	v_add3_u32 v2, v2, v3, 0x7fff
	s_delay_alu instid0(VALU_DEP_1)
	v_lshrrev_b32_e32 v2, 16, v2
.LBB62_641:
	s_mov_b32 s1, 0
.LBB62_642:
	s_delay_alu instid0(SALU_CYCLE_1)
	s_and_not1_b32 vcc_lo, exec_lo, s1
	s_cbranch_vccnz .LBB62_648
; %bb.643:
	s_cmp_gt_i32 s0, 0
	s_mov_b32 s0, 0
	s_cbranch_scc0 .LBB62_645
; %bb.644:
	s_wait_loadcnt 0x0
	global_load_i8 v2, v[0:1], off
	s_wait_loadcnt 0x0
	v_cvt_f32_i32_e32 v2, v2
	s_delay_alu instid0(VALU_DEP_1) | instskip(NEXT) | instid1(VALU_DEP_1)
	v_bfe_u32 v3, v2, 16, 1
	v_add3_u32 v2, v2, v3, 0x7fff
	s_delay_alu instid0(VALU_DEP_1)
	v_lshrrev_b32_e32 v2, 16, v2
	s_branch .LBB62_646
.LBB62_645:
	s_mov_b32 s0, -1
                                        ; implicit-def: $vgpr2
.LBB62_646:
	s_delay_alu instid0(SALU_CYCLE_1)
	s_and_not1_b32 vcc_lo, exec_lo, s0
	s_cbranch_vccnz .LBB62_648
; %bb.647:
	global_load_u8 v0, v[0:1], off
	s_wait_loadcnt 0x0
	v_cvt_f32_ubyte0_e32 v0, v0
	s_delay_alu instid0(VALU_DEP_1) | instskip(NEXT) | instid1(VALU_DEP_1)
	v_bfe_u32 v1, v0, 16, 1
	v_add3_u32 v0, v0, v1, 0x7fff
	s_delay_alu instid0(VALU_DEP_1)
	v_lshrrev_b32_e32 v2, 16, v0
.LBB62_648:
	s_mov_b32 s1, -1
.LBB62_649:
	s_delay_alu instid0(SALU_CYCLE_1)
	s_and_not1_b32 vcc_lo, exec_lo, s1
	s_cbranch_vccnz .LBB62_657
; %bb.650:
	s_wait_xcnt 0x0
	v_mul_lo_u32 v0, v4, s2
	s_and_b32 s21, s8, 0xff
	s_wait_loadcnt 0x0
	v_lshlrev_b32_e32 v2, 16, v2
	s_cmp_lt_i32 s21, 11
	s_delay_alu instid0(VALU_DEP_1) | instskip(NEXT) | instid1(VALU_DEP_3)
	v_cmp_eq_f32_e64 s0, 0x7f800000, v2
	v_ashrrev_i32_e32 v1, 31, v0
	s_delay_alu instid0(VALU_DEP_1)
	v_add_nc_u64_e32 v[0:1], s[4:5], v[0:1]
	s_cbranch_scc1 .LBB62_658
; %bb.651:
	s_and_b32 s22, 0xffff, s21
	s_delay_alu instid0(SALU_CYCLE_1)
	s_cmp_gt_i32 s22, 25
	s_cbranch_scc0 .LBB62_659
; %bb.652:
	s_cmp_gt_i32 s22, 28
	s_cbranch_scc0 .LBB62_660
; %bb.653:
	;; [unrolled: 3-line block ×4, first 2 shown]
	s_mov_b32 s24, 0
	s_mov_b32 s1, -1
	s_cmp_eq_u32 s22, 46
	s_mov_b32 s23, 0
	s_cbranch_scc0 .LBB62_663
; %bb.656:
	v_cndmask_b32_e64 v2, 0, 1.0, s0
	s_mov_b32 s23, -1
	s_mov_b32 s1, 0
	s_delay_alu instid0(VALU_DEP_1) | instskip(NEXT) | instid1(VALU_DEP_1)
	v_bfe_u32 v3, v2, 16, 1
	v_add3_u32 v2, v2, v3, 0x7fff
	s_delay_alu instid0(VALU_DEP_1)
	v_lshrrev_b32_e32 v2, 16, v2
	global_store_b32 v[0:1], v2, off
	s_branch .LBB62_663
.LBB62_657:
	s_mov_b32 s21, 0
	s_mov_b32 s1, s17
	s_branch .LBB62_774
.LBB62_658:
	s_mov_b32 s22, -1
	s_mov_b32 s23, 0
	s_mov_b32 s1, s17
	s_branch .LBB62_732
.LBB62_659:
	s_mov_b32 s24, -1
	s_mov_b32 s23, 0
	s_mov_b32 s1, s17
	s_branch .LBB62_690
.LBB62_660:
	s_mov_b32 s24, -1
	s_mov_b32 s23, 0
	s_mov_b32 s1, s17
	s_branch .LBB62_673
.LBB62_661:
	s_mov_b32 s24, -1
	s_mov_b32 s23, 0
	s_mov_b32 s1, s17
	s_branch .LBB62_669
.LBB62_662:
	s_mov_b32 s24, -1
	s_mov_b32 s23, 0
	s_mov_b32 s1, s17
.LBB62_663:
	s_and_b32 vcc_lo, exec_lo, s24
	s_cbranch_vccz .LBB62_668
; %bb.664:
	s_cmp_eq_u32 s22, 44
	s_mov_b32 s1, -1
	s_cbranch_scc0 .LBB62_668
; %bb.665:
	v_cndmask_b32_e64 v5, 0, 1.0, s0
	s_mov_b32 s23, exec_lo
	s_wait_xcnt 0x0
	s_delay_alu instid0(VALU_DEP_1) | instskip(NEXT) | instid1(VALU_DEP_1)
	v_dual_mov_b32 v3, 0xff :: v_dual_lshrrev_b32 v2, 23, v5
	v_cmpx_ne_u32_e32 0xff, v2
; %bb.666:
	v_and_b32_e32 v3, 0x400000, v5
	v_and_or_b32 v5, 0x3fffff, v5, v2
	s_delay_alu instid0(VALU_DEP_2) | instskip(NEXT) | instid1(VALU_DEP_2)
	v_cmp_ne_u32_e32 vcc_lo, 0, v3
	v_cmp_ne_u32_e64 s1, 0, v5
	s_and_b32 s1, vcc_lo, s1
	s_delay_alu instid0(SALU_CYCLE_1) | instskip(NEXT) | instid1(VALU_DEP_1)
	v_cndmask_b32_e64 v3, 0, 1, s1
	v_add_nc_u32_e32 v3, v2, v3
; %bb.667:
	s_or_b32 exec_lo, exec_lo, s23
	s_mov_b32 s23, -1
	s_mov_b32 s1, 0
	global_store_b8 v[0:1], v3, off
.LBB62_668:
	s_mov_b32 s24, 0
.LBB62_669:
	s_delay_alu instid0(SALU_CYCLE_1)
	s_and_b32 vcc_lo, exec_lo, s24
	s_cbranch_vccz .LBB62_672
; %bb.670:
	s_cmp_eq_u32 s22, 29
	s_mov_b32 s1, -1
	s_cbranch_scc0 .LBB62_672
; %bb.671:
	s_mov_b32 s1, 0
	s_wait_xcnt 0x0
	v_cndmask_b32_e64 v2, 0, 1, s0
	v_mov_b32_e32 v3, s1
	s_mov_b32 s23, -1
	s_mov_b32 s24, 0
	global_store_b64 v[0:1], v[2:3], off
	s_branch .LBB62_673
.LBB62_672:
	s_mov_b32 s24, 0
.LBB62_673:
	s_delay_alu instid0(SALU_CYCLE_1)
	s_and_b32 vcc_lo, exec_lo, s24
	s_cbranch_vccz .LBB62_689
; %bb.674:
	s_cmp_lt_i32 s22, 27
	s_mov_b32 s23, -1
	s_cbranch_scc1 .LBB62_680
; %bb.675:
	s_cmp_gt_i32 s22, 27
	s_cbranch_scc0 .LBB62_677
; %bb.676:
	s_wait_xcnt 0x0
	v_cndmask_b32_e64 v2, 0, 1, s0
	s_mov_b32 s23, 0
	global_store_b32 v[0:1], v2, off
.LBB62_677:
	s_and_not1_b32 vcc_lo, exec_lo, s23
	s_cbranch_vccnz .LBB62_679
; %bb.678:
	s_wait_xcnt 0x0
	v_cndmask_b32_e64 v2, 0, 1, s0
	global_store_b16 v[0:1], v2, off
.LBB62_679:
	s_mov_b32 s23, 0
.LBB62_680:
	s_delay_alu instid0(SALU_CYCLE_1)
	s_and_not1_b32 vcc_lo, exec_lo, s23
	s_cbranch_vccnz .LBB62_688
; %bb.681:
	s_wait_xcnt 0x0
	v_cndmask_b32_e64 v3, 0, 1.0, s0
	v_mov_b32_e32 v5, 0x80
	s_mov_b32 s23, exec_lo
	s_delay_alu instid0(VALU_DEP_2)
	v_cmpx_gt_u32_e32 0x43800000, v3
	s_cbranch_execz .LBB62_687
; %bb.682:
	s_mov_b32 s24, 0
	s_mov_b32 s25, exec_lo
                                        ; implicit-def: $vgpr2
	v_cmpx_lt_u32_e32 0x3bffffff, v3
	s_xor_b32 s25, exec_lo, s25
	s_cbranch_execz .LBB62_789
; %bb.683:
	v_bfe_u32 v2, v3, 20, 1
	s_mov_b32 s24, exec_lo
	s_delay_alu instid0(VALU_DEP_1) | instskip(NEXT) | instid1(VALU_DEP_1)
	v_add3_u32 v2, v3, v2, 0x487ffff
                                        ; implicit-def: $vgpr3
	v_lshrrev_b32_e32 v2, 20, v2
	s_and_not1_saveexec_b32 s25, s25
	s_cbranch_execnz .LBB62_790
.LBB62_684:
	s_or_b32 exec_lo, exec_lo, s25
	v_mov_b32_e32 v5, 0
	s_and_saveexec_b32 s25, s24
.LBB62_685:
	v_mov_b32_e32 v5, v2
.LBB62_686:
	s_or_b32 exec_lo, exec_lo, s25
.LBB62_687:
	s_delay_alu instid0(SALU_CYCLE_1)
	s_or_b32 exec_lo, exec_lo, s23
	global_store_b8 v[0:1], v5, off
.LBB62_688:
	s_mov_b32 s23, -1
.LBB62_689:
	s_mov_b32 s24, 0
.LBB62_690:
	s_delay_alu instid0(SALU_CYCLE_1)
	s_and_b32 vcc_lo, exec_lo, s24
	s_cbranch_vccz .LBB62_731
; %bb.691:
	s_cmp_gt_i32 s22, 22
	s_mov_b32 s24, -1
	s_cbranch_scc0 .LBB62_723
; %bb.692:
	s_cmp_lt_i32 s22, 24
	s_mov_b32 s23, -1
	s_cbranch_scc1 .LBB62_712
; %bb.693:
	s_cmp_gt_i32 s22, 24
	s_cbranch_scc0 .LBB62_701
; %bb.694:
	s_wait_xcnt 0x0
	v_cndmask_b32_e64 v3, 0, 1.0, s0
	v_mov_b32_e32 v5, 0x80
	s_mov_b32 s23, exec_lo
	s_delay_alu instid0(VALU_DEP_2)
	v_cmpx_gt_u32_e32 0x47800000, v3
	s_cbranch_execz .LBB62_700
; %bb.695:
	s_mov_b32 s24, 0
	s_mov_b32 s25, exec_lo
                                        ; implicit-def: $vgpr2
	v_cmpx_lt_u32_e32 0x37ffffff, v3
	s_xor_b32 s25, exec_lo, s25
	s_cbranch_execz .LBB62_792
; %bb.696:
	v_bfe_u32 v2, v3, 21, 1
	s_mov_b32 s24, exec_lo
	s_delay_alu instid0(VALU_DEP_1) | instskip(NEXT) | instid1(VALU_DEP_1)
	v_add3_u32 v2, v3, v2, 0x88fffff
                                        ; implicit-def: $vgpr3
	v_lshrrev_b32_e32 v2, 21, v2
	s_and_not1_saveexec_b32 s25, s25
	s_cbranch_execnz .LBB62_793
.LBB62_697:
	s_or_b32 exec_lo, exec_lo, s25
	v_mov_b32_e32 v5, 0
	s_and_saveexec_b32 s25, s24
.LBB62_698:
	v_mov_b32_e32 v5, v2
.LBB62_699:
	s_or_b32 exec_lo, exec_lo, s25
.LBB62_700:
	s_delay_alu instid0(SALU_CYCLE_1)
	s_or_b32 exec_lo, exec_lo, s23
	s_mov_b32 s23, 0
	global_store_b8 v[0:1], v5, off
.LBB62_701:
	s_and_b32 vcc_lo, exec_lo, s23
	s_cbranch_vccz .LBB62_711
; %bb.702:
	s_wait_xcnt 0x0
	v_cndmask_b32_e64 v3, 0, 1.0, s0
	s_mov_b32 s23, exec_lo
                                        ; implicit-def: $vgpr2
	s_delay_alu instid0(VALU_DEP_1)
	v_cmpx_gt_u32_e32 0x43f00000, v3
	s_xor_b32 s23, exec_lo, s23
	s_cbranch_execz .LBB62_708
; %bb.703:
	s_mov_b32 s24, exec_lo
                                        ; implicit-def: $vgpr2
	v_cmpx_lt_u32_e32 0x3c7fffff, v3
	s_xor_b32 s24, exec_lo, s24
; %bb.704:
	v_bfe_u32 v2, v3, 20, 1
	s_delay_alu instid0(VALU_DEP_1) | instskip(NEXT) | instid1(VALU_DEP_1)
	v_add3_u32 v2, v3, v2, 0x407ffff
	v_and_b32_e32 v3, 0xff00000, v2
	v_lshrrev_b32_e32 v2, 20, v2
	s_delay_alu instid0(VALU_DEP_2) | instskip(NEXT) | instid1(VALU_DEP_2)
	v_cmp_ne_u32_e32 vcc_lo, 0x7f00000, v3
                                        ; implicit-def: $vgpr3
	v_cndmask_b32_e32 v2, 0x7e, v2, vcc_lo
; %bb.705:
	s_and_not1_saveexec_b32 s24, s24
; %bb.706:
	v_add_f32_e32 v2, 0x46800000, v3
; %bb.707:
	s_or_b32 exec_lo, exec_lo, s24
                                        ; implicit-def: $vgpr3
.LBB62_708:
	s_and_not1_saveexec_b32 s23, s23
; %bb.709:
	v_mov_b32_e32 v2, 0x7f
	v_cmp_lt_u32_e32 vcc_lo, 0x7f800000, v3
	s_delay_alu instid0(VALU_DEP_2)
	v_cndmask_b32_e32 v2, 0x7e, v2, vcc_lo
; %bb.710:
	s_or_b32 exec_lo, exec_lo, s23
	global_store_b8 v[0:1], v2, off
.LBB62_711:
	s_mov_b32 s23, 0
.LBB62_712:
	s_delay_alu instid0(SALU_CYCLE_1)
	s_and_not1_b32 vcc_lo, exec_lo, s23
	s_cbranch_vccnz .LBB62_722
; %bb.713:
	s_wait_xcnt 0x0
	v_cndmask_b32_e64 v3, 0, 1.0, s0
	s_mov_b32 s23, exec_lo
                                        ; implicit-def: $vgpr2
	s_delay_alu instid0(VALU_DEP_1)
	v_cmpx_gt_u32_e32 0x47800000, v3
	s_xor_b32 s23, exec_lo, s23
	s_cbranch_execz .LBB62_719
; %bb.714:
	s_mov_b32 s24, exec_lo
                                        ; implicit-def: $vgpr2
	v_cmpx_lt_u32_e32 0x387fffff, v3
	s_xor_b32 s24, exec_lo, s24
; %bb.715:
	v_bfe_u32 v2, v3, 21, 1
	s_delay_alu instid0(VALU_DEP_1) | instskip(NEXT) | instid1(VALU_DEP_1)
	v_add3_u32 v2, v3, v2, 0x80fffff
                                        ; implicit-def: $vgpr3
	v_lshrrev_b32_e32 v2, 21, v2
; %bb.716:
	s_and_not1_saveexec_b32 s24, s24
; %bb.717:
	v_add_f32_e32 v2, 0x43000000, v3
; %bb.718:
	s_or_b32 exec_lo, exec_lo, s24
                                        ; implicit-def: $vgpr3
.LBB62_719:
	s_and_not1_saveexec_b32 s23, s23
; %bb.720:
	v_mov_b32_e32 v2, 0x7f
	v_cmp_lt_u32_e32 vcc_lo, 0x7f800000, v3
	s_delay_alu instid0(VALU_DEP_2)
	v_cndmask_b32_e32 v2, 0x7c, v2, vcc_lo
; %bb.721:
	s_or_b32 exec_lo, exec_lo, s23
	global_store_b8 v[0:1], v2, off
.LBB62_722:
	s_mov_b32 s24, 0
	s_mov_b32 s23, -1
.LBB62_723:
	s_and_not1_b32 vcc_lo, exec_lo, s24
	s_cbranch_vccnz .LBB62_731
; %bb.724:
	s_cmp_gt_i32 s22, 14
	s_mov_b32 s24, -1
	s_cbranch_scc0 .LBB62_728
; %bb.725:
	s_cmp_eq_u32 s22, 15
	s_mov_b32 s1, -1
	s_cbranch_scc0 .LBB62_727
; %bb.726:
	s_wait_xcnt 0x0
	v_cndmask_b32_e64 v2, 0, 1.0, s0
	s_mov_b32 s23, -1
	s_mov_b32 s1, 0
	s_delay_alu instid0(VALU_DEP_1) | instskip(NEXT) | instid1(VALU_DEP_1)
	v_bfe_u32 v3, v2, 16, 1
	v_add3_u32 v2, v2, v3, 0x7fff
	global_store_d16_hi_b16 v[0:1], v2, off
.LBB62_727:
	s_mov_b32 s24, 0
.LBB62_728:
	s_delay_alu instid0(SALU_CYCLE_1)
	s_and_b32 vcc_lo, exec_lo, s24
	s_cbranch_vccz .LBB62_731
; %bb.729:
	s_cmp_eq_u32 s22, 11
	s_mov_b32 s1, -1
	s_cbranch_scc0 .LBB62_731
; %bb.730:
	s_wait_xcnt 0x0
	v_cndmask_b32_e64 v2, 0, 1, s0
	s_mov_b32 s23, -1
	s_mov_b32 s1, 0
	global_store_b8 v[0:1], v2, off
.LBB62_731:
	s_mov_b32 s22, 0
.LBB62_732:
	s_delay_alu instid0(SALU_CYCLE_1)
	s_and_b32 vcc_lo, exec_lo, s22
	s_cbranch_vccz .LBB62_771
; %bb.733:
	s_and_b32 s21, 0xffff, s21
	s_mov_b32 s22, -1
	s_cmp_lt_i32 s21, 5
	s_cbranch_scc1 .LBB62_754
; %bb.734:
	s_cmp_lt_i32 s21, 8
	s_cbranch_scc1 .LBB62_744
; %bb.735:
	;; [unrolled: 3-line block ×3, first 2 shown]
	s_cmp_gt_i32 s21, 9
	s_cbranch_scc0 .LBB62_738
; %bb.737:
	s_wait_xcnt 0x0
	v_cndmask_b32_e64 v2, 0, 1, s0
	v_mov_b32_e32 v8, 0
	s_mov_b32 s22, 0
	s_delay_alu instid0(VALU_DEP_2) | instskip(NEXT) | instid1(VALU_DEP_2)
	v_cvt_f64_u32_e32 v[6:7], v2
	v_mov_b32_e32 v9, v8
	global_store_b128 v[0:1], v[6:9], off
.LBB62_738:
	s_and_not1_b32 vcc_lo, exec_lo, s22
	s_cbranch_vccnz .LBB62_740
; %bb.739:
	s_wait_xcnt 0x0
	v_cndmask_b32_e64 v2, 0, 1.0, s0
	v_mov_b32_e32 v3, 0
	global_store_b64 v[0:1], v[2:3], off
.LBB62_740:
	s_mov_b32 s22, 0
.LBB62_741:
	s_delay_alu instid0(SALU_CYCLE_1)
	s_and_not1_b32 vcc_lo, exec_lo, s22
	s_cbranch_vccnz .LBB62_743
; %bb.742:
	s_wait_xcnt 0x0
	v_cndmask_b32_e64 v2, 0, 1.0, s0
	s_delay_alu instid0(VALU_DEP_1) | instskip(NEXT) | instid1(VALU_DEP_1)
	v_cvt_f16_f32_e32 v2, v2
	v_and_b32_e32 v2, 0xffff, v2
	global_store_b32 v[0:1], v2, off
.LBB62_743:
	s_mov_b32 s22, 0
.LBB62_744:
	s_delay_alu instid0(SALU_CYCLE_1)
	s_and_not1_b32 vcc_lo, exec_lo, s22
	s_cbranch_vccnz .LBB62_753
; %bb.745:
	s_cmp_lt_i32 s21, 6
	s_mov_b32 s22, -1
	s_cbranch_scc1 .LBB62_751
; %bb.746:
	s_cmp_gt_i32 s21, 6
	s_cbranch_scc0 .LBB62_748
; %bb.747:
	s_wait_xcnt 0x0
	v_cndmask_b32_e64 v2, 0, 1, s0
	s_mov_b32 s22, 0
	s_delay_alu instid0(VALU_DEP_1)
	v_cvt_f64_u32_e32 v[2:3], v2
	global_store_b64 v[0:1], v[2:3], off
.LBB62_748:
	s_and_not1_b32 vcc_lo, exec_lo, s22
	s_cbranch_vccnz .LBB62_750
; %bb.749:
	s_wait_xcnt 0x0
	v_cndmask_b32_e64 v2, 0, 1.0, s0
	global_store_b32 v[0:1], v2, off
.LBB62_750:
	s_mov_b32 s22, 0
.LBB62_751:
	s_delay_alu instid0(SALU_CYCLE_1)
	s_and_not1_b32 vcc_lo, exec_lo, s22
	s_cbranch_vccnz .LBB62_753
; %bb.752:
	s_wait_xcnt 0x0
	v_cndmask_b32_e64 v2, 0, 1.0, s0
	s_delay_alu instid0(VALU_DEP_1)
	v_cvt_f16_f32_e32 v2, v2
	global_store_b16 v[0:1], v2, off
.LBB62_753:
	s_mov_b32 s22, 0
.LBB62_754:
	s_delay_alu instid0(SALU_CYCLE_1)
	s_and_not1_b32 vcc_lo, exec_lo, s22
	s_cbranch_vccnz .LBB62_770
; %bb.755:
	s_cmp_lt_i32 s21, 2
	s_mov_b32 s22, -1
	s_cbranch_scc1 .LBB62_765
; %bb.756:
	s_cmp_lt_i32 s21, 3
	s_cbranch_scc1 .LBB62_762
; %bb.757:
	s_cmp_gt_i32 s21, 3
	s_cbranch_scc0 .LBB62_759
; %bb.758:
	s_mov_b32 s22, 0
	s_wait_xcnt 0x0
	v_cndmask_b32_e64 v2, 0, 1, s0
	v_mov_b32_e32 v3, s22
	global_store_b64 v[0:1], v[2:3], off
.LBB62_759:
	s_and_not1_b32 vcc_lo, exec_lo, s22
	s_cbranch_vccnz .LBB62_761
; %bb.760:
	s_wait_xcnt 0x0
	v_cndmask_b32_e64 v2, 0, 1, s0
	global_store_b32 v[0:1], v2, off
.LBB62_761:
	s_mov_b32 s22, 0
.LBB62_762:
	s_delay_alu instid0(SALU_CYCLE_1)
	s_and_not1_b32 vcc_lo, exec_lo, s22
	s_cbranch_vccnz .LBB62_764
; %bb.763:
	s_wait_xcnt 0x0
	v_cndmask_b32_e64 v2, 0, 1, s0
	global_store_b16 v[0:1], v2, off
.LBB62_764:
	s_mov_b32 s22, 0
.LBB62_765:
	s_delay_alu instid0(SALU_CYCLE_1)
	s_and_not1_b32 vcc_lo, exec_lo, s22
	s_cbranch_vccnz .LBB62_770
; %bb.766:
	s_wait_xcnt 0x0
	v_cndmask_b32_e64 v2, 0, 1, s0
	s_cmp_gt_i32 s21, 0
	s_mov_b32 s0, -1
	s_cbranch_scc0 .LBB62_768
; %bb.767:
	s_mov_b32 s0, 0
	global_store_b8 v[0:1], v2, off
.LBB62_768:
	s_and_not1_b32 vcc_lo, exec_lo, s0
	s_cbranch_vccnz .LBB62_770
; %bb.769:
	global_store_b8 v[0:1], v2, off
.LBB62_770:
	s_mov_b32 s23, -1
.LBB62_771:
	s_delay_alu instid0(SALU_CYCLE_1)
	s_and_not1_b32 vcc_lo, exec_lo, s23
	s_cbranch_vccnz .LBB62_773
; %bb.772:
	v_add_nc_u32_e32 v4, 0x80, v4
	s_mov_b32 s21, -1
	s_branch .LBB62_775
.LBB62_773:
	s_mov_b32 s21, 0
.LBB62_774:
                                        ; implicit-def: $vgpr4
.LBB62_775:
	s_and_not1_b32 s0, s17, exec_lo
	s_and_b32 s1, s1, exec_lo
	s_and_not1_b32 s22, s16, exec_lo
	s_and_b32 s20, s20, exec_lo
	s_or_b32 s1, s0, s1
	s_or_b32 s0, s22, s20
	s_or_not1_b32 s20, s21, exec_lo
.LBB62_776:
	s_wait_xcnt 0x0
	s_or_b32 exec_lo, exec_lo, s19
	s_mov_b32 s21, 0
	s_mov_b32 s22, 0
	;; [unrolled: 1-line block ×3, first 2 shown]
                                        ; implicit-def: $vgpr0_vgpr1
                                        ; implicit-def: $vgpr2
	s_and_saveexec_b32 s19, s20
	s_cbranch_execz .LBB62_861
; %bb.777:
	v_cmp_gt_i32_e32 vcc_lo, s13, v4
	s_mov_b32 s20, 0
	s_mov_b32 s21, s0
	;; [unrolled: 1-line block ×3, first 2 shown]
                                        ; implicit-def: $vgpr0_vgpr1
                                        ; implicit-def: $vgpr2
	s_and_saveexec_b32 s13, vcc_lo
	s_cbranch_execz .LBB62_860
; %bb.778:
	v_mul_lo_u32 v0, v4, s3
	s_and_b32 s20, 0xffff, s10
	s_delay_alu instid0(SALU_CYCLE_1) | instskip(NEXT) | instid1(VALU_DEP_1)
	s_cmp_lt_i32 s20, 11
	v_ashrrev_i32_e32 v1, 31, v0
	s_delay_alu instid0(VALU_DEP_1)
	v_add_nc_u64_e32 v[0:1], s[6:7], v[0:1]
	s_cbranch_scc1 .LBB62_785
; %bb.779:
	s_cmp_gt_i32 s20, 25
	s_cbranch_scc0 .LBB62_786
; %bb.780:
	s_cmp_gt_i32 s20, 28
	s_cbranch_scc0 .LBB62_787
; %bb.781:
	s_cmp_gt_i32 s20, 43
	s_cbranch_scc0 .LBB62_788
; %bb.782:
	s_cmp_gt_i32 s20, 45
	s_cbranch_scc0 .LBB62_791
; %bb.783:
	s_cmp_eq_u32 s20, 46
	s_cbranch_scc0 .LBB62_794
; %bb.784:
	s_wait_loadcnt 0x0
	global_load_b32 v2, v[0:1], off
	s_mov_b32 s21, 0
	s_mov_b32 s23, -1
	s_branch .LBB62_796
.LBB62_785:
	s_mov_b32 s20, -1
	s_mov_b32 s21, s0
                                        ; implicit-def: $vgpr2
	s_branch .LBB62_859
.LBB62_786:
	s_mov_b32 s24, -1
	s_mov_b32 s21, s0
                                        ; implicit-def: $vgpr2
	s_branch .LBB62_825
.LBB62_787:
	s_mov_b32 s24, -1
	s_mov_b32 s21, s0
                                        ; implicit-def: $vgpr2
	s_branch .LBB62_806
.LBB62_788:
	s_mov_b32 s24, -1
	s_mov_b32 s21, s0
                                        ; implicit-def: $vgpr2
	s_branch .LBB62_801
.LBB62_789:
	s_and_not1_saveexec_b32 s25, s25
	s_cbranch_execz .LBB62_684
.LBB62_790:
	v_add_f32_e32 v2, 0x46000000, v3
	s_and_not1_b32 s24, s24, exec_lo
	s_delay_alu instid0(VALU_DEP_1) | instskip(NEXT) | instid1(VALU_DEP_1)
	v_and_b32_e32 v2, 0xff, v2
	v_cmp_ne_u32_e32 vcc_lo, 0, v2
	s_and_b32 s26, vcc_lo, exec_lo
	s_delay_alu instid0(SALU_CYCLE_1)
	s_or_b32 s24, s24, s26
	s_or_b32 exec_lo, exec_lo, s25
	v_mov_b32_e32 v5, 0
	s_and_saveexec_b32 s25, s24
	s_cbranch_execnz .LBB62_685
	s_branch .LBB62_686
.LBB62_791:
	s_mov_b32 s24, -1
	s_mov_b32 s21, s0
	s_branch .LBB62_795
.LBB62_792:
	s_and_not1_saveexec_b32 s25, s25
	s_cbranch_execz .LBB62_697
.LBB62_793:
	v_add_f32_e32 v2, 0x42800000, v3
	s_and_not1_b32 s24, s24, exec_lo
	s_delay_alu instid0(VALU_DEP_1) | instskip(NEXT) | instid1(VALU_DEP_1)
	v_and_b32_e32 v2, 0xff, v2
	v_cmp_ne_u32_e32 vcc_lo, 0, v2
	s_and_b32 s26, vcc_lo, exec_lo
	s_delay_alu instid0(SALU_CYCLE_1)
	s_or_b32 s24, s24, s26
	s_or_b32 exec_lo, exec_lo, s25
	v_mov_b32_e32 v5, 0
	s_and_saveexec_b32 s25, s24
	s_cbranch_execnz .LBB62_698
	s_branch .LBB62_699
.LBB62_794:
	s_mov_b32 s21, -1
.LBB62_795:
                                        ; implicit-def: $vgpr2
.LBB62_796:
	s_and_b32 vcc_lo, exec_lo, s24
	s_cbranch_vccz .LBB62_800
; %bb.797:
	s_cmp_eq_u32 s20, 44
	s_cbranch_scc0 .LBB62_799
; %bb.798:
	s_wait_loadcnt 0x0
	global_load_u8 v2, v[0:1], off
	s_mov_b32 s21, 0
	s_mov_b32 s23, -1
	s_wait_loadcnt 0x0
	v_lshlrev_b32_e32 v3, 23, v2
	v_cmp_ne_u32_e32 vcc_lo, 0xff, v2
	s_delay_alu instid0(VALU_DEP_2) | instskip(SKIP_1) | instid1(VALU_DEP_2)
	v_cndmask_b32_e32 v3, 0x7f800001, v3, vcc_lo
	v_cmp_ne_u32_e32 vcc_lo, 0, v2
	v_cndmask_b32_e32 v2, 0x400000, v3, vcc_lo
	s_delay_alu instid0(VALU_DEP_1) | instskip(NEXT) | instid1(VALU_DEP_1)
	v_add_nc_u32_e32 v3, 0x7fff, v2
	v_lshrrev_b32_e32 v3, 16, v3
	v_cmp_o_f32_e32 vcc_lo, v2, v2
	s_delay_alu instid0(VALU_DEP_2)
	v_cndmask_b32_e32 v2, 0x7fc0, v3, vcc_lo
	s_branch .LBB62_800
.LBB62_799:
	s_mov_b32 s21, -1
                                        ; implicit-def: $vgpr2
.LBB62_800:
	s_mov_b32 s24, 0
.LBB62_801:
	s_delay_alu instid0(SALU_CYCLE_1)
	s_and_b32 vcc_lo, exec_lo, s24
	s_cbranch_vccz .LBB62_805
; %bb.802:
	s_cmp_eq_u32 s20, 29
	s_cbranch_scc0 .LBB62_804
; %bb.803:
	s_wait_loadcnt 0x0
	global_load_b64 v[2:3], v[0:1], off
	s_mov_b32 s21, 0
	s_mov_b32 s23, -1
	s_mov_b32 s24, 0
	s_wait_loadcnt 0x0
	v_clz_i32_u32_e32 v5, v3
	s_delay_alu instid0(VALU_DEP_1) | instskip(NEXT) | instid1(VALU_DEP_1)
	v_min_u32_e32 v5, 32, v5
	v_lshlrev_b64_e32 v[2:3], v5, v[2:3]
	s_delay_alu instid0(VALU_DEP_1) | instskip(NEXT) | instid1(VALU_DEP_1)
	v_min_u32_e32 v2, 1, v2
	v_dual_sub_nc_u32 v3, 32, v5 :: v_dual_bitop2_b32 v2, v3, v2 bitop3:0x54
	s_delay_alu instid0(VALU_DEP_1) | instskip(NEXT) | instid1(VALU_DEP_1)
	v_cvt_f32_u32_e32 v2, v2
	v_ldexp_f32 v2, v2, v3
	s_delay_alu instid0(VALU_DEP_1) | instskip(NEXT) | instid1(VALU_DEP_1)
	v_bfe_u32 v3, v2, 16, 1
	v_add3_u32 v2, v2, v3, 0x7fff
	s_delay_alu instid0(VALU_DEP_1)
	v_lshrrev_b32_e32 v2, 16, v2
	s_branch .LBB62_806
.LBB62_804:
	s_mov_b32 s21, -1
                                        ; implicit-def: $vgpr2
.LBB62_805:
	s_mov_b32 s24, 0
.LBB62_806:
	s_delay_alu instid0(SALU_CYCLE_1)
	s_and_b32 vcc_lo, exec_lo, s24
	s_cbranch_vccz .LBB62_824
; %bb.807:
	s_cmp_lt_i32 s20, 27
	s_cbranch_scc1 .LBB62_810
; %bb.808:
	s_cmp_gt_i32 s20, 27
	s_cbranch_scc0 .LBB62_811
; %bb.809:
	s_wait_loadcnt 0x0
	global_load_b32 v2, v[0:1], off
	s_mov_b32 s23, 0
	s_wait_loadcnt 0x0
	v_cvt_f32_u32_e32 v2, v2
	s_delay_alu instid0(VALU_DEP_1) | instskip(NEXT) | instid1(VALU_DEP_1)
	v_bfe_u32 v3, v2, 16, 1
	v_add3_u32 v2, v2, v3, 0x7fff
	s_delay_alu instid0(VALU_DEP_1)
	v_lshrrev_b32_e32 v2, 16, v2
	s_branch .LBB62_812
.LBB62_810:
	s_mov_b32 s23, -1
                                        ; implicit-def: $vgpr2
	s_branch .LBB62_815
.LBB62_811:
	s_mov_b32 s23, -1
                                        ; implicit-def: $vgpr2
.LBB62_812:
	s_delay_alu instid0(SALU_CYCLE_1)
	s_and_not1_b32 vcc_lo, exec_lo, s23
	s_cbranch_vccnz .LBB62_814
; %bb.813:
	s_wait_loadcnt 0x0
	global_load_u16 v2, v[0:1], off
	s_wait_loadcnt 0x0
	v_cvt_f32_u32_e32 v2, v2
	s_delay_alu instid0(VALU_DEP_1) | instskip(NEXT) | instid1(VALU_DEP_1)
	v_bfe_u32 v3, v2, 16, 1
	v_add3_u32 v2, v2, v3, 0x7fff
	s_delay_alu instid0(VALU_DEP_1)
	v_lshrrev_b32_e32 v2, 16, v2
.LBB62_814:
	s_mov_b32 s23, 0
.LBB62_815:
	s_delay_alu instid0(SALU_CYCLE_1)
	s_and_not1_b32 vcc_lo, exec_lo, s23
	s_cbranch_vccnz .LBB62_823
; %bb.816:
	s_wait_loadcnt 0x0
	global_load_u8 v2, v[0:1], off
	s_mov_b32 s23, 0
	s_mov_b32 s24, exec_lo
	s_wait_loadcnt 0x0
	v_cmpx_lt_i16_e32 0x7f, v2
	s_xor_b32 s24, exec_lo, s24
	s_cbranch_execz .LBB62_837
; %bb.817:
	s_mov_b32 s23, -1
	s_mov_b32 s25, exec_lo
	v_cmpx_eq_u16_e32 0x80, v2
; %bb.818:
	s_xor_b32 s23, exec_lo, -1
; %bb.819:
	s_or_b32 exec_lo, exec_lo, s25
	s_delay_alu instid0(SALU_CYCLE_1)
	s_and_b32 s23, s23, exec_lo
	s_or_saveexec_b32 s24, s24
	v_mov_b32_e32 v3, 0x7f800001
	s_xor_b32 exec_lo, exec_lo, s24
	s_cbranch_execnz .LBB62_838
.LBB62_820:
	s_or_b32 exec_lo, exec_lo, s24
	s_and_saveexec_b32 s24, s23
	s_cbranch_execz .LBB62_822
.LBB62_821:
	v_and_b32_e32 v3, 0xffff, v2
	s_delay_alu instid0(VALU_DEP_1) | instskip(SKIP_1) | instid1(VALU_DEP_2)
	v_and_b32_e32 v5, 7, v3
	v_bfe_u32 v8, v3, 3, 4
	v_clz_i32_u32_e32 v6, v5
	s_delay_alu instid0(VALU_DEP_2) | instskip(NEXT) | instid1(VALU_DEP_2)
	v_cmp_eq_u32_e32 vcc_lo, 0, v8
	v_min_u32_e32 v6, 32, v6
	s_delay_alu instid0(VALU_DEP_1) | instskip(NEXT) | instid1(VALU_DEP_1)
	v_subrev_nc_u32_e32 v7, 28, v6
	v_dual_lshlrev_b32 v3, v7, v3 :: v_dual_sub_nc_u32 v6, 29, v6
	s_delay_alu instid0(VALU_DEP_1) | instskip(NEXT) | instid1(VALU_DEP_1)
	v_dual_lshlrev_b32 v2, 24, v2 :: v_dual_bitop2_b32 v3, 7, v3 bitop3:0x40
	v_dual_cndmask_b32 v3, v5, v3 :: v_dual_cndmask_b32 v6, v8, v6
	s_delay_alu instid0(VALU_DEP_2) | instskip(NEXT) | instid1(VALU_DEP_2)
	v_and_b32_e32 v2, 0x80000000, v2
	v_lshlrev_b32_e32 v3, 20, v3
	s_delay_alu instid0(VALU_DEP_3) | instskip(NEXT) | instid1(VALU_DEP_1)
	v_lshl_add_u32 v5, v6, 23, 0x3b800000
	v_or3_b32 v3, v2, v5, v3
.LBB62_822:
	s_or_b32 exec_lo, exec_lo, s24
	s_delay_alu instid0(VALU_DEP_1) | instskip(SKIP_1) | instid1(VALU_DEP_2)
	v_bfe_u32 v2, v3, 16, 1
	v_cmp_o_f32_e32 vcc_lo, v3, v3
	v_add3_u32 v2, v3, v2, 0x7fff
	s_delay_alu instid0(VALU_DEP_1) | instskip(NEXT) | instid1(VALU_DEP_1)
	v_lshrrev_b32_e32 v2, 16, v2
	v_cndmask_b32_e32 v2, 0x7fc0, v2, vcc_lo
.LBB62_823:
	s_mov_b32 s23, -1
.LBB62_824:
	s_mov_b32 s24, 0
.LBB62_825:
	s_delay_alu instid0(SALU_CYCLE_1)
	s_and_b32 vcc_lo, exec_lo, s24
	s_cbranch_vccz .LBB62_858
; %bb.826:
	s_cmp_gt_i32 s20, 22
	s_cbranch_scc0 .LBB62_836
; %bb.827:
	s_cmp_lt_i32 s20, 24
	s_cbranch_scc1 .LBB62_839
; %bb.828:
	s_cmp_gt_i32 s20, 24
	s_cbranch_scc0 .LBB62_840
; %bb.829:
	s_wait_loadcnt 0x0
	global_load_u8 v2, v[0:1], off
	s_mov_b32 s23, exec_lo
	s_wait_loadcnt 0x0
	v_cmpx_lt_i16_e32 0x7f, v2
	s_xor_b32 s23, exec_lo, s23
	s_cbranch_execz .LBB62_852
; %bb.830:
	s_mov_b32 s22, -1
	s_mov_b32 s24, exec_lo
	v_cmpx_eq_u16_e32 0x80, v2
; %bb.831:
	s_xor_b32 s22, exec_lo, -1
; %bb.832:
	s_or_b32 exec_lo, exec_lo, s24
	s_delay_alu instid0(SALU_CYCLE_1)
	s_and_b32 s22, s22, exec_lo
	s_or_saveexec_b32 s23, s23
	v_mov_b32_e32 v3, 0x7f800001
	s_xor_b32 exec_lo, exec_lo, s23
	s_cbranch_execnz .LBB62_853
.LBB62_833:
	s_or_b32 exec_lo, exec_lo, s23
	s_and_saveexec_b32 s23, s22
	s_cbranch_execz .LBB62_835
.LBB62_834:
	v_and_b32_e32 v3, 0xffff, v2
	s_delay_alu instid0(VALU_DEP_1) | instskip(SKIP_1) | instid1(VALU_DEP_2)
	v_and_b32_e32 v5, 3, v3
	v_bfe_u32 v8, v3, 2, 5
	v_clz_i32_u32_e32 v6, v5
	s_delay_alu instid0(VALU_DEP_2) | instskip(NEXT) | instid1(VALU_DEP_2)
	v_cmp_eq_u32_e32 vcc_lo, 0, v8
	v_min_u32_e32 v6, 32, v6
	s_delay_alu instid0(VALU_DEP_1) | instskip(NEXT) | instid1(VALU_DEP_1)
	v_subrev_nc_u32_e32 v7, 29, v6
	v_dual_lshlrev_b32 v3, v7, v3 :: v_dual_sub_nc_u32 v6, 30, v6
	s_delay_alu instid0(VALU_DEP_1) | instskip(NEXT) | instid1(VALU_DEP_1)
	v_dual_lshlrev_b32 v2, 24, v2 :: v_dual_bitop2_b32 v3, 3, v3 bitop3:0x40
	v_dual_cndmask_b32 v3, v5, v3 :: v_dual_cndmask_b32 v6, v8, v6
	s_delay_alu instid0(VALU_DEP_2) | instskip(NEXT) | instid1(VALU_DEP_2)
	v_and_b32_e32 v2, 0x80000000, v2
	v_lshlrev_b32_e32 v3, 21, v3
	s_delay_alu instid0(VALU_DEP_3) | instskip(NEXT) | instid1(VALU_DEP_1)
	v_lshl_add_u32 v5, v6, 23, 0x37800000
	v_or3_b32 v3, v2, v5, v3
.LBB62_835:
	s_or_b32 exec_lo, exec_lo, s23
	s_delay_alu instid0(VALU_DEP_1) | instskip(SKIP_2) | instid1(VALU_DEP_2)
	v_bfe_u32 v2, v3, 16, 1
	v_cmp_o_f32_e32 vcc_lo, v3, v3
	s_mov_b32 s22, 0
	v_add3_u32 v2, v3, v2, 0x7fff
	s_delay_alu instid0(VALU_DEP_1) | instskip(NEXT) | instid1(VALU_DEP_1)
	v_lshrrev_b32_e32 v2, 16, v2
	v_cndmask_b32_e32 v2, 0x7fc0, v2, vcc_lo
	s_branch .LBB62_841
.LBB62_836:
	s_mov_b32 s22, -1
                                        ; implicit-def: $vgpr2
	s_branch .LBB62_847
.LBB62_837:
	s_or_saveexec_b32 s24, s24
	v_mov_b32_e32 v3, 0x7f800001
	s_xor_b32 exec_lo, exec_lo, s24
	s_cbranch_execz .LBB62_820
.LBB62_838:
	v_cmp_ne_u16_e32 vcc_lo, 0, v2
	v_mov_b32_e32 v3, 0
	s_and_not1_b32 s23, s23, exec_lo
	s_and_b32 s25, vcc_lo, exec_lo
	s_delay_alu instid0(SALU_CYCLE_1)
	s_or_b32 s23, s23, s25
	s_or_b32 exec_lo, exec_lo, s24
	s_and_saveexec_b32 s24, s23
	s_cbranch_execnz .LBB62_821
	s_branch .LBB62_822
.LBB62_839:
	s_mov_b32 s22, -1
                                        ; implicit-def: $vgpr2
	s_branch .LBB62_844
.LBB62_840:
	s_mov_b32 s22, -1
                                        ; implicit-def: $vgpr2
.LBB62_841:
	s_delay_alu instid0(SALU_CYCLE_1)
	s_and_b32 vcc_lo, exec_lo, s22
	s_cbranch_vccz .LBB62_843
; %bb.842:
	s_wait_loadcnt 0x0
	global_load_u8 v2, v[0:1], off
	s_wait_loadcnt 0x0
	v_lshlrev_b32_e32 v2, 24, v2
	s_delay_alu instid0(VALU_DEP_1) | instskip(NEXT) | instid1(VALU_DEP_1)
	v_and_b32_e32 v3, 0x7f000000, v2
	v_clz_i32_u32_e32 v5, v3
	v_add_nc_u32_e32 v7, 0x1000000, v3
	v_cmp_ne_u32_e32 vcc_lo, 0, v3
	s_delay_alu instid0(VALU_DEP_3) | instskip(NEXT) | instid1(VALU_DEP_1)
	v_min_u32_e32 v5, 32, v5
	v_sub_nc_u32_e64 v5, v5, 4 clamp
	s_delay_alu instid0(VALU_DEP_1) | instskip(NEXT) | instid1(VALU_DEP_1)
	v_dual_lshlrev_b32 v6, v5, v3 :: v_dual_lshlrev_b32 v5, 23, v5
	v_lshrrev_b32_e32 v6, 4, v6
	s_delay_alu instid0(VALU_DEP_1) | instskip(NEXT) | instid1(VALU_DEP_1)
	v_dual_sub_nc_u32 v5, v6, v5 :: v_dual_ashrrev_i32 v6, 8, v7
	v_add_nc_u32_e32 v5, 0x3c000000, v5
	s_delay_alu instid0(VALU_DEP_1) | instskip(NEXT) | instid1(VALU_DEP_1)
	v_and_or_b32 v5, 0x7f800000, v6, v5
	v_cndmask_b32_e32 v3, 0, v5, vcc_lo
	s_delay_alu instid0(VALU_DEP_1) | instskip(SKIP_1) | instid1(VALU_DEP_2)
	v_and_or_b32 v2, 0x80000000, v2, v3
	v_bfe_u32 v3, v3, 16, 1
	v_cmp_o_f32_e32 vcc_lo, v2, v2
	s_delay_alu instid0(VALU_DEP_2) | instskip(NEXT) | instid1(VALU_DEP_1)
	v_add3_u32 v3, v2, v3, 0x7fff
	v_lshrrev_b32_e32 v3, 16, v3
	s_delay_alu instid0(VALU_DEP_1)
	v_cndmask_b32_e32 v2, 0x7fc0, v3, vcc_lo
.LBB62_843:
	s_mov_b32 s22, 0
.LBB62_844:
	s_delay_alu instid0(SALU_CYCLE_1)
	s_and_not1_b32 vcc_lo, exec_lo, s22
	s_cbranch_vccnz .LBB62_846
; %bb.845:
	s_wait_loadcnt 0x0
	global_load_u8 v2, v[0:1], off
	s_wait_loadcnt 0x0
	v_lshlrev_b32_e32 v3, 25, v2
	v_lshlrev_b16 v2, 8, v2
	s_delay_alu instid0(VALU_DEP_2) | instskip(NEXT) | instid1(VALU_DEP_2)
	v_cmp_gt_u32_e32 vcc_lo, 0x8000000, v3
	v_and_or_b32 v6, 0x7f00, v2, 0.5
	v_lshrrev_b32_e32 v5, 4, v3
	v_bfe_i32 v2, v2, 0, 16
	s_delay_alu instid0(VALU_DEP_3) | instskip(NEXT) | instid1(VALU_DEP_3)
	v_add_f32_e32 v6, -0.5, v6
	v_or_b32_e32 v5, 0x70000000, v5
	s_delay_alu instid0(VALU_DEP_1) | instskip(NEXT) | instid1(VALU_DEP_1)
	v_mul_f32_e32 v5, 0x7800000, v5
	v_cndmask_b32_e32 v3, v5, v6, vcc_lo
	s_delay_alu instid0(VALU_DEP_1) | instskip(SKIP_1) | instid1(VALU_DEP_2)
	v_and_or_b32 v2, 0x80000000, v2, v3
	v_bfe_u32 v3, v3, 16, 1
	v_cmp_o_f32_e32 vcc_lo, v2, v2
	s_delay_alu instid0(VALU_DEP_2) | instskip(NEXT) | instid1(VALU_DEP_1)
	v_add3_u32 v3, v2, v3, 0x7fff
	v_lshrrev_b32_e32 v3, 16, v3
	s_delay_alu instid0(VALU_DEP_1)
	v_cndmask_b32_e32 v2, 0x7fc0, v3, vcc_lo
.LBB62_846:
	s_mov_b32 s22, 0
	s_mov_b32 s23, -1
.LBB62_847:
	s_and_not1_b32 vcc_lo, exec_lo, s22
	s_mov_b32 s22, 0
	s_cbranch_vccnz .LBB62_858
; %bb.848:
	s_cmp_gt_i32 s20, 14
	s_cbranch_scc0 .LBB62_851
; %bb.849:
	s_cmp_eq_u32 s20, 15
	s_cbranch_scc0 .LBB62_854
; %bb.850:
	s_wait_loadcnt 0x0
	global_load_u16 v2, v[0:1], off
	s_mov_b32 s21, 0
	s_mov_b32 s23, -1
	s_branch .LBB62_856
.LBB62_851:
	s_mov_b32 s22, -1
	s_branch .LBB62_855
.LBB62_852:
	s_or_saveexec_b32 s23, s23
	v_mov_b32_e32 v3, 0x7f800001
	s_xor_b32 exec_lo, exec_lo, s23
	s_cbranch_execz .LBB62_833
.LBB62_853:
	v_cmp_ne_u16_e32 vcc_lo, 0, v2
	v_mov_b32_e32 v3, 0
	s_and_not1_b32 s22, s22, exec_lo
	s_and_b32 s24, vcc_lo, exec_lo
	s_delay_alu instid0(SALU_CYCLE_1)
	s_or_b32 s22, s22, s24
	s_or_b32 exec_lo, exec_lo, s23
	s_and_saveexec_b32 s23, s22
	s_cbranch_execnz .LBB62_834
	s_branch .LBB62_835
.LBB62_854:
	s_mov_b32 s21, -1
.LBB62_855:
                                        ; implicit-def: $vgpr2
.LBB62_856:
	s_and_b32 vcc_lo, exec_lo, s22
	s_mov_b32 s22, 0
	s_cbranch_vccz .LBB62_858
; %bb.857:
	s_cmp_lg_u32 s20, 11
	s_mov_b32 s22, -1
	s_cselect_b32 s20, -1, 0
	s_and_not1_b32 s21, s21, exec_lo
	s_and_b32 s20, s20, exec_lo
	s_delay_alu instid0(SALU_CYCLE_1)
	s_or_b32 s21, s21, s20
.LBB62_858:
	s_mov_b32 s20, 0
.LBB62_859:
	s_and_not1_b32 s25, s0, exec_lo
	s_and_b32 s21, s21, exec_lo
	s_and_b32 s23, s23, exec_lo
	;; [unrolled: 1-line block ×4, first 2 shown]
	s_or_b32 s21, s25, s21
.LBB62_860:
	s_wait_xcnt 0x0
	s_or_b32 exec_lo, exec_lo, s13
	s_delay_alu instid0(SALU_CYCLE_1)
	s_and_not1_b32 s0, s0, exec_lo
	s_and_b32 s13, s21, exec_lo
	s_and_b32 s23, s23, exec_lo
	;; [unrolled: 1-line block ×4, first 2 shown]
	s_or_b32 s0, s0, s13
.LBB62_861:
	s_or_b32 exec_lo, exec_lo, s19
	s_delay_alu instid0(SALU_CYCLE_1)
	s_and_not1_b32 s13, s17, exec_lo
	s_and_b32 s1, s1, exec_lo
	s_and_b32 s0, s0, exec_lo
	s_or_b32 s17, s13, s1
	s_and_not1_b32 s13, s16, exec_lo
	s_and_b32 s20, s23, exec_lo
	s_and_b32 s19, s22, exec_lo
	;; [unrolled: 1-line block ×3, first 2 shown]
	s_or_b32 s16, s13, s0
.LBB62_862:
	s_or_b32 exec_lo, exec_lo, s18
	s_delay_alu instid0(SALU_CYCLE_1)
	s_and_not1_b32 s0, s12, exec_lo
	s_and_b32 s12, s17, exec_lo
	s_and_not1_b32 s13, s14, exec_lo
	s_and_b32 s14, s16, exec_lo
	s_or_b32 s12, s0, s12
	s_and_b32 s0, s20, exec_lo
	s_and_b32 s17, s19, exec_lo
	;; [unrolled: 1-line block ×3, first 2 shown]
	s_or_b32 s14, s13, s14
	s_or_b32 exec_lo, exec_lo, s15
	s_mov_b32 s1, 0
	s_and_saveexec_b32 s13, s14
	s_cbranch_execz .LBB62_262
.LBB62_863:
	s_mov_b32 s1, exec_lo
	s_and_not1_b32 s16, s16, exec_lo
	s_trap 2
	s_or_b32 exec_lo, exec_lo, s13
	s_and_saveexec_b32 s13, s16
	s_delay_alu instid0(SALU_CYCLE_1)
	s_xor_b32 s13, exec_lo, s13
	s_cbranch_execnz .LBB62_263
.LBB62_864:
	s_or_b32 exec_lo, exec_lo, s13
	s_and_saveexec_b32 s13, s17
	s_cbranch_execz .LBB62_910
.LBB62_865:
	s_sext_i32_i16 s14, s10
	s_delay_alu instid0(SALU_CYCLE_1)
	s_cmp_lt_i32 s14, 5
	s_cbranch_scc1 .LBB62_870
; %bb.866:
	s_cmp_lt_i32 s14, 8
	s_cbranch_scc1 .LBB62_871
; %bb.867:
	;; [unrolled: 3-line block ×3, first 2 shown]
	s_cmp_gt_i32 s14, 9
	s_cbranch_scc0 .LBB62_873
; %bb.869:
	s_wait_loadcnt 0x0
	global_load_b64 v[2:3], v[0:1], off
	s_mov_b32 s14, 0
	s_wait_loadcnt 0x0
	v_cvt_f32_f64_e32 v2, v[2:3]
	s_delay_alu instid0(VALU_DEP_1) | instskip(SKIP_1) | instid1(VALU_DEP_2)
	v_bfe_u32 v3, v2, 16, 1
	v_cmp_o_f32_e32 vcc_lo, v2, v2
	v_add3_u32 v3, v2, v3, 0x7fff
	s_delay_alu instid0(VALU_DEP_1) | instskip(NEXT) | instid1(VALU_DEP_1)
	v_lshrrev_b32_e32 v3, 16, v3
	v_cndmask_b32_e32 v2, 0x7fc0, v3, vcc_lo
	s_branch .LBB62_874
.LBB62_870:
                                        ; implicit-def: $vgpr2
	s_branch .LBB62_891
.LBB62_871:
                                        ; implicit-def: $vgpr2
	s_branch .LBB62_880
.LBB62_872:
	s_mov_b32 s14, -1
                                        ; implicit-def: $vgpr2
	s_branch .LBB62_877
.LBB62_873:
	s_mov_b32 s14, -1
                                        ; implicit-def: $vgpr2
.LBB62_874:
	s_delay_alu instid0(SALU_CYCLE_1)
	s_and_not1_b32 vcc_lo, exec_lo, s14
	s_cbranch_vccnz .LBB62_876
; %bb.875:
	s_wait_loadcnt 0x0
	global_load_b32 v2, v[0:1], off
	s_wait_loadcnt 0x0
	v_bfe_u32 v3, v2, 16, 1
	v_cmp_o_f32_e32 vcc_lo, v2, v2
	s_delay_alu instid0(VALU_DEP_2) | instskip(NEXT) | instid1(VALU_DEP_1)
	v_add3_u32 v3, v2, v3, 0x7fff
	v_lshrrev_b32_e32 v3, 16, v3
	s_delay_alu instid0(VALU_DEP_1)
	v_cndmask_b32_e32 v2, 0x7fc0, v3, vcc_lo
.LBB62_876:
	s_mov_b32 s14, 0
.LBB62_877:
	s_delay_alu instid0(SALU_CYCLE_1)
	s_and_not1_b32 vcc_lo, exec_lo, s14
	s_cbranch_vccnz .LBB62_879
; %bb.878:
	s_wait_loadcnt 0x0
	global_load_b32 v2, v[0:1], off
	s_wait_loadcnt 0x0
	v_cvt_f32_f16_e32 v3, v2
	v_cmp_o_f16_e32 vcc_lo, v2, v2
	s_delay_alu instid0(VALU_DEP_2) | instskip(NEXT) | instid1(VALU_DEP_1)
	v_bfe_u32 v5, v3, 16, 1
	v_add3_u32 v3, v3, v5, 0x7fff
	s_delay_alu instid0(VALU_DEP_1) | instskip(NEXT) | instid1(VALU_DEP_1)
	v_lshrrev_b32_e32 v3, 16, v3
	v_cndmask_b32_e32 v2, 0x7fc0, v3, vcc_lo
.LBB62_879:
	s_cbranch_execnz .LBB62_890
.LBB62_880:
	s_sext_i32_i16 s14, s10
	s_delay_alu instid0(SALU_CYCLE_1)
	s_cmp_lt_i32 s14, 6
	s_cbranch_scc1 .LBB62_883
; %bb.881:
	s_cmp_gt_i32 s14, 6
	s_cbranch_scc0 .LBB62_884
; %bb.882:
	s_wait_loadcnt 0x0
	global_load_b64 v[2:3], v[0:1], off
	s_mov_b32 s14, 0
	s_wait_loadcnt 0x0
	v_cvt_f32_f64_e32 v2, v[2:3]
	s_delay_alu instid0(VALU_DEP_1) | instskip(SKIP_1) | instid1(VALU_DEP_2)
	v_bfe_u32 v3, v2, 16, 1
	v_cmp_o_f32_e32 vcc_lo, v2, v2
	v_add3_u32 v3, v2, v3, 0x7fff
	s_delay_alu instid0(VALU_DEP_1) | instskip(NEXT) | instid1(VALU_DEP_1)
	v_lshrrev_b32_e32 v3, 16, v3
	v_cndmask_b32_e32 v2, 0x7fc0, v3, vcc_lo
	s_branch .LBB62_885
.LBB62_883:
	s_mov_b32 s14, -1
                                        ; implicit-def: $vgpr2
	s_branch .LBB62_888
.LBB62_884:
	s_mov_b32 s14, -1
                                        ; implicit-def: $vgpr2
.LBB62_885:
	s_delay_alu instid0(SALU_CYCLE_1)
	s_and_not1_b32 vcc_lo, exec_lo, s14
	s_cbranch_vccnz .LBB62_887
; %bb.886:
	s_wait_loadcnt 0x0
	global_load_b32 v2, v[0:1], off
	s_wait_loadcnt 0x0
	v_bfe_u32 v3, v2, 16, 1
	v_cmp_o_f32_e32 vcc_lo, v2, v2
	s_delay_alu instid0(VALU_DEP_2) | instskip(NEXT) | instid1(VALU_DEP_1)
	v_add3_u32 v3, v2, v3, 0x7fff
	v_lshrrev_b32_e32 v3, 16, v3
	s_delay_alu instid0(VALU_DEP_1)
	v_cndmask_b32_e32 v2, 0x7fc0, v3, vcc_lo
.LBB62_887:
	s_mov_b32 s14, 0
.LBB62_888:
	s_delay_alu instid0(SALU_CYCLE_1)
	s_and_not1_b32 vcc_lo, exec_lo, s14
	s_cbranch_vccnz .LBB62_890
; %bb.889:
	s_wait_loadcnt 0x0
	global_load_u16 v2, v[0:1], off
	s_wait_loadcnt 0x0
	v_cvt_f32_f16_e32 v3, v2
	v_cmp_o_f16_e32 vcc_lo, v2, v2
	s_delay_alu instid0(VALU_DEP_2) | instskip(NEXT) | instid1(VALU_DEP_1)
	v_bfe_u32 v5, v3, 16, 1
	v_add3_u32 v3, v3, v5, 0x7fff
	s_delay_alu instid0(VALU_DEP_1) | instskip(NEXT) | instid1(VALU_DEP_1)
	v_lshrrev_b32_e32 v3, 16, v3
	v_cndmask_b32_e32 v2, 0x7fc0, v3, vcc_lo
.LBB62_890:
	s_cbranch_execnz .LBB62_909
.LBB62_891:
	s_sext_i32_i16 s14, s10
	s_delay_alu instid0(SALU_CYCLE_1)
	s_cmp_lt_i32 s14, 2
	s_cbranch_scc1 .LBB62_895
; %bb.892:
	s_cmp_lt_i32 s14, 3
	s_cbranch_scc1 .LBB62_896
; %bb.893:
	s_cmp_gt_i32 s14, 3
	s_cbranch_scc0 .LBB62_897
; %bb.894:
	s_wait_loadcnt 0x0
	global_load_b64 v[2:3], v[0:1], off
	s_mov_b32 s14, 0
	s_wait_loadcnt 0x0
	v_xor_b32_e32 v5, v2, v3
	v_cls_i32_e32 v6, v3
	s_delay_alu instid0(VALU_DEP_2) | instskip(NEXT) | instid1(VALU_DEP_1)
	v_ashrrev_i32_e32 v5, 31, v5
	v_add_nc_u32_e32 v5, 32, v5
	s_delay_alu instid0(VALU_DEP_1) | instskip(NEXT) | instid1(VALU_DEP_1)
	v_add_min_u32_e64 v5, v6, -1, v5
	v_lshlrev_b64_e32 v[2:3], v5, v[2:3]
	s_delay_alu instid0(VALU_DEP_1) | instskip(NEXT) | instid1(VALU_DEP_1)
	v_min_u32_e32 v2, 1, v2
	v_dual_sub_nc_u32 v3, 32, v5 :: v_dual_bitop2_b32 v2, v3, v2 bitop3:0x54
	s_delay_alu instid0(VALU_DEP_1) | instskip(NEXT) | instid1(VALU_DEP_1)
	v_cvt_f32_i32_e32 v2, v2
	v_ldexp_f32 v2, v2, v3
	s_delay_alu instid0(VALU_DEP_1) | instskip(NEXT) | instid1(VALU_DEP_1)
	v_bfe_u32 v3, v2, 16, 1
	v_add3_u32 v2, v2, v3, 0x7fff
	s_delay_alu instid0(VALU_DEP_1)
	v_lshrrev_b32_e32 v2, 16, v2
	s_branch .LBB62_898
.LBB62_895:
                                        ; implicit-def: $vgpr2
	s_branch .LBB62_904
.LBB62_896:
	s_mov_b32 s14, -1
                                        ; implicit-def: $vgpr2
	s_branch .LBB62_901
.LBB62_897:
	s_mov_b32 s14, -1
                                        ; implicit-def: $vgpr2
.LBB62_898:
	s_delay_alu instid0(SALU_CYCLE_1)
	s_and_not1_b32 vcc_lo, exec_lo, s14
	s_cbranch_vccnz .LBB62_900
; %bb.899:
	s_wait_loadcnt 0x0
	global_load_b32 v2, v[0:1], off
	s_wait_loadcnt 0x0
	v_cvt_f32_i32_e32 v2, v2
	s_delay_alu instid0(VALU_DEP_1) | instskip(NEXT) | instid1(VALU_DEP_1)
	v_bfe_u32 v3, v2, 16, 1
	v_add3_u32 v2, v2, v3, 0x7fff
	s_delay_alu instid0(VALU_DEP_1)
	v_lshrrev_b32_e32 v2, 16, v2
.LBB62_900:
	s_mov_b32 s14, 0
.LBB62_901:
	s_delay_alu instid0(SALU_CYCLE_1)
	s_and_not1_b32 vcc_lo, exec_lo, s14
	s_cbranch_vccnz .LBB62_903
; %bb.902:
	s_wait_loadcnt 0x0
	global_load_i16 v2, v[0:1], off
	s_wait_loadcnt 0x0
	v_cvt_f32_i32_e32 v2, v2
	s_delay_alu instid0(VALU_DEP_1) | instskip(NEXT) | instid1(VALU_DEP_1)
	v_bfe_u32 v3, v2, 16, 1
	v_add3_u32 v2, v2, v3, 0x7fff
	s_delay_alu instid0(VALU_DEP_1)
	v_lshrrev_b32_e32 v2, 16, v2
.LBB62_903:
	s_cbranch_execnz .LBB62_909
.LBB62_904:
	s_sext_i32_i16 s14, s10
	s_delay_alu instid0(SALU_CYCLE_1)
	s_cmp_gt_i32 s14, 0
	s_mov_b32 s14, 0
	s_cbranch_scc0 .LBB62_906
; %bb.905:
	s_wait_loadcnt 0x0
	global_load_i8 v2, v[0:1], off
	s_wait_loadcnt 0x0
	v_cvt_f32_i32_e32 v2, v2
	s_delay_alu instid0(VALU_DEP_1) | instskip(NEXT) | instid1(VALU_DEP_1)
	v_bfe_u32 v3, v2, 16, 1
	v_add3_u32 v2, v2, v3, 0x7fff
	s_delay_alu instid0(VALU_DEP_1)
	v_lshrrev_b32_e32 v2, 16, v2
	s_branch .LBB62_907
.LBB62_906:
	s_mov_b32 s14, -1
                                        ; implicit-def: $vgpr2
.LBB62_907:
	s_delay_alu instid0(SALU_CYCLE_1)
	s_and_not1_b32 vcc_lo, exec_lo, s14
	s_cbranch_vccnz .LBB62_909
; %bb.908:
	global_load_u8 v0, v[0:1], off
	s_wait_loadcnt 0x0
	v_cvt_f32_ubyte0_e32 v0, v0
	s_delay_alu instid0(VALU_DEP_1) | instskip(NEXT) | instid1(VALU_DEP_1)
	v_bfe_u32 v1, v0, 16, 1
	v_add3_u32 v0, v0, v1, 0x7fff
	s_delay_alu instid0(VALU_DEP_1)
	v_lshrrev_b32_e32 v2, 16, v0
.LBB62_909:
	s_or_b32 s0, s0, exec_lo
.LBB62_910:
	s_wait_xcnt 0x0
	s_or_b32 exec_lo, exec_lo, s13
	s_mov_b32 s17, 0
	s_mov_b32 s16, 0
                                        ; implicit-def: $sgpr13
                                        ; implicit-def: $sgpr14
                                        ; implicit-def: $vgpr0_vgpr1
	s_and_saveexec_b32 s15, s0
	s_cbranch_execz .LBB62_918
; %bb.911:
	v_mul_lo_u32 v0, v4, s2
	s_and_b32 s14, s8, 0xff
	s_wait_loadcnt 0x0
	v_lshlrev_b32_e32 v2, 16, v2
	s_cmp_lt_i32 s14, 11
	s_delay_alu instid0(VALU_DEP_1) | instskip(NEXT) | instid1(VALU_DEP_3)
	v_cmp_eq_f32_e64 s13, 0x7f800000, v2
	v_ashrrev_i32_e32 v1, 31, v0
	s_delay_alu instid0(VALU_DEP_1)
	v_add_nc_u64_e32 v[0:1], s[4:5], v[0:1]
	s_cbranch_scc1 .LBB62_921
; %bb.912:
	s_and_b32 s16, 0xffff, s14
	s_mov_b32 s17, -1
	s_cmp_gt_i32 s16, 25
	s_mov_b32 s0, s12
	s_cbranch_scc0 .LBB62_949
; %bb.913:
	s_cmp_gt_i32 s16, 28
	s_mov_b32 s0, s12
	s_cbranch_scc0 .LBB62_933
; %bb.914:
	s_cmp_gt_i32 s16, 43
	s_mov_b32 s0, s12
	s_cbranch_scc0 .LBB62_929
; %bb.915:
	s_cmp_gt_i32 s16, 45
	s_mov_b32 s0, s12
	s_cbranch_scc0 .LBB62_923
; %bb.916:
	s_cmp_eq_u32 s16, 46
	s_mov_b32 s0, -1
	s_cbranch_scc0 .LBB62_922
; %bb.917:
	v_cndmask_b32_e64 v2, 0, 1.0, s13
	s_mov_b32 s0, 0
	s_mov_b32 s17, 0
	s_delay_alu instid0(VALU_DEP_1) | instskip(NEXT) | instid1(VALU_DEP_1)
	v_bfe_u32 v3, v2, 16, 1
	v_add3_u32 v2, v2, v3, 0x7fff
	s_delay_alu instid0(VALU_DEP_1)
	v_lshrrev_b32_e32 v2, 16, v2
	global_store_b32 v[0:1], v2, off
	s_branch .LBB62_923
.LBB62_918:
	s_or_b32 exec_lo, exec_lo, s15
	s_and_saveexec_b32 s0, s12
	s_cbranch_execnz .LBB62_991
.LBB62_919:
	s_or_b32 exec_lo, exec_lo, s0
	s_and_saveexec_b32 s0, s17
	s_delay_alu instid0(SALU_CYCLE_1)
	s_xor_b32 s0, exec_lo, s0
	s_cbranch_execz .LBB62_992
.LBB62_920:
	s_wait_loadcnt 0x0
	v_cndmask_b32_e64 v2, 0, 1, s13
	global_store_b8 v[0:1], v2, off
	s_wait_xcnt 0x0
	s_or_b32 exec_lo, exec_lo, s0
	s_and_saveexec_b32 s0, s16
	s_delay_alu instid0(SALU_CYCLE_1)
	s_xor_b32 s0, exec_lo, s0
	s_cbranch_execz .LBB62_1030
	s_branch .LBB62_993
.LBB62_921:
	s_mov_b32 s18, 0
	s_mov_b32 s17, -1
	s_mov_b32 s0, s12
	s_branch .LBB62_990
.LBB62_922:
	s_mov_b32 s17, 0
.LBB62_923:
	s_delay_alu instid0(SALU_CYCLE_1)
	s_and_b32 vcc_lo, exec_lo, s17
	s_cbranch_vccz .LBB62_928
; %bb.924:
	s_cmp_eq_u32 s16, 44
	s_mov_b32 s0, -1
	s_cbranch_scc0 .LBB62_928
; %bb.925:
	v_cndmask_b32_e64 v4, 0, 1.0, s13
	s_mov_b32 s17, exec_lo
	s_wait_xcnt 0x0
	s_delay_alu instid0(VALU_DEP_1) | instskip(NEXT) | instid1(VALU_DEP_1)
	v_dual_mov_b32 v3, 0xff :: v_dual_lshrrev_b32 v2, 23, v4
	v_cmpx_ne_u32_e32 0xff, v2
; %bb.926:
	v_and_b32_e32 v3, 0x400000, v4
	v_and_or_b32 v4, 0x3fffff, v4, v2
	s_delay_alu instid0(VALU_DEP_2) | instskip(NEXT) | instid1(VALU_DEP_2)
	v_cmp_ne_u32_e32 vcc_lo, 0, v3
	v_cmp_ne_u32_e64 s0, 0, v4
	s_and_b32 s0, vcc_lo, s0
	s_delay_alu instid0(SALU_CYCLE_1) | instskip(NEXT) | instid1(VALU_DEP_1)
	v_cndmask_b32_e64 v3, 0, 1, s0
	v_add_nc_u32_e32 v3, v2, v3
; %bb.927:
	s_or_b32 exec_lo, exec_lo, s17
	s_mov_b32 s0, 0
	global_store_b8 v[0:1], v3, off
.LBB62_928:
	s_mov_b32 s17, 0
.LBB62_929:
	s_delay_alu instid0(SALU_CYCLE_1)
	s_and_b32 vcc_lo, exec_lo, s17
	s_cbranch_vccz .LBB62_932
; %bb.930:
	s_cmp_eq_u32 s16, 29
	s_mov_b32 s0, -1
	s_cbranch_scc0 .LBB62_932
; %bb.931:
	s_mov_b32 s0, 0
	s_wait_xcnt 0x0
	v_cndmask_b32_e64 v2, 0, 1, s13
	v_mov_b32_e32 v3, s0
	s_mov_b32 s17, 0
	global_store_b64 v[0:1], v[2:3], off
	s_branch .LBB62_933
.LBB62_932:
	s_mov_b32 s17, 0
.LBB62_933:
	s_delay_alu instid0(SALU_CYCLE_1)
	s_and_b32 vcc_lo, exec_lo, s17
	s_cbranch_vccz .LBB62_948
; %bb.934:
	s_cmp_lt_i32 s16, 27
	s_mov_b32 s17, -1
	s_cbranch_scc1 .LBB62_940
; %bb.935:
	s_wait_xcnt 0x0
	v_cndmask_b32_e64 v2, 0, 1, s13
	s_cmp_gt_i32 s16, 27
	s_cbranch_scc0 .LBB62_937
; %bb.936:
	s_mov_b32 s17, 0
	global_store_b32 v[0:1], v2, off
.LBB62_937:
	s_and_not1_b32 vcc_lo, exec_lo, s17
	s_cbranch_vccnz .LBB62_939
; %bb.938:
	global_store_b16 v[0:1], v2, off
.LBB62_939:
	s_mov_b32 s17, 0
.LBB62_940:
	s_delay_alu instid0(SALU_CYCLE_1)
	s_and_not1_b32 vcc_lo, exec_lo, s17
	s_cbranch_vccnz .LBB62_948
; %bb.941:
	s_wait_xcnt 0x0
	v_cndmask_b32_e64 v3, 0, 1.0, s13
	v_mov_b32_e32 v4, 0x80
	s_mov_b32 s17, exec_lo
	s_delay_alu instid0(VALU_DEP_2)
	v_cmpx_gt_u32_e32 0x43800000, v3
	s_cbranch_execz .LBB62_947
; %bb.942:
	s_mov_b32 s18, 0
	s_mov_b32 s19, exec_lo
                                        ; implicit-def: $vgpr2
	v_cmpx_lt_u32_e32 0x3bffffff, v3
	s_xor_b32 s19, exec_lo, s19
	s_cbranch_execz .LBB62_1045
; %bb.943:
	v_bfe_u32 v2, v3, 20, 1
	s_mov_b32 s18, exec_lo
	s_delay_alu instid0(VALU_DEP_1) | instskip(NEXT) | instid1(VALU_DEP_1)
	v_add3_u32 v2, v3, v2, 0x487ffff
                                        ; implicit-def: $vgpr3
	v_lshrrev_b32_e32 v2, 20, v2
	s_and_not1_saveexec_b32 s19, s19
	s_cbranch_execnz .LBB62_1046
.LBB62_944:
	s_or_b32 exec_lo, exec_lo, s19
	v_mov_b32_e32 v4, 0
	s_and_saveexec_b32 s19, s18
.LBB62_945:
	v_mov_b32_e32 v4, v2
.LBB62_946:
	s_or_b32 exec_lo, exec_lo, s19
.LBB62_947:
	s_delay_alu instid0(SALU_CYCLE_1)
	s_or_b32 exec_lo, exec_lo, s17
	global_store_b8 v[0:1], v4, off
.LBB62_948:
	s_mov_b32 s17, 0
.LBB62_949:
	s_delay_alu instid0(SALU_CYCLE_1)
	s_and_b32 vcc_lo, exec_lo, s17
	s_mov_b32 s17, 0
	s_cbranch_vccz .LBB62_989
; %bb.950:
	s_cmp_gt_i32 s16, 22
	s_mov_b32 s18, -1
	s_cbranch_scc0 .LBB62_982
; %bb.951:
	s_cmp_lt_i32 s16, 24
	s_cbranch_scc1 .LBB62_971
; %bb.952:
	s_cmp_gt_i32 s16, 24
	s_cbranch_scc0 .LBB62_960
; %bb.953:
	s_wait_xcnt 0x0
	v_cndmask_b32_e64 v3, 0, 1.0, s13
	v_mov_b32_e32 v4, 0x80
	s_mov_b32 s18, exec_lo
	s_delay_alu instid0(VALU_DEP_2)
	v_cmpx_gt_u32_e32 0x47800000, v3
	s_cbranch_execz .LBB62_959
; %bb.954:
	s_mov_b32 s19, 0
	s_mov_b32 s20, exec_lo
                                        ; implicit-def: $vgpr2
	v_cmpx_lt_u32_e32 0x37ffffff, v3
	s_xor_b32 s20, exec_lo, s20
	s_cbranch_execz .LBB62_1171
; %bb.955:
	v_bfe_u32 v2, v3, 21, 1
	s_mov_b32 s19, exec_lo
	s_delay_alu instid0(VALU_DEP_1) | instskip(NEXT) | instid1(VALU_DEP_1)
	v_add3_u32 v2, v3, v2, 0x88fffff
                                        ; implicit-def: $vgpr3
	v_lshrrev_b32_e32 v2, 21, v2
	s_and_not1_saveexec_b32 s20, s20
	s_cbranch_execnz .LBB62_1172
.LBB62_956:
	s_or_b32 exec_lo, exec_lo, s20
	v_mov_b32_e32 v4, 0
	s_and_saveexec_b32 s20, s19
.LBB62_957:
	v_mov_b32_e32 v4, v2
.LBB62_958:
	s_or_b32 exec_lo, exec_lo, s20
.LBB62_959:
	s_delay_alu instid0(SALU_CYCLE_1)
	s_or_b32 exec_lo, exec_lo, s18
	s_mov_b32 s18, 0
	global_store_b8 v[0:1], v4, off
.LBB62_960:
	s_and_b32 vcc_lo, exec_lo, s18
	s_cbranch_vccz .LBB62_970
; %bb.961:
	s_wait_xcnt 0x0
	v_cndmask_b32_e64 v3, 0, 1.0, s13
	s_mov_b32 s18, exec_lo
                                        ; implicit-def: $vgpr2
	s_delay_alu instid0(VALU_DEP_1)
	v_cmpx_gt_u32_e32 0x43f00000, v3
	s_xor_b32 s18, exec_lo, s18
	s_cbranch_execz .LBB62_967
; %bb.962:
	s_mov_b32 s19, exec_lo
                                        ; implicit-def: $vgpr2
	v_cmpx_lt_u32_e32 0x3c7fffff, v3
	s_xor_b32 s19, exec_lo, s19
; %bb.963:
	v_bfe_u32 v2, v3, 20, 1
	s_delay_alu instid0(VALU_DEP_1) | instskip(NEXT) | instid1(VALU_DEP_1)
	v_add3_u32 v2, v3, v2, 0x407ffff
	v_and_b32_e32 v3, 0xff00000, v2
	v_lshrrev_b32_e32 v2, 20, v2
	s_delay_alu instid0(VALU_DEP_2) | instskip(NEXT) | instid1(VALU_DEP_2)
	v_cmp_ne_u32_e32 vcc_lo, 0x7f00000, v3
                                        ; implicit-def: $vgpr3
	v_cndmask_b32_e32 v2, 0x7e, v2, vcc_lo
; %bb.964:
	s_and_not1_saveexec_b32 s19, s19
; %bb.965:
	v_add_f32_e32 v2, 0x46800000, v3
; %bb.966:
	s_or_b32 exec_lo, exec_lo, s19
                                        ; implicit-def: $vgpr3
.LBB62_967:
	s_and_not1_saveexec_b32 s18, s18
; %bb.968:
	v_mov_b32_e32 v2, 0x7f
	v_cmp_lt_u32_e32 vcc_lo, 0x7f800000, v3
	s_delay_alu instid0(VALU_DEP_2)
	v_cndmask_b32_e32 v2, 0x7e, v2, vcc_lo
; %bb.969:
	s_or_b32 exec_lo, exec_lo, s18
	global_store_b8 v[0:1], v2, off
.LBB62_970:
	s_mov_b32 s18, 0
.LBB62_971:
	s_delay_alu instid0(SALU_CYCLE_1)
	s_and_not1_b32 vcc_lo, exec_lo, s18
	s_cbranch_vccnz .LBB62_981
; %bb.972:
	s_wait_xcnt 0x0
	v_cndmask_b32_e64 v3, 0, 1.0, s13
	s_mov_b32 s18, exec_lo
                                        ; implicit-def: $vgpr2
	s_delay_alu instid0(VALU_DEP_1)
	v_cmpx_gt_u32_e32 0x47800000, v3
	s_xor_b32 s18, exec_lo, s18
	s_cbranch_execz .LBB62_978
; %bb.973:
	s_mov_b32 s19, exec_lo
                                        ; implicit-def: $vgpr2
	v_cmpx_lt_u32_e32 0x387fffff, v3
	s_xor_b32 s19, exec_lo, s19
; %bb.974:
	v_bfe_u32 v2, v3, 21, 1
	s_delay_alu instid0(VALU_DEP_1) | instskip(NEXT) | instid1(VALU_DEP_1)
	v_add3_u32 v2, v3, v2, 0x80fffff
                                        ; implicit-def: $vgpr3
	v_lshrrev_b32_e32 v2, 21, v2
; %bb.975:
	s_and_not1_saveexec_b32 s19, s19
; %bb.976:
	v_add_f32_e32 v2, 0x43000000, v3
; %bb.977:
	s_or_b32 exec_lo, exec_lo, s19
                                        ; implicit-def: $vgpr3
.LBB62_978:
	s_and_not1_saveexec_b32 s18, s18
; %bb.979:
	v_mov_b32_e32 v2, 0x7f
	v_cmp_lt_u32_e32 vcc_lo, 0x7f800000, v3
	s_delay_alu instid0(VALU_DEP_2)
	v_cndmask_b32_e32 v2, 0x7c, v2, vcc_lo
; %bb.980:
	s_or_b32 exec_lo, exec_lo, s18
	global_store_b8 v[0:1], v2, off
.LBB62_981:
	s_mov_b32 s18, 0
.LBB62_982:
	s_delay_alu instid0(SALU_CYCLE_1)
	s_and_not1_b32 vcc_lo, exec_lo, s18
	s_mov_b32 s18, 0
	s_cbranch_vccnz .LBB62_990
; %bb.983:
	s_cmp_gt_i32 s16, 14
	s_mov_b32 s18, -1
	s_cbranch_scc0 .LBB62_987
; %bb.984:
	s_cmp_eq_u32 s16, 15
	s_mov_b32 s0, -1
	s_cbranch_scc0 .LBB62_986
; %bb.985:
	s_wait_xcnt 0x0
	v_cndmask_b32_e64 v2, 0, 1.0, s13
	s_mov_b32 s0, 0
	s_delay_alu instid0(VALU_DEP_1) | instskip(NEXT) | instid1(VALU_DEP_1)
	v_bfe_u32 v3, v2, 16, 1
	v_add3_u32 v2, v2, v3, 0x7fff
	global_store_d16_hi_b16 v[0:1], v2, off
.LBB62_986:
	s_mov_b32 s18, 0
.LBB62_987:
	s_delay_alu instid0(SALU_CYCLE_1)
	s_and_b32 vcc_lo, exec_lo, s18
	s_mov_b32 s18, 0
	s_cbranch_vccz .LBB62_990
; %bb.988:
	s_cmp_lg_u32 s16, 11
	s_mov_b32 s18, -1
	s_cselect_b32 s16, -1, 0
	s_and_not1_b32 s0, s0, exec_lo
	s_and_b32 s16, s16, exec_lo
	s_delay_alu instid0(SALU_CYCLE_1)
	s_or_b32 s0, s0, s16
	s_branch .LBB62_990
.LBB62_989:
	s_mov_b32 s18, 0
.LBB62_990:
	s_and_not1_b32 s12, s12, exec_lo
	s_and_b32 s0, s0, exec_lo
	s_and_b32 s16, s17, exec_lo
	;; [unrolled: 1-line block ×3, first 2 shown]
	s_or_b32 s12, s12, s0
	s_wait_xcnt 0x0
	s_or_b32 exec_lo, exec_lo, s15
	s_and_saveexec_b32 s0, s12
	s_cbranch_execz .LBB62_919
.LBB62_991:
	s_or_b32 s1, s1, exec_lo
	s_and_not1_b32 s17, s17, exec_lo
	s_trap 2
	s_or_b32 exec_lo, exec_lo, s0
	s_and_saveexec_b32 s0, s17
	s_delay_alu instid0(SALU_CYCLE_1)
	s_xor_b32 s0, exec_lo, s0
	s_cbranch_execnz .LBB62_920
.LBB62_992:
	s_or_b32 exec_lo, exec_lo, s0
	s_and_saveexec_b32 s0, s16
	s_delay_alu instid0(SALU_CYCLE_1)
	s_xor_b32 s0, exec_lo, s0
	s_cbranch_execz .LBB62_1030
.LBB62_993:
	s_sext_i32_i16 s15, s14
	s_mov_b32 s12, -1
	s_cmp_lt_i32 s15, 5
	s_cbranch_scc1 .LBB62_1014
; %bb.994:
	s_cmp_lt_i32 s15, 8
	s_cbranch_scc1 .LBB62_1004
; %bb.995:
	;; [unrolled: 3-line block ×3, first 2 shown]
	s_cmp_gt_i32 s15, 9
	s_cbranch_scc0 .LBB62_998
; %bb.997:
	s_wait_loadcnt 0x0
	v_cndmask_b32_e64 v2, 0, 1, s13
	v_mov_b32_e32 v4, 0
	s_mov_b32 s12, 0
	s_delay_alu instid0(VALU_DEP_2) | instskip(NEXT) | instid1(VALU_DEP_2)
	v_cvt_f64_u32_e32 v[2:3], v2
	v_mov_b32_e32 v5, v4
	global_store_b128 v[0:1], v[2:5], off
.LBB62_998:
	s_and_not1_b32 vcc_lo, exec_lo, s12
	s_cbranch_vccnz .LBB62_1000
; %bb.999:
	s_wait_loadcnt 0x0
	v_cndmask_b32_e64 v2, 0, 1.0, s13
	v_mov_b32_e32 v3, 0
	global_store_b64 v[0:1], v[2:3], off
.LBB62_1000:
	s_mov_b32 s12, 0
.LBB62_1001:
	s_delay_alu instid0(SALU_CYCLE_1)
	s_and_not1_b32 vcc_lo, exec_lo, s12
	s_cbranch_vccnz .LBB62_1003
; %bb.1002:
	s_wait_loadcnt 0x0
	v_cndmask_b32_e64 v2, 0, 1.0, s13
	s_delay_alu instid0(VALU_DEP_1) | instskip(NEXT) | instid1(VALU_DEP_1)
	v_cvt_f16_f32_e32 v2, v2
	v_and_b32_e32 v2, 0xffff, v2
	global_store_b32 v[0:1], v2, off
.LBB62_1003:
	s_mov_b32 s12, 0
.LBB62_1004:
	s_delay_alu instid0(SALU_CYCLE_1)
	s_and_not1_b32 vcc_lo, exec_lo, s12
	s_cbranch_vccnz .LBB62_1013
; %bb.1005:
	s_sext_i32_i16 s15, s14
	s_mov_b32 s12, -1
	s_cmp_lt_i32 s15, 6
	s_cbranch_scc1 .LBB62_1011
; %bb.1006:
	s_cmp_gt_i32 s15, 6
	s_cbranch_scc0 .LBB62_1008
; %bb.1007:
	s_wait_loadcnt 0x0
	v_cndmask_b32_e64 v2, 0, 1, s13
	s_mov_b32 s12, 0
	s_delay_alu instid0(VALU_DEP_1)
	v_cvt_f64_u32_e32 v[2:3], v2
	global_store_b64 v[0:1], v[2:3], off
.LBB62_1008:
	s_and_not1_b32 vcc_lo, exec_lo, s12
	s_cbranch_vccnz .LBB62_1010
; %bb.1009:
	s_wait_loadcnt 0x0
	v_cndmask_b32_e64 v2, 0, 1.0, s13
	global_store_b32 v[0:1], v2, off
.LBB62_1010:
	s_mov_b32 s12, 0
.LBB62_1011:
	s_delay_alu instid0(SALU_CYCLE_1)
	s_and_not1_b32 vcc_lo, exec_lo, s12
	s_cbranch_vccnz .LBB62_1013
; %bb.1012:
	s_wait_loadcnt 0x0
	v_cndmask_b32_e64 v2, 0, 1.0, s13
	s_delay_alu instid0(VALU_DEP_1)
	v_cvt_f16_f32_e32 v2, v2
	global_store_b16 v[0:1], v2, off
.LBB62_1013:
	s_mov_b32 s12, 0
.LBB62_1014:
	s_delay_alu instid0(SALU_CYCLE_1)
	s_and_not1_b32 vcc_lo, exec_lo, s12
	s_cbranch_vccnz .LBB62_1030
; %bb.1015:
	s_sext_i32_i16 s15, s14
	s_mov_b32 s12, -1
	s_cmp_lt_i32 s15, 2
	s_cbranch_scc1 .LBB62_1025
; %bb.1016:
	s_cmp_lt_i32 s15, 3
	s_cbranch_scc1 .LBB62_1022
; %bb.1017:
	s_cmp_gt_i32 s15, 3
	s_cbranch_scc0 .LBB62_1019
; %bb.1018:
	s_mov_b32 s12, 0
	s_wait_loadcnt 0x0
	v_cndmask_b32_e64 v2, 0, 1, s13
	v_mov_b32_e32 v3, s12
	global_store_b64 v[0:1], v[2:3], off
.LBB62_1019:
	s_and_not1_b32 vcc_lo, exec_lo, s12
	s_cbranch_vccnz .LBB62_1021
; %bb.1020:
	s_wait_loadcnt 0x0
	v_cndmask_b32_e64 v2, 0, 1, s13
	global_store_b32 v[0:1], v2, off
.LBB62_1021:
	s_mov_b32 s12, 0
.LBB62_1022:
	s_delay_alu instid0(SALU_CYCLE_1)
	s_and_not1_b32 vcc_lo, exec_lo, s12
	s_cbranch_vccnz .LBB62_1024
; %bb.1023:
	s_wait_loadcnt 0x0
	v_cndmask_b32_e64 v2, 0, 1, s13
	global_store_b16 v[0:1], v2, off
.LBB62_1024:
	s_mov_b32 s12, 0
.LBB62_1025:
	s_delay_alu instid0(SALU_CYCLE_1)
	s_and_not1_b32 vcc_lo, exec_lo, s12
	s_cbranch_vccnz .LBB62_1030
; %bb.1026:
	s_wait_loadcnt 0x0
	v_cndmask_b32_e64 v2, 0, 1, s13
	s_sext_i32_i16 s12, s14
	s_delay_alu instid0(SALU_CYCLE_1)
	s_cmp_gt_i32 s12, 0
	s_mov_b32 s12, -1
	s_cbranch_scc0 .LBB62_1028
; %bb.1027:
	s_mov_b32 s12, 0
	global_store_b8 v[0:1], v2, off
.LBB62_1028:
	s_and_not1_b32 vcc_lo, exec_lo, s12
	s_cbranch_vccnz .LBB62_1030
; %bb.1029:
	global_store_b8 v[0:1], v2, off
.LBB62_1030:
	s_wait_xcnt 0x0
	s_or_b32 exec_lo, exec_lo, s0
	s_delay_alu instid0(SALU_CYCLE_1)
	s_and_b32 s12, s1, exec_lo
                                        ; implicit-def: $vgpr4
.LBB62_1031:
	s_or_saveexec_b32 s11, s11
	s_mov_b32 s0, 0
                                        ; implicit-def: $sgpr1
                                        ; implicit-def: $sgpr13
                                        ; implicit-def: $vgpr0_vgpr1
	s_xor_b32 exec_lo, exec_lo, s11
	s_cbranch_execz .LBB62_1983
; %bb.1032:
	v_mul_lo_u32 v0, s3, v4
	s_and_b32 s0, 0xffff, s10
	s_delay_alu instid0(SALU_CYCLE_1) | instskip(NEXT) | instid1(VALU_DEP_1)
	s_cmp_lt_i32 s0, 11
	v_ashrrev_i32_e32 v1, 31, v0
	s_wait_loadcnt 0x0
	s_delay_alu instid0(VALU_DEP_1)
	v_add_nc_u64_e32 v[2:3], s[6:7], v[0:1]
	s_cbranch_scc1 .LBB62_1039
; %bb.1033:
	s_cmp_gt_i32 s0, 25
	s_mov_b32 s10, 0
	s_cbranch_scc0 .LBB62_1041
; %bb.1034:
	s_cmp_gt_i32 s0, 28
	s_cbranch_scc0 .LBB62_1042
; %bb.1035:
	s_cmp_gt_i32 s0, 43
	;; [unrolled: 3-line block ×3, first 2 shown]
	s_cbranch_scc0 .LBB62_1044
; %bb.1037:
	s_cmp_eq_u32 s0, 46
	s_cbranch_scc0 .LBB62_1047
; %bb.1038:
	global_load_b32 v5, v[2:3], off
	s_mov_b32 s1, 0
	s_mov_b32 s13, -1
	s_branch .LBB62_1049
.LBB62_1039:
	s_mov_b32 s13, 0
	s_mov_b32 s9, s12
                                        ; implicit-def: $vgpr5
	s_cbranch_execnz .LBB62_1112
.LBB62_1040:
	s_and_not1_b32 vcc_lo, exec_lo, s13
	s_cbranch_vccz .LBB62_1157
	s_branch .LBB62_1981
.LBB62_1041:
	s_mov_b32 s13, 0
	s_mov_b32 s1, 0
                                        ; implicit-def: $vgpr5
	s_cbranch_execnz .LBB62_1077
	s_branch .LBB62_1108
.LBB62_1042:
	s_mov_b32 s9, -1
	s_mov_b32 s13, 0
	s_mov_b32 s1, 0
                                        ; implicit-def: $vgpr5
	s_branch .LBB62_1058
.LBB62_1043:
	s_mov_b32 s13, 0
	s_mov_b32 s1, 0
                                        ; implicit-def: $vgpr5
	s_cbranch_execnz .LBB62_1054
	s_branch .LBB62_1057
.LBB62_1044:
	s_mov_b32 s9, -1
	s_mov_b32 s13, 0
	s_mov_b32 s1, 0
	s_branch .LBB62_1048
.LBB62_1045:
	s_and_not1_saveexec_b32 s19, s19
	s_cbranch_execz .LBB62_944
.LBB62_1046:
	v_add_f32_e32 v2, 0x46000000, v3
	s_and_not1_b32 s18, s18, exec_lo
	s_delay_alu instid0(VALU_DEP_1) | instskip(NEXT) | instid1(VALU_DEP_1)
	v_and_b32_e32 v2, 0xff, v2
	v_cmp_ne_u32_e32 vcc_lo, 0, v2
	s_and_b32 s20, vcc_lo, exec_lo
	s_delay_alu instid0(SALU_CYCLE_1)
	s_or_b32 s18, s18, s20
	s_or_b32 exec_lo, exec_lo, s19
	v_mov_b32_e32 v4, 0
	s_and_saveexec_b32 s19, s18
	s_cbranch_execnz .LBB62_945
	s_branch .LBB62_946
.LBB62_1047:
	s_mov_b32 s1, -1
	s_mov_b32 s13, 0
.LBB62_1048:
                                        ; implicit-def: $vgpr5
.LBB62_1049:
	s_and_b32 vcc_lo, exec_lo, s9
	s_cbranch_vccz .LBB62_1052
; %bb.1050:
	s_cmp_eq_u32 s0, 44
	s_cbranch_scc0 .LBB62_1053
; %bb.1051:
	global_load_u8 v1, v[2:3], off
	s_mov_b32 s1, 0
	s_mov_b32 s13, -1
	s_wait_loadcnt 0x0
	v_lshlrev_b32_e32 v5, 23, v1
	v_cmp_ne_u32_e32 vcc_lo, 0xff, v1
	s_delay_alu instid0(VALU_DEP_2) | instskip(SKIP_1) | instid1(VALU_DEP_2)
	v_cndmask_b32_e32 v5, 0x7f800001, v5, vcc_lo
	v_cmp_ne_u32_e32 vcc_lo, 0, v1
	v_cndmask_b32_e32 v1, 0x400000, v5, vcc_lo
	s_delay_alu instid0(VALU_DEP_1) | instskip(SKIP_1) | instid1(VALU_DEP_2)
	v_add_nc_u32_e32 v5, 0x7fff, v1
	v_cmp_o_f32_e32 vcc_lo, v1, v1
	v_lshrrev_b32_e32 v5, 16, v5
	s_delay_alu instid0(VALU_DEP_1)
	v_cndmask_b32_e32 v5, 0x7fc0, v5, vcc_lo
.LBB62_1052:
	s_branch .LBB62_1057
.LBB62_1053:
	s_mov_b32 s1, -1
                                        ; implicit-def: $vgpr5
	s_branch .LBB62_1057
.LBB62_1054:
	s_cmp_eq_u32 s0, 29
	s_cbranch_scc0 .LBB62_1056
; %bb.1055:
	global_load_b64 v[6:7], v[2:3], off
	s_mov_b32 s1, 0
	s_mov_b32 s13, -1
	s_mov_b32 s9, 0
	s_wait_loadcnt 0x0
	v_clz_i32_u32_e32 v1, v7
	s_delay_alu instid0(VALU_DEP_1) | instskip(NEXT) | instid1(VALU_DEP_1)
	v_min_u32_e32 v1, 32, v1
	v_lshlrev_b64_e32 v[6:7], v1, v[6:7]
	v_sub_nc_u32_e32 v1, 32, v1
	s_delay_alu instid0(VALU_DEP_2) | instskip(NEXT) | instid1(VALU_DEP_1)
	v_min_u32_e32 v5, 1, v6
	v_or_b32_e32 v5, v7, v5
	s_delay_alu instid0(VALU_DEP_1) | instskip(NEXT) | instid1(VALU_DEP_1)
	v_cvt_f32_u32_e32 v5, v5
	v_ldexp_f32 v1, v5, v1
	s_delay_alu instid0(VALU_DEP_1) | instskip(NEXT) | instid1(VALU_DEP_1)
	v_bfe_u32 v5, v1, 16, 1
	v_add3_u32 v1, v1, v5, 0x7fff
	s_delay_alu instid0(VALU_DEP_1)
	v_lshrrev_b32_e32 v5, 16, v1
	s_branch .LBB62_1058
.LBB62_1056:
	s_mov_b32 s1, -1
                                        ; implicit-def: $vgpr5
.LBB62_1057:
	s_mov_b32 s9, 0
.LBB62_1058:
	s_delay_alu instid0(SALU_CYCLE_1)
	s_and_b32 vcc_lo, exec_lo, s9
	s_cbranch_vccz .LBB62_1076
; %bb.1059:
	s_cmp_lt_i32 s0, 27
	s_cbranch_scc1 .LBB62_1062
; %bb.1060:
	s_cmp_gt_i32 s0, 27
	s_cbranch_scc0 .LBB62_1063
; %bb.1061:
	global_load_b32 v1, v[2:3], off
	s_mov_b32 s9, 0
	s_wait_loadcnt 0x0
	v_cvt_f32_u32_e32 v1, v1
	s_delay_alu instid0(VALU_DEP_1) | instskip(NEXT) | instid1(VALU_DEP_1)
	v_bfe_u32 v5, v1, 16, 1
	v_add3_u32 v1, v1, v5, 0x7fff
	s_delay_alu instid0(VALU_DEP_1)
	v_lshrrev_b32_e32 v5, 16, v1
	s_branch .LBB62_1064
.LBB62_1062:
	s_mov_b32 s9, -1
                                        ; implicit-def: $vgpr5
	s_branch .LBB62_1067
.LBB62_1063:
	s_mov_b32 s9, -1
                                        ; implicit-def: $vgpr5
.LBB62_1064:
	s_delay_alu instid0(SALU_CYCLE_1)
	s_and_not1_b32 vcc_lo, exec_lo, s9
	s_cbranch_vccnz .LBB62_1066
; %bb.1065:
	global_load_u16 v1, v[2:3], off
	s_wait_loadcnt 0x0
	v_cvt_f32_u32_e32 v1, v1
	s_delay_alu instid0(VALU_DEP_1) | instskip(NEXT) | instid1(VALU_DEP_1)
	v_bfe_u32 v5, v1, 16, 1
	v_add3_u32 v1, v1, v5, 0x7fff
	s_delay_alu instid0(VALU_DEP_1)
	v_lshrrev_b32_e32 v5, 16, v1
.LBB62_1066:
	s_mov_b32 s9, 0
.LBB62_1067:
	s_delay_alu instid0(SALU_CYCLE_1)
	s_and_not1_b32 vcc_lo, exec_lo, s9
	s_cbranch_vccnz .LBB62_1075
; %bb.1068:
	global_load_u8 v1, v[2:3], off
	s_mov_b32 s9, 0
	s_mov_b32 s13, exec_lo
	s_wait_loadcnt 0x0
	v_cmpx_lt_i16_e32 0x7f, v1
	s_xor_b32 s13, exec_lo, s13
	s_cbranch_execz .LBB62_1088
; %bb.1069:
	s_mov_b32 s9, -1
	s_mov_b32 s14, exec_lo
	v_cmpx_eq_u16_e32 0x80, v1
; %bb.1070:
	s_xor_b32 s9, exec_lo, -1
; %bb.1071:
	s_or_b32 exec_lo, exec_lo, s14
	s_delay_alu instid0(SALU_CYCLE_1)
	s_and_b32 s9, s9, exec_lo
	s_or_saveexec_b32 s13, s13
	v_mov_b32_e32 v5, 0x7f800001
	s_xor_b32 exec_lo, exec_lo, s13
	s_cbranch_execnz .LBB62_1089
.LBB62_1072:
	s_or_b32 exec_lo, exec_lo, s13
	s_and_saveexec_b32 s13, s9
	s_cbranch_execz .LBB62_1074
.LBB62_1073:
	v_and_b32_e32 v5, 0xffff, v1
	s_delay_alu instid0(VALU_DEP_1) | instskip(SKIP_1) | instid1(VALU_DEP_2)
	v_and_b32_e32 v6, 7, v5
	v_bfe_u32 v9, v5, 3, 4
	v_clz_i32_u32_e32 v7, v6
	s_delay_alu instid0(VALU_DEP_2) | instskip(NEXT) | instid1(VALU_DEP_2)
	v_cmp_eq_u32_e32 vcc_lo, 0, v9
	v_min_u32_e32 v7, 32, v7
	s_delay_alu instid0(VALU_DEP_1) | instskip(NEXT) | instid1(VALU_DEP_1)
	v_subrev_nc_u32_e32 v8, 28, v7
	v_dual_lshlrev_b32 v5, v8, v5 :: v_dual_sub_nc_u32 v7, 29, v7
	s_delay_alu instid0(VALU_DEP_1) | instskip(NEXT) | instid1(VALU_DEP_2)
	v_and_b32_e32 v5, 7, v5
	v_dual_lshlrev_b32 v1, 24, v1 :: v_dual_cndmask_b32 v7, v9, v7, vcc_lo
	s_delay_alu instid0(VALU_DEP_2) | instskip(NEXT) | instid1(VALU_DEP_2)
	v_cndmask_b32_e32 v5, v6, v5, vcc_lo
	v_and_b32_e32 v1, 0x80000000, v1
	s_delay_alu instid0(VALU_DEP_3) | instskip(NEXT) | instid1(VALU_DEP_3)
	v_lshl_add_u32 v6, v7, 23, 0x3b800000
	v_lshlrev_b32_e32 v5, 20, v5
	s_delay_alu instid0(VALU_DEP_1)
	v_or3_b32 v5, v1, v6, v5
.LBB62_1074:
	s_or_b32 exec_lo, exec_lo, s13
	s_delay_alu instid0(VALU_DEP_1) | instskip(SKIP_1) | instid1(VALU_DEP_2)
	v_bfe_u32 v1, v5, 16, 1
	v_cmp_o_f32_e32 vcc_lo, v5, v5
	v_add3_u32 v1, v5, v1, 0x7fff
	s_delay_alu instid0(VALU_DEP_1) | instskip(NEXT) | instid1(VALU_DEP_1)
	v_lshrrev_b32_e32 v1, 16, v1
	v_cndmask_b32_e32 v5, 0x7fc0, v1, vcc_lo
.LBB62_1075:
	s_mov_b32 s13, -1
.LBB62_1076:
	s_branch .LBB62_1108
.LBB62_1077:
	s_cmp_gt_i32 s0, 22
	s_cbranch_scc0 .LBB62_1087
; %bb.1078:
	s_cmp_lt_i32 s0, 24
	s_cbranch_scc1 .LBB62_1090
; %bb.1079:
	s_cmp_gt_i32 s0, 24
	s_cbranch_scc0 .LBB62_1091
; %bb.1080:
	global_load_u8 v1, v[2:3], off
	s_mov_b32 s9, 0
	s_mov_b32 s10, exec_lo
	s_wait_loadcnt 0x0
	v_cmpx_lt_i16_e32 0x7f, v1
	s_xor_b32 s10, exec_lo, s10
	s_cbranch_execz .LBB62_1102
; %bb.1081:
	s_mov_b32 s9, -1
	s_mov_b32 s13, exec_lo
	v_cmpx_eq_u16_e32 0x80, v1
; %bb.1082:
	s_xor_b32 s9, exec_lo, -1
; %bb.1083:
	s_or_b32 exec_lo, exec_lo, s13
	s_delay_alu instid0(SALU_CYCLE_1)
	s_and_b32 s9, s9, exec_lo
	s_or_saveexec_b32 s10, s10
	v_mov_b32_e32 v5, 0x7f800001
	s_xor_b32 exec_lo, exec_lo, s10
	s_cbranch_execnz .LBB62_1103
.LBB62_1084:
	s_or_b32 exec_lo, exec_lo, s10
	s_and_saveexec_b32 s10, s9
	s_cbranch_execz .LBB62_1086
.LBB62_1085:
	v_and_b32_e32 v5, 0xffff, v1
	s_delay_alu instid0(VALU_DEP_1) | instskip(SKIP_1) | instid1(VALU_DEP_2)
	v_and_b32_e32 v6, 3, v5
	v_bfe_u32 v9, v5, 2, 5
	v_clz_i32_u32_e32 v7, v6
	s_delay_alu instid0(VALU_DEP_2) | instskip(NEXT) | instid1(VALU_DEP_2)
	v_cmp_eq_u32_e32 vcc_lo, 0, v9
	v_min_u32_e32 v7, 32, v7
	s_delay_alu instid0(VALU_DEP_1) | instskip(NEXT) | instid1(VALU_DEP_1)
	v_subrev_nc_u32_e32 v8, 29, v7
	v_dual_lshlrev_b32 v5, v8, v5 :: v_dual_sub_nc_u32 v7, 30, v7
	s_delay_alu instid0(VALU_DEP_1) | instskip(NEXT) | instid1(VALU_DEP_2)
	v_and_b32_e32 v5, 3, v5
	v_dual_lshlrev_b32 v1, 24, v1 :: v_dual_cndmask_b32 v7, v9, v7, vcc_lo
	s_delay_alu instid0(VALU_DEP_2) | instskip(NEXT) | instid1(VALU_DEP_2)
	v_cndmask_b32_e32 v5, v6, v5, vcc_lo
	v_and_b32_e32 v1, 0x80000000, v1
	s_delay_alu instid0(VALU_DEP_3) | instskip(NEXT) | instid1(VALU_DEP_3)
	v_lshl_add_u32 v6, v7, 23, 0x37800000
	v_lshlrev_b32_e32 v5, 21, v5
	s_delay_alu instid0(VALU_DEP_1)
	v_or3_b32 v5, v1, v6, v5
.LBB62_1086:
	s_or_b32 exec_lo, exec_lo, s10
	s_delay_alu instid0(VALU_DEP_1) | instskip(SKIP_2) | instid1(VALU_DEP_2)
	v_bfe_u32 v1, v5, 16, 1
	v_cmp_o_f32_e32 vcc_lo, v5, v5
	s_mov_b32 s9, 0
	v_add3_u32 v1, v5, v1, 0x7fff
	s_delay_alu instid0(VALU_DEP_1) | instskip(NEXT) | instid1(VALU_DEP_1)
	v_lshrrev_b32_e32 v1, 16, v1
	v_cndmask_b32_e32 v5, 0x7fc0, v1, vcc_lo
	s_branch .LBB62_1092
.LBB62_1087:
                                        ; implicit-def: $vgpr5
	s_mov_b32 s10, 0
	s_branch .LBB62_1098
.LBB62_1088:
	s_or_saveexec_b32 s13, s13
	v_mov_b32_e32 v5, 0x7f800001
	s_xor_b32 exec_lo, exec_lo, s13
	s_cbranch_execz .LBB62_1072
.LBB62_1089:
	v_cmp_ne_u16_e32 vcc_lo, 0, v1
	v_mov_b32_e32 v5, 0
	s_and_not1_b32 s9, s9, exec_lo
	s_and_b32 s14, vcc_lo, exec_lo
	s_delay_alu instid0(SALU_CYCLE_1)
	s_or_b32 s9, s9, s14
	s_or_b32 exec_lo, exec_lo, s13
	s_and_saveexec_b32 s13, s9
	s_cbranch_execnz .LBB62_1073
	s_branch .LBB62_1074
.LBB62_1090:
	s_mov_b32 s9, -1
                                        ; implicit-def: $vgpr5
	s_branch .LBB62_1095
.LBB62_1091:
	s_mov_b32 s9, -1
                                        ; implicit-def: $vgpr5
.LBB62_1092:
	s_delay_alu instid0(SALU_CYCLE_1)
	s_and_b32 vcc_lo, exec_lo, s9
	s_cbranch_vccz .LBB62_1094
; %bb.1093:
	global_load_u8 v1, v[2:3], off
	s_wait_loadcnt 0x0
	v_lshlrev_b32_e32 v1, 24, v1
	s_delay_alu instid0(VALU_DEP_1) | instskip(NEXT) | instid1(VALU_DEP_1)
	v_and_b32_e32 v5, 0x7f000000, v1
	v_clz_i32_u32_e32 v6, v5
	v_cmp_ne_u32_e32 vcc_lo, 0, v5
	v_add_nc_u32_e32 v8, 0x1000000, v5
	s_delay_alu instid0(VALU_DEP_3) | instskip(NEXT) | instid1(VALU_DEP_1)
	v_min_u32_e32 v6, 32, v6
	v_sub_nc_u32_e64 v6, v6, 4 clamp
	s_delay_alu instid0(VALU_DEP_1) | instskip(NEXT) | instid1(VALU_DEP_1)
	v_dual_lshlrev_b32 v7, v6, v5 :: v_dual_lshlrev_b32 v6, 23, v6
	v_lshrrev_b32_e32 v7, 4, v7
	s_delay_alu instid0(VALU_DEP_1) | instskip(NEXT) | instid1(VALU_DEP_1)
	v_dual_sub_nc_u32 v6, v7, v6 :: v_dual_ashrrev_i32 v7, 8, v8
	v_add_nc_u32_e32 v6, 0x3c000000, v6
	s_delay_alu instid0(VALU_DEP_1) | instskip(NEXT) | instid1(VALU_DEP_1)
	v_and_or_b32 v6, 0x7f800000, v7, v6
	v_cndmask_b32_e32 v5, 0, v6, vcc_lo
	s_delay_alu instid0(VALU_DEP_1) | instskip(SKIP_1) | instid1(VALU_DEP_2)
	v_and_or_b32 v1, 0x80000000, v1, v5
	v_bfe_u32 v5, v5, 16, 1
	v_cmp_o_f32_e32 vcc_lo, v1, v1
	s_delay_alu instid0(VALU_DEP_2) | instskip(NEXT) | instid1(VALU_DEP_1)
	v_add3_u32 v5, v1, v5, 0x7fff
	v_lshrrev_b32_e32 v5, 16, v5
	s_delay_alu instid0(VALU_DEP_1)
	v_cndmask_b32_e32 v5, 0x7fc0, v5, vcc_lo
.LBB62_1094:
	s_mov_b32 s9, 0
.LBB62_1095:
	s_delay_alu instid0(SALU_CYCLE_1)
	s_and_not1_b32 vcc_lo, exec_lo, s9
	s_cbranch_vccnz .LBB62_1097
; %bb.1096:
	global_load_u8 v1, v[2:3], off
	s_wait_loadcnt 0x0
	v_lshlrev_b32_e32 v5, 25, v1
	v_lshlrev_b16 v1, 8, v1
	s_delay_alu instid0(VALU_DEP_1) | instskip(SKIP_1) | instid1(VALU_DEP_2)
	v_and_or_b32 v7, 0x7f00, v1, 0.5
	v_bfe_i32 v1, v1, 0, 16
	v_dual_add_f32 v7, -0.5, v7 :: v_dual_lshrrev_b32 v6, 4, v5
	v_cmp_gt_u32_e32 vcc_lo, 0x8000000, v5
	s_delay_alu instid0(VALU_DEP_2) | instskip(NEXT) | instid1(VALU_DEP_1)
	v_or_b32_e32 v6, 0x70000000, v6
	v_mul_f32_e32 v6, 0x7800000, v6
	s_delay_alu instid0(VALU_DEP_1) | instskip(NEXT) | instid1(VALU_DEP_1)
	v_cndmask_b32_e32 v5, v6, v7, vcc_lo
	v_and_or_b32 v1, 0x80000000, v1, v5
	v_bfe_u32 v5, v5, 16, 1
	s_delay_alu instid0(VALU_DEP_2) | instskip(NEXT) | instid1(VALU_DEP_2)
	v_cmp_o_f32_e32 vcc_lo, v1, v1
	v_add3_u32 v5, v1, v5, 0x7fff
	s_delay_alu instid0(VALU_DEP_1) | instskip(NEXT) | instid1(VALU_DEP_1)
	v_lshrrev_b32_e32 v5, 16, v5
	v_cndmask_b32_e32 v5, 0x7fc0, v5, vcc_lo
.LBB62_1097:
	s_mov_b32 s13, -1
	s_mov_b32 s10, 0
	s_cbranch_execnz .LBB62_1108
.LBB62_1098:
	s_cmp_gt_i32 s0, 14
	s_cbranch_scc0 .LBB62_1101
; %bb.1099:
	s_cmp_eq_u32 s0, 15
	s_cbranch_scc0 .LBB62_1104
; %bb.1100:
	s_wait_loadcnt 0x0
	global_load_u16 v5, v[2:3], off
	s_mov_b32 s1, 0
	s_mov_b32 s13, -1
	s_branch .LBB62_1105
.LBB62_1101:
	s_mov_b32 s9, -1
                                        ; implicit-def: $vgpr5
	s_branch .LBB62_1106
.LBB62_1102:
	s_or_saveexec_b32 s10, s10
	v_mov_b32_e32 v5, 0x7f800001
	s_xor_b32 exec_lo, exec_lo, s10
	s_cbranch_execz .LBB62_1084
.LBB62_1103:
	v_cmp_ne_u16_e32 vcc_lo, 0, v1
	v_mov_b32_e32 v5, 0
	s_and_not1_b32 s9, s9, exec_lo
	s_and_b32 s13, vcc_lo, exec_lo
	s_delay_alu instid0(SALU_CYCLE_1)
	s_or_b32 s9, s9, s13
	s_or_b32 exec_lo, exec_lo, s10
	s_and_saveexec_b32 s10, s9
	s_cbranch_execnz .LBB62_1085
	s_branch .LBB62_1086
.LBB62_1104:
	s_mov_b32 s1, -1
                                        ; implicit-def: $vgpr5
.LBB62_1105:
	s_mov_b32 s9, 0
.LBB62_1106:
	s_delay_alu instid0(SALU_CYCLE_1)
	s_and_b32 vcc_lo, exec_lo, s9
	s_cbranch_vccz .LBB62_1108
; %bb.1107:
	s_cmp_lg_u32 s0, 11
	s_mov_b32 s10, -1
	s_cselect_b32 s1, -1, 0
.LBB62_1108:
	s_delay_alu instid0(SALU_CYCLE_1)
	s_and_b32 vcc_lo, exec_lo, s1
	s_mov_b32 s9, s12
	s_cbranch_vccnz .LBB62_1169
; %bb.1109:
	s_and_not1_b32 vcc_lo, exec_lo, s10
	s_cbranch_vccnz .LBB62_1111
.LBB62_1110:
	global_load_u8 v1, v[2:3], off
	s_mov_b32 s13, -1
	s_wait_loadcnt 0x0
	v_cmp_ne_u16_e32 vcc_lo, 0, v1
	v_cndmask_b32_e64 v1, 0, 1.0, vcc_lo
	s_delay_alu instid0(VALU_DEP_1)
	v_lshrrev_b32_e32 v5, 16, v1
.LBB62_1111:
	s_branch .LBB62_1040
.LBB62_1112:
	s_cmp_lt_i32 s0, 5
	s_cbranch_scc1 .LBB62_1117
; %bb.1113:
	s_cmp_lt_i32 s0, 8
	s_cbranch_scc1 .LBB62_1118
; %bb.1114:
	;; [unrolled: 3-line block ×3, first 2 shown]
	s_cmp_gt_i32 s0, 9
	s_cbranch_scc0 .LBB62_1120
; %bb.1116:
	global_load_b64 v[6:7], v[2:3], off
	s_mov_b32 s1, 0
	s_wait_loadcnt 0x0
	v_cvt_f32_f64_e32 v1, v[6:7]
	s_delay_alu instid0(VALU_DEP_1) | instskip(SKIP_1) | instid1(VALU_DEP_2)
	v_bfe_u32 v5, v1, 16, 1
	v_cmp_o_f32_e32 vcc_lo, v1, v1
	v_add3_u32 v5, v1, v5, 0x7fff
	s_delay_alu instid0(VALU_DEP_1) | instskip(NEXT) | instid1(VALU_DEP_1)
	v_lshrrev_b32_e32 v5, 16, v5
	v_cndmask_b32_e32 v5, 0x7fc0, v5, vcc_lo
	s_branch .LBB62_1121
.LBB62_1117:
                                        ; implicit-def: $vgpr5
	s_branch .LBB62_1138
.LBB62_1118:
                                        ; implicit-def: $vgpr5
	s_branch .LBB62_1127
.LBB62_1119:
	s_mov_b32 s1, -1
                                        ; implicit-def: $vgpr5
	s_branch .LBB62_1124
.LBB62_1120:
	s_mov_b32 s1, -1
                                        ; implicit-def: $vgpr5
.LBB62_1121:
	s_delay_alu instid0(SALU_CYCLE_1)
	s_and_not1_b32 vcc_lo, exec_lo, s1
	s_cbranch_vccnz .LBB62_1123
; %bb.1122:
	global_load_b32 v1, v[2:3], off
	s_wait_loadcnt 0x0
	v_bfe_u32 v5, v1, 16, 1
	v_cmp_o_f32_e32 vcc_lo, v1, v1
	s_delay_alu instid0(VALU_DEP_2) | instskip(NEXT) | instid1(VALU_DEP_1)
	v_add3_u32 v5, v1, v5, 0x7fff
	v_lshrrev_b32_e32 v5, 16, v5
	s_delay_alu instid0(VALU_DEP_1)
	v_cndmask_b32_e32 v5, 0x7fc0, v5, vcc_lo
.LBB62_1123:
	s_mov_b32 s1, 0
.LBB62_1124:
	s_delay_alu instid0(SALU_CYCLE_1)
	s_and_not1_b32 vcc_lo, exec_lo, s1
	s_cbranch_vccnz .LBB62_1126
; %bb.1125:
	global_load_b32 v1, v[2:3], off
	s_wait_loadcnt 0x0
	v_cvt_f32_f16_e32 v5, v1
	v_cmp_o_f16_e32 vcc_lo, v1, v1
	s_delay_alu instid0(VALU_DEP_2) | instskip(NEXT) | instid1(VALU_DEP_1)
	v_bfe_u32 v6, v5, 16, 1
	v_add3_u32 v5, v5, v6, 0x7fff
	s_delay_alu instid0(VALU_DEP_1) | instskip(NEXT) | instid1(VALU_DEP_1)
	v_lshrrev_b32_e32 v5, 16, v5
	v_cndmask_b32_e32 v5, 0x7fc0, v5, vcc_lo
.LBB62_1126:
	s_cbranch_execnz .LBB62_1137
.LBB62_1127:
	s_cmp_lt_i32 s0, 6
	s_cbranch_scc1 .LBB62_1130
; %bb.1128:
	s_cmp_gt_i32 s0, 6
	s_cbranch_scc0 .LBB62_1131
; %bb.1129:
	global_load_b64 v[6:7], v[2:3], off
	s_mov_b32 s1, 0
	s_wait_loadcnt 0x0
	v_cvt_f32_f64_e32 v1, v[6:7]
	s_delay_alu instid0(VALU_DEP_1) | instskip(SKIP_1) | instid1(VALU_DEP_2)
	v_bfe_u32 v5, v1, 16, 1
	v_cmp_o_f32_e32 vcc_lo, v1, v1
	v_add3_u32 v5, v1, v5, 0x7fff
	s_delay_alu instid0(VALU_DEP_1) | instskip(NEXT) | instid1(VALU_DEP_1)
	v_lshrrev_b32_e32 v5, 16, v5
	v_cndmask_b32_e32 v5, 0x7fc0, v5, vcc_lo
	s_branch .LBB62_1132
.LBB62_1130:
	s_mov_b32 s1, -1
                                        ; implicit-def: $vgpr5
	s_branch .LBB62_1135
.LBB62_1131:
	s_mov_b32 s1, -1
                                        ; implicit-def: $vgpr5
.LBB62_1132:
	s_delay_alu instid0(SALU_CYCLE_1)
	s_and_not1_b32 vcc_lo, exec_lo, s1
	s_cbranch_vccnz .LBB62_1134
; %bb.1133:
	global_load_b32 v1, v[2:3], off
	s_wait_loadcnt 0x0
	v_bfe_u32 v5, v1, 16, 1
	v_cmp_o_f32_e32 vcc_lo, v1, v1
	s_delay_alu instid0(VALU_DEP_2) | instskip(NEXT) | instid1(VALU_DEP_1)
	v_add3_u32 v5, v1, v5, 0x7fff
	v_lshrrev_b32_e32 v5, 16, v5
	s_delay_alu instid0(VALU_DEP_1)
	v_cndmask_b32_e32 v5, 0x7fc0, v5, vcc_lo
.LBB62_1134:
	s_mov_b32 s1, 0
.LBB62_1135:
	s_delay_alu instid0(SALU_CYCLE_1)
	s_and_not1_b32 vcc_lo, exec_lo, s1
	s_cbranch_vccnz .LBB62_1137
; %bb.1136:
	global_load_u16 v1, v[2:3], off
	s_wait_loadcnt 0x0
	v_cvt_f32_f16_e32 v5, v1
	v_cmp_o_f16_e32 vcc_lo, v1, v1
	s_delay_alu instid0(VALU_DEP_2) | instskip(NEXT) | instid1(VALU_DEP_1)
	v_bfe_u32 v6, v5, 16, 1
	v_add3_u32 v5, v5, v6, 0x7fff
	s_delay_alu instid0(VALU_DEP_1) | instskip(NEXT) | instid1(VALU_DEP_1)
	v_lshrrev_b32_e32 v5, 16, v5
	v_cndmask_b32_e32 v5, 0x7fc0, v5, vcc_lo
.LBB62_1137:
	s_cbranch_execnz .LBB62_1156
.LBB62_1138:
	s_cmp_lt_i32 s0, 2
	s_cbranch_scc1 .LBB62_1142
; %bb.1139:
	s_cmp_lt_i32 s0, 3
	s_cbranch_scc1 .LBB62_1143
; %bb.1140:
	s_cmp_gt_i32 s0, 3
	s_cbranch_scc0 .LBB62_1144
; %bb.1141:
	global_load_b64 v[6:7], v[2:3], off
	s_mov_b32 s1, 0
	s_wait_loadcnt 0x0
	v_xor_b32_e32 v1, v6, v7
	v_cls_i32_e32 v5, v7
	s_delay_alu instid0(VALU_DEP_2) | instskip(NEXT) | instid1(VALU_DEP_1)
	v_ashrrev_i32_e32 v1, 31, v1
	v_add_nc_u32_e32 v1, 32, v1
	s_delay_alu instid0(VALU_DEP_1) | instskip(NEXT) | instid1(VALU_DEP_1)
	v_add_min_u32_e64 v1, v5, -1, v1
	v_lshlrev_b64_e32 v[6:7], v1, v[6:7]
	v_sub_nc_u32_e32 v1, 32, v1
	s_delay_alu instid0(VALU_DEP_2) | instskip(NEXT) | instid1(VALU_DEP_1)
	v_min_u32_e32 v5, 1, v6
	v_or_b32_e32 v5, v7, v5
	s_delay_alu instid0(VALU_DEP_1) | instskip(NEXT) | instid1(VALU_DEP_1)
	v_cvt_f32_i32_e32 v5, v5
	v_ldexp_f32 v1, v5, v1
	s_delay_alu instid0(VALU_DEP_1) | instskip(NEXT) | instid1(VALU_DEP_1)
	v_bfe_u32 v5, v1, 16, 1
	v_add3_u32 v1, v1, v5, 0x7fff
	s_delay_alu instid0(VALU_DEP_1)
	v_lshrrev_b32_e32 v5, 16, v1
	s_branch .LBB62_1145
.LBB62_1142:
                                        ; implicit-def: $vgpr5
	s_branch .LBB62_1151
.LBB62_1143:
	s_mov_b32 s1, -1
                                        ; implicit-def: $vgpr5
	s_branch .LBB62_1148
.LBB62_1144:
	s_mov_b32 s1, -1
                                        ; implicit-def: $vgpr5
.LBB62_1145:
	s_delay_alu instid0(SALU_CYCLE_1)
	s_and_not1_b32 vcc_lo, exec_lo, s1
	s_cbranch_vccnz .LBB62_1147
; %bb.1146:
	global_load_b32 v1, v[2:3], off
	s_wait_loadcnt 0x0
	v_cvt_f32_i32_e32 v1, v1
	s_delay_alu instid0(VALU_DEP_1) | instskip(NEXT) | instid1(VALU_DEP_1)
	v_bfe_u32 v5, v1, 16, 1
	v_add3_u32 v1, v1, v5, 0x7fff
	s_delay_alu instid0(VALU_DEP_1)
	v_lshrrev_b32_e32 v5, 16, v1
.LBB62_1147:
	s_mov_b32 s1, 0
.LBB62_1148:
	s_delay_alu instid0(SALU_CYCLE_1)
	s_and_not1_b32 vcc_lo, exec_lo, s1
	s_cbranch_vccnz .LBB62_1150
; %bb.1149:
	global_load_i16 v1, v[2:3], off
	s_wait_loadcnt 0x0
	v_cvt_f32_i32_e32 v1, v1
	s_delay_alu instid0(VALU_DEP_1) | instskip(NEXT) | instid1(VALU_DEP_1)
	v_bfe_u32 v5, v1, 16, 1
	v_add3_u32 v1, v1, v5, 0x7fff
	s_delay_alu instid0(VALU_DEP_1)
	v_lshrrev_b32_e32 v5, 16, v1
.LBB62_1150:
	s_cbranch_execnz .LBB62_1156
.LBB62_1151:
	s_cmp_gt_i32 s0, 0
	s_mov_b32 s1, 0
	s_cbranch_scc0 .LBB62_1153
; %bb.1152:
	global_load_i8 v1, v[2:3], off
	s_wait_loadcnt 0x0
	v_cvt_f32_i32_e32 v1, v1
	s_delay_alu instid0(VALU_DEP_1) | instskip(NEXT) | instid1(VALU_DEP_1)
	v_bfe_u32 v5, v1, 16, 1
	v_add3_u32 v1, v1, v5, 0x7fff
	s_delay_alu instid0(VALU_DEP_1)
	v_lshrrev_b32_e32 v5, 16, v1
	s_branch .LBB62_1154
.LBB62_1153:
	s_mov_b32 s1, -1
                                        ; implicit-def: $vgpr5
.LBB62_1154:
	s_delay_alu instid0(SALU_CYCLE_1)
	s_and_not1_b32 vcc_lo, exec_lo, s1
	s_cbranch_vccnz .LBB62_1156
; %bb.1155:
	global_load_u8 v1, v[2:3], off
	s_wait_loadcnt 0x0
	v_cvt_f32_ubyte0_e32 v1, v1
	s_wait_xcnt 0x0
	s_delay_alu instid0(VALU_DEP_1) | instskip(NEXT) | instid1(VALU_DEP_1)
	v_bfe_u32 v2, v1, 16, 1
	v_add3_u32 v1, v1, v2, 0x7fff
	s_delay_alu instid0(VALU_DEP_1)
	v_lshrrev_b32_e32 v5, 16, v1
.LBB62_1156:
.LBB62_1157:
	s_lshl_b32 s1, s3, 7
	s_cmp_lt_i32 s0, 11
	v_add_nc_u32_e32 v0, s1, v0
	s_delay_alu instid0(VALU_DEP_1) | instskip(SKIP_1) | instid1(VALU_DEP_1)
	v_ashrrev_i32_e32 v1, 31, v0
	s_wait_xcnt 0x0
	v_add_nc_u64_e32 v[2:3], s[6:7], v[0:1]
	s_cbranch_scc1 .LBB62_1164
; %bb.1158:
	s_cmp_gt_i32 s0, 25
	s_mov_b32 s10, 0
	s_cbranch_scc0 .LBB62_1166
; %bb.1159:
	s_cmp_gt_i32 s0, 28
	s_cbranch_scc0 .LBB62_1167
; %bb.1160:
	s_cmp_gt_i32 s0, 43
	;; [unrolled: 3-line block ×3, first 2 shown]
	s_cbranch_scc0 .LBB62_1170
; %bb.1162:
	s_cmp_eq_u32 s0, 46
	s_mov_b32 s14, 0
	s_cbranch_scc0 .LBB62_1173
; %bb.1163:
	global_load_b32 v6, v[2:3], off
	s_mov_b32 s3, 0
	s_mov_b32 s13, -1
	s_branch .LBB62_1175
.LBB62_1164:
	s_mov_b32 s13, 0
                                        ; implicit-def: $vgpr6
	s_cbranch_execnz .LBB62_1240
.LBB62_1165:
	s_and_not1_b32 vcc_lo, exec_lo, s13
	s_cbranch_vccnz .LBB62_1981
	s_branch .LBB62_1287
.LBB62_1166:
	s_mov_b32 s13, 0
	s_mov_b32 s3, 0
                                        ; implicit-def: $vgpr6
	s_cbranch_execnz .LBB62_1204
	s_branch .LBB62_1236
.LBB62_1167:
	s_mov_b32 s14, -1
	s_mov_b32 s13, 0
	s_mov_b32 s3, 0
                                        ; implicit-def: $vgpr6
	s_branch .LBB62_1185
.LBB62_1168:
	s_mov_b32 s14, -1
	s_mov_b32 s13, 0
	s_mov_b32 s3, 0
                                        ; implicit-def: $vgpr6
	s_branch .LBB62_1180
.LBB62_1169:
	s_or_b32 s9, s12, exec_lo
	s_trap 2
	s_cbranch_execz .LBB62_1110
	s_branch .LBB62_1111
.LBB62_1170:
	s_mov_b32 s14, -1
	s_mov_b32 s13, 0
	s_mov_b32 s3, 0
	s_branch .LBB62_1174
.LBB62_1171:
	s_and_not1_saveexec_b32 s20, s20
	s_cbranch_execz .LBB62_956
.LBB62_1172:
	v_add_f32_e32 v2, 0x42800000, v3
	s_and_not1_b32 s19, s19, exec_lo
	s_delay_alu instid0(VALU_DEP_1) | instskip(NEXT) | instid1(VALU_DEP_1)
	v_and_b32_e32 v2, 0xff, v2
	v_cmp_ne_u32_e32 vcc_lo, 0, v2
	s_and_b32 s21, vcc_lo, exec_lo
	s_delay_alu instid0(SALU_CYCLE_1)
	s_or_b32 s19, s19, s21
	s_or_b32 exec_lo, exec_lo, s20
	v_mov_b32_e32 v4, 0
	s_and_saveexec_b32 s20, s19
	s_cbranch_execnz .LBB62_957
	s_branch .LBB62_958
.LBB62_1173:
	s_mov_b32 s3, -1
	s_mov_b32 s13, 0
.LBB62_1174:
                                        ; implicit-def: $vgpr6
.LBB62_1175:
	s_and_b32 vcc_lo, exec_lo, s14
	s_cbranch_vccz .LBB62_1179
; %bb.1176:
	s_cmp_eq_u32 s0, 44
	s_cbranch_scc0 .LBB62_1178
; %bb.1177:
	global_load_u8 v1, v[2:3], off
	s_mov_b32 s3, 0
	s_mov_b32 s13, -1
	s_wait_loadcnt 0x0
	v_lshlrev_b32_e32 v6, 23, v1
	v_cmp_ne_u32_e32 vcc_lo, 0xff, v1
	s_delay_alu instid0(VALU_DEP_2) | instskip(SKIP_1) | instid1(VALU_DEP_2)
	v_cndmask_b32_e32 v6, 0x7f800001, v6, vcc_lo
	v_cmp_ne_u32_e32 vcc_lo, 0, v1
	v_cndmask_b32_e32 v1, 0x400000, v6, vcc_lo
	s_delay_alu instid0(VALU_DEP_1) | instskip(NEXT) | instid1(VALU_DEP_1)
	v_add_nc_u32_e32 v6, 0x7fff, v1
	v_lshrrev_b32_e32 v6, 16, v6
	v_cmp_o_f32_e32 vcc_lo, v1, v1
	s_delay_alu instid0(VALU_DEP_2)
	v_cndmask_b32_e32 v6, 0x7fc0, v6, vcc_lo
	s_branch .LBB62_1179
.LBB62_1178:
	s_mov_b32 s3, -1
                                        ; implicit-def: $vgpr6
.LBB62_1179:
	s_mov_b32 s14, 0
.LBB62_1180:
	s_delay_alu instid0(SALU_CYCLE_1)
	s_and_b32 vcc_lo, exec_lo, s14
	s_cbranch_vccz .LBB62_1184
; %bb.1181:
	s_cmp_eq_u32 s0, 29
	s_cbranch_scc0 .LBB62_1183
; %bb.1182:
	s_wait_loadcnt 0x0
	global_load_b64 v[6:7], v[2:3], off
	s_mov_b32 s3, 0
	s_mov_b32 s13, -1
	s_mov_b32 s14, 0
	s_wait_loadcnt 0x0
	v_clz_i32_u32_e32 v1, v7
	s_delay_alu instid0(VALU_DEP_1) | instskip(NEXT) | instid1(VALU_DEP_1)
	v_min_u32_e32 v1, 32, v1
	v_lshlrev_b64_e32 v[6:7], v1, v[6:7]
	v_sub_nc_u32_e32 v1, 32, v1
	s_delay_alu instid0(VALU_DEP_2) | instskip(NEXT) | instid1(VALU_DEP_1)
	v_min_u32_e32 v6, 1, v6
	v_or_b32_e32 v6, v7, v6
	s_delay_alu instid0(VALU_DEP_1) | instskip(NEXT) | instid1(VALU_DEP_1)
	v_cvt_f32_u32_e32 v6, v6
	v_ldexp_f32 v1, v6, v1
	s_delay_alu instid0(VALU_DEP_1) | instskip(NEXT) | instid1(VALU_DEP_1)
	v_bfe_u32 v6, v1, 16, 1
	v_add3_u32 v1, v1, v6, 0x7fff
	s_delay_alu instid0(VALU_DEP_1)
	v_lshrrev_b32_e32 v6, 16, v1
	s_branch .LBB62_1185
.LBB62_1183:
	s_mov_b32 s3, -1
                                        ; implicit-def: $vgpr6
.LBB62_1184:
	s_mov_b32 s14, 0
.LBB62_1185:
	s_delay_alu instid0(SALU_CYCLE_1)
	s_and_b32 vcc_lo, exec_lo, s14
	s_cbranch_vccz .LBB62_1203
; %bb.1186:
	s_cmp_lt_i32 s0, 27
	s_cbranch_scc1 .LBB62_1189
; %bb.1187:
	s_cmp_gt_i32 s0, 27
	s_cbranch_scc0 .LBB62_1190
; %bb.1188:
	global_load_b32 v1, v[2:3], off
	s_mov_b32 s13, 0
	s_wait_loadcnt 0x0
	v_cvt_f32_u32_e32 v1, v1
	s_delay_alu instid0(VALU_DEP_1) | instskip(NEXT) | instid1(VALU_DEP_1)
	v_bfe_u32 v6, v1, 16, 1
	v_add3_u32 v1, v1, v6, 0x7fff
	s_delay_alu instid0(VALU_DEP_1)
	v_lshrrev_b32_e32 v6, 16, v1
	s_branch .LBB62_1191
.LBB62_1189:
	s_mov_b32 s13, -1
                                        ; implicit-def: $vgpr6
	s_branch .LBB62_1194
.LBB62_1190:
	s_mov_b32 s13, -1
                                        ; implicit-def: $vgpr6
.LBB62_1191:
	s_delay_alu instid0(SALU_CYCLE_1)
	s_and_not1_b32 vcc_lo, exec_lo, s13
	s_cbranch_vccnz .LBB62_1193
; %bb.1192:
	global_load_u16 v1, v[2:3], off
	s_wait_loadcnt 0x0
	v_cvt_f32_u32_e32 v1, v1
	s_delay_alu instid0(VALU_DEP_1) | instskip(NEXT) | instid1(VALU_DEP_1)
	v_bfe_u32 v6, v1, 16, 1
	v_add3_u32 v1, v1, v6, 0x7fff
	s_delay_alu instid0(VALU_DEP_1)
	v_lshrrev_b32_e32 v6, 16, v1
.LBB62_1193:
	s_mov_b32 s13, 0
.LBB62_1194:
	s_delay_alu instid0(SALU_CYCLE_1)
	s_and_not1_b32 vcc_lo, exec_lo, s13
	s_cbranch_vccnz .LBB62_1202
; %bb.1195:
	global_load_u8 v1, v[2:3], off
	s_mov_b32 s13, 0
	s_mov_b32 s14, exec_lo
	s_wait_loadcnt 0x0
	v_cmpx_lt_i16_e32 0x7f, v1
	s_xor_b32 s14, exec_lo, s14
	s_cbranch_execz .LBB62_1215
; %bb.1196:
	s_mov_b32 s13, -1
	s_mov_b32 s15, exec_lo
	v_cmpx_eq_u16_e32 0x80, v1
; %bb.1197:
	s_xor_b32 s13, exec_lo, -1
; %bb.1198:
	s_or_b32 exec_lo, exec_lo, s15
	s_delay_alu instid0(SALU_CYCLE_1)
	s_and_b32 s13, s13, exec_lo
	s_or_saveexec_b32 s14, s14
	v_mov_b32_e32 v6, 0x7f800001
	s_xor_b32 exec_lo, exec_lo, s14
	s_cbranch_execnz .LBB62_1216
.LBB62_1199:
	s_or_b32 exec_lo, exec_lo, s14
	s_and_saveexec_b32 s14, s13
	s_cbranch_execz .LBB62_1201
.LBB62_1200:
	v_and_b32_e32 v6, 0xffff, v1
	s_delay_alu instid0(VALU_DEP_1) | instskip(SKIP_1) | instid1(VALU_DEP_2)
	v_and_b32_e32 v7, 7, v6
	v_bfe_u32 v10, v6, 3, 4
	v_clz_i32_u32_e32 v8, v7
	s_delay_alu instid0(VALU_DEP_2) | instskip(NEXT) | instid1(VALU_DEP_2)
	v_cmp_eq_u32_e32 vcc_lo, 0, v10
	v_min_u32_e32 v8, 32, v8
	s_delay_alu instid0(VALU_DEP_1) | instskip(NEXT) | instid1(VALU_DEP_1)
	v_subrev_nc_u32_e32 v9, 28, v8
	v_dual_lshlrev_b32 v6, v9, v6 :: v_dual_sub_nc_u32 v8, 29, v8
	s_delay_alu instid0(VALU_DEP_1) | instskip(NEXT) | instid1(VALU_DEP_1)
	v_dual_lshlrev_b32 v1, 24, v1 :: v_dual_bitop2_b32 v6, 7, v6 bitop3:0x40
	v_dual_cndmask_b32 v8, v10, v8, vcc_lo :: v_dual_cndmask_b32 v6, v7, v6, vcc_lo
	s_delay_alu instid0(VALU_DEP_2) | instskip(NEXT) | instid1(VALU_DEP_2)
	v_and_b32_e32 v1, 0x80000000, v1
	v_lshl_add_u32 v7, v8, 23, 0x3b800000
	s_delay_alu instid0(VALU_DEP_3) | instskip(NEXT) | instid1(VALU_DEP_1)
	v_lshlrev_b32_e32 v6, 20, v6
	v_or3_b32 v6, v1, v7, v6
.LBB62_1201:
	s_or_b32 exec_lo, exec_lo, s14
	s_delay_alu instid0(VALU_DEP_1) | instskip(SKIP_1) | instid1(VALU_DEP_2)
	v_bfe_u32 v1, v6, 16, 1
	v_cmp_o_f32_e32 vcc_lo, v6, v6
	v_add3_u32 v1, v6, v1, 0x7fff
	s_delay_alu instid0(VALU_DEP_1) | instskip(NEXT) | instid1(VALU_DEP_1)
	v_lshrrev_b32_e32 v1, 16, v1
	v_cndmask_b32_e32 v6, 0x7fc0, v1, vcc_lo
.LBB62_1202:
	s_mov_b32 s13, -1
.LBB62_1203:
	s_branch .LBB62_1236
.LBB62_1204:
	s_cmp_gt_i32 s0, 22
	s_cbranch_scc0 .LBB62_1214
; %bb.1205:
	s_cmp_lt_i32 s0, 24
	s_cbranch_scc1 .LBB62_1217
; %bb.1206:
	s_cmp_gt_i32 s0, 24
	s_cbranch_scc0 .LBB62_1218
; %bb.1207:
	global_load_u8 v1, v[2:3], off
	s_mov_b32 s13, exec_lo
	s_wait_loadcnt 0x0
	v_cmpx_lt_i16_e32 0x7f, v1
	s_xor_b32 s13, exec_lo, s13
	s_cbranch_execz .LBB62_1230
; %bb.1208:
	s_mov_b32 s10, -1
	s_mov_b32 s14, exec_lo
	v_cmpx_eq_u16_e32 0x80, v1
; %bb.1209:
	s_xor_b32 s10, exec_lo, -1
; %bb.1210:
	s_or_b32 exec_lo, exec_lo, s14
	s_delay_alu instid0(SALU_CYCLE_1)
	s_and_b32 s10, s10, exec_lo
	s_or_saveexec_b32 s13, s13
	v_mov_b32_e32 v6, 0x7f800001
	s_xor_b32 exec_lo, exec_lo, s13
	s_cbranch_execnz .LBB62_1231
.LBB62_1211:
	s_or_b32 exec_lo, exec_lo, s13
	s_and_saveexec_b32 s13, s10
	s_cbranch_execz .LBB62_1213
.LBB62_1212:
	v_and_b32_e32 v6, 0xffff, v1
	s_delay_alu instid0(VALU_DEP_1) | instskip(SKIP_1) | instid1(VALU_DEP_2)
	v_and_b32_e32 v7, 3, v6
	v_bfe_u32 v10, v6, 2, 5
	v_clz_i32_u32_e32 v8, v7
	s_delay_alu instid0(VALU_DEP_2) | instskip(NEXT) | instid1(VALU_DEP_2)
	v_cmp_eq_u32_e32 vcc_lo, 0, v10
	v_min_u32_e32 v8, 32, v8
	s_delay_alu instid0(VALU_DEP_1) | instskip(NEXT) | instid1(VALU_DEP_1)
	v_subrev_nc_u32_e32 v9, 29, v8
	v_dual_lshlrev_b32 v6, v9, v6 :: v_dual_sub_nc_u32 v8, 30, v8
	s_delay_alu instid0(VALU_DEP_1) | instskip(NEXT) | instid1(VALU_DEP_1)
	v_dual_lshlrev_b32 v1, 24, v1 :: v_dual_bitop2_b32 v6, 3, v6 bitop3:0x40
	v_dual_cndmask_b32 v8, v10, v8, vcc_lo :: v_dual_cndmask_b32 v6, v7, v6, vcc_lo
	s_delay_alu instid0(VALU_DEP_2) | instskip(NEXT) | instid1(VALU_DEP_2)
	v_and_b32_e32 v1, 0x80000000, v1
	v_lshl_add_u32 v7, v8, 23, 0x37800000
	s_delay_alu instid0(VALU_DEP_3) | instskip(NEXT) | instid1(VALU_DEP_1)
	v_lshlrev_b32_e32 v6, 21, v6
	v_or3_b32 v6, v1, v7, v6
.LBB62_1213:
	s_or_b32 exec_lo, exec_lo, s13
	s_delay_alu instid0(VALU_DEP_1) | instskip(SKIP_2) | instid1(VALU_DEP_2)
	v_bfe_u32 v1, v6, 16, 1
	v_cmp_o_f32_e32 vcc_lo, v6, v6
	s_mov_b32 s10, 0
	v_add3_u32 v1, v6, v1, 0x7fff
	s_delay_alu instid0(VALU_DEP_1) | instskip(NEXT) | instid1(VALU_DEP_1)
	v_lshrrev_b32_e32 v1, 16, v1
	v_cndmask_b32_e32 v6, 0x7fc0, v1, vcc_lo
	s_branch .LBB62_1219
.LBB62_1214:
	s_mov_b32 s10, -1
                                        ; implicit-def: $vgpr6
	s_branch .LBB62_1225
.LBB62_1215:
	s_or_saveexec_b32 s14, s14
	v_mov_b32_e32 v6, 0x7f800001
	s_xor_b32 exec_lo, exec_lo, s14
	s_cbranch_execz .LBB62_1199
.LBB62_1216:
	v_cmp_ne_u16_e32 vcc_lo, 0, v1
	v_mov_b32_e32 v6, 0
	s_and_not1_b32 s13, s13, exec_lo
	s_and_b32 s15, vcc_lo, exec_lo
	s_delay_alu instid0(SALU_CYCLE_1)
	s_or_b32 s13, s13, s15
	s_or_b32 exec_lo, exec_lo, s14
	s_and_saveexec_b32 s14, s13
	s_cbranch_execnz .LBB62_1200
	s_branch .LBB62_1201
.LBB62_1217:
	s_mov_b32 s10, -1
                                        ; implicit-def: $vgpr6
	s_branch .LBB62_1222
.LBB62_1218:
	s_mov_b32 s10, -1
                                        ; implicit-def: $vgpr6
.LBB62_1219:
	s_delay_alu instid0(SALU_CYCLE_1)
	s_and_b32 vcc_lo, exec_lo, s10
	s_cbranch_vccz .LBB62_1221
; %bb.1220:
	global_load_u8 v1, v[2:3], off
	s_wait_loadcnt 0x0
	v_lshlrev_b32_e32 v1, 24, v1
	s_delay_alu instid0(VALU_DEP_1) | instskip(NEXT) | instid1(VALU_DEP_1)
	v_and_b32_e32 v6, 0x7f000000, v1
	v_clz_i32_u32_e32 v7, v6
	v_cmp_ne_u32_e32 vcc_lo, 0, v6
	v_add_nc_u32_e32 v9, 0x1000000, v6
	s_delay_alu instid0(VALU_DEP_3) | instskip(NEXT) | instid1(VALU_DEP_1)
	v_min_u32_e32 v7, 32, v7
	v_sub_nc_u32_e64 v7, v7, 4 clamp
	s_delay_alu instid0(VALU_DEP_1) | instskip(NEXT) | instid1(VALU_DEP_1)
	v_dual_lshlrev_b32 v8, v7, v6 :: v_dual_lshlrev_b32 v7, 23, v7
	v_lshrrev_b32_e32 v8, 4, v8
	s_delay_alu instid0(VALU_DEP_1) | instskip(NEXT) | instid1(VALU_DEP_1)
	v_dual_sub_nc_u32 v7, v8, v7 :: v_dual_ashrrev_i32 v8, 8, v9
	v_add_nc_u32_e32 v7, 0x3c000000, v7
	s_delay_alu instid0(VALU_DEP_1) | instskip(NEXT) | instid1(VALU_DEP_1)
	v_and_or_b32 v7, 0x7f800000, v8, v7
	v_cndmask_b32_e32 v6, 0, v7, vcc_lo
	s_delay_alu instid0(VALU_DEP_1) | instskip(SKIP_1) | instid1(VALU_DEP_2)
	v_and_or_b32 v1, 0x80000000, v1, v6
	v_bfe_u32 v6, v6, 16, 1
	v_cmp_o_f32_e32 vcc_lo, v1, v1
	s_delay_alu instid0(VALU_DEP_2) | instskip(NEXT) | instid1(VALU_DEP_1)
	v_add3_u32 v6, v1, v6, 0x7fff
	v_lshrrev_b32_e32 v6, 16, v6
	s_delay_alu instid0(VALU_DEP_1)
	v_cndmask_b32_e32 v6, 0x7fc0, v6, vcc_lo
.LBB62_1221:
	s_mov_b32 s10, 0
.LBB62_1222:
	s_delay_alu instid0(SALU_CYCLE_1)
	s_and_not1_b32 vcc_lo, exec_lo, s10
	s_cbranch_vccnz .LBB62_1224
; %bb.1223:
	global_load_u8 v1, v[2:3], off
	s_wait_loadcnt 0x0
	v_lshlrev_b32_e32 v6, 25, v1
	v_lshlrev_b16 v1, 8, v1
	s_delay_alu instid0(VALU_DEP_1) | instskip(SKIP_1) | instid1(VALU_DEP_2)
	v_and_or_b32 v8, 0x7f00, v1, 0.5
	v_bfe_i32 v1, v1, 0, 16
	v_dual_add_f32 v8, -0.5, v8 :: v_dual_lshrrev_b32 v7, 4, v6
	v_cmp_gt_u32_e32 vcc_lo, 0x8000000, v6
	s_delay_alu instid0(VALU_DEP_2) | instskip(NEXT) | instid1(VALU_DEP_1)
	v_or_b32_e32 v7, 0x70000000, v7
	v_mul_f32_e32 v7, 0x7800000, v7
	s_delay_alu instid0(VALU_DEP_1) | instskip(NEXT) | instid1(VALU_DEP_1)
	v_cndmask_b32_e32 v6, v7, v8, vcc_lo
	v_and_or_b32 v1, 0x80000000, v1, v6
	v_bfe_u32 v6, v6, 16, 1
	s_delay_alu instid0(VALU_DEP_2) | instskip(NEXT) | instid1(VALU_DEP_2)
	v_cmp_o_f32_e32 vcc_lo, v1, v1
	v_add3_u32 v6, v1, v6, 0x7fff
	s_delay_alu instid0(VALU_DEP_1) | instskip(NEXT) | instid1(VALU_DEP_1)
	v_lshrrev_b32_e32 v6, 16, v6
	v_cndmask_b32_e32 v6, 0x7fc0, v6, vcc_lo
.LBB62_1224:
	s_mov_b32 s10, 0
	s_mov_b32 s13, -1
.LBB62_1225:
	s_and_not1_b32 vcc_lo, exec_lo, s10
	s_mov_b32 s10, 0
	s_cbranch_vccnz .LBB62_1236
; %bb.1226:
	s_cmp_gt_i32 s0, 14
	s_cbranch_scc0 .LBB62_1229
; %bb.1227:
	s_cmp_eq_u32 s0, 15
	s_cbranch_scc0 .LBB62_1232
; %bb.1228:
	s_wait_loadcnt 0x0
	global_load_u16 v6, v[2:3], off
	s_mov_b32 s3, 0
	s_mov_b32 s13, -1
	s_branch .LBB62_1234
.LBB62_1229:
	s_mov_b32 s10, -1
	s_branch .LBB62_1233
.LBB62_1230:
	s_or_saveexec_b32 s13, s13
	v_mov_b32_e32 v6, 0x7f800001
	s_xor_b32 exec_lo, exec_lo, s13
	s_cbranch_execz .LBB62_1211
.LBB62_1231:
	v_cmp_ne_u16_e32 vcc_lo, 0, v1
	v_mov_b32_e32 v6, 0
	s_and_not1_b32 s10, s10, exec_lo
	s_and_b32 s14, vcc_lo, exec_lo
	s_delay_alu instid0(SALU_CYCLE_1)
	s_or_b32 s10, s10, s14
	s_or_b32 exec_lo, exec_lo, s13
	s_and_saveexec_b32 s13, s10
	s_cbranch_execnz .LBB62_1212
	s_branch .LBB62_1213
.LBB62_1232:
	s_mov_b32 s3, -1
.LBB62_1233:
                                        ; implicit-def: $vgpr6
.LBB62_1234:
	s_and_b32 vcc_lo, exec_lo, s10
	s_mov_b32 s10, 0
	s_cbranch_vccz .LBB62_1236
; %bb.1235:
	s_cmp_lg_u32 s0, 11
	s_mov_b32 s10, -1
	s_cselect_b32 s3, -1, 0
.LBB62_1236:
	s_delay_alu instid0(SALU_CYCLE_1)
	s_and_b32 vcc_lo, exec_lo, s3
	s_cbranch_vccnz .LBB62_1299
; %bb.1237:
	s_and_not1_b32 vcc_lo, exec_lo, s10
	s_cbranch_vccnz .LBB62_1239
.LBB62_1238:
	global_load_u8 v1, v[2:3], off
	s_mov_b32 s13, -1
	s_wait_loadcnt 0x0
	v_cmp_ne_u16_e32 vcc_lo, 0, v1
	v_cndmask_b32_e64 v1, 0, 1.0, vcc_lo
	s_delay_alu instid0(VALU_DEP_1)
	v_lshrrev_b32_e32 v6, 16, v1
.LBB62_1239:
	s_branch .LBB62_1165
.LBB62_1240:
	s_cmp_lt_i32 s0, 5
	s_cbranch_scc1 .LBB62_1245
; %bb.1241:
	s_cmp_lt_i32 s0, 8
	s_cbranch_scc1 .LBB62_1246
; %bb.1242:
	;; [unrolled: 3-line block ×3, first 2 shown]
	s_cmp_gt_i32 s0, 9
	s_cbranch_scc0 .LBB62_1248
; %bb.1244:
	s_wait_loadcnt 0x0
	global_load_b64 v[6:7], v[2:3], off
	s_mov_b32 s3, 0
	s_wait_loadcnt 0x0
	v_cvt_f32_f64_e32 v1, v[6:7]
	s_delay_alu instid0(VALU_DEP_1) | instskip(SKIP_1) | instid1(VALU_DEP_2)
	v_bfe_u32 v6, v1, 16, 1
	v_cmp_o_f32_e32 vcc_lo, v1, v1
	v_add3_u32 v6, v1, v6, 0x7fff
	s_delay_alu instid0(VALU_DEP_1) | instskip(NEXT) | instid1(VALU_DEP_1)
	v_lshrrev_b32_e32 v6, 16, v6
	v_cndmask_b32_e32 v6, 0x7fc0, v6, vcc_lo
	s_branch .LBB62_1249
.LBB62_1245:
                                        ; implicit-def: $vgpr6
	s_branch .LBB62_1267
.LBB62_1246:
	s_mov_b32 s3, -1
                                        ; implicit-def: $vgpr6
	s_branch .LBB62_1255
.LBB62_1247:
	s_mov_b32 s3, -1
                                        ; implicit-def: $vgpr6
	s_branch .LBB62_1252
.LBB62_1248:
	s_mov_b32 s3, -1
                                        ; implicit-def: $vgpr6
.LBB62_1249:
	s_delay_alu instid0(SALU_CYCLE_1)
	s_and_not1_b32 vcc_lo, exec_lo, s3
	s_cbranch_vccnz .LBB62_1251
; %bb.1250:
	global_load_b32 v1, v[2:3], off
	s_wait_loadcnt 0x0
	v_bfe_u32 v6, v1, 16, 1
	v_cmp_o_f32_e32 vcc_lo, v1, v1
	s_delay_alu instid0(VALU_DEP_2) | instskip(NEXT) | instid1(VALU_DEP_1)
	v_add3_u32 v6, v1, v6, 0x7fff
	v_lshrrev_b32_e32 v6, 16, v6
	s_delay_alu instid0(VALU_DEP_1)
	v_cndmask_b32_e32 v6, 0x7fc0, v6, vcc_lo
.LBB62_1251:
	s_mov_b32 s3, 0
.LBB62_1252:
	s_delay_alu instid0(SALU_CYCLE_1)
	s_and_not1_b32 vcc_lo, exec_lo, s3
	s_cbranch_vccnz .LBB62_1254
; %bb.1253:
	global_load_b32 v1, v[2:3], off
	s_wait_loadcnt 0x0
	v_cvt_f32_f16_e32 v6, v1
	v_cmp_o_f16_e32 vcc_lo, v1, v1
	s_delay_alu instid0(VALU_DEP_2) | instskip(NEXT) | instid1(VALU_DEP_1)
	v_bfe_u32 v7, v6, 16, 1
	v_add3_u32 v6, v6, v7, 0x7fff
	s_delay_alu instid0(VALU_DEP_1) | instskip(NEXT) | instid1(VALU_DEP_1)
	v_lshrrev_b32_e32 v6, 16, v6
	v_cndmask_b32_e32 v6, 0x7fc0, v6, vcc_lo
.LBB62_1254:
	s_mov_b32 s3, 0
.LBB62_1255:
	s_delay_alu instid0(SALU_CYCLE_1)
	s_and_not1_b32 vcc_lo, exec_lo, s3
	s_cbranch_vccnz .LBB62_1266
; %bb.1256:
	s_cmp_lt_i32 s0, 6
	s_cbranch_scc1 .LBB62_1259
; %bb.1257:
	s_cmp_gt_i32 s0, 6
	s_cbranch_scc0 .LBB62_1260
; %bb.1258:
	s_wait_loadcnt 0x0
	global_load_b64 v[6:7], v[2:3], off
	s_mov_b32 s3, 0
	s_wait_loadcnt 0x0
	v_cvt_f32_f64_e32 v1, v[6:7]
	s_delay_alu instid0(VALU_DEP_1) | instskip(SKIP_1) | instid1(VALU_DEP_2)
	v_bfe_u32 v6, v1, 16, 1
	v_cmp_o_f32_e32 vcc_lo, v1, v1
	v_add3_u32 v6, v1, v6, 0x7fff
	s_delay_alu instid0(VALU_DEP_1) | instskip(NEXT) | instid1(VALU_DEP_1)
	v_lshrrev_b32_e32 v6, 16, v6
	v_cndmask_b32_e32 v6, 0x7fc0, v6, vcc_lo
	s_branch .LBB62_1261
.LBB62_1259:
	s_mov_b32 s3, -1
                                        ; implicit-def: $vgpr6
	s_branch .LBB62_1264
.LBB62_1260:
	s_mov_b32 s3, -1
                                        ; implicit-def: $vgpr6
.LBB62_1261:
	s_delay_alu instid0(SALU_CYCLE_1)
	s_and_not1_b32 vcc_lo, exec_lo, s3
	s_cbranch_vccnz .LBB62_1263
; %bb.1262:
	global_load_b32 v1, v[2:3], off
	s_wait_loadcnt 0x0
	v_bfe_u32 v6, v1, 16, 1
	v_cmp_o_f32_e32 vcc_lo, v1, v1
	s_delay_alu instid0(VALU_DEP_2) | instskip(NEXT) | instid1(VALU_DEP_1)
	v_add3_u32 v6, v1, v6, 0x7fff
	v_lshrrev_b32_e32 v6, 16, v6
	s_delay_alu instid0(VALU_DEP_1)
	v_cndmask_b32_e32 v6, 0x7fc0, v6, vcc_lo
.LBB62_1263:
	s_mov_b32 s3, 0
.LBB62_1264:
	s_delay_alu instid0(SALU_CYCLE_1)
	s_and_not1_b32 vcc_lo, exec_lo, s3
	s_cbranch_vccnz .LBB62_1266
; %bb.1265:
	global_load_u16 v1, v[2:3], off
	s_wait_loadcnt 0x0
	v_cvt_f32_f16_e32 v6, v1
	v_cmp_o_f16_e32 vcc_lo, v1, v1
	s_delay_alu instid0(VALU_DEP_2) | instskip(NEXT) | instid1(VALU_DEP_1)
	v_bfe_u32 v7, v6, 16, 1
	v_add3_u32 v6, v6, v7, 0x7fff
	s_delay_alu instid0(VALU_DEP_1) | instskip(NEXT) | instid1(VALU_DEP_1)
	v_lshrrev_b32_e32 v6, 16, v6
	v_cndmask_b32_e32 v6, 0x7fc0, v6, vcc_lo
.LBB62_1266:
	s_cbranch_execnz .LBB62_1286
.LBB62_1267:
	s_cmp_lt_i32 s0, 2
	s_cbranch_scc1 .LBB62_1271
; %bb.1268:
	s_cmp_lt_i32 s0, 3
	s_cbranch_scc1 .LBB62_1272
; %bb.1269:
	s_cmp_gt_i32 s0, 3
	s_cbranch_scc0 .LBB62_1273
; %bb.1270:
	s_wait_loadcnt 0x0
	global_load_b64 v[6:7], v[2:3], off
	s_mov_b32 s3, 0
	s_wait_loadcnt 0x0
	v_xor_b32_e32 v1, v6, v7
	v_cls_i32_e32 v8, v7
	s_delay_alu instid0(VALU_DEP_2) | instskip(NEXT) | instid1(VALU_DEP_1)
	v_ashrrev_i32_e32 v1, 31, v1
	v_add_nc_u32_e32 v1, 32, v1
	s_delay_alu instid0(VALU_DEP_1) | instskip(NEXT) | instid1(VALU_DEP_1)
	v_add_min_u32_e64 v1, v8, -1, v1
	v_lshlrev_b64_e32 v[6:7], v1, v[6:7]
	v_sub_nc_u32_e32 v1, 32, v1
	s_delay_alu instid0(VALU_DEP_2) | instskip(NEXT) | instid1(VALU_DEP_1)
	v_min_u32_e32 v6, 1, v6
	v_or_b32_e32 v6, v7, v6
	s_delay_alu instid0(VALU_DEP_1) | instskip(NEXT) | instid1(VALU_DEP_1)
	v_cvt_f32_i32_e32 v6, v6
	v_ldexp_f32 v1, v6, v1
	s_delay_alu instid0(VALU_DEP_1) | instskip(NEXT) | instid1(VALU_DEP_1)
	v_bfe_u32 v6, v1, 16, 1
	v_add3_u32 v1, v1, v6, 0x7fff
	s_delay_alu instid0(VALU_DEP_1)
	v_lshrrev_b32_e32 v6, 16, v1
	s_branch .LBB62_1274
.LBB62_1271:
	s_mov_b32 s3, -1
                                        ; implicit-def: $vgpr6
	s_branch .LBB62_1280
.LBB62_1272:
	s_mov_b32 s3, -1
                                        ; implicit-def: $vgpr6
	s_branch .LBB62_1277
.LBB62_1273:
	s_mov_b32 s3, -1
                                        ; implicit-def: $vgpr6
.LBB62_1274:
	s_delay_alu instid0(SALU_CYCLE_1)
	s_and_not1_b32 vcc_lo, exec_lo, s3
	s_cbranch_vccnz .LBB62_1276
; %bb.1275:
	global_load_b32 v1, v[2:3], off
	s_wait_loadcnt 0x0
	v_cvt_f32_i32_e32 v1, v1
	s_delay_alu instid0(VALU_DEP_1) | instskip(NEXT) | instid1(VALU_DEP_1)
	v_bfe_u32 v6, v1, 16, 1
	v_add3_u32 v1, v1, v6, 0x7fff
	s_delay_alu instid0(VALU_DEP_1)
	v_lshrrev_b32_e32 v6, 16, v1
.LBB62_1276:
	s_mov_b32 s3, 0
.LBB62_1277:
	s_delay_alu instid0(SALU_CYCLE_1)
	s_and_not1_b32 vcc_lo, exec_lo, s3
	s_cbranch_vccnz .LBB62_1279
; %bb.1278:
	global_load_i16 v1, v[2:3], off
	s_wait_loadcnt 0x0
	v_cvt_f32_i32_e32 v1, v1
	s_delay_alu instid0(VALU_DEP_1) | instskip(NEXT) | instid1(VALU_DEP_1)
	v_bfe_u32 v6, v1, 16, 1
	v_add3_u32 v1, v1, v6, 0x7fff
	s_delay_alu instid0(VALU_DEP_1)
	v_lshrrev_b32_e32 v6, 16, v1
.LBB62_1279:
	s_mov_b32 s3, 0
.LBB62_1280:
	s_delay_alu instid0(SALU_CYCLE_1)
	s_and_not1_b32 vcc_lo, exec_lo, s3
	s_cbranch_vccnz .LBB62_1286
; %bb.1281:
	s_cmp_gt_i32 s0, 0
	s_mov_b32 s3, 0
	s_cbranch_scc0 .LBB62_1283
; %bb.1282:
	global_load_i8 v1, v[2:3], off
	s_wait_loadcnt 0x0
	v_cvt_f32_i32_e32 v1, v1
	s_delay_alu instid0(VALU_DEP_1) | instskip(NEXT) | instid1(VALU_DEP_1)
	v_bfe_u32 v6, v1, 16, 1
	v_add3_u32 v1, v1, v6, 0x7fff
	s_delay_alu instid0(VALU_DEP_1)
	v_lshrrev_b32_e32 v6, 16, v1
	s_branch .LBB62_1284
.LBB62_1283:
	s_mov_b32 s3, -1
                                        ; implicit-def: $vgpr6
.LBB62_1284:
	s_delay_alu instid0(SALU_CYCLE_1)
	s_and_not1_b32 vcc_lo, exec_lo, s3
	s_cbranch_vccnz .LBB62_1286
; %bb.1285:
	global_load_u8 v1, v[2:3], off
	s_wait_loadcnt 0x0
	v_cvt_f32_ubyte0_e32 v1, v1
	s_wait_xcnt 0x0
	s_delay_alu instid0(VALU_DEP_1) | instskip(NEXT) | instid1(VALU_DEP_1)
	v_bfe_u32 v2, v1, 16, 1
	v_add3_u32 v1, v1, v2, 0x7fff
	s_delay_alu instid0(VALU_DEP_1)
	v_lshrrev_b32_e32 v6, 16, v1
.LBB62_1286:
.LBB62_1287:
	v_add_nc_u32_e32 v0, s1, v0
	s_cmp_lt_i32 s0, 11
	s_delay_alu instid0(VALU_DEP_1) | instskip(SKIP_1) | instid1(VALU_DEP_1)
	v_ashrrev_i32_e32 v1, 31, v0
	s_wait_xcnt 0x0
	v_add_nc_u64_e32 v[2:3], s[6:7], v[0:1]
	s_cbranch_scc1 .LBB62_1294
; %bb.1288:
	s_cmp_gt_i32 s0, 25
	s_mov_b32 s10, 0
	s_cbranch_scc0 .LBB62_1296
; %bb.1289:
	s_cmp_gt_i32 s0, 28
	s_cbranch_scc0 .LBB62_1297
; %bb.1290:
	s_cmp_gt_i32 s0, 43
	;; [unrolled: 3-line block ×3, first 2 shown]
	s_cbranch_scc0 .LBB62_1300
; %bb.1292:
	s_cmp_eq_u32 s0, 46
	s_mov_b32 s14, 0
	s_cbranch_scc0 .LBB62_1301
; %bb.1293:
	global_load_b32 v7, v[2:3], off
	s_mov_b32 s3, 0
	s_mov_b32 s13, -1
	s_branch .LBB62_1303
.LBB62_1294:
	s_mov_b32 s13, 0
                                        ; implicit-def: $vgpr7
	s_cbranch_execnz .LBB62_1369
.LBB62_1295:
	s_and_not1_b32 vcc_lo, exec_lo, s13
	s_cbranch_vccnz .LBB62_1981
	s_branch .LBB62_1417
.LBB62_1296:
	s_mov_b32 s14, -1
	s_mov_b32 s13, 0
	s_mov_b32 s3, 0
                                        ; implicit-def: $vgpr7
	s_branch .LBB62_1332
.LBB62_1297:
	s_mov_b32 s14, -1
	s_mov_b32 s13, 0
	s_mov_b32 s3, 0
                                        ; implicit-def: $vgpr7
	s_branch .LBB62_1313
.LBB62_1298:
	s_mov_b32 s14, -1
	s_mov_b32 s13, 0
	s_mov_b32 s3, 0
                                        ; implicit-def: $vgpr7
	s_branch .LBB62_1308
.LBB62_1299:
	s_or_b32 s9, s9, exec_lo
	s_trap 2
	s_cbranch_execz .LBB62_1238
	s_branch .LBB62_1239
.LBB62_1300:
	s_mov_b32 s14, -1
	s_mov_b32 s13, 0
	s_mov_b32 s3, 0
	s_branch .LBB62_1302
.LBB62_1301:
	s_mov_b32 s3, -1
	s_mov_b32 s13, 0
.LBB62_1302:
                                        ; implicit-def: $vgpr7
.LBB62_1303:
	s_and_b32 vcc_lo, exec_lo, s14
	s_cbranch_vccz .LBB62_1307
; %bb.1304:
	s_cmp_eq_u32 s0, 44
	s_cbranch_scc0 .LBB62_1306
; %bb.1305:
	global_load_u8 v1, v[2:3], off
	s_mov_b32 s3, 0
	s_mov_b32 s13, -1
	s_wait_loadcnt 0x0
	v_lshlrev_b32_e32 v7, 23, v1
	v_cmp_ne_u32_e32 vcc_lo, 0xff, v1
	s_delay_alu instid0(VALU_DEP_2) | instskip(SKIP_1) | instid1(VALU_DEP_2)
	v_cndmask_b32_e32 v7, 0x7f800001, v7, vcc_lo
	v_cmp_ne_u32_e32 vcc_lo, 0, v1
	v_cndmask_b32_e32 v1, 0x400000, v7, vcc_lo
	s_delay_alu instid0(VALU_DEP_1) | instskip(SKIP_1) | instid1(VALU_DEP_2)
	v_add_nc_u32_e32 v7, 0x7fff, v1
	v_cmp_o_f32_e32 vcc_lo, v1, v1
	v_lshrrev_b32_e32 v7, 16, v7
	s_delay_alu instid0(VALU_DEP_1)
	v_cndmask_b32_e32 v7, 0x7fc0, v7, vcc_lo
	s_branch .LBB62_1307
.LBB62_1306:
	s_mov_b32 s3, -1
                                        ; implicit-def: $vgpr7
.LBB62_1307:
	s_mov_b32 s14, 0
.LBB62_1308:
	s_delay_alu instid0(SALU_CYCLE_1)
	s_and_b32 vcc_lo, exec_lo, s14
	s_cbranch_vccz .LBB62_1312
; %bb.1309:
	s_cmp_eq_u32 s0, 29
	s_cbranch_scc0 .LBB62_1311
; %bb.1310:
	global_load_b64 v[8:9], v[2:3], off
	s_mov_b32 s3, 0
	s_mov_b32 s13, -1
	s_mov_b32 s14, 0
	s_wait_loadcnt 0x0
	v_clz_i32_u32_e32 v1, v9
	s_delay_alu instid0(VALU_DEP_1) | instskip(NEXT) | instid1(VALU_DEP_1)
	v_min_u32_e32 v1, 32, v1
	v_lshlrev_b64_e32 v[8:9], v1, v[8:9]
	v_sub_nc_u32_e32 v1, 32, v1
	s_delay_alu instid0(VALU_DEP_2) | instskip(NEXT) | instid1(VALU_DEP_1)
	v_min_u32_e32 v7, 1, v8
	v_or_b32_e32 v7, v9, v7
	s_delay_alu instid0(VALU_DEP_1) | instskip(NEXT) | instid1(VALU_DEP_1)
	v_cvt_f32_u32_e32 v7, v7
	v_ldexp_f32 v1, v7, v1
	s_delay_alu instid0(VALU_DEP_1) | instskip(NEXT) | instid1(VALU_DEP_1)
	v_bfe_u32 v7, v1, 16, 1
	v_add3_u32 v1, v1, v7, 0x7fff
	s_delay_alu instid0(VALU_DEP_1)
	v_lshrrev_b32_e32 v7, 16, v1
	s_branch .LBB62_1313
.LBB62_1311:
	s_mov_b32 s3, -1
                                        ; implicit-def: $vgpr7
.LBB62_1312:
	s_mov_b32 s14, 0
.LBB62_1313:
	s_delay_alu instid0(SALU_CYCLE_1)
	s_and_b32 vcc_lo, exec_lo, s14
	s_cbranch_vccz .LBB62_1331
; %bb.1314:
	s_cmp_lt_i32 s0, 27
	s_cbranch_scc1 .LBB62_1317
; %bb.1315:
	s_cmp_gt_i32 s0, 27
	s_cbranch_scc0 .LBB62_1318
; %bb.1316:
	global_load_b32 v1, v[2:3], off
	s_mov_b32 s13, 0
	s_wait_loadcnt 0x0
	v_cvt_f32_u32_e32 v1, v1
	s_delay_alu instid0(VALU_DEP_1) | instskip(NEXT) | instid1(VALU_DEP_1)
	v_bfe_u32 v7, v1, 16, 1
	v_add3_u32 v1, v1, v7, 0x7fff
	s_delay_alu instid0(VALU_DEP_1)
	v_lshrrev_b32_e32 v7, 16, v1
	s_branch .LBB62_1319
.LBB62_1317:
	s_mov_b32 s13, -1
                                        ; implicit-def: $vgpr7
	s_branch .LBB62_1322
.LBB62_1318:
	s_mov_b32 s13, -1
                                        ; implicit-def: $vgpr7
.LBB62_1319:
	s_delay_alu instid0(SALU_CYCLE_1)
	s_and_not1_b32 vcc_lo, exec_lo, s13
	s_cbranch_vccnz .LBB62_1321
; %bb.1320:
	global_load_u16 v1, v[2:3], off
	s_wait_loadcnt 0x0
	v_cvt_f32_u32_e32 v1, v1
	s_delay_alu instid0(VALU_DEP_1) | instskip(NEXT) | instid1(VALU_DEP_1)
	v_bfe_u32 v7, v1, 16, 1
	v_add3_u32 v1, v1, v7, 0x7fff
	s_delay_alu instid0(VALU_DEP_1)
	v_lshrrev_b32_e32 v7, 16, v1
.LBB62_1321:
	s_mov_b32 s13, 0
.LBB62_1322:
	s_delay_alu instid0(SALU_CYCLE_1)
	s_and_not1_b32 vcc_lo, exec_lo, s13
	s_cbranch_vccnz .LBB62_1330
; %bb.1323:
	global_load_u8 v1, v[2:3], off
	s_mov_b32 s13, 0
	s_mov_b32 s14, exec_lo
	s_wait_loadcnt 0x0
	v_cmpx_lt_i16_e32 0x7f, v1
	s_xor_b32 s14, exec_lo, s14
	s_cbranch_execz .LBB62_1344
; %bb.1324:
	s_mov_b32 s13, -1
	s_mov_b32 s15, exec_lo
	v_cmpx_eq_u16_e32 0x80, v1
; %bb.1325:
	s_xor_b32 s13, exec_lo, -1
; %bb.1326:
	s_or_b32 exec_lo, exec_lo, s15
	s_delay_alu instid0(SALU_CYCLE_1)
	s_and_b32 s13, s13, exec_lo
	s_or_saveexec_b32 s14, s14
	v_mov_b32_e32 v7, 0x7f800001
	s_xor_b32 exec_lo, exec_lo, s14
	s_cbranch_execnz .LBB62_1345
.LBB62_1327:
	s_or_b32 exec_lo, exec_lo, s14
	s_and_saveexec_b32 s14, s13
	s_cbranch_execz .LBB62_1329
.LBB62_1328:
	v_and_b32_e32 v7, 0xffff, v1
	s_delay_alu instid0(VALU_DEP_1) | instskip(SKIP_1) | instid1(VALU_DEP_2)
	v_and_b32_e32 v8, 7, v7
	v_bfe_u32 v11, v7, 3, 4
	v_clz_i32_u32_e32 v9, v8
	s_delay_alu instid0(VALU_DEP_2) | instskip(NEXT) | instid1(VALU_DEP_2)
	v_cmp_eq_u32_e32 vcc_lo, 0, v11
	v_min_u32_e32 v9, 32, v9
	s_delay_alu instid0(VALU_DEP_1) | instskip(NEXT) | instid1(VALU_DEP_1)
	v_subrev_nc_u32_e32 v10, 28, v9
	v_dual_lshlrev_b32 v7, v10, v7 :: v_dual_sub_nc_u32 v9, 29, v9
	s_delay_alu instid0(VALU_DEP_1) | instskip(NEXT) | instid1(VALU_DEP_1)
	v_dual_lshlrev_b32 v1, 24, v1 :: v_dual_bitop2_b32 v7, 7, v7 bitop3:0x40
	v_dual_cndmask_b32 v7, v8, v7, vcc_lo :: v_dual_cndmask_b32 v9, v11, v9, vcc_lo
	s_delay_alu instid0(VALU_DEP_2) | instskip(NEXT) | instid1(VALU_DEP_2)
	v_and_b32_e32 v1, 0x80000000, v1
	v_lshlrev_b32_e32 v7, 20, v7
	s_delay_alu instid0(VALU_DEP_3) | instskip(NEXT) | instid1(VALU_DEP_1)
	v_lshl_add_u32 v8, v9, 23, 0x3b800000
	v_or3_b32 v7, v1, v8, v7
.LBB62_1329:
	s_or_b32 exec_lo, exec_lo, s14
	s_delay_alu instid0(VALU_DEP_1) | instskip(SKIP_1) | instid1(VALU_DEP_2)
	v_bfe_u32 v1, v7, 16, 1
	v_cmp_o_f32_e32 vcc_lo, v7, v7
	v_add3_u32 v1, v7, v1, 0x7fff
	s_delay_alu instid0(VALU_DEP_1) | instskip(NEXT) | instid1(VALU_DEP_1)
	v_lshrrev_b32_e32 v1, 16, v1
	v_cndmask_b32_e32 v7, 0x7fc0, v1, vcc_lo
.LBB62_1330:
	s_mov_b32 s13, -1
.LBB62_1331:
	s_mov_b32 s14, 0
.LBB62_1332:
	s_delay_alu instid0(SALU_CYCLE_1)
	s_and_b32 vcc_lo, exec_lo, s14
	s_cbranch_vccz .LBB62_1365
; %bb.1333:
	s_cmp_gt_i32 s0, 22
	s_cbranch_scc0 .LBB62_1343
; %bb.1334:
	s_cmp_lt_i32 s0, 24
	s_cbranch_scc1 .LBB62_1346
; %bb.1335:
	s_cmp_gt_i32 s0, 24
	s_cbranch_scc0 .LBB62_1347
; %bb.1336:
	global_load_u8 v1, v[2:3], off
	s_mov_b32 s13, exec_lo
	s_wait_loadcnt 0x0
	v_cmpx_lt_i16_e32 0x7f, v1
	s_xor_b32 s13, exec_lo, s13
	s_cbranch_execz .LBB62_1359
; %bb.1337:
	s_mov_b32 s10, -1
	s_mov_b32 s14, exec_lo
	v_cmpx_eq_u16_e32 0x80, v1
; %bb.1338:
	s_xor_b32 s10, exec_lo, -1
; %bb.1339:
	s_or_b32 exec_lo, exec_lo, s14
	s_delay_alu instid0(SALU_CYCLE_1)
	s_and_b32 s10, s10, exec_lo
	s_or_saveexec_b32 s13, s13
	v_mov_b32_e32 v7, 0x7f800001
	s_xor_b32 exec_lo, exec_lo, s13
	s_cbranch_execnz .LBB62_1360
.LBB62_1340:
	s_or_b32 exec_lo, exec_lo, s13
	s_and_saveexec_b32 s13, s10
	s_cbranch_execz .LBB62_1342
.LBB62_1341:
	v_and_b32_e32 v7, 0xffff, v1
	s_delay_alu instid0(VALU_DEP_1) | instskip(SKIP_1) | instid1(VALU_DEP_2)
	v_and_b32_e32 v8, 3, v7
	v_bfe_u32 v11, v7, 2, 5
	v_clz_i32_u32_e32 v9, v8
	s_delay_alu instid0(VALU_DEP_2) | instskip(NEXT) | instid1(VALU_DEP_2)
	v_cmp_eq_u32_e32 vcc_lo, 0, v11
	v_min_u32_e32 v9, 32, v9
	s_delay_alu instid0(VALU_DEP_1) | instskip(NEXT) | instid1(VALU_DEP_1)
	v_subrev_nc_u32_e32 v10, 29, v9
	v_dual_lshlrev_b32 v7, v10, v7 :: v_dual_sub_nc_u32 v9, 30, v9
	s_delay_alu instid0(VALU_DEP_1) | instskip(NEXT) | instid1(VALU_DEP_1)
	v_dual_lshlrev_b32 v1, 24, v1 :: v_dual_bitop2_b32 v7, 3, v7 bitop3:0x40
	v_dual_cndmask_b32 v7, v8, v7, vcc_lo :: v_dual_cndmask_b32 v9, v11, v9, vcc_lo
	s_delay_alu instid0(VALU_DEP_2) | instskip(NEXT) | instid1(VALU_DEP_2)
	v_and_b32_e32 v1, 0x80000000, v1
	v_lshlrev_b32_e32 v7, 21, v7
	s_delay_alu instid0(VALU_DEP_3) | instskip(NEXT) | instid1(VALU_DEP_1)
	v_lshl_add_u32 v8, v9, 23, 0x37800000
	v_or3_b32 v7, v1, v8, v7
.LBB62_1342:
	s_or_b32 exec_lo, exec_lo, s13
	s_delay_alu instid0(VALU_DEP_1) | instskip(SKIP_2) | instid1(VALU_DEP_2)
	v_bfe_u32 v1, v7, 16, 1
	v_cmp_o_f32_e32 vcc_lo, v7, v7
	s_mov_b32 s10, 0
	v_add3_u32 v1, v7, v1, 0x7fff
	s_delay_alu instid0(VALU_DEP_1) | instskip(NEXT) | instid1(VALU_DEP_1)
	v_lshrrev_b32_e32 v1, 16, v1
	v_cndmask_b32_e32 v7, 0x7fc0, v1, vcc_lo
	s_branch .LBB62_1348
.LBB62_1343:
	s_mov_b32 s10, -1
                                        ; implicit-def: $vgpr7
	s_branch .LBB62_1354
.LBB62_1344:
	s_or_saveexec_b32 s14, s14
	v_mov_b32_e32 v7, 0x7f800001
	s_xor_b32 exec_lo, exec_lo, s14
	s_cbranch_execz .LBB62_1327
.LBB62_1345:
	v_cmp_ne_u16_e32 vcc_lo, 0, v1
	v_mov_b32_e32 v7, 0
	s_and_not1_b32 s13, s13, exec_lo
	s_and_b32 s15, vcc_lo, exec_lo
	s_delay_alu instid0(SALU_CYCLE_1)
	s_or_b32 s13, s13, s15
	s_or_b32 exec_lo, exec_lo, s14
	s_and_saveexec_b32 s14, s13
	s_cbranch_execnz .LBB62_1328
	s_branch .LBB62_1329
.LBB62_1346:
	s_mov_b32 s10, -1
                                        ; implicit-def: $vgpr7
	s_branch .LBB62_1351
.LBB62_1347:
	s_mov_b32 s10, -1
                                        ; implicit-def: $vgpr7
.LBB62_1348:
	s_delay_alu instid0(SALU_CYCLE_1)
	s_and_b32 vcc_lo, exec_lo, s10
	s_cbranch_vccz .LBB62_1350
; %bb.1349:
	global_load_u8 v1, v[2:3], off
	s_wait_loadcnt 0x0
	v_lshlrev_b32_e32 v1, 24, v1
	s_delay_alu instid0(VALU_DEP_1) | instskip(NEXT) | instid1(VALU_DEP_1)
	v_and_b32_e32 v7, 0x7f000000, v1
	v_clz_i32_u32_e32 v8, v7
	v_cmp_ne_u32_e32 vcc_lo, 0, v7
	v_add_nc_u32_e32 v10, 0x1000000, v7
	s_delay_alu instid0(VALU_DEP_3) | instskip(NEXT) | instid1(VALU_DEP_1)
	v_min_u32_e32 v8, 32, v8
	v_sub_nc_u32_e64 v8, v8, 4 clamp
	s_delay_alu instid0(VALU_DEP_1) | instskip(NEXT) | instid1(VALU_DEP_1)
	v_dual_lshlrev_b32 v9, v8, v7 :: v_dual_lshlrev_b32 v8, 23, v8
	v_lshrrev_b32_e32 v9, 4, v9
	s_delay_alu instid0(VALU_DEP_1) | instskip(NEXT) | instid1(VALU_DEP_1)
	v_dual_sub_nc_u32 v8, v9, v8 :: v_dual_ashrrev_i32 v9, 8, v10
	v_add_nc_u32_e32 v8, 0x3c000000, v8
	s_delay_alu instid0(VALU_DEP_1) | instskip(NEXT) | instid1(VALU_DEP_1)
	v_and_or_b32 v8, 0x7f800000, v9, v8
	v_cndmask_b32_e32 v7, 0, v8, vcc_lo
	s_delay_alu instid0(VALU_DEP_1) | instskip(SKIP_1) | instid1(VALU_DEP_2)
	v_and_or_b32 v1, 0x80000000, v1, v7
	v_bfe_u32 v7, v7, 16, 1
	v_cmp_o_f32_e32 vcc_lo, v1, v1
	s_delay_alu instid0(VALU_DEP_2) | instskip(NEXT) | instid1(VALU_DEP_1)
	v_add3_u32 v7, v1, v7, 0x7fff
	v_lshrrev_b32_e32 v7, 16, v7
	s_delay_alu instid0(VALU_DEP_1)
	v_cndmask_b32_e32 v7, 0x7fc0, v7, vcc_lo
.LBB62_1350:
	s_mov_b32 s10, 0
.LBB62_1351:
	s_delay_alu instid0(SALU_CYCLE_1)
	s_and_not1_b32 vcc_lo, exec_lo, s10
	s_cbranch_vccnz .LBB62_1353
; %bb.1352:
	global_load_u8 v1, v[2:3], off
	s_wait_loadcnt 0x0
	v_lshlrev_b32_e32 v7, 25, v1
	v_lshlrev_b16 v1, 8, v1
	s_delay_alu instid0(VALU_DEP_1) | instskip(NEXT) | instid1(VALU_DEP_3)
	v_and_or_b32 v9, 0x7f00, v1, 0.5
	v_lshrrev_b32_e32 v8, 4, v7
	v_bfe_i32 v1, v1, 0, 16
	s_delay_alu instid0(VALU_DEP_3) | instskip(NEXT) | instid1(VALU_DEP_3)
	v_add_f32_e32 v9, -0.5, v9
	v_or_b32_e32 v8, 0x70000000, v8
	s_delay_alu instid0(VALU_DEP_1) | instskip(SKIP_1) | instid1(VALU_DEP_2)
	v_mul_f32_e32 v8, 0x7800000, v8
	v_cmp_gt_u32_e32 vcc_lo, 0x8000000, v7
	v_cndmask_b32_e32 v7, v8, v9, vcc_lo
	s_delay_alu instid0(VALU_DEP_1) | instskip(SKIP_1) | instid1(VALU_DEP_2)
	v_and_or_b32 v1, 0x80000000, v1, v7
	v_bfe_u32 v7, v7, 16, 1
	v_cmp_o_f32_e32 vcc_lo, v1, v1
	s_delay_alu instid0(VALU_DEP_2) | instskip(NEXT) | instid1(VALU_DEP_1)
	v_add3_u32 v7, v1, v7, 0x7fff
	v_lshrrev_b32_e32 v7, 16, v7
	s_delay_alu instid0(VALU_DEP_1)
	v_cndmask_b32_e32 v7, 0x7fc0, v7, vcc_lo
.LBB62_1353:
	s_mov_b32 s10, 0
	s_mov_b32 s13, -1
.LBB62_1354:
	s_and_not1_b32 vcc_lo, exec_lo, s10
	s_mov_b32 s10, 0
	s_cbranch_vccnz .LBB62_1365
; %bb.1355:
	s_cmp_gt_i32 s0, 14
	s_cbranch_scc0 .LBB62_1358
; %bb.1356:
	s_cmp_eq_u32 s0, 15
	s_cbranch_scc0 .LBB62_1361
; %bb.1357:
	s_wait_loadcnt 0x0
	global_load_u16 v7, v[2:3], off
	s_mov_b32 s3, 0
	s_mov_b32 s13, -1
	s_branch .LBB62_1363
.LBB62_1358:
	s_mov_b32 s10, -1
	s_branch .LBB62_1362
.LBB62_1359:
	s_or_saveexec_b32 s13, s13
	v_mov_b32_e32 v7, 0x7f800001
	s_xor_b32 exec_lo, exec_lo, s13
	s_cbranch_execz .LBB62_1340
.LBB62_1360:
	v_cmp_ne_u16_e32 vcc_lo, 0, v1
	v_mov_b32_e32 v7, 0
	s_and_not1_b32 s10, s10, exec_lo
	s_and_b32 s14, vcc_lo, exec_lo
	s_delay_alu instid0(SALU_CYCLE_1)
	s_or_b32 s10, s10, s14
	s_or_b32 exec_lo, exec_lo, s13
	s_and_saveexec_b32 s13, s10
	s_cbranch_execnz .LBB62_1341
	s_branch .LBB62_1342
.LBB62_1361:
	s_mov_b32 s3, -1
.LBB62_1362:
                                        ; implicit-def: $vgpr7
.LBB62_1363:
	s_and_b32 vcc_lo, exec_lo, s10
	s_mov_b32 s10, 0
	s_cbranch_vccz .LBB62_1365
; %bb.1364:
	s_cmp_lg_u32 s0, 11
	s_mov_b32 s10, -1
	s_cselect_b32 s3, -1, 0
.LBB62_1365:
	s_delay_alu instid0(SALU_CYCLE_1)
	s_and_b32 vcc_lo, exec_lo, s3
	s_cbranch_vccnz .LBB62_1428
; %bb.1366:
	s_and_not1_b32 vcc_lo, exec_lo, s10
	s_cbranch_vccnz .LBB62_1368
.LBB62_1367:
	global_load_u8 v1, v[2:3], off
	s_mov_b32 s13, -1
	s_wait_loadcnt 0x0
	v_cmp_ne_u16_e32 vcc_lo, 0, v1
	v_cndmask_b32_e64 v1, 0, 1.0, vcc_lo
	s_delay_alu instid0(VALU_DEP_1)
	v_lshrrev_b32_e32 v7, 16, v1
.LBB62_1368:
	s_branch .LBB62_1295
.LBB62_1369:
	s_cmp_lt_i32 s0, 5
	s_cbranch_scc1 .LBB62_1374
; %bb.1370:
	s_cmp_lt_i32 s0, 8
	s_cbranch_scc1 .LBB62_1375
; %bb.1371:
	;; [unrolled: 3-line block ×3, first 2 shown]
	s_cmp_gt_i32 s0, 9
	s_cbranch_scc0 .LBB62_1377
; %bb.1373:
	global_load_b64 v[8:9], v[2:3], off
	s_mov_b32 s3, 0
	s_wait_loadcnt 0x0
	v_cvt_f32_f64_e32 v1, v[8:9]
	s_delay_alu instid0(VALU_DEP_1) | instskip(SKIP_1) | instid1(VALU_DEP_2)
	v_bfe_u32 v7, v1, 16, 1
	v_cmp_o_f32_e32 vcc_lo, v1, v1
	v_add3_u32 v7, v1, v7, 0x7fff
	s_delay_alu instid0(VALU_DEP_1) | instskip(NEXT) | instid1(VALU_DEP_1)
	v_lshrrev_b32_e32 v7, 16, v7
	v_cndmask_b32_e32 v7, 0x7fc0, v7, vcc_lo
	s_branch .LBB62_1378
.LBB62_1374:
	s_mov_b32 s3, -1
                                        ; implicit-def: $vgpr7
	s_branch .LBB62_1396
.LBB62_1375:
	s_mov_b32 s3, -1
                                        ; implicit-def: $vgpr7
	s_branch .LBB62_1384
.LBB62_1376:
	s_mov_b32 s3, -1
                                        ; implicit-def: $vgpr7
	s_branch .LBB62_1381
.LBB62_1377:
	s_mov_b32 s3, -1
                                        ; implicit-def: $vgpr7
.LBB62_1378:
	s_delay_alu instid0(SALU_CYCLE_1)
	s_and_not1_b32 vcc_lo, exec_lo, s3
	s_cbranch_vccnz .LBB62_1380
; %bb.1379:
	global_load_b32 v1, v[2:3], off
	s_wait_loadcnt 0x0
	v_bfe_u32 v7, v1, 16, 1
	v_cmp_o_f32_e32 vcc_lo, v1, v1
	s_delay_alu instid0(VALU_DEP_2) | instskip(NEXT) | instid1(VALU_DEP_1)
	v_add3_u32 v7, v1, v7, 0x7fff
	v_lshrrev_b32_e32 v7, 16, v7
	s_delay_alu instid0(VALU_DEP_1)
	v_cndmask_b32_e32 v7, 0x7fc0, v7, vcc_lo
.LBB62_1380:
	s_mov_b32 s3, 0
.LBB62_1381:
	s_delay_alu instid0(SALU_CYCLE_1)
	s_and_not1_b32 vcc_lo, exec_lo, s3
	s_cbranch_vccnz .LBB62_1383
; %bb.1382:
	global_load_b32 v1, v[2:3], off
	s_wait_loadcnt 0x0
	v_cvt_f32_f16_e32 v7, v1
	v_cmp_o_f16_e32 vcc_lo, v1, v1
	s_delay_alu instid0(VALU_DEP_2) | instskip(NEXT) | instid1(VALU_DEP_1)
	v_bfe_u32 v8, v7, 16, 1
	v_add3_u32 v7, v7, v8, 0x7fff
	s_delay_alu instid0(VALU_DEP_1) | instskip(NEXT) | instid1(VALU_DEP_1)
	v_lshrrev_b32_e32 v7, 16, v7
	v_cndmask_b32_e32 v7, 0x7fc0, v7, vcc_lo
.LBB62_1383:
	s_mov_b32 s3, 0
.LBB62_1384:
	s_delay_alu instid0(SALU_CYCLE_1)
	s_and_not1_b32 vcc_lo, exec_lo, s3
	s_cbranch_vccnz .LBB62_1395
; %bb.1385:
	s_cmp_lt_i32 s0, 6
	s_cbranch_scc1 .LBB62_1388
; %bb.1386:
	s_cmp_gt_i32 s0, 6
	s_cbranch_scc0 .LBB62_1389
; %bb.1387:
	global_load_b64 v[8:9], v[2:3], off
	s_mov_b32 s3, 0
	s_wait_loadcnt 0x0
	v_cvt_f32_f64_e32 v1, v[8:9]
	s_delay_alu instid0(VALU_DEP_1) | instskip(SKIP_1) | instid1(VALU_DEP_2)
	v_bfe_u32 v7, v1, 16, 1
	v_cmp_o_f32_e32 vcc_lo, v1, v1
	v_add3_u32 v7, v1, v7, 0x7fff
	s_delay_alu instid0(VALU_DEP_1) | instskip(NEXT) | instid1(VALU_DEP_1)
	v_lshrrev_b32_e32 v7, 16, v7
	v_cndmask_b32_e32 v7, 0x7fc0, v7, vcc_lo
	s_branch .LBB62_1390
.LBB62_1388:
	s_mov_b32 s3, -1
                                        ; implicit-def: $vgpr7
	s_branch .LBB62_1393
.LBB62_1389:
	s_mov_b32 s3, -1
                                        ; implicit-def: $vgpr7
.LBB62_1390:
	s_delay_alu instid0(SALU_CYCLE_1)
	s_and_not1_b32 vcc_lo, exec_lo, s3
	s_cbranch_vccnz .LBB62_1392
; %bb.1391:
	global_load_b32 v1, v[2:3], off
	s_wait_loadcnt 0x0
	v_bfe_u32 v7, v1, 16, 1
	v_cmp_o_f32_e32 vcc_lo, v1, v1
	s_delay_alu instid0(VALU_DEP_2) | instskip(NEXT) | instid1(VALU_DEP_1)
	v_add3_u32 v7, v1, v7, 0x7fff
	v_lshrrev_b32_e32 v7, 16, v7
	s_delay_alu instid0(VALU_DEP_1)
	v_cndmask_b32_e32 v7, 0x7fc0, v7, vcc_lo
.LBB62_1392:
	s_mov_b32 s3, 0
.LBB62_1393:
	s_delay_alu instid0(SALU_CYCLE_1)
	s_and_not1_b32 vcc_lo, exec_lo, s3
	s_cbranch_vccnz .LBB62_1395
; %bb.1394:
	global_load_u16 v1, v[2:3], off
	s_wait_loadcnt 0x0
	v_cvt_f32_f16_e32 v7, v1
	v_cmp_o_f16_e32 vcc_lo, v1, v1
	s_delay_alu instid0(VALU_DEP_2) | instskip(NEXT) | instid1(VALU_DEP_1)
	v_bfe_u32 v8, v7, 16, 1
	v_add3_u32 v7, v7, v8, 0x7fff
	s_delay_alu instid0(VALU_DEP_1) | instskip(NEXT) | instid1(VALU_DEP_1)
	v_lshrrev_b32_e32 v7, 16, v7
	v_cndmask_b32_e32 v7, 0x7fc0, v7, vcc_lo
.LBB62_1395:
	s_mov_b32 s3, 0
.LBB62_1396:
	s_delay_alu instid0(SALU_CYCLE_1)
	s_and_not1_b32 vcc_lo, exec_lo, s3
	s_cbranch_vccnz .LBB62_1416
; %bb.1397:
	s_cmp_lt_i32 s0, 2
	s_cbranch_scc1 .LBB62_1401
; %bb.1398:
	s_cmp_lt_i32 s0, 3
	s_cbranch_scc1 .LBB62_1402
; %bb.1399:
	s_cmp_gt_i32 s0, 3
	s_cbranch_scc0 .LBB62_1403
; %bb.1400:
	global_load_b64 v[8:9], v[2:3], off
	s_mov_b32 s3, 0
	s_wait_loadcnt 0x0
	v_xor_b32_e32 v1, v8, v9
	v_cls_i32_e32 v7, v9
	s_delay_alu instid0(VALU_DEP_2) | instskip(NEXT) | instid1(VALU_DEP_1)
	v_ashrrev_i32_e32 v1, 31, v1
	v_add_nc_u32_e32 v1, 32, v1
	s_delay_alu instid0(VALU_DEP_1) | instskip(NEXT) | instid1(VALU_DEP_1)
	v_add_min_u32_e64 v1, v7, -1, v1
	v_lshlrev_b64_e32 v[8:9], v1, v[8:9]
	v_sub_nc_u32_e32 v1, 32, v1
	s_delay_alu instid0(VALU_DEP_2) | instskip(NEXT) | instid1(VALU_DEP_1)
	v_min_u32_e32 v7, 1, v8
	v_or_b32_e32 v7, v9, v7
	s_delay_alu instid0(VALU_DEP_1) | instskip(NEXT) | instid1(VALU_DEP_1)
	v_cvt_f32_i32_e32 v7, v7
	v_ldexp_f32 v1, v7, v1
	s_delay_alu instid0(VALU_DEP_1) | instskip(NEXT) | instid1(VALU_DEP_1)
	v_bfe_u32 v7, v1, 16, 1
	v_add3_u32 v1, v1, v7, 0x7fff
	s_delay_alu instid0(VALU_DEP_1)
	v_lshrrev_b32_e32 v7, 16, v1
	s_branch .LBB62_1404
.LBB62_1401:
	s_mov_b32 s3, -1
                                        ; implicit-def: $vgpr7
	s_branch .LBB62_1410
.LBB62_1402:
	s_mov_b32 s3, -1
                                        ; implicit-def: $vgpr7
	s_branch .LBB62_1407
.LBB62_1403:
	s_mov_b32 s3, -1
                                        ; implicit-def: $vgpr7
.LBB62_1404:
	s_delay_alu instid0(SALU_CYCLE_1)
	s_and_not1_b32 vcc_lo, exec_lo, s3
	s_cbranch_vccnz .LBB62_1406
; %bb.1405:
	global_load_b32 v1, v[2:3], off
	s_wait_loadcnt 0x0
	v_cvt_f32_i32_e32 v1, v1
	s_delay_alu instid0(VALU_DEP_1) | instskip(NEXT) | instid1(VALU_DEP_1)
	v_bfe_u32 v7, v1, 16, 1
	v_add3_u32 v1, v1, v7, 0x7fff
	s_delay_alu instid0(VALU_DEP_1)
	v_lshrrev_b32_e32 v7, 16, v1
.LBB62_1406:
	s_mov_b32 s3, 0
.LBB62_1407:
	s_delay_alu instid0(SALU_CYCLE_1)
	s_and_not1_b32 vcc_lo, exec_lo, s3
	s_cbranch_vccnz .LBB62_1409
; %bb.1408:
	global_load_i16 v1, v[2:3], off
	s_wait_loadcnt 0x0
	v_cvt_f32_i32_e32 v1, v1
	s_delay_alu instid0(VALU_DEP_1) | instskip(NEXT) | instid1(VALU_DEP_1)
	v_bfe_u32 v7, v1, 16, 1
	v_add3_u32 v1, v1, v7, 0x7fff
	s_delay_alu instid0(VALU_DEP_1)
	v_lshrrev_b32_e32 v7, 16, v1
.LBB62_1409:
	s_mov_b32 s3, 0
.LBB62_1410:
	s_delay_alu instid0(SALU_CYCLE_1)
	s_and_not1_b32 vcc_lo, exec_lo, s3
	s_cbranch_vccnz .LBB62_1416
; %bb.1411:
	s_cmp_gt_i32 s0, 0
	s_mov_b32 s3, 0
	s_cbranch_scc0 .LBB62_1413
; %bb.1412:
	global_load_i8 v1, v[2:3], off
	s_wait_loadcnt 0x0
	v_cvt_f32_i32_e32 v1, v1
	s_delay_alu instid0(VALU_DEP_1) | instskip(NEXT) | instid1(VALU_DEP_1)
	v_bfe_u32 v7, v1, 16, 1
	v_add3_u32 v1, v1, v7, 0x7fff
	s_delay_alu instid0(VALU_DEP_1)
	v_lshrrev_b32_e32 v7, 16, v1
	s_branch .LBB62_1414
.LBB62_1413:
	s_mov_b32 s3, -1
                                        ; implicit-def: $vgpr7
.LBB62_1414:
	s_delay_alu instid0(SALU_CYCLE_1)
	s_and_not1_b32 vcc_lo, exec_lo, s3
	s_cbranch_vccnz .LBB62_1416
; %bb.1415:
	global_load_u8 v1, v[2:3], off
	s_wait_loadcnt 0x0
	v_cvt_f32_ubyte0_e32 v1, v1
	s_wait_xcnt 0x0
	s_delay_alu instid0(VALU_DEP_1) | instskip(NEXT) | instid1(VALU_DEP_1)
	v_bfe_u32 v2, v1, 16, 1
	v_add3_u32 v1, v1, v2, 0x7fff
	s_delay_alu instid0(VALU_DEP_1)
	v_lshrrev_b32_e32 v7, 16, v1
.LBB62_1416:
.LBB62_1417:
	v_add_nc_u32_e32 v0, s1, v0
	s_cmp_lt_i32 s0, 11
	s_delay_alu instid0(VALU_DEP_1) | instskip(NEXT) | instid1(VALU_DEP_1)
	v_ashrrev_i32_e32 v1, 31, v0
	v_add_nc_u64_e32 v[0:1], s[6:7], v[0:1]
	s_cbranch_scc1 .LBB62_1424
; %bb.1418:
	s_cmp_gt_i32 s0, 25
	s_mov_b32 s3, 0
	s_cbranch_scc0 .LBB62_1425
; %bb.1419:
	s_cmp_gt_i32 s0, 28
	s_cbranch_scc0 .LBB62_1426
; %bb.1420:
	s_cmp_gt_i32 s0, 43
	;; [unrolled: 3-line block ×3, first 2 shown]
	s_cbranch_scc0 .LBB62_1429
; %bb.1422:
	s_cmp_eq_u32 s0, 46
	s_mov_b32 s7, 0
	s_cbranch_scc0 .LBB62_1430
; %bb.1423:
	global_load_b32 v8, v[0:1], off
	s_mov_b32 s1, 0
	s_mov_b32 s6, -1
	s_branch .LBB62_1432
.LBB62_1424:
	s_mov_b32 s1, -1
	s_mov_b32 s6, 0
                                        ; implicit-def: $vgpr8
	s_branch .LBB62_1498
.LBB62_1425:
	s_mov_b32 s7, -1
	s_mov_b32 s6, 0
	s_mov_b32 s1, 0
                                        ; implicit-def: $vgpr8
	s_branch .LBB62_1461
.LBB62_1426:
	s_mov_b32 s7, -1
	s_mov_b32 s6, 0
	s_mov_b32 s1, 0
                                        ; implicit-def: $vgpr8
	s_branch .LBB62_1442
.LBB62_1427:
	s_mov_b32 s7, -1
	s_mov_b32 s6, 0
	s_mov_b32 s1, 0
                                        ; implicit-def: $vgpr8
	s_branch .LBB62_1437
.LBB62_1428:
	s_or_b32 s9, s9, exec_lo
	s_trap 2
	s_cbranch_execz .LBB62_1367
	s_branch .LBB62_1368
.LBB62_1429:
	s_mov_b32 s7, -1
	s_mov_b32 s6, 0
	s_mov_b32 s1, 0
	s_branch .LBB62_1431
.LBB62_1430:
	s_mov_b32 s1, -1
	s_mov_b32 s6, 0
.LBB62_1431:
                                        ; implicit-def: $vgpr8
.LBB62_1432:
	s_and_b32 vcc_lo, exec_lo, s7
	s_cbranch_vccz .LBB62_1436
; %bb.1433:
	s_cmp_eq_u32 s0, 44
	s_cbranch_scc0 .LBB62_1435
; %bb.1434:
	global_load_u8 v2, v[0:1], off
	s_mov_b32 s1, 0
	s_mov_b32 s6, -1
	s_wait_loadcnt 0x0
	v_lshlrev_b32_e32 v3, 23, v2
	v_cmp_ne_u32_e32 vcc_lo, 0xff, v2
	s_delay_alu instid0(VALU_DEP_2) | instskip(SKIP_1) | instid1(VALU_DEP_2)
	v_cndmask_b32_e32 v3, 0x7f800001, v3, vcc_lo
	v_cmp_ne_u32_e32 vcc_lo, 0, v2
	v_cndmask_b32_e32 v2, 0x400000, v3, vcc_lo
	s_delay_alu instid0(VALU_DEP_1) | instskip(NEXT) | instid1(VALU_DEP_1)
	v_add_nc_u32_e32 v3, 0x7fff, v2
	v_lshrrev_b32_e32 v3, 16, v3
	v_cmp_o_f32_e32 vcc_lo, v2, v2
	s_delay_alu instid0(VALU_DEP_2)
	v_cndmask_b32_e32 v8, 0x7fc0, v3, vcc_lo
	s_branch .LBB62_1436
.LBB62_1435:
	s_mov_b32 s1, -1
                                        ; implicit-def: $vgpr8
.LBB62_1436:
	s_mov_b32 s7, 0
.LBB62_1437:
	s_delay_alu instid0(SALU_CYCLE_1)
	s_and_b32 vcc_lo, exec_lo, s7
	s_cbranch_vccz .LBB62_1441
; %bb.1438:
	s_cmp_eq_u32 s0, 29
	s_cbranch_scc0 .LBB62_1440
; %bb.1439:
	global_load_b64 v[2:3], v[0:1], off
	s_mov_b32 s1, 0
	s_mov_b32 s6, -1
	s_mov_b32 s7, 0
	s_wait_loadcnt 0x0
	v_clz_i32_u32_e32 v8, v3
	s_delay_alu instid0(VALU_DEP_1) | instskip(NEXT) | instid1(VALU_DEP_1)
	v_min_u32_e32 v8, 32, v8
	v_lshlrev_b64_e32 v[2:3], v8, v[2:3]
	s_delay_alu instid0(VALU_DEP_1) | instskip(NEXT) | instid1(VALU_DEP_1)
	v_min_u32_e32 v2, 1, v2
	v_dual_sub_nc_u32 v3, 32, v8 :: v_dual_bitop2_b32 v2, v3, v2 bitop3:0x54
	s_delay_alu instid0(VALU_DEP_1) | instskip(NEXT) | instid1(VALU_DEP_1)
	v_cvt_f32_u32_e32 v2, v2
	v_ldexp_f32 v2, v2, v3
	s_delay_alu instid0(VALU_DEP_1) | instskip(NEXT) | instid1(VALU_DEP_1)
	v_bfe_u32 v3, v2, 16, 1
	v_add3_u32 v2, v2, v3, 0x7fff
	s_delay_alu instid0(VALU_DEP_1)
	v_lshrrev_b32_e32 v8, 16, v2
	s_branch .LBB62_1442
.LBB62_1440:
	s_mov_b32 s1, -1
                                        ; implicit-def: $vgpr8
.LBB62_1441:
	s_mov_b32 s7, 0
.LBB62_1442:
	s_delay_alu instid0(SALU_CYCLE_1)
	s_and_b32 vcc_lo, exec_lo, s7
	s_cbranch_vccz .LBB62_1460
; %bb.1443:
	s_cmp_lt_i32 s0, 27
	s_cbranch_scc1 .LBB62_1446
; %bb.1444:
	s_cmp_gt_i32 s0, 27
	s_cbranch_scc0 .LBB62_1447
; %bb.1445:
	global_load_b32 v2, v[0:1], off
	s_mov_b32 s6, 0
	s_wait_loadcnt 0x0
	v_cvt_f32_u32_e32 v2, v2
	s_delay_alu instid0(VALU_DEP_1) | instskip(NEXT) | instid1(VALU_DEP_1)
	v_bfe_u32 v3, v2, 16, 1
	v_add3_u32 v2, v2, v3, 0x7fff
	s_delay_alu instid0(VALU_DEP_1)
	v_lshrrev_b32_e32 v8, 16, v2
	s_branch .LBB62_1448
.LBB62_1446:
	s_mov_b32 s6, -1
                                        ; implicit-def: $vgpr8
	s_branch .LBB62_1451
.LBB62_1447:
	s_mov_b32 s6, -1
                                        ; implicit-def: $vgpr8
.LBB62_1448:
	s_delay_alu instid0(SALU_CYCLE_1)
	s_and_not1_b32 vcc_lo, exec_lo, s6
	s_cbranch_vccnz .LBB62_1450
; %bb.1449:
	global_load_u16 v2, v[0:1], off
	s_wait_loadcnt 0x0
	v_cvt_f32_u32_e32 v2, v2
	s_delay_alu instid0(VALU_DEP_1) | instskip(NEXT) | instid1(VALU_DEP_1)
	v_bfe_u32 v3, v2, 16, 1
	v_add3_u32 v2, v2, v3, 0x7fff
	s_delay_alu instid0(VALU_DEP_1)
	v_lshrrev_b32_e32 v8, 16, v2
.LBB62_1450:
	s_mov_b32 s6, 0
.LBB62_1451:
	s_delay_alu instid0(SALU_CYCLE_1)
	s_and_not1_b32 vcc_lo, exec_lo, s6
	s_cbranch_vccnz .LBB62_1459
; %bb.1452:
	global_load_u8 v2, v[0:1], off
	s_mov_b32 s6, 0
	s_mov_b32 s7, exec_lo
	s_wait_loadcnt 0x0
	v_cmpx_lt_i16_e32 0x7f, v2
	s_xor_b32 s7, exec_lo, s7
	s_cbranch_execz .LBB62_1473
; %bb.1453:
	s_mov_b32 s6, -1
	s_mov_b32 s10, exec_lo
	v_cmpx_eq_u16_e32 0x80, v2
; %bb.1454:
	s_xor_b32 s6, exec_lo, -1
; %bb.1455:
	s_or_b32 exec_lo, exec_lo, s10
	s_delay_alu instid0(SALU_CYCLE_1)
	s_and_b32 s6, s6, exec_lo
	s_or_saveexec_b32 s7, s7
	v_mov_b32_e32 v3, 0x7f800001
	s_xor_b32 exec_lo, exec_lo, s7
	s_cbranch_execnz .LBB62_1474
.LBB62_1456:
	s_or_b32 exec_lo, exec_lo, s7
	s_and_saveexec_b32 s7, s6
	s_cbranch_execz .LBB62_1458
.LBB62_1457:
	v_and_b32_e32 v3, 0xffff, v2
	s_delay_alu instid0(VALU_DEP_1) | instskip(SKIP_1) | instid1(VALU_DEP_2)
	v_and_b32_e32 v8, 7, v3
	v_bfe_u32 v11, v3, 3, 4
	v_clz_i32_u32_e32 v9, v8
	s_delay_alu instid0(VALU_DEP_2) | instskip(NEXT) | instid1(VALU_DEP_2)
	v_cmp_eq_u32_e32 vcc_lo, 0, v11
	v_min_u32_e32 v9, 32, v9
	s_delay_alu instid0(VALU_DEP_1) | instskip(NEXT) | instid1(VALU_DEP_1)
	v_subrev_nc_u32_e32 v10, 28, v9
	v_dual_lshlrev_b32 v3, v10, v3 :: v_dual_sub_nc_u32 v9, 29, v9
	s_delay_alu instid0(VALU_DEP_1) | instskip(NEXT) | instid1(VALU_DEP_1)
	v_dual_lshlrev_b32 v2, 24, v2 :: v_dual_bitop2_b32 v3, 7, v3 bitop3:0x40
	v_dual_cndmask_b32 v9, v11, v9, vcc_lo :: v_dual_cndmask_b32 v3, v8, v3, vcc_lo
	s_delay_alu instid0(VALU_DEP_2) | instskip(NEXT) | instid1(VALU_DEP_2)
	v_and_b32_e32 v2, 0x80000000, v2
	v_lshl_add_u32 v8, v9, 23, 0x3b800000
	s_delay_alu instid0(VALU_DEP_3) | instskip(NEXT) | instid1(VALU_DEP_1)
	v_lshlrev_b32_e32 v3, 20, v3
	v_or3_b32 v3, v2, v8, v3
.LBB62_1458:
	s_or_b32 exec_lo, exec_lo, s7
	s_delay_alu instid0(VALU_DEP_1) | instskip(SKIP_1) | instid1(VALU_DEP_2)
	v_bfe_u32 v2, v3, 16, 1
	v_cmp_o_f32_e32 vcc_lo, v3, v3
	v_add3_u32 v2, v3, v2, 0x7fff
	s_delay_alu instid0(VALU_DEP_1) | instskip(NEXT) | instid1(VALU_DEP_1)
	v_lshrrev_b32_e32 v2, 16, v2
	v_cndmask_b32_e32 v8, 0x7fc0, v2, vcc_lo
.LBB62_1459:
	s_mov_b32 s6, -1
.LBB62_1460:
	s_mov_b32 s7, 0
.LBB62_1461:
	s_delay_alu instid0(SALU_CYCLE_1)
	s_and_b32 vcc_lo, exec_lo, s7
	s_cbranch_vccz .LBB62_1494
; %bb.1462:
	s_cmp_gt_i32 s0, 22
	s_cbranch_scc0 .LBB62_1472
; %bb.1463:
	s_cmp_lt_i32 s0, 24
	s_cbranch_scc1 .LBB62_1475
; %bb.1464:
	s_cmp_gt_i32 s0, 24
	s_cbranch_scc0 .LBB62_1476
; %bb.1465:
	global_load_u8 v2, v[0:1], off
	s_mov_b32 s6, exec_lo
	s_wait_loadcnt 0x0
	v_cmpx_lt_i16_e32 0x7f, v2
	s_xor_b32 s6, exec_lo, s6
	s_cbranch_execz .LBB62_1488
; %bb.1466:
	s_mov_b32 s3, -1
	s_mov_b32 s7, exec_lo
	v_cmpx_eq_u16_e32 0x80, v2
; %bb.1467:
	s_xor_b32 s3, exec_lo, -1
; %bb.1468:
	s_or_b32 exec_lo, exec_lo, s7
	s_delay_alu instid0(SALU_CYCLE_1)
	s_and_b32 s3, s3, exec_lo
	s_or_saveexec_b32 s6, s6
	v_mov_b32_e32 v3, 0x7f800001
	s_xor_b32 exec_lo, exec_lo, s6
	s_cbranch_execnz .LBB62_1489
.LBB62_1469:
	s_or_b32 exec_lo, exec_lo, s6
	s_and_saveexec_b32 s6, s3
	s_cbranch_execz .LBB62_1471
.LBB62_1470:
	v_and_b32_e32 v3, 0xffff, v2
	s_delay_alu instid0(VALU_DEP_1) | instskip(SKIP_1) | instid1(VALU_DEP_2)
	v_and_b32_e32 v8, 3, v3
	v_bfe_u32 v11, v3, 2, 5
	v_clz_i32_u32_e32 v9, v8
	s_delay_alu instid0(VALU_DEP_2) | instskip(NEXT) | instid1(VALU_DEP_2)
	v_cmp_eq_u32_e32 vcc_lo, 0, v11
	v_min_u32_e32 v9, 32, v9
	s_delay_alu instid0(VALU_DEP_1) | instskip(NEXT) | instid1(VALU_DEP_1)
	v_subrev_nc_u32_e32 v10, 29, v9
	v_dual_lshlrev_b32 v3, v10, v3 :: v_dual_sub_nc_u32 v9, 30, v9
	s_delay_alu instid0(VALU_DEP_1) | instskip(NEXT) | instid1(VALU_DEP_1)
	v_dual_lshlrev_b32 v2, 24, v2 :: v_dual_bitop2_b32 v3, 3, v3 bitop3:0x40
	v_dual_cndmask_b32 v9, v11, v9, vcc_lo :: v_dual_cndmask_b32 v3, v8, v3, vcc_lo
	s_delay_alu instid0(VALU_DEP_2) | instskip(NEXT) | instid1(VALU_DEP_2)
	v_and_b32_e32 v2, 0x80000000, v2
	v_lshl_add_u32 v8, v9, 23, 0x37800000
	s_delay_alu instid0(VALU_DEP_3) | instskip(NEXT) | instid1(VALU_DEP_1)
	v_lshlrev_b32_e32 v3, 21, v3
	v_or3_b32 v3, v2, v8, v3
.LBB62_1471:
	s_or_b32 exec_lo, exec_lo, s6
	s_delay_alu instid0(VALU_DEP_1) | instskip(SKIP_2) | instid1(VALU_DEP_2)
	v_bfe_u32 v2, v3, 16, 1
	v_cmp_o_f32_e32 vcc_lo, v3, v3
	s_mov_b32 s3, 0
	v_add3_u32 v2, v3, v2, 0x7fff
	s_delay_alu instid0(VALU_DEP_1) | instskip(NEXT) | instid1(VALU_DEP_1)
	v_lshrrev_b32_e32 v2, 16, v2
	v_cndmask_b32_e32 v8, 0x7fc0, v2, vcc_lo
	s_branch .LBB62_1477
.LBB62_1472:
	s_mov_b32 s3, -1
                                        ; implicit-def: $vgpr8
	s_branch .LBB62_1483
.LBB62_1473:
	s_or_saveexec_b32 s7, s7
	v_mov_b32_e32 v3, 0x7f800001
	s_xor_b32 exec_lo, exec_lo, s7
	s_cbranch_execz .LBB62_1456
.LBB62_1474:
	v_cmp_ne_u16_e32 vcc_lo, 0, v2
	v_mov_b32_e32 v3, 0
	s_and_not1_b32 s6, s6, exec_lo
	s_and_b32 s10, vcc_lo, exec_lo
	s_delay_alu instid0(SALU_CYCLE_1)
	s_or_b32 s6, s6, s10
	s_or_b32 exec_lo, exec_lo, s7
	s_and_saveexec_b32 s7, s6
	s_cbranch_execnz .LBB62_1457
	s_branch .LBB62_1458
.LBB62_1475:
	s_mov_b32 s3, -1
                                        ; implicit-def: $vgpr8
	s_branch .LBB62_1480
.LBB62_1476:
	s_mov_b32 s3, -1
                                        ; implicit-def: $vgpr8
.LBB62_1477:
	s_delay_alu instid0(SALU_CYCLE_1)
	s_and_b32 vcc_lo, exec_lo, s3
	s_cbranch_vccz .LBB62_1479
; %bb.1478:
	global_load_u8 v2, v[0:1], off
	s_wait_loadcnt 0x0
	v_lshlrev_b32_e32 v2, 24, v2
	s_delay_alu instid0(VALU_DEP_1) | instskip(NEXT) | instid1(VALU_DEP_1)
	v_and_b32_e32 v3, 0x7f000000, v2
	v_clz_i32_u32_e32 v8, v3
	v_cmp_ne_u32_e32 vcc_lo, 0, v3
	v_add_nc_u32_e32 v10, 0x1000000, v3
	s_delay_alu instid0(VALU_DEP_3) | instskip(NEXT) | instid1(VALU_DEP_1)
	v_min_u32_e32 v8, 32, v8
	v_sub_nc_u32_e64 v8, v8, 4 clamp
	s_delay_alu instid0(VALU_DEP_1) | instskip(NEXT) | instid1(VALU_DEP_1)
	v_dual_lshlrev_b32 v9, v8, v3 :: v_dual_lshlrev_b32 v8, 23, v8
	v_lshrrev_b32_e32 v9, 4, v9
	s_delay_alu instid0(VALU_DEP_1) | instskip(NEXT) | instid1(VALU_DEP_1)
	v_dual_sub_nc_u32 v8, v9, v8 :: v_dual_ashrrev_i32 v9, 8, v10
	v_add_nc_u32_e32 v8, 0x3c000000, v8
	s_delay_alu instid0(VALU_DEP_1) | instskip(NEXT) | instid1(VALU_DEP_1)
	v_and_or_b32 v8, 0x7f800000, v9, v8
	v_cndmask_b32_e32 v3, 0, v8, vcc_lo
	s_delay_alu instid0(VALU_DEP_1) | instskip(SKIP_1) | instid1(VALU_DEP_2)
	v_and_or_b32 v2, 0x80000000, v2, v3
	v_bfe_u32 v3, v3, 16, 1
	v_cmp_o_f32_e32 vcc_lo, v2, v2
	s_delay_alu instid0(VALU_DEP_2) | instskip(NEXT) | instid1(VALU_DEP_1)
	v_add3_u32 v3, v2, v3, 0x7fff
	v_lshrrev_b32_e32 v3, 16, v3
	s_delay_alu instid0(VALU_DEP_1)
	v_cndmask_b32_e32 v8, 0x7fc0, v3, vcc_lo
.LBB62_1479:
	s_mov_b32 s3, 0
.LBB62_1480:
	s_delay_alu instid0(SALU_CYCLE_1)
	s_and_not1_b32 vcc_lo, exec_lo, s3
	s_cbranch_vccnz .LBB62_1482
; %bb.1481:
	global_load_u8 v2, v[0:1], off
	s_wait_loadcnt 0x0
	v_lshlrev_b32_e32 v3, 25, v2
	v_lshlrev_b16 v2, 8, v2
	s_delay_alu instid0(VALU_DEP_1) | instskip(SKIP_1) | instid1(VALU_DEP_2)
	v_and_or_b32 v9, 0x7f00, v2, 0.5
	v_bfe_i32 v2, v2, 0, 16
	v_dual_add_f32 v9, -0.5, v9 :: v_dual_lshrrev_b32 v8, 4, v3
	v_cmp_gt_u32_e32 vcc_lo, 0x8000000, v3
	s_delay_alu instid0(VALU_DEP_2) | instskip(NEXT) | instid1(VALU_DEP_1)
	v_or_b32_e32 v8, 0x70000000, v8
	v_mul_f32_e32 v8, 0x7800000, v8
	s_delay_alu instid0(VALU_DEP_1) | instskip(NEXT) | instid1(VALU_DEP_1)
	v_cndmask_b32_e32 v3, v8, v9, vcc_lo
	v_and_or_b32 v2, 0x80000000, v2, v3
	v_bfe_u32 v3, v3, 16, 1
	s_delay_alu instid0(VALU_DEP_2) | instskip(NEXT) | instid1(VALU_DEP_2)
	v_cmp_o_f32_e32 vcc_lo, v2, v2
	v_add3_u32 v3, v2, v3, 0x7fff
	s_delay_alu instid0(VALU_DEP_1) | instskip(NEXT) | instid1(VALU_DEP_1)
	v_lshrrev_b32_e32 v3, 16, v3
	v_cndmask_b32_e32 v8, 0x7fc0, v3, vcc_lo
.LBB62_1482:
	s_mov_b32 s3, 0
	s_mov_b32 s6, -1
.LBB62_1483:
	s_and_not1_b32 vcc_lo, exec_lo, s3
	s_mov_b32 s3, 0
	s_cbranch_vccnz .LBB62_1494
; %bb.1484:
	s_cmp_gt_i32 s0, 14
	s_cbranch_scc0 .LBB62_1487
; %bb.1485:
	s_cmp_eq_u32 s0, 15
	s_cbranch_scc0 .LBB62_1490
; %bb.1486:
	s_wait_loadcnt 0x0
	global_load_u16 v8, v[0:1], off
	s_mov_b32 s1, 0
	s_mov_b32 s6, -1
	s_branch .LBB62_1492
.LBB62_1487:
	s_mov_b32 s3, -1
	s_branch .LBB62_1491
.LBB62_1488:
	s_or_saveexec_b32 s6, s6
	v_mov_b32_e32 v3, 0x7f800001
	s_xor_b32 exec_lo, exec_lo, s6
	s_cbranch_execz .LBB62_1469
.LBB62_1489:
	v_cmp_ne_u16_e32 vcc_lo, 0, v2
	v_mov_b32_e32 v3, 0
	s_and_not1_b32 s3, s3, exec_lo
	s_and_b32 s7, vcc_lo, exec_lo
	s_delay_alu instid0(SALU_CYCLE_1)
	s_or_b32 s3, s3, s7
	s_or_b32 exec_lo, exec_lo, s6
	s_and_saveexec_b32 s6, s3
	s_cbranch_execnz .LBB62_1470
	s_branch .LBB62_1471
.LBB62_1490:
	s_mov_b32 s1, -1
.LBB62_1491:
                                        ; implicit-def: $vgpr8
.LBB62_1492:
	s_and_b32 vcc_lo, exec_lo, s3
	s_mov_b32 s3, 0
	s_cbranch_vccz .LBB62_1494
; %bb.1493:
	s_cmp_lg_u32 s0, 11
	s_mov_b32 s3, -1
	s_cselect_b32 s1, -1, 0
.LBB62_1494:
	s_delay_alu instid0(SALU_CYCLE_1)
	s_and_b32 vcc_lo, exec_lo, s1
	s_cbranch_vccnz .LBB62_2027
; %bb.1495:
	s_and_not1_b32 vcc_lo, exec_lo, s3
	s_cbranch_vccnz .LBB62_1497
.LBB62_1496:
	global_load_u8 v2, v[0:1], off
	s_mov_b32 s6, -1
	s_wait_loadcnt 0x0
	v_cmp_ne_u16_e32 vcc_lo, 0, v2
	v_cndmask_b32_e64 v2, 0, 1.0, vcc_lo
	s_delay_alu instid0(VALU_DEP_1)
	v_lshrrev_b32_e32 v8, 16, v2
.LBB62_1497:
	s_mov_b32 s1, 0
.LBB62_1498:
	s_delay_alu instid0(SALU_CYCLE_1)
	s_and_b32 vcc_lo, exec_lo, s1
	s_cbranch_vccz .LBB62_1547
; %bb.1499:
	s_cmp_lt_i32 s0, 5
	s_cbranch_scc1 .LBB62_1504
; %bb.1500:
	s_cmp_lt_i32 s0, 8
	s_cbranch_scc1 .LBB62_1505
	;; [unrolled: 3-line block ×3, first 2 shown]
; %bb.1502:
	s_cmp_gt_i32 s0, 9
	s_cbranch_scc0 .LBB62_1507
; %bb.1503:
	global_load_b64 v[2:3], v[0:1], off
	s_mov_b32 s1, 0
	s_wait_loadcnt 0x0
	v_cvt_f32_f64_e32 v2, v[2:3]
	s_delay_alu instid0(VALU_DEP_1) | instskip(SKIP_1) | instid1(VALU_DEP_2)
	v_bfe_u32 v3, v2, 16, 1
	v_cmp_o_f32_e32 vcc_lo, v2, v2
	v_add3_u32 v3, v2, v3, 0x7fff
	s_delay_alu instid0(VALU_DEP_1) | instskip(NEXT) | instid1(VALU_DEP_1)
	v_lshrrev_b32_e32 v3, 16, v3
	v_cndmask_b32_e32 v8, 0x7fc0, v3, vcc_lo
	s_branch .LBB62_1508
.LBB62_1504:
	s_mov_b32 s1, -1
                                        ; implicit-def: $vgpr8
	s_branch .LBB62_1526
.LBB62_1505:
	s_mov_b32 s1, -1
                                        ; implicit-def: $vgpr8
	s_branch .LBB62_1514
.LBB62_1506:
	s_mov_b32 s1, -1
                                        ; implicit-def: $vgpr8
	s_branch .LBB62_1511
.LBB62_1507:
	s_mov_b32 s1, -1
                                        ; implicit-def: $vgpr8
.LBB62_1508:
	s_delay_alu instid0(SALU_CYCLE_1)
	s_and_not1_b32 vcc_lo, exec_lo, s1
	s_cbranch_vccnz .LBB62_1510
; %bb.1509:
	global_load_b32 v2, v[0:1], off
	s_wait_loadcnt 0x0
	v_bfe_u32 v3, v2, 16, 1
	v_cmp_o_f32_e32 vcc_lo, v2, v2
	s_delay_alu instid0(VALU_DEP_2) | instskip(NEXT) | instid1(VALU_DEP_1)
	v_add3_u32 v3, v2, v3, 0x7fff
	v_lshrrev_b32_e32 v3, 16, v3
	s_delay_alu instid0(VALU_DEP_1)
	v_cndmask_b32_e32 v8, 0x7fc0, v3, vcc_lo
.LBB62_1510:
	s_mov_b32 s1, 0
.LBB62_1511:
	s_delay_alu instid0(SALU_CYCLE_1)
	s_and_not1_b32 vcc_lo, exec_lo, s1
	s_cbranch_vccnz .LBB62_1513
; %bb.1512:
	global_load_b32 v2, v[0:1], off
	s_wait_loadcnt 0x0
	v_cvt_f32_f16_e32 v3, v2
	v_cmp_o_f16_e32 vcc_lo, v2, v2
	s_delay_alu instid0(VALU_DEP_2) | instskip(NEXT) | instid1(VALU_DEP_1)
	v_bfe_u32 v8, v3, 16, 1
	v_add3_u32 v3, v3, v8, 0x7fff
	s_delay_alu instid0(VALU_DEP_1) | instskip(NEXT) | instid1(VALU_DEP_1)
	v_lshrrev_b32_e32 v3, 16, v3
	v_cndmask_b32_e32 v8, 0x7fc0, v3, vcc_lo
.LBB62_1513:
	s_mov_b32 s1, 0
.LBB62_1514:
	s_delay_alu instid0(SALU_CYCLE_1)
	s_and_not1_b32 vcc_lo, exec_lo, s1
	s_cbranch_vccnz .LBB62_1525
; %bb.1515:
	s_cmp_lt_i32 s0, 6
	s_cbranch_scc1 .LBB62_1518
; %bb.1516:
	s_cmp_gt_i32 s0, 6
	s_cbranch_scc0 .LBB62_1519
; %bb.1517:
	global_load_b64 v[2:3], v[0:1], off
	s_mov_b32 s1, 0
	s_wait_loadcnt 0x0
	v_cvt_f32_f64_e32 v2, v[2:3]
	s_delay_alu instid0(VALU_DEP_1) | instskip(SKIP_1) | instid1(VALU_DEP_2)
	v_bfe_u32 v3, v2, 16, 1
	v_cmp_o_f32_e32 vcc_lo, v2, v2
	v_add3_u32 v3, v2, v3, 0x7fff
	s_delay_alu instid0(VALU_DEP_1) | instskip(NEXT) | instid1(VALU_DEP_1)
	v_lshrrev_b32_e32 v3, 16, v3
	v_cndmask_b32_e32 v8, 0x7fc0, v3, vcc_lo
	s_branch .LBB62_1520
.LBB62_1518:
	s_mov_b32 s1, -1
                                        ; implicit-def: $vgpr8
	s_branch .LBB62_1523
.LBB62_1519:
	s_mov_b32 s1, -1
                                        ; implicit-def: $vgpr8
.LBB62_1520:
	s_delay_alu instid0(SALU_CYCLE_1)
	s_and_not1_b32 vcc_lo, exec_lo, s1
	s_cbranch_vccnz .LBB62_1522
; %bb.1521:
	global_load_b32 v2, v[0:1], off
	s_wait_loadcnt 0x0
	v_bfe_u32 v3, v2, 16, 1
	v_cmp_o_f32_e32 vcc_lo, v2, v2
	s_delay_alu instid0(VALU_DEP_2) | instskip(NEXT) | instid1(VALU_DEP_1)
	v_add3_u32 v3, v2, v3, 0x7fff
	v_lshrrev_b32_e32 v3, 16, v3
	s_delay_alu instid0(VALU_DEP_1)
	v_cndmask_b32_e32 v8, 0x7fc0, v3, vcc_lo
.LBB62_1522:
	s_mov_b32 s1, 0
.LBB62_1523:
	s_delay_alu instid0(SALU_CYCLE_1)
	s_and_not1_b32 vcc_lo, exec_lo, s1
	s_cbranch_vccnz .LBB62_1525
; %bb.1524:
	global_load_u16 v2, v[0:1], off
	s_wait_loadcnt 0x0
	v_cvt_f32_f16_e32 v3, v2
	v_cmp_o_f16_e32 vcc_lo, v2, v2
	s_delay_alu instid0(VALU_DEP_2) | instskip(NEXT) | instid1(VALU_DEP_1)
	v_bfe_u32 v8, v3, 16, 1
	v_add3_u32 v3, v3, v8, 0x7fff
	s_delay_alu instid0(VALU_DEP_1) | instskip(NEXT) | instid1(VALU_DEP_1)
	v_lshrrev_b32_e32 v3, 16, v3
	v_cndmask_b32_e32 v8, 0x7fc0, v3, vcc_lo
.LBB62_1525:
	s_mov_b32 s1, 0
.LBB62_1526:
	s_delay_alu instid0(SALU_CYCLE_1)
	s_and_not1_b32 vcc_lo, exec_lo, s1
	s_cbranch_vccnz .LBB62_1546
; %bb.1527:
	s_cmp_lt_i32 s0, 2
	s_cbranch_scc1 .LBB62_1531
; %bb.1528:
	s_cmp_lt_i32 s0, 3
	s_cbranch_scc1 .LBB62_1532
; %bb.1529:
	s_cmp_gt_i32 s0, 3
	s_cbranch_scc0 .LBB62_1533
; %bb.1530:
	global_load_b64 v[2:3], v[0:1], off
	s_mov_b32 s1, 0
	s_wait_loadcnt 0x0
	v_xor_b32_e32 v8, v2, v3
	v_cls_i32_e32 v9, v3
	s_delay_alu instid0(VALU_DEP_2) | instskip(NEXT) | instid1(VALU_DEP_1)
	v_ashrrev_i32_e32 v8, 31, v8
	v_add_nc_u32_e32 v8, 32, v8
	s_delay_alu instid0(VALU_DEP_1) | instskip(NEXT) | instid1(VALU_DEP_1)
	v_add_min_u32_e64 v8, v9, -1, v8
	v_lshlrev_b64_e32 v[2:3], v8, v[2:3]
	s_delay_alu instid0(VALU_DEP_1) | instskip(NEXT) | instid1(VALU_DEP_1)
	v_min_u32_e32 v2, 1, v2
	v_dual_sub_nc_u32 v3, 32, v8 :: v_dual_bitop2_b32 v2, v3, v2 bitop3:0x54
	s_delay_alu instid0(VALU_DEP_1) | instskip(NEXT) | instid1(VALU_DEP_1)
	v_cvt_f32_i32_e32 v2, v2
	v_ldexp_f32 v2, v2, v3
	s_delay_alu instid0(VALU_DEP_1) | instskip(NEXT) | instid1(VALU_DEP_1)
	v_bfe_u32 v3, v2, 16, 1
	v_add3_u32 v2, v2, v3, 0x7fff
	s_delay_alu instid0(VALU_DEP_1)
	v_lshrrev_b32_e32 v8, 16, v2
	s_branch .LBB62_1534
.LBB62_1531:
	s_mov_b32 s1, -1
                                        ; implicit-def: $vgpr8
	s_branch .LBB62_1540
.LBB62_1532:
	s_mov_b32 s1, -1
                                        ; implicit-def: $vgpr8
	s_branch .LBB62_1537
.LBB62_1533:
	s_mov_b32 s1, -1
                                        ; implicit-def: $vgpr8
.LBB62_1534:
	s_delay_alu instid0(SALU_CYCLE_1)
	s_and_not1_b32 vcc_lo, exec_lo, s1
	s_cbranch_vccnz .LBB62_1536
; %bb.1535:
	global_load_b32 v2, v[0:1], off
	s_wait_loadcnt 0x0
	v_cvt_f32_i32_e32 v2, v2
	s_delay_alu instid0(VALU_DEP_1) | instskip(NEXT) | instid1(VALU_DEP_1)
	v_bfe_u32 v3, v2, 16, 1
	v_add3_u32 v2, v2, v3, 0x7fff
	s_delay_alu instid0(VALU_DEP_1)
	v_lshrrev_b32_e32 v8, 16, v2
.LBB62_1536:
	s_mov_b32 s1, 0
.LBB62_1537:
	s_delay_alu instid0(SALU_CYCLE_1)
	s_and_not1_b32 vcc_lo, exec_lo, s1
	s_cbranch_vccnz .LBB62_1539
; %bb.1538:
	global_load_i16 v2, v[0:1], off
	s_wait_loadcnt 0x0
	v_cvt_f32_i32_e32 v2, v2
	s_delay_alu instid0(VALU_DEP_1) | instskip(NEXT) | instid1(VALU_DEP_1)
	v_bfe_u32 v3, v2, 16, 1
	v_add3_u32 v2, v2, v3, 0x7fff
	s_delay_alu instid0(VALU_DEP_1)
	v_lshrrev_b32_e32 v8, 16, v2
.LBB62_1539:
	s_mov_b32 s1, 0
.LBB62_1540:
	s_delay_alu instid0(SALU_CYCLE_1)
	s_and_not1_b32 vcc_lo, exec_lo, s1
	s_cbranch_vccnz .LBB62_1546
; %bb.1541:
	s_cmp_gt_i32 s0, 0
	s_mov_b32 s0, 0
	s_cbranch_scc0 .LBB62_1543
; %bb.1542:
	global_load_i8 v2, v[0:1], off
	s_wait_loadcnt 0x0
	v_cvt_f32_i32_e32 v2, v2
	s_delay_alu instid0(VALU_DEP_1) | instskip(NEXT) | instid1(VALU_DEP_1)
	v_bfe_u32 v3, v2, 16, 1
	v_add3_u32 v2, v2, v3, 0x7fff
	s_delay_alu instid0(VALU_DEP_1)
	v_lshrrev_b32_e32 v8, 16, v2
	s_branch .LBB62_1544
.LBB62_1543:
	s_mov_b32 s0, -1
                                        ; implicit-def: $vgpr8
.LBB62_1544:
	s_delay_alu instid0(SALU_CYCLE_1)
	s_and_not1_b32 vcc_lo, exec_lo, s0
	s_cbranch_vccnz .LBB62_1546
; %bb.1545:
	global_load_u8 v0, v[0:1], off
	s_wait_loadcnt 0x0
	v_cvt_f32_ubyte0_e32 v0, v0
	s_delay_alu instid0(VALU_DEP_1) | instskip(NEXT) | instid1(VALU_DEP_1)
	v_bfe_u32 v1, v0, 16, 1
	v_add3_u32 v0, v0, v1, 0x7fff
	s_delay_alu instid0(VALU_DEP_1)
	v_lshrrev_b32_e32 v8, 16, v0
.LBB62_1546:
	s_mov_b32 s6, -1
.LBB62_1547:
	s_delay_alu instid0(SALU_CYCLE_1)
	s_and_not1_b32 vcc_lo, exec_lo, s6
	s_cbranch_vccnz .LBB62_1981
; %bb.1548:
	s_wait_xcnt 0x0
	v_mul_lo_u32 v0, s2, v4
	s_and_b32 s13, s8, 0xff
	s_wait_loadcnt 0x0
	v_lshlrev_b32_e32 v4, 16, v5
	s_cmp_lt_i32 s13, 11
	s_delay_alu instid0(VALU_DEP_1) | instskip(NEXT) | instid1(VALU_DEP_3)
	v_cmp_eq_f32_e64 s0, 0x7f800000, v4
	v_ashrrev_i32_e32 v1, 31, v0
	s_delay_alu instid0(VALU_DEP_1)
	v_add_nc_u64_e32 v[2:3], s[4:5], v[0:1]
	s_cbranch_scc1 .LBB62_1626
; %bb.1549:
	s_and_b32 s3, 0xffff, s13
	s_mov_b32 s8, -1
	s_mov_b32 s6, 0
	s_cmp_gt_i32 s3, 25
	s_mov_b32 s7, 0
	s_mov_b32 s1, 0
	s_cbranch_scc0 .LBB62_1582
; %bb.1550:
	s_cmp_gt_i32 s3, 28
	s_cbranch_scc0 .LBB62_1565
; %bb.1551:
	s_cmp_gt_i32 s3, 43
	;; [unrolled: 3-line block ×3, first 2 shown]
	s_cbranch_scc0 .LBB62_1555
; %bb.1553:
	s_mov_b32 s1, -1
	s_mov_b32 s8, 0
	s_cmp_eq_u32 s3, 46
	s_cbranch_scc0 .LBB62_1555
; %bb.1554:
	v_cndmask_b32_e64 v1, 0, 1.0, s0
	s_mov_b32 s1, 0
	s_mov_b32 s7, -1
	s_delay_alu instid0(VALU_DEP_1) | instskip(NEXT) | instid1(VALU_DEP_1)
	v_bfe_u32 v4, v1, 16, 1
	v_add3_u32 v1, v1, v4, 0x7fff
	s_delay_alu instid0(VALU_DEP_1)
	v_lshrrev_b32_e32 v1, 16, v1
	global_store_b32 v[2:3], v1, off
.LBB62_1555:
	s_and_b32 vcc_lo, exec_lo, s8
	s_cbranch_vccz .LBB62_1560
; %bb.1556:
	s_cmp_eq_u32 s3, 44
	s_mov_b32 s1, -1
	s_cbranch_scc0 .LBB62_1560
; %bb.1557:
	v_cndmask_b32_e64 v5, 0, 1.0, s0
	s_mov_b32 s7, exec_lo
	s_wait_xcnt 0x0
	s_delay_alu instid0(VALU_DEP_1) | instskip(NEXT) | instid1(VALU_DEP_1)
	v_dual_mov_b32 v4, 0xff :: v_dual_lshrrev_b32 v1, 23, v5
	v_cmpx_ne_u32_e32 0xff, v1
; %bb.1558:
	v_and_b32_e32 v4, 0x400000, v5
	v_and_or_b32 v5, 0x3fffff, v5, v1
	s_delay_alu instid0(VALU_DEP_2) | instskip(NEXT) | instid1(VALU_DEP_2)
	v_cmp_ne_u32_e32 vcc_lo, 0, v4
	v_cmp_ne_u32_e64 s1, 0, v5
	s_and_b32 s1, vcc_lo, s1
	s_delay_alu instid0(SALU_CYCLE_1) | instskip(NEXT) | instid1(VALU_DEP_1)
	v_cndmask_b32_e64 v4, 0, 1, s1
	v_add_nc_u32_e32 v4, v1, v4
; %bb.1559:
	s_or_b32 exec_lo, exec_lo, s7
	s_mov_b32 s1, 0
	s_mov_b32 s7, -1
	global_store_b8 v[2:3], v4, off
.LBB62_1560:
	s_mov_b32 s8, 0
.LBB62_1561:
	s_delay_alu instid0(SALU_CYCLE_1)
	s_and_b32 vcc_lo, exec_lo, s8
	s_cbranch_vccz .LBB62_1564
; %bb.1562:
	s_cmp_eq_u32 s3, 29
	s_mov_b32 s1, -1
	s_cbranch_scc0 .LBB62_1564
; %bb.1563:
	s_mov_b32 s1, 0
	s_wait_xcnt 0x0
	v_cndmask_b32_e64 v4, 0, 1, s0
	v_mov_b32_e32 v5, s1
	s_mov_b32 s7, -1
	global_store_b64 v[2:3], v[4:5], off
.LBB62_1564:
	s_mov_b32 s8, 0
.LBB62_1565:
	s_delay_alu instid0(SALU_CYCLE_1)
	s_and_b32 vcc_lo, exec_lo, s8
	s_cbranch_vccz .LBB62_1581
; %bb.1566:
	s_cmp_lt_i32 s3, 27
	s_mov_b32 s7, -1
	s_cbranch_scc1 .LBB62_1572
; %bb.1567:
	s_cmp_gt_i32 s3, 27
	s_cbranch_scc0 .LBB62_1569
; %bb.1568:
	s_wait_xcnt 0x0
	v_cndmask_b32_e64 v1, 0, 1, s0
	s_mov_b32 s7, 0
	global_store_b32 v[2:3], v1, off
.LBB62_1569:
	s_and_not1_b32 vcc_lo, exec_lo, s7
	s_cbranch_vccnz .LBB62_1571
; %bb.1570:
	s_wait_xcnt 0x0
	v_cndmask_b32_e64 v1, 0, 1, s0
	global_store_b16 v[2:3], v1, off
.LBB62_1571:
	s_mov_b32 s7, 0
.LBB62_1572:
	s_delay_alu instid0(SALU_CYCLE_1)
	s_and_not1_b32 vcc_lo, exec_lo, s7
	s_cbranch_vccnz .LBB62_1580
; %bb.1573:
	s_wait_xcnt 0x0
	v_cndmask_b32_e64 v4, 0, 1.0, s0
	v_mov_b32_e32 v5, 0x80
	s_mov_b32 s7, exec_lo
	s_delay_alu instid0(VALU_DEP_2)
	v_cmpx_gt_u32_e32 0x43800000, v4
	s_cbranch_execz .LBB62_1579
; %bb.1574:
	s_mov_b32 s8, 0
	s_mov_b32 s10, exec_lo
                                        ; implicit-def: $vgpr1
	v_cmpx_lt_u32_e32 0x3bffffff, v4
	s_xor_b32 s10, exec_lo, s10
	s_cbranch_execz .LBB62_2028
; %bb.1575:
	v_bfe_u32 v1, v4, 20, 1
	s_mov_b32 s8, exec_lo
	s_delay_alu instid0(VALU_DEP_1) | instskip(NEXT) | instid1(VALU_DEP_1)
	v_add3_u32 v1, v4, v1, 0x487ffff
                                        ; implicit-def: $vgpr4
	v_lshrrev_b32_e32 v1, 20, v1
	s_and_not1_saveexec_b32 s10, s10
	s_cbranch_execnz .LBB62_2029
.LBB62_1576:
	s_or_b32 exec_lo, exec_lo, s10
	v_mov_b32_e32 v5, 0
	s_and_saveexec_b32 s10, s8
.LBB62_1577:
	v_mov_b32_e32 v5, v1
.LBB62_1578:
	s_or_b32 exec_lo, exec_lo, s10
.LBB62_1579:
	s_delay_alu instid0(SALU_CYCLE_1)
	s_or_b32 exec_lo, exec_lo, s7
	global_store_b8 v[2:3], v5, off
.LBB62_1580:
	s_mov_b32 s7, -1
.LBB62_1581:
	s_mov_b32 s8, 0
.LBB62_1582:
	s_delay_alu instid0(SALU_CYCLE_1)
	s_and_b32 vcc_lo, exec_lo, s8
	s_cbranch_vccz .LBB62_1622
; %bb.1583:
	s_cmp_gt_i32 s3, 22
	s_mov_b32 s6, -1
	s_cbranch_scc0 .LBB62_1615
; %bb.1584:
	s_cmp_lt_i32 s3, 24
	s_cbranch_scc1 .LBB62_1604
; %bb.1585:
	s_cmp_gt_i32 s3, 24
	s_cbranch_scc0 .LBB62_1593
; %bb.1586:
	s_wait_xcnt 0x0
	v_cndmask_b32_e64 v4, 0, 1.0, s0
	v_mov_b32_e32 v5, 0x80
	s_mov_b32 s6, exec_lo
	s_delay_alu instid0(VALU_DEP_2)
	v_cmpx_gt_u32_e32 0x47800000, v4
	s_cbranch_execz .LBB62_1592
; %bb.1587:
	s_mov_b32 s7, 0
	s_mov_b32 s8, exec_lo
                                        ; implicit-def: $vgpr1
	v_cmpx_lt_u32_e32 0x37ffffff, v4
	s_xor_b32 s8, exec_lo, s8
	s_cbranch_execz .LBB62_2031
; %bb.1588:
	v_bfe_u32 v1, v4, 21, 1
	s_mov_b32 s7, exec_lo
	s_delay_alu instid0(VALU_DEP_1) | instskip(NEXT) | instid1(VALU_DEP_1)
	v_add3_u32 v1, v4, v1, 0x88fffff
                                        ; implicit-def: $vgpr4
	v_lshrrev_b32_e32 v1, 21, v1
	s_and_not1_saveexec_b32 s8, s8
	s_cbranch_execnz .LBB62_2032
.LBB62_1589:
	s_or_b32 exec_lo, exec_lo, s8
	v_mov_b32_e32 v5, 0
	s_and_saveexec_b32 s8, s7
.LBB62_1590:
	v_mov_b32_e32 v5, v1
.LBB62_1591:
	s_or_b32 exec_lo, exec_lo, s8
.LBB62_1592:
	s_delay_alu instid0(SALU_CYCLE_1)
	s_or_b32 exec_lo, exec_lo, s6
	s_mov_b32 s6, 0
	global_store_b8 v[2:3], v5, off
.LBB62_1593:
	s_and_b32 vcc_lo, exec_lo, s6
	s_cbranch_vccz .LBB62_1603
; %bb.1594:
	s_wait_xcnt 0x0
	v_cndmask_b32_e64 v4, 0, 1.0, s0
	s_mov_b32 s6, exec_lo
                                        ; implicit-def: $vgpr1
	s_delay_alu instid0(VALU_DEP_1)
	v_cmpx_gt_u32_e32 0x43f00000, v4
	s_xor_b32 s6, exec_lo, s6
	s_cbranch_execz .LBB62_1600
; %bb.1595:
	s_mov_b32 s7, exec_lo
                                        ; implicit-def: $vgpr1
	v_cmpx_lt_u32_e32 0x3c7fffff, v4
	s_xor_b32 s7, exec_lo, s7
; %bb.1596:
	v_bfe_u32 v1, v4, 20, 1
	s_delay_alu instid0(VALU_DEP_1) | instskip(NEXT) | instid1(VALU_DEP_1)
	v_add3_u32 v1, v4, v1, 0x407ffff
	v_and_b32_e32 v4, 0xff00000, v1
	v_lshrrev_b32_e32 v1, 20, v1
	s_delay_alu instid0(VALU_DEP_2) | instskip(NEXT) | instid1(VALU_DEP_2)
	v_cmp_ne_u32_e32 vcc_lo, 0x7f00000, v4
                                        ; implicit-def: $vgpr4
	v_cndmask_b32_e32 v1, 0x7e, v1, vcc_lo
; %bb.1597:
	s_and_not1_saveexec_b32 s7, s7
; %bb.1598:
	v_add_f32_e32 v1, 0x46800000, v4
; %bb.1599:
	s_or_b32 exec_lo, exec_lo, s7
                                        ; implicit-def: $vgpr4
.LBB62_1600:
	s_and_not1_saveexec_b32 s6, s6
; %bb.1601:
	v_mov_b32_e32 v1, 0x7f
	v_cmp_lt_u32_e32 vcc_lo, 0x7f800000, v4
	s_delay_alu instid0(VALU_DEP_2)
	v_cndmask_b32_e32 v1, 0x7e, v1, vcc_lo
; %bb.1602:
	s_or_b32 exec_lo, exec_lo, s6
	global_store_b8 v[2:3], v1, off
.LBB62_1603:
	s_mov_b32 s6, 0
.LBB62_1604:
	s_delay_alu instid0(SALU_CYCLE_1)
	s_and_not1_b32 vcc_lo, exec_lo, s6
	s_cbranch_vccnz .LBB62_1614
; %bb.1605:
	s_wait_xcnt 0x0
	v_cndmask_b32_e64 v4, 0, 1.0, s0
	s_mov_b32 s6, exec_lo
                                        ; implicit-def: $vgpr1
	s_delay_alu instid0(VALU_DEP_1)
	v_cmpx_gt_u32_e32 0x47800000, v4
	s_xor_b32 s6, exec_lo, s6
	s_cbranch_execz .LBB62_1611
; %bb.1606:
	s_mov_b32 s7, exec_lo
                                        ; implicit-def: $vgpr1
	v_cmpx_lt_u32_e32 0x387fffff, v4
	s_xor_b32 s7, exec_lo, s7
; %bb.1607:
	v_bfe_u32 v1, v4, 21, 1
	s_delay_alu instid0(VALU_DEP_1) | instskip(NEXT) | instid1(VALU_DEP_1)
	v_add3_u32 v1, v4, v1, 0x80fffff
                                        ; implicit-def: $vgpr4
	v_lshrrev_b32_e32 v1, 21, v1
; %bb.1608:
	s_and_not1_saveexec_b32 s7, s7
; %bb.1609:
	v_add_f32_e32 v1, 0x43000000, v4
; %bb.1610:
	s_or_b32 exec_lo, exec_lo, s7
                                        ; implicit-def: $vgpr4
.LBB62_1611:
	s_and_not1_saveexec_b32 s6, s6
; %bb.1612:
	v_mov_b32_e32 v1, 0x7f
	v_cmp_lt_u32_e32 vcc_lo, 0x7f800000, v4
	s_delay_alu instid0(VALU_DEP_2)
	v_cndmask_b32_e32 v1, 0x7c, v1, vcc_lo
; %bb.1613:
	s_or_b32 exec_lo, exec_lo, s6
	global_store_b8 v[2:3], v1, off
.LBB62_1614:
	s_mov_b32 s6, 0
	s_mov_b32 s7, -1
.LBB62_1615:
	s_and_not1_b32 vcc_lo, exec_lo, s6
	s_mov_b32 s6, 0
	s_cbranch_vccnz .LBB62_1622
; %bb.1616:
	s_cmp_gt_i32 s3, 14
	s_mov_b32 s6, -1
	s_cbranch_scc0 .LBB62_1620
; %bb.1617:
	s_cmp_eq_u32 s3, 15
	s_mov_b32 s1, -1
	s_cbranch_scc0 .LBB62_1619
; %bb.1618:
	s_wait_xcnt 0x0
	v_cndmask_b32_e64 v1, 0, 1.0, s0
	s_mov_b32 s1, 0
	s_mov_b32 s7, -1
	s_delay_alu instid0(VALU_DEP_1) | instskip(NEXT) | instid1(VALU_DEP_1)
	v_bfe_u32 v4, v1, 16, 1
	v_add3_u32 v1, v1, v4, 0x7fff
	global_store_d16_hi_b16 v[2:3], v1, off
.LBB62_1619:
	s_mov_b32 s6, 0
.LBB62_1620:
	s_delay_alu instid0(SALU_CYCLE_1)
	s_and_b32 vcc_lo, exec_lo, s6
	s_mov_b32 s6, 0
	s_cbranch_vccz .LBB62_1622
; %bb.1621:
	s_cmp_lg_u32 s3, 11
	s_mov_b32 s6, -1
	s_cselect_b32 s1, -1, 0
.LBB62_1622:
	s_delay_alu instid0(SALU_CYCLE_1)
	s_and_b32 vcc_lo, exec_lo, s1
	s_cbranch_vccnz .LBB62_2030
; %bb.1623:
	s_and_not1_b32 vcc_lo, exec_lo, s6
	s_cbranch_vccnz .LBB62_1625
.LBB62_1624:
	s_wait_xcnt 0x0
	v_cndmask_b32_e64 v1, 0, 1, s0
	s_mov_b32 s7, -1
	global_store_b8 v[2:3], v1, off
.LBB62_1625:
	s_mov_b32 s1, 0
	s_branch .LBB62_1627
.LBB62_1626:
	s_mov_b32 s1, -1
	s_mov_b32 s7, 0
.LBB62_1627:
	s_and_b32 vcc_lo, exec_lo, s1
	s_cbranch_vccz .LBB62_1666
; %bb.1628:
	s_and_b32 s1, 0xffff, s13
	s_mov_b32 s3, -1
	s_cmp_lt_i32 s1, 5
	s_cbranch_scc1 .LBB62_1649
; %bb.1629:
	s_cmp_lt_i32 s1, 8
	s_cbranch_scc1 .LBB62_1639
; %bb.1630:
	;; [unrolled: 3-line block ×3, first 2 shown]
	s_cmp_gt_i32 s1, 9
	s_cbranch_scc0 .LBB62_1633
; %bb.1632:
	s_wait_xcnt 0x0
	v_cndmask_b32_e64 v1, 0, 1, s0
	v_mov_b32_e32 v12, 0
	s_mov_b32 s3, 0
	s_delay_alu instid0(VALU_DEP_2) | instskip(NEXT) | instid1(VALU_DEP_2)
	v_cvt_f64_u32_e32 v[10:11], v1
	v_mov_b32_e32 v13, v12
	global_store_b128 v[2:3], v[10:13], off
.LBB62_1633:
	s_and_not1_b32 vcc_lo, exec_lo, s3
	s_cbranch_vccnz .LBB62_1635
; %bb.1634:
	s_wait_xcnt 0x0
	v_cndmask_b32_e64 v4, 0, 1.0, s0
	v_mov_b32_e32 v5, 0
	global_store_b64 v[2:3], v[4:5], off
.LBB62_1635:
	s_mov_b32 s3, 0
.LBB62_1636:
	s_delay_alu instid0(SALU_CYCLE_1)
	s_and_not1_b32 vcc_lo, exec_lo, s3
	s_cbranch_vccnz .LBB62_1638
; %bb.1637:
	s_wait_xcnt 0x0
	v_cndmask_b32_e64 v1, 0, 1.0, s0
	s_delay_alu instid0(VALU_DEP_1) | instskip(NEXT) | instid1(VALU_DEP_1)
	v_cvt_f16_f32_e32 v1, v1
	v_and_b32_e32 v1, 0xffff, v1
	global_store_b32 v[2:3], v1, off
.LBB62_1638:
	s_mov_b32 s3, 0
.LBB62_1639:
	s_delay_alu instid0(SALU_CYCLE_1)
	s_and_not1_b32 vcc_lo, exec_lo, s3
	s_cbranch_vccnz .LBB62_1648
; %bb.1640:
	s_cmp_lt_i32 s1, 6
	s_mov_b32 s3, -1
	s_cbranch_scc1 .LBB62_1646
; %bb.1641:
	s_cmp_gt_i32 s1, 6
	s_cbranch_scc0 .LBB62_1643
; %bb.1642:
	s_wait_xcnt 0x0
	v_cndmask_b32_e64 v1, 0, 1, s0
	s_mov_b32 s3, 0
	s_delay_alu instid0(VALU_DEP_1)
	v_cvt_f64_u32_e32 v[4:5], v1
	global_store_b64 v[2:3], v[4:5], off
.LBB62_1643:
	s_and_not1_b32 vcc_lo, exec_lo, s3
	s_cbranch_vccnz .LBB62_1645
; %bb.1644:
	s_wait_xcnt 0x0
	v_cndmask_b32_e64 v1, 0, 1.0, s0
	global_store_b32 v[2:3], v1, off
.LBB62_1645:
	s_mov_b32 s3, 0
.LBB62_1646:
	s_delay_alu instid0(SALU_CYCLE_1)
	s_and_not1_b32 vcc_lo, exec_lo, s3
	s_cbranch_vccnz .LBB62_1648
; %bb.1647:
	s_wait_xcnt 0x0
	v_cndmask_b32_e64 v1, 0, 1.0, s0
	s_delay_alu instid0(VALU_DEP_1)
	v_cvt_f16_f32_e32 v1, v1
	global_store_b16 v[2:3], v1, off
.LBB62_1648:
	s_mov_b32 s3, 0
.LBB62_1649:
	s_delay_alu instid0(SALU_CYCLE_1)
	s_and_not1_b32 vcc_lo, exec_lo, s3
	s_cbranch_vccnz .LBB62_1665
; %bb.1650:
	s_cmp_lt_i32 s1, 2
	s_mov_b32 s3, -1
	s_cbranch_scc1 .LBB62_1660
; %bb.1651:
	s_cmp_lt_i32 s1, 3
	s_cbranch_scc1 .LBB62_1657
; %bb.1652:
	s_cmp_gt_i32 s1, 3
	s_cbranch_scc0 .LBB62_1654
; %bb.1653:
	s_mov_b32 s3, 0
	s_wait_xcnt 0x0
	v_cndmask_b32_e64 v4, 0, 1, s0
	v_mov_b32_e32 v5, s3
	global_store_b64 v[2:3], v[4:5], off
.LBB62_1654:
	s_and_not1_b32 vcc_lo, exec_lo, s3
	s_cbranch_vccnz .LBB62_1656
; %bb.1655:
	s_wait_xcnt 0x0
	v_cndmask_b32_e64 v1, 0, 1, s0
	global_store_b32 v[2:3], v1, off
.LBB62_1656:
	s_mov_b32 s3, 0
.LBB62_1657:
	s_delay_alu instid0(SALU_CYCLE_1)
	s_and_not1_b32 vcc_lo, exec_lo, s3
	s_cbranch_vccnz .LBB62_1659
; %bb.1658:
	s_wait_xcnt 0x0
	v_cndmask_b32_e64 v1, 0, 1, s0
	global_store_b16 v[2:3], v1, off
.LBB62_1659:
	s_mov_b32 s3, 0
.LBB62_1660:
	s_delay_alu instid0(SALU_CYCLE_1)
	s_and_not1_b32 vcc_lo, exec_lo, s3
	s_cbranch_vccnz .LBB62_1665
; %bb.1661:
	s_wait_xcnt 0x0
	v_cndmask_b32_e64 v1, 0, 1, s0
	s_cmp_gt_i32 s1, 0
	s_mov_b32 s0, -1
	s_cbranch_scc0 .LBB62_1663
; %bb.1662:
	s_mov_b32 s0, 0
	global_store_b8 v[2:3], v1, off
.LBB62_1663:
	s_and_not1_b32 vcc_lo, exec_lo, s0
	s_cbranch_vccnz .LBB62_1665
; %bb.1664:
	global_store_b8 v[2:3], v1, off
.LBB62_1665:
	s_mov_b32 s7, -1
.LBB62_1666:
	s_delay_alu instid0(SALU_CYCLE_1)
	s_and_not1_b32 vcc_lo, exec_lo, s7
	s_cbranch_vccnz .LBB62_1981
; %bb.1667:
	s_lshl_b32 s2, s2, 7
	s_cmp_lt_i32 s13, 11
	s_wait_xcnt 0x0
	v_dual_add_nc_u32 v0, s2, v0 :: v_dual_lshlrev_b32 v4, 16, v6
	s_delay_alu instid0(VALU_DEP_1) | instskip(NEXT) | instid1(VALU_DEP_2)
	v_ashrrev_i32_e32 v1, 31, v0
	v_cmp_eq_f32_e64 s0, 0x7f800000, v4
	s_delay_alu instid0(VALU_DEP_2)
	v_add_nc_u64_e32 v[2:3], s[4:5], v[0:1]
	s_cbranch_scc1 .LBB62_1745
; %bb.1668:
	s_and_b32 s3, 0xffff, s13
	s_mov_b32 s8, -1
	s_mov_b32 s6, 0
	s_cmp_gt_i32 s3, 25
	s_mov_b32 s7, 0
	s_mov_b32 s1, 0
	s_cbranch_scc0 .LBB62_1701
; %bb.1669:
	s_cmp_gt_i32 s3, 28
	s_cbranch_scc0 .LBB62_1684
; %bb.1670:
	s_cmp_gt_i32 s3, 43
	;; [unrolled: 3-line block ×3, first 2 shown]
	s_cbranch_scc0 .LBB62_1674
; %bb.1672:
	s_mov_b32 s1, -1
	s_mov_b32 s8, 0
	s_cmp_eq_u32 s3, 46
	s_cbranch_scc0 .LBB62_1674
; %bb.1673:
	v_cndmask_b32_e64 v1, 0, 1.0, s0
	s_mov_b32 s1, 0
	s_mov_b32 s7, -1
	s_delay_alu instid0(VALU_DEP_1) | instskip(NEXT) | instid1(VALU_DEP_1)
	v_bfe_u32 v4, v1, 16, 1
	v_add3_u32 v1, v1, v4, 0x7fff
	s_delay_alu instid0(VALU_DEP_1)
	v_lshrrev_b32_e32 v1, 16, v1
	global_store_b32 v[2:3], v1, off
.LBB62_1674:
	s_and_b32 vcc_lo, exec_lo, s8
	s_cbranch_vccz .LBB62_1679
; %bb.1675:
	s_cmp_eq_u32 s3, 44
	s_mov_b32 s1, -1
	s_cbranch_scc0 .LBB62_1679
; %bb.1676:
	v_cndmask_b32_e64 v5, 0, 1.0, s0
	s_mov_b32 s7, exec_lo
	s_wait_xcnt 0x0
	s_delay_alu instid0(VALU_DEP_1) | instskip(NEXT) | instid1(VALU_DEP_1)
	v_dual_mov_b32 v4, 0xff :: v_dual_lshrrev_b32 v1, 23, v5
	v_cmpx_ne_u32_e32 0xff, v1
; %bb.1677:
	v_and_b32_e32 v4, 0x400000, v5
	v_and_or_b32 v5, 0x3fffff, v5, v1
	s_delay_alu instid0(VALU_DEP_2) | instskip(NEXT) | instid1(VALU_DEP_2)
	v_cmp_ne_u32_e32 vcc_lo, 0, v4
	v_cmp_ne_u32_e64 s1, 0, v5
	s_and_b32 s1, vcc_lo, s1
	s_delay_alu instid0(SALU_CYCLE_1) | instskip(NEXT) | instid1(VALU_DEP_1)
	v_cndmask_b32_e64 v4, 0, 1, s1
	v_add_nc_u32_e32 v4, v1, v4
; %bb.1678:
	s_or_b32 exec_lo, exec_lo, s7
	s_mov_b32 s1, 0
	s_mov_b32 s7, -1
	global_store_b8 v[2:3], v4, off
.LBB62_1679:
	s_mov_b32 s8, 0
.LBB62_1680:
	s_delay_alu instid0(SALU_CYCLE_1)
	s_and_b32 vcc_lo, exec_lo, s8
	s_cbranch_vccz .LBB62_1683
; %bb.1681:
	s_cmp_eq_u32 s3, 29
	s_mov_b32 s1, -1
	s_cbranch_scc0 .LBB62_1683
; %bb.1682:
	s_mov_b32 s1, 0
	s_wait_xcnt 0x0
	v_cndmask_b32_e64 v4, 0, 1, s0
	v_mov_b32_e32 v5, s1
	s_mov_b32 s7, -1
	global_store_b64 v[2:3], v[4:5], off
.LBB62_1683:
	s_mov_b32 s8, 0
.LBB62_1684:
	s_delay_alu instid0(SALU_CYCLE_1)
	s_and_b32 vcc_lo, exec_lo, s8
	s_cbranch_vccz .LBB62_1700
; %bb.1685:
	s_cmp_lt_i32 s3, 27
	s_mov_b32 s7, -1
	s_cbranch_scc1 .LBB62_1691
; %bb.1686:
	s_cmp_gt_i32 s3, 27
	s_cbranch_scc0 .LBB62_1688
; %bb.1687:
	s_wait_xcnt 0x0
	v_cndmask_b32_e64 v1, 0, 1, s0
	s_mov_b32 s7, 0
	global_store_b32 v[2:3], v1, off
.LBB62_1688:
	s_and_not1_b32 vcc_lo, exec_lo, s7
	s_cbranch_vccnz .LBB62_1690
; %bb.1689:
	s_wait_xcnt 0x0
	v_cndmask_b32_e64 v1, 0, 1, s0
	global_store_b16 v[2:3], v1, off
.LBB62_1690:
	s_mov_b32 s7, 0
.LBB62_1691:
	s_delay_alu instid0(SALU_CYCLE_1)
	s_and_not1_b32 vcc_lo, exec_lo, s7
	s_cbranch_vccnz .LBB62_1699
; %bb.1692:
	s_wait_xcnt 0x0
	v_cndmask_b32_e64 v4, 0, 1.0, s0
	v_mov_b32_e32 v5, 0x80
	s_mov_b32 s7, exec_lo
	s_delay_alu instid0(VALU_DEP_2)
	v_cmpx_gt_u32_e32 0x43800000, v4
	s_cbranch_execz .LBB62_1698
; %bb.1693:
	s_mov_b32 s8, 0
	s_mov_b32 s10, exec_lo
                                        ; implicit-def: $vgpr1
	v_cmpx_lt_u32_e32 0x3bffffff, v4
	s_xor_b32 s10, exec_lo, s10
	s_cbranch_execz .LBB62_2033
; %bb.1694:
	v_bfe_u32 v1, v4, 20, 1
	s_mov_b32 s8, exec_lo
	s_delay_alu instid0(VALU_DEP_1) | instskip(NEXT) | instid1(VALU_DEP_1)
	v_add3_u32 v1, v4, v1, 0x487ffff
                                        ; implicit-def: $vgpr4
	v_lshrrev_b32_e32 v1, 20, v1
	s_and_not1_saveexec_b32 s10, s10
	s_cbranch_execnz .LBB62_2034
.LBB62_1695:
	s_or_b32 exec_lo, exec_lo, s10
	v_mov_b32_e32 v5, 0
	s_and_saveexec_b32 s10, s8
.LBB62_1696:
	v_mov_b32_e32 v5, v1
.LBB62_1697:
	s_or_b32 exec_lo, exec_lo, s10
.LBB62_1698:
	s_delay_alu instid0(SALU_CYCLE_1)
	s_or_b32 exec_lo, exec_lo, s7
	global_store_b8 v[2:3], v5, off
.LBB62_1699:
	s_mov_b32 s7, -1
.LBB62_1700:
	s_mov_b32 s8, 0
.LBB62_1701:
	s_delay_alu instid0(SALU_CYCLE_1)
	s_and_b32 vcc_lo, exec_lo, s8
	s_cbranch_vccz .LBB62_1741
; %bb.1702:
	s_cmp_gt_i32 s3, 22
	s_mov_b32 s6, -1
	s_cbranch_scc0 .LBB62_1734
; %bb.1703:
	s_cmp_lt_i32 s3, 24
	s_cbranch_scc1 .LBB62_1723
; %bb.1704:
	s_cmp_gt_i32 s3, 24
	s_cbranch_scc0 .LBB62_1712
; %bb.1705:
	s_wait_xcnt 0x0
	v_cndmask_b32_e64 v4, 0, 1.0, s0
	v_mov_b32_e32 v5, 0x80
	s_mov_b32 s6, exec_lo
	s_delay_alu instid0(VALU_DEP_2)
	v_cmpx_gt_u32_e32 0x47800000, v4
	s_cbranch_execz .LBB62_1711
; %bb.1706:
	s_mov_b32 s7, 0
	s_mov_b32 s8, exec_lo
                                        ; implicit-def: $vgpr1
	v_cmpx_lt_u32_e32 0x37ffffff, v4
	s_xor_b32 s8, exec_lo, s8
	s_cbranch_execz .LBB62_2036
; %bb.1707:
	v_bfe_u32 v1, v4, 21, 1
	s_mov_b32 s7, exec_lo
	s_delay_alu instid0(VALU_DEP_1) | instskip(NEXT) | instid1(VALU_DEP_1)
	v_add3_u32 v1, v4, v1, 0x88fffff
                                        ; implicit-def: $vgpr4
	v_lshrrev_b32_e32 v1, 21, v1
	s_and_not1_saveexec_b32 s8, s8
	s_cbranch_execnz .LBB62_2037
.LBB62_1708:
	s_or_b32 exec_lo, exec_lo, s8
	v_mov_b32_e32 v5, 0
	s_and_saveexec_b32 s8, s7
.LBB62_1709:
	v_mov_b32_e32 v5, v1
.LBB62_1710:
	s_or_b32 exec_lo, exec_lo, s8
.LBB62_1711:
	s_delay_alu instid0(SALU_CYCLE_1)
	s_or_b32 exec_lo, exec_lo, s6
	s_mov_b32 s6, 0
	global_store_b8 v[2:3], v5, off
.LBB62_1712:
	s_and_b32 vcc_lo, exec_lo, s6
	s_cbranch_vccz .LBB62_1722
; %bb.1713:
	s_wait_xcnt 0x0
	v_cndmask_b32_e64 v4, 0, 1.0, s0
	s_mov_b32 s6, exec_lo
                                        ; implicit-def: $vgpr1
	s_delay_alu instid0(VALU_DEP_1)
	v_cmpx_gt_u32_e32 0x43f00000, v4
	s_xor_b32 s6, exec_lo, s6
	s_cbranch_execz .LBB62_1719
; %bb.1714:
	s_mov_b32 s7, exec_lo
                                        ; implicit-def: $vgpr1
	v_cmpx_lt_u32_e32 0x3c7fffff, v4
	s_xor_b32 s7, exec_lo, s7
; %bb.1715:
	v_bfe_u32 v1, v4, 20, 1
	s_delay_alu instid0(VALU_DEP_1) | instskip(NEXT) | instid1(VALU_DEP_1)
	v_add3_u32 v1, v4, v1, 0x407ffff
	v_and_b32_e32 v4, 0xff00000, v1
	v_lshrrev_b32_e32 v1, 20, v1
	s_delay_alu instid0(VALU_DEP_2) | instskip(NEXT) | instid1(VALU_DEP_2)
	v_cmp_ne_u32_e32 vcc_lo, 0x7f00000, v4
                                        ; implicit-def: $vgpr4
	v_cndmask_b32_e32 v1, 0x7e, v1, vcc_lo
; %bb.1716:
	s_and_not1_saveexec_b32 s7, s7
; %bb.1717:
	v_add_f32_e32 v1, 0x46800000, v4
; %bb.1718:
	s_or_b32 exec_lo, exec_lo, s7
                                        ; implicit-def: $vgpr4
.LBB62_1719:
	s_and_not1_saveexec_b32 s6, s6
; %bb.1720:
	v_mov_b32_e32 v1, 0x7f
	v_cmp_lt_u32_e32 vcc_lo, 0x7f800000, v4
	s_delay_alu instid0(VALU_DEP_2)
	v_cndmask_b32_e32 v1, 0x7e, v1, vcc_lo
; %bb.1721:
	s_or_b32 exec_lo, exec_lo, s6
	global_store_b8 v[2:3], v1, off
.LBB62_1722:
	s_mov_b32 s6, 0
.LBB62_1723:
	s_delay_alu instid0(SALU_CYCLE_1)
	s_and_not1_b32 vcc_lo, exec_lo, s6
	s_cbranch_vccnz .LBB62_1733
; %bb.1724:
	s_wait_xcnt 0x0
	v_cndmask_b32_e64 v4, 0, 1.0, s0
	s_mov_b32 s6, exec_lo
                                        ; implicit-def: $vgpr1
	s_delay_alu instid0(VALU_DEP_1)
	v_cmpx_gt_u32_e32 0x47800000, v4
	s_xor_b32 s6, exec_lo, s6
	s_cbranch_execz .LBB62_1730
; %bb.1725:
	s_mov_b32 s7, exec_lo
                                        ; implicit-def: $vgpr1
	v_cmpx_lt_u32_e32 0x387fffff, v4
	s_xor_b32 s7, exec_lo, s7
; %bb.1726:
	v_bfe_u32 v1, v4, 21, 1
	s_delay_alu instid0(VALU_DEP_1) | instskip(NEXT) | instid1(VALU_DEP_1)
	v_add3_u32 v1, v4, v1, 0x80fffff
                                        ; implicit-def: $vgpr4
	v_lshrrev_b32_e32 v1, 21, v1
; %bb.1727:
	s_and_not1_saveexec_b32 s7, s7
; %bb.1728:
	v_add_f32_e32 v1, 0x43000000, v4
; %bb.1729:
	s_or_b32 exec_lo, exec_lo, s7
                                        ; implicit-def: $vgpr4
.LBB62_1730:
	s_and_not1_saveexec_b32 s6, s6
; %bb.1731:
	v_mov_b32_e32 v1, 0x7f
	v_cmp_lt_u32_e32 vcc_lo, 0x7f800000, v4
	s_delay_alu instid0(VALU_DEP_2)
	v_cndmask_b32_e32 v1, 0x7c, v1, vcc_lo
; %bb.1732:
	s_or_b32 exec_lo, exec_lo, s6
	global_store_b8 v[2:3], v1, off
.LBB62_1733:
	s_mov_b32 s6, 0
	s_mov_b32 s7, -1
.LBB62_1734:
	s_and_not1_b32 vcc_lo, exec_lo, s6
	s_mov_b32 s6, 0
	s_cbranch_vccnz .LBB62_1741
; %bb.1735:
	s_cmp_gt_i32 s3, 14
	s_mov_b32 s6, -1
	s_cbranch_scc0 .LBB62_1739
; %bb.1736:
	s_cmp_eq_u32 s3, 15
	s_mov_b32 s1, -1
	s_cbranch_scc0 .LBB62_1738
; %bb.1737:
	s_wait_xcnt 0x0
	v_cndmask_b32_e64 v1, 0, 1.0, s0
	s_mov_b32 s1, 0
	s_mov_b32 s7, -1
	s_delay_alu instid0(VALU_DEP_1) | instskip(NEXT) | instid1(VALU_DEP_1)
	v_bfe_u32 v4, v1, 16, 1
	v_add3_u32 v1, v1, v4, 0x7fff
	global_store_d16_hi_b16 v[2:3], v1, off
.LBB62_1738:
	s_mov_b32 s6, 0
.LBB62_1739:
	s_delay_alu instid0(SALU_CYCLE_1)
	s_and_b32 vcc_lo, exec_lo, s6
	s_mov_b32 s6, 0
	s_cbranch_vccz .LBB62_1741
; %bb.1740:
	s_cmp_lg_u32 s3, 11
	s_mov_b32 s6, -1
	s_cselect_b32 s1, -1, 0
.LBB62_1741:
	s_delay_alu instid0(SALU_CYCLE_1)
	s_and_b32 vcc_lo, exec_lo, s1
	s_cbranch_vccnz .LBB62_2035
; %bb.1742:
	s_and_not1_b32 vcc_lo, exec_lo, s6
	s_cbranch_vccnz .LBB62_1744
.LBB62_1743:
	s_wait_xcnt 0x0
	v_cndmask_b32_e64 v1, 0, 1, s0
	s_mov_b32 s7, -1
	global_store_b8 v[2:3], v1, off
.LBB62_1744:
	s_mov_b32 s1, 0
	s_branch .LBB62_1746
.LBB62_1745:
	s_mov_b32 s1, -1
	s_mov_b32 s7, 0
.LBB62_1746:
	s_and_b32 vcc_lo, exec_lo, s1
	s_cbranch_vccz .LBB62_1785
; %bb.1747:
	s_and_b32 s1, 0xffff, s13
	s_mov_b32 s3, -1
	s_cmp_lt_i32 s1, 5
	s_cbranch_scc1 .LBB62_1768
; %bb.1748:
	s_cmp_lt_i32 s1, 8
	s_cbranch_scc1 .LBB62_1758
; %bb.1749:
	;; [unrolled: 3-line block ×3, first 2 shown]
	s_cmp_gt_i32 s1, 9
	s_cbranch_scc0 .LBB62_1752
; %bb.1751:
	s_wait_xcnt 0x0
	v_cndmask_b32_e64 v1, 0, 1, s0
	v_mov_b32_e32 v12, 0
	s_mov_b32 s3, 0
	s_delay_alu instid0(VALU_DEP_2) | instskip(NEXT) | instid1(VALU_DEP_2)
	v_cvt_f64_u32_e32 v[10:11], v1
	v_mov_b32_e32 v13, v12
	global_store_b128 v[2:3], v[10:13], off
.LBB62_1752:
	s_and_not1_b32 vcc_lo, exec_lo, s3
	s_cbranch_vccnz .LBB62_1754
; %bb.1753:
	s_wait_xcnt 0x0
	v_cndmask_b32_e64 v4, 0, 1.0, s0
	v_mov_b32_e32 v5, 0
	global_store_b64 v[2:3], v[4:5], off
.LBB62_1754:
	s_mov_b32 s3, 0
.LBB62_1755:
	s_delay_alu instid0(SALU_CYCLE_1)
	s_and_not1_b32 vcc_lo, exec_lo, s3
	s_cbranch_vccnz .LBB62_1757
; %bb.1756:
	s_wait_xcnt 0x0
	v_cndmask_b32_e64 v1, 0, 1.0, s0
	s_delay_alu instid0(VALU_DEP_1) | instskip(NEXT) | instid1(VALU_DEP_1)
	v_cvt_f16_f32_e32 v1, v1
	v_and_b32_e32 v1, 0xffff, v1
	global_store_b32 v[2:3], v1, off
.LBB62_1757:
	s_mov_b32 s3, 0
.LBB62_1758:
	s_delay_alu instid0(SALU_CYCLE_1)
	s_and_not1_b32 vcc_lo, exec_lo, s3
	s_cbranch_vccnz .LBB62_1767
; %bb.1759:
	s_cmp_lt_i32 s1, 6
	s_mov_b32 s3, -1
	s_cbranch_scc1 .LBB62_1765
; %bb.1760:
	s_cmp_gt_i32 s1, 6
	s_cbranch_scc0 .LBB62_1762
; %bb.1761:
	s_wait_xcnt 0x0
	v_cndmask_b32_e64 v1, 0, 1, s0
	s_mov_b32 s3, 0
	s_delay_alu instid0(VALU_DEP_1)
	v_cvt_f64_u32_e32 v[4:5], v1
	global_store_b64 v[2:3], v[4:5], off
.LBB62_1762:
	s_and_not1_b32 vcc_lo, exec_lo, s3
	s_cbranch_vccnz .LBB62_1764
; %bb.1763:
	s_wait_xcnt 0x0
	v_cndmask_b32_e64 v1, 0, 1.0, s0
	global_store_b32 v[2:3], v1, off
.LBB62_1764:
	s_mov_b32 s3, 0
.LBB62_1765:
	s_delay_alu instid0(SALU_CYCLE_1)
	s_and_not1_b32 vcc_lo, exec_lo, s3
	s_cbranch_vccnz .LBB62_1767
; %bb.1766:
	s_wait_xcnt 0x0
	v_cndmask_b32_e64 v1, 0, 1.0, s0
	s_delay_alu instid0(VALU_DEP_1)
	v_cvt_f16_f32_e32 v1, v1
	global_store_b16 v[2:3], v1, off
.LBB62_1767:
	s_mov_b32 s3, 0
.LBB62_1768:
	s_delay_alu instid0(SALU_CYCLE_1)
	s_and_not1_b32 vcc_lo, exec_lo, s3
	s_cbranch_vccnz .LBB62_1784
; %bb.1769:
	s_cmp_lt_i32 s1, 2
	s_mov_b32 s3, -1
	s_cbranch_scc1 .LBB62_1779
; %bb.1770:
	s_cmp_lt_i32 s1, 3
	s_cbranch_scc1 .LBB62_1776
; %bb.1771:
	s_cmp_gt_i32 s1, 3
	s_cbranch_scc0 .LBB62_1773
; %bb.1772:
	s_mov_b32 s3, 0
	s_wait_xcnt 0x0
	v_cndmask_b32_e64 v4, 0, 1, s0
	v_mov_b32_e32 v5, s3
	global_store_b64 v[2:3], v[4:5], off
.LBB62_1773:
	s_and_not1_b32 vcc_lo, exec_lo, s3
	s_cbranch_vccnz .LBB62_1775
; %bb.1774:
	s_wait_xcnt 0x0
	v_cndmask_b32_e64 v1, 0, 1, s0
	global_store_b32 v[2:3], v1, off
.LBB62_1775:
	s_mov_b32 s3, 0
.LBB62_1776:
	s_delay_alu instid0(SALU_CYCLE_1)
	s_and_not1_b32 vcc_lo, exec_lo, s3
	s_cbranch_vccnz .LBB62_1778
; %bb.1777:
	s_wait_xcnt 0x0
	v_cndmask_b32_e64 v1, 0, 1, s0
	global_store_b16 v[2:3], v1, off
.LBB62_1778:
	s_mov_b32 s3, 0
.LBB62_1779:
	s_delay_alu instid0(SALU_CYCLE_1)
	s_and_not1_b32 vcc_lo, exec_lo, s3
	s_cbranch_vccnz .LBB62_1784
; %bb.1780:
	s_wait_xcnt 0x0
	v_cndmask_b32_e64 v1, 0, 1, s0
	s_cmp_gt_i32 s1, 0
	s_mov_b32 s0, -1
	s_cbranch_scc0 .LBB62_1782
; %bb.1781:
	s_mov_b32 s0, 0
	global_store_b8 v[2:3], v1, off
.LBB62_1782:
	s_and_not1_b32 vcc_lo, exec_lo, s0
	s_cbranch_vccnz .LBB62_1784
; %bb.1783:
	global_store_b8 v[2:3], v1, off
.LBB62_1784:
	s_mov_b32 s7, -1
.LBB62_1785:
	s_delay_alu instid0(SALU_CYCLE_1)
	s_and_not1_b32 vcc_lo, exec_lo, s7
	s_cbranch_vccnz .LBB62_1981
; %bb.1786:
	s_wait_xcnt 0x0
	v_dual_add_nc_u32 v0, s2, v0 :: v_dual_lshlrev_b32 v4, 16, v7
	s_cmp_lt_i32 s13, 11
	s_delay_alu instid0(VALU_DEP_1) | instskip(NEXT) | instid1(VALU_DEP_2)
	v_ashrrev_i32_e32 v1, 31, v0
	v_cmp_eq_f32_e64 s0, 0x7f800000, v4
	s_delay_alu instid0(VALU_DEP_2)
	v_add_nc_u64_e32 v[2:3], s[4:5], v[0:1]
	s_cbranch_scc1 .LBB62_1864
; %bb.1787:
	s_and_b32 s3, 0xffff, s13
	s_mov_b32 s8, -1
	s_mov_b32 s6, 0
	s_cmp_gt_i32 s3, 25
	s_mov_b32 s7, 0
	s_mov_b32 s1, 0
	s_cbranch_scc0 .LBB62_1820
; %bb.1788:
	s_cmp_gt_i32 s3, 28
	s_cbranch_scc0 .LBB62_1803
; %bb.1789:
	s_cmp_gt_i32 s3, 43
	s_cbranch_scc0 .LBB62_1799
; %bb.1790:
	s_cmp_gt_i32 s3, 45
	s_cbranch_scc0 .LBB62_1793
; %bb.1791:
	s_mov_b32 s1, -1
	s_mov_b32 s8, 0
	s_cmp_eq_u32 s3, 46
	s_cbranch_scc0 .LBB62_1793
; %bb.1792:
	v_cndmask_b32_e64 v1, 0, 1.0, s0
	s_mov_b32 s1, 0
	s_mov_b32 s7, -1
	s_delay_alu instid0(VALU_DEP_1) | instskip(NEXT) | instid1(VALU_DEP_1)
	v_bfe_u32 v4, v1, 16, 1
	v_add3_u32 v1, v1, v4, 0x7fff
	s_delay_alu instid0(VALU_DEP_1)
	v_lshrrev_b32_e32 v1, 16, v1
	global_store_b32 v[2:3], v1, off
.LBB62_1793:
	s_and_b32 vcc_lo, exec_lo, s8
	s_cbranch_vccz .LBB62_1798
; %bb.1794:
	s_cmp_eq_u32 s3, 44
	s_mov_b32 s1, -1
	s_cbranch_scc0 .LBB62_1798
; %bb.1795:
	v_cndmask_b32_e64 v5, 0, 1.0, s0
	s_mov_b32 s7, exec_lo
	s_wait_xcnt 0x0
	s_delay_alu instid0(VALU_DEP_1) | instskip(NEXT) | instid1(VALU_DEP_1)
	v_dual_mov_b32 v4, 0xff :: v_dual_lshrrev_b32 v1, 23, v5
	v_cmpx_ne_u32_e32 0xff, v1
; %bb.1796:
	v_and_b32_e32 v4, 0x400000, v5
	v_and_or_b32 v5, 0x3fffff, v5, v1
	s_delay_alu instid0(VALU_DEP_2) | instskip(NEXT) | instid1(VALU_DEP_2)
	v_cmp_ne_u32_e32 vcc_lo, 0, v4
	v_cmp_ne_u32_e64 s1, 0, v5
	s_and_b32 s1, vcc_lo, s1
	s_delay_alu instid0(SALU_CYCLE_1) | instskip(NEXT) | instid1(VALU_DEP_1)
	v_cndmask_b32_e64 v4, 0, 1, s1
	v_add_nc_u32_e32 v4, v1, v4
; %bb.1797:
	s_or_b32 exec_lo, exec_lo, s7
	s_mov_b32 s1, 0
	s_mov_b32 s7, -1
	global_store_b8 v[2:3], v4, off
.LBB62_1798:
	s_mov_b32 s8, 0
.LBB62_1799:
	s_delay_alu instid0(SALU_CYCLE_1)
	s_and_b32 vcc_lo, exec_lo, s8
	s_cbranch_vccz .LBB62_1802
; %bb.1800:
	s_cmp_eq_u32 s3, 29
	s_mov_b32 s1, -1
	s_cbranch_scc0 .LBB62_1802
; %bb.1801:
	s_mov_b32 s1, 0
	s_wait_xcnt 0x0
	v_cndmask_b32_e64 v4, 0, 1, s0
	v_mov_b32_e32 v5, s1
	s_mov_b32 s7, -1
	global_store_b64 v[2:3], v[4:5], off
.LBB62_1802:
	s_mov_b32 s8, 0
.LBB62_1803:
	s_delay_alu instid0(SALU_CYCLE_1)
	s_and_b32 vcc_lo, exec_lo, s8
	s_cbranch_vccz .LBB62_1819
; %bb.1804:
	s_cmp_lt_i32 s3, 27
	s_mov_b32 s7, -1
	s_cbranch_scc1 .LBB62_1810
; %bb.1805:
	s_cmp_gt_i32 s3, 27
	s_cbranch_scc0 .LBB62_1807
; %bb.1806:
	s_wait_xcnt 0x0
	v_cndmask_b32_e64 v1, 0, 1, s0
	s_mov_b32 s7, 0
	global_store_b32 v[2:3], v1, off
.LBB62_1807:
	s_and_not1_b32 vcc_lo, exec_lo, s7
	s_cbranch_vccnz .LBB62_1809
; %bb.1808:
	s_wait_xcnt 0x0
	v_cndmask_b32_e64 v1, 0, 1, s0
	global_store_b16 v[2:3], v1, off
.LBB62_1809:
	s_mov_b32 s7, 0
.LBB62_1810:
	s_delay_alu instid0(SALU_CYCLE_1)
	s_and_not1_b32 vcc_lo, exec_lo, s7
	s_cbranch_vccnz .LBB62_1818
; %bb.1811:
	s_wait_xcnt 0x0
	v_cndmask_b32_e64 v4, 0, 1.0, s0
	v_mov_b32_e32 v5, 0x80
	s_mov_b32 s7, exec_lo
	s_delay_alu instid0(VALU_DEP_2)
	v_cmpx_gt_u32_e32 0x43800000, v4
	s_cbranch_execz .LBB62_1817
; %bb.1812:
	s_mov_b32 s8, 0
	s_mov_b32 s10, exec_lo
                                        ; implicit-def: $vgpr1
	v_cmpx_lt_u32_e32 0x3bffffff, v4
	s_xor_b32 s10, exec_lo, s10
	s_cbranch_execz .LBB62_2038
; %bb.1813:
	v_bfe_u32 v1, v4, 20, 1
	s_mov_b32 s8, exec_lo
	s_delay_alu instid0(VALU_DEP_1) | instskip(NEXT) | instid1(VALU_DEP_1)
	v_add3_u32 v1, v4, v1, 0x487ffff
                                        ; implicit-def: $vgpr4
	v_lshrrev_b32_e32 v1, 20, v1
	s_and_not1_saveexec_b32 s10, s10
	s_cbranch_execnz .LBB62_2039
.LBB62_1814:
	s_or_b32 exec_lo, exec_lo, s10
	v_mov_b32_e32 v5, 0
	s_and_saveexec_b32 s10, s8
.LBB62_1815:
	v_mov_b32_e32 v5, v1
.LBB62_1816:
	s_or_b32 exec_lo, exec_lo, s10
.LBB62_1817:
	s_delay_alu instid0(SALU_CYCLE_1)
	s_or_b32 exec_lo, exec_lo, s7
	global_store_b8 v[2:3], v5, off
.LBB62_1818:
	s_mov_b32 s7, -1
.LBB62_1819:
	s_mov_b32 s8, 0
.LBB62_1820:
	s_delay_alu instid0(SALU_CYCLE_1)
	s_and_b32 vcc_lo, exec_lo, s8
	s_cbranch_vccz .LBB62_1860
; %bb.1821:
	s_cmp_gt_i32 s3, 22
	s_mov_b32 s6, -1
	s_cbranch_scc0 .LBB62_1853
; %bb.1822:
	s_cmp_lt_i32 s3, 24
	s_cbranch_scc1 .LBB62_1842
; %bb.1823:
	s_cmp_gt_i32 s3, 24
	s_cbranch_scc0 .LBB62_1831
; %bb.1824:
	s_wait_xcnt 0x0
	v_cndmask_b32_e64 v4, 0, 1.0, s0
	v_mov_b32_e32 v5, 0x80
	s_mov_b32 s6, exec_lo
	s_delay_alu instid0(VALU_DEP_2)
	v_cmpx_gt_u32_e32 0x47800000, v4
	s_cbranch_execz .LBB62_1830
; %bb.1825:
	s_mov_b32 s7, 0
	s_mov_b32 s8, exec_lo
                                        ; implicit-def: $vgpr1
	v_cmpx_lt_u32_e32 0x37ffffff, v4
	s_xor_b32 s8, exec_lo, s8
	s_cbranch_execz .LBB62_2041
; %bb.1826:
	v_bfe_u32 v1, v4, 21, 1
	s_mov_b32 s7, exec_lo
	s_delay_alu instid0(VALU_DEP_1) | instskip(NEXT) | instid1(VALU_DEP_1)
	v_add3_u32 v1, v4, v1, 0x88fffff
                                        ; implicit-def: $vgpr4
	v_lshrrev_b32_e32 v1, 21, v1
	s_and_not1_saveexec_b32 s8, s8
	s_cbranch_execnz .LBB62_2042
.LBB62_1827:
	s_or_b32 exec_lo, exec_lo, s8
	v_mov_b32_e32 v5, 0
	s_and_saveexec_b32 s8, s7
.LBB62_1828:
	v_mov_b32_e32 v5, v1
.LBB62_1829:
	s_or_b32 exec_lo, exec_lo, s8
.LBB62_1830:
	s_delay_alu instid0(SALU_CYCLE_1)
	s_or_b32 exec_lo, exec_lo, s6
	s_mov_b32 s6, 0
	global_store_b8 v[2:3], v5, off
.LBB62_1831:
	s_and_b32 vcc_lo, exec_lo, s6
	s_cbranch_vccz .LBB62_1841
; %bb.1832:
	s_wait_xcnt 0x0
	v_cndmask_b32_e64 v4, 0, 1.0, s0
	s_mov_b32 s6, exec_lo
                                        ; implicit-def: $vgpr1
	s_delay_alu instid0(VALU_DEP_1)
	v_cmpx_gt_u32_e32 0x43f00000, v4
	s_xor_b32 s6, exec_lo, s6
	s_cbranch_execz .LBB62_1838
; %bb.1833:
	s_mov_b32 s7, exec_lo
                                        ; implicit-def: $vgpr1
	v_cmpx_lt_u32_e32 0x3c7fffff, v4
	s_xor_b32 s7, exec_lo, s7
; %bb.1834:
	v_bfe_u32 v1, v4, 20, 1
	s_delay_alu instid0(VALU_DEP_1) | instskip(NEXT) | instid1(VALU_DEP_1)
	v_add3_u32 v1, v4, v1, 0x407ffff
	v_and_b32_e32 v4, 0xff00000, v1
	v_lshrrev_b32_e32 v1, 20, v1
	s_delay_alu instid0(VALU_DEP_2) | instskip(NEXT) | instid1(VALU_DEP_2)
	v_cmp_ne_u32_e32 vcc_lo, 0x7f00000, v4
                                        ; implicit-def: $vgpr4
	v_cndmask_b32_e32 v1, 0x7e, v1, vcc_lo
; %bb.1835:
	s_and_not1_saveexec_b32 s7, s7
; %bb.1836:
	v_add_f32_e32 v1, 0x46800000, v4
; %bb.1837:
	s_or_b32 exec_lo, exec_lo, s7
                                        ; implicit-def: $vgpr4
.LBB62_1838:
	s_and_not1_saveexec_b32 s6, s6
; %bb.1839:
	v_mov_b32_e32 v1, 0x7f
	v_cmp_lt_u32_e32 vcc_lo, 0x7f800000, v4
	s_delay_alu instid0(VALU_DEP_2)
	v_cndmask_b32_e32 v1, 0x7e, v1, vcc_lo
; %bb.1840:
	s_or_b32 exec_lo, exec_lo, s6
	global_store_b8 v[2:3], v1, off
.LBB62_1841:
	s_mov_b32 s6, 0
.LBB62_1842:
	s_delay_alu instid0(SALU_CYCLE_1)
	s_and_not1_b32 vcc_lo, exec_lo, s6
	s_cbranch_vccnz .LBB62_1852
; %bb.1843:
	s_wait_xcnt 0x0
	v_cndmask_b32_e64 v4, 0, 1.0, s0
	s_mov_b32 s6, exec_lo
                                        ; implicit-def: $vgpr1
	s_delay_alu instid0(VALU_DEP_1)
	v_cmpx_gt_u32_e32 0x47800000, v4
	s_xor_b32 s6, exec_lo, s6
	s_cbranch_execz .LBB62_1849
; %bb.1844:
	s_mov_b32 s7, exec_lo
                                        ; implicit-def: $vgpr1
	v_cmpx_lt_u32_e32 0x387fffff, v4
	s_xor_b32 s7, exec_lo, s7
; %bb.1845:
	v_bfe_u32 v1, v4, 21, 1
	s_delay_alu instid0(VALU_DEP_1) | instskip(NEXT) | instid1(VALU_DEP_1)
	v_add3_u32 v1, v4, v1, 0x80fffff
                                        ; implicit-def: $vgpr4
	v_lshrrev_b32_e32 v1, 21, v1
; %bb.1846:
	s_and_not1_saveexec_b32 s7, s7
; %bb.1847:
	v_add_f32_e32 v1, 0x43000000, v4
; %bb.1848:
	s_or_b32 exec_lo, exec_lo, s7
                                        ; implicit-def: $vgpr4
.LBB62_1849:
	s_and_not1_saveexec_b32 s6, s6
; %bb.1850:
	v_mov_b32_e32 v1, 0x7f
	v_cmp_lt_u32_e32 vcc_lo, 0x7f800000, v4
	s_delay_alu instid0(VALU_DEP_2)
	v_cndmask_b32_e32 v1, 0x7c, v1, vcc_lo
; %bb.1851:
	s_or_b32 exec_lo, exec_lo, s6
	global_store_b8 v[2:3], v1, off
.LBB62_1852:
	s_mov_b32 s6, 0
	s_mov_b32 s7, -1
.LBB62_1853:
	s_and_not1_b32 vcc_lo, exec_lo, s6
	s_mov_b32 s6, 0
	s_cbranch_vccnz .LBB62_1860
; %bb.1854:
	s_cmp_gt_i32 s3, 14
	s_mov_b32 s6, -1
	s_cbranch_scc0 .LBB62_1858
; %bb.1855:
	s_cmp_eq_u32 s3, 15
	s_mov_b32 s1, -1
	s_cbranch_scc0 .LBB62_1857
; %bb.1856:
	s_wait_xcnt 0x0
	v_cndmask_b32_e64 v1, 0, 1.0, s0
	s_mov_b32 s1, 0
	s_mov_b32 s7, -1
	s_delay_alu instid0(VALU_DEP_1) | instskip(NEXT) | instid1(VALU_DEP_1)
	v_bfe_u32 v4, v1, 16, 1
	v_add3_u32 v1, v1, v4, 0x7fff
	global_store_d16_hi_b16 v[2:3], v1, off
.LBB62_1857:
	s_mov_b32 s6, 0
.LBB62_1858:
	s_delay_alu instid0(SALU_CYCLE_1)
	s_and_b32 vcc_lo, exec_lo, s6
	s_mov_b32 s6, 0
	s_cbranch_vccz .LBB62_1860
; %bb.1859:
	s_cmp_lg_u32 s3, 11
	s_mov_b32 s6, -1
	s_cselect_b32 s1, -1, 0
.LBB62_1860:
	s_delay_alu instid0(SALU_CYCLE_1)
	s_and_b32 vcc_lo, exec_lo, s1
	s_cbranch_vccnz .LBB62_2040
; %bb.1861:
	s_and_not1_b32 vcc_lo, exec_lo, s6
	s_cbranch_vccnz .LBB62_1863
.LBB62_1862:
	s_wait_xcnt 0x0
	v_cndmask_b32_e64 v1, 0, 1, s0
	s_mov_b32 s7, -1
	global_store_b8 v[2:3], v1, off
.LBB62_1863:
	s_mov_b32 s1, 0
	s_branch .LBB62_1865
.LBB62_1864:
	s_mov_b32 s1, -1
	s_mov_b32 s7, 0
.LBB62_1865:
	s_and_b32 vcc_lo, exec_lo, s1
	s_cbranch_vccz .LBB62_1904
; %bb.1866:
	s_and_b32 s1, 0xffff, s13
	s_mov_b32 s3, -1
	s_cmp_lt_i32 s1, 5
	s_cbranch_scc1 .LBB62_1887
; %bb.1867:
	s_cmp_lt_i32 s1, 8
	s_cbranch_scc1 .LBB62_1877
; %bb.1868:
	;; [unrolled: 3-line block ×3, first 2 shown]
	s_cmp_gt_i32 s1, 9
	s_cbranch_scc0 .LBB62_1871
; %bb.1870:
	s_wait_xcnt 0x0
	v_cndmask_b32_e64 v1, 0, 1, s0
	v_mov_b32_e32 v6, 0
	s_mov_b32 s3, 0
	s_delay_alu instid0(VALU_DEP_2) | instskip(NEXT) | instid1(VALU_DEP_2)
	v_cvt_f64_u32_e32 v[4:5], v1
	v_mov_b32_e32 v7, v6
	global_store_b128 v[2:3], v[4:7], off
.LBB62_1871:
	s_and_not1_b32 vcc_lo, exec_lo, s3
	s_cbranch_vccnz .LBB62_1873
; %bb.1872:
	s_wait_xcnt 0x0
	v_cndmask_b32_e64 v4, 0, 1.0, s0
	v_mov_b32_e32 v5, 0
	global_store_b64 v[2:3], v[4:5], off
.LBB62_1873:
	s_mov_b32 s3, 0
.LBB62_1874:
	s_delay_alu instid0(SALU_CYCLE_1)
	s_and_not1_b32 vcc_lo, exec_lo, s3
	s_cbranch_vccnz .LBB62_1876
; %bb.1875:
	s_wait_xcnt 0x0
	v_cndmask_b32_e64 v1, 0, 1.0, s0
	s_delay_alu instid0(VALU_DEP_1) | instskip(NEXT) | instid1(VALU_DEP_1)
	v_cvt_f16_f32_e32 v1, v1
	v_and_b32_e32 v1, 0xffff, v1
	global_store_b32 v[2:3], v1, off
.LBB62_1876:
	s_mov_b32 s3, 0
.LBB62_1877:
	s_delay_alu instid0(SALU_CYCLE_1)
	s_and_not1_b32 vcc_lo, exec_lo, s3
	s_cbranch_vccnz .LBB62_1886
; %bb.1878:
	s_cmp_lt_i32 s1, 6
	s_mov_b32 s3, -1
	s_cbranch_scc1 .LBB62_1884
; %bb.1879:
	s_cmp_gt_i32 s1, 6
	s_cbranch_scc0 .LBB62_1881
; %bb.1880:
	s_wait_xcnt 0x0
	v_cndmask_b32_e64 v1, 0, 1, s0
	s_mov_b32 s3, 0
	s_delay_alu instid0(VALU_DEP_1)
	v_cvt_f64_u32_e32 v[4:5], v1
	global_store_b64 v[2:3], v[4:5], off
.LBB62_1881:
	s_and_not1_b32 vcc_lo, exec_lo, s3
	s_cbranch_vccnz .LBB62_1883
; %bb.1882:
	s_wait_xcnt 0x0
	v_cndmask_b32_e64 v1, 0, 1.0, s0
	global_store_b32 v[2:3], v1, off
.LBB62_1883:
	s_mov_b32 s3, 0
.LBB62_1884:
	s_delay_alu instid0(SALU_CYCLE_1)
	s_and_not1_b32 vcc_lo, exec_lo, s3
	s_cbranch_vccnz .LBB62_1886
; %bb.1885:
	s_wait_xcnt 0x0
	v_cndmask_b32_e64 v1, 0, 1.0, s0
	s_delay_alu instid0(VALU_DEP_1)
	v_cvt_f16_f32_e32 v1, v1
	global_store_b16 v[2:3], v1, off
.LBB62_1886:
	s_mov_b32 s3, 0
.LBB62_1887:
	s_delay_alu instid0(SALU_CYCLE_1)
	s_and_not1_b32 vcc_lo, exec_lo, s3
	s_cbranch_vccnz .LBB62_1903
; %bb.1888:
	s_cmp_lt_i32 s1, 2
	s_mov_b32 s3, -1
	s_cbranch_scc1 .LBB62_1898
; %bb.1889:
	s_cmp_lt_i32 s1, 3
	s_cbranch_scc1 .LBB62_1895
; %bb.1890:
	s_cmp_gt_i32 s1, 3
	s_cbranch_scc0 .LBB62_1892
; %bb.1891:
	s_mov_b32 s3, 0
	s_wait_xcnt 0x0
	v_cndmask_b32_e64 v4, 0, 1, s0
	v_mov_b32_e32 v5, s3
	global_store_b64 v[2:3], v[4:5], off
.LBB62_1892:
	s_and_not1_b32 vcc_lo, exec_lo, s3
	s_cbranch_vccnz .LBB62_1894
; %bb.1893:
	s_wait_xcnt 0x0
	v_cndmask_b32_e64 v1, 0, 1, s0
	global_store_b32 v[2:3], v1, off
.LBB62_1894:
	s_mov_b32 s3, 0
.LBB62_1895:
	s_delay_alu instid0(SALU_CYCLE_1)
	s_and_not1_b32 vcc_lo, exec_lo, s3
	s_cbranch_vccnz .LBB62_1897
; %bb.1896:
	s_wait_xcnt 0x0
	v_cndmask_b32_e64 v1, 0, 1, s0
	global_store_b16 v[2:3], v1, off
.LBB62_1897:
	s_mov_b32 s3, 0
.LBB62_1898:
	s_delay_alu instid0(SALU_CYCLE_1)
	s_and_not1_b32 vcc_lo, exec_lo, s3
	s_cbranch_vccnz .LBB62_1903
; %bb.1899:
	s_wait_xcnt 0x0
	v_cndmask_b32_e64 v1, 0, 1, s0
	s_cmp_gt_i32 s1, 0
	s_mov_b32 s0, -1
	s_cbranch_scc0 .LBB62_1901
; %bb.1900:
	s_mov_b32 s0, 0
	global_store_b8 v[2:3], v1, off
.LBB62_1901:
	s_and_not1_b32 vcc_lo, exec_lo, s0
	s_cbranch_vccnz .LBB62_1903
; %bb.1902:
	global_store_b8 v[2:3], v1, off
.LBB62_1903:
	s_mov_b32 s7, -1
.LBB62_1904:
	s_delay_alu instid0(SALU_CYCLE_1)
	s_and_not1_b32 vcc_lo, exec_lo, s7
	s_cbranch_vccnz .LBB62_1981
; %bb.1905:
	v_add_nc_u32_e32 v0, s2, v0
	s_wait_xcnt 0x0
	v_lshlrev_b32_e32 v2, 16, v8
	s_cmp_lt_i32 s13, 11
	s_delay_alu instid0(VALU_DEP_2) | instskip(NEXT) | instid1(VALU_DEP_2)
	v_ashrrev_i32_e32 v1, 31, v0
	v_cmp_eq_f32_e64 s1, 0x7f800000, v2
	s_delay_alu instid0(VALU_DEP_2)
	v_add_nc_u64_e32 v[0:1], s[4:5], v[0:1]
	s_cbranch_scc1 .LBB62_2026
; %bb.1906:
	s_and_b32 s2, 0xffff, s13
	s_mov_b32 s4, -1
	s_mov_b32 s3, 0
	s_cmp_gt_i32 s2, 25
	s_mov_b32 s0, 0
	s_cbranch_scc0 .LBB62_1939
; %bb.1907:
	s_cmp_gt_i32 s2, 28
	s_cbranch_scc0 .LBB62_1923
; %bb.1908:
	s_cmp_gt_i32 s2, 43
	;; [unrolled: 3-line block ×3, first 2 shown]
	s_cbranch_scc0 .LBB62_1913
; %bb.1910:
	s_cmp_eq_u32 s2, 46
	s_mov_b32 s0, -1
	s_cbranch_scc0 .LBB62_1912
; %bb.1911:
	v_cndmask_b32_e64 v2, 0, 1.0, s1
	s_mov_b32 s0, 0
	s_delay_alu instid0(VALU_DEP_1) | instskip(NEXT) | instid1(VALU_DEP_1)
	v_bfe_u32 v3, v2, 16, 1
	v_add3_u32 v2, v2, v3, 0x7fff
	s_delay_alu instid0(VALU_DEP_1)
	v_lshrrev_b32_e32 v2, 16, v2
	global_store_b32 v[0:1], v2, off
.LBB62_1912:
	s_mov_b32 s4, 0
.LBB62_1913:
	s_delay_alu instid0(SALU_CYCLE_1)
	s_and_b32 vcc_lo, exec_lo, s4
	s_cbranch_vccz .LBB62_1918
; %bb.1914:
	s_cmp_eq_u32 s2, 44
	s_mov_b32 s0, -1
	s_cbranch_scc0 .LBB62_1918
; %bb.1915:
	v_cndmask_b32_e64 v4, 0, 1.0, s1
	s_mov_b32 s4, exec_lo
	s_wait_xcnt 0x0
	s_delay_alu instid0(VALU_DEP_1) | instskip(NEXT) | instid1(VALU_DEP_1)
	v_dual_mov_b32 v3, 0xff :: v_dual_lshrrev_b32 v2, 23, v4
	v_cmpx_ne_u32_e32 0xff, v2
; %bb.1916:
	v_and_b32_e32 v3, 0x400000, v4
	v_and_or_b32 v4, 0x3fffff, v4, v2
	s_delay_alu instid0(VALU_DEP_2) | instskip(NEXT) | instid1(VALU_DEP_2)
	v_cmp_ne_u32_e32 vcc_lo, 0, v3
	v_cmp_ne_u32_e64 s0, 0, v4
	s_and_b32 s0, vcc_lo, s0
	s_delay_alu instid0(SALU_CYCLE_1) | instskip(NEXT) | instid1(VALU_DEP_1)
	v_cndmask_b32_e64 v3, 0, 1, s0
	v_add_nc_u32_e32 v3, v2, v3
; %bb.1917:
	s_or_b32 exec_lo, exec_lo, s4
	s_mov_b32 s0, 0
	global_store_b8 v[0:1], v3, off
.LBB62_1918:
	s_mov_b32 s4, 0
.LBB62_1919:
	s_delay_alu instid0(SALU_CYCLE_1)
	s_and_b32 vcc_lo, exec_lo, s4
	s_cbranch_vccz .LBB62_1922
; %bb.1920:
	s_cmp_eq_u32 s2, 29
	s_mov_b32 s0, -1
	s_cbranch_scc0 .LBB62_1922
; %bb.1921:
	s_mov_b32 s0, 0
	s_wait_xcnt 0x0
	v_cndmask_b32_e64 v2, 0, 1, s1
	v_mov_b32_e32 v3, s0
	global_store_b64 v[0:1], v[2:3], off
.LBB62_1922:
	s_mov_b32 s4, 0
.LBB62_1923:
	s_delay_alu instid0(SALU_CYCLE_1)
	s_and_b32 vcc_lo, exec_lo, s4
	s_cbranch_vccz .LBB62_1938
; %bb.1924:
	s_cmp_lt_i32 s2, 27
	s_mov_b32 s4, -1
	s_cbranch_scc1 .LBB62_1930
; %bb.1925:
	s_wait_xcnt 0x0
	v_cndmask_b32_e64 v2, 0, 1, s1
	s_cmp_gt_i32 s2, 27
	s_cbranch_scc0 .LBB62_1927
; %bb.1926:
	s_mov_b32 s4, 0
	global_store_b32 v[0:1], v2, off
.LBB62_1927:
	s_and_not1_b32 vcc_lo, exec_lo, s4
	s_cbranch_vccnz .LBB62_1929
; %bb.1928:
	global_store_b16 v[0:1], v2, off
.LBB62_1929:
	s_mov_b32 s4, 0
.LBB62_1930:
	s_delay_alu instid0(SALU_CYCLE_1)
	s_and_not1_b32 vcc_lo, exec_lo, s4
	s_cbranch_vccnz .LBB62_1938
; %bb.1931:
	s_wait_xcnt 0x0
	v_cndmask_b32_e64 v3, 0, 1.0, s1
	v_mov_b32_e32 v4, 0x80
	s_mov_b32 s4, exec_lo
	s_delay_alu instid0(VALU_DEP_2)
	v_cmpx_gt_u32_e32 0x43800000, v3
	s_cbranch_execz .LBB62_1937
; %bb.1932:
	s_mov_b32 s5, 0
	s_mov_b32 s6, exec_lo
                                        ; implicit-def: $vgpr2
	v_cmpx_lt_u32_e32 0x3bffffff, v3
	s_xor_b32 s6, exec_lo, s6
	s_cbranch_execz .LBB62_2043
; %bb.1933:
	v_bfe_u32 v2, v3, 20, 1
	s_mov_b32 s5, exec_lo
	s_delay_alu instid0(VALU_DEP_1) | instskip(NEXT) | instid1(VALU_DEP_1)
	v_add3_u32 v2, v3, v2, 0x487ffff
                                        ; implicit-def: $vgpr3
	v_lshrrev_b32_e32 v2, 20, v2
	s_and_not1_saveexec_b32 s6, s6
	s_cbranch_execnz .LBB62_2044
.LBB62_1934:
	s_or_b32 exec_lo, exec_lo, s6
	v_mov_b32_e32 v4, 0
	s_and_saveexec_b32 s6, s5
.LBB62_1935:
	v_mov_b32_e32 v4, v2
.LBB62_1936:
	s_or_b32 exec_lo, exec_lo, s6
.LBB62_1937:
	s_delay_alu instid0(SALU_CYCLE_1)
	s_or_b32 exec_lo, exec_lo, s4
	global_store_b8 v[0:1], v4, off
.LBB62_1938:
	s_mov_b32 s4, 0
.LBB62_1939:
	s_delay_alu instid0(SALU_CYCLE_1)
	s_and_b32 vcc_lo, exec_lo, s4
	s_cbranch_vccz .LBB62_1979
; %bb.1940:
	s_cmp_gt_i32 s2, 22
	s_mov_b32 s3, -1
	s_cbranch_scc0 .LBB62_1972
; %bb.1941:
	s_cmp_lt_i32 s2, 24
	s_cbranch_scc1 .LBB62_1961
; %bb.1942:
	s_cmp_gt_i32 s2, 24
	s_cbranch_scc0 .LBB62_1950
; %bb.1943:
	s_wait_xcnt 0x0
	v_cndmask_b32_e64 v3, 0, 1.0, s1
	v_mov_b32_e32 v4, 0x80
	s_mov_b32 s3, exec_lo
	s_delay_alu instid0(VALU_DEP_2)
	v_cmpx_gt_u32_e32 0x47800000, v3
	s_cbranch_execz .LBB62_1949
; %bb.1944:
	s_mov_b32 s4, 0
	s_mov_b32 s5, exec_lo
                                        ; implicit-def: $vgpr2
	v_cmpx_lt_u32_e32 0x37ffffff, v3
	s_xor_b32 s5, exec_lo, s5
	s_cbranch_execz .LBB62_2046
; %bb.1945:
	v_bfe_u32 v2, v3, 21, 1
	s_mov_b32 s4, exec_lo
	s_delay_alu instid0(VALU_DEP_1) | instskip(NEXT) | instid1(VALU_DEP_1)
	v_add3_u32 v2, v3, v2, 0x88fffff
                                        ; implicit-def: $vgpr3
	v_lshrrev_b32_e32 v2, 21, v2
	s_and_not1_saveexec_b32 s5, s5
	s_cbranch_execnz .LBB62_2047
.LBB62_1946:
	s_or_b32 exec_lo, exec_lo, s5
	v_mov_b32_e32 v4, 0
	s_and_saveexec_b32 s5, s4
.LBB62_1947:
	v_mov_b32_e32 v4, v2
.LBB62_1948:
	s_or_b32 exec_lo, exec_lo, s5
.LBB62_1949:
	s_delay_alu instid0(SALU_CYCLE_1)
	s_or_b32 exec_lo, exec_lo, s3
	s_mov_b32 s3, 0
	global_store_b8 v[0:1], v4, off
.LBB62_1950:
	s_and_b32 vcc_lo, exec_lo, s3
	s_cbranch_vccz .LBB62_1960
; %bb.1951:
	s_wait_xcnt 0x0
	v_cndmask_b32_e64 v3, 0, 1.0, s1
	s_mov_b32 s3, exec_lo
                                        ; implicit-def: $vgpr2
	s_delay_alu instid0(VALU_DEP_1)
	v_cmpx_gt_u32_e32 0x43f00000, v3
	s_xor_b32 s3, exec_lo, s3
	s_cbranch_execz .LBB62_1957
; %bb.1952:
	s_mov_b32 s4, exec_lo
                                        ; implicit-def: $vgpr2
	v_cmpx_lt_u32_e32 0x3c7fffff, v3
	s_xor_b32 s4, exec_lo, s4
; %bb.1953:
	v_bfe_u32 v2, v3, 20, 1
	s_delay_alu instid0(VALU_DEP_1) | instskip(NEXT) | instid1(VALU_DEP_1)
	v_add3_u32 v2, v3, v2, 0x407ffff
	v_and_b32_e32 v3, 0xff00000, v2
	v_lshrrev_b32_e32 v2, 20, v2
	s_delay_alu instid0(VALU_DEP_2) | instskip(NEXT) | instid1(VALU_DEP_2)
	v_cmp_ne_u32_e32 vcc_lo, 0x7f00000, v3
                                        ; implicit-def: $vgpr3
	v_cndmask_b32_e32 v2, 0x7e, v2, vcc_lo
; %bb.1954:
	s_and_not1_saveexec_b32 s4, s4
; %bb.1955:
	v_add_f32_e32 v2, 0x46800000, v3
; %bb.1956:
	s_or_b32 exec_lo, exec_lo, s4
                                        ; implicit-def: $vgpr3
.LBB62_1957:
	s_and_not1_saveexec_b32 s3, s3
; %bb.1958:
	v_mov_b32_e32 v2, 0x7f
	v_cmp_lt_u32_e32 vcc_lo, 0x7f800000, v3
	s_delay_alu instid0(VALU_DEP_2)
	v_cndmask_b32_e32 v2, 0x7e, v2, vcc_lo
; %bb.1959:
	s_or_b32 exec_lo, exec_lo, s3
	global_store_b8 v[0:1], v2, off
.LBB62_1960:
	s_mov_b32 s3, 0
.LBB62_1961:
	s_delay_alu instid0(SALU_CYCLE_1)
	s_and_not1_b32 vcc_lo, exec_lo, s3
	s_cbranch_vccnz .LBB62_1971
; %bb.1962:
	s_wait_xcnt 0x0
	v_cndmask_b32_e64 v3, 0, 1.0, s1
	s_mov_b32 s3, exec_lo
                                        ; implicit-def: $vgpr2
	s_delay_alu instid0(VALU_DEP_1)
	v_cmpx_gt_u32_e32 0x47800000, v3
	s_xor_b32 s3, exec_lo, s3
	s_cbranch_execz .LBB62_1968
; %bb.1963:
	s_mov_b32 s4, exec_lo
                                        ; implicit-def: $vgpr2
	v_cmpx_lt_u32_e32 0x387fffff, v3
	s_xor_b32 s4, exec_lo, s4
; %bb.1964:
	v_bfe_u32 v2, v3, 21, 1
	s_delay_alu instid0(VALU_DEP_1) | instskip(NEXT) | instid1(VALU_DEP_1)
	v_add3_u32 v2, v3, v2, 0x80fffff
                                        ; implicit-def: $vgpr3
	v_lshrrev_b32_e32 v2, 21, v2
; %bb.1965:
	s_and_not1_saveexec_b32 s4, s4
; %bb.1966:
	v_add_f32_e32 v2, 0x43000000, v3
; %bb.1967:
	s_or_b32 exec_lo, exec_lo, s4
                                        ; implicit-def: $vgpr3
.LBB62_1968:
	s_and_not1_saveexec_b32 s3, s3
; %bb.1969:
	v_mov_b32_e32 v2, 0x7f
	v_cmp_lt_u32_e32 vcc_lo, 0x7f800000, v3
	s_delay_alu instid0(VALU_DEP_2)
	v_cndmask_b32_e32 v2, 0x7c, v2, vcc_lo
; %bb.1970:
	s_or_b32 exec_lo, exec_lo, s3
	global_store_b8 v[0:1], v2, off
.LBB62_1971:
	s_mov_b32 s3, 0
.LBB62_1972:
	s_delay_alu instid0(SALU_CYCLE_1)
	s_and_not1_b32 vcc_lo, exec_lo, s3
	s_mov_b32 s3, 0
	s_cbranch_vccnz .LBB62_1979
; %bb.1973:
	s_cmp_gt_i32 s2, 14
	s_mov_b32 s3, -1
	s_cbranch_scc0 .LBB62_1977
; %bb.1974:
	s_cmp_eq_u32 s2, 15
	s_mov_b32 s0, -1
	s_cbranch_scc0 .LBB62_1976
; %bb.1975:
	s_wait_xcnt 0x0
	v_cndmask_b32_e64 v2, 0, 1.0, s1
	s_mov_b32 s0, 0
	s_delay_alu instid0(VALU_DEP_1) | instskip(NEXT) | instid1(VALU_DEP_1)
	v_bfe_u32 v3, v2, 16, 1
	v_add3_u32 v2, v2, v3, 0x7fff
	global_store_d16_hi_b16 v[0:1], v2, off
.LBB62_1976:
	s_mov_b32 s3, 0
.LBB62_1977:
	s_delay_alu instid0(SALU_CYCLE_1)
	s_and_b32 vcc_lo, exec_lo, s3
	s_mov_b32 s3, 0
	s_cbranch_vccz .LBB62_1979
; %bb.1978:
	s_cmp_lg_u32 s2, 11
	s_mov_b32 s3, -1
	s_cselect_b32 s0, -1, 0
.LBB62_1979:
	s_delay_alu instid0(SALU_CYCLE_1)
	s_and_b32 vcc_lo, exec_lo, s0
	s_cbranch_vccnz .LBB62_2045
.LBB62_1980:
	s_mov_b32 s0, 0
	s_branch .LBB62_1982
.LBB62_1981:
	s_mov_b32 s0, 0
	s_mov_b32 s3, 0
                                        ; implicit-def: $sgpr1
                                        ; implicit-def: $sgpr13
                                        ; implicit-def: $vgpr0_vgpr1
.LBB62_1982:
	s_and_not1_b32 s2, s12, exec_lo
	s_and_b32 s4, s9, exec_lo
	s_and_b32 s0, s0, exec_lo
	;; [unrolled: 1-line block ×3, first 2 shown]
	s_or_b32 s12, s2, s4
.LBB62_1983:
	s_wait_xcnt 0x0
	s_or_b32 exec_lo, exec_lo, s11
	s_and_saveexec_b32 s2, s12
	s_cbranch_execz .LBB62_1986
; %bb.1984:
	; divergent unreachable
	s_or_b32 exec_lo, exec_lo, s2
	s_and_saveexec_b32 s2, s9
	s_delay_alu instid0(SALU_CYCLE_1)
	s_xor_b32 s2, exec_lo, s2
	s_cbranch_execnz .LBB62_1987
.LBB62_1985:
	s_or_b32 exec_lo, exec_lo, s2
	s_and_saveexec_b32 s2, s0
	s_cbranch_execnz .LBB62_1988
	s_branch .LBB62_2025
.LBB62_1986:
	s_or_b32 exec_lo, exec_lo, s2
	s_and_saveexec_b32 s2, s9
	s_delay_alu instid0(SALU_CYCLE_1)
	s_xor_b32 s2, exec_lo, s2
	s_cbranch_execz .LBB62_1985
.LBB62_1987:
	s_wait_loadcnt 0x0
	v_cndmask_b32_e64 v2, 0, 1, s1
	global_store_b8 v[0:1], v2, off
	s_wait_xcnt 0x0
	s_or_b32 exec_lo, exec_lo, s2
	s_and_saveexec_b32 s2, s0
	s_cbranch_execz .LBB62_2025
.LBB62_1988:
	s_sext_i32_i16 s2, s13
	s_mov_b32 s0, -1
	s_cmp_lt_i32 s2, 5
	s_cbranch_scc1 .LBB62_2009
; %bb.1989:
	s_cmp_lt_i32 s2, 8
	s_cbranch_scc1 .LBB62_1999
; %bb.1990:
	;; [unrolled: 3-line block ×3, first 2 shown]
	s_cmp_gt_i32 s2, 9
	s_cbranch_scc0 .LBB62_1993
; %bb.1992:
	s_wait_loadcnt 0x0
	v_cndmask_b32_e64 v2, 0, 1, s1
	v_mov_b32_e32 v4, 0
	s_mov_b32 s0, 0
	s_delay_alu instid0(VALU_DEP_2) | instskip(NEXT) | instid1(VALU_DEP_2)
	v_cvt_f64_u32_e32 v[2:3], v2
	v_mov_b32_e32 v5, v4
	global_store_b128 v[0:1], v[2:5], off
.LBB62_1993:
	s_and_not1_b32 vcc_lo, exec_lo, s0
	s_cbranch_vccnz .LBB62_1995
; %bb.1994:
	s_wait_loadcnt 0x0
	v_cndmask_b32_e64 v2, 0, 1.0, s1
	v_mov_b32_e32 v3, 0
	global_store_b64 v[0:1], v[2:3], off
.LBB62_1995:
	s_mov_b32 s0, 0
.LBB62_1996:
	s_delay_alu instid0(SALU_CYCLE_1)
	s_and_not1_b32 vcc_lo, exec_lo, s0
	s_cbranch_vccnz .LBB62_1998
; %bb.1997:
	s_wait_loadcnt 0x0
	v_cndmask_b32_e64 v2, 0, 1.0, s1
	s_delay_alu instid0(VALU_DEP_1) | instskip(NEXT) | instid1(VALU_DEP_1)
	v_cvt_f16_f32_e32 v2, v2
	v_and_b32_e32 v2, 0xffff, v2
	global_store_b32 v[0:1], v2, off
.LBB62_1998:
	s_mov_b32 s0, 0
.LBB62_1999:
	s_delay_alu instid0(SALU_CYCLE_1)
	s_and_not1_b32 vcc_lo, exec_lo, s0
	s_cbranch_vccnz .LBB62_2008
; %bb.2000:
	s_sext_i32_i16 s2, s13
	s_mov_b32 s0, -1
	s_cmp_lt_i32 s2, 6
	s_cbranch_scc1 .LBB62_2006
; %bb.2001:
	s_cmp_gt_i32 s2, 6
	s_cbranch_scc0 .LBB62_2003
; %bb.2002:
	s_wait_loadcnt 0x0
	v_cndmask_b32_e64 v2, 0, 1, s1
	s_mov_b32 s0, 0
	s_delay_alu instid0(VALU_DEP_1)
	v_cvt_f64_u32_e32 v[2:3], v2
	global_store_b64 v[0:1], v[2:3], off
.LBB62_2003:
	s_and_not1_b32 vcc_lo, exec_lo, s0
	s_cbranch_vccnz .LBB62_2005
; %bb.2004:
	s_wait_loadcnt 0x0
	v_cndmask_b32_e64 v2, 0, 1.0, s1
	global_store_b32 v[0:1], v2, off
.LBB62_2005:
	s_mov_b32 s0, 0
.LBB62_2006:
	s_delay_alu instid0(SALU_CYCLE_1)
	s_and_not1_b32 vcc_lo, exec_lo, s0
	s_cbranch_vccnz .LBB62_2008
; %bb.2007:
	s_wait_loadcnt 0x0
	v_cndmask_b32_e64 v2, 0, 1.0, s1
	s_delay_alu instid0(VALU_DEP_1)
	v_cvt_f16_f32_e32 v2, v2
	global_store_b16 v[0:1], v2, off
.LBB62_2008:
	s_mov_b32 s0, 0
.LBB62_2009:
	s_delay_alu instid0(SALU_CYCLE_1)
	s_and_not1_b32 vcc_lo, exec_lo, s0
	s_cbranch_vccnz .LBB62_2025
; %bb.2010:
	s_sext_i32_i16 s2, s13
	s_mov_b32 s0, -1
	s_cmp_lt_i32 s2, 2
	s_cbranch_scc1 .LBB62_2020
; %bb.2011:
	s_cmp_lt_i32 s2, 3
	s_cbranch_scc1 .LBB62_2017
; %bb.2012:
	s_cmp_gt_i32 s2, 3
	s_cbranch_scc0 .LBB62_2014
; %bb.2013:
	s_mov_b32 s0, 0
	s_wait_loadcnt 0x0
	v_cndmask_b32_e64 v2, 0, 1, s1
	v_mov_b32_e32 v3, s0
	global_store_b64 v[0:1], v[2:3], off
.LBB62_2014:
	s_and_not1_b32 vcc_lo, exec_lo, s0
	s_cbranch_vccnz .LBB62_2016
; %bb.2015:
	s_wait_loadcnt 0x0
	v_cndmask_b32_e64 v2, 0, 1, s1
	global_store_b32 v[0:1], v2, off
.LBB62_2016:
	s_mov_b32 s0, 0
.LBB62_2017:
	s_delay_alu instid0(SALU_CYCLE_1)
	s_and_not1_b32 vcc_lo, exec_lo, s0
	s_cbranch_vccnz .LBB62_2019
; %bb.2018:
	s_wait_loadcnt 0x0
	v_cndmask_b32_e64 v2, 0, 1, s1
	global_store_b16 v[0:1], v2, off
.LBB62_2019:
	s_mov_b32 s0, 0
.LBB62_2020:
	s_delay_alu instid0(SALU_CYCLE_1)
	s_and_not1_b32 vcc_lo, exec_lo, s0
	s_cbranch_vccnz .LBB62_2025
; %bb.2021:
	s_wait_loadcnt 0x0
	v_cndmask_b32_e64 v2, 0, 1, s1
	s_sext_i32_i16 s0, s13
	s_delay_alu instid0(SALU_CYCLE_1)
	s_cmp_gt_i32 s0, 0
	s_mov_b32 s0, -1
	s_cbranch_scc0 .LBB62_2023
; %bb.2022:
	s_mov_b32 s0, 0
	global_store_b8 v[0:1], v2, off
.LBB62_2023:
	s_and_not1_b32 vcc_lo, exec_lo, s0
	s_cbranch_vccnz .LBB62_2025
; %bb.2024:
	global_store_b8 v[0:1], v2, off
	s_endpgm
.LBB62_2025:
	s_endpgm
.LBB62_2026:
	s_mov_b32 s3, 0
	s_mov_b32 s0, -1
	s_branch .LBB62_1982
.LBB62_2027:
	s_or_b32 s9, s9, exec_lo
	s_trap 2
	s_cbranch_execz .LBB62_1496
	s_branch .LBB62_1497
.LBB62_2028:
	s_and_not1_saveexec_b32 s10, s10
	s_cbranch_execz .LBB62_1576
.LBB62_2029:
	v_add_f32_e32 v1, 0x46000000, v4
	s_and_not1_b32 s8, s8, exec_lo
	s_delay_alu instid0(VALU_DEP_1) | instskip(NEXT) | instid1(VALU_DEP_1)
	v_and_b32_e32 v1, 0xff, v1
	v_cmp_ne_u32_e32 vcc_lo, 0, v1
	s_and_b32 s14, vcc_lo, exec_lo
	s_delay_alu instid0(SALU_CYCLE_1)
	s_or_b32 s8, s8, s14
	s_or_b32 exec_lo, exec_lo, s10
	v_mov_b32_e32 v5, 0
	s_and_saveexec_b32 s10, s8
	s_cbranch_execnz .LBB62_1577
	s_branch .LBB62_1578
.LBB62_2030:
	s_or_b32 s9, s9, exec_lo
	s_trap 2
	s_cbranch_execz .LBB62_1624
	s_branch .LBB62_1625
.LBB62_2031:
	s_and_not1_saveexec_b32 s8, s8
	s_cbranch_execz .LBB62_1589
.LBB62_2032:
	v_add_f32_e32 v1, 0x42800000, v4
	s_and_not1_b32 s7, s7, exec_lo
	s_delay_alu instid0(VALU_DEP_1) | instskip(NEXT) | instid1(VALU_DEP_1)
	v_and_b32_e32 v1, 0xff, v1
	v_cmp_ne_u32_e32 vcc_lo, 0, v1
	s_and_b32 s10, vcc_lo, exec_lo
	s_delay_alu instid0(SALU_CYCLE_1)
	s_or_b32 s7, s7, s10
	s_or_b32 exec_lo, exec_lo, s8
	v_mov_b32_e32 v5, 0
	s_and_saveexec_b32 s8, s7
	s_cbranch_execnz .LBB62_1590
	s_branch .LBB62_1591
.LBB62_2033:
	s_and_not1_saveexec_b32 s10, s10
	s_cbranch_execz .LBB62_1695
.LBB62_2034:
	v_add_f32_e32 v1, 0x46000000, v4
	s_and_not1_b32 s8, s8, exec_lo
	s_delay_alu instid0(VALU_DEP_1) | instskip(NEXT) | instid1(VALU_DEP_1)
	v_and_b32_e32 v1, 0xff, v1
	v_cmp_ne_u32_e32 vcc_lo, 0, v1
	s_and_b32 s14, vcc_lo, exec_lo
	s_delay_alu instid0(SALU_CYCLE_1)
	s_or_b32 s8, s8, s14
	s_or_b32 exec_lo, exec_lo, s10
	v_mov_b32_e32 v5, 0
	s_and_saveexec_b32 s10, s8
	s_cbranch_execnz .LBB62_1696
	s_branch .LBB62_1697
.LBB62_2035:
	s_or_b32 s9, s9, exec_lo
	s_trap 2
	s_cbranch_execz .LBB62_1743
	s_branch .LBB62_1744
.LBB62_2036:
	s_and_not1_saveexec_b32 s8, s8
	s_cbranch_execz .LBB62_1708
.LBB62_2037:
	v_add_f32_e32 v1, 0x42800000, v4
	s_and_not1_b32 s7, s7, exec_lo
	s_delay_alu instid0(VALU_DEP_1) | instskip(NEXT) | instid1(VALU_DEP_1)
	v_and_b32_e32 v1, 0xff, v1
	v_cmp_ne_u32_e32 vcc_lo, 0, v1
	s_and_b32 s10, vcc_lo, exec_lo
	s_delay_alu instid0(SALU_CYCLE_1)
	s_or_b32 s7, s7, s10
	s_or_b32 exec_lo, exec_lo, s8
	v_mov_b32_e32 v5, 0
	s_and_saveexec_b32 s8, s7
	s_cbranch_execnz .LBB62_1709
	s_branch .LBB62_1710
.LBB62_2038:
	s_and_not1_saveexec_b32 s10, s10
	s_cbranch_execz .LBB62_1814
.LBB62_2039:
	v_add_f32_e32 v1, 0x46000000, v4
	s_and_not1_b32 s8, s8, exec_lo
	s_delay_alu instid0(VALU_DEP_1) | instskip(NEXT) | instid1(VALU_DEP_1)
	v_and_b32_e32 v1, 0xff, v1
	v_cmp_ne_u32_e32 vcc_lo, 0, v1
	s_and_b32 s14, vcc_lo, exec_lo
	s_delay_alu instid0(SALU_CYCLE_1)
	s_or_b32 s8, s8, s14
	s_or_b32 exec_lo, exec_lo, s10
	v_mov_b32_e32 v5, 0
	s_and_saveexec_b32 s10, s8
	s_cbranch_execnz .LBB62_1815
	s_branch .LBB62_1816
.LBB62_2040:
	s_or_b32 s9, s9, exec_lo
	s_trap 2
	s_cbranch_execz .LBB62_1862
	s_branch .LBB62_1863
.LBB62_2041:
	s_and_not1_saveexec_b32 s8, s8
	s_cbranch_execz .LBB62_1827
.LBB62_2042:
	v_add_f32_e32 v1, 0x42800000, v4
	s_and_not1_b32 s7, s7, exec_lo
	s_delay_alu instid0(VALU_DEP_1) | instskip(NEXT) | instid1(VALU_DEP_1)
	v_and_b32_e32 v1, 0xff, v1
	v_cmp_ne_u32_e32 vcc_lo, 0, v1
	s_and_b32 s10, vcc_lo, exec_lo
	s_delay_alu instid0(SALU_CYCLE_1)
	s_or_b32 s7, s7, s10
	s_or_b32 exec_lo, exec_lo, s8
	v_mov_b32_e32 v5, 0
	s_and_saveexec_b32 s8, s7
	s_cbranch_execnz .LBB62_1828
	s_branch .LBB62_1829
.LBB62_2043:
	s_and_not1_saveexec_b32 s6, s6
	s_cbranch_execz .LBB62_1934
.LBB62_2044:
	v_add_f32_e32 v2, 0x46000000, v3
	s_and_not1_b32 s5, s5, exec_lo
	s_delay_alu instid0(VALU_DEP_1) | instskip(NEXT) | instid1(VALU_DEP_1)
	v_and_b32_e32 v2, 0xff, v2
	v_cmp_ne_u32_e32 vcc_lo, 0, v2
	s_and_b32 s7, vcc_lo, exec_lo
	s_delay_alu instid0(SALU_CYCLE_1)
	s_or_b32 s5, s5, s7
	s_or_b32 exec_lo, exec_lo, s6
	v_mov_b32_e32 v4, 0
	s_and_saveexec_b32 s6, s5
	s_cbranch_execnz .LBB62_1935
	s_branch .LBB62_1936
.LBB62_2045:
	s_mov_b32 s3, 0
	s_or_b32 s9, s9, exec_lo
	s_trap 2
	s_branch .LBB62_1980
.LBB62_2046:
	s_and_not1_saveexec_b32 s5, s5
	s_cbranch_execz .LBB62_1946
.LBB62_2047:
	v_add_f32_e32 v2, 0x42800000, v3
	s_and_not1_b32 s4, s4, exec_lo
	s_delay_alu instid0(VALU_DEP_1) | instskip(NEXT) | instid1(VALU_DEP_1)
	v_and_b32_e32 v2, 0xff, v2
	v_cmp_ne_u32_e32 vcc_lo, 0, v2
	s_and_b32 s6, vcc_lo, exec_lo
	s_delay_alu instid0(SALU_CYCLE_1)
	s_or_b32 s4, s4, s6
	s_or_b32 exec_lo, exec_lo, s5
	v_mov_b32_e32 v4, 0
	s_and_saveexec_b32 s5, s4
	s_cbranch_execnz .LBB62_1947
	s_branch .LBB62_1948
	.section	.rodata,"a",@progbits
	.p2align	6, 0x0
	.amdhsa_kernel _ZN2at6native32elementwise_kernel_manual_unrollILi128ELi4EZNS0_15gpu_kernel_implIZZZNS0_12_GLOBAL__N_120isposinf_kernel_implERNS_18TensorIteratorBaseEENKUlvE_clEvENKUlvE2_clEvEUlN3c108BFloat16EE_EEvS5_RKT_EUlibE_EEviT1_
		.amdhsa_group_segment_fixed_size 0
		.amdhsa_private_segment_fixed_size 0
		.amdhsa_kernarg_size 40
		.amdhsa_user_sgpr_count 2
		.amdhsa_user_sgpr_dispatch_ptr 0
		.amdhsa_user_sgpr_queue_ptr 0
		.amdhsa_user_sgpr_kernarg_segment_ptr 1
		.amdhsa_user_sgpr_dispatch_id 0
		.amdhsa_user_sgpr_kernarg_preload_length 0
		.amdhsa_user_sgpr_kernarg_preload_offset 0
		.amdhsa_user_sgpr_private_segment_size 0
		.amdhsa_wavefront_size32 1
		.amdhsa_uses_dynamic_stack 0
		.amdhsa_enable_private_segment 0
		.amdhsa_system_sgpr_workgroup_id_x 1
		.amdhsa_system_sgpr_workgroup_id_y 0
		.amdhsa_system_sgpr_workgroup_id_z 0
		.amdhsa_system_sgpr_workgroup_info 0
		.amdhsa_system_vgpr_workitem_id 0
		.amdhsa_next_free_vgpr 14
		.amdhsa_next_free_sgpr 27
		.amdhsa_named_barrier_count 0
		.amdhsa_reserve_vcc 1
		.amdhsa_float_round_mode_32 0
		.amdhsa_float_round_mode_16_64 0
		.amdhsa_float_denorm_mode_32 3
		.amdhsa_float_denorm_mode_16_64 3
		.amdhsa_fp16_overflow 0
		.amdhsa_memory_ordered 1
		.amdhsa_forward_progress 1
		.amdhsa_inst_pref_size 255
		.amdhsa_round_robin_scheduling 0
		.amdhsa_exception_fp_ieee_invalid_op 0
		.amdhsa_exception_fp_denorm_src 0
		.amdhsa_exception_fp_ieee_div_zero 0
		.amdhsa_exception_fp_ieee_overflow 0
		.amdhsa_exception_fp_ieee_underflow 0
		.amdhsa_exception_fp_ieee_inexact 0
		.amdhsa_exception_int_div_zero 0
	.end_amdhsa_kernel
	.section	.text._ZN2at6native32elementwise_kernel_manual_unrollILi128ELi4EZNS0_15gpu_kernel_implIZZZNS0_12_GLOBAL__N_120isposinf_kernel_implERNS_18TensorIteratorBaseEENKUlvE_clEvENKUlvE2_clEvEUlN3c108BFloat16EE_EEvS5_RKT_EUlibE_EEviT1_,"axG",@progbits,_ZN2at6native32elementwise_kernel_manual_unrollILi128ELi4EZNS0_15gpu_kernel_implIZZZNS0_12_GLOBAL__N_120isposinf_kernel_implERNS_18TensorIteratorBaseEENKUlvE_clEvENKUlvE2_clEvEUlN3c108BFloat16EE_EEvS5_RKT_EUlibE_EEviT1_,comdat
.Lfunc_end62:
	.size	_ZN2at6native32elementwise_kernel_manual_unrollILi128ELi4EZNS0_15gpu_kernel_implIZZZNS0_12_GLOBAL__N_120isposinf_kernel_implERNS_18TensorIteratorBaseEENKUlvE_clEvENKUlvE2_clEvEUlN3c108BFloat16EE_EEvS5_RKT_EUlibE_EEviT1_, .Lfunc_end62-_ZN2at6native32elementwise_kernel_manual_unrollILi128ELi4EZNS0_15gpu_kernel_implIZZZNS0_12_GLOBAL__N_120isposinf_kernel_implERNS_18TensorIteratorBaseEENKUlvE_clEvENKUlvE2_clEvEUlN3c108BFloat16EE_EEvS5_RKT_EUlibE_EEviT1_
                                        ; -- End function
	.set _ZN2at6native32elementwise_kernel_manual_unrollILi128ELi4EZNS0_15gpu_kernel_implIZZZNS0_12_GLOBAL__N_120isposinf_kernel_implERNS_18TensorIteratorBaseEENKUlvE_clEvENKUlvE2_clEvEUlN3c108BFloat16EE_EEvS5_RKT_EUlibE_EEviT1_.num_vgpr, 14
	.set _ZN2at6native32elementwise_kernel_manual_unrollILi128ELi4EZNS0_15gpu_kernel_implIZZZNS0_12_GLOBAL__N_120isposinf_kernel_implERNS_18TensorIteratorBaseEENKUlvE_clEvENKUlvE2_clEvEUlN3c108BFloat16EE_EEvS5_RKT_EUlibE_EEviT1_.num_agpr, 0
	.set _ZN2at6native32elementwise_kernel_manual_unrollILi128ELi4EZNS0_15gpu_kernel_implIZZZNS0_12_GLOBAL__N_120isposinf_kernel_implERNS_18TensorIteratorBaseEENKUlvE_clEvENKUlvE2_clEvEUlN3c108BFloat16EE_EEvS5_RKT_EUlibE_EEviT1_.numbered_sgpr, 27
	.set _ZN2at6native32elementwise_kernel_manual_unrollILi128ELi4EZNS0_15gpu_kernel_implIZZZNS0_12_GLOBAL__N_120isposinf_kernel_implERNS_18TensorIteratorBaseEENKUlvE_clEvENKUlvE2_clEvEUlN3c108BFloat16EE_EEvS5_RKT_EUlibE_EEviT1_.num_named_barrier, 0
	.set _ZN2at6native32elementwise_kernel_manual_unrollILi128ELi4EZNS0_15gpu_kernel_implIZZZNS0_12_GLOBAL__N_120isposinf_kernel_implERNS_18TensorIteratorBaseEENKUlvE_clEvENKUlvE2_clEvEUlN3c108BFloat16EE_EEvS5_RKT_EUlibE_EEviT1_.private_seg_size, 0
	.set _ZN2at6native32elementwise_kernel_manual_unrollILi128ELi4EZNS0_15gpu_kernel_implIZZZNS0_12_GLOBAL__N_120isposinf_kernel_implERNS_18TensorIteratorBaseEENKUlvE_clEvENKUlvE2_clEvEUlN3c108BFloat16EE_EEvS5_RKT_EUlibE_EEviT1_.uses_vcc, 1
	.set _ZN2at6native32elementwise_kernel_manual_unrollILi128ELi4EZNS0_15gpu_kernel_implIZZZNS0_12_GLOBAL__N_120isposinf_kernel_implERNS_18TensorIteratorBaseEENKUlvE_clEvENKUlvE2_clEvEUlN3c108BFloat16EE_EEvS5_RKT_EUlibE_EEviT1_.uses_flat_scratch, 0
	.set _ZN2at6native32elementwise_kernel_manual_unrollILi128ELi4EZNS0_15gpu_kernel_implIZZZNS0_12_GLOBAL__N_120isposinf_kernel_implERNS_18TensorIteratorBaseEENKUlvE_clEvENKUlvE2_clEvEUlN3c108BFloat16EE_EEvS5_RKT_EUlibE_EEviT1_.has_dyn_sized_stack, 0
	.set _ZN2at6native32elementwise_kernel_manual_unrollILi128ELi4EZNS0_15gpu_kernel_implIZZZNS0_12_GLOBAL__N_120isposinf_kernel_implERNS_18TensorIteratorBaseEENKUlvE_clEvENKUlvE2_clEvEUlN3c108BFloat16EE_EEvS5_RKT_EUlibE_EEviT1_.has_recursion, 0
	.set _ZN2at6native32elementwise_kernel_manual_unrollILi128ELi4EZNS0_15gpu_kernel_implIZZZNS0_12_GLOBAL__N_120isposinf_kernel_implERNS_18TensorIteratorBaseEENKUlvE_clEvENKUlvE2_clEvEUlN3c108BFloat16EE_EEvS5_RKT_EUlibE_EEviT1_.has_indirect_call, 0
	.section	.AMDGPU.csdata,"",@progbits
; Kernel info:
; codeLenInByte = 41776
; TotalNumSgprs: 29
; NumVgprs: 14
; ScratchSize: 0
; MemoryBound: 0
; FloatMode: 240
; IeeeMode: 1
; LDSByteSize: 0 bytes/workgroup (compile time only)
; SGPRBlocks: 0
; VGPRBlocks: 0
; NumSGPRsForWavesPerEU: 29
; NumVGPRsForWavesPerEU: 14
; NamedBarCnt: 0
; Occupancy: 16
; WaveLimiterHint : 0
; COMPUTE_PGM_RSRC2:SCRATCH_EN: 0
; COMPUTE_PGM_RSRC2:USER_SGPR: 2
; COMPUTE_PGM_RSRC2:TRAP_HANDLER: 0
; COMPUTE_PGM_RSRC2:TGID_X_EN: 1
; COMPUTE_PGM_RSRC2:TGID_Y_EN: 0
; COMPUTE_PGM_RSRC2:TGID_Z_EN: 0
; COMPUTE_PGM_RSRC2:TIDIG_COMP_CNT: 0
	.section	.text._ZN2at6native32elementwise_kernel_manual_unrollILi128ELi4EZNS0_15gpu_kernel_implIZZZNS0_12_GLOBAL__N_120isposinf_kernel_implERNS_18TensorIteratorBaseEENKUlvE_clEvENKUlvE2_clEvEUlN3c108BFloat16EE_EEvS5_RKT_EUlibE0_EEviT1_,"axG",@progbits,_ZN2at6native32elementwise_kernel_manual_unrollILi128ELi4EZNS0_15gpu_kernel_implIZZZNS0_12_GLOBAL__N_120isposinf_kernel_implERNS_18TensorIteratorBaseEENKUlvE_clEvENKUlvE2_clEvEUlN3c108BFloat16EE_EEvS5_RKT_EUlibE0_EEviT1_,comdat
	.globl	_ZN2at6native32elementwise_kernel_manual_unrollILi128ELi4EZNS0_15gpu_kernel_implIZZZNS0_12_GLOBAL__N_120isposinf_kernel_implERNS_18TensorIteratorBaseEENKUlvE_clEvENKUlvE2_clEvEUlN3c108BFloat16EE_EEvS5_RKT_EUlibE0_EEviT1_ ; -- Begin function _ZN2at6native32elementwise_kernel_manual_unrollILi128ELi4EZNS0_15gpu_kernel_implIZZZNS0_12_GLOBAL__N_120isposinf_kernel_implERNS_18TensorIteratorBaseEENKUlvE_clEvENKUlvE2_clEvEUlN3c108BFloat16EE_EEvS5_RKT_EUlibE0_EEviT1_
	.p2align	8
	.type	_ZN2at6native32elementwise_kernel_manual_unrollILi128ELi4EZNS0_15gpu_kernel_implIZZZNS0_12_GLOBAL__N_120isposinf_kernel_implERNS_18TensorIteratorBaseEENKUlvE_clEvENKUlvE2_clEvEUlN3c108BFloat16EE_EEvS5_RKT_EUlibE0_EEviT1_,@function
_ZN2at6native32elementwise_kernel_manual_unrollILi128ELi4EZNS0_15gpu_kernel_implIZZZNS0_12_GLOBAL__N_120isposinf_kernel_implERNS_18TensorIteratorBaseEENKUlvE_clEvENKUlvE2_clEvEUlN3c108BFloat16EE_EEvS5_RKT_EUlibE0_EEviT1_: ; @_ZN2at6native32elementwise_kernel_manual_unrollILi128ELi4EZNS0_15gpu_kernel_implIZZZNS0_12_GLOBAL__N_120isposinf_kernel_implERNS_18TensorIteratorBaseEENKUlvE_clEvENKUlvE2_clEvEUlN3c108BFloat16EE_EEvS5_RKT_EUlibE0_EEviT1_
; %bb.0:
	s_clause 0x1
	s_load_b32 s28, s[0:1], 0x8
	s_load_b32 s36, s[0:1], 0x0
	s_bfe_u32 s2, ttmp6, 0x4000c
	s_and_b32 s3, ttmp6, 15
	s_add_co_i32 s2, s2, 1
	s_getreg_b32 s4, hwreg(HW_REG_IB_STS2, 6, 4)
	s_mul_i32 s2, ttmp9, s2
	s_mov_b32 s30, 0
	s_add_co_i32 s3, s3, s2
	s_cmp_eq_u32 s4, 0
	s_mov_b32 s24, -1
	s_cselect_b32 s2, ttmp9, s3
	s_mov_b32 s8, 0
	v_lshl_or_b32 v0, s2, 9, v0
	s_add_nc_u64 s[2:3], s[0:1], 8
	s_wait_xcnt 0x0
	s_mov_b32 s0, exec_lo
	s_delay_alu instid0(VALU_DEP_1) | instskip(SKIP_2) | instid1(SALU_CYCLE_1)
	v_or_b32_e32 v9, 0x180, v0
	s_wait_kmcnt 0x0
	s_add_co_i32 s29, s28, -1
	s_cmp_gt_u32 s29, 1
	s_cselect_b32 s31, -1, 0
	v_cmpx_le_i32_e64 s36, v9
	s_xor_b32 s33, exec_lo, s0
	s_cbranch_execz .LBB63_1096
; %bb.1:
	v_mov_b32_e32 v1, 0
	s_clause 0x3
	s_load_b128 s[12:15], s[2:3], 0x4
	s_load_b64 s[18:19], s[2:3], 0x14
	s_load_b128 s[8:11], s[2:3], 0xc4
	s_load_b128 s[4:7], s[2:3], 0x148
	s_cmp_lg_u32 s28, 0
	s_mov_b32 s17, 0
	s_cselect_b32 s38, -1, 0
	global_load_u16 v1, v1, s[2:3] offset:345
	s_min_u32 s37, s29, 15
	s_cmp_gt_u32 s28, 1
	s_add_nc_u64 s[22:23], s[2:3], 0xc4
	s_cselect_b32 s35, -1, 0
	s_mov_b32 s21, s17
	s_mov_b32 s39, s17
	s_mov_b32 s40, exec_lo
	s_wait_kmcnt 0x0
	s_mov_b32 s16, s13
	s_mov_b32 s20, s18
	;; [unrolled: 1-line block ×3, first 2 shown]
	s_wait_loadcnt 0x0
	v_readfirstlane_b32 s34, v1
	s_and_b32 s0, 0xffff, s34
	s_delay_alu instid0(SALU_CYCLE_1)
	s_lshr_b32 s13, s0, 8
	v_cmpx_gt_i32_e64 s36, v0
	s_cbranch_execz .LBB63_267
; %bb.2:
	s_and_not1_b32 vcc_lo, exec_lo, s31
	s_cbranch_vccnz .LBB63_8
; %bb.3:
	s_and_not1_b32 vcc_lo, exec_lo, s38
	s_cbranch_vccnz .LBB63_9
; %bb.4:
	s_add_co_i32 s1, s37, 1
	s_cmp_eq_u32 s29, 2
	s_cbranch_scc1 .LBB63_10
; %bb.5:
	v_dual_mov_b32 v2, 0 :: v_dual_mov_b32 v4, 0
	v_mov_b32_e32 v1, v0
	s_and_b32 s0, s1, 28
	s_mov_b32 s18, 0
	s_mov_b64 s[24:25], s[2:3]
	s_mov_b64 s[26:27], s[22:23]
.LBB63_6:                               ; =>This Inner Loop Header: Depth=1
	s_clause 0x1
	s_load_b256 s[44:51], s[24:25], 0x4
	s_load_b128 s[60:63], s[24:25], 0x24
	s_load_b256 s[52:59], s[26:27], 0x0
	s_add_co_i32 s18, s18, 4
	s_wait_xcnt 0x0
	s_add_nc_u64 s[24:25], s[24:25], 48
	s_cmp_lg_u32 s0, s18
	s_add_nc_u64 s[26:27], s[26:27], 32
	s_wait_kmcnt 0x0
	v_mul_hi_u32 v3, s45, v1
	s_delay_alu instid0(VALU_DEP_1) | instskip(NEXT) | instid1(VALU_DEP_1)
	v_add_nc_u32_e32 v3, v1, v3
	v_lshrrev_b32_e32 v3, s46, v3
	s_delay_alu instid0(VALU_DEP_1) | instskip(NEXT) | instid1(VALU_DEP_1)
	v_mul_hi_u32 v5, s48, v3
	v_add_nc_u32_e32 v5, v3, v5
	s_delay_alu instid0(VALU_DEP_1) | instskip(NEXT) | instid1(VALU_DEP_1)
	v_lshrrev_b32_e32 v5, s49, v5
	v_mul_hi_u32 v6, s51, v5
	s_delay_alu instid0(VALU_DEP_1) | instskip(SKIP_1) | instid1(VALU_DEP_1)
	v_add_nc_u32_e32 v6, v5, v6
	v_mul_lo_u32 v7, v3, s44
	v_sub_nc_u32_e32 v1, v1, v7
	v_mul_lo_u32 v7, v5, s47
	s_delay_alu instid0(VALU_DEP_4) | instskip(NEXT) | instid1(VALU_DEP_3)
	v_lshrrev_b32_e32 v6, s60, v6
	v_mad_u32 v4, v1, s53, v4
	v_mad_u32 v1, v1, s52, v2
	s_delay_alu instid0(VALU_DEP_4) | instskip(NEXT) | instid1(VALU_DEP_4)
	v_sub_nc_u32_e32 v2, v3, v7
	v_mul_hi_u32 v8, s62, v6
	v_mul_lo_u32 v3, v6, s50
	s_delay_alu instid0(VALU_DEP_3) | instskip(SKIP_1) | instid1(VALU_DEP_3)
	v_mad_u32 v4, v2, s55, v4
	v_mad_u32 v2, v2, s54, v1
	v_dual_add_nc_u32 v7, v6, v8 :: v_dual_sub_nc_u32 v3, v5, v3
	s_delay_alu instid0(VALU_DEP_1) | instskip(NEXT) | instid1(VALU_DEP_2)
	v_lshrrev_b32_e32 v1, s63, v7
	v_mad_u32 v4, v3, s57, v4
	s_delay_alu instid0(VALU_DEP_4) | instskip(NEXT) | instid1(VALU_DEP_3)
	v_mad_u32 v2, v3, s56, v2
	v_mul_lo_u32 v5, v1, s61
	s_delay_alu instid0(VALU_DEP_1) | instskip(NEXT) | instid1(VALU_DEP_1)
	v_sub_nc_u32_e32 v3, v6, v5
	v_mad_u32 v4, v3, s59, v4
	s_delay_alu instid0(VALU_DEP_4)
	v_mad_u32 v2, v3, s58, v2
	s_cbranch_scc1 .LBB63_6
; %bb.7:
	s_delay_alu instid0(VALU_DEP_2)
	v_mov_b32_e32 v3, v4
	s_and_b32 s18, s1, 3
	s_mov_b32 s1, 0
	s_cmp_eq_u32 s18, 0
	s_cbranch_scc0 .LBB63_11
	s_branch .LBB63_14
.LBB63_8:
                                        ; implicit-def: $vgpr4
                                        ; implicit-def: $vgpr2
	s_branch .LBB63_15
.LBB63_9:
	v_dual_mov_b32 v4, 0 :: v_dual_mov_b32 v2, 0
	s_branch .LBB63_14
.LBB63_10:
	v_mov_b64_e32 v[2:3], 0
	v_mov_b32_e32 v1, v0
	s_mov_b32 s0, 0
                                        ; implicit-def: $vgpr4
	s_and_b32 s18, s1, 3
	s_mov_b32 s1, 0
	s_cmp_eq_u32 s18, 0
	s_cbranch_scc1 .LBB63_14
.LBB63_11:
	s_lshl_b32 s24, s0, 3
	s_mov_b32 s25, s1
	s_mul_u64 s[26:27], s[0:1], 12
	s_add_nc_u64 s[24:25], s[2:3], s[24:25]
	s_delay_alu instid0(SALU_CYCLE_1)
	s_add_nc_u64 s[0:1], s[24:25], 0xc4
	s_add_nc_u64 s[24:25], s[2:3], s[26:27]
.LBB63_12:                              ; =>This Inner Loop Header: Depth=1
	s_load_b96 s[44:46], s[24:25], 0x4
	s_load_b64 s[26:27], s[0:1], 0x0
	s_add_co_i32 s18, s18, -1
	s_wait_xcnt 0x0
	s_add_nc_u64 s[24:25], s[24:25], 12
	s_cmp_lg_u32 s18, 0
	s_add_nc_u64 s[0:1], s[0:1], 8
	s_wait_kmcnt 0x0
	v_mul_hi_u32 v4, s45, v1
	s_delay_alu instid0(VALU_DEP_1) | instskip(NEXT) | instid1(VALU_DEP_1)
	v_add_nc_u32_e32 v4, v1, v4
	v_lshrrev_b32_e32 v4, s46, v4
	s_delay_alu instid0(VALU_DEP_1) | instskip(NEXT) | instid1(VALU_DEP_1)
	v_mul_lo_u32 v5, v4, s44
	v_sub_nc_u32_e32 v1, v1, v5
	s_delay_alu instid0(VALU_DEP_1)
	v_mad_u32 v3, v1, s27, v3
	v_mad_u32 v2, v1, s26, v2
	v_mov_b32_e32 v1, v4
	s_cbranch_scc1 .LBB63_12
; %bb.13:
	s_delay_alu instid0(VALU_DEP_3)
	v_mov_b32_e32 v4, v3
.LBB63_14:
	s_cbranch_execnz .LBB63_17
.LBB63_15:
	v_mov_b32_e32 v1, 0
	s_and_not1_b32 vcc_lo, exec_lo, s35
	s_delay_alu instid0(VALU_DEP_1) | instskip(NEXT) | instid1(VALU_DEP_1)
	v_mul_u64_e32 v[2:3], s[16:17], v[0:1]
	v_add_nc_u32_e32 v2, v0, v3
	s_delay_alu instid0(VALU_DEP_1) | instskip(NEXT) | instid1(VALU_DEP_1)
	v_lshrrev_b32_e32 v6, s14, v2
	v_mul_lo_u32 v2, v6, s12
	s_delay_alu instid0(VALU_DEP_1) | instskip(NEXT) | instid1(VALU_DEP_1)
	v_sub_nc_u32_e32 v2, v0, v2
	v_mul_lo_u32 v4, v2, s9
	v_mul_lo_u32 v2, v2, s8
	s_cbranch_vccnz .LBB63_17
; %bb.16:
	v_mov_b32_e32 v7, v1
	s_delay_alu instid0(VALU_DEP_1) | instskip(NEXT) | instid1(VALU_DEP_1)
	v_mul_u64_e32 v[8:9], s[20:21], v[6:7]
	v_add_nc_u32_e32 v1, v6, v9
	s_delay_alu instid0(VALU_DEP_1) | instskip(NEXT) | instid1(VALU_DEP_1)
	v_lshrrev_b32_e32 v1, s19, v1
	v_mul_lo_u32 v1, v1, s15
	s_delay_alu instid0(VALU_DEP_1) | instskip(NEXT) | instid1(VALU_DEP_1)
	v_sub_nc_u32_e32 v1, v6, v1
	v_mad_u32 v2, v1, s10, v2
	v_mad_u32 v4, v1, s11, v4
.LBB63_17:
	v_mov_b32_e32 v5, 0
	s_and_b32 s0, 0xffff, s13
	s_delay_alu instid0(SALU_CYCLE_1) | instskip(NEXT) | instid1(VALU_DEP_1)
	s_cmp_lt_i32 s0, 11
	v_add_nc_u64_e32 v[4:5], s[6:7], v[4:5]
	s_cbranch_scc1 .LBB63_24
; %bb.18:
	s_cmp_gt_i32 s0, 25
	s_cbranch_scc0 .LBB63_33
; %bb.19:
	s_cmp_gt_i32 s0, 28
	s_cbranch_scc0 .LBB63_36
	;; [unrolled: 3-line block ×4, first 2 shown]
; %bb.22:
	s_cmp_eq_u32 s0, 46
	s_mov_b32 s18, 0
	s_cbranch_scc0 .LBB63_42
; %bb.23:
	global_load_b32 v1, v[4:5], off
	s_mov_b32 s1, -1
	s_mov_b32 s24, 0
	s_branch .LBB63_44
.LBB63_24:
	s_mov_b32 s24, 0
	s_mov_b32 s1, 0
                                        ; implicit-def: $vgpr1
	s_cbranch_execnz .LBB63_217
.LBB63_25:
	s_and_not1_b32 vcc_lo, exec_lo, s1
	s_cbranch_vccnz .LBB63_264
.LBB63_26:
	s_wait_loadcnt 0x0
	s_delay_alu instid0(VALU_DEP_1) | instskip(SKIP_1) | instid1(SALU_CYCLE_1)
	v_dual_mov_b32 v3, 0 :: v_dual_lshlrev_b32 v1, 16, v1
	s_and_b32 s18, s34, 0xff
	s_cmp_lt_i32 s18, 11
	s_delay_alu instid0(VALU_DEP_1) | instskip(NEXT) | instid1(VALU_DEP_2)
	v_add_nc_u64_e32 v[2:3], s[4:5], v[2:3]
	v_cmp_eq_f32_e64 s0, 0x7f800000, v1
	s_cbranch_scc1 .LBB63_34
; %bb.27:
	s_and_b32 s25, 0xffff, s18
	s_delay_alu instid0(SALU_CYCLE_1)
	s_cmp_gt_i32 s25, 25
	s_cbranch_scc0 .LBB63_37
; %bb.28:
	s_cmp_gt_i32 s25, 28
	s_cbranch_scc0 .LBB63_39
; %bb.29:
	;; [unrolled: 3-line block ×4, first 2 shown]
	s_mov_b32 s27, 0
	s_mov_b32 s1, -1
	s_cmp_eq_u32 s25, 46
	s_mov_b32 s26, 0
	s_cbranch_scc0 .LBB63_48
; %bb.32:
	v_cndmask_b32_e64 v1, 0, 1.0, s0
	s_mov_b32 s26, -1
	s_mov_b32 s1, 0
	s_delay_alu instid0(VALU_DEP_1) | instskip(NEXT) | instid1(VALU_DEP_1)
	v_bfe_u32 v4, v1, 16, 1
	v_add3_u32 v1, v1, v4, 0x7fff
	s_delay_alu instid0(VALU_DEP_1)
	v_lshrrev_b32_e32 v1, 16, v1
	global_store_b32 v[2:3], v1, off
	s_branch .LBB63_48
.LBB63_33:
	s_mov_b32 s24, 0
	s_mov_b32 s1, 0
                                        ; implicit-def: $vgpr1
	s_cbranch_execnz .LBB63_182
	s_branch .LBB63_216
.LBB63_34:
	s_mov_b32 s1, 0
	s_mov_b32 s26, 0
	s_cbranch_execnz .LBB63_117
.LBB63_35:
	s_and_not1_b32 vcc_lo, exec_lo, s26
	s_cbranch_vccz .LBB63_155
	s_branch .LBB63_265
.LBB63_36:
	s_mov_b32 s18, -1
	s_mov_b32 s24, 0
	s_mov_b32 s1, 0
                                        ; implicit-def: $vgpr1
	s_branch .LBB63_163
.LBB63_37:
	s_mov_b32 s27, -1
	s_mov_b32 s1, 0
	s_mov_b32 s26, 0
	s_branch .LBB63_75
.LBB63_38:
	s_mov_b32 s18, -1
	s_mov_b32 s24, 0
	s_mov_b32 s1, 0
                                        ; implicit-def: $vgpr1
	s_branch .LBB63_158
.LBB63_39:
	s_mov_b32 s27, -1
	s_mov_b32 s1, 0
	s_mov_b32 s26, 0
	s_branch .LBB63_58
.LBB63_40:
	s_mov_b32 s18, -1
	s_mov_b32 s24, 0
	s_branch .LBB63_43
.LBB63_41:
	s_mov_b32 s27, -1
	s_mov_b32 s1, 0
	s_mov_b32 s26, 0
	s_branch .LBB63_54
.LBB63_42:
	s_mov_b32 s24, -1
.LBB63_43:
	s_mov_b32 s1, 0
                                        ; implicit-def: $vgpr1
.LBB63_44:
	s_and_b32 vcc_lo, exec_lo, s18
	s_cbranch_vccz .LBB63_157
; %bb.45:
	s_cmp_eq_u32 s0, 44
	s_cbranch_scc0 .LBB63_156
; %bb.46:
	s_wait_loadcnt 0x0
	global_load_u8 v1, v[4:5], off
	s_mov_b32 s24, 0
	s_mov_b32 s1, -1
	s_wait_loadcnt 0x0
	v_lshlrev_b32_e32 v3, 23, v1
	v_cmp_ne_u32_e32 vcc_lo, 0xff, v1
	s_delay_alu instid0(VALU_DEP_2) | instskip(SKIP_1) | instid1(VALU_DEP_2)
	v_cndmask_b32_e32 v3, 0x7f800001, v3, vcc_lo
	v_cmp_ne_u32_e32 vcc_lo, 0, v1
	v_cndmask_b32_e32 v1, 0x400000, v3, vcc_lo
	s_delay_alu instid0(VALU_DEP_1) | instskip(SKIP_1) | instid1(VALU_DEP_2)
	v_add_nc_u32_e32 v3, 0x7fff, v1
	v_cmp_o_f32_e32 vcc_lo, v1, v1
	v_lshrrev_b32_e32 v3, 16, v3
	s_delay_alu instid0(VALU_DEP_1)
	v_cndmask_b32_e32 v1, 0x7fc0, v3, vcc_lo
	s_branch .LBB63_157
.LBB63_47:
	s_mov_b32 s27, -1
	s_mov_b32 s1, 0
	s_mov_b32 s26, 0
.LBB63_48:
	s_and_b32 vcc_lo, exec_lo, s27
	s_cbranch_vccz .LBB63_53
; %bb.49:
	s_cmp_eq_u32 s25, 44
	s_mov_b32 s1, -1
	s_cbranch_scc0 .LBB63_53
; %bb.50:
	v_cndmask_b32_e64 v5, 0, 1.0, s0
	s_mov_b32 s26, exec_lo
	s_wait_xcnt 0x0
	s_delay_alu instid0(VALU_DEP_1) | instskip(NEXT) | instid1(VALU_DEP_1)
	v_dual_mov_b32 v4, 0xff :: v_dual_lshrrev_b32 v1, 23, v5
	v_cmpx_ne_u32_e32 0xff, v1
; %bb.51:
	v_and_b32_e32 v4, 0x400000, v5
	v_and_or_b32 v5, 0x3fffff, v5, v1
	s_delay_alu instid0(VALU_DEP_2) | instskip(NEXT) | instid1(VALU_DEP_2)
	v_cmp_ne_u32_e32 vcc_lo, 0, v4
	v_cmp_ne_u32_e64 s1, 0, v5
	s_and_b32 s1, vcc_lo, s1
	s_delay_alu instid0(SALU_CYCLE_1) | instskip(NEXT) | instid1(VALU_DEP_1)
	v_cndmask_b32_e64 v4, 0, 1, s1
	v_add_nc_u32_e32 v4, v1, v4
; %bb.52:
	s_or_b32 exec_lo, exec_lo, s26
	s_mov_b32 s26, -1
	s_mov_b32 s1, 0
	global_store_b8 v[2:3], v4, off
.LBB63_53:
	s_mov_b32 s27, 0
.LBB63_54:
	s_delay_alu instid0(SALU_CYCLE_1)
	s_and_b32 vcc_lo, exec_lo, s27
	s_cbranch_vccz .LBB63_57
; %bb.55:
	s_cmp_eq_u32 s25, 29
	s_mov_b32 s1, -1
	s_cbranch_scc0 .LBB63_57
; %bb.56:
	s_mov_b32 s1, 0
	s_wait_xcnt 0x0
	v_cndmask_b32_e64 v4, 0, 1, s0
	v_mov_b32_e32 v5, s1
	s_mov_b32 s26, -1
	s_mov_b32 s27, 0
	global_store_b64 v[2:3], v[4:5], off
	s_branch .LBB63_58
.LBB63_57:
	s_mov_b32 s27, 0
.LBB63_58:
	s_delay_alu instid0(SALU_CYCLE_1)
	s_and_b32 vcc_lo, exec_lo, s27
	s_cbranch_vccz .LBB63_74
; %bb.59:
	s_cmp_lt_i32 s25, 27
	s_mov_b32 s26, -1
	s_cbranch_scc1 .LBB63_65
; %bb.60:
	s_cmp_gt_i32 s25, 27
	s_cbranch_scc0 .LBB63_62
; %bb.61:
	s_wait_xcnt 0x0
	v_cndmask_b32_e64 v1, 0, 1, s0
	s_mov_b32 s26, 0
	global_store_b32 v[2:3], v1, off
.LBB63_62:
	s_and_not1_b32 vcc_lo, exec_lo, s26
	s_cbranch_vccnz .LBB63_64
; %bb.63:
	s_wait_xcnt 0x0
	v_cndmask_b32_e64 v1, 0, 1, s0
	global_store_b16 v[2:3], v1, off
.LBB63_64:
	s_mov_b32 s26, 0
.LBB63_65:
	s_delay_alu instid0(SALU_CYCLE_1)
	s_and_not1_b32 vcc_lo, exec_lo, s26
	s_cbranch_vccnz .LBB63_73
; %bb.66:
	s_wait_xcnt 0x0
	v_cndmask_b32_e64 v4, 0, 1.0, s0
	v_mov_b32_e32 v5, 0x80
	s_mov_b32 s26, exec_lo
	s_delay_alu instid0(VALU_DEP_2)
	v_cmpx_gt_u32_e32 0x43800000, v4
	s_cbranch_execz .LBB63_72
; %bb.67:
	s_mov_b32 s27, 0
	s_mov_b32 s39, exec_lo
                                        ; implicit-def: $vgpr1
	v_cmpx_lt_u32_e32 0x3bffffff, v4
	s_xor_b32 s39, exec_lo, s39
	s_cbranch_execz .LBB63_310
; %bb.68:
	v_bfe_u32 v1, v4, 20, 1
	s_mov_b32 s27, exec_lo
	s_delay_alu instid0(VALU_DEP_1) | instskip(NEXT) | instid1(VALU_DEP_1)
	v_add3_u32 v1, v4, v1, 0x487ffff
                                        ; implicit-def: $vgpr4
	v_lshrrev_b32_e32 v1, 20, v1
	s_and_not1_saveexec_b32 s39, s39
	s_cbranch_execnz .LBB63_311
.LBB63_69:
	s_or_b32 exec_lo, exec_lo, s39
	v_mov_b32_e32 v5, 0
	s_and_saveexec_b32 s39, s27
.LBB63_70:
	v_mov_b32_e32 v5, v1
.LBB63_71:
	s_or_b32 exec_lo, exec_lo, s39
.LBB63_72:
	s_delay_alu instid0(SALU_CYCLE_1)
	s_or_b32 exec_lo, exec_lo, s26
	global_store_b8 v[2:3], v5, off
.LBB63_73:
	s_mov_b32 s26, -1
.LBB63_74:
	s_mov_b32 s27, 0
.LBB63_75:
	s_delay_alu instid0(SALU_CYCLE_1)
	s_and_b32 vcc_lo, exec_lo, s27
	s_cbranch_vccz .LBB63_116
; %bb.76:
	s_cmp_gt_i32 s25, 22
	s_mov_b32 s27, -1
	s_cbranch_scc0 .LBB63_108
; %bb.77:
	s_cmp_lt_i32 s25, 24
	s_mov_b32 s26, -1
	s_cbranch_scc1 .LBB63_97
; %bb.78:
	s_cmp_gt_i32 s25, 24
	s_cbranch_scc0 .LBB63_86
; %bb.79:
	s_wait_xcnt 0x0
	v_cndmask_b32_e64 v4, 0, 1.0, s0
	v_mov_b32_e32 v5, 0x80
	s_mov_b32 s26, exec_lo
	s_delay_alu instid0(VALU_DEP_2)
	v_cmpx_gt_u32_e32 0x47800000, v4
	s_cbranch_execz .LBB63_85
; %bb.80:
	s_mov_b32 s27, 0
	s_mov_b32 s39, exec_lo
                                        ; implicit-def: $vgpr1
	v_cmpx_lt_u32_e32 0x37ffffff, v4
	s_xor_b32 s39, exec_lo, s39
	s_cbranch_execz .LBB63_314
; %bb.81:
	v_bfe_u32 v1, v4, 21, 1
	s_mov_b32 s27, exec_lo
	s_delay_alu instid0(VALU_DEP_1) | instskip(NEXT) | instid1(VALU_DEP_1)
	v_add3_u32 v1, v4, v1, 0x88fffff
                                        ; implicit-def: $vgpr4
	v_lshrrev_b32_e32 v1, 21, v1
	s_and_not1_saveexec_b32 s39, s39
	s_cbranch_execnz .LBB63_315
.LBB63_82:
	s_or_b32 exec_lo, exec_lo, s39
	v_mov_b32_e32 v5, 0
	s_and_saveexec_b32 s39, s27
.LBB63_83:
	v_mov_b32_e32 v5, v1
.LBB63_84:
	s_or_b32 exec_lo, exec_lo, s39
.LBB63_85:
	s_delay_alu instid0(SALU_CYCLE_1)
	s_or_b32 exec_lo, exec_lo, s26
	s_mov_b32 s26, 0
	global_store_b8 v[2:3], v5, off
.LBB63_86:
	s_and_b32 vcc_lo, exec_lo, s26
	s_cbranch_vccz .LBB63_96
; %bb.87:
	s_wait_xcnt 0x0
	v_cndmask_b32_e64 v4, 0, 1.0, s0
	s_mov_b32 s26, exec_lo
                                        ; implicit-def: $vgpr1
	s_delay_alu instid0(VALU_DEP_1)
	v_cmpx_gt_u32_e32 0x43f00000, v4
	s_xor_b32 s26, exec_lo, s26
	s_cbranch_execz .LBB63_93
; %bb.88:
	s_mov_b32 s27, exec_lo
                                        ; implicit-def: $vgpr1
	v_cmpx_lt_u32_e32 0x3c7fffff, v4
	s_xor_b32 s27, exec_lo, s27
; %bb.89:
	v_bfe_u32 v1, v4, 20, 1
	s_delay_alu instid0(VALU_DEP_1) | instskip(NEXT) | instid1(VALU_DEP_1)
	v_add3_u32 v1, v4, v1, 0x407ffff
	v_and_b32_e32 v4, 0xff00000, v1
	v_lshrrev_b32_e32 v1, 20, v1
	s_delay_alu instid0(VALU_DEP_2) | instskip(NEXT) | instid1(VALU_DEP_2)
	v_cmp_ne_u32_e32 vcc_lo, 0x7f00000, v4
                                        ; implicit-def: $vgpr4
	v_cndmask_b32_e32 v1, 0x7e, v1, vcc_lo
; %bb.90:
	s_and_not1_saveexec_b32 s27, s27
; %bb.91:
	v_add_f32_e32 v1, 0x46800000, v4
; %bb.92:
	s_or_b32 exec_lo, exec_lo, s27
                                        ; implicit-def: $vgpr4
.LBB63_93:
	s_and_not1_saveexec_b32 s26, s26
; %bb.94:
	v_mov_b32_e32 v1, 0x7f
	v_cmp_lt_u32_e32 vcc_lo, 0x7f800000, v4
	s_delay_alu instid0(VALU_DEP_2)
	v_cndmask_b32_e32 v1, 0x7e, v1, vcc_lo
; %bb.95:
	s_or_b32 exec_lo, exec_lo, s26
	global_store_b8 v[2:3], v1, off
.LBB63_96:
	s_mov_b32 s26, 0
.LBB63_97:
	s_delay_alu instid0(SALU_CYCLE_1)
	s_and_not1_b32 vcc_lo, exec_lo, s26
	s_cbranch_vccnz .LBB63_107
; %bb.98:
	s_wait_xcnt 0x0
	v_cndmask_b32_e64 v4, 0, 1.0, s0
	s_mov_b32 s26, exec_lo
                                        ; implicit-def: $vgpr1
	s_delay_alu instid0(VALU_DEP_1)
	v_cmpx_gt_u32_e32 0x47800000, v4
	s_xor_b32 s26, exec_lo, s26
	s_cbranch_execz .LBB63_104
; %bb.99:
	s_mov_b32 s27, exec_lo
                                        ; implicit-def: $vgpr1
	v_cmpx_lt_u32_e32 0x387fffff, v4
	s_xor_b32 s27, exec_lo, s27
; %bb.100:
	v_bfe_u32 v1, v4, 21, 1
	s_delay_alu instid0(VALU_DEP_1) | instskip(NEXT) | instid1(VALU_DEP_1)
	v_add3_u32 v1, v4, v1, 0x80fffff
                                        ; implicit-def: $vgpr4
	v_lshrrev_b32_e32 v1, 21, v1
; %bb.101:
	s_and_not1_saveexec_b32 s27, s27
; %bb.102:
	v_add_f32_e32 v1, 0x43000000, v4
; %bb.103:
	s_or_b32 exec_lo, exec_lo, s27
                                        ; implicit-def: $vgpr4
.LBB63_104:
	s_and_not1_saveexec_b32 s26, s26
; %bb.105:
	v_mov_b32_e32 v1, 0x7f
	v_cmp_lt_u32_e32 vcc_lo, 0x7f800000, v4
	s_delay_alu instid0(VALU_DEP_2)
	v_cndmask_b32_e32 v1, 0x7c, v1, vcc_lo
; %bb.106:
	s_or_b32 exec_lo, exec_lo, s26
	global_store_b8 v[2:3], v1, off
.LBB63_107:
	s_mov_b32 s27, 0
	s_mov_b32 s26, -1
.LBB63_108:
	s_and_not1_b32 vcc_lo, exec_lo, s27
	s_cbranch_vccnz .LBB63_116
; %bb.109:
	s_cmp_gt_i32 s25, 14
	s_mov_b32 s27, -1
	s_cbranch_scc0 .LBB63_113
; %bb.110:
	s_cmp_eq_u32 s25, 15
	s_mov_b32 s1, -1
	s_cbranch_scc0 .LBB63_112
; %bb.111:
	s_wait_xcnt 0x0
	v_cndmask_b32_e64 v1, 0, 1.0, s0
	s_mov_b32 s26, -1
	s_mov_b32 s1, 0
	s_delay_alu instid0(VALU_DEP_1) | instskip(NEXT) | instid1(VALU_DEP_1)
	v_bfe_u32 v4, v1, 16, 1
	v_add3_u32 v1, v1, v4, 0x7fff
	global_store_d16_hi_b16 v[2:3], v1, off
.LBB63_112:
	s_mov_b32 s27, 0
.LBB63_113:
	s_delay_alu instid0(SALU_CYCLE_1)
	s_and_b32 vcc_lo, exec_lo, s27
	s_cbranch_vccz .LBB63_116
; %bb.114:
	s_cmp_eq_u32 s25, 11
	s_mov_b32 s1, -1
	s_cbranch_scc0 .LBB63_116
; %bb.115:
	s_wait_xcnt 0x0
	v_cndmask_b32_e64 v1, 0, 1, s0
	s_mov_b32 s26, -1
	s_mov_b32 s1, 0
	global_store_b8 v[2:3], v1, off
.LBB63_116:
	s_branch .LBB63_35
.LBB63_117:
	s_and_b32 s18, 0xffff, s18
	s_mov_b32 s25, -1
	s_cmp_lt_i32 s18, 5
	s_cbranch_scc1 .LBB63_138
; %bb.118:
	s_cmp_lt_i32 s18, 8
	s_cbranch_scc1 .LBB63_128
; %bb.119:
	;; [unrolled: 3-line block ×3, first 2 shown]
	s_cmp_gt_i32 s18, 9
	s_cbranch_scc0 .LBB63_122
; %bb.121:
	s_wait_xcnt 0x0
	v_cndmask_b32_e64 v1, 0, 1, s0
	v_mov_b32_e32 v6, 0
	s_mov_b32 s25, 0
	s_delay_alu instid0(VALU_DEP_2) | instskip(NEXT) | instid1(VALU_DEP_2)
	v_cvt_f64_u32_e32 v[4:5], v1
	v_mov_b32_e32 v7, v6
	global_store_b128 v[2:3], v[4:7], off
.LBB63_122:
	s_and_not1_b32 vcc_lo, exec_lo, s25
	s_cbranch_vccnz .LBB63_124
; %bb.123:
	s_wait_xcnt 0x0
	v_cndmask_b32_e64 v4, 0, 1.0, s0
	v_mov_b32_e32 v5, 0
	global_store_b64 v[2:3], v[4:5], off
.LBB63_124:
	s_mov_b32 s25, 0
.LBB63_125:
	s_delay_alu instid0(SALU_CYCLE_1)
	s_and_not1_b32 vcc_lo, exec_lo, s25
	s_cbranch_vccnz .LBB63_127
; %bb.126:
	s_wait_xcnt 0x0
	v_cndmask_b32_e64 v1, 0, 1.0, s0
	s_delay_alu instid0(VALU_DEP_1) | instskip(NEXT) | instid1(VALU_DEP_1)
	v_cvt_f16_f32_e32 v1, v1
	v_and_b32_e32 v1, 0xffff, v1
	global_store_b32 v[2:3], v1, off
.LBB63_127:
	s_mov_b32 s25, 0
.LBB63_128:
	s_delay_alu instid0(SALU_CYCLE_1)
	s_and_not1_b32 vcc_lo, exec_lo, s25
	s_cbranch_vccnz .LBB63_137
; %bb.129:
	s_cmp_lt_i32 s18, 6
	s_mov_b32 s25, -1
	s_cbranch_scc1 .LBB63_135
; %bb.130:
	s_cmp_gt_i32 s18, 6
	s_cbranch_scc0 .LBB63_132
; %bb.131:
	s_wait_xcnt 0x0
	v_cndmask_b32_e64 v1, 0, 1, s0
	s_mov_b32 s25, 0
	s_delay_alu instid0(VALU_DEP_1)
	v_cvt_f64_u32_e32 v[4:5], v1
	global_store_b64 v[2:3], v[4:5], off
.LBB63_132:
	s_and_not1_b32 vcc_lo, exec_lo, s25
	s_cbranch_vccnz .LBB63_134
; %bb.133:
	s_wait_xcnt 0x0
	v_cndmask_b32_e64 v1, 0, 1.0, s0
	global_store_b32 v[2:3], v1, off
.LBB63_134:
	s_mov_b32 s25, 0
.LBB63_135:
	s_delay_alu instid0(SALU_CYCLE_1)
	s_and_not1_b32 vcc_lo, exec_lo, s25
	s_cbranch_vccnz .LBB63_137
; %bb.136:
	s_wait_xcnt 0x0
	v_cndmask_b32_e64 v1, 0, 1.0, s0
	s_delay_alu instid0(VALU_DEP_1)
	v_cvt_f16_f32_e32 v1, v1
	global_store_b16 v[2:3], v1, off
.LBB63_137:
	s_mov_b32 s25, 0
.LBB63_138:
	s_delay_alu instid0(SALU_CYCLE_1)
	s_and_not1_b32 vcc_lo, exec_lo, s25
	s_cbranch_vccnz .LBB63_154
; %bb.139:
	s_cmp_lt_i32 s18, 2
	s_mov_b32 s25, -1
	s_cbranch_scc1 .LBB63_149
; %bb.140:
	s_cmp_lt_i32 s18, 3
	s_cbranch_scc1 .LBB63_146
; %bb.141:
	s_cmp_gt_i32 s18, 3
	s_cbranch_scc0 .LBB63_143
; %bb.142:
	s_mov_b32 s25, 0
	s_wait_xcnt 0x0
	v_cndmask_b32_e64 v4, 0, 1, s0
	v_mov_b32_e32 v5, s25
	global_store_b64 v[2:3], v[4:5], off
.LBB63_143:
	s_and_not1_b32 vcc_lo, exec_lo, s25
	s_cbranch_vccnz .LBB63_145
; %bb.144:
	s_wait_xcnt 0x0
	v_cndmask_b32_e64 v1, 0, 1, s0
	global_store_b32 v[2:3], v1, off
.LBB63_145:
	s_mov_b32 s25, 0
.LBB63_146:
	s_delay_alu instid0(SALU_CYCLE_1)
	s_and_not1_b32 vcc_lo, exec_lo, s25
	s_cbranch_vccnz .LBB63_148
; %bb.147:
	s_wait_xcnt 0x0
	v_cndmask_b32_e64 v1, 0, 1, s0
	global_store_b16 v[2:3], v1, off
.LBB63_148:
	s_mov_b32 s25, 0
.LBB63_149:
	s_delay_alu instid0(SALU_CYCLE_1)
	s_and_not1_b32 vcc_lo, exec_lo, s25
	s_cbranch_vccnz .LBB63_154
; %bb.150:
	s_cmp_gt_i32 s18, 0
	s_mov_b32 s18, -1
	s_cbranch_scc0 .LBB63_152
; %bb.151:
	s_wait_xcnt 0x0
	v_cndmask_b32_e64 v1, 0, 1, s0
	s_mov_b32 s18, 0
	global_store_b8 v[2:3], v1, off
.LBB63_152:
	s_and_not1_b32 vcc_lo, exec_lo, s18
	s_cbranch_vccnz .LBB63_154
; %bb.153:
	s_wait_xcnt 0x0
	v_cndmask_b32_e64 v1, 0, 1, s0
	global_store_b8 v[2:3], v1, off
.LBB63_154:
.LBB63_155:
	v_add_nc_u32_e32 v0, 0x80, v0
	s_mov_b32 s0, -1
	s_branch .LBB63_266
.LBB63_156:
	s_mov_b32 s24, -1
                                        ; implicit-def: $vgpr1
.LBB63_157:
	s_mov_b32 s18, 0
.LBB63_158:
	s_delay_alu instid0(SALU_CYCLE_1)
	s_and_b32 vcc_lo, exec_lo, s18
	s_cbranch_vccz .LBB63_162
; %bb.159:
	s_cmp_eq_u32 s0, 29
	s_cbranch_scc0 .LBB63_161
; %bb.160:
	global_load_b64 v[6:7], v[4:5], off
	s_mov_b32 s1, -1
	s_mov_b32 s24, 0
	s_mov_b32 s18, 0
	s_wait_loadcnt 0x0
	v_clz_i32_u32_e32 v1, v7
	s_delay_alu instid0(VALU_DEP_1) | instskip(NEXT) | instid1(VALU_DEP_1)
	v_min_u32_e32 v1, 32, v1
	v_lshlrev_b64_e32 v[6:7], v1, v[6:7]
	v_sub_nc_u32_e32 v1, 32, v1
	s_delay_alu instid0(VALU_DEP_2) | instskip(NEXT) | instid1(VALU_DEP_1)
	v_min_u32_e32 v3, 1, v6
	v_or_b32_e32 v3, v7, v3
	s_delay_alu instid0(VALU_DEP_1) | instskip(NEXT) | instid1(VALU_DEP_1)
	v_cvt_f32_u32_e32 v3, v3
	v_ldexp_f32 v1, v3, v1
	s_delay_alu instid0(VALU_DEP_1) | instskip(NEXT) | instid1(VALU_DEP_1)
	v_bfe_u32 v3, v1, 16, 1
	v_add3_u32 v1, v1, v3, 0x7fff
	s_delay_alu instid0(VALU_DEP_1)
	v_lshrrev_b32_e32 v1, 16, v1
	s_branch .LBB63_163
.LBB63_161:
	s_mov_b32 s24, -1
                                        ; implicit-def: $vgpr1
.LBB63_162:
	s_mov_b32 s18, 0
.LBB63_163:
	s_delay_alu instid0(SALU_CYCLE_1)
	s_and_b32 vcc_lo, exec_lo, s18
	s_cbranch_vccz .LBB63_181
; %bb.164:
	s_cmp_lt_i32 s0, 27
	s_cbranch_scc1 .LBB63_167
; %bb.165:
	s_cmp_gt_i32 s0, 27
	s_cbranch_scc0 .LBB63_168
; %bb.166:
	s_wait_loadcnt 0x0
	global_load_b32 v1, v[4:5], off
	s_mov_b32 s1, 0
	s_wait_loadcnt 0x0
	v_cvt_f32_u32_e32 v1, v1
	s_delay_alu instid0(VALU_DEP_1) | instskip(NEXT) | instid1(VALU_DEP_1)
	v_bfe_u32 v3, v1, 16, 1
	v_add3_u32 v1, v1, v3, 0x7fff
	s_delay_alu instid0(VALU_DEP_1)
	v_lshrrev_b32_e32 v1, 16, v1
	s_branch .LBB63_169
.LBB63_167:
	s_mov_b32 s1, -1
                                        ; implicit-def: $vgpr1
	s_branch .LBB63_172
.LBB63_168:
	s_mov_b32 s1, -1
                                        ; implicit-def: $vgpr1
.LBB63_169:
	s_delay_alu instid0(SALU_CYCLE_1)
	s_and_not1_b32 vcc_lo, exec_lo, s1
	s_cbranch_vccnz .LBB63_171
; %bb.170:
	s_wait_loadcnt 0x0
	global_load_u16 v1, v[4:5], off
	s_wait_loadcnt 0x0
	v_cvt_f32_u32_e32 v1, v1
	s_delay_alu instid0(VALU_DEP_1) | instskip(NEXT) | instid1(VALU_DEP_1)
	v_bfe_u32 v3, v1, 16, 1
	v_add3_u32 v1, v1, v3, 0x7fff
	s_delay_alu instid0(VALU_DEP_1)
	v_lshrrev_b32_e32 v1, 16, v1
.LBB63_171:
	s_mov_b32 s1, 0
.LBB63_172:
	s_delay_alu instid0(SALU_CYCLE_1)
	s_and_not1_b32 vcc_lo, exec_lo, s1
	s_cbranch_vccnz .LBB63_180
; %bb.173:
	s_wait_loadcnt 0x0
	global_load_u8 v1, v[4:5], off
	s_mov_b32 s1, 0
	s_mov_b32 s18, exec_lo
	s_wait_loadcnt 0x0
	v_cmpx_lt_i16_e32 0x7f, v1
	s_xor_b32 s18, exec_lo, s18
	s_cbranch_execz .LBB63_193
; %bb.174:
	s_mov_b32 s1, -1
	s_mov_b32 s25, exec_lo
	v_cmpx_eq_u16_e32 0x80, v1
; %bb.175:
	s_xor_b32 s1, exec_lo, -1
; %bb.176:
	s_or_b32 exec_lo, exec_lo, s25
	s_delay_alu instid0(SALU_CYCLE_1)
	s_and_b32 s1, s1, exec_lo
	s_or_saveexec_b32 s18, s18
	v_mov_b32_e32 v3, 0x7f800001
	s_xor_b32 exec_lo, exec_lo, s18
	s_cbranch_execnz .LBB63_194
.LBB63_177:
	s_or_b32 exec_lo, exec_lo, s18
	s_and_saveexec_b32 s18, s1
	s_cbranch_execz .LBB63_179
.LBB63_178:
	v_and_b32_e32 v3, 0xffff, v1
	s_delay_alu instid0(VALU_DEP_1) | instskip(SKIP_1) | instid1(VALU_DEP_2)
	v_dual_lshlrev_b32 v1, 24, v1 :: v_dual_bitop2_b32 v6, 7, v3 bitop3:0x40
	v_bfe_u32 v9, v3, 3, 4
	v_and_b32_e32 v1, 0x80000000, v1
	s_delay_alu instid0(VALU_DEP_3) | instskip(NEXT) | instid1(VALU_DEP_3)
	v_clz_i32_u32_e32 v7, v6
	v_cmp_eq_u32_e32 vcc_lo, 0, v9
	s_delay_alu instid0(VALU_DEP_2) | instskip(NEXT) | instid1(VALU_DEP_1)
	v_min_u32_e32 v7, 32, v7
	v_subrev_nc_u32_e32 v8, 28, v7
	v_sub_nc_u32_e32 v7, 29, v7
	s_delay_alu instid0(VALU_DEP_2) | instskip(NEXT) | instid1(VALU_DEP_2)
	v_lshlrev_b32_e32 v3, v8, v3
	v_cndmask_b32_e32 v7, v9, v7, vcc_lo
	s_delay_alu instid0(VALU_DEP_2) | instskip(NEXT) | instid1(VALU_DEP_1)
	v_and_b32_e32 v3, 7, v3
	v_cndmask_b32_e32 v3, v6, v3, vcc_lo
	s_delay_alu instid0(VALU_DEP_3) | instskip(NEXT) | instid1(VALU_DEP_2)
	v_lshl_add_u32 v6, v7, 23, 0x3b800000
	v_lshlrev_b32_e32 v3, 20, v3
	s_delay_alu instid0(VALU_DEP_1)
	v_or3_b32 v3, v1, v6, v3
.LBB63_179:
	s_or_b32 exec_lo, exec_lo, s18
	s_delay_alu instid0(VALU_DEP_1) | instskip(SKIP_1) | instid1(VALU_DEP_2)
	v_bfe_u32 v1, v3, 16, 1
	v_cmp_o_f32_e32 vcc_lo, v3, v3
	v_add3_u32 v1, v3, v1, 0x7fff
	s_delay_alu instid0(VALU_DEP_1) | instskip(NEXT) | instid1(VALU_DEP_1)
	v_lshrrev_b32_e32 v1, 16, v1
	v_cndmask_b32_e32 v1, 0x7fc0, v1, vcc_lo
.LBB63_180:
	s_mov_b32 s1, -1
.LBB63_181:
	s_branch .LBB63_216
.LBB63_182:
	s_cmp_gt_i32 s0, 22
	s_cbranch_scc0 .LBB63_192
; %bb.183:
	s_cmp_lt_i32 s0, 24
	s_cbranch_scc1 .LBB63_195
; %bb.184:
	s_cmp_gt_i32 s0, 24
	s_cbranch_scc0 .LBB63_196
; %bb.185:
	s_wait_loadcnt 0x0
	global_load_u8 v1, v[4:5], off
	s_mov_b32 s1, 0
	s_mov_b32 s18, exec_lo
	s_wait_loadcnt 0x0
	v_cmpx_lt_i16_e32 0x7f, v1
	s_xor_b32 s18, exec_lo, s18
	s_cbranch_execz .LBB63_208
; %bb.186:
	s_mov_b32 s1, -1
	s_mov_b32 s25, exec_lo
	v_cmpx_eq_u16_e32 0x80, v1
; %bb.187:
	s_xor_b32 s1, exec_lo, -1
; %bb.188:
	s_or_b32 exec_lo, exec_lo, s25
	s_delay_alu instid0(SALU_CYCLE_1)
	s_and_b32 s1, s1, exec_lo
	s_or_saveexec_b32 s18, s18
	v_mov_b32_e32 v3, 0x7f800001
	s_xor_b32 exec_lo, exec_lo, s18
	s_cbranch_execnz .LBB63_209
.LBB63_189:
	s_or_b32 exec_lo, exec_lo, s18
	s_and_saveexec_b32 s18, s1
	s_cbranch_execz .LBB63_191
.LBB63_190:
	v_and_b32_e32 v3, 0xffff, v1
	s_delay_alu instid0(VALU_DEP_1) | instskip(SKIP_1) | instid1(VALU_DEP_2)
	v_dual_lshlrev_b32 v1, 24, v1 :: v_dual_bitop2_b32 v6, 3, v3 bitop3:0x40
	v_bfe_u32 v9, v3, 2, 5
	v_and_b32_e32 v1, 0x80000000, v1
	s_delay_alu instid0(VALU_DEP_3) | instskip(NEXT) | instid1(VALU_DEP_3)
	v_clz_i32_u32_e32 v7, v6
	v_cmp_eq_u32_e32 vcc_lo, 0, v9
	s_delay_alu instid0(VALU_DEP_2) | instskip(NEXT) | instid1(VALU_DEP_1)
	v_min_u32_e32 v7, 32, v7
	v_subrev_nc_u32_e32 v8, 29, v7
	v_sub_nc_u32_e32 v7, 30, v7
	s_delay_alu instid0(VALU_DEP_2) | instskip(NEXT) | instid1(VALU_DEP_2)
	v_lshlrev_b32_e32 v3, v8, v3
	v_cndmask_b32_e32 v7, v9, v7, vcc_lo
	s_delay_alu instid0(VALU_DEP_2) | instskip(NEXT) | instid1(VALU_DEP_1)
	v_and_b32_e32 v3, 3, v3
	v_cndmask_b32_e32 v3, v6, v3, vcc_lo
	s_delay_alu instid0(VALU_DEP_3) | instskip(NEXT) | instid1(VALU_DEP_2)
	v_lshl_add_u32 v6, v7, 23, 0x37800000
	v_lshlrev_b32_e32 v3, 21, v3
	s_delay_alu instid0(VALU_DEP_1)
	v_or3_b32 v3, v1, v6, v3
.LBB63_191:
	s_or_b32 exec_lo, exec_lo, s18
	s_delay_alu instid0(VALU_DEP_1) | instskip(SKIP_2) | instid1(VALU_DEP_2)
	v_bfe_u32 v1, v3, 16, 1
	v_cmp_o_f32_e32 vcc_lo, v3, v3
	s_mov_b32 s1, 0
	v_add3_u32 v1, v3, v1, 0x7fff
	s_delay_alu instid0(VALU_DEP_1) | instskip(NEXT) | instid1(VALU_DEP_1)
	v_lshrrev_b32_e32 v1, 16, v1
	v_cndmask_b32_e32 v1, 0x7fc0, v1, vcc_lo
	s_branch .LBB63_197
.LBB63_192:
	s_mov_b32 s18, -1
                                        ; implicit-def: $vgpr1
	s_branch .LBB63_203
.LBB63_193:
	s_or_saveexec_b32 s18, s18
	v_mov_b32_e32 v3, 0x7f800001
	s_xor_b32 exec_lo, exec_lo, s18
	s_cbranch_execz .LBB63_177
.LBB63_194:
	v_cmp_ne_u16_e32 vcc_lo, 0, v1
	v_mov_b32_e32 v3, 0
	s_and_not1_b32 s1, s1, exec_lo
	s_and_b32 s25, vcc_lo, exec_lo
	s_delay_alu instid0(SALU_CYCLE_1)
	s_or_b32 s1, s1, s25
	s_or_b32 exec_lo, exec_lo, s18
	s_and_saveexec_b32 s18, s1
	s_cbranch_execnz .LBB63_178
	s_branch .LBB63_179
.LBB63_195:
	s_mov_b32 s1, -1
                                        ; implicit-def: $vgpr1
	s_branch .LBB63_200
.LBB63_196:
	s_mov_b32 s1, -1
                                        ; implicit-def: $vgpr1
.LBB63_197:
	s_delay_alu instid0(SALU_CYCLE_1)
	s_and_b32 vcc_lo, exec_lo, s1
	s_cbranch_vccz .LBB63_199
; %bb.198:
	s_wait_loadcnt 0x0
	global_load_u8 v1, v[4:5], off
	s_wait_loadcnt 0x0
	v_lshlrev_b32_e32 v1, 24, v1
	s_delay_alu instid0(VALU_DEP_1) | instskip(NEXT) | instid1(VALU_DEP_1)
	v_and_b32_e32 v3, 0x7f000000, v1
	v_clz_i32_u32_e32 v6, v3
	v_cmp_ne_u32_e32 vcc_lo, 0, v3
	v_add_nc_u32_e32 v8, 0x1000000, v3
	s_delay_alu instid0(VALU_DEP_3) | instskip(NEXT) | instid1(VALU_DEP_1)
	v_min_u32_e32 v6, 32, v6
	v_sub_nc_u32_e64 v6, v6, 4 clamp
	s_delay_alu instid0(VALU_DEP_1) | instskip(NEXT) | instid1(VALU_DEP_1)
	v_dual_lshlrev_b32 v7, v6, v3 :: v_dual_lshlrev_b32 v6, 23, v6
	v_lshrrev_b32_e32 v7, 4, v7
	s_delay_alu instid0(VALU_DEP_1) | instskip(NEXT) | instid1(VALU_DEP_1)
	v_dual_sub_nc_u32 v6, v7, v6 :: v_dual_ashrrev_i32 v7, 8, v8
	v_add_nc_u32_e32 v6, 0x3c000000, v6
	s_delay_alu instid0(VALU_DEP_1) | instskip(NEXT) | instid1(VALU_DEP_1)
	v_and_or_b32 v6, 0x7f800000, v7, v6
	v_cndmask_b32_e32 v3, 0, v6, vcc_lo
	s_delay_alu instid0(VALU_DEP_1) | instskip(SKIP_1) | instid1(VALU_DEP_2)
	v_and_or_b32 v1, 0x80000000, v1, v3
	v_bfe_u32 v3, v3, 16, 1
	v_cmp_o_f32_e32 vcc_lo, v1, v1
	s_delay_alu instid0(VALU_DEP_2) | instskip(NEXT) | instid1(VALU_DEP_1)
	v_add3_u32 v3, v1, v3, 0x7fff
	v_lshrrev_b32_e32 v3, 16, v3
	s_delay_alu instid0(VALU_DEP_1)
	v_cndmask_b32_e32 v1, 0x7fc0, v3, vcc_lo
.LBB63_199:
	s_mov_b32 s1, 0
.LBB63_200:
	s_delay_alu instid0(SALU_CYCLE_1)
	s_and_not1_b32 vcc_lo, exec_lo, s1
	s_cbranch_vccnz .LBB63_202
; %bb.201:
	s_wait_loadcnt 0x0
	global_load_u8 v1, v[4:5], off
	s_wait_loadcnt 0x0
	v_lshlrev_b32_e32 v3, 25, v1
	v_lshlrev_b16 v1, 8, v1
	s_delay_alu instid0(VALU_DEP_1) | instskip(SKIP_1) | instid1(VALU_DEP_2)
	v_and_or_b32 v7, 0x7f00, v1, 0.5
	v_bfe_i32 v1, v1, 0, 16
	v_add_f32_e32 v7, -0.5, v7
	v_lshrrev_b32_e32 v6, 4, v3
	v_cmp_gt_u32_e32 vcc_lo, 0x8000000, v3
	s_delay_alu instid0(VALU_DEP_2) | instskip(NEXT) | instid1(VALU_DEP_1)
	v_or_b32_e32 v6, 0x70000000, v6
	v_mul_f32_e32 v6, 0x7800000, v6
	s_delay_alu instid0(VALU_DEP_1) | instskip(NEXT) | instid1(VALU_DEP_1)
	v_cndmask_b32_e32 v3, v6, v7, vcc_lo
	v_and_or_b32 v1, 0x80000000, v1, v3
	v_bfe_u32 v3, v3, 16, 1
	s_delay_alu instid0(VALU_DEP_2) | instskip(NEXT) | instid1(VALU_DEP_2)
	v_cmp_o_f32_e32 vcc_lo, v1, v1
	v_add3_u32 v3, v1, v3, 0x7fff
	s_delay_alu instid0(VALU_DEP_1) | instskip(NEXT) | instid1(VALU_DEP_1)
	v_lshrrev_b32_e32 v3, 16, v3
	v_cndmask_b32_e32 v1, 0x7fc0, v3, vcc_lo
.LBB63_202:
	s_mov_b32 s18, 0
	s_mov_b32 s1, -1
.LBB63_203:
	s_and_not1_b32 vcc_lo, exec_lo, s18
	s_cbranch_vccnz .LBB63_216
; %bb.204:
	s_cmp_gt_i32 s0, 14
	s_cbranch_scc0 .LBB63_207
; %bb.205:
	s_cmp_eq_u32 s0, 15
	s_cbranch_scc0 .LBB63_210
; %bb.206:
	s_wait_loadcnt 0x0
	global_load_u16 v1, v[4:5], off
	s_mov_b32 s1, -1
	s_mov_b32 s24, 0
	s_branch .LBB63_211
.LBB63_207:
	s_mov_b32 s18, -1
                                        ; implicit-def: $vgpr1
	s_branch .LBB63_212
.LBB63_208:
	s_or_saveexec_b32 s18, s18
	v_mov_b32_e32 v3, 0x7f800001
	s_xor_b32 exec_lo, exec_lo, s18
	s_cbranch_execz .LBB63_189
.LBB63_209:
	v_cmp_ne_u16_e32 vcc_lo, 0, v1
	v_mov_b32_e32 v3, 0
	s_and_not1_b32 s1, s1, exec_lo
	s_and_b32 s25, vcc_lo, exec_lo
	s_delay_alu instid0(SALU_CYCLE_1)
	s_or_b32 s1, s1, s25
	s_or_b32 exec_lo, exec_lo, s18
	s_and_saveexec_b32 s18, s1
	s_cbranch_execnz .LBB63_190
	s_branch .LBB63_191
.LBB63_210:
	s_mov_b32 s24, -1
                                        ; implicit-def: $vgpr1
.LBB63_211:
	s_mov_b32 s18, 0
.LBB63_212:
	s_delay_alu instid0(SALU_CYCLE_1)
	s_and_b32 vcc_lo, exec_lo, s18
	s_cbranch_vccz .LBB63_216
; %bb.213:
	s_cmp_eq_u32 s0, 11
	s_cbranch_scc0 .LBB63_215
; %bb.214:
	s_wait_loadcnt 0x0
	global_load_u8 v1, v[4:5], off
	s_mov_b32 s24, 0
	s_mov_b32 s1, -1
	s_wait_loadcnt 0x0
	v_cmp_ne_u16_e32 vcc_lo, 0, v1
	v_cndmask_b32_e64 v1, 0, 1.0, vcc_lo
	s_delay_alu instid0(VALU_DEP_1)
	v_lshrrev_b32_e32 v1, 16, v1
	s_branch .LBB63_216
.LBB63_215:
	s_mov_b32 s24, -1
                                        ; implicit-def: $vgpr1
.LBB63_216:
	s_branch .LBB63_25
.LBB63_217:
	s_cmp_lt_i32 s0, 5
	s_cbranch_scc1 .LBB63_222
; %bb.218:
	s_cmp_lt_i32 s0, 8
	s_cbranch_scc1 .LBB63_223
; %bb.219:
	;; [unrolled: 3-line block ×3, first 2 shown]
	s_cmp_gt_i32 s0, 9
	s_cbranch_scc0 .LBB63_225
; %bb.221:
	global_load_b64 v[6:7], v[4:5], off
	s_mov_b32 s1, 0
	s_wait_loadcnt 0x0
	v_cvt_f32_f64_e32 v1, v[6:7]
	s_delay_alu instid0(VALU_DEP_1) | instskip(SKIP_1) | instid1(VALU_DEP_2)
	v_bfe_u32 v3, v1, 16, 1
	v_cmp_o_f32_e32 vcc_lo, v1, v1
	v_add3_u32 v3, v1, v3, 0x7fff
	s_delay_alu instid0(VALU_DEP_1) | instskip(NEXT) | instid1(VALU_DEP_1)
	v_lshrrev_b32_e32 v3, 16, v3
	v_cndmask_b32_e32 v1, 0x7fc0, v3, vcc_lo
	s_branch .LBB63_226
.LBB63_222:
                                        ; implicit-def: $vgpr1
	s_branch .LBB63_244
.LBB63_223:
	s_mov_b32 s1, -1
                                        ; implicit-def: $vgpr1
	s_branch .LBB63_232
.LBB63_224:
	s_mov_b32 s1, -1
                                        ; implicit-def: $vgpr1
	s_branch .LBB63_229
.LBB63_225:
	s_mov_b32 s1, -1
                                        ; implicit-def: $vgpr1
.LBB63_226:
	s_delay_alu instid0(SALU_CYCLE_1)
	s_and_not1_b32 vcc_lo, exec_lo, s1
	s_cbranch_vccnz .LBB63_228
; %bb.227:
	s_wait_loadcnt 0x0
	global_load_b32 v1, v[4:5], off
	s_wait_loadcnt 0x0
	v_bfe_u32 v3, v1, 16, 1
	v_cmp_o_f32_e32 vcc_lo, v1, v1
	s_delay_alu instid0(VALU_DEP_2) | instskip(NEXT) | instid1(VALU_DEP_1)
	v_add3_u32 v3, v1, v3, 0x7fff
	v_lshrrev_b32_e32 v3, 16, v3
	s_delay_alu instid0(VALU_DEP_1)
	v_cndmask_b32_e32 v1, 0x7fc0, v3, vcc_lo
.LBB63_228:
	s_mov_b32 s1, 0
.LBB63_229:
	s_delay_alu instid0(SALU_CYCLE_1)
	s_and_not1_b32 vcc_lo, exec_lo, s1
	s_cbranch_vccnz .LBB63_231
; %bb.230:
	s_wait_loadcnt 0x0
	global_load_b32 v1, v[4:5], off
	s_wait_loadcnt 0x0
	v_cvt_f32_f16_e32 v3, v1
	v_cmp_o_f16_e32 vcc_lo, v1, v1
	s_delay_alu instid0(VALU_DEP_2) | instskip(NEXT) | instid1(VALU_DEP_1)
	v_bfe_u32 v6, v3, 16, 1
	v_add3_u32 v3, v3, v6, 0x7fff
	s_delay_alu instid0(VALU_DEP_1) | instskip(NEXT) | instid1(VALU_DEP_1)
	v_lshrrev_b32_e32 v3, 16, v3
	v_cndmask_b32_e32 v1, 0x7fc0, v3, vcc_lo
.LBB63_231:
	s_mov_b32 s1, 0
.LBB63_232:
	s_delay_alu instid0(SALU_CYCLE_1)
	s_and_not1_b32 vcc_lo, exec_lo, s1
	s_cbranch_vccnz .LBB63_243
; %bb.233:
	s_cmp_lt_i32 s0, 6
	s_cbranch_scc1 .LBB63_236
; %bb.234:
	s_cmp_gt_i32 s0, 6
	s_cbranch_scc0 .LBB63_237
; %bb.235:
	global_load_b64 v[6:7], v[4:5], off
	s_mov_b32 s1, 0
	s_wait_loadcnt 0x0
	v_cvt_f32_f64_e32 v1, v[6:7]
	s_delay_alu instid0(VALU_DEP_1) | instskip(SKIP_1) | instid1(VALU_DEP_2)
	v_bfe_u32 v3, v1, 16, 1
	v_cmp_o_f32_e32 vcc_lo, v1, v1
	v_add3_u32 v3, v1, v3, 0x7fff
	s_delay_alu instid0(VALU_DEP_1) | instskip(NEXT) | instid1(VALU_DEP_1)
	v_lshrrev_b32_e32 v3, 16, v3
	v_cndmask_b32_e32 v1, 0x7fc0, v3, vcc_lo
	s_branch .LBB63_238
.LBB63_236:
	s_mov_b32 s1, -1
                                        ; implicit-def: $vgpr1
	s_branch .LBB63_241
.LBB63_237:
	s_mov_b32 s1, -1
                                        ; implicit-def: $vgpr1
.LBB63_238:
	s_delay_alu instid0(SALU_CYCLE_1)
	s_and_not1_b32 vcc_lo, exec_lo, s1
	s_cbranch_vccnz .LBB63_240
; %bb.239:
	s_wait_loadcnt 0x0
	global_load_b32 v1, v[4:5], off
	s_wait_loadcnt 0x0
	v_bfe_u32 v3, v1, 16, 1
	v_cmp_o_f32_e32 vcc_lo, v1, v1
	s_delay_alu instid0(VALU_DEP_2) | instskip(NEXT) | instid1(VALU_DEP_1)
	v_add3_u32 v3, v1, v3, 0x7fff
	v_lshrrev_b32_e32 v3, 16, v3
	s_delay_alu instid0(VALU_DEP_1)
	v_cndmask_b32_e32 v1, 0x7fc0, v3, vcc_lo
.LBB63_240:
	s_mov_b32 s1, 0
.LBB63_241:
	s_delay_alu instid0(SALU_CYCLE_1)
	s_and_not1_b32 vcc_lo, exec_lo, s1
	s_cbranch_vccnz .LBB63_243
; %bb.242:
	s_wait_loadcnt 0x0
	global_load_u16 v1, v[4:5], off
	s_wait_loadcnt 0x0
	v_cvt_f32_f16_e32 v3, v1
	v_cmp_o_f16_e32 vcc_lo, v1, v1
	s_delay_alu instid0(VALU_DEP_2) | instskip(NEXT) | instid1(VALU_DEP_1)
	v_bfe_u32 v6, v3, 16, 1
	v_add3_u32 v3, v3, v6, 0x7fff
	s_delay_alu instid0(VALU_DEP_1) | instskip(NEXT) | instid1(VALU_DEP_1)
	v_lshrrev_b32_e32 v3, 16, v3
	v_cndmask_b32_e32 v1, 0x7fc0, v3, vcc_lo
.LBB63_243:
	s_cbranch_execnz .LBB63_263
.LBB63_244:
	s_cmp_lt_i32 s0, 2
	s_cbranch_scc1 .LBB63_248
; %bb.245:
	s_cmp_lt_i32 s0, 3
	s_cbranch_scc1 .LBB63_249
; %bb.246:
	s_cmp_gt_i32 s0, 3
	s_cbranch_scc0 .LBB63_250
; %bb.247:
	global_load_b64 v[6:7], v[4:5], off
	s_mov_b32 s1, 0
	s_wait_loadcnt 0x0
	v_xor_b32_e32 v1, v6, v7
	v_cls_i32_e32 v3, v7
	s_delay_alu instid0(VALU_DEP_2) | instskip(NEXT) | instid1(VALU_DEP_1)
	v_ashrrev_i32_e32 v1, 31, v1
	v_add_nc_u32_e32 v1, 32, v1
	s_delay_alu instid0(VALU_DEP_1) | instskip(NEXT) | instid1(VALU_DEP_1)
	v_add_min_u32_e64 v1, v3, -1, v1
	v_lshlrev_b64_e32 v[6:7], v1, v[6:7]
	v_sub_nc_u32_e32 v1, 32, v1
	s_delay_alu instid0(VALU_DEP_2) | instskip(NEXT) | instid1(VALU_DEP_1)
	v_min_u32_e32 v3, 1, v6
	v_or_b32_e32 v3, v7, v3
	s_delay_alu instid0(VALU_DEP_1) | instskip(NEXT) | instid1(VALU_DEP_1)
	v_cvt_f32_i32_e32 v3, v3
	v_ldexp_f32 v1, v3, v1
	s_delay_alu instid0(VALU_DEP_1) | instskip(NEXT) | instid1(VALU_DEP_1)
	v_bfe_u32 v3, v1, 16, 1
	v_add3_u32 v1, v1, v3, 0x7fff
	s_delay_alu instid0(VALU_DEP_1)
	v_lshrrev_b32_e32 v1, 16, v1
	s_branch .LBB63_251
.LBB63_248:
	s_mov_b32 s1, -1
                                        ; implicit-def: $vgpr1
	s_branch .LBB63_257
.LBB63_249:
	s_mov_b32 s1, -1
                                        ; implicit-def: $vgpr1
	s_branch .LBB63_254
.LBB63_250:
	s_mov_b32 s1, -1
                                        ; implicit-def: $vgpr1
.LBB63_251:
	s_delay_alu instid0(SALU_CYCLE_1)
	s_and_not1_b32 vcc_lo, exec_lo, s1
	s_cbranch_vccnz .LBB63_253
; %bb.252:
	s_wait_loadcnt 0x0
	global_load_b32 v1, v[4:5], off
	s_wait_loadcnt 0x0
	v_cvt_f32_i32_e32 v1, v1
	s_delay_alu instid0(VALU_DEP_1) | instskip(NEXT) | instid1(VALU_DEP_1)
	v_bfe_u32 v3, v1, 16, 1
	v_add3_u32 v1, v1, v3, 0x7fff
	s_delay_alu instid0(VALU_DEP_1)
	v_lshrrev_b32_e32 v1, 16, v1
.LBB63_253:
	s_mov_b32 s1, 0
.LBB63_254:
	s_delay_alu instid0(SALU_CYCLE_1)
	s_and_not1_b32 vcc_lo, exec_lo, s1
	s_cbranch_vccnz .LBB63_256
; %bb.255:
	s_wait_loadcnt 0x0
	global_load_i16 v1, v[4:5], off
	s_wait_loadcnt 0x0
	v_cvt_f32_i32_e32 v1, v1
	s_delay_alu instid0(VALU_DEP_1) | instskip(NEXT) | instid1(VALU_DEP_1)
	v_bfe_u32 v3, v1, 16, 1
	v_add3_u32 v1, v1, v3, 0x7fff
	s_delay_alu instid0(VALU_DEP_1)
	v_lshrrev_b32_e32 v1, 16, v1
.LBB63_256:
	s_mov_b32 s1, 0
.LBB63_257:
	s_delay_alu instid0(SALU_CYCLE_1)
	s_and_not1_b32 vcc_lo, exec_lo, s1
	s_cbranch_vccnz .LBB63_263
; %bb.258:
	s_cmp_gt_i32 s0, 0
	s_mov_b32 s0, 0
	s_cbranch_scc0 .LBB63_260
; %bb.259:
	s_wait_loadcnt 0x0
	global_load_i8 v1, v[4:5], off
	s_wait_loadcnt 0x0
	v_cvt_f32_i32_e32 v1, v1
	s_delay_alu instid0(VALU_DEP_1) | instskip(NEXT) | instid1(VALU_DEP_1)
	v_bfe_u32 v3, v1, 16, 1
	v_add3_u32 v1, v1, v3, 0x7fff
	s_delay_alu instid0(VALU_DEP_1)
	v_lshrrev_b32_e32 v1, 16, v1
	s_branch .LBB63_261
.LBB63_260:
	s_mov_b32 s0, -1
                                        ; implicit-def: $vgpr1
.LBB63_261:
	s_delay_alu instid0(SALU_CYCLE_1)
	s_and_not1_b32 vcc_lo, exec_lo, s0
	s_cbranch_vccnz .LBB63_263
; %bb.262:
	s_wait_loadcnt 0x0
	global_load_u8 v1, v[4:5], off
	s_wait_loadcnt 0x0
	v_cvt_f32_ubyte0_e32 v1, v1
	s_delay_alu instid0(VALU_DEP_1) | instskip(NEXT) | instid1(VALU_DEP_1)
	v_bfe_u32 v3, v1, 16, 1
	v_add3_u32 v1, v1, v3, 0x7fff
	s_delay_alu instid0(VALU_DEP_1)
	v_lshrrev_b32_e32 v1, 16, v1
.LBB63_263:
	s_branch .LBB63_26
.LBB63_264:
	s_mov_b32 s1, 0
.LBB63_265:
	s_mov_b32 s0, 0
                                        ; implicit-def: $vgpr0
.LBB63_266:
	s_and_b32 s18, s1, exec_lo
	s_and_b32 s39, s24, exec_lo
	s_or_not1_b32 s24, s0, exec_lo
.LBB63_267:
	s_wait_xcnt 0x0
	s_or_b32 exec_lo, exec_lo, s40
	s_mov_b32 s25, 0
	s_mov_b32 s0, 0
                                        ; implicit-def: $vgpr4_vgpr5
                                        ; implicit-def: $vgpr2
                                        ; implicit-def: $vgpr6
	s_and_saveexec_b32 s40, s24
	s_cbranch_execz .LBB63_275
; %bb.268:
	s_mov_b32 s0, -1
	s_mov_b32 s41, s39
	s_mov_b32 s42, s18
	s_mov_b32 s43, exec_lo
	v_cmpx_gt_i32_e64 s36, v0
	s_cbranch_execz .LBB63_546
; %bb.269:
	s_and_not1_b32 vcc_lo, exec_lo, s31
	s_cbranch_vccnz .LBB63_278
; %bb.270:
	s_and_not1_b32 vcc_lo, exec_lo, s38
	s_cbranch_vccnz .LBB63_279
; %bb.271:
	s_add_co_i32 s1, s37, 1
	s_cmp_eq_u32 s29, 2
	s_cbranch_scc1 .LBB63_280
; %bb.272:
	v_dual_mov_b32 v2, 0 :: v_dual_mov_b32 v4, 0
	s_wait_loadcnt 0x0
	v_mov_b32_e32 v1, v0
	s_and_b32 s0, s1, 28
	s_mov_b32 s41, 0
	s_mov_b64 s[24:25], s[2:3]
	s_mov_b64 s[26:27], s[22:23]
.LBB63_273:                             ; =>This Inner Loop Header: Depth=1
	s_clause 0x1
	s_load_b256 s[44:51], s[24:25], 0x4
	s_load_b128 s[60:63], s[24:25], 0x24
	s_load_b256 s[52:59], s[26:27], 0x0
	s_add_co_i32 s41, s41, 4
	s_wait_xcnt 0x0
	s_add_nc_u64 s[24:25], s[24:25], 48
	s_cmp_eq_u32 s0, s41
	s_add_nc_u64 s[26:27], s[26:27], 32
	s_wait_kmcnt 0x0
	v_mul_hi_u32 v3, s45, v1
	s_delay_alu instid0(VALU_DEP_1) | instskip(NEXT) | instid1(VALU_DEP_1)
	v_add_nc_u32_e32 v3, v1, v3
	v_lshrrev_b32_e32 v3, s46, v3
	s_delay_alu instid0(VALU_DEP_1) | instskip(NEXT) | instid1(VALU_DEP_1)
	v_mul_hi_u32 v5, s48, v3
	v_add_nc_u32_e32 v5, v3, v5
	s_delay_alu instid0(VALU_DEP_1) | instskip(NEXT) | instid1(VALU_DEP_1)
	v_lshrrev_b32_e32 v5, s49, v5
	v_mul_hi_u32 v6, s51, v5
	s_delay_alu instid0(VALU_DEP_1) | instskip(SKIP_1) | instid1(VALU_DEP_1)
	v_add_nc_u32_e32 v6, v5, v6
	v_mul_lo_u32 v7, v3, s44
	v_sub_nc_u32_e32 v1, v1, v7
	v_mul_lo_u32 v7, v5, s47
	s_delay_alu instid0(VALU_DEP_4) | instskip(NEXT) | instid1(VALU_DEP_3)
	v_lshrrev_b32_e32 v6, s60, v6
	v_mad_u32 v4, v1, s53, v4
	v_mad_u32 v1, v1, s52, v2
	s_delay_alu instid0(VALU_DEP_4) | instskip(NEXT) | instid1(VALU_DEP_4)
	v_sub_nc_u32_e32 v2, v3, v7
	v_mul_hi_u32 v8, s62, v6
	v_mul_lo_u32 v3, v6, s50
	s_delay_alu instid0(VALU_DEP_3) | instskip(SKIP_1) | instid1(VALU_DEP_3)
	v_mad_u32 v4, v2, s55, v4
	v_mad_u32 v2, v2, s54, v1
	v_dual_add_nc_u32 v7, v6, v8 :: v_dual_sub_nc_u32 v3, v5, v3
	s_delay_alu instid0(VALU_DEP_1) | instskip(NEXT) | instid1(VALU_DEP_2)
	v_lshrrev_b32_e32 v1, s63, v7
	v_mad_u32 v4, v3, s57, v4
	s_delay_alu instid0(VALU_DEP_4) | instskip(NEXT) | instid1(VALU_DEP_3)
	v_mad_u32 v2, v3, s56, v2
	v_mul_lo_u32 v5, v1, s61
	s_delay_alu instid0(VALU_DEP_1) | instskip(NEXT) | instid1(VALU_DEP_1)
	v_sub_nc_u32_e32 v3, v6, v5
	v_mad_u32 v4, v3, s59, v4
	s_delay_alu instid0(VALU_DEP_4)
	v_mad_u32 v2, v3, s58, v2
	s_cbranch_scc0 .LBB63_273
; %bb.274:
	s_delay_alu instid0(VALU_DEP_2)
	v_mov_b32_e32 v3, v4
	s_branch .LBB63_281
.LBB63_275:
	s_or_b32 exec_lo, exec_lo, s40
	s_mov_b32 s1, 0
	s_and_saveexec_b32 s6, s39
	s_cbranch_execnz .LBB63_928
.LBB63_276:
	s_or_b32 exec_lo, exec_lo, s6
	s_and_saveexec_b32 s6, s17
	s_delay_alu instid0(SALU_CYCLE_1)
	s_xor_b32 s6, exec_lo, s6
	s_cbranch_execz .LBB63_929
.LBB63_277:
	global_load_u8 v0, v[4:5], off
	s_or_b32 s0, s0, exec_lo
	s_wait_loadcnt 0x0
	v_cmp_ne_u16_e32 vcc_lo, 0, v0
	v_cndmask_b32_e64 v0, 0, 1.0, vcc_lo
	s_delay_alu instid0(VALU_DEP_1)
	v_lshrrev_b32_e32 v6, 16, v0
	s_wait_xcnt 0x0
	s_or_b32 exec_lo, exec_lo, s6
	s_and_saveexec_b32 s6, s25
	s_cbranch_execz .LBB63_975
	s_branch .LBB63_930
.LBB63_278:
                                        ; implicit-def: $vgpr4
                                        ; implicit-def: $vgpr2
	s_and_not1_b32 vcc_lo, exec_lo, s0
	s_cbranch_vccnz .LBB63_288
	s_branch .LBB63_286
.LBB63_279:
	v_dual_mov_b32 v4, 0 :: v_dual_mov_b32 v2, 0
	s_branch .LBB63_285
.LBB63_280:
	v_mov_b64_e32 v[2:3], 0
	s_wait_loadcnt 0x0
	v_mov_b32_e32 v1, v0
	s_mov_b32 s0, 0
                                        ; implicit-def: $vgpr4
.LBB63_281:
	s_and_b32 s26, s1, 3
	s_mov_b32 s1, 0
	s_cmp_eq_u32 s26, 0
	s_cbranch_scc1 .LBB63_285
; %bb.282:
	s_lshl_b32 s24, s0, 3
	s_mov_b32 s25, s1
	s_mul_u64 s[44:45], s[0:1], 12
	s_add_nc_u64 s[24:25], s[2:3], s[24:25]
	s_delay_alu instid0(SALU_CYCLE_1)
	s_add_nc_u64 s[0:1], s[24:25], 0xc4
	s_add_nc_u64 s[24:25], s[2:3], s[44:45]
.LBB63_283:                             ; =>This Inner Loop Header: Depth=1
	s_load_b96 s[44:46], s[24:25], 0x4
	s_add_co_i32 s26, s26, -1
	s_wait_xcnt 0x0
	s_add_nc_u64 s[24:25], s[24:25], 12
	s_cmp_lg_u32 s26, 0
	s_wait_kmcnt 0x0
	v_mul_hi_u32 v4, s45, v1
	s_delay_alu instid0(VALU_DEP_1) | instskip(NEXT) | instid1(VALU_DEP_1)
	v_add_nc_u32_e32 v4, v1, v4
	v_lshrrev_b32_e32 v4, s46, v4
	s_load_b64 s[46:47], s[0:1], 0x0
	s_wait_xcnt 0x0
	s_add_nc_u64 s[0:1], s[0:1], 8
	s_delay_alu instid0(VALU_DEP_1) | instskip(NEXT) | instid1(VALU_DEP_1)
	v_mul_lo_u32 v5, v4, s44
	v_sub_nc_u32_e32 v1, v1, v5
	s_wait_kmcnt 0x0
	s_delay_alu instid0(VALU_DEP_1)
	v_mad_u32 v3, v1, s47, v3
	v_mad_u32 v2, v1, s46, v2
	v_mov_b32_e32 v1, v4
	s_cbranch_scc1 .LBB63_283
; %bb.284:
	s_delay_alu instid0(VALU_DEP_3)
	v_mov_b32_e32 v4, v3
.LBB63_285:
	s_cbranch_execnz .LBB63_288
.LBB63_286:
	s_wait_loadcnt 0x0
	v_mov_b32_e32 v1, 0
	s_and_not1_b32 vcc_lo, exec_lo, s35
	s_delay_alu instid0(VALU_DEP_1) | instskip(NEXT) | instid1(VALU_DEP_1)
	v_mul_u64_e32 v[2:3], s[16:17], v[0:1]
	v_add_nc_u32_e32 v2, v0, v3
	s_delay_alu instid0(VALU_DEP_1) | instskip(NEXT) | instid1(VALU_DEP_1)
	v_lshrrev_b32_e32 v6, s14, v2
	v_mul_lo_u32 v2, v6, s12
	s_delay_alu instid0(VALU_DEP_1) | instskip(NEXT) | instid1(VALU_DEP_1)
	v_sub_nc_u32_e32 v2, v0, v2
	v_mul_lo_u32 v4, v2, s9
	v_mul_lo_u32 v2, v2, s8
	s_cbranch_vccnz .LBB63_288
; %bb.287:
	v_mov_b32_e32 v7, v1
	s_delay_alu instid0(VALU_DEP_1) | instskip(NEXT) | instid1(VALU_DEP_1)
	v_mul_u64_e32 v[8:9], s[20:21], v[6:7]
	v_add_nc_u32_e32 v1, v6, v9
	s_delay_alu instid0(VALU_DEP_1) | instskip(NEXT) | instid1(VALU_DEP_1)
	v_lshrrev_b32_e32 v1, s19, v1
	v_mul_lo_u32 v1, v1, s15
	s_delay_alu instid0(VALU_DEP_1) | instskip(NEXT) | instid1(VALU_DEP_1)
	v_sub_nc_u32_e32 v1, v6, v1
	v_mad_u32 v2, v1, s10, v2
	v_mad_u32 v4, v1, s11, v4
.LBB63_288:
	v_mov_b32_e32 v5, 0
	s_and_b32 s0, 0xffff, s13
	s_delay_alu instid0(SALU_CYCLE_1) | instskip(NEXT) | instid1(VALU_DEP_1)
	s_cmp_lt_i32 s0, 11
	v_add_nc_u64_e32 v[4:5], s[6:7], v[4:5]
	s_cbranch_scc1 .LBB63_295
; %bb.289:
	s_cmp_gt_i32 s0, 25
	s_cbranch_scc0 .LBB63_304
; %bb.290:
	s_cmp_gt_i32 s0, 28
	s_cbranch_scc0 .LBB63_306
	;; [unrolled: 3-line block ×4, first 2 shown]
; %bb.293:
	s_cmp_eq_u32 s0, 46
	s_mov_b32 s25, 0
	s_cbranch_scc0 .LBB63_316
; %bb.294:
	s_wait_loadcnt 0x0
	global_load_b32 v1, v[4:5], off
	s_mov_b32 s1, -1
	s_mov_b32 s24, 0
	s_branch .LBB63_318
.LBB63_295:
	s_mov_b32 s1, 0
	s_mov_b32 s24, s39
                                        ; implicit-def: $vgpr1
	s_cbranch_execnz .LBB63_495
.LBB63_296:
	s_and_not1_b32 vcc_lo, exec_lo, s1
	s_cbranch_vccnz .LBB63_543
.LBB63_297:
	s_wait_loadcnt 0x0
	s_delay_alu instid0(VALU_DEP_1) | instskip(SKIP_1) | instid1(SALU_CYCLE_1)
	v_dual_mov_b32 v3, 0 :: v_dual_lshlrev_b32 v1, 16, v1
	s_and_b32 s25, s34, 0xff
	s_cmp_lt_i32 s25, 11
	s_delay_alu instid0(VALU_DEP_1) | instskip(NEXT) | instid1(VALU_DEP_2)
	v_add_nc_u64_e32 v[2:3], s[4:5], v[2:3]
	v_cmp_eq_f32_e64 s0, 0x7f800000, v1
	s_cbranch_scc1 .LBB63_305
; %bb.298:
	s_and_b32 s26, 0xffff, s25
	s_delay_alu instid0(SALU_CYCLE_1)
	s_cmp_gt_i32 s26, 25
	s_cbranch_scc0 .LBB63_307
; %bb.299:
	s_cmp_gt_i32 s26, 28
	s_cbranch_scc0 .LBB63_309
; %bb.300:
	;; [unrolled: 3-line block ×4, first 2 shown]
	s_mov_b32 s41, 0
	s_mov_b32 s1, -1
	s_cmp_eq_u32 s26, 46
	s_mov_b32 s27, 0
	s_cbranch_scc0 .LBB63_322
; %bb.303:
	v_cndmask_b32_e64 v1, 0, 1.0, s0
	s_mov_b32 s27, -1
	s_mov_b32 s1, 0
	s_wait_xcnt 0x0
	s_delay_alu instid0(VALU_DEP_1) | instskip(NEXT) | instid1(VALU_DEP_1)
	v_bfe_u32 v4, v1, 16, 1
	v_add3_u32 v1, v1, v4, 0x7fff
	s_delay_alu instid0(VALU_DEP_1)
	v_lshrrev_b32_e32 v1, 16, v1
	global_store_b32 v[2:3], v1, off
	s_branch .LBB63_322
.LBB63_304:
	s_mov_b32 s25, -1
	s_mov_b32 s1, 0
	s_mov_b32 s24, s39
                                        ; implicit-def: $vgpr1
	s_branch .LBB63_459
.LBB63_305:
	s_mov_b32 s26, -1
	s_mov_b32 s27, 0
	s_mov_b32 s1, s18
	s_branch .LBB63_391
.LBB63_306:
	s_mov_b32 s25, -1
	s_mov_b32 s1, 0
	s_mov_b32 s24, s39
                                        ; implicit-def: $vgpr1
	s_branch .LBB63_440
.LBB63_307:
	s_mov_b32 s41, -1
	s_mov_b32 s27, 0
	s_mov_b32 s1, s18
	s_branch .LBB63_349
.LBB63_308:
	s_mov_b32 s25, -1
	s_mov_b32 s1, 0
	s_mov_b32 s24, s39
                                        ; implicit-def: $vgpr1
	s_branch .LBB63_435
.LBB63_309:
	s_mov_b32 s41, -1
	s_mov_b32 s27, 0
	s_mov_b32 s1, s18
	s_branch .LBB63_332
.LBB63_310:
	s_and_not1_saveexec_b32 s39, s39
	s_cbranch_execz .LBB63_69
.LBB63_311:
	v_add_f32_e32 v1, 0x46000000, v4
	s_and_not1_b32 s27, s27, exec_lo
	s_delay_alu instid0(VALU_DEP_1) | instskip(NEXT) | instid1(VALU_DEP_1)
	v_and_b32_e32 v1, 0xff, v1
	v_cmp_ne_u32_e32 vcc_lo, 0, v1
	s_and_b32 s41, vcc_lo, exec_lo
	s_delay_alu instid0(SALU_CYCLE_1)
	s_or_b32 s27, s27, s41
	s_or_b32 exec_lo, exec_lo, s39
	v_mov_b32_e32 v5, 0
	s_and_saveexec_b32 s39, s27
	s_cbranch_execnz .LBB63_70
	s_branch .LBB63_71
.LBB63_312:
	s_mov_b32 s25, -1
	s_mov_b32 s1, 0
	s_mov_b32 s24, s39
	s_branch .LBB63_317
.LBB63_313:
	s_mov_b32 s41, -1
	s_mov_b32 s27, 0
	s_mov_b32 s1, s18
	s_branch .LBB63_328
.LBB63_314:
	s_and_not1_saveexec_b32 s39, s39
	s_cbranch_execz .LBB63_82
.LBB63_315:
	v_add_f32_e32 v1, 0x42800000, v4
	s_and_not1_b32 s27, s27, exec_lo
	s_delay_alu instid0(VALU_DEP_1) | instskip(NEXT) | instid1(VALU_DEP_1)
	v_and_b32_e32 v1, 0xff, v1
	v_cmp_ne_u32_e32 vcc_lo, 0, v1
	s_and_b32 s41, vcc_lo, exec_lo
	s_delay_alu instid0(SALU_CYCLE_1)
	s_or_b32 s27, s27, s41
	s_or_b32 exec_lo, exec_lo, s39
	v_mov_b32_e32 v5, 0
	s_and_saveexec_b32 s39, s27
	s_cbranch_execnz .LBB63_83
	s_branch .LBB63_84
.LBB63_316:
	s_mov_b32 s24, -1
	s_mov_b32 s1, 0
.LBB63_317:
                                        ; implicit-def: $vgpr1
.LBB63_318:
	s_and_b32 vcc_lo, exec_lo, s25
	s_cbranch_vccz .LBB63_434
; %bb.319:
	s_cmp_eq_u32 s0, 44
	s_cbranch_scc0 .LBB63_433
; %bb.320:
	s_wait_loadcnt 0x0
	global_load_u8 v1, v[4:5], off
	s_mov_b32 s24, 0
	s_mov_b32 s1, -1
	s_wait_loadcnt 0x0
	v_lshlrev_b32_e32 v3, 23, v1
	v_cmp_ne_u32_e32 vcc_lo, 0xff, v1
	s_delay_alu instid0(VALU_DEP_2) | instskip(SKIP_1) | instid1(VALU_DEP_2)
	v_cndmask_b32_e32 v3, 0x7f800001, v3, vcc_lo
	v_cmp_ne_u32_e32 vcc_lo, 0, v1
	v_cndmask_b32_e32 v1, 0x400000, v3, vcc_lo
	s_delay_alu instid0(VALU_DEP_1) | instskip(SKIP_1) | instid1(VALU_DEP_2)
	v_add_nc_u32_e32 v3, 0x7fff, v1
	v_cmp_o_f32_e32 vcc_lo, v1, v1
	v_lshrrev_b32_e32 v3, 16, v3
	s_delay_alu instid0(VALU_DEP_1)
	v_cndmask_b32_e32 v1, 0x7fc0, v3, vcc_lo
	s_branch .LBB63_434
.LBB63_321:
	s_mov_b32 s41, -1
	s_mov_b32 s27, 0
	s_mov_b32 s1, s18
.LBB63_322:
	s_and_b32 vcc_lo, exec_lo, s41
	s_cbranch_vccz .LBB63_327
; %bb.323:
	s_cmp_eq_u32 s26, 44
	s_mov_b32 s1, -1
	s_cbranch_scc0 .LBB63_327
; %bb.324:
	s_wait_xcnt 0x0
	v_cndmask_b32_e64 v5, 0, 1.0, s0
	s_mov_b32 s27, exec_lo
	s_delay_alu instid0(VALU_DEP_1) | instskip(NEXT) | instid1(VALU_DEP_1)
	v_dual_mov_b32 v4, 0xff :: v_dual_lshrrev_b32 v1, 23, v5
	v_cmpx_ne_u32_e32 0xff, v1
; %bb.325:
	v_and_b32_e32 v4, 0x400000, v5
	v_and_or_b32 v5, 0x3fffff, v5, v1
	s_delay_alu instid0(VALU_DEP_2) | instskip(NEXT) | instid1(VALU_DEP_2)
	v_cmp_ne_u32_e32 vcc_lo, 0, v4
	v_cmp_ne_u32_e64 s1, 0, v5
	s_and_b32 s1, vcc_lo, s1
	s_delay_alu instid0(SALU_CYCLE_1) | instskip(NEXT) | instid1(VALU_DEP_1)
	v_cndmask_b32_e64 v4, 0, 1, s1
	v_add_nc_u32_e32 v4, v1, v4
; %bb.326:
	s_or_b32 exec_lo, exec_lo, s27
	s_mov_b32 s27, -1
	s_mov_b32 s1, 0
	global_store_b8 v[2:3], v4, off
.LBB63_327:
	s_mov_b32 s41, 0
.LBB63_328:
	s_delay_alu instid0(SALU_CYCLE_1)
	s_and_b32 vcc_lo, exec_lo, s41
	s_cbranch_vccz .LBB63_331
; %bb.329:
	s_cmp_eq_u32 s26, 29
	s_mov_b32 s1, -1
	s_cbranch_scc0 .LBB63_331
; %bb.330:
	s_mov_b32 s1, 0
	s_wait_xcnt 0x0
	v_cndmask_b32_e64 v4, 0, 1, s0
	v_mov_b32_e32 v5, s1
	s_mov_b32 s27, -1
	s_mov_b32 s41, 0
	global_store_b64 v[2:3], v[4:5], off
	s_branch .LBB63_332
.LBB63_331:
	s_mov_b32 s41, 0
.LBB63_332:
	s_delay_alu instid0(SALU_CYCLE_1)
	s_and_b32 vcc_lo, exec_lo, s41
	s_cbranch_vccz .LBB63_348
; %bb.333:
	s_cmp_lt_i32 s26, 27
	s_mov_b32 s27, -1
	s_cbranch_scc1 .LBB63_339
; %bb.334:
	s_cmp_gt_i32 s26, 27
	s_cbranch_scc0 .LBB63_336
; %bb.335:
	s_wait_xcnt 0x0
	v_cndmask_b32_e64 v1, 0, 1, s0
	s_mov_b32 s27, 0
	global_store_b32 v[2:3], v1, off
.LBB63_336:
	s_and_not1_b32 vcc_lo, exec_lo, s27
	s_cbranch_vccnz .LBB63_338
; %bb.337:
	s_wait_xcnt 0x0
	v_cndmask_b32_e64 v1, 0, 1, s0
	global_store_b16 v[2:3], v1, off
.LBB63_338:
	s_mov_b32 s27, 0
.LBB63_339:
	s_delay_alu instid0(SALU_CYCLE_1)
	s_and_not1_b32 vcc_lo, exec_lo, s27
	s_cbranch_vccnz .LBB63_347
; %bb.340:
	s_wait_xcnt 0x0
	v_cndmask_b32_e64 v4, 0, 1.0, s0
	v_mov_b32_e32 v5, 0x80
	s_mov_b32 s27, exec_lo
	s_delay_alu instid0(VALU_DEP_2)
	v_cmpx_gt_u32_e32 0x43800000, v4
	s_cbranch_execz .LBB63_346
; %bb.341:
	s_mov_b32 s41, 0
	s_mov_b32 s42, exec_lo
                                        ; implicit-def: $vgpr1
	v_cmpx_lt_u32_e32 0x3bffffff, v4
	s_xor_b32 s42, exec_lo, s42
	s_cbranch_execz .LBB63_576
; %bb.342:
	v_bfe_u32 v1, v4, 20, 1
	s_mov_b32 s41, exec_lo
	s_delay_alu instid0(VALU_DEP_1) | instskip(NEXT) | instid1(VALU_DEP_1)
	v_add3_u32 v1, v4, v1, 0x487ffff
                                        ; implicit-def: $vgpr4
	v_lshrrev_b32_e32 v1, 20, v1
	s_and_not1_saveexec_b32 s42, s42
	s_cbranch_execnz .LBB63_577
.LBB63_343:
	s_or_b32 exec_lo, exec_lo, s42
	v_mov_b32_e32 v5, 0
	s_and_saveexec_b32 s42, s41
.LBB63_344:
	v_mov_b32_e32 v5, v1
.LBB63_345:
	s_or_b32 exec_lo, exec_lo, s42
.LBB63_346:
	s_delay_alu instid0(SALU_CYCLE_1)
	s_or_b32 exec_lo, exec_lo, s27
	global_store_b8 v[2:3], v5, off
.LBB63_347:
	s_mov_b32 s27, -1
.LBB63_348:
	s_mov_b32 s41, 0
.LBB63_349:
	s_delay_alu instid0(SALU_CYCLE_1)
	s_and_b32 vcc_lo, exec_lo, s41
	s_cbranch_vccz .LBB63_390
; %bb.350:
	s_cmp_gt_i32 s26, 22
	s_mov_b32 s41, -1
	s_cbranch_scc0 .LBB63_382
; %bb.351:
	s_cmp_lt_i32 s26, 24
	s_mov_b32 s27, -1
	s_cbranch_scc1 .LBB63_371
; %bb.352:
	s_cmp_gt_i32 s26, 24
	s_cbranch_scc0 .LBB63_360
; %bb.353:
	s_wait_xcnt 0x0
	v_cndmask_b32_e64 v4, 0, 1.0, s0
	v_mov_b32_e32 v5, 0x80
	s_mov_b32 s27, exec_lo
	s_delay_alu instid0(VALU_DEP_2)
	v_cmpx_gt_u32_e32 0x47800000, v4
	s_cbranch_execz .LBB63_359
; %bb.354:
	s_mov_b32 s41, 0
	s_mov_b32 s42, exec_lo
                                        ; implicit-def: $vgpr1
	v_cmpx_lt_u32_e32 0x37ffffff, v4
	s_xor_b32 s42, exec_lo, s42
	s_cbranch_execz .LBB63_579
; %bb.355:
	v_bfe_u32 v1, v4, 21, 1
	s_mov_b32 s41, exec_lo
	s_delay_alu instid0(VALU_DEP_1) | instskip(NEXT) | instid1(VALU_DEP_1)
	v_add3_u32 v1, v4, v1, 0x88fffff
                                        ; implicit-def: $vgpr4
	v_lshrrev_b32_e32 v1, 21, v1
	s_and_not1_saveexec_b32 s42, s42
	s_cbranch_execnz .LBB63_580
.LBB63_356:
	s_or_b32 exec_lo, exec_lo, s42
	v_mov_b32_e32 v5, 0
	s_and_saveexec_b32 s42, s41
.LBB63_357:
	v_mov_b32_e32 v5, v1
.LBB63_358:
	s_or_b32 exec_lo, exec_lo, s42
.LBB63_359:
	s_delay_alu instid0(SALU_CYCLE_1)
	s_or_b32 exec_lo, exec_lo, s27
	s_mov_b32 s27, 0
	global_store_b8 v[2:3], v5, off
.LBB63_360:
	s_and_b32 vcc_lo, exec_lo, s27
	s_cbranch_vccz .LBB63_370
; %bb.361:
	s_wait_xcnt 0x0
	v_cndmask_b32_e64 v4, 0, 1.0, s0
	s_mov_b32 s27, exec_lo
                                        ; implicit-def: $vgpr1
	s_delay_alu instid0(VALU_DEP_1)
	v_cmpx_gt_u32_e32 0x43f00000, v4
	s_xor_b32 s27, exec_lo, s27
	s_cbranch_execz .LBB63_367
; %bb.362:
	s_mov_b32 s41, exec_lo
                                        ; implicit-def: $vgpr1
	v_cmpx_lt_u32_e32 0x3c7fffff, v4
	s_xor_b32 s41, exec_lo, s41
; %bb.363:
	v_bfe_u32 v1, v4, 20, 1
	s_delay_alu instid0(VALU_DEP_1) | instskip(NEXT) | instid1(VALU_DEP_1)
	v_add3_u32 v1, v4, v1, 0x407ffff
	v_and_b32_e32 v4, 0xff00000, v1
	v_lshrrev_b32_e32 v1, 20, v1
	s_delay_alu instid0(VALU_DEP_2) | instskip(NEXT) | instid1(VALU_DEP_2)
	v_cmp_ne_u32_e32 vcc_lo, 0x7f00000, v4
                                        ; implicit-def: $vgpr4
	v_cndmask_b32_e32 v1, 0x7e, v1, vcc_lo
; %bb.364:
	s_and_not1_saveexec_b32 s41, s41
; %bb.365:
	v_add_f32_e32 v1, 0x46800000, v4
; %bb.366:
	s_or_b32 exec_lo, exec_lo, s41
                                        ; implicit-def: $vgpr4
.LBB63_367:
	s_and_not1_saveexec_b32 s27, s27
; %bb.368:
	v_mov_b32_e32 v1, 0x7f
	v_cmp_lt_u32_e32 vcc_lo, 0x7f800000, v4
	s_delay_alu instid0(VALU_DEP_2)
	v_cndmask_b32_e32 v1, 0x7e, v1, vcc_lo
; %bb.369:
	s_or_b32 exec_lo, exec_lo, s27
	global_store_b8 v[2:3], v1, off
.LBB63_370:
	s_mov_b32 s27, 0
.LBB63_371:
	s_delay_alu instid0(SALU_CYCLE_1)
	s_and_not1_b32 vcc_lo, exec_lo, s27
	s_cbranch_vccnz .LBB63_381
; %bb.372:
	s_wait_xcnt 0x0
	v_cndmask_b32_e64 v4, 0, 1.0, s0
	s_mov_b32 s27, exec_lo
                                        ; implicit-def: $vgpr1
	s_delay_alu instid0(VALU_DEP_1)
	v_cmpx_gt_u32_e32 0x47800000, v4
	s_xor_b32 s27, exec_lo, s27
	s_cbranch_execz .LBB63_378
; %bb.373:
	s_mov_b32 s41, exec_lo
                                        ; implicit-def: $vgpr1
	v_cmpx_lt_u32_e32 0x387fffff, v4
	s_xor_b32 s41, exec_lo, s41
; %bb.374:
	v_bfe_u32 v1, v4, 21, 1
	s_delay_alu instid0(VALU_DEP_1) | instskip(NEXT) | instid1(VALU_DEP_1)
	v_add3_u32 v1, v4, v1, 0x80fffff
                                        ; implicit-def: $vgpr4
	v_lshrrev_b32_e32 v1, 21, v1
; %bb.375:
	s_and_not1_saveexec_b32 s41, s41
; %bb.376:
	v_add_f32_e32 v1, 0x43000000, v4
; %bb.377:
	s_or_b32 exec_lo, exec_lo, s41
                                        ; implicit-def: $vgpr4
.LBB63_378:
	s_and_not1_saveexec_b32 s27, s27
; %bb.379:
	v_mov_b32_e32 v1, 0x7f
	v_cmp_lt_u32_e32 vcc_lo, 0x7f800000, v4
	s_delay_alu instid0(VALU_DEP_2)
	v_cndmask_b32_e32 v1, 0x7c, v1, vcc_lo
; %bb.380:
	s_or_b32 exec_lo, exec_lo, s27
	global_store_b8 v[2:3], v1, off
.LBB63_381:
	s_mov_b32 s41, 0
	s_mov_b32 s27, -1
.LBB63_382:
	s_and_not1_b32 vcc_lo, exec_lo, s41
	s_cbranch_vccnz .LBB63_390
; %bb.383:
	s_cmp_gt_i32 s26, 14
	s_mov_b32 s41, -1
	s_cbranch_scc0 .LBB63_387
; %bb.384:
	s_cmp_eq_u32 s26, 15
	s_mov_b32 s1, -1
	s_cbranch_scc0 .LBB63_386
; %bb.385:
	s_wait_xcnt 0x0
	v_cndmask_b32_e64 v1, 0, 1.0, s0
	s_mov_b32 s27, -1
	s_mov_b32 s1, 0
	s_delay_alu instid0(VALU_DEP_1) | instskip(NEXT) | instid1(VALU_DEP_1)
	v_bfe_u32 v4, v1, 16, 1
	v_add3_u32 v1, v1, v4, 0x7fff
	global_store_d16_hi_b16 v[2:3], v1, off
.LBB63_386:
	s_mov_b32 s41, 0
.LBB63_387:
	s_delay_alu instid0(SALU_CYCLE_1)
	s_and_b32 vcc_lo, exec_lo, s41
	s_cbranch_vccz .LBB63_390
; %bb.388:
	s_cmp_eq_u32 s26, 11
	s_mov_b32 s1, -1
	s_cbranch_scc0 .LBB63_390
; %bb.389:
	s_wait_xcnt 0x0
	v_cndmask_b32_e64 v1, 0, 1, s0
	s_mov_b32 s27, -1
	s_mov_b32 s1, 0
	global_store_b8 v[2:3], v1, off
.LBB63_390:
	s_mov_b32 s26, 0
.LBB63_391:
	s_delay_alu instid0(SALU_CYCLE_1)
	s_and_b32 vcc_lo, exec_lo, s26
	s_cbranch_vccz .LBB63_430
; %bb.392:
	s_and_b32 s25, 0xffff, s25
	s_mov_b32 s26, -1
	s_cmp_lt_i32 s25, 5
	s_cbranch_scc1 .LBB63_413
; %bb.393:
	s_cmp_lt_i32 s25, 8
	s_cbranch_scc1 .LBB63_403
; %bb.394:
	;; [unrolled: 3-line block ×3, first 2 shown]
	s_cmp_gt_i32 s25, 9
	s_cbranch_scc0 .LBB63_397
; %bb.396:
	s_wait_xcnt 0x0
	v_cndmask_b32_e64 v1, 0, 1, s0
	v_mov_b32_e32 v6, 0
	s_mov_b32 s26, 0
	s_delay_alu instid0(VALU_DEP_2) | instskip(NEXT) | instid1(VALU_DEP_2)
	v_cvt_f64_u32_e32 v[4:5], v1
	v_mov_b32_e32 v7, v6
	global_store_b128 v[2:3], v[4:7], off
.LBB63_397:
	s_and_not1_b32 vcc_lo, exec_lo, s26
	s_cbranch_vccnz .LBB63_399
; %bb.398:
	s_wait_xcnt 0x0
	v_cndmask_b32_e64 v4, 0, 1.0, s0
	v_mov_b32_e32 v5, 0
	global_store_b64 v[2:3], v[4:5], off
.LBB63_399:
	s_mov_b32 s26, 0
.LBB63_400:
	s_delay_alu instid0(SALU_CYCLE_1)
	s_and_not1_b32 vcc_lo, exec_lo, s26
	s_cbranch_vccnz .LBB63_402
; %bb.401:
	s_wait_xcnt 0x0
	v_cndmask_b32_e64 v1, 0, 1.0, s0
	s_delay_alu instid0(VALU_DEP_1) | instskip(NEXT) | instid1(VALU_DEP_1)
	v_cvt_f16_f32_e32 v1, v1
	v_and_b32_e32 v1, 0xffff, v1
	global_store_b32 v[2:3], v1, off
.LBB63_402:
	s_mov_b32 s26, 0
.LBB63_403:
	s_delay_alu instid0(SALU_CYCLE_1)
	s_and_not1_b32 vcc_lo, exec_lo, s26
	s_cbranch_vccnz .LBB63_412
; %bb.404:
	s_cmp_lt_i32 s25, 6
	s_mov_b32 s26, -1
	s_cbranch_scc1 .LBB63_410
; %bb.405:
	s_cmp_gt_i32 s25, 6
	s_cbranch_scc0 .LBB63_407
; %bb.406:
	s_wait_xcnt 0x0
	v_cndmask_b32_e64 v1, 0, 1, s0
	s_mov_b32 s26, 0
	s_delay_alu instid0(VALU_DEP_1)
	v_cvt_f64_u32_e32 v[4:5], v1
	global_store_b64 v[2:3], v[4:5], off
.LBB63_407:
	s_and_not1_b32 vcc_lo, exec_lo, s26
	s_cbranch_vccnz .LBB63_409
; %bb.408:
	s_wait_xcnt 0x0
	v_cndmask_b32_e64 v1, 0, 1.0, s0
	global_store_b32 v[2:3], v1, off
.LBB63_409:
	s_mov_b32 s26, 0
.LBB63_410:
	s_delay_alu instid0(SALU_CYCLE_1)
	s_and_not1_b32 vcc_lo, exec_lo, s26
	s_cbranch_vccnz .LBB63_412
; %bb.411:
	s_wait_xcnt 0x0
	v_cndmask_b32_e64 v1, 0, 1.0, s0
	s_delay_alu instid0(VALU_DEP_1)
	v_cvt_f16_f32_e32 v1, v1
	global_store_b16 v[2:3], v1, off
.LBB63_412:
	s_mov_b32 s26, 0
.LBB63_413:
	s_delay_alu instid0(SALU_CYCLE_1)
	s_and_not1_b32 vcc_lo, exec_lo, s26
	s_cbranch_vccnz .LBB63_429
; %bb.414:
	s_cmp_lt_i32 s25, 2
	s_mov_b32 s26, -1
	s_cbranch_scc1 .LBB63_424
; %bb.415:
	s_cmp_lt_i32 s25, 3
	s_cbranch_scc1 .LBB63_421
; %bb.416:
	s_cmp_gt_i32 s25, 3
	s_cbranch_scc0 .LBB63_418
; %bb.417:
	s_mov_b32 s26, 0
	s_wait_xcnt 0x0
	v_cndmask_b32_e64 v4, 0, 1, s0
	v_mov_b32_e32 v5, s26
	global_store_b64 v[2:3], v[4:5], off
.LBB63_418:
	s_and_not1_b32 vcc_lo, exec_lo, s26
	s_cbranch_vccnz .LBB63_420
; %bb.419:
	s_wait_xcnt 0x0
	v_cndmask_b32_e64 v1, 0, 1, s0
	global_store_b32 v[2:3], v1, off
.LBB63_420:
	s_mov_b32 s26, 0
.LBB63_421:
	s_delay_alu instid0(SALU_CYCLE_1)
	s_and_not1_b32 vcc_lo, exec_lo, s26
	s_cbranch_vccnz .LBB63_423
; %bb.422:
	s_wait_xcnt 0x0
	v_cndmask_b32_e64 v1, 0, 1, s0
	global_store_b16 v[2:3], v1, off
.LBB63_423:
	s_mov_b32 s26, 0
.LBB63_424:
	s_delay_alu instid0(SALU_CYCLE_1)
	s_and_not1_b32 vcc_lo, exec_lo, s26
	s_cbranch_vccnz .LBB63_429
; %bb.425:
	s_wait_xcnt 0x0
	v_cndmask_b32_e64 v1, 0, 1, s0
	s_cmp_gt_i32 s25, 0
	s_mov_b32 s0, -1
	s_cbranch_scc0 .LBB63_427
; %bb.426:
	s_mov_b32 s0, 0
	global_store_b8 v[2:3], v1, off
.LBB63_427:
	s_and_not1_b32 vcc_lo, exec_lo, s0
	s_cbranch_vccnz .LBB63_429
; %bb.428:
	global_store_b8 v[2:3], v1, off
.LBB63_429:
	s_mov_b32 s27, -1
.LBB63_430:
	s_delay_alu instid0(SALU_CYCLE_1)
	s_and_not1_b32 vcc_lo, exec_lo, s27
	s_cbranch_vccnz .LBB63_432
; %bb.431:
	v_add_nc_u32_e32 v0, 0x80, v0
	s_mov_b32 s0, -1
	s_branch .LBB63_545
.LBB63_432:
	s_mov_b32 s0, 0
	s_branch .LBB63_544
.LBB63_433:
	s_mov_b32 s24, -1
                                        ; implicit-def: $vgpr1
.LBB63_434:
	s_mov_b32 s25, 0
.LBB63_435:
	s_delay_alu instid0(SALU_CYCLE_1)
	s_and_b32 vcc_lo, exec_lo, s25
	s_cbranch_vccz .LBB63_439
; %bb.436:
	s_cmp_eq_u32 s0, 29
	s_cbranch_scc0 .LBB63_438
; %bb.437:
	global_load_b64 v[6:7], v[4:5], off
	s_mov_b32 s1, -1
	s_mov_b32 s24, 0
	s_mov_b32 s25, 0
	s_wait_loadcnt 0x0
	v_clz_i32_u32_e32 v1, v7
	s_delay_alu instid0(VALU_DEP_1) | instskip(NEXT) | instid1(VALU_DEP_1)
	v_min_u32_e32 v1, 32, v1
	v_lshlrev_b64_e32 v[6:7], v1, v[6:7]
	v_sub_nc_u32_e32 v1, 32, v1
	s_delay_alu instid0(VALU_DEP_2) | instskip(NEXT) | instid1(VALU_DEP_1)
	v_min_u32_e32 v3, 1, v6
	v_or_b32_e32 v3, v7, v3
	s_delay_alu instid0(VALU_DEP_1) | instskip(NEXT) | instid1(VALU_DEP_1)
	v_cvt_f32_u32_e32 v3, v3
	v_ldexp_f32 v1, v3, v1
	s_delay_alu instid0(VALU_DEP_1) | instskip(NEXT) | instid1(VALU_DEP_1)
	v_bfe_u32 v3, v1, 16, 1
	v_add3_u32 v1, v1, v3, 0x7fff
	s_delay_alu instid0(VALU_DEP_1)
	v_lshrrev_b32_e32 v1, 16, v1
	s_branch .LBB63_440
.LBB63_438:
	s_mov_b32 s24, -1
                                        ; implicit-def: $vgpr1
.LBB63_439:
	s_mov_b32 s25, 0
.LBB63_440:
	s_delay_alu instid0(SALU_CYCLE_1)
	s_and_b32 vcc_lo, exec_lo, s25
	s_cbranch_vccz .LBB63_458
; %bb.441:
	s_cmp_lt_i32 s0, 27
	s_cbranch_scc1 .LBB63_444
; %bb.442:
	s_cmp_gt_i32 s0, 27
	s_cbranch_scc0 .LBB63_445
; %bb.443:
	s_wait_loadcnt 0x0
	global_load_b32 v1, v[4:5], off
	s_mov_b32 s1, 0
	s_wait_loadcnt 0x0
	v_cvt_f32_u32_e32 v1, v1
	s_delay_alu instid0(VALU_DEP_1) | instskip(NEXT) | instid1(VALU_DEP_1)
	v_bfe_u32 v3, v1, 16, 1
	v_add3_u32 v1, v1, v3, 0x7fff
	s_delay_alu instid0(VALU_DEP_1)
	v_lshrrev_b32_e32 v1, 16, v1
	s_branch .LBB63_446
.LBB63_444:
	s_mov_b32 s1, -1
                                        ; implicit-def: $vgpr1
	s_branch .LBB63_449
.LBB63_445:
	s_mov_b32 s1, -1
                                        ; implicit-def: $vgpr1
.LBB63_446:
	s_delay_alu instid0(SALU_CYCLE_1)
	s_and_not1_b32 vcc_lo, exec_lo, s1
	s_cbranch_vccnz .LBB63_448
; %bb.447:
	s_wait_loadcnt 0x0
	global_load_u16 v1, v[4:5], off
	s_wait_loadcnt 0x0
	v_cvt_f32_u32_e32 v1, v1
	s_delay_alu instid0(VALU_DEP_1) | instskip(NEXT) | instid1(VALU_DEP_1)
	v_bfe_u32 v3, v1, 16, 1
	v_add3_u32 v1, v1, v3, 0x7fff
	s_delay_alu instid0(VALU_DEP_1)
	v_lshrrev_b32_e32 v1, 16, v1
.LBB63_448:
	s_mov_b32 s1, 0
.LBB63_449:
	s_delay_alu instid0(SALU_CYCLE_1)
	s_and_not1_b32 vcc_lo, exec_lo, s1
	s_cbranch_vccnz .LBB63_457
; %bb.450:
	s_wait_loadcnt 0x0
	global_load_u8 v1, v[4:5], off
	s_mov_b32 s1, 0
	s_mov_b32 s25, exec_lo
	s_wait_loadcnt 0x0
	v_cmpx_lt_i16_e32 0x7f, v1
	s_xor_b32 s25, exec_lo, s25
	s_cbranch_execz .LBB63_471
; %bb.451:
	s_mov_b32 s1, -1
	s_mov_b32 s26, exec_lo
	v_cmpx_eq_u16_e32 0x80, v1
; %bb.452:
	s_xor_b32 s1, exec_lo, -1
; %bb.453:
	s_or_b32 exec_lo, exec_lo, s26
	s_delay_alu instid0(SALU_CYCLE_1)
	s_and_b32 s1, s1, exec_lo
	s_or_saveexec_b32 s25, s25
	v_mov_b32_e32 v3, 0x7f800001
	s_xor_b32 exec_lo, exec_lo, s25
	s_cbranch_execnz .LBB63_472
.LBB63_454:
	s_or_b32 exec_lo, exec_lo, s25
	s_and_saveexec_b32 s25, s1
	s_cbranch_execz .LBB63_456
.LBB63_455:
	v_and_b32_e32 v3, 0xffff, v1
	s_delay_alu instid0(VALU_DEP_1) | instskip(SKIP_1) | instid1(VALU_DEP_2)
	v_dual_lshlrev_b32 v1, 24, v1 :: v_dual_bitop2_b32 v6, 7, v3 bitop3:0x40
	v_bfe_u32 v9, v3, 3, 4
	v_and_b32_e32 v1, 0x80000000, v1
	s_delay_alu instid0(VALU_DEP_3) | instskip(NEXT) | instid1(VALU_DEP_3)
	v_clz_i32_u32_e32 v7, v6
	v_cmp_eq_u32_e32 vcc_lo, 0, v9
	s_delay_alu instid0(VALU_DEP_2) | instskip(NEXT) | instid1(VALU_DEP_1)
	v_min_u32_e32 v7, 32, v7
	v_subrev_nc_u32_e32 v8, 28, v7
	v_sub_nc_u32_e32 v7, 29, v7
	s_delay_alu instid0(VALU_DEP_2) | instskip(NEXT) | instid1(VALU_DEP_2)
	v_lshlrev_b32_e32 v3, v8, v3
	v_cndmask_b32_e32 v7, v9, v7, vcc_lo
	s_delay_alu instid0(VALU_DEP_2) | instskip(NEXT) | instid1(VALU_DEP_1)
	v_and_b32_e32 v3, 7, v3
	v_cndmask_b32_e32 v3, v6, v3, vcc_lo
	s_delay_alu instid0(VALU_DEP_3) | instskip(NEXT) | instid1(VALU_DEP_2)
	v_lshl_add_u32 v6, v7, 23, 0x3b800000
	v_lshlrev_b32_e32 v3, 20, v3
	s_delay_alu instid0(VALU_DEP_1)
	v_or3_b32 v3, v1, v6, v3
.LBB63_456:
	s_or_b32 exec_lo, exec_lo, s25
	s_delay_alu instid0(VALU_DEP_1) | instskip(SKIP_1) | instid1(VALU_DEP_2)
	v_bfe_u32 v1, v3, 16, 1
	v_cmp_o_f32_e32 vcc_lo, v3, v3
	v_add3_u32 v1, v3, v1, 0x7fff
	s_delay_alu instid0(VALU_DEP_1) | instskip(NEXT) | instid1(VALU_DEP_1)
	v_lshrrev_b32_e32 v1, 16, v1
	v_cndmask_b32_e32 v1, 0x7fc0, v1, vcc_lo
.LBB63_457:
	s_mov_b32 s1, -1
.LBB63_458:
	s_mov_b32 s25, 0
.LBB63_459:
	s_delay_alu instid0(SALU_CYCLE_1)
	s_and_b32 vcc_lo, exec_lo, s25
	s_cbranch_vccz .LBB63_494
; %bb.460:
	s_cmp_gt_i32 s0, 22
	s_cbranch_scc0 .LBB63_470
; %bb.461:
	s_cmp_lt_i32 s0, 24
	s_cbranch_scc1 .LBB63_473
; %bb.462:
	s_cmp_gt_i32 s0, 24
	s_cbranch_scc0 .LBB63_474
; %bb.463:
	s_wait_loadcnt 0x0
	global_load_u8 v1, v[4:5], off
	s_mov_b32 s1, 0
	s_mov_b32 s25, exec_lo
	s_wait_loadcnt 0x0
	v_cmpx_lt_i16_e32 0x7f, v1
	s_xor_b32 s25, exec_lo, s25
	s_cbranch_execz .LBB63_486
; %bb.464:
	s_mov_b32 s1, -1
	s_mov_b32 s26, exec_lo
	v_cmpx_eq_u16_e32 0x80, v1
; %bb.465:
	s_xor_b32 s1, exec_lo, -1
; %bb.466:
	s_or_b32 exec_lo, exec_lo, s26
	s_delay_alu instid0(SALU_CYCLE_1)
	s_and_b32 s1, s1, exec_lo
	s_or_saveexec_b32 s25, s25
	v_mov_b32_e32 v3, 0x7f800001
	s_xor_b32 exec_lo, exec_lo, s25
	s_cbranch_execnz .LBB63_487
.LBB63_467:
	s_or_b32 exec_lo, exec_lo, s25
	s_and_saveexec_b32 s25, s1
	s_cbranch_execz .LBB63_469
.LBB63_468:
	v_and_b32_e32 v3, 0xffff, v1
	s_delay_alu instid0(VALU_DEP_1) | instskip(SKIP_1) | instid1(VALU_DEP_2)
	v_dual_lshlrev_b32 v1, 24, v1 :: v_dual_bitop2_b32 v6, 3, v3 bitop3:0x40
	v_bfe_u32 v9, v3, 2, 5
	v_and_b32_e32 v1, 0x80000000, v1
	s_delay_alu instid0(VALU_DEP_3) | instskip(NEXT) | instid1(VALU_DEP_3)
	v_clz_i32_u32_e32 v7, v6
	v_cmp_eq_u32_e32 vcc_lo, 0, v9
	s_delay_alu instid0(VALU_DEP_2) | instskip(NEXT) | instid1(VALU_DEP_1)
	v_min_u32_e32 v7, 32, v7
	v_subrev_nc_u32_e32 v8, 29, v7
	v_sub_nc_u32_e32 v7, 30, v7
	s_delay_alu instid0(VALU_DEP_2) | instskip(NEXT) | instid1(VALU_DEP_2)
	v_lshlrev_b32_e32 v3, v8, v3
	v_cndmask_b32_e32 v7, v9, v7, vcc_lo
	s_delay_alu instid0(VALU_DEP_2) | instskip(NEXT) | instid1(VALU_DEP_1)
	v_and_b32_e32 v3, 3, v3
	v_cndmask_b32_e32 v3, v6, v3, vcc_lo
	s_delay_alu instid0(VALU_DEP_3) | instskip(NEXT) | instid1(VALU_DEP_2)
	v_lshl_add_u32 v6, v7, 23, 0x37800000
	v_lshlrev_b32_e32 v3, 21, v3
	s_delay_alu instid0(VALU_DEP_1)
	v_or3_b32 v3, v1, v6, v3
.LBB63_469:
	s_or_b32 exec_lo, exec_lo, s25
	s_delay_alu instid0(VALU_DEP_1) | instskip(SKIP_2) | instid1(VALU_DEP_2)
	v_bfe_u32 v1, v3, 16, 1
	v_cmp_o_f32_e32 vcc_lo, v3, v3
	s_mov_b32 s1, 0
	v_add3_u32 v1, v3, v1, 0x7fff
	s_delay_alu instid0(VALU_DEP_1) | instskip(NEXT) | instid1(VALU_DEP_1)
	v_lshrrev_b32_e32 v1, 16, v1
	v_cndmask_b32_e32 v1, 0x7fc0, v1, vcc_lo
	s_branch .LBB63_475
.LBB63_470:
	s_mov_b32 s25, -1
                                        ; implicit-def: $vgpr1
	s_branch .LBB63_481
.LBB63_471:
	s_or_saveexec_b32 s25, s25
	v_mov_b32_e32 v3, 0x7f800001
	s_xor_b32 exec_lo, exec_lo, s25
	s_cbranch_execz .LBB63_454
.LBB63_472:
	v_cmp_ne_u16_e32 vcc_lo, 0, v1
	v_mov_b32_e32 v3, 0
	s_and_not1_b32 s1, s1, exec_lo
	s_and_b32 s26, vcc_lo, exec_lo
	s_delay_alu instid0(SALU_CYCLE_1)
	s_or_b32 s1, s1, s26
	s_or_b32 exec_lo, exec_lo, s25
	s_and_saveexec_b32 s25, s1
	s_cbranch_execnz .LBB63_455
	s_branch .LBB63_456
.LBB63_473:
	s_mov_b32 s1, -1
                                        ; implicit-def: $vgpr1
	s_branch .LBB63_478
.LBB63_474:
	s_mov_b32 s1, -1
                                        ; implicit-def: $vgpr1
.LBB63_475:
	s_delay_alu instid0(SALU_CYCLE_1)
	s_and_b32 vcc_lo, exec_lo, s1
	s_cbranch_vccz .LBB63_477
; %bb.476:
	s_wait_loadcnt 0x0
	global_load_u8 v1, v[4:5], off
	s_wait_loadcnt 0x0
	v_lshlrev_b32_e32 v1, 24, v1
	s_delay_alu instid0(VALU_DEP_1) | instskip(NEXT) | instid1(VALU_DEP_1)
	v_and_b32_e32 v3, 0x7f000000, v1
	v_clz_i32_u32_e32 v6, v3
	v_cmp_ne_u32_e32 vcc_lo, 0, v3
	v_add_nc_u32_e32 v8, 0x1000000, v3
	s_delay_alu instid0(VALU_DEP_3) | instskip(NEXT) | instid1(VALU_DEP_1)
	v_min_u32_e32 v6, 32, v6
	v_sub_nc_u32_e64 v6, v6, 4 clamp
	s_delay_alu instid0(VALU_DEP_1) | instskip(NEXT) | instid1(VALU_DEP_1)
	v_dual_lshlrev_b32 v7, v6, v3 :: v_dual_lshlrev_b32 v6, 23, v6
	v_lshrrev_b32_e32 v7, 4, v7
	s_delay_alu instid0(VALU_DEP_1) | instskip(NEXT) | instid1(VALU_DEP_1)
	v_dual_sub_nc_u32 v6, v7, v6 :: v_dual_ashrrev_i32 v7, 8, v8
	v_add_nc_u32_e32 v6, 0x3c000000, v6
	s_delay_alu instid0(VALU_DEP_1) | instskip(NEXT) | instid1(VALU_DEP_1)
	v_and_or_b32 v6, 0x7f800000, v7, v6
	v_cndmask_b32_e32 v3, 0, v6, vcc_lo
	s_delay_alu instid0(VALU_DEP_1) | instskip(SKIP_1) | instid1(VALU_DEP_2)
	v_and_or_b32 v1, 0x80000000, v1, v3
	v_bfe_u32 v3, v3, 16, 1
	v_cmp_o_f32_e32 vcc_lo, v1, v1
	s_delay_alu instid0(VALU_DEP_2) | instskip(NEXT) | instid1(VALU_DEP_1)
	v_add3_u32 v3, v1, v3, 0x7fff
	v_lshrrev_b32_e32 v3, 16, v3
	s_delay_alu instid0(VALU_DEP_1)
	v_cndmask_b32_e32 v1, 0x7fc0, v3, vcc_lo
.LBB63_477:
	s_mov_b32 s1, 0
.LBB63_478:
	s_delay_alu instid0(SALU_CYCLE_1)
	s_and_not1_b32 vcc_lo, exec_lo, s1
	s_cbranch_vccnz .LBB63_480
; %bb.479:
	s_wait_loadcnt 0x0
	global_load_u8 v1, v[4:5], off
	s_wait_loadcnt 0x0
	v_lshlrev_b32_e32 v3, 25, v1
	v_lshlrev_b16 v1, 8, v1
	s_delay_alu instid0(VALU_DEP_1) | instskip(SKIP_1) | instid1(VALU_DEP_2)
	v_and_or_b32 v7, 0x7f00, v1, 0.5
	v_bfe_i32 v1, v1, 0, 16
	v_add_f32_e32 v7, -0.5, v7
	v_lshrrev_b32_e32 v6, 4, v3
	v_cmp_gt_u32_e32 vcc_lo, 0x8000000, v3
	s_delay_alu instid0(VALU_DEP_2) | instskip(NEXT) | instid1(VALU_DEP_1)
	v_or_b32_e32 v6, 0x70000000, v6
	v_mul_f32_e32 v6, 0x7800000, v6
	s_delay_alu instid0(VALU_DEP_1) | instskip(NEXT) | instid1(VALU_DEP_1)
	v_cndmask_b32_e32 v3, v6, v7, vcc_lo
	v_and_or_b32 v1, 0x80000000, v1, v3
	v_bfe_u32 v3, v3, 16, 1
	s_delay_alu instid0(VALU_DEP_2) | instskip(NEXT) | instid1(VALU_DEP_2)
	v_cmp_o_f32_e32 vcc_lo, v1, v1
	v_add3_u32 v3, v1, v3, 0x7fff
	s_delay_alu instid0(VALU_DEP_1) | instskip(NEXT) | instid1(VALU_DEP_1)
	v_lshrrev_b32_e32 v3, 16, v3
	v_cndmask_b32_e32 v1, 0x7fc0, v3, vcc_lo
.LBB63_480:
	s_mov_b32 s25, 0
	s_mov_b32 s1, -1
.LBB63_481:
	s_and_not1_b32 vcc_lo, exec_lo, s25
	s_cbranch_vccnz .LBB63_494
; %bb.482:
	s_cmp_gt_i32 s0, 14
	s_cbranch_scc0 .LBB63_485
; %bb.483:
	s_cmp_eq_u32 s0, 15
	s_cbranch_scc0 .LBB63_488
; %bb.484:
	s_wait_loadcnt 0x0
	global_load_u16 v1, v[4:5], off
	s_mov_b32 s1, -1
	s_mov_b32 s24, 0
	s_branch .LBB63_489
.LBB63_485:
	s_mov_b32 s25, -1
                                        ; implicit-def: $vgpr1
	s_branch .LBB63_490
.LBB63_486:
	s_or_saveexec_b32 s25, s25
	v_mov_b32_e32 v3, 0x7f800001
	s_xor_b32 exec_lo, exec_lo, s25
	s_cbranch_execz .LBB63_467
.LBB63_487:
	v_cmp_ne_u16_e32 vcc_lo, 0, v1
	v_mov_b32_e32 v3, 0
	s_and_not1_b32 s1, s1, exec_lo
	s_and_b32 s26, vcc_lo, exec_lo
	s_delay_alu instid0(SALU_CYCLE_1)
	s_or_b32 s1, s1, s26
	s_or_b32 exec_lo, exec_lo, s25
	s_and_saveexec_b32 s25, s1
	s_cbranch_execnz .LBB63_468
	s_branch .LBB63_469
.LBB63_488:
	s_mov_b32 s24, -1
                                        ; implicit-def: $vgpr1
.LBB63_489:
	s_mov_b32 s25, 0
.LBB63_490:
	s_delay_alu instid0(SALU_CYCLE_1)
	s_and_b32 vcc_lo, exec_lo, s25
	s_cbranch_vccz .LBB63_494
; %bb.491:
	s_cmp_eq_u32 s0, 11
	s_cbranch_scc0 .LBB63_493
; %bb.492:
	s_wait_loadcnt 0x0
	global_load_u8 v1, v[4:5], off
	s_mov_b32 s24, 0
	s_mov_b32 s1, -1
	s_wait_loadcnt 0x0
	v_cmp_ne_u16_e32 vcc_lo, 0, v1
	v_cndmask_b32_e64 v1, 0, 1.0, vcc_lo
	s_delay_alu instid0(VALU_DEP_1)
	v_lshrrev_b32_e32 v1, 16, v1
	s_branch .LBB63_494
.LBB63_493:
	s_mov_b32 s24, -1
                                        ; implicit-def: $vgpr1
.LBB63_494:
	s_branch .LBB63_296
.LBB63_495:
	s_cmp_lt_i32 s0, 5
	s_cbranch_scc1 .LBB63_500
; %bb.496:
	s_cmp_lt_i32 s0, 8
	s_cbranch_scc1 .LBB63_501
; %bb.497:
	;; [unrolled: 3-line block ×3, first 2 shown]
	s_cmp_gt_i32 s0, 9
	s_cbranch_scc0 .LBB63_503
; %bb.499:
	global_load_b64 v[6:7], v[4:5], off
	s_mov_b32 s1, 0
	s_wait_loadcnt 0x0
	v_cvt_f32_f64_e32 v1, v[6:7]
	s_delay_alu instid0(VALU_DEP_1) | instskip(SKIP_1) | instid1(VALU_DEP_2)
	v_bfe_u32 v3, v1, 16, 1
	v_cmp_o_f32_e32 vcc_lo, v1, v1
	v_add3_u32 v3, v1, v3, 0x7fff
	s_delay_alu instid0(VALU_DEP_1) | instskip(NEXT) | instid1(VALU_DEP_1)
	v_lshrrev_b32_e32 v3, 16, v3
	v_cndmask_b32_e32 v1, 0x7fc0, v3, vcc_lo
	s_branch .LBB63_504
.LBB63_500:
	s_mov_b32 s1, -1
                                        ; implicit-def: $vgpr1
	s_branch .LBB63_522
.LBB63_501:
	s_mov_b32 s1, -1
                                        ; implicit-def: $vgpr1
	s_branch .LBB63_510
.LBB63_502:
	s_mov_b32 s1, -1
                                        ; implicit-def: $vgpr1
	s_branch .LBB63_507
.LBB63_503:
	s_mov_b32 s1, -1
                                        ; implicit-def: $vgpr1
.LBB63_504:
	s_delay_alu instid0(SALU_CYCLE_1)
	s_and_not1_b32 vcc_lo, exec_lo, s1
	s_cbranch_vccnz .LBB63_506
; %bb.505:
	s_wait_loadcnt 0x0
	global_load_b32 v1, v[4:5], off
	s_wait_loadcnt 0x0
	v_bfe_u32 v3, v1, 16, 1
	v_cmp_o_f32_e32 vcc_lo, v1, v1
	s_delay_alu instid0(VALU_DEP_2) | instskip(NEXT) | instid1(VALU_DEP_1)
	v_add3_u32 v3, v1, v3, 0x7fff
	v_lshrrev_b32_e32 v3, 16, v3
	s_delay_alu instid0(VALU_DEP_1)
	v_cndmask_b32_e32 v1, 0x7fc0, v3, vcc_lo
.LBB63_506:
	s_mov_b32 s1, 0
.LBB63_507:
	s_delay_alu instid0(SALU_CYCLE_1)
	s_and_not1_b32 vcc_lo, exec_lo, s1
	s_cbranch_vccnz .LBB63_509
; %bb.508:
	s_wait_loadcnt 0x0
	global_load_b32 v1, v[4:5], off
	s_wait_loadcnt 0x0
	v_cvt_f32_f16_e32 v3, v1
	v_cmp_o_f16_e32 vcc_lo, v1, v1
	s_delay_alu instid0(VALU_DEP_2) | instskip(NEXT) | instid1(VALU_DEP_1)
	v_bfe_u32 v6, v3, 16, 1
	v_add3_u32 v3, v3, v6, 0x7fff
	s_delay_alu instid0(VALU_DEP_1) | instskip(NEXT) | instid1(VALU_DEP_1)
	v_lshrrev_b32_e32 v3, 16, v3
	v_cndmask_b32_e32 v1, 0x7fc0, v3, vcc_lo
.LBB63_509:
	s_mov_b32 s1, 0
.LBB63_510:
	s_delay_alu instid0(SALU_CYCLE_1)
	s_and_not1_b32 vcc_lo, exec_lo, s1
	s_cbranch_vccnz .LBB63_521
; %bb.511:
	s_cmp_lt_i32 s0, 6
	s_cbranch_scc1 .LBB63_514
; %bb.512:
	s_cmp_gt_i32 s0, 6
	s_cbranch_scc0 .LBB63_515
; %bb.513:
	global_load_b64 v[6:7], v[4:5], off
	s_mov_b32 s1, 0
	s_wait_loadcnt 0x0
	v_cvt_f32_f64_e32 v1, v[6:7]
	s_delay_alu instid0(VALU_DEP_1) | instskip(SKIP_1) | instid1(VALU_DEP_2)
	v_bfe_u32 v3, v1, 16, 1
	v_cmp_o_f32_e32 vcc_lo, v1, v1
	v_add3_u32 v3, v1, v3, 0x7fff
	s_delay_alu instid0(VALU_DEP_1) | instskip(NEXT) | instid1(VALU_DEP_1)
	v_lshrrev_b32_e32 v3, 16, v3
	v_cndmask_b32_e32 v1, 0x7fc0, v3, vcc_lo
	s_branch .LBB63_516
.LBB63_514:
	s_mov_b32 s1, -1
                                        ; implicit-def: $vgpr1
	s_branch .LBB63_519
.LBB63_515:
	s_mov_b32 s1, -1
                                        ; implicit-def: $vgpr1
.LBB63_516:
	s_delay_alu instid0(SALU_CYCLE_1)
	s_and_not1_b32 vcc_lo, exec_lo, s1
	s_cbranch_vccnz .LBB63_518
; %bb.517:
	s_wait_loadcnt 0x0
	global_load_b32 v1, v[4:5], off
	s_wait_loadcnt 0x0
	v_bfe_u32 v3, v1, 16, 1
	v_cmp_o_f32_e32 vcc_lo, v1, v1
	s_delay_alu instid0(VALU_DEP_2) | instskip(NEXT) | instid1(VALU_DEP_1)
	v_add3_u32 v3, v1, v3, 0x7fff
	v_lshrrev_b32_e32 v3, 16, v3
	s_delay_alu instid0(VALU_DEP_1)
	v_cndmask_b32_e32 v1, 0x7fc0, v3, vcc_lo
.LBB63_518:
	s_mov_b32 s1, 0
.LBB63_519:
	s_delay_alu instid0(SALU_CYCLE_1)
	s_and_not1_b32 vcc_lo, exec_lo, s1
	s_cbranch_vccnz .LBB63_521
; %bb.520:
	s_wait_loadcnt 0x0
	global_load_u16 v1, v[4:5], off
	s_wait_loadcnt 0x0
	v_cvt_f32_f16_e32 v3, v1
	v_cmp_o_f16_e32 vcc_lo, v1, v1
	s_delay_alu instid0(VALU_DEP_2) | instskip(NEXT) | instid1(VALU_DEP_1)
	v_bfe_u32 v6, v3, 16, 1
	v_add3_u32 v3, v3, v6, 0x7fff
	s_delay_alu instid0(VALU_DEP_1) | instskip(NEXT) | instid1(VALU_DEP_1)
	v_lshrrev_b32_e32 v3, 16, v3
	v_cndmask_b32_e32 v1, 0x7fc0, v3, vcc_lo
.LBB63_521:
	s_mov_b32 s1, 0
.LBB63_522:
	s_delay_alu instid0(SALU_CYCLE_1)
	s_and_not1_b32 vcc_lo, exec_lo, s1
	s_cbranch_vccnz .LBB63_542
; %bb.523:
	s_cmp_lt_i32 s0, 2
	s_cbranch_scc1 .LBB63_527
; %bb.524:
	s_cmp_lt_i32 s0, 3
	s_cbranch_scc1 .LBB63_528
; %bb.525:
	s_cmp_gt_i32 s0, 3
	s_cbranch_scc0 .LBB63_529
; %bb.526:
	global_load_b64 v[6:7], v[4:5], off
	s_mov_b32 s1, 0
	s_wait_loadcnt 0x0
	v_xor_b32_e32 v1, v6, v7
	v_cls_i32_e32 v3, v7
	s_delay_alu instid0(VALU_DEP_2) | instskip(NEXT) | instid1(VALU_DEP_1)
	v_ashrrev_i32_e32 v1, 31, v1
	v_add_nc_u32_e32 v1, 32, v1
	s_delay_alu instid0(VALU_DEP_1) | instskip(NEXT) | instid1(VALU_DEP_1)
	v_add_min_u32_e64 v1, v3, -1, v1
	v_lshlrev_b64_e32 v[6:7], v1, v[6:7]
	v_sub_nc_u32_e32 v1, 32, v1
	s_delay_alu instid0(VALU_DEP_2) | instskip(NEXT) | instid1(VALU_DEP_1)
	v_min_u32_e32 v3, 1, v6
	v_or_b32_e32 v3, v7, v3
	s_delay_alu instid0(VALU_DEP_1) | instskip(NEXT) | instid1(VALU_DEP_1)
	v_cvt_f32_i32_e32 v3, v3
	v_ldexp_f32 v1, v3, v1
	s_delay_alu instid0(VALU_DEP_1) | instskip(NEXT) | instid1(VALU_DEP_1)
	v_bfe_u32 v3, v1, 16, 1
	v_add3_u32 v1, v1, v3, 0x7fff
	s_delay_alu instid0(VALU_DEP_1)
	v_lshrrev_b32_e32 v1, 16, v1
	s_branch .LBB63_530
.LBB63_527:
	s_mov_b32 s1, -1
                                        ; implicit-def: $vgpr1
	s_branch .LBB63_536
.LBB63_528:
	s_mov_b32 s1, -1
                                        ; implicit-def: $vgpr1
	s_branch .LBB63_533
.LBB63_529:
	s_mov_b32 s1, -1
                                        ; implicit-def: $vgpr1
.LBB63_530:
	s_delay_alu instid0(SALU_CYCLE_1)
	s_and_not1_b32 vcc_lo, exec_lo, s1
	s_cbranch_vccnz .LBB63_532
; %bb.531:
	s_wait_loadcnt 0x0
	global_load_b32 v1, v[4:5], off
	s_wait_loadcnt 0x0
	v_cvt_f32_i32_e32 v1, v1
	s_delay_alu instid0(VALU_DEP_1) | instskip(NEXT) | instid1(VALU_DEP_1)
	v_bfe_u32 v3, v1, 16, 1
	v_add3_u32 v1, v1, v3, 0x7fff
	s_delay_alu instid0(VALU_DEP_1)
	v_lshrrev_b32_e32 v1, 16, v1
.LBB63_532:
	s_mov_b32 s1, 0
.LBB63_533:
	s_delay_alu instid0(SALU_CYCLE_1)
	s_and_not1_b32 vcc_lo, exec_lo, s1
	s_cbranch_vccnz .LBB63_535
; %bb.534:
	s_wait_loadcnt 0x0
	global_load_i16 v1, v[4:5], off
	s_wait_loadcnt 0x0
	v_cvt_f32_i32_e32 v1, v1
	s_delay_alu instid0(VALU_DEP_1) | instskip(NEXT) | instid1(VALU_DEP_1)
	v_bfe_u32 v3, v1, 16, 1
	v_add3_u32 v1, v1, v3, 0x7fff
	s_delay_alu instid0(VALU_DEP_1)
	v_lshrrev_b32_e32 v1, 16, v1
.LBB63_535:
	s_mov_b32 s1, 0
.LBB63_536:
	s_delay_alu instid0(SALU_CYCLE_1)
	s_and_not1_b32 vcc_lo, exec_lo, s1
	s_cbranch_vccnz .LBB63_542
; %bb.537:
	s_cmp_gt_i32 s0, 0
	s_mov_b32 s0, 0
	s_cbranch_scc0 .LBB63_539
; %bb.538:
	s_wait_loadcnt 0x0
	global_load_i8 v1, v[4:5], off
	s_wait_loadcnt 0x0
	v_cvt_f32_i32_e32 v1, v1
	s_delay_alu instid0(VALU_DEP_1) | instskip(NEXT) | instid1(VALU_DEP_1)
	v_bfe_u32 v3, v1, 16, 1
	v_add3_u32 v1, v1, v3, 0x7fff
	s_delay_alu instid0(VALU_DEP_1)
	v_lshrrev_b32_e32 v1, 16, v1
	s_branch .LBB63_540
.LBB63_539:
	s_mov_b32 s0, -1
                                        ; implicit-def: $vgpr1
.LBB63_540:
	s_delay_alu instid0(SALU_CYCLE_1)
	s_and_not1_b32 vcc_lo, exec_lo, s0
	s_cbranch_vccnz .LBB63_542
; %bb.541:
	s_wait_loadcnt 0x0
	global_load_u8 v1, v[4:5], off
	s_wait_loadcnt 0x0
	v_cvt_f32_ubyte0_e32 v1, v1
	s_delay_alu instid0(VALU_DEP_1) | instskip(NEXT) | instid1(VALU_DEP_1)
	v_bfe_u32 v3, v1, 16, 1
	v_add3_u32 v1, v1, v3, 0x7fff
	s_delay_alu instid0(VALU_DEP_1)
	v_lshrrev_b32_e32 v1, 16, v1
.LBB63_542:
	s_branch .LBB63_297
.LBB63_543:
	s_mov_b32 s0, 0
	s_mov_b32 s1, s18
.LBB63_544:
                                        ; implicit-def: $vgpr0
.LBB63_545:
	s_and_not1_b32 s25, s18, exec_lo
	s_and_b32 s1, s1, exec_lo
	s_and_not1_b32 s26, s39, exec_lo
	s_and_b32 s24, s24, exec_lo
	s_or_b32 s42, s25, s1
	s_or_b32 s41, s26, s24
	s_or_not1_b32 s0, s0, exec_lo
.LBB63_546:
	s_wait_xcnt 0x0
	s_or_b32 exec_lo, exec_lo, s43
	s_mov_b32 s1, 0
	s_mov_b32 s24, 0
	;; [unrolled: 1-line block ×3, first 2 shown]
                                        ; implicit-def: $vgpr4_vgpr5
                                        ; implicit-def: $vgpr2
                                        ; implicit-def: $vgpr6
	s_and_saveexec_b32 s43, s0
	s_cbranch_execz .LBB63_927
; %bb.547:
	s_mov_b32 s25, -1
	s_mov_b32 s26, s41
	s_mov_b32 s27, s42
	s_mov_b32 s44, exec_lo
	v_cmpx_gt_i32_e64 s36, v0
	s_cbranch_execz .LBB63_824
; %bb.548:
	s_and_not1_b32 vcc_lo, exec_lo, s31
	s_cbranch_vccnz .LBB63_554
; %bb.549:
	s_and_not1_b32 vcc_lo, exec_lo, s38
	s_cbranch_vccnz .LBB63_555
; %bb.550:
	s_add_co_i32 s1, s37, 1
	s_cmp_eq_u32 s29, 2
	s_cbranch_scc1 .LBB63_556
; %bb.551:
	v_dual_mov_b32 v2, 0 :: v_dual_mov_b32 v4, 0
	s_wait_loadcnt 0x0
	v_mov_b32_e32 v1, v0
	s_and_b32 s0, s1, 28
	s_mov_b32 s45, 0
	s_mov_b64 s[24:25], s[2:3]
	s_mov_b64 s[26:27], s[22:23]
.LBB63_552:                             ; =>This Inner Loop Header: Depth=1
	s_clause 0x1
	s_load_b256 s[48:55], s[24:25], 0x4
	s_load_b128 s[64:67], s[24:25], 0x24
	s_load_b256 s[56:63], s[26:27], 0x0
	s_add_co_i32 s45, s45, 4
	s_wait_xcnt 0x0
	s_add_nc_u64 s[24:25], s[24:25], 48
	s_cmp_eq_u32 s0, s45
	s_add_nc_u64 s[26:27], s[26:27], 32
	s_wait_kmcnt 0x0
	v_mul_hi_u32 v3, s49, v1
	s_delay_alu instid0(VALU_DEP_1) | instskip(NEXT) | instid1(VALU_DEP_1)
	v_add_nc_u32_e32 v3, v1, v3
	v_lshrrev_b32_e32 v3, s50, v3
	s_delay_alu instid0(VALU_DEP_1) | instskip(NEXT) | instid1(VALU_DEP_1)
	v_mul_hi_u32 v5, s52, v3
	v_add_nc_u32_e32 v5, v3, v5
	s_delay_alu instid0(VALU_DEP_1) | instskip(NEXT) | instid1(VALU_DEP_1)
	v_lshrrev_b32_e32 v5, s53, v5
	v_mul_hi_u32 v6, s55, v5
	s_delay_alu instid0(VALU_DEP_1) | instskip(SKIP_1) | instid1(VALU_DEP_1)
	v_add_nc_u32_e32 v6, v5, v6
	v_mul_lo_u32 v7, v3, s48
	v_sub_nc_u32_e32 v1, v1, v7
	v_mul_lo_u32 v7, v5, s51
	s_delay_alu instid0(VALU_DEP_4) | instskip(NEXT) | instid1(VALU_DEP_3)
	v_lshrrev_b32_e32 v6, s64, v6
	v_mad_u32 v4, v1, s57, v4
	v_mad_u32 v1, v1, s56, v2
	s_delay_alu instid0(VALU_DEP_4) | instskip(NEXT) | instid1(VALU_DEP_4)
	v_sub_nc_u32_e32 v2, v3, v7
	v_mul_hi_u32 v8, s66, v6
	v_mul_lo_u32 v3, v6, s54
	s_delay_alu instid0(VALU_DEP_3) | instskip(SKIP_1) | instid1(VALU_DEP_3)
	v_mad_u32 v4, v2, s59, v4
	v_mad_u32 v2, v2, s58, v1
	v_dual_add_nc_u32 v7, v6, v8 :: v_dual_sub_nc_u32 v3, v5, v3
	s_delay_alu instid0(VALU_DEP_1) | instskip(NEXT) | instid1(VALU_DEP_2)
	v_lshrrev_b32_e32 v1, s67, v7
	v_mad_u32 v4, v3, s61, v4
	s_delay_alu instid0(VALU_DEP_4) | instskip(NEXT) | instid1(VALU_DEP_3)
	v_mad_u32 v2, v3, s60, v2
	v_mul_lo_u32 v5, v1, s65
	s_delay_alu instid0(VALU_DEP_1) | instskip(NEXT) | instid1(VALU_DEP_1)
	v_sub_nc_u32_e32 v3, v6, v5
	v_mad_u32 v4, v3, s63, v4
	s_delay_alu instid0(VALU_DEP_4)
	v_mad_u32 v2, v3, s62, v2
	s_cbranch_scc0 .LBB63_552
; %bb.553:
	s_delay_alu instid0(VALU_DEP_2)
	v_mov_b32_e32 v3, v4
	s_branch .LBB63_557
.LBB63_554:
	s_mov_b32 s0, -1
                                        ; implicit-def: $vgpr4
                                        ; implicit-def: $vgpr2
	s_branch .LBB63_562
.LBB63_555:
	v_dual_mov_b32 v4, 0 :: v_dual_mov_b32 v2, 0
	s_branch .LBB63_561
.LBB63_556:
	v_mov_b64_e32 v[2:3], 0
	s_wait_loadcnt 0x0
	v_mov_b32_e32 v1, v0
	s_mov_b32 s0, 0
                                        ; implicit-def: $vgpr4
.LBB63_557:
	s_and_b32 s26, s1, 3
	s_mov_b32 s1, 0
	s_cmp_eq_u32 s26, 0
	s_cbranch_scc1 .LBB63_561
; %bb.558:
	s_lshl_b32 s24, s0, 3
	s_mov_b32 s25, s1
	s_mul_u64 s[46:47], s[0:1], 12
	s_add_nc_u64 s[24:25], s[2:3], s[24:25]
	s_delay_alu instid0(SALU_CYCLE_1)
	s_add_nc_u64 s[0:1], s[24:25], 0xc4
	s_add_nc_u64 s[24:25], s[2:3], s[46:47]
.LBB63_559:                             ; =>This Inner Loop Header: Depth=1
	s_load_b96 s[48:50], s[24:25], 0x4
	s_load_b64 s[46:47], s[0:1], 0x0
	s_add_co_i32 s26, s26, -1
	s_wait_xcnt 0x0
	s_add_nc_u64 s[24:25], s[24:25], 12
	s_cmp_lg_u32 s26, 0
	s_add_nc_u64 s[0:1], s[0:1], 8
	s_wait_kmcnt 0x0
	v_mul_hi_u32 v4, s49, v1
	s_delay_alu instid0(VALU_DEP_1) | instskip(NEXT) | instid1(VALU_DEP_1)
	v_add_nc_u32_e32 v4, v1, v4
	v_lshrrev_b32_e32 v4, s50, v4
	s_delay_alu instid0(VALU_DEP_1) | instskip(NEXT) | instid1(VALU_DEP_1)
	v_mul_lo_u32 v5, v4, s48
	v_sub_nc_u32_e32 v1, v1, v5
	s_delay_alu instid0(VALU_DEP_1)
	v_mad_u32 v3, v1, s47, v3
	v_mad_u32 v2, v1, s46, v2
	v_mov_b32_e32 v1, v4
	s_cbranch_scc1 .LBB63_559
; %bb.560:
	s_delay_alu instid0(VALU_DEP_3)
	v_mov_b32_e32 v4, v3
.LBB63_561:
	s_mov_b32 s0, 0
.LBB63_562:
	s_delay_alu instid0(SALU_CYCLE_1)
	s_and_not1_b32 vcc_lo, exec_lo, s0
	s_cbranch_vccnz .LBB63_565
; %bb.563:
	s_wait_loadcnt 0x0
	v_mov_b32_e32 v1, 0
	s_and_not1_b32 vcc_lo, exec_lo, s35
	s_delay_alu instid0(VALU_DEP_1) | instskip(NEXT) | instid1(VALU_DEP_1)
	v_mul_u64_e32 v[2:3], s[16:17], v[0:1]
	v_add_nc_u32_e32 v2, v0, v3
	s_delay_alu instid0(VALU_DEP_1) | instskip(NEXT) | instid1(VALU_DEP_1)
	v_lshrrev_b32_e32 v6, s14, v2
	v_mul_lo_u32 v2, v6, s12
	s_delay_alu instid0(VALU_DEP_1) | instskip(NEXT) | instid1(VALU_DEP_1)
	v_sub_nc_u32_e32 v2, v0, v2
	v_mul_lo_u32 v4, v2, s9
	v_mul_lo_u32 v2, v2, s8
	s_cbranch_vccnz .LBB63_565
; %bb.564:
	v_mov_b32_e32 v7, v1
	s_delay_alu instid0(VALU_DEP_1) | instskip(NEXT) | instid1(VALU_DEP_1)
	v_mul_u64_e32 v[8:9], s[20:21], v[6:7]
	v_add_nc_u32_e32 v1, v6, v9
	s_delay_alu instid0(VALU_DEP_1) | instskip(NEXT) | instid1(VALU_DEP_1)
	v_lshrrev_b32_e32 v1, s19, v1
	v_mul_lo_u32 v1, v1, s15
	s_delay_alu instid0(VALU_DEP_1) | instskip(NEXT) | instid1(VALU_DEP_1)
	v_sub_nc_u32_e32 v1, v6, v1
	v_mad_u32 v2, v1, s10, v2
	v_mad_u32 v4, v1, s11, v4
.LBB63_565:
	v_mov_b32_e32 v5, 0
	s_and_b32 s0, 0xffff, s13
	s_delay_alu instid0(SALU_CYCLE_1) | instskip(NEXT) | instid1(VALU_DEP_1)
	s_cmp_lt_i32 s0, 11
	v_add_nc_u64_e32 v[4:5], s[6:7], v[4:5]
	s_cbranch_scc1 .LBB63_572
; %bb.566:
	s_cmp_gt_i32 s0, 25
	s_cbranch_scc0 .LBB63_573
; %bb.567:
	s_cmp_gt_i32 s0, 28
	s_cbranch_scc0 .LBB63_574
	;; [unrolled: 3-line block ×4, first 2 shown]
; %bb.570:
	s_cmp_eq_u32 s0, 46
	s_mov_b32 s25, 0
	s_cbranch_scc0 .LBB63_581
; %bb.571:
	s_wait_loadcnt 0x0
	global_load_b32 v1, v[4:5], off
	s_mov_b32 s1, -1
	s_mov_b32 s24, 0
	s_branch .LBB63_583
.LBB63_572:
	s_mov_b32 s25, -1
	s_mov_b32 s1, 0
	s_mov_b32 s24, s41
                                        ; implicit-def: $vgpr1
	s_branch .LBB63_648
.LBB63_573:
	s_mov_b32 s25, -1
	s_mov_b32 s1, 0
	s_mov_b32 s24, s41
                                        ; implicit-def: $vgpr1
	s_branch .LBB63_612
.LBB63_574:
	s_mov_b32 s25, -1
	s_mov_b32 s1, 0
	s_mov_b32 s24, s41
                                        ; implicit-def: $vgpr1
	s_branch .LBB63_593
.LBB63_575:
	s_mov_b32 s25, -1
	s_mov_b32 s1, 0
	s_mov_b32 s24, s41
                                        ; implicit-def: $vgpr1
	s_branch .LBB63_588
.LBB63_576:
	s_and_not1_saveexec_b32 s42, s42
	s_cbranch_execz .LBB63_343
.LBB63_577:
	v_add_f32_e32 v1, 0x46000000, v4
	s_and_not1_b32 s41, s41, exec_lo
	s_delay_alu instid0(VALU_DEP_1) | instskip(NEXT) | instid1(VALU_DEP_1)
	v_and_b32_e32 v1, 0xff, v1
	v_cmp_ne_u32_e32 vcc_lo, 0, v1
	s_and_b32 s44, vcc_lo, exec_lo
	s_delay_alu instid0(SALU_CYCLE_1)
	s_or_b32 s41, s41, s44
	s_or_b32 exec_lo, exec_lo, s42
	v_mov_b32_e32 v5, 0
	s_and_saveexec_b32 s42, s41
	s_cbranch_execnz .LBB63_344
	s_branch .LBB63_345
.LBB63_578:
	s_mov_b32 s25, -1
	s_mov_b32 s1, 0
	s_mov_b32 s24, s41
	s_branch .LBB63_582
.LBB63_579:
	s_and_not1_saveexec_b32 s42, s42
	s_cbranch_execz .LBB63_356
.LBB63_580:
	v_add_f32_e32 v1, 0x42800000, v4
	s_and_not1_b32 s41, s41, exec_lo
	s_delay_alu instid0(VALU_DEP_1) | instskip(NEXT) | instid1(VALU_DEP_1)
	v_and_b32_e32 v1, 0xff, v1
	v_cmp_ne_u32_e32 vcc_lo, 0, v1
	s_and_b32 s44, vcc_lo, exec_lo
	s_delay_alu instid0(SALU_CYCLE_1)
	s_or_b32 s41, s41, s44
	s_or_b32 exec_lo, exec_lo, s42
	v_mov_b32_e32 v5, 0
	s_and_saveexec_b32 s42, s41
	s_cbranch_execnz .LBB63_357
	s_branch .LBB63_358
.LBB63_581:
	s_mov_b32 s24, -1
	s_mov_b32 s1, 0
.LBB63_582:
                                        ; implicit-def: $vgpr1
.LBB63_583:
	s_and_b32 vcc_lo, exec_lo, s25
	s_cbranch_vccz .LBB63_587
; %bb.584:
	s_cmp_eq_u32 s0, 44
	s_cbranch_scc0 .LBB63_586
; %bb.585:
	s_wait_loadcnt 0x0
	global_load_u8 v1, v[4:5], off
	s_mov_b32 s24, 0
	s_mov_b32 s1, -1
	s_wait_loadcnt 0x0
	v_lshlrev_b32_e32 v3, 23, v1
	v_cmp_ne_u32_e32 vcc_lo, 0xff, v1
	s_delay_alu instid0(VALU_DEP_2) | instskip(SKIP_1) | instid1(VALU_DEP_2)
	v_cndmask_b32_e32 v3, 0x7f800001, v3, vcc_lo
	v_cmp_ne_u32_e32 vcc_lo, 0, v1
	v_cndmask_b32_e32 v1, 0x400000, v3, vcc_lo
	s_delay_alu instid0(VALU_DEP_1) | instskip(SKIP_1) | instid1(VALU_DEP_2)
	v_add_nc_u32_e32 v3, 0x7fff, v1
	v_cmp_o_f32_e32 vcc_lo, v1, v1
	v_lshrrev_b32_e32 v3, 16, v3
	s_delay_alu instid0(VALU_DEP_1)
	v_cndmask_b32_e32 v1, 0x7fc0, v3, vcc_lo
	s_branch .LBB63_587
.LBB63_586:
	s_mov_b32 s24, -1
                                        ; implicit-def: $vgpr1
.LBB63_587:
	s_mov_b32 s25, 0
.LBB63_588:
	s_delay_alu instid0(SALU_CYCLE_1)
	s_and_b32 vcc_lo, exec_lo, s25
	s_cbranch_vccz .LBB63_592
; %bb.589:
	s_cmp_eq_u32 s0, 29
	s_cbranch_scc0 .LBB63_591
; %bb.590:
	global_load_b64 v[6:7], v[4:5], off
	s_mov_b32 s1, -1
	s_mov_b32 s24, 0
	s_mov_b32 s25, 0
	s_wait_loadcnt 0x0
	v_clz_i32_u32_e32 v1, v7
	s_delay_alu instid0(VALU_DEP_1) | instskip(NEXT) | instid1(VALU_DEP_1)
	v_min_u32_e32 v1, 32, v1
	v_lshlrev_b64_e32 v[6:7], v1, v[6:7]
	v_sub_nc_u32_e32 v1, 32, v1
	s_delay_alu instid0(VALU_DEP_2) | instskip(NEXT) | instid1(VALU_DEP_1)
	v_min_u32_e32 v3, 1, v6
	v_or_b32_e32 v3, v7, v3
	s_delay_alu instid0(VALU_DEP_1) | instskip(NEXT) | instid1(VALU_DEP_1)
	v_cvt_f32_u32_e32 v3, v3
	v_ldexp_f32 v1, v3, v1
	s_delay_alu instid0(VALU_DEP_1) | instskip(NEXT) | instid1(VALU_DEP_1)
	v_bfe_u32 v3, v1, 16, 1
	v_add3_u32 v1, v1, v3, 0x7fff
	s_delay_alu instid0(VALU_DEP_1)
	v_lshrrev_b32_e32 v1, 16, v1
	s_branch .LBB63_593
.LBB63_591:
	s_mov_b32 s24, -1
                                        ; implicit-def: $vgpr1
.LBB63_592:
	s_mov_b32 s25, 0
.LBB63_593:
	s_delay_alu instid0(SALU_CYCLE_1)
	s_and_b32 vcc_lo, exec_lo, s25
	s_cbranch_vccz .LBB63_611
; %bb.594:
	s_cmp_lt_i32 s0, 27
	s_cbranch_scc1 .LBB63_597
; %bb.595:
	s_cmp_gt_i32 s0, 27
	s_cbranch_scc0 .LBB63_598
; %bb.596:
	s_wait_loadcnt 0x0
	global_load_b32 v1, v[4:5], off
	s_mov_b32 s1, 0
	s_wait_loadcnt 0x0
	v_cvt_f32_u32_e32 v1, v1
	s_delay_alu instid0(VALU_DEP_1) | instskip(NEXT) | instid1(VALU_DEP_1)
	v_bfe_u32 v3, v1, 16, 1
	v_add3_u32 v1, v1, v3, 0x7fff
	s_delay_alu instid0(VALU_DEP_1)
	v_lshrrev_b32_e32 v1, 16, v1
	s_branch .LBB63_599
.LBB63_597:
	s_mov_b32 s1, -1
                                        ; implicit-def: $vgpr1
	s_branch .LBB63_602
.LBB63_598:
	s_mov_b32 s1, -1
                                        ; implicit-def: $vgpr1
.LBB63_599:
	s_delay_alu instid0(SALU_CYCLE_1)
	s_and_not1_b32 vcc_lo, exec_lo, s1
	s_cbranch_vccnz .LBB63_601
; %bb.600:
	s_wait_loadcnt 0x0
	global_load_u16 v1, v[4:5], off
	s_wait_loadcnt 0x0
	v_cvt_f32_u32_e32 v1, v1
	s_delay_alu instid0(VALU_DEP_1) | instskip(NEXT) | instid1(VALU_DEP_1)
	v_bfe_u32 v3, v1, 16, 1
	v_add3_u32 v1, v1, v3, 0x7fff
	s_delay_alu instid0(VALU_DEP_1)
	v_lshrrev_b32_e32 v1, 16, v1
.LBB63_601:
	s_mov_b32 s1, 0
.LBB63_602:
	s_delay_alu instid0(SALU_CYCLE_1)
	s_and_not1_b32 vcc_lo, exec_lo, s1
	s_cbranch_vccnz .LBB63_610
; %bb.603:
	s_wait_loadcnt 0x0
	global_load_u8 v1, v[4:5], off
	s_mov_b32 s1, 0
	s_mov_b32 s25, exec_lo
	s_wait_loadcnt 0x0
	v_cmpx_lt_i16_e32 0x7f, v1
	s_xor_b32 s25, exec_lo, s25
	s_cbranch_execz .LBB63_624
; %bb.604:
	s_mov_b32 s1, -1
	s_mov_b32 s26, exec_lo
	v_cmpx_eq_u16_e32 0x80, v1
; %bb.605:
	s_xor_b32 s1, exec_lo, -1
; %bb.606:
	s_or_b32 exec_lo, exec_lo, s26
	s_delay_alu instid0(SALU_CYCLE_1)
	s_and_b32 s1, s1, exec_lo
	s_or_saveexec_b32 s25, s25
	v_mov_b32_e32 v3, 0x7f800001
	s_xor_b32 exec_lo, exec_lo, s25
	s_cbranch_execnz .LBB63_625
.LBB63_607:
	s_or_b32 exec_lo, exec_lo, s25
	s_and_saveexec_b32 s25, s1
	s_cbranch_execz .LBB63_609
.LBB63_608:
	v_and_b32_e32 v3, 0xffff, v1
	s_delay_alu instid0(VALU_DEP_1) | instskip(SKIP_1) | instid1(VALU_DEP_2)
	v_dual_lshlrev_b32 v1, 24, v1 :: v_dual_bitop2_b32 v6, 7, v3 bitop3:0x40
	v_bfe_u32 v9, v3, 3, 4
	v_and_b32_e32 v1, 0x80000000, v1
	s_delay_alu instid0(VALU_DEP_3) | instskip(NEXT) | instid1(VALU_DEP_3)
	v_clz_i32_u32_e32 v7, v6
	v_cmp_eq_u32_e32 vcc_lo, 0, v9
	s_delay_alu instid0(VALU_DEP_2) | instskip(NEXT) | instid1(VALU_DEP_1)
	v_min_u32_e32 v7, 32, v7
	v_subrev_nc_u32_e32 v8, 28, v7
	v_sub_nc_u32_e32 v7, 29, v7
	s_delay_alu instid0(VALU_DEP_2) | instskip(NEXT) | instid1(VALU_DEP_2)
	v_lshlrev_b32_e32 v3, v8, v3
	v_cndmask_b32_e32 v7, v9, v7, vcc_lo
	s_delay_alu instid0(VALU_DEP_2) | instskip(NEXT) | instid1(VALU_DEP_1)
	v_and_b32_e32 v3, 7, v3
	v_cndmask_b32_e32 v3, v6, v3, vcc_lo
	s_delay_alu instid0(VALU_DEP_3) | instskip(NEXT) | instid1(VALU_DEP_2)
	v_lshl_add_u32 v6, v7, 23, 0x3b800000
	v_lshlrev_b32_e32 v3, 20, v3
	s_delay_alu instid0(VALU_DEP_1)
	v_or3_b32 v3, v1, v6, v3
.LBB63_609:
	s_or_b32 exec_lo, exec_lo, s25
	s_delay_alu instid0(VALU_DEP_1) | instskip(SKIP_1) | instid1(VALU_DEP_2)
	v_bfe_u32 v1, v3, 16, 1
	v_cmp_o_f32_e32 vcc_lo, v3, v3
	v_add3_u32 v1, v3, v1, 0x7fff
	s_delay_alu instid0(VALU_DEP_1) | instskip(NEXT) | instid1(VALU_DEP_1)
	v_lshrrev_b32_e32 v1, 16, v1
	v_cndmask_b32_e32 v1, 0x7fc0, v1, vcc_lo
.LBB63_610:
	s_mov_b32 s1, -1
.LBB63_611:
	s_mov_b32 s25, 0
.LBB63_612:
	s_delay_alu instid0(SALU_CYCLE_1)
	s_and_b32 vcc_lo, exec_lo, s25
	s_cbranch_vccz .LBB63_647
; %bb.613:
	s_cmp_gt_i32 s0, 22
	s_cbranch_scc0 .LBB63_623
; %bb.614:
	s_cmp_lt_i32 s0, 24
	s_cbranch_scc1 .LBB63_626
; %bb.615:
	s_cmp_gt_i32 s0, 24
	s_cbranch_scc0 .LBB63_627
; %bb.616:
	s_wait_loadcnt 0x0
	global_load_u8 v1, v[4:5], off
	s_mov_b32 s1, 0
	s_mov_b32 s25, exec_lo
	s_wait_loadcnt 0x0
	v_cmpx_lt_i16_e32 0x7f, v1
	s_xor_b32 s25, exec_lo, s25
	s_cbranch_execz .LBB63_639
; %bb.617:
	s_mov_b32 s1, -1
	s_mov_b32 s26, exec_lo
	v_cmpx_eq_u16_e32 0x80, v1
; %bb.618:
	s_xor_b32 s1, exec_lo, -1
; %bb.619:
	s_or_b32 exec_lo, exec_lo, s26
	s_delay_alu instid0(SALU_CYCLE_1)
	s_and_b32 s1, s1, exec_lo
	s_or_saveexec_b32 s25, s25
	v_mov_b32_e32 v3, 0x7f800001
	s_xor_b32 exec_lo, exec_lo, s25
	s_cbranch_execnz .LBB63_640
.LBB63_620:
	s_or_b32 exec_lo, exec_lo, s25
	s_and_saveexec_b32 s25, s1
	s_cbranch_execz .LBB63_622
.LBB63_621:
	v_and_b32_e32 v3, 0xffff, v1
	s_delay_alu instid0(VALU_DEP_1) | instskip(SKIP_1) | instid1(VALU_DEP_2)
	v_dual_lshlrev_b32 v1, 24, v1 :: v_dual_bitop2_b32 v6, 3, v3 bitop3:0x40
	v_bfe_u32 v9, v3, 2, 5
	v_and_b32_e32 v1, 0x80000000, v1
	s_delay_alu instid0(VALU_DEP_3) | instskip(NEXT) | instid1(VALU_DEP_3)
	v_clz_i32_u32_e32 v7, v6
	v_cmp_eq_u32_e32 vcc_lo, 0, v9
	s_delay_alu instid0(VALU_DEP_2) | instskip(NEXT) | instid1(VALU_DEP_1)
	v_min_u32_e32 v7, 32, v7
	v_subrev_nc_u32_e32 v8, 29, v7
	v_sub_nc_u32_e32 v7, 30, v7
	s_delay_alu instid0(VALU_DEP_2) | instskip(NEXT) | instid1(VALU_DEP_2)
	v_lshlrev_b32_e32 v3, v8, v3
	v_cndmask_b32_e32 v7, v9, v7, vcc_lo
	s_delay_alu instid0(VALU_DEP_2) | instskip(NEXT) | instid1(VALU_DEP_1)
	v_and_b32_e32 v3, 3, v3
	v_cndmask_b32_e32 v3, v6, v3, vcc_lo
	s_delay_alu instid0(VALU_DEP_3) | instskip(NEXT) | instid1(VALU_DEP_2)
	v_lshl_add_u32 v6, v7, 23, 0x37800000
	v_lshlrev_b32_e32 v3, 21, v3
	s_delay_alu instid0(VALU_DEP_1)
	v_or3_b32 v3, v1, v6, v3
.LBB63_622:
	s_or_b32 exec_lo, exec_lo, s25
	s_delay_alu instid0(VALU_DEP_1) | instskip(SKIP_2) | instid1(VALU_DEP_2)
	v_bfe_u32 v1, v3, 16, 1
	v_cmp_o_f32_e32 vcc_lo, v3, v3
	s_mov_b32 s1, 0
	v_add3_u32 v1, v3, v1, 0x7fff
	s_delay_alu instid0(VALU_DEP_1) | instskip(NEXT) | instid1(VALU_DEP_1)
	v_lshrrev_b32_e32 v1, 16, v1
	v_cndmask_b32_e32 v1, 0x7fc0, v1, vcc_lo
	s_branch .LBB63_628
.LBB63_623:
	s_mov_b32 s25, -1
                                        ; implicit-def: $vgpr1
	s_branch .LBB63_634
.LBB63_624:
	s_or_saveexec_b32 s25, s25
	v_mov_b32_e32 v3, 0x7f800001
	s_xor_b32 exec_lo, exec_lo, s25
	s_cbranch_execz .LBB63_607
.LBB63_625:
	v_cmp_ne_u16_e32 vcc_lo, 0, v1
	v_mov_b32_e32 v3, 0
	s_and_not1_b32 s1, s1, exec_lo
	s_and_b32 s26, vcc_lo, exec_lo
	s_delay_alu instid0(SALU_CYCLE_1)
	s_or_b32 s1, s1, s26
	s_or_b32 exec_lo, exec_lo, s25
	s_and_saveexec_b32 s25, s1
	s_cbranch_execnz .LBB63_608
	s_branch .LBB63_609
.LBB63_626:
	s_mov_b32 s1, -1
                                        ; implicit-def: $vgpr1
	s_branch .LBB63_631
.LBB63_627:
	s_mov_b32 s1, -1
                                        ; implicit-def: $vgpr1
.LBB63_628:
	s_delay_alu instid0(SALU_CYCLE_1)
	s_and_b32 vcc_lo, exec_lo, s1
	s_cbranch_vccz .LBB63_630
; %bb.629:
	s_wait_loadcnt 0x0
	global_load_u8 v1, v[4:5], off
	s_wait_loadcnt 0x0
	v_lshlrev_b32_e32 v1, 24, v1
	s_delay_alu instid0(VALU_DEP_1) | instskip(NEXT) | instid1(VALU_DEP_1)
	v_and_b32_e32 v3, 0x7f000000, v1
	v_clz_i32_u32_e32 v6, v3
	v_cmp_ne_u32_e32 vcc_lo, 0, v3
	v_add_nc_u32_e32 v8, 0x1000000, v3
	s_delay_alu instid0(VALU_DEP_3) | instskip(NEXT) | instid1(VALU_DEP_1)
	v_min_u32_e32 v6, 32, v6
	v_sub_nc_u32_e64 v6, v6, 4 clamp
	s_delay_alu instid0(VALU_DEP_1) | instskip(NEXT) | instid1(VALU_DEP_1)
	v_dual_lshlrev_b32 v7, v6, v3 :: v_dual_lshlrev_b32 v6, 23, v6
	v_lshrrev_b32_e32 v7, 4, v7
	s_delay_alu instid0(VALU_DEP_1) | instskip(NEXT) | instid1(VALU_DEP_1)
	v_dual_sub_nc_u32 v6, v7, v6 :: v_dual_ashrrev_i32 v7, 8, v8
	v_add_nc_u32_e32 v6, 0x3c000000, v6
	s_delay_alu instid0(VALU_DEP_1) | instskip(NEXT) | instid1(VALU_DEP_1)
	v_and_or_b32 v6, 0x7f800000, v7, v6
	v_cndmask_b32_e32 v3, 0, v6, vcc_lo
	s_delay_alu instid0(VALU_DEP_1) | instskip(SKIP_1) | instid1(VALU_DEP_2)
	v_and_or_b32 v1, 0x80000000, v1, v3
	v_bfe_u32 v3, v3, 16, 1
	v_cmp_o_f32_e32 vcc_lo, v1, v1
	s_delay_alu instid0(VALU_DEP_2) | instskip(NEXT) | instid1(VALU_DEP_1)
	v_add3_u32 v3, v1, v3, 0x7fff
	v_lshrrev_b32_e32 v3, 16, v3
	s_delay_alu instid0(VALU_DEP_1)
	v_cndmask_b32_e32 v1, 0x7fc0, v3, vcc_lo
.LBB63_630:
	s_mov_b32 s1, 0
.LBB63_631:
	s_delay_alu instid0(SALU_CYCLE_1)
	s_and_not1_b32 vcc_lo, exec_lo, s1
	s_cbranch_vccnz .LBB63_633
; %bb.632:
	s_wait_loadcnt 0x0
	global_load_u8 v1, v[4:5], off
	s_wait_loadcnt 0x0
	v_lshlrev_b32_e32 v3, 25, v1
	v_lshlrev_b16 v1, 8, v1
	s_delay_alu instid0(VALU_DEP_1) | instskip(SKIP_1) | instid1(VALU_DEP_2)
	v_and_or_b32 v7, 0x7f00, v1, 0.5
	v_bfe_i32 v1, v1, 0, 16
	v_add_f32_e32 v7, -0.5, v7
	v_lshrrev_b32_e32 v6, 4, v3
	v_cmp_gt_u32_e32 vcc_lo, 0x8000000, v3
	s_delay_alu instid0(VALU_DEP_2) | instskip(NEXT) | instid1(VALU_DEP_1)
	v_or_b32_e32 v6, 0x70000000, v6
	v_mul_f32_e32 v6, 0x7800000, v6
	s_delay_alu instid0(VALU_DEP_1) | instskip(NEXT) | instid1(VALU_DEP_1)
	v_cndmask_b32_e32 v3, v6, v7, vcc_lo
	v_and_or_b32 v1, 0x80000000, v1, v3
	v_bfe_u32 v3, v3, 16, 1
	s_delay_alu instid0(VALU_DEP_2) | instskip(NEXT) | instid1(VALU_DEP_2)
	v_cmp_o_f32_e32 vcc_lo, v1, v1
	v_add3_u32 v3, v1, v3, 0x7fff
	s_delay_alu instid0(VALU_DEP_1) | instskip(NEXT) | instid1(VALU_DEP_1)
	v_lshrrev_b32_e32 v3, 16, v3
	v_cndmask_b32_e32 v1, 0x7fc0, v3, vcc_lo
.LBB63_633:
	s_mov_b32 s25, 0
	s_mov_b32 s1, -1
.LBB63_634:
	s_and_not1_b32 vcc_lo, exec_lo, s25
	s_cbranch_vccnz .LBB63_647
; %bb.635:
	s_cmp_gt_i32 s0, 14
	s_cbranch_scc0 .LBB63_638
; %bb.636:
	s_cmp_eq_u32 s0, 15
	s_cbranch_scc0 .LBB63_641
; %bb.637:
	s_wait_loadcnt 0x0
	global_load_u16 v1, v[4:5], off
	s_mov_b32 s1, -1
	s_mov_b32 s24, 0
	s_branch .LBB63_642
.LBB63_638:
	s_mov_b32 s25, -1
                                        ; implicit-def: $vgpr1
	s_branch .LBB63_643
.LBB63_639:
	s_or_saveexec_b32 s25, s25
	v_mov_b32_e32 v3, 0x7f800001
	s_xor_b32 exec_lo, exec_lo, s25
	s_cbranch_execz .LBB63_620
.LBB63_640:
	v_cmp_ne_u16_e32 vcc_lo, 0, v1
	v_mov_b32_e32 v3, 0
	s_and_not1_b32 s1, s1, exec_lo
	s_and_b32 s26, vcc_lo, exec_lo
	s_delay_alu instid0(SALU_CYCLE_1)
	s_or_b32 s1, s1, s26
	s_or_b32 exec_lo, exec_lo, s25
	s_and_saveexec_b32 s25, s1
	s_cbranch_execnz .LBB63_621
	s_branch .LBB63_622
.LBB63_641:
	s_mov_b32 s24, -1
                                        ; implicit-def: $vgpr1
.LBB63_642:
	s_mov_b32 s25, 0
.LBB63_643:
	s_delay_alu instid0(SALU_CYCLE_1)
	s_and_b32 vcc_lo, exec_lo, s25
	s_cbranch_vccz .LBB63_647
; %bb.644:
	s_cmp_eq_u32 s0, 11
	s_cbranch_scc0 .LBB63_646
; %bb.645:
	s_wait_loadcnt 0x0
	global_load_u8 v1, v[4:5], off
	s_mov_b32 s24, 0
	s_mov_b32 s1, -1
	s_wait_loadcnt 0x0
	v_cmp_ne_u16_e32 vcc_lo, 0, v1
	v_cndmask_b32_e64 v1, 0, 1.0, vcc_lo
	s_delay_alu instid0(VALU_DEP_1)
	v_lshrrev_b32_e32 v1, 16, v1
	s_branch .LBB63_647
.LBB63_646:
	s_mov_b32 s24, -1
                                        ; implicit-def: $vgpr1
.LBB63_647:
	s_mov_b32 s25, 0
.LBB63_648:
	s_delay_alu instid0(SALU_CYCLE_1)
	s_and_b32 vcc_lo, exec_lo, s25
	s_cbranch_vccz .LBB63_697
; %bb.649:
	s_cmp_lt_i32 s0, 5
	s_cbranch_scc1 .LBB63_654
; %bb.650:
	s_cmp_lt_i32 s0, 8
	s_cbranch_scc1 .LBB63_655
; %bb.651:
	s_cmp_lt_i32 s0, 9
	s_cbranch_scc1 .LBB63_656
; %bb.652:
	s_cmp_gt_i32 s0, 9
	s_cbranch_scc0 .LBB63_657
; %bb.653:
	global_load_b64 v[6:7], v[4:5], off
	s_mov_b32 s1, 0
	s_wait_loadcnt 0x0
	v_cvt_f32_f64_e32 v1, v[6:7]
	s_delay_alu instid0(VALU_DEP_1) | instskip(SKIP_1) | instid1(VALU_DEP_2)
	v_bfe_u32 v3, v1, 16, 1
	v_cmp_o_f32_e32 vcc_lo, v1, v1
	v_add3_u32 v3, v1, v3, 0x7fff
	s_delay_alu instid0(VALU_DEP_1) | instskip(NEXT) | instid1(VALU_DEP_1)
	v_lshrrev_b32_e32 v3, 16, v3
	v_cndmask_b32_e32 v1, 0x7fc0, v3, vcc_lo
	s_branch .LBB63_658
.LBB63_654:
	s_mov_b32 s1, -1
                                        ; implicit-def: $vgpr1
	s_branch .LBB63_676
.LBB63_655:
	s_mov_b32 s1, -1
                                        ; implicit-def: $vgpr1
	s_branch .LBB63_664
.LBB63_656:
	s_mov_b32 s1, -1
                                        ; implicit-def: $vgpr1
	s_branch .LBB63_661
.LBB63_657:
	s_mov_b32 s1, -1
                                        ; implicit-def: $vgpr1
.LBB63_658:
	s_delay_alu instid0(SALU_CYCLE_1)
	s_and_not1_b32 vcc_lo, exec_lo, s1
	s_cbranch_vccnz .LBB63_660
; %bb.659:
	s_wait_loadcnt 0x0
	global_load_b32 v1, v[4:5], off
	s_wait_loadcnt 0x0
	v_bfe_u32 v3, v1, 16, 1
	v_cmp_o_f32_e32 vcc_lo, v1, v1
	s_delay_alu instid0(VALU_DEP_2) | instskip(NEXT) | instid1(VALU_DEP_1)
	v_add3_u32 v3, v1, v3, 0x7fff
	v_lshrrev_b32_e32 v3, 16, v3
	s_delay_alu instid0(VALU_DEP_1)
	v_cndmask_b32_e32 v1, 0x7fc0, v3, vcc_lo
.LBB63_660:
	s_mov_b32 s1, 0
.LBB63_661:
	s_delay_alu instid0(SALU_CYCLE_1)
	s_and_not1_b32 vcc_lo, exec_lo, s1
	s_cbranch_vccnz .LBB63_663
; %bb.662:
	s_wait_loadcnt 0x0
	global_load_b32 v1, v[4:5], off
	s_wait_loadcnt 0x0
	v_cvt_f32_f16_e32 v3, v1
	v_cmp_o_f16_e32 vcc_lo, v1, v1
	s_delay_alu instid0(VALU_DEP_2) | instskip(NEXT) | instid1(VALU_DEP_1)
	v_bfe_u32 v6, v3, 16, 1
	v_add3_u32 v3, v3, v6, 0x7fff
	s_delay_alu instid0(VALU_DEP_1) | instskip(NEXT) | instid1(VALU_DEP_1)
	v_lshrrev_b32_e32 v3, 16, v3
	v_cndmask_b32_e32 v1, 0x7fc0, v3, vcc_lo
.LBB63_663:
	s_mov_b32 s1, 0
.LBB63_664:
	s_delay_alu instid0(SALU_CYCLE_1)
	s_and_not1_b32 vcc_lo, exec_lo, s1
	s_cbranch_vccnz .LBB63_675
; %bb.665:
	s_cmp_lt_i32 s0, 6
	s_cbranch_scc1 .LBB63_668
; %bb.666:
	s_cmp_gt_i32 s0, 6
	s_cbranch_scc0 .LBB63_669
; %bb.667:
	global_load_b64 v[6:7], v[4:5], off
	s_mov_b32 s1, 0
	s_wait_loadcnt 0x0
	v_cvt_f32_f64_e32 v1, v[6:7]
	s_delay_alu instid0(VALU_DEP_1) | instskip(SKIP_1) | instid1(VALU_DEP_2)
	v_bfe_u32 v3, v1, 16, 1
	v_cmp_o_f32_e32 vcc_lo, v1, v1
	v_add3_u32 v3, v1, v3, 0x7fff
	s_delay_alu instid0(VALU_DEP_1) | instskip(NEXT) | instid1(VALU_DEP_1)
	v_lshrrev_b32_e32 v3, 16, v3
	v_cndmask_b32_e32 v1, 0x7fc0, v3, vcc_lo
	s_branch .LBB63_670
.LBB63_668:
	s_mov_b32 s1, -1
                                        ; implicit-def: $vgpr1
	s_branch .LBB63_673
.LBB63_669:
	s_mov_b32 s1, -1
                                        ; implicit-def: $vgpr1
.LBB63_670:
	s_delay_alu instid0(SALU_CYCLE_1)
	s_and_not1_b32 vcc_lo, exec_lo, s1
	s_cbranch_vccnz .LBB63_672
; %bb.671:
	s_wait_loadcnt 0x0
	global_load_b32 v1, v[4:5], off
	s_wait_loadcnt 0x0
	v_bfe_u32 v3, v1, 16, 1
	v_cmp_o_f32_e32 vcc_lo, v1, v1
	s_delay_alu instid0(VALU_DEP_2) | instskip(NEXT) | instid1(VALU_DEP_1)
	v_add3_u32 v3, v1, v3, 0x7fff
	v_lshrrev_b32_e32 v3, 16, v3
	s_delay_alu instid0(VALU_DEP_1)
	v_cndmask_b32_e32 v1, 0x7fc0, v3, vcc_lo
.LBB63_672:
	s_mov_b32 s1, 0
.LBB63_673:
	s_delay_alu instid0(SALU_CYCLE_1)
	s_and_not1_b32 vcc_lo, exec_lo, s1
	s_cbranch_vccnz .LBB63_675
; %bb.674:
	s_wait_loadcnt 0x0
	global_load_u16 v1, v[4:5], off
	s_wait_loadcnt 0x0
	v_cvt_f32_f16_e32 v3, v1
	v_cmp_o_f16_e32 vcc_lo, v1, v1
	s_delay_alu instid0(VALU_DEP_2) | instskip(NEXT) | instid1(VALU_DEP_1)
	v_bfe_u32 v6, v3, 16, 1
	v_add3_u32 v3, v3, v6, 0x7fff
	s_delay_alu instid0(VALU_DEP_1) | instskip(NEXT) | instid1(VALU_DEP_1)
	v_lshrrev_b32_e32 v3, 16, v3
	v_cndmask_b32_e32 v1, 0x7fc0, v3, vcc_lo
.LBB63_675:
	s_mov_b32 s1, 0
.LBB63_676:
	s_delay_alu instid0(SALU_CYCLE_1)
	s_and_not1_b32 vcc_lo, exec_lo, s1
	s_cbranch_vccnz .LBB63_696
; %bb.677:
	s_cmp_lt_i32 s0, 2
	s_cbranch_scc1 .LBB63_681
; %bb.678:
	s_cmp_lt_i32 s0, 3
	s_cbranch_scc1 .LBB63_682
; %bb.679:
	s_cmp_gt_i32 s0, 3
	s_cbranch_scc0 .LBB63_683
; %bb.680:
	global_load_b64 v[6:7], v[4:5], off
	s_mov_b32 s1, 0
	s_wait_loadcnt 0x0
	v_xor_b32_e32 v1, v6, v7
	v_cls_i32_e32 v3, v7
	s_delay_alu instid0(VALU_DEP_2) | instskip(NEXT) | instid1(VALU_DEP_1)
	v_ashrrev_i32_e32 v1, 31, v1
	v_add_nc_u32_e32 v1, 32, v1
	s_delay_alu instid0(VALU_DEP_1) | instskip(NEXT) | instid1(VALU_DEP_1)
	v_add_min_u32_e64 v1, v3, -1, v1
	v_lshlrev_b64_e32 v[6:7], v1, v[6:7]
	v_sub_nc_u32_e32 v1, 32, v1
	s_delay_alu instid0(VALU_DEP_2) | instskip(NEXT) | instid1(VALU_DEP_1)
	v_min_u32_e32 v3, 1, v6
	v_or_b32_e32 v3, v7, v3
	s_delay_alu instid0(VALU_DEP_1) | instskip(NEXT) | instid1(VALU_DEP_1)
	v_cvt_f32_i32_e32 v3, v3
	v_ldexp_f32 v1, v3, v1
	s_delay_alu instid0(VALU_DEP_1) | instskip(NEXT) | instid1(VALU_DEP_1)
	v_bfe_u32 v3, v1, 16, 1
	v_add3_u32 v1, v1, v3, 0x7fff
	s_delay_alu instid0(VALU_DEP_1)
	v_lshrrev_b32_e32 v1, 16, v1
	s_branch .LBB63_684
.LBB63_681:
	s_mov_b32 s1, -1
                                        ; implicit-def: $vgpr1
	s_branch .LBB63_690
.LBB63_682:
	s_mov_b32 s1, -1
                                        ; implicit-def: $vgpr1
	s_branch .LBB63_687
.LBB63_683:
	s_mov_b32 s1, -1
                                        ; implicit-def: $vgpr1
.LBB63_684:
	s_delay_alu instid0(SALU_CYCLE_1)
	s_and_not1_b32 vcc_lo, exec_lo, s1
	s_cbranch_vccnz .LBB63_686
; %bb.685:
	s_wait_loadcnt 0x0
	global_load_b32 v1, v[4:5], off
	s_wait_loadcnt 0x0
	v_cvt_f32_i32_e32 v1, v1
	s_delay_alu instid0(VALU_DEP_1) | instskip(NEXT) | instid1(VALU_DEP_1)
	v_bfe_u32 v3, v1, 16, 1
	v_add3_u32 v1, v1, v3, 0x7fff
	s_delay_alu instid0(VALU_DEP_1)
	v_lshrrev_b32_e32 v1, 16, v1
.LBB63_686:
	s_mov_b32 s1, 0
.LBB63_687:
	s_delay_alu instid0(SALU_CYCLE_1)
	s_and_not1_b32 vcc_lo, exec_lo, s1
	s_cbranch_vccnz .LBB63_689
; %bb.688:
	s_wait_loadcnt 0x0
	global_load_i16 v1, v[4:5], off
	s_wait_loadcnt 0x0
	v_cvt_f32_i32_e32 v1, v1
	s_delay_alu instid0(VALU_DEP_1) | instskip(NEXT) | instid1(VALU_DEP_1)
	v_bfe_u32 v3, v1, 16, 1
	v_add3_u32 v1, v1, v3, 0x7fff
	s_delay_alu instid0(VALU_DEP_1)
	v_lshrrev_b32_e32 v1, 16, v1
.LBB63_689:
	s_mov_b32 s1, 0
.LBB63_690:
	s_delay_alu instid0(SALU_CYCLE_1)
	s_and_not1_b32 vcc_lo, exec_lo, s1
	s_cbranch_vccnz .LBB63_696
; %bb.691:
	s_cmp_gt_i32 s0, 0
	s_mov_b32 s0, 0
	s_cbranch_scc0 .LBB63_693
; %bb.692:
	s_wait_loadcnt 0x0
	global_load_i8 v1, v[4:5], off
	s_wait_loadcnt 0x0
	v_cvt_f32_i32_e32 v1, v1
	s_delay_alu instid0(VALU_DEP_1) | instskip(NEXT) | instid1(VALU_DEP_1)
	v_bfe_u32 v3, v1, 16, 1
	v_add3_u32 v1, v1, v3, 0x7fff
	s_delay_alu instid0(VALU_DEP_1)
	v_lshrrev_b32_e32 v1, 16, v1
	s_branch .LBB63_694
.LBB63_693:
	s_mov_b32 s0, -1
                                        ; implicit-def: $vgpr1
.LBB63_694:
	s_delay_alu instid0(SALU_CYCLE_1)
	s_and_not1_b32 vcc_lo, exec_lo, s0
	s_cbranch_vccnz .LBB63_696
; %bb.695:
	s_wait_loadcnt 0x0
	global_load_u8 v1, v[4:5], off
	s_wait_loadcnt 0x0
	v_cvt_f32_ubyte0_e32 v1, v1
	s_delay_alu instid0(VALU_DEP_1) | instskip(NEXT) | instid1(VALU_DEP_1)
	v_bfe_u32 v3, v1, 16, 1
	v_add3_u32 v1, v1, v3, 0x7fff
	s_delay_alu instid0(VALU_DEP_1)
	v_lshrrev_b32_e32 v1, 16, v1
.LBB63_696:
	s_mov_b32 s1, -1
.LBB63_697:
	s_delay_alu instid0(SALU_CYCLE_1)
	s_and_not1_b32 vcc_lo, exec_lo, s1
	s_cbranch_vccnz .LBB63_705
; %bb.698:
	s_wait_loadcnt 0x0
	v_dual_mov_b32 v3, 0 :: v_dual_lshlrev_b32 v1, 16, v1
	s_and_b32 s25, s34, 0xff
	s_delay_alu instid0(SALU_CYCLE_1) | instskip(NEXT) | instid1(VALU_DEP_1)
	s_cmp_lt_i32 s25, 11
	v_add_nc_u64_e32 v[2:3], s[4:5], v[2:3]
	s_delay_alu instid0(VALU_DEP_2)
	v_cmp_eq_f32_e64 s0, 0x7f800000, v1
	s_cbranch_scc1 .LBB63_706
; %bb.699:
	s_and_b32 s26, 0xffff, s25
	s_delay_alu instid0(SALU_CYCLE_1)
	s_cmp_gt_i32 s26, 25
	s_cbranch_scc0 .LBB63_707
; %bb.700:
	s_cmp_gt_i32 s26, 28
	s_cbranch_scc0 .LBB63_708
; %bb.701:
	;; [unrolled: 3-line block ×4, first 2 shown]
	s_mov_b32 s45, 0
	s_mov_b32 s1, -1
	s_cmp_eq_u32 s26, 46
	s_mov_b32 s27, 0
	s_cbranch_scc0 .LBB63_711
; %bb.704:
	v_cndmask_b32_e64 v1, 0, 1.0, s0
	s_mov_b32 s27, -1
	s_mov_b32 s1, 0
	s_wait_xcnt 0x0
	s_delay_alu instid0(VALU_DEP_1) | instskip(NEXT) | instid1(VALU_DEP_1)
	v_bfe_u32 v4, v1, 16, 1
	v_add3_u32 v1, v1, v4, 0x7fff
	s_delay_alu instid0(VALU_DEP_1)
	v_lshrrev_b32_e32 v1, 16, v1
	global_store_b32 v[2:3], v1, off
	s_branch .LBB63_711
.LBB63_705:
	s_mov_b32 s0, 0
	s_mov_b32 s1, s42
	s_branch .LBB63_822
.LBB63_706:
	s_mov_b32 s26, -1
	s_mov_b32 s27, 0
	s_mov_b32 s1, s42
	s_branch .LBB63_780
.LBB63_707:
	s_mov_b32 s45, -1
	s_mov_b32 s27, 0
	s_mov_b32 s1, s42
	s_branch .LBB63_738
.LBB63_708:
	s_mov_b32 s45, -1
	s_mov_b32 s27, 0
	s_mov_b32 s1, s42
	s_branch .LBB63_721
.LBB63_709:
	s_mov_b32 s45, -1
	s_mov_b32 s27, 0
	s_mov_b32 s1, s42
	s_branch .LBB63_717
.LBB63_710:
	s_mov_b32 s45, -1
	s_mov_b32 s27, 0
	s_mov_b32 s1, s42
.LBB63_711:
	s_and_b32 vcc_lo, exec_lo, s45
	s_cbranch_vccz .LBB63_716
; %bb.712:
	s_cmp_eq_u32 s26, 44
	s_mov_b32 s1, -1
	s_cbranch_scc0 .LBB63_716
; %bb.713:
	s_wait_xcnt 0x0
	v_cndmask_b32_e64 v5, 0, 1.0, s0
	s_mov_b32 s27, exec_lo
	s_delay_alu instid0(VALU_DEP_1) | instskip(NEXT) | instid1(VALU_DEP_1)
	v_dual_mov_b32 v4, 0xff :: v_dual_lshrrev_b32 v1, 23, v5
	v_cmpx_ne_u32_e32 0xff, v1
; %bb.714:
	v_and_b32_e32 v4, 0x400000, v5
	v_and_or_b32 v5, 0x3fffff, v5, v1
	s_delay_alu instid0(VALU_DEP_2) | instskip(NEXT) | instid1(VALU_DEP_2)
	v_cmp_ne_u32_e32 vcc_lo, 0, v4
	v_cmp_ne_u32_e64 s1, 0, v5
	s_and_b32 s1, vcc_lo, s1
	s_delay_alu instid0(SALU_CYCLE_1) | instskip(NEXT) | instid1(VALU_DEP_1)
	v_cndmask_b32_e64 v4, 0, 1, s1
	v_add_nc_u32_e32 v4, v1, v4
; %bb.715:
	s_or_b32 exec_lo, exec_lo, s27
	s_mov_b32 s27, -1
	s_mov_b32 s1, 0
	global_store_b8 v[2:3], v4, off
.LBB63_716:
	s_mov_b32 s45, 0
.LBB63_717:
	s_delay_alu instid0(SALU_CYCLE_1)
	s_and_b32 vcc_lo, exec_lo, s45
	s_cbranch_vccz .LBB63_720
; %bb.718:
	s_cmp_eq_u32 s26, 29
	s_mov_b32 s1, -1
	s_cbranch_scc0 .LBB63_720
; %bb.719:
	s_mov_b32 s1, 0
	s_wait_xcnt 0x0
	v_cndmask_b32_e64 v4, 0, 1, s0
	v_mov_b32_e32 v5, s1
	s_mov_b32 s27, -1
	s_mov_b32 s45, 0
	global_store_b64 v[2:3], v[4:5], off
	s_branch .LBB63_721
.LBB63_720:
	s_mov_b32 s45, 0
.LBB63_721:
	s_delay_alu instid0(SALU_CYCLE_1)
	s_and_b32 vcc_lo, exec_lo, s45
	s_cbranch_vccz .LBB63_737
; %bb.722:
	s_cmp_lt_i32 s26, 27
	s_mov_b32 s27, -1
	s_cbranch_scc1 .LBB63_728
; %bb.723:
	s_cmp_gt_i32 s26, 27
	s_cbranch_scc0 .LBB63_725
; %bb.724:
	s_wait_xcnt 0x0
	v_cndmask_b32_e64 v1, 0, 1, s0
	s_mov_b32 s27, 0
	global_store_b32 v[2:3], v1, off
.LBB63_725:
	s_and_not1_b32 vcc_lo, exec_lo, s27
	s_cbranch_vccnz .LBB63_727
; %bb.726:
	s_wait_xcnt 0x0
	v_cndmask_b32_e64 v1, 0, 1, s0
	global_store_b16 v[2:3], v1, off
.LBB63_727:
	s_mov_b32 s27, 0
.LBB63_728:
	s_delay_alu instid0(SALU_CYCLE_1)
	s_and_not1_b32 vcc_lo, exec_lo, s27
	s_cbranch_vccnz .LBB63_736
; %bb.729:
	s_wait_xcnt 0x0
	v_cndmask_b32_e64 v4, 0, 1.0, s0
	v_mov_b32_e32 v5, 0x80
	s_mov_b32 s27, exec_lo
	s_delay_alu instid0(VALU_DEP_2)
	v_cmpx_gt_u32_e32 0x43800000, v4
	s_cbranch_execz .LBB63_735
; %bb.730:
	s_mov_b32 s45, 0
	s_mov_b32 s46, exec_lo
                                        ; implicit-def: $vgpr1
	v_cmpx_lt_u32_e32 0x3bffffff, v4
	s_xor_b32 s46, exec_lo, s46
	s_cbranch_execz .LBB63_854
; %bb.731:
	v_bfe_u32 v1, v4, 20, 1
	s_mov_b32 s45, exec_lo
	s_delay_alu instid0(VALU_DEP_1) | instskip(NEXT) | instid1(VALU_DEP_1)
	v_add3_u32 v1, v4, v1, 0x487ffff
                                        ; implicit-def: $vgpr4
	v_lshrrev_b32_e32 v1, 20, v1
	s_and_not1_saveexec_b32 s46, s46
	s_cbranch_execnz .LBB63_855
.LBB63_732:
	s_or_b32 exec_lo, exec_lo, s46
	v_mov_b32_e32 v5, 0
	s_and_saveexec_b32 s46, s45
.LBB63_733:
	v_mov_b32_e32 v5, v1
.LBB63_734:
	s_or_b32 exec_lo, exec_lo, s46
.LBB63_735:
	s_delay_alu instid0(SALU_CYCLE_1)
	s_or_b32 exec_lo, exec_lo, s27
	global_store_b8 v[2:3], v5, off
.LBB63_736:
	s_mov_b32 s27, -1
.LBB63_737:
	s_mov_b32 s45, 0
.LBB63_738:
	s_delay_alu instid0(SALU_CYCLE_1)
	s_and_b32 vcc_lo, exec_lo, s45
	s_cbranch_vccz .LBB63_779
; %bb.739:
	s_cmp_gt_i32 s26, 22
	s_mov_b32 s45, -1
	s_cbranch_scc0 .LBB63_771
; %bb.740:
	s_cmp_lt_i32 s26, 24
	s_mov_b32 s27, -1
	s_cbranch_scc1 .LBB63_760
; %bb.741:
	s_cmp_gt_i32 s26, 24
	s_cbranch_scc0 .LBB63_749
; %bb.742:
	s_wait_xcnt 0x0
	v_cndmask_b32_e64 v4, 0, 1.0, s0
	v_mov_b32_e32 v5, 0x80
	s_mov_b32 s27, exec_lo
	s_delay_alu instid0(VALU_DEP_2)
	v_cmpx_gt_u32_e32 0x47800000, v4
	s_cbranch_execz .LBB63_748
; %bb.743:
	s_mov_b32 s45, 0
	s_mov_b32 s46, exec_lo
                                        ; implicit-def: $vgpr1
	v_cmpx_lt_u32_e32 0x37ffffff, v4
	s_xor_b32 s46, exec_lo, s46
	s_cbranch_execz .LBB63_857
; %bb.744:
	v_bfe_u32 v1, v4, 21, 1
	s_mov_b32 s45, exec_lo
	s_delay_alu instid0(VALU_DEP_1) | instskip(NEXT) | instid1(VALU_DEP_1)
	v_add3_u32 v1, v4, v1, 0x88fffff
                                        ; implicit-def: $vgpr4
	v_lshrrev_b32_e32 v1, 21, v1
	s_and_not1_saveexec_b32 s46, s46
	s_cbranch_execnz .LBB63_858
.LBB63_745:
	s_or_b32 exec_lo, exec_lo, s46
	v_mov_b32_e32 v5, 0
	s_and_saveexec_b32 s46, s45
.LBB63_746:
	v_mov_b32_e32 v5, v1
.LBB63_747:
	s_or_b32 exec_lo, exec_lo, s46
.LBB63_748:
	s_delay_alu instid0(SALU_CYCLE_1)
	s_or_b32 exec_lo, exec_lo, s27
	s_mov_b32 s27, 0
	global_store_b8 v[2:3], v5, off
.LBB63_749:
	s_and_b32 vcc_lo, exec_lo, s27
	s_cbranch_vccz .LBB63_759
; %bb.750:
	s_wait_xcnt 0x0
	v_cndmask_b32_e64 v4, 0, 1.0, s0
	s_mov_b32 s27, exec_lo
                                        ; implicit-def: $vgpr1
	s_delay_alu instid0(VALU_DEP_1)
	v_cmpx_gt_u32_e32 0x43f00000, v4
	s_xor_b32 s27, exec_lo, s27
	s_cbranch_execz .LBB63_756
; %bb.751:
	s_mov_b32 s45, exec_lo
                                        ; implicit-def: $vgpr1
	v_cmpx_lt_u32_e32 0x3c7fffff, v4
	s_xor_b32 s45, exec_lo, s45
; %bb.752:
	v_bfe_u32 v1, v4, 20, 1
	s_delay_alu instid0(VALU_DEP_1) | instskip(NEXT) | instid1(VALU_DEP_1)
	v_add3_u32 v1, v4, v1, 0x407ffff
	v_and_b32_e32 v4, 0xff00000, v1
	v_lshrrev_b32_e32 v1, 20, v1
	s_delay_alu instid0(VALU_DEP_2) | instskip(NEXT) | instid1(VALU_DEP_2)
	v_cmp_ne_u32_e32 vcc_lo, 0x7f00000, v4
                                        ; implicit-def: $vgpr4
	v_cndmask_b32_e32 v1, 0x7e, v1, vcc_lo
; %bb.753:
	s_and_not1_saveexec_b32 s45, s45
; %bb.754:
	v_add_f32_e32 v1, 0x46800000, v4
; %bb.755:
	s_or_b32 exec_lo, exec_lo, s45
                                        ; implicit-def: $vgpr4
.LBB63_756:
	s_and_not1_saveexec_b32 s27, s27
; %bb.757:
	v_mov_b32_e32 v1, 0x7f
	v_cmp_lt_u32_e32 vcc_lo, 0x7f800000, v4
	s_delay_alu instid0(VALU_DEP_2)
	v_cndmask_b32_e32 v1, 0x7e, v1, vcc_lo
; %bb.758:
	s_or_b32 exec_lo, exec_lo, s27
	global_store_b8 v[2:3], v1, off
.LBB63_759:
	s_mov_b32 s27, 0
.LBB63_760:
	s_delay_alu instid0(SALU_CYCLE_1)
	s_and_not1_b32 vcc_lo, exec_lo, s27
	s_cbranch_vccnz .LBB63_770
; %bb.761:
	s_wait_xcnt 0x0
	v_cndmask_b32_e64 v4, 0, 1.0, s0
	s_mov_b32 s27, exec_lo
                                        ; implicit-def: $vgpr1
	s_delay_alu instid0(VALU_DEP_1)
	v_cmpx_gt_u32_e32 0x47800000, v4
	s_xor_b32 s27, exec_lo, s27
	s_cbranch_execz .LBB63_767
; %bb.762:
	s_mov_b32 s45, exec_lo
                                        ; implicit-def: $vgpr1
	v_cmpx_lt_u32_e32 0x387fffff, v4
	s_xor_b32 s45, exec_lo, s45
; %bb.763:
	v_bfe_u32 v1, v4, 21, 1
	s_delay_alu instid0(VALU_DEP_1) | instskip(NEXT) | instid1(VALU_DEP_1)
	v_add3_u32 v1, v4, v1, 0x80fffff
                                        ; implicit-def: $vgpr4
	v_lshrrev_b32_e32 v1, 21, v1
; %bb.764:
	s_and_not1_saveexec_b32 s45, s45
; %bb.765:
	v_add_f32_e32 v1, 0x43000000, v4
; %bb.766:
	s_or_b32 exec_lo, exec_lo, s45
                                        ; implicit-def: $vgpr4
.LBB63_767:
	s_and_not1_saveexec_b32 s27, s27
; %bb.768:
	v_mov_b32_e32 v1, 0x7f
	v_cmp_lt_u32_e32 vcc_lo, 0x7f800000, v4
	s_delay_alu instid0(VALU_DEP_2)
	v_cndmask_b32_e32 v1, 0x7c, v1, vcc_lo
; %bb.769:
	s_or_b32 exec_lo, exec_lo, s27
	global_store_b8 v[2:3], v1, off
.LBB63_770:
	s_mov_b32 s45, 0
	s_mov_b32 s27, -1
.LBB63_771:
	s_and_not1_b32 vcc_lo, exec_lo, s45
	s_cbranch_vccnz .LBB63_779
; %bb.772:
	s_cmp_gt_i32 s26, 14
	s_mov_b32 s45, -1
	s_cbranch_scc0 .LBB63_776
; %bb.773:
	s_cmp_eq_u32 s26, 15
	s_mov_b32 s1, -1
	s_cbranch_scc0 .LBB63_775
; %bb.774:
	s_wait_xcnt 0x0
	v_cndmask_b32_e64 v1, 0, 1.0, s0
	s_mov_b32 s27, -1
	s_mov_b32 s1, 0
	s_delay_alu instid0(VALU_DEP_1) | instskip(NEXT) | instid1(VALU_DEP_1)
	v_bfe_u32 v4, v1, 16, 1
	v_add3_u32 v1, v1, v4, 0x7fff
	global_store_d16_hi_b16 v[2:3], v1, off
.LBB63_775:
	s_mov_b32 s45, 0
.LBB63_776:
	s_delay_alu instid0(SALU_CYCLE_1)
	s_and_b32 vcc_lo, exec_lo, s45
	s_cbranch_vccz .LBB63_779
; %bb.777:
	s_cmp_eq_u32 s26, 11
	s_mov_b32 s1, -1
	s_cbranch_scc0 .LBB63_779
; %bb.778:
	s_wait_xcnt 0x0
	v_cndmask_b32_e64 v1, 0, 1, s0
	s_mov_b32 s27, -1
	s_mov_b32 s1, 0
	global_store_b8 v[2:3], v1, off
.LBB63_779:
	s_mov_b32 s26, 0
.LBB63_780:
	s_delay_alu instid0(SALU_CYCLE_1)
	s_and_b32 vcc_lo, exec_lo, s26
	s_cbranch_vccz .LBB63_819
; %bb.781:
	s_and_b32 s25, 0xffff, s25
	s_mov_b32 s26, -1
	s_cmp_lt_i32 s25, 5
	s_cbranch_scc1 .LBB63_802
; %bb.782:
	s_cmp_lt_i32 s25, 8
	s_cbranch_scc1 .LBB63_792
; %bb.783:
	;; [unrolled: 3-line block ×3, first 2 shown]
	s_cmp_gt_i32 s25, 9
	s_cbranch_scc0 .LBB63_786
; %bb.785:
	s_wait_xcnt 0x0
	v_cndmask_b32_e64 v1, 0, 1, s0
	v_mov_b32_e32 v6, 0
	s_mov_b32 s26, 0
	s_delay_alu instid0(VALU_DEP_2) | instskip(NEXT) | instid1(VALU_DEP_2)
	v_cvt_f64_u32_e32 v[4:5], v1
	v_mov_b32_e32 v7, v6
	global_store_b128 v[2:3], v[4:7], off
.LBB63_786:
	s_and_not1_b32 vcc_lo, exec_lo, s26
	s_cbranch_vccnz .LBB63_788
; %bb.787:
	s_wait_xcnt 0x0
	v_cndmask_b32_e64 v4, 0, 1.0, s0
	v_mov_b32_e32 v5, 0
	global_store_b64 v[2:3], v[4:5], off
.LBB63_788:
	s_mov_b32 s26, 0
.LBB63_789:
	s_delay_alu instid0(SALU_CYCLE_1)
	s_and_not1_b32 vcc_lo, exec_lo, s26
	s_cbranch_vccnz .LBB63_791
; %bb.790:
	s_wait_xcnt 0x0
	v_cndmask_b32_e64 v1, 0, 1.0, s0
	s_delay_alu instid0(VALU_DEP_1) | instskip(NEXT) | instid1(VALU_DEP_1)
	v_cvt_f16_f32_e32 v1, v1
	v_and_b32_e32 v1, 0xffff, v1
	global_store_b32 v[2:3], v1, off
.LBB63_791:
	s_mov_b32 s26, 0
.LBB63_792:
	s_delay_alu instid0(SALU_CYCLE_1)
	s_and_not1_b32 vcc_lo, exec_lo, s26
	s_cbranch_vccnz .LBB63_801
; %bb.793:
	s_cmp_lt_i32 s25, 6
	s_mov_b32 s26, -1
	s_cbranch_scc1 .LBB63_799
; %bb.794:
	s_cmp_gt_i32 s25, 6
	s_cbranch_scc0 .LBB63_796
; %bb.795:
	s_wait_xcnt 0x0
	v_cndmask_b32_e64 v1, 0, 1, s0
	s_mov_b32 s26, 0
	s_delay_alu instid0(VALU_DEP_1)
	v_cvt_f64_u32_e32 v[4:5], v1
	global_store_b64 v[2:3], v[4:5], off
.LBB63_796:
	s_and_not1_b32 vcc_lo, exec_lo, s26
	s_cbranch_vccnz .LBB63_798
; %bb.797:
	s_wait_xcnt 0x0
	v_cndmask_b32_e64 v1, 0, 1.0, s0
	global_store_b32 v[2:3], v1, off
.LBB63_798:
	s_mov_b32 s26, 0
.LBB63_799:
	s_delay_alu instid0(SALU_CYCLE_1)
	s_and_not1_b32 vcc_lo, exec_lo, s26
	s_cbranch_vccnz .LBB63_801
; %bb.800:
	s_wait_xcnt 0x0
	v_cndmask_b32_e64 v1, 0, 1.0, s0
	s_delay_alu instid0(VALU_DEP_1)
	v_cvt_f16_f32_e32 v1, v1
	global_store_b16 v[2:3], v1, off
.LBB63_801:
	s_mov_b32 s26, 0
.LBB63_802:
	s_delay_alu instid0(SALU_CYCLE_1)
	s_and_not1_b32 vcc_lo, exec_lo, s26
	s_cbranch_vccnz .LBB63_818
; %bb.803:
	s_cmp_lt_i32 s25, 2
	s_mov_b32 s26, -1
	s_cbranch_scc1 .LBB63_813
; %bb.804:
	s_cmp_lt_i32 s25, 3
	s_cbranch_scc1 .LBB63_810
; %bb.805:
	s_cmp_gt_i32 s25, 3
	s_cbranch_scc0 .LBB63_807
; %bb.806:
	s_mov_b32 s26, 0
	s_wait_xcnt 0x0
	v_cndmask_b32_e64 v4, 0, 1, s0
	v_mov_b32_e32 v5, s26
	global_store_b64 v[2:3], v[4:5], off
.LBB63_807:
	s_and_not1_b32 vcc_lo, exec_lo, s26
	s_cbranch_vccnz .LBB63_809
; %bb.808:
	s_wait_xcnt 0x0
	v_cndmask_b32_e64 v1, 0, 1, s0
	global_store_b32 v[2:3], v1, off
.LBB63_809:
	s_mov_b32 s26, 0
.LBB63_810:
	s_delay_alu instid0(SALU_CYCLE_1)
	s_and_not1_b32 vcc_lo, exec_lo, s26
	s_cbranch_vccnz .LBB63_812
; %bb.811:
	s_wait_xcnt 0x0
	v_cndmask_b32_e64 v1, 0, 1, s0
	global_store_b16 v[2:3], v1, off
.LBB63_812:
	s_mov_b32 s26, 0
.LBB63_813:
	s_delay_alu instid0(SALU_CYCLE_1)
	s_and_not1_b32 vcc_lo, exec_lo, s26
	s_cbranch_vccnz .LBB63_818
; %bb.814:
	s_wait_xcnt 0x0
	v_cndmask_b32_e64 v1, 0, 1, s0
	s_cmp_gt_i32 s25, 0
	s_mov_b32 s0, -1
	s_cbranch_scc0 .LBB63_816
; %bb.815:
	s_mov_b32 s0, 0
	global_store_b8 v[2:3], v1, off
.LBB63_816:
	s_and_not1_b32 vcc_lo, exec_lo, s0
	s_cbranch_vccnz .LBB63_818
; %bb.817:
	global_store_b8 v[2:3], v1, off
.LBB63_818:
	s_mov_b32 s27, -1
.LBB63_819:
	s_delay_alu instid0(SALU_CYCLE_1)
	s_and_not1_b32 vcc_lo, exec_lo, s27
	s_cbranch_vccnz .LBB63_821
; %bb.820:
	v_add_nc_u32_e32 v0, 0x80, v0
	s_mov_b32 s0, -1
	s_branch .LBB63_823
.LBB63_821:
	s_mov_b32 s0, 0
.LBB63_822:
                                        ; implicit-def: $vgpr0
.LBB63_823:
	s_and_not1_b32 s25, s42, exec_lo
	s_and_b32 s1, s1, exec_lo
	s_and_not1_b32 s26, s41, exec_lo
	s_and_b32 s24, s24, exec_lo
	s_or_b32 s27, s25, s1
	s_or_b32 s26, s26, s24
	s_or_not1_b32 s25, s0, exec_lo
.LBB63_824:
	s_wait_xcnt 0x0
	s_or_b32 exec_lo, exec_lo, s44
	s_mov_b32 s0, 0
	s_mov_b32 s1, 0
	;; [unrolled: 1-line block ×3, first 2 shown]
                                        ; implicit-def: $vgpr4_vgpr5
                                        ; implicit-def: $vgpr2
                                        ; implicit-def: $vgpr6
	s_and_saveexec_b32 s44, s25
	s_cbranch_execz .LBB63_926
; %bb.825:
	v_cmp_gt_i32_e32 vcc_lo, s36, v0
	s_mov_b32 s45, s26
	s_mov_b32 s25, 0
                                        ; implicit-def: $vgpr4_vgpr5
                                        ; implicit-def: $vgpr2
                                        ; implicit-def: $vgpr6
	s_and_saveexec_b32 s36, vcc_lo
	s_cbranch_execz .LBB63_925
; %bb.826:
	s_and_not1_b32 vcc_lo, exec_lo, s31
	s_cbranch_vccnz .LBB63_832
; %bb.827:
	s_and_not1_b32 vcc_lo, exec_lo, s38
	s_cbranch_vccnz .LBB63_833
; %bb.828:
	s_add_co_i32 s37, s37, 1
	s_cmp_eq_u32 s29, 2
	s_cbranch_scc1 .LBB63_834
; %bb.829:
	v_dual_mov_b32 v2, 0 :: v_dual_mov_b32 v4, 0
	s_wait_loadcnt 0x0
	v_mov_b32_e32 v1, v0
	s_and_b32 s0, s37, 28
	s_mov_b64 s[24:25], s[2:3]
.LBB63_830:                             ; =>This Inner Loop Header: Depth=1
	s_clause 0x1
	s_load_b256 s[48:55], s[24:25], 0x4
	s_load_b128 s[64:67], s[24:25], 0x24
	s_load_b256 s[56:63], s[22:23], 0x0
	s_add_co_i32 s1, s1, 4
	s_wait_xcnt 0x0
	s_add_nc_u64 s[24:25], s[24:25], 48
	s_cmp_eq_u32 s0, s1
	s_add_nc_u64 s[22:23], s[22:23], 32
	s_wait_kmcnt 0x0
	v_mul_hi_u32 v3, s49, v1
	s_delay_alu instid0(VALU_DEP_1) | instskip(NEXT) | instid1(VALU_DEP_1)
	v_add_nc_u32_e32 v3, v1, v3
	v_lshrrev_b32_e32 v3, s50, v3
	s_delay_alu instid0(VALU_DEP_1) | instskip(NEXT) | instid1(VALU_DEP_1)
	v_mul_hi_u32 v5, s52, v3
	v_add_nc_u32_e32 v5, v3, v5
	s_delay_alu instid0(VALU_DEP_1) | instskip(NEXT) | instid1(VALU_DEP_1)
	v_lshrrev_b32_e32 v5, s53, v5
	v_mul_hi_u32 v6, s55, v5
	s_delay_alu instid0(VALU_DEP_1) | instskip(SKIP_1) | instid1(VALU_DEP_1)
	v_add_nc_u32_e32 v6, v5, v6
	v_mul_lo_u32 v7, v3, s48
	v_sub_nc_u32_e32 v1, v1, v7
	v_mul_lo_u32 v7, v5, s51
	s_delay_alu instid0(VALU_DEP_4) | instskip(NEXT) | instid1(VALU_DEP_3)
	v_lshrrev_b32_e32 v6, s64, v6
	v_mad_u32 v4, v1, s57, v4
	v_mad_u32 v1, v1, s56, v2
	s_delay_alu instid0(VALU_DEP_4) | instskip(NEXT) | instid1(VALU_DEP_4)
	v_sub_nc_u32_e32 v2, v3, v7
	v_mul_hi_u32 v8, s66, v6
	v_mul_lo_u32 v3, v6, s54
	s_delay_alu instid0(VALU_DEP_3) | instskip(SKIP_1) | instid1(VALU_DEP_3)
	v_mad_u32 v4, v2, s59, v4
	v_mad_u32 v2, v2, s58, v1
	v_dual_add_nc_u32 v7, v6, v8 :: v_dual_sub_nc_u32 v3, v5, v3
	s_delay_alu instid0(VALU_DEP_1) | instskip(NEXT) | instid1(VALU_DEP_2)
	v_lshrrev_b32_e32 v1, s67, v7
	v_mad_u32 v4, v3, s61, v4
	s_delay_alu instid0(VALU_DEP_4) | instskip(NEXT) | instid1(VALU_DEP_3)
	v_mad_u32 v2, v3, s60, v2
	v_mul_lo_u32 v5, v1, s65
	s_delay_alu instid0(VALU_DEP_1) | instskip(NEXT) | instid1(VALU_DEP_1)
	v_sub_nc_u32_e32 v3, v6, v5
	v_mad_u32 v4, v3, s63, v4
	s_delay_alu instid0(VALU_DEP_4)
	v_mad_u32 v2, v3, s62, v2
	s_cbranch_scc0 .LBB63_830
; %bb.831:
	s_delay_alu instid0(VALU_DEP_2)
	v_mov_b32_e32 v3, v4
	s_branch .LBB63_835
.LBB63_832:
	s_mov_b32 s0, -1
                                        ; implicit-def: $vgpr4
                                        ; implicit-def: $vgpr2
	s_branch .LBB63_840
.LBB63_833:
	v_dual_mov_b32 v4, 0 :: v_dual_mov_b32 v2, 0
	s_branch .LBB63_839
.LBB63_834:
	v_mov_b64_e32 v[2:3], 0
	s_wait_loadcnt 0x0
	v_mov_b32_e32 v1, v0
                                        ; implicit-def: $vgpr4
.LBB63_835:
	s_and_b32 s24, s37, 3
	s_mov_b32 s1, 0
	s_cmp_eq_u32 s24, 0
	s_cbranch_scc1 .LBB63_839
; %bb.836:
	s_lshl_b32 s22, s0, 3
	s_mov_b32 s23, s1
	s_mul_u64 s[46:47], s[0:1], 12
	s_add_nc_u64 s[22:23], s[2:3], s[22:23]
	s_delay_alu instid0(SALU_CYCLE_1)
	s_add_nc_u64 s[0:1], s[22:23], 0xc4
	s_add_nc_u64 s[22:23], s[2:3], s[46:47]
.LBB63_837:                             ; =>This Inner Loop Header: Depth=1
	s_load_b96 s[48:50], s[22:23], 0x4
	s_load_b64 s[46:47], s[0:1], 0x0
	s_add_co_i32 s24, s24, -1
	s_wait_xcnt 0x0
	s_add_nc_u64 s[22:23], s[22:23], 12
	s_cmp_lg_u32 s24, 0
	s_add_nc_u64 s[0:1], s[0:1], 8
	s_wait_kmcnt 0x0
	v_mul_hi_u32 v4, s49, v1
	s_delay_alu instid0(VALU_DEP_1) | instskip(NEXT) | instid1(VALU_DEP_1)
	v_add_nc_u32_e32 v4, v1, v4
	v_lshrrev_b32_e32 v4, s50, v4
	s_delay_alu instid0(VALU_DEP_1) | instskip(NEXT) | instid1(VALU_DEP_1)
	v_mul_lo_u32 v5, v4, s48
	v_sub_nc_u32_e32 v1, v1, v5
	s_delay_alu instid0(VALU_DEP_1)
	v_mad_u32 v3, v1, s47, v3
	v_mad_u32 v2, v1, s46, v2
	v_mov_b32_e32 v1, v4
	s_cbranch_scc1 .LBB63_837
; %bb.838:
	s_delay_alu instid0(VALU_DEP_3)
	v_mov_b32_e32 v4, v3
.LBB63_839:
	s_mov_b32 s0, 0
.LBB63_840:
	s_delay_alu instid0(SALU_CYCLE_1)
	s_and_not1_b32 vcc_lo, exec_lo, s0
	s_cbranch_vccnz .LBB63_843
; %bb.841:
	s_wait_loadcnt 0x0
	v_mov_b32_e32 v1, 0
	s_and_not1_b32 vcc_lo, exec_lo, s35
	s_delay_alu instid0(VALU_DEP_1) | instskip(NEXT) | instid1(VALU_DEP_1)
	v_mul_u64_e32 v[2:3], s[16:17], v[0:1]
	v_add_nc_u32_e32 v2, v0, v3
	s_delay_alu instid0(VALU_DEP_1) | instskip(NEXT) | instid1(VALU_DEP_1)
	v_lshrrev_b32_e32 v6, s14, v2
	v_mul_lo_u32 v2, v6, s12
	s_delay_alu instid0(VALU_DEP_1) | instskip(NEXT) | instid1(VALU_DEP_1)
	v_sub_nc_u32_e32 v0, v0, v2
	v_mul_lo_u32 v4, v0, s9
	v_mul_lo_u32 v2, v0, s8
	s_cbranch_vccnz .LBB63_843
; %bb.842:
	v_mov_b32_e32 v7, v1
	s_delay_alu instid0(VALU_DEP_1) | instskip(NEXT) | instid1(VALU_DEP_1)
	v_mul_u64_e32 v[0:1], s[20:21], v[6:7]
	v_add_nc_u32_e32 v0, v6, v1
	s_delay_alu instid0(VALU_DEP_1) | instskip(NEXT) | instid1(VALU_DEP_1)
	v_lshrrev_b32_e32 v0, s19, v0
	v_mul_lo_u32 v0, v0, s15
	s_delay_alu instid0(VALU_DEP_1) | instskip(NEXT) | instid1(VALU_DEP_1)
	v_sub_nc_u32_e32 v0, v6, v0
	v_mad_u32 v2, v0, s10, v2
	v_mad_u32 v4, v0, s11, v4
.LBB63_843:
	v_mov_b32_e32 v5, 0
	s_and_b32 s0, 0xffff, s13
	s_delay_alu instid0(SALU_CYCLE_1) | instskip(NEXT) | instid1(VALU_DEP_1)
	s_cmp_lt_i32 s0, 11
	v_add_nc_u64_e32 v[4:5], s[6:7], v[4:5]
	s_cbranch_scc1 .LBB63_850
; %bb.844:
	s_cmp_gt_i32 s0, 25
	s_mov_b32 s6, 0
	s_cbranch_scc0 .LBB63_851
; %bb.845:
	s_cmp_gt_i32 s0, 28
	s_cbranch_scc0 .LBB63_852
; %bb.846:
	s_cmp_gt_i32 s0, 43
	;; [unrolled: 3-line block ×3, first 2 shown]
	s_cbranch_scc0 .LBB63_856
; %bb.848:
	s_cmp_eq_u32 s0, 46
	s_mov_b32 s8, 0
	s_cbranch_scc0 .LBB63_859
; %bb.849:
	global_load_b32 v6, v[4:5], off
	s_mov_b32 s1, 0
	s_mov_b32 s7, -1
	s_branch .LBB63_861
.LBB63_850:
	s_mov_b32 s0, -1
	s_mov_b32 s7, 0
	s_mov_b32 s6, 0
	;; [unrolled: 1-line block ×3, first 2 shown]
                                        ; implicit-def: $vgpr6
	s_branch .LBB63_924
.LBB63_851:
	s_mov_b32 s8, -1
	s_mov_b32 s7, 0
	s_mov_b32 s1, s26
                                        ; implicit-def: $vgpr6
	s_branch .LBB63_890
.LBB63_852:
	s_mov_b32 s8, -1
	s_mov_b32 s7, 0
	s_mov_b32 s1, s26
                                        ; implicit-def: $vgpr6
	s_branch .LBB63_871
.LBB63_853:
	s_mov_b32 s8, -1
	s_mov_b32 s7, 0
	s_mov_b32 s1, s26
                                        ; implicit-def: $vgpr6
	s_branch .LBB63_866
.LBB63_854:
	s_and_not1_saveexec_b32 s46, s46
	s_cbranch_execz .LBB63_732
.LBB63_855:
	v_add_f32_e32 v1, 0x46000000, v4
	s_and_not1_b32 s45, s45, exec_lo
	s_delay_alu instid0(VALU_DEP_1) | instskip(NEXT) | instid1(VALU_DEP_1)
	v_and_b32_e32 v1, 0xff, v1
	v_cmp_ne_u32_e32 vcc_lo, 0, v1
	s_and_b32 s47, vcc_lo, exec_lo
	s_delay_alu instid0(SALU_CYCLE_1)
	s_or_b32 s45, s45, s47
	s_or_b32 exec_lo, exec_lo, s46
	v_mov_b32_e32 v5, 0
	s_and_saveexec_b32 s46, s45
	s_cbranch_execnz .LBB63_733
	s_branch .LBB63_734
.LBB63_856:
	s_mov_b32 s8, -1
	s_mov_b32 s7, 0
	s_mov_b32 s1, s26
	s_branch .LBB63_860
.LBB63_857:
	s_and_not1_saveexec_b32 s46, s46
	s_cbranch_execz .LBB63_745
.LBB63_858:
	v_add_f32_e32 v1, 0x42800000, v4
	s_and_not1_b32 s45, s45, exec_lo
	s_delay_alu instid0(VALU_DEP_1) | instskip(NEXT) | instid1(VALU_DEP_1)
	v_and_b32_e32 v1, 0xff, v1
	v_cmp_ne_u32_e32 vcc_lo, 0, v1
	s_and_b32 s47, vcc_lo, exec_lo
	s_delay_alu instid0(SALU_CYCLE_1)
	s_or_b32 s45, s45, s47
	s_or_b32 exec_lo, exec_lo, s46
	v_mov_b32_e32 v5, 0
	s_and_saveexec_b32 s46, s45
	s_cbranch_execnz .LBB63_746
	s_branch .LBB63_747
.LBB63_859:
	s_mov_b32 s1, -1
	s_mov_b32 s7, 0
.LBB63_860:
                                        ; implicit-def: $vgpr6
.LBB63_861:
	s_and_b32 vcc_lo, exec_lo, s8
	s_cbranch_vccz .LBB63_865
; %bb.862:
	s_cmp_eq_u32 s0, 44
	s_cbranch_scc0 .LBB63_864
; %bb.863:
	global_load_u8 v0, v[4:5], off
	s_mov_b32 s1, 0
	s_mov_b32 s7, -1
	s_wait_loadcnt 0x0
	v_lshlrev_b32_e32 v1, 23, v0
	v_cmp_ne_u32_e32 vcc_lo, 0xff, v0
	s_delay_alu instid0(VALU_DEP_2) | instskip(SKIP_1) | instid1(VALU_DEP_2)
	v_cndmask_b32_e32 v1, 0x7f800001, v1, vcc_lo
	v_cmp_ne_u32_e32 vcc_lo, 0, v0
	v_cndmask_b32_e32 v0, 0x400000, v1, vcc_lo
	s_delay_alu instid0(VALU_DEP_1) | instskip(NEXT) | instid1(VALU_DEP_1)
	v_add_nc_u32_e32 v1, 0x7fff, v0
	v_lshrrev_b32_e32 v1, 16, v1
	v_cmp_o_f32_e32 vcc_lo, v0, v0
	s_delay_alu instid0(VALU_DEP_2)
	v_cndmask_b32_e32 v6, 0x7fc0, v1, vcc_lo
	s_branch .LBB63_865
.LBB63_864:
	s_mov_b32 s1, -1
                                        ; implicit-def: $vgpr6
.LBB63_865:
	s_mov_b32 s8, 0
.LBB63_866:
	s_delay_alu instid0(SALU_CYCLE_1)
	s_and_b32 vcc_lo, exec_lo, s8
	s_cbranch_vccz .LBB63_870
; %bb.867:
	s_cmp_eq_u32 s0, 29
	s_cbranch_scc0 .LBB63_869
; %bb.868:
	s_wait_loadcnt 0x0
	global_load_b64 v[0:1], v[4:5], off
	s_mov_b32 s1, 0
	s_mov_b32 s7, -1
	s_mov_b32 s8, 0
	s_wait_loadcnt 0x0
	v_clz_i32_u32_e32 v3, v1
	s_delay_alu instid0(VALU_DEP_1) | instskip(NEXT) | instid1(VALU_DEP_1)
	v_min_u32_e32 v3, 32, v3
	v_lshlrev_b64_e32 v[0:1], v3, v[0:1]
	s_delay_alu instid0(VALU_DEP_1) | instskip(NEXT) | instid1(VALU_DEP_1)
	v_min_u32_e32 v0, 1, v0
	v_dual_sub_nc_u32 v1, 32, v3 :: v_dual_bitop2_b32 v0, v1, v0 bitop3:0x54
	s_delay_alu instid0(VALU_DEP_1) | instskip(NEXT) | instid1(VALU_DEP_1)
	v_cvt_f32_u32_e32 v0, v0
	v_ldexp_f32 v0, v0, v1
	s_delay_alu instid0(VALU_DEP_1) | instskip(NEXT) | instid1(VALU_DEP_1)
	v_bfe_u32 v1, v0, 16, 1
	v_add3_u32 v0, v0, v1, 0x7fff
	s_delay_alu instid0(VALU_DEP_1)
	v_lshrrev_b32_e32 v6, 16, v0
	s_branch .LBB63_871
.LBB63_869:
	s_mov_b32 s1, -1
                                        ; implicit-def: $vgpr6
.LBB63_870:
	s_mov_b32 s8, 0
.LBB63_871:
	s_delay_alu instid0(SALU_CYCLE_1)
	s_and_b32 vcc_lo, exec_lo, s8
	s_cbranch_vccz .LBB63_889
; %bb.872:
	s_cmp_lt_i32 s0, 27
	s_cbranch_scc1 .LBB63_875
; %bb.873:
	s_cmp_gt_i32 s0, 27
	s_cbranch_scc0 .LBB63_876
; %bb.874:
	global_load_b32 v0, v[4:5], off
	s_mov_b32 s7, 0
	s_wait_loadcnt 0x0
	v_cvt_f32_u32_e32 v0, v0
	s_delay_alu instid0(VALU_DEP_1) | instskip(NEXT) | instid1(VALU_DEP_1)
	v_bfe_u32 v1, v0, 16, 1
	v_add3_u32 v0, v0, v1, 0x7fff
	s_delay_alu instid0(VALU_DEP_1)
	v_lshrrev_b32_e32 v6, 16, v0
	s_branch .LBB63_877
.LBB63_875:
	s_mov_b32 s7, -1
                                        ; implicit-def: $vgpr6
	s_branch .LBB63_880
.LBB63_876:
	s_mov_b32 s7, -1
                                        ; implicit-def: $vgpr6
.LBB63_877:
	s_delay_alu instid0(SALU_CYCLE_1)
	s_and_not1_b32 vcc_lo, exec_lo, s7
	s_cbranch_vccnz .LBB63_879
; %bb.878:
	global_load_u16 v0, v[4:5], off
	s_wait_loadcnt 0x0
	v_cvt_f32_u32_e32 v0, v0
	s_delay_alu instid0(VALU_DEP_1) | instskip(NEXT) | instid1(VALU_DEP_1)
	v_bfe_u32 v1, v0, 16, 1
	v_add3_u32 v0, v0, v1, 0x7fff
	s_delay_alu instid0(VALU_DEP_1)
	v_lshrrev_b32_e32 v6, 16, v0
.LBB63_879:
	s_mov_b32 s7, 0
.LBB63_880:
	s_delay_alu instid0(SALU_CYCLE_1)
	s_and_not1_b32 vcc_lo, exec_lo, s7
	s_cbranch_vccnz .LBB63_888
; %bb.881:
	global_load_u8 v0, v[4:5], off
	s_mov_b32 s7, 0
	s_mov_b32 s8, exec_lo
	s_wait_loadcnt 0x0
	v_cmpx_lt_i16_e32 0x7f, v0
	s_xor_b32 s8, exec_lo, s8
	s_cbranch_execz .LBB63_902
; %bb.882:
	s_mov_b32 s7, -1
	s_mov_b32 s9, exec_lo
	v_cmpx_eq_u16_e32 0x80, v0
; %bb.883:
	s_xor_b32 s7, exec_lo, -1
; %bb.884:
	s_or_b32 exec_lo, exec_lo, s9
	s_delay_alu instid0(SALU_CYCLE_1)
	s_and_b32 s7, s7, exec_lo
	s_or_saveexec_b32 s8, s8
	v_mov_b32_e32 v1, 0x7f800001
	s_xor_b32 exec_lo, exec_lo, s8
	s_cbranch_execnz .LBB63_903
.LBB63_885:
	s_or_b32 exec_lo, exec_lo, s8
	s_and_saveexec_b32 s8, s7
	s_cbranch_execz .LBB63_887
.LBB63_886:
	v_and_b32_e32 v1, 0xffff, v0
	s_delay_alu instid0(VALU_DEP_1) | instskip(SKIP_1) | instid1(VALU_DEP_2)
	v_and_b32_e32 v3, 7, v1
	v_bfe_u32 v8, v1, 3, 4
	v_clz_i32_u32_e32 v6, v3
	s_delay_alu instid0(VALU_DEP_2) | instskip(NEXT) | instid1(VALU_DEP_2)
	v_cmp_eq_u32_e32 vcc_lo, 0, v8
	v_min_u32_e32 v6, 32, v6
	s_delay_alu instid0(VALU_DEP_1) | instskip(NEXT) | instid1(VALU_DEP_1)
	v_subrev_nc_u32_e32 v7, 28, v6
	v_dual_lshlrev_b32 v1, v7, v1 :: v_dual_sub_nc_u32 v6, 29, v6
	s_delay_alu instid0(VALU_DEP_1) | instskip(NEXT) | instid1(VALU_DEP_1)
	v_dual_lshlrev_b32 v0, 24, v0 :: v_dual_bitop2_b32 v1, 7, v1 bitop3:0x40
	v_dual_cndmask_b32 v6, v8, v6 :: v_dual_cndmask_b32 v1, v3, v1
	s_delay_alu instid0(VALU_DEP_2) | instskip(NEXT) | instid1(VALU_DEP_2)
	v_and_b32_e32 v0, 0x80000000, v0
	v_lshl_add_u32 v3, v6, 23, 0x3b800000
	s_delay_alu instid0(VALU_DEP_3) | instskip(NEXT) | instid1(VALU_DEP_1)
	v_lshlrev_b32_e32 v1, 20, v1
	v_or3_b32 v1, v0, v3, v1
.LBB63_887:
	s_or_b32 exec_lo, exec_lo, s8
	s_delay_alu instid0(VALU_DEP_1) | instskip(SKIP_1) | instid1(VALU_DEP_2)
	v_bfe_u32 v0, v1, 16, 1
	v_cmp_o_f32_e32 vcc_lo, v1, v1
	v_add3_u32 v0, v1, v0, 0x7fff
	s_delay_alu instid0(VALU_DEP_1) | instskip(NEXT) | instid1(VALU_DEP_1)
	v_lshrrev_b32_e32 v0, 16, v0
	v_cndmask_b32_e32 v6, 0x7fc0, v0, vcc_lo
.LBB63_888:
	s_mov_b32 s7, -1
.LBB63_889:
	s_mov_b32 s8, 0
.LBB63_890:
	s_delay_alu instid0(SALU_CYCLE_1)
	s_and_b32 vcc_lo, exec_lo, s8
	s_cbranch_vccz .LBB63_923
; %bb.891:
	s_cmp_gt_i32 s0, 22
	s_cbranch_scc0 .LBB63_901
; %bb.892:
	s_cmp_lt_i32 s0, 24
	s_cbranch_scc1 .LBB63_904
; %bb.893:
	s_cmp_gt_i32 s0, 24
	s_cbranch_scc0 .LBB63_905
; %bb.894:
	global_load_u8 v0, v[4:5], off
	s_mov_b32 s7, exec_lo
	s_wait_loadcnt 0x0
	v_cmpx_lt_i16_e32 0x7f, v0
	s_xor_b32 s7, exec_lo, s7
	s_cbranch_execz .LBB63_917
; %bb.895:
	s_mov_b32 s6, -1
	s_mov_b32 s8, exec_lo
	v_cmpx_eq_u16_e32 0x80, v0
; %bb.896:
	s_xor_b32 s6, exec_lo, -1
; %bb.897:
	s_or_b32 exec_lo, exec_lo, s8
	s_delay_alu instid0(SALU_CYCLE_1)
	s_and_b32 s6, s6, exec_lo
	s_or_saveexec_b32 s7, s7
	v_mov_b32_e32 v1, 0x7f800001
	s_xor_b32 exec_lo, exec_lo, s7
	s_cbranch_execnz .LBB63_918
.LBB63_898:
	s_or_b32 exec_lo, exec_lo, s7
	s_and_saveexec_b32 s7, s6
	s_cbranch_execz .LBB63_900
.LBB63_899:
	v_and_b32_e32 v1, 0xffff, v0
	s_delay_alu instid0(VALU_DEP_1) | instskip(SKIP_1) | instid1(VALU_DEP_2)
	v_and_b32_e32 v3, 3, v1
	v_bfe_u32 v8, v1, 2, 5
	v_clz_i32_u32_e32 v6, v3
	s_delay_alu instid0(VALU_DEP_2) | instskip(NEXT) | instid1(VALU_DEP_2)
	v_cmp_eq_u32_e32 vcc_lo, 0, v8
	v_min_u32_e32 v6, 32, v6
	s_delay_alu instid0(VALU_DEP_1) | instskip(NEXT) | instid1(VALU_DEP_1)
	v_subrev_nc_u32_e32 v7, 29, v6
	v_dual_lshlrev_b32 v1, v7, v1 :: v_dual_sub_nc_u32 v6, 30, v6
	s_delay_alu instid0(VALU_DEP_1) | instskip(NEXT) | instid1(VALU_DEP_1)
	v_dual_lshlrev_b32 v0, 24, v0 :: v_dual_bitop2_b32 v1, 3, v1 bitop3:0x40
	v_dual_cndmask_b32 v6, v8, v6 :: v_dual_cndmask_b32 v1, v3, v1
	s_delay_alu instid0(VALU_DEP_2) | instskip(NEXT) | instid1(VALU_DEP_2)
	v_and_b32_e32 v0, 0x80000000, v0
	v_lshl_add_u32 v3, v6, 23, 0x37800000
	s_delay_alu instid0(VALU_DEP_3) | instskip(NEXT) | instid1(VALU_DEP_1)
	v_lshlrev_b32_e32 v1, 21, v1
	v_or3_b32 v1, v0, v3, v1
.LBB63_900:
	s_or_b32 exec_lo, exec_lo, s7
	s_delay_alu instid0(VALU_DEP_1) | instskip(SKIP_2) | instid1(VALU_DEP_2)
	v_bfe_u32 v0, v1, 16, 1
	v_cmp_o_f32_e32 vcc_lo, v1, v1
	s_mov_b32 s6, 0
	v_add3_u32 v0, v1, v0, 0x7fff
	s_delay_alu instid0(VALU_DEP_1) | instskip(NEXT) | instid1(VALU_DEP_1)
	v_lshrrev_b32_e32 v0, 16, v0
	v_cndmask_b32_e32 v6, 0x7fc0, v0, vcc_lo
	s_branch .LBB63_906
.LBB63_901:
	s_mov_b32 s6, -1
                                        ; implicit-def: $vgpr6
	s_branch .LBB63_912
.LBB63_902:
	s_or_saveexec_b32 s8, s8
	v_mov_b32_e32 v1, 0x7f800001
	s_xor_b32 exec_lo, exec_lo, s8
	s_cbranch_execz .LBB63_885
.LBB63_903:
	v_cmp_ne_u16_e32 vcc_lo, 0, v0
	v_mov_b32_e32 v1, 0
	s_and_not1_b32 s7, s7, exec_lo
	s_and_b32 s9, vcc_lo, exec_lo
	s_delay_alu instid0(SALU_CYCLE_1)
	s_or_b32 s7, s7, s9
	s_or_b32 exec_lo, exec_lo, s8
	s_and_saveexec_b32 s8, s7
	s_cbranch_execnz .LBB63_886
	s_branch .LBB63_887
.LBB63_904:
	s_mov_b32 s6, -1
                                        ; implicit-def: $vgpr6
	s_branch .LBB63_909
.LBB63_905:
	s_mov_b32 s6, -1
                                        ; implicit-def: $vgpr6
.LBB63_906:
	s_delay_alu instid0(SALU_CYCLE_1)
	s_and_b32 vcc_lo, exec_lo, s6
	s_cbranch_vccz .LBB63_908
; %bb.907:
	global_load_u8 v0, v[4:5], off
	s_wait_loadcnt 0x0
	v_lshlrev_b32_e32 v0, 24, v0
	s_delay_alu instid0(VALU_DEP_1) | instskip(NEXT) | instid1(VALU_DEP_1)
	v_and_b32_e32 v1, 0x7f000000, v0
	v_clz_i32_u32_e32 v3, v1
	v_add_nc_u32_e32 v7, 0x1000000, v1
	v_cmp_ne_u32_e32 vcc_lo, 0, v1
	s_delay_alu instid0(VALU_DEP_3) | instskip(NEXT) | instid1(VALU_DEP_1)
	v_min_u32_e32 v3, 32, v3
	v_sub_nc_u32_e64 v3, v3, 4 clamp
	s_delay_alu instid0(VALU_DEP_1) | instskip(NEXT) | instid1(VALU_DEP_1)
	v_dual_lshlrev_b32 v6, v3, v1 :: v_dual_lshlrev_b32 v3, 23, v3
	v_lshrrev_b32_e32 v6, 4, v6
	s_delay_alu instid0(VALU_DEP_1) | instskip(SKIP_1) | instid1(VALU_DEP_2)
	v_sub_nc_u32_e32 v3, v6, v3
	v_ashrrev_i32_e32 v6, 8, v7
	v_add_nc_u32_e32 v3, 0x3c000000, v3
	s_delay_alu instid0(VALU_DEP_1) | instskip(NEXT) | instid1(VALU_DEP_1)
	v_and_or_b32 v3, 0x7f800000, v6, v3
	v_cndmask_b32_e32 v1, 0, v3, vcc_lo
	s_delay_alu instid0(VALU_DEP_1) | instskip(SKIP_1) | instid1(VALU_DEP_2)
	v_and_or_b32 v0, 0x80000000, v0, v1
	v_bfe_u32 v1, v1, 16, 1
	v_cmp_o_f32_e32 vcc_lo, v0, v0
	s_delay_alu instid0(VALU_DEP_2) | instskip(NEXT) | instid1(VALU_DEP_1)
	v_add3_u32 v1, v0, v1, 0x7fff
	v_lshrrev_b32_e32 v1, 16, v1
	s_delay_alu instid0(VALU_DEP_1)
	v_cndmask_b32_e32 v6, 0x7fc0, v1, vcc_lo
.LBB63_908:
	s_mov_b32 s6, 0
.LBB63_909:
	s_delay_alu instid0(SALU_CYCLE_1)
	s_and_not1_b32 vcc_lo, exec_lo, s6
	s_cbranch_vccnz .LBB63_911
; %bb.910:
	global_load_u8 v0, v[4:5], off
	s_wait_loadcnt 0x0
	v_lshlrev_b32_e32 v1, 25, v0
	v_lshlrev_b16 v0, 8, v0
	s_delay_alu instid0(VALU_DEP_1) | instskip(SKIP_1) | instid1(VALU_DEP_2)
	v_and_or_b32 v6, 0x7f00, v0, 0.5
	v_bfe_i32 v0, v0, 0, 16
	v_dual_add_f32 v6, -0.5, v6 :: v_dual_lshrrev_b32 v3, 4, v1
	v_cmp_gt_u32_e32 vcc_lo, 0x8000000, v1
	s_delay_alu instid0(VALU_DEP_2) | instskip(NEXT) | instid1(VALU_DEP_1)
	v_or_b32_e32 v3, 0x70000000, v3
	v_mul_f32_e32 v3, 0x7800000, v3
	s_delay_alu instid0(VALU_DEP_1) | instskip(NEXT) | instid1(VALU_DEP_1)
	v_cndmask_b32_e32 v1, v3, v6, vcc_lo
	v_and_or_b32 v0, 0x80000000, v0, v1
	v_bfe_u32 v1, v1, 16, 1
	s_delay_alu instid0(VALU_DEP_2) | instskip(NEXT) | instid1(VALU_DEP_2)
	v_cmp_o_f32_e32 vcc_lo, v0, v0
	v_add3_u32 v1, v0, v1, 0x7fff
	s_delay_alu instid0(VALU_DEP_1) | instskip(NEXT) | instid1(VALU_DEP_1)
	v_lshrrev_b32_e32 v1, 16, v1
	v_cndmask_b32_e32 v6, 0x7fc0, v1, vcc_lo
.LBB63_911:
	s_mov_b32 s6, 0
	s_mov_b32 s7, -1
.LBB63_912:
	s_and_not1_b32 vcc_lo, exec_lo, s6
	s_mov_b32 s6, 0
	s_cbranch_vccnz .LBB63_923
; %bb.913:
	s_cmp_gt_i32 s0, 14
	s_cbranch_scc0 .LBB63_916
; %bb.914:
	s_cmp_eq_u32 s0, 15
	s_cbranch_scc0 .LBB63_919
; %bb.915:
	s_wait_loadcnt 0x0
	global_load_u16 v6, v[4:5], off
	s_mov_b32 s1, 0
	s_mov_b32 s7, -1
	s_branch .LBB63_921
.LBB63_916:
	s_mov_b32 s6, -1
	s_branch .LBB63_920
.LBB63_917:
	s_or_saveexec_b32 s7, s7
	v_mov_b32_e32 v1, 0x7f800001
	s_xor_b32 exec_lo, exec_lo, s7
	s_cbranch_execz .LBB63_898
.LBB63_918:
	v_cmp_ne_u16_e32 vcc_lo, 0, v0
	v_mov_b32_e32 v1, 0
	s_and_not1_b32 s6, s6, exec_lo
	s_and_b32 s8, vcc_lo, exec_lo
	s_delay_alu instid0(SALU_CYCLE_1)
	s_or_b32 s6, s6, s8
	s_or_b32 exec_lo, exec_lo, s7
	s_and_saveexec_b32 s7, s6
	s_cbranch_execnz .LBB63_899
	s_branch .LBB63_900
.LBB63_919:
	s_mov_b32 s1, -1
.LBB63_920:
                                        ; implicit-def: $vgpr6
.LBB63_921:
	s_and_b32 vcc_lo, exec_lo, s6
	s_mov_b32 s6, 0
	s_cbranch_vccz .LBB63_923
; %bb.922:
	s_cmp_lg_u32 s0, 11
	s_mov_b32 s6, -1
	s_cselect_b32 s0, -1, 0
	s_and_not1_b32 s1, s1, exec_lo
	s_and_b32 s0, s0, exec_lo
	s_delay_alu instid0(SALU_CYCLE_1)
	s_or_b32 s1, s1, s0
.LBB63_923:
	s_mov_b32 s0, 0
.LBB63_924:
	s_and_b32 s24, s7, exec_lo
	s_and_not1_b32 s7, s26, exec_lo
	s_and_b32 s1, s1, exec_lo
	s_and_b32 s25, s0, exec_lo
	;; [unrolled: 1-line block ×3, first 2 shown]
	s_or_b32 s45, s7, s1
.LBB63_925:
	s_wait_xcnt 0x0
	s_or_b32 exec_lo, exec_lo, s36
	s_delay_alu instid0(SALU_CYCLE_1)
	s_and_not1_b32 s6, s26, exec_lo
	s_and_b32 s7, s45, exec_lo
	s_and_b32 s24, s24, exec_lo
	;; [unrolled: 1-line block ×4, first 2 shown]
	s_or_b32 s26, s6, s7
.LBB63_926:
	s_or_b32 exec_lo, exec_lo, s44
	s_delay_alu instid0(SALU_CYCLE_1)
	s_and_not1_b32 s6, s42, exec_lo
	s_and_b32 s7, s27, exec_lo
	s_and_b32 s25, s24, exec_lo
	s_or_b32 s42, s6, s7
	s_and_not1_b32 s6, s41, exec_lo
	s_and_b32 s7, s26, exec_lo
	s_and_b32 s24, s1, exec_lo
	;; [unrolled: 1-line block ×3, first 2 shown]
	s_or_b32 s41, s6, s7
.LBB63_927:
	s_or_b32 exec_lo, exec_lo, s43
	s_delay_alu instid0(SALU_CYCLE_1)
	s_and_not1_b32 s0, s18, exec_lo
	s_and_b32 s6, s42, exec_lo
	s_and_b32 s7, s41, exec_lo
	s_or_b32 s18, s0, s6
	s_and_not1_b32 s6, s39, exec_lo
	s_and_b32 s0, s25, exec_lo
	s_and_b32 s25, s24, exec_lo
	;; [unrolled: 1-line block ×3, first 2 shown]
	s_or_b32 s39, s6, s7
	s_or_b32 exec_lo, exec_lo, s40
	s_mov_b32 s1, 0
	s_and_saveexec_b32 s6, s39
	s_cbranch_execz .LBB63_276
.LBB63_928:
	s_mov_b32 s1, exec_lo
	s_and_not1_b32 s17, s17, exec_lo
	s_trap 2
	s_or_b32 exec_lo, exec_lo, s6
	s_and_saveexec_b32 s6, s17
	s_delay_alu instid0(SALU_CYCLE_1)
	s_xor_b32 s6, exec_lo, s6
	s_cbranch_execnz .LBB63_277
.LBB63_929:
	s_or_b32 exec_lo, exec_lo, s6
	s_and_saveexec_b32 s6, s25
	s_cbranch_execz .LBB63_975
.LBB63_930:
	s_sext_i32_i16 s7, s13
	s_delay_alu instid0(SALU_CYCLE_1)
	s_cmp_lt_i32 s7, 5
	s_cbranch_scc1 .LBB63_935
; %bb.931:
	s_cmp_lt_i32 s7, 8
	s_cbranch_scc1 .LBB63_936
; %bb.932:
	;; [unrolled: 3-line block ×3, first 2 shown]
	s_cmp_gt_i32 s7, 9
	s_cbranch_scc0 .LBB63_938
; %bb.934:
	s_wait_loadcnt 0x0
	global_load_b64 v[0:1], v[4:5], off
	s_mov_b32 s7, 0
	s_wait_loadcnt 0x0
	v_cvt_f32_f64_e32 v0, v[0:1]
	s_delay_alu instid0(VALU_DEP_1) | instskip(SKIP_1) | instid1(VALU_DEP_2)
	v_bfe_u32 v1, v0, 16, 1
	v_cmp_o_f32_e32 vcc_lo, v0, v0
	v_add3_u32 v1, v0, v1, 0x7fff
	s_delay_alu instid0(VALU_DEP_1) | instskip(NEXT) | instid1(VALU_DEP_1)
	v_lshrrev_b32_e32 v1, 16, v1
	v_cndmask_b32_e32 v6, 0x7fc0, v1, vcc_lo
	s_branch .LBB63_939
.LBB63_935:
                                        ; implicit-def: $vgpr6
	s_branch .LBB63_956
.LBB63_936:
                                        ; implicit-def: $vgpr6
	s_branch .LBB63_945
.LBB63_937:
	s_mov_b32 s7, -1
                                        ; implicit-def: $vgpr6
	s_branch .LBB63_942
.LBB63_938:
	s_mov_b32 s7, -1
                                        ; implicit-def: $vgpr6
.LBB63_939:
	s_delay_alu instid0(SALU_CYCLE_1)
	s_and_not1_b32 vcc_lo, exec_lo, s7
	s_cbranch_vccnz .LBB63_941
; %bb.940:
	global_load_b32 v0, v[4:5], off
	s_wait_loadcnt 0x0
	v_bfe_u32 v1, v0, 16, 1
	v_cmp_o_f32_e32 vcc_lo, v0, v0
	s_delay_alu instid0(VALU_DEP_2) | instskip(NEXT) | instid1(VALU_DEP_1)
	v_add3_u32 v1, v0, v1, 0x7fff
	v_lshrrev_b32_e32 v1, 16, v1
	s_delay_alu instid0(VALU_DEP_1)
	v_cndmask_b32_e32 v6, 0x7fc0, v1, vcc_lo
.LBB63_941:
	s_mov_b32 s7, 0
.LBB63_942:
	s_delay_alu instid0(SALU_CYCLE_1)
	s_and_not1_b32 vcc_lo, exec_lo, s7
	s_cbranch_vccnz .LBB63_944
; %bb.943:
	global_load_b32 v0, v[4:5], off
	s_wait_loadcnt 0x0
	v_cvt_f32_f16_e32 v1, v0
	v_cmp_o_f16_e32 vcc_lo, v0, v0
	s_delay_alu instid0(VALU_DEP_2) | instskip(NEXT) | instid1(VALU_DEP_1)
	v_bfe_u32 v3, v1, 16, 1
	v_add3_u32 v1, v1, v3, 0x7fff
	s_delay_alu instid0(VALU_DEP_1) | instskip(NEXT) | instid1(VALU_DEP_1)
	v_lshrrev_b32_e32 v1, 16, v1
	v_cndmask_b32_e32 v6, 0x7fc0, v1, vcc_lo
.LBB63_944:
	s_cbranch_execnz .LBB63_955
.LBB63_945:
	s_sext_i32_i16 s7, s13
	s_delay_alu instid0(SALU_CYCLE_1)
	s_cmp_lt_i32 s7, 6
	s_cbranch_scc1 .LBB63_948
; %bb.946:
	s_cmp_gt_i32 s7, 6
	s_cbranch_scc0 .LBB63_949
; %bb.947:
	s_wait_loadcnt 0x0
	global_load_b64 v[0:1], v[4:5], off
	s_mov_b32 s7, 0
	s_wait_loadcnt 0x0
	v_cvt_f32_f64_e32 v0, v[0:1]
	s_delay_alu instid0(VALU_DEP_1) | instskip(SKIP_1) | instid1(VALU_DEP_2)
	v_bfe_u32 v1, v0, 16, 1
	v_cmp_o_f32_e32 vcc_lo, v0, v0
	v_add3_u32 v1, v0, v1, 0x7fff
	s_delay_alu instid0(VALU_DEP_1) | instskip(NEXT) | instid1(VALU_DEP_1)
	v_lshrrev_b32_e32 v1, 16, v1
	v_cndmask_b32_e32 v6, 0x7fc0, v1, vcc_lo
	s_branch .LBB63_950
.LBB63_948:
	s_mov_b32 s7, -1
                                        ; implicit-def: $vgpr6
	s_branch .LBB63_953
.LBB63_949:
	s_mov_b32 s7, -1
                                        ; implicit-def: $vgpr6
.LBB63_950:
	s_delay_alu instid0(SALU_CYCLE_1)
	s_and_not1_b32 vcc_lo, exec_lo, s7
	s_cbranch_vccnz .LBB63_952
; %bb.951:
	global_load_b32 v0, v[4:5], off
	s_wait_loadcnt 0x0
	v_bfe_u32 v1, v0, 16, 1
	v_cmp_o_f32_e32 vcc_lo, v0, v0
	s_delay_alu instid0(VALU_DEP_2) | instskip(NEXT) | instid1(VALU_DEP_1)
	v_add3_u32 v1, v0, v1, 0x7fff
	v_lshrrev_b32_e32 v1, 16, v1
	s_delay_alu instid0(VALU_DEP_1)
	v_cndmask_b32_e32 v6, 0x7fc0, v1, vcc_lo
.LBB63_952:
	s_mov_b32 s7, 0
.LBB63_953:
	s_delay_alu instid0(SALU_CYCLE_1)
	s_and_not1_b32 vcc_lo, exec_lo, s7
	s_cbranch_vccnz .LBB63_955
; %bb.954:
	global_load_u16 v0, v[4:5], off
	s_wait_loadcnt 0x0
	v_cvt_f32_f16_e32 v1, v0
	v_cmp_o_f16_e32 vcc_lo, v0, v0
	s_delay_alu instid0(VALU_DEP_2) | instskip(NEXT) | instid1(VALU_DEP_1)
	v_bfe_u32 v3, v1, 16, 1
	v_add3_u32 v1, v1, v3, 0x7fff
	s_delay_alu instid0(VALU_DEP_1) | instskip(NEXT) | instid1(VALU_DEP_1)
	v_lshrrev_b32_e32 v1, 16, v1
	v_cndmask_b32_e32 v6, 0x7fc0, v1, vcc_lo
.LBB63_955:
	s_cbranch_execnz .LBB63_974
.LBB63_956:
	s_sext_i32_i16 s7, s13
	s_delay_alu instid0(SALU_CYCLE_1)
	s_cmp_lt_i32 s7, 2
	s_cbranch_scc1 .LBB63_960
; %bb.957:
	s_cmp_lt_i32 s7, 3
	s_cbranch_scc1 .LBB63_961
; %bb.958:
	s_cmp_gt_i32 s7, 3
	s_cbranch_scc0 .LBB63_962
; %bb.959:
	s_wait_loadcnt 0x0
	global_load_b64 v[0:1], v[4:5], off
	s_mov_b32 s7, 0
	s_wait_loadcnt 0x0
	v_xor_b32_e32 v3, v0, v1
	v_cls_i32_e32 v6, v1
	s_delay_alu instid0(VALU_DEP_2) | instskip(NEXT) | instid1(VALU_DEP_1)
	v_ashrrev_i32_e32 v3, 31, v3
	v_add_nc_u32_e32 v3, 32, v3
	s_delay_alu instid0(VALU_DEP_1) | instskip(NEXT) | instid1(VALU_DEP_1)
	v_add_min_u32_e64 v3, v6, -1, v3
	v_lshlrev_b64_e32 v[0:1], v3, v[0:1]
	s_delay_alu instid0(VALU_DEP_1) | instskip(NEXT) | instid1(VALU_DEP_1)
	v_min_u32_e32 v0, 1, v0
	v_dual_sub_nc_u32 v1, 32, v3 :: v_dual_bitop2_b32 v0, v1, v0 bitop3:0x54
	s_delay_alu instid0(VALU_DEP_1) | instskip(NEXT) | instid1(VALU_DEP_1)
	v_cvt_f32_i32_e32 v0, v0
	v_ldexp_f32 v0, v0, v1
	s_delay_alu instid0(VALU_DEP_1) | instskip(NEXT) | instid1(VALU_DEP_1)
	v_bfe_u32 v1, v0, 16, 1
	v_add3_u32 v0, v0, v1, 0x7fff
	s_delay_alu instid0(VALU_DEP_1)
	v_lshrrev_b32_e32 v6, 16, v0
	s_branch .LBB63_963
.LBB63_960:
                                        ; implicit-def: $vgpr6
	s_branch .LBB63_969
.LBB63_961:
	s_mov_b32 s7, -1
                                        ; implicit-def: $vgpr6
	s_branch .LBB63_966
.LBB63_962:
	s_mov_b32 s7, -1
                                        ; implicit-def: $vgpr6
.LBB63_963:
	s_delay_alu instid0(SALU_CYCLE_1)
	s_and_not1_b32 vcc_lo, exec_lo, s7
	s_cbranch_vccnz .LBB63_965
; %bb.964:
	global_load_b32 v0, v[4:5], off
	s_wait_loadcnt 0x0
	v_cvt_f32_i32_e32 v0, v0
	s_delay_alu instid0(VALU_DEP_1) | instskip(NEXT) | instid1(VALU_DEP_1)
	v_bfe_u32 v1, v0, 16, 1
	v_add3_u32 v0, v0, v1, 0x7fff
	s_delay_alu instid0(VALU_DEP_1)
	v_lshrrev_b32_e32 v6, 16, v0
.LBB63_965:
	s_mov_b32 s7, 0
.LBB63_966:
	s_delay_alu instid0(SALU_CYCLE_1)
	s_and_not1_b32 vcc_lo, exec_lo, s7
	s_cbranch_vccnz .LBB63_968
; %bb.967:
	global_load_i16 v0, v[4:5], off
	s_wait_loadcnt 0x0
	v_cvt_f32_i32_e32 v0, v0
	s_delay_alu instid0(VALU_DEP_1) | instskip(NEXT) | instid1(VALU_DEP_1)
	v_bfe_u32 v1, v0, 16, 1
	v_add3_u32 v0, v0, v1, 0x7fff
	s_delay_alu instid0(VALU_DEP_1)
	v_lshrrev_b32_e32 v6, 16, v0
.LBB63_968:
	s_cbranch_execnz .LBB63_974
.LBB63_969:
	s_sext_i32_i16 s7, s13
	s_delay_alu instid0(SALU_CYCLE_1)
	s_cmp_gt_i32 s7, 0
	s_mov_b32 s7, 0
	s_cbranch_scc0 .LBB63_971
; %bb.970:
	global_load_i8 v0, v[4:5], off
	s_wait_loadcnt 0x0
	v_cvt_f32_i32_e32 v0, v0
	s_delay_alu instid0(VALU_DEP_1) | instskip(NEXT) | instid1(VALU_DEP_1)
	v_bfe_u32 v1, v0, 16, 1
	v_add3_u32 v0, v0, v1, 0x7fff
	s_delay_alu instid0(VALU_DEP_1)
	v_lshrrev_b32_e32 v6, 16, v0
	s_branch .LBB63_972
.LBB63_971:
	s_mov_b32 s7, -1
                                        ; implicit-def: $vgpr6
.LBB63_972:
	s_delay_alu instid0(SALU_CYCLE_1)
	s_and_not1_b32 vcc_lo, exec_lo, s7
	s_cbranch_vccnz .LBB63_974
; %bb.973:
	global_load_u8 v0, v[4:5], off
	s_wait_loadcnt 0x0
	v_cvt_f32_ubyte0_e32 v0, v0
	s_delay_alu instid0(VALU_DEP_1) | instskip(NEXT) | instid1(VALU_DEP_1)
	v_bfe_u32 v1, v0, 16, 1
	v_add3_u32 v0, v0, v1, 0x7fff
	s_delay_alu instid0(VALU_DEP_1)
	v_lshrrev_b32_e32 v6, 16, v0
.LBB63_974:
	s_or_b32 s0, s0, exec_lo
.LBB63_975:
	s_wait_xcnt 0x0
	s_or_b32 exec_lo, exec_lo, s6
	s_mov_b32 s10, 0
	s_mov_b32 s9, 0
                                        ; implicit-def: $sgpr6
                                        ; implicit-def: $sgpr7
                                        ; implicit-def: $vgpr0_vgpr1
	s_and_saveexec_b32 s8, s0
	s_cbranch_execz .LBB63_983
; %bb.976:
	s_wait_loadcnt 0x0
	v_dual_mov_b32 v3, 0 :: v_dual_lshlrev_b32 v4, 16, v6
	s_and_b32 s7, s34, 0xff
	s_delay_alu instid0(SALU_CYCLE_1) | instskip(NEXT) | instid1(VALU_DEP_1)
	s_cmp_lt_i32 s7, 11
	v_add_nc_u64_e32 v[0:1], s[4:5], v[2:3]
	s_delay_alu instid0(VALU_DEP_2)
	v_cmp_eq_f32_e64 s6, 0x7f800000, v4
	s_cbranch_scc1 .LBB63_986
; %bb.977:
	s_and_b32 s4, 0xffff, s7
	s_mov_b32 s5, -1
	s_cmp_gt_i32 s4, 25
	s_mov_b32 s0, s18
	s_cbranch_scc0 .LBB63_1014
; %bb.978:
	s_cmp_gt_i32 s4, 28
	s_mov_b32 s0, s18
	s_cbranch_scc0 .LBB63_998
; %bb.979:
	;; [unrolled: 4-line block ×4, first 2 shown]
	s_cmp_eq_u32 s4, 46
	s_mov_b32 s0, -1
	s_cbranch_scc0 .LBB63_987
; %bb.982:
	v_cndmask_b32_e64 v2, 0, 1.0, s6
	s_mov_b32 s0, 0
	s_mov_b32 s5, 0
	s_delay_alu instid0(VALU_DEP_1) | instskip(NEXT) | instid1(VALU_DEP_1)
	v_bfe_u32 v3, v2, 16, 1
	v_add3_u32 v2, v2, v3, 0x7fff
	s_delay_alu instid0(VALU_DEP_1)
	v_lshrrev_b32_e32 v2, 16, v2
	global_store_b32 v[0:1], v2, off
	s_branch .LBB63_988
.LBB63_983:
	s_or_b32 exec_lo, exec_lo, s8
	s_and_saveexec_b32 s0, s18
	s_cbranch_execnz .LBB63_1056
.LBB63_984:
	s_or_b32 exec_lo, exec_lo, s0
	s_and_saveexec_b32 s0, s10
	s_delay_alu instid0(SALU_CYCLE_1)
	s_xor_b32 s0, exec_lo, s0
	s_cbranch_execz .LBB63_1057
.LBB63_985:
	v_cndmask_b32_e64 v2, 0, 1, s6
	s_wait_loadcnt 0x0
	global_store_b8 v[0:1], v2, off
	s_wait_xcnt 0x0
	s_or_b32 exec_lo, exec_lo, s0
	s_and_saveexec_b32 s0, s9
	s_delay_alu instid0(SALU_CYCLE_1)
	s_xor_b32 s0, exec_lo, s0
	s_cbranch_execz .LBB63_1095
	s_branch .LBB63_1058
.LBB63_986:
	s_mov_b32 s5, -1
	s_mov_b32 s0, s18
	s_branch .LBB63_1055
.LBB63_987:
	s_mov_b32 s5, 0
.LBB63_988:
	s_delay_alu instid0(SALU_CYCLE_1)
	s_and_b32 vcc_lo, exec_lo, s5
	s_cbranch_vccz .LBB63_993
; %bb.989:
	s_cmp_eq_u32 s4, 44
	s_mov_b32 s0, -1
	s_cbranch_scc0 .LBB63_993
; %bb.990:
	v_cndmask_b32_e64 v4, 0, 1.0, s6
	s_mov_b32 s5, exec_lo
	s_wait_xcnt 0x0
	s_delay_alu instid0(VALU_DEP_1) | instskip(NEXT) | instid1(VALU_DEP_1)
	v_dual_mov_b32 v3, 0xff :: v_dual_lshrrev_b32 v2, 23, v4
	v_cmpx_ne_u32_e32 0xff, v2
; %bb.991:
	v_and_b32_e32 v3, 0x400000, v4
	v_and_or_b32 v4, 0x3fffff, v4, v2
	s_delay_alu instid0(VALU_DEP_2) | instskip(NEXT) | instid1(VALU_DEP_2)
	v_cmp_ne_u32_e32 vcc_lo, 0, v3
	v_cmp_ne_u32_e64 s0, 0, v4
	s_and_b32 s0, vcc_lo, s0
	s_delay_alu instid0(SALU_CYCLE_1) | instskip(NEXT) | instid1(VALU_DEP_1)
	v_cndmask_b32_e64 v3, 0, 1, s0
	v_add_nc_u32_e32 v3, v2, v3
; %bb.992:
	s_or_b32 exec_lo, exec_lo, s5
	s_mov_b32 s0, 0
	global_store_b8 v[0:1], v3, off
.LBB63_993:
	s_mov_b32 s5, 0
.LBB63_994:
	s_delay_alu instid0(SALU_CYCLE_1)
	s_and_b32 vcc_lo, exec_lo, s5
	s_cbranch_vccz .LBB63_997
; %bb.995:
	s_cmp_eq_u32 s4, 29
	s_mov_b32 s0, -1
	s_cbranch_scc0 .LBB63_997
; %bb.996:
	s_mov_b32 s0, 0
	s_wait_xcnt 0x0
	v_cndmask_b32_e64 v2, 0, 1, s6
	v_mov_b32_e32 v3, s0
	s_mov_b32 s5, 0
	global_store_b64 v[0:1], v[2:3], off
	s_branch .LBB63_998
.LBB63_997:
	s_mov_b32 s5, 0
.LBB63_998:
	s_delay_alu instid0(SALU_CYCLE_1)
	s_and_b32 vcc_lo, exec_lo, s5
	s_cbranch_vccz .LBB63_1013
; %bb.999:
	s_cmp_lt_i32 s4, 27
	s_mov_b32 s5, -1
	s_cbranch_scc1 .LBB63_1005
; %bb.1000:
	s_cmp_gt_i32 s4, 27
	s_cbranch_scc0 .LBB63_1002
; %bb.1001:
	s_wait_xcnt 0x0
	v_cndmask_b32_e64 v2, 0, 1, s6
	s_mov_b32 s5, 0
	global_store_b32 v[0:1], v2, off
.LBB63_1002:
	s_and_not1_b32 vcc_lo, exec_lo, s5
	s_cbranch_vccnz .LBB63_1004
; %bb.1003:
	s_wait_xcnt 0x0
	v_cndmask_b32_e64 v2, 0, 1, s6
	global_store_b16 v[0:1], v2, off
.LBB63_1004:
	s_mov_b32 s5, 0
.LBB63_1005:
	s_delay_alu instid0(SALU_CYCLE_1)
	s_and_not1_b32 vcc_lo, exec_lo, s5
	s_cbranch_vccnz .LBB63_1013
; %bb.1006:
	s_wait_xcnt 0x0
	v_cndmask_b32_e64 v3, 0, 1.0, s6
	v_mov_b32_e32 v4, 0x80
	s_mov_b32 s5, exec_lo
	s_delay_alu instid0(VALU_DEP_2)
	v_cmpx_gt_u32_e32 0x43800000, v3
	s_cbranch_execz .LBB63_1012
; %bb.1007:
	s_mov_b32 s10, exec_lo
                                        ; implicit-def: $vgpr2
	v_cmpx_lt_u32_e32 0x3bffffff, v3
	s_xor_b32 s10, exec_lo, s10
	s_cbranch_execz .LBB63_1170
; %bb.1008:
	v_bfe_u32 v2, v3, 20, 1
	s_mov_b32 s9, exec_lo
	s_delay_alu instid0(VALU_DEP_1) | instskip(NEXT) | instid1(VALU_DEP_1)
	v_add3_u32 v2, v3, v2, 0x487ffff
                                        ; implicit-def: $vgpr3
	v_lshrrev_b32_e32 v2, 20, v2
	s_and_not1_saveexec_b32 s10, s10
	s_cbranch_execnz .LBB63_1171
.LBB63_1009:
	s_or_b32 exec_lo, exec_lo, s10
	v_mov_b32_e32 v4, 0
	s_and_saveexec_b32 s10, s9
.LBB63_1010:
	v_mov_b32_e32 v4, v2
.LBB63_1011:
	s_or_b32 exec_lo, exec_lo, s10
.LBB63_1012:
	s_delay_alu instid0(SALU_CYCLE_1)
	s_or_b32 exec_lo, exec_lo, s5
	global_store_b8 v[0:1], v4, off
.LBB63_1013:
	s_mov_b32 s5, 0
.LBB63_1014:
	s_delay_alu instid0(SALU_CYCLE_1)
	s_and_b32 vcc_lo, exec_lo, s5
	s_mov_b32 s5, 0
	s_cbranch_vccz .LBB63_1054
; %bb.1015:
	s_cmp_gt_i32 s4, 22
	s_mov_b32 s9, -1
	s_cbranch_scc0 .LBB63_1047
; %bb.1016:
	s_cmp_lt_i32 s4, 24
	s_cbranch_scc1 .LBB63_1036
; %bb.1017:
	s_cmp_gt_i32 s4, 24
	s_cbranch_scc0 .LBB63_1025
; %bb.1018:
	s_wait_xcnt 0x0
	v_cndmask_b32_e64 v3, 0, 1.0, s6
	v_mov_b32_e32 v4, 0x80
	s_mov_b32 s9, exec_lo
	s_delay_alu instid0(VALU_DEP_2)
	v_cmpx_gt_u32_e32 0x47800000, v3
	s_cbranch_execz .LBB63_1024
; %bb.1019:
	s_mov_b32 s10, 0
	s_mov_b32 s11, exec_lo
                                        ; implicit-def: $vgpr2
	v_cmpx_lt_u32_e32 0x37ffffff, v3
	s_xor_b32 s11, exec_lo, s11
	s_cbranch_execz .LBB63_1296
; %bb.1020:
	v_bfe_u32 v2, v3, 21, 1
	s_mov_b32 s10, exec_lo
	s_delay_alu instid0(VALU_DEP_1) | instskip(NEXT) | instid1(VALU_DEP_1)
	v_add3_u32 v2, v3, v2, 0x88fffff
                                        ; implicit-def: $vgpr3
	v_lshrrev_b32_e32 v2, 21, v2
	s_and_not1_saveexec_b32 s11, s11
	s_cbranch_execnz .LBB63_1297
.LBB63_1021:
	s_or_b32 exec_lo, exec_lo, s11
	v_mov_b32_e32 v4, 0
	s_and_saveexec_b32 s11, s10
.LBB63_1022:
	v_mov_b32_e32 v4, v2
.LBB63_1023:
	s_or_b32 exec_lo, exec_lo, s11
.LBB63_1024:
	s_delay_alu instid0(SALU_CYCLE_1)
	s_or_b32 exec_lo, exec_lo, s9
	s_mov_b32 s9, 0
	global_store_b8 v[0:1], v4, off
.LBB63_1025:
	s_and_b32 vcc_lo, exec_lo, s9
	s_cbranch_vccz .LBB63_1035
; %bb.1026:
	s_wait_xcnt 0x0
	v_cndmask_b32_e64 v3, 0, 1.0, s6
	s_mov_b32 s9, exec_lo
                                        ; implicit-def: $vgpr2
	s_delay_alu instid0(VALU_DEP_1)
	v_cmpx_gt_u32_e32 0x43f00000, v3
	s_xor_b32 s9, exec_lo, s9
	s_cbranch_execz .LBB63_1032
; %bb.1027:
	s_mov_b32 s10, exec_lo
                                        ; implicit-def: $vgpr2
	v_cmpx_lt_u32_e32 0x3c7fffff, v3
	s_xor_b32 s10, exec_lo, s10
; %bb.1028:
	v_bfe_u32 v2, v3, 20, 1
	s_delay_alu instid0(VALU_DEP_1) | instskip(NEXT) | instid1(VALU_DEP_1)
	v_add3_u32 v2, v3, v2, 0x407ffff
	v_and_b32_e32 v3, 0xff00000, v2
	v_lshrrev_b32_e32 v2, 20, v2
	s_delay_alu instid0(VALU_DEP_2) | instskip(NEXT) | instid1(VALU_DEP_2)
	v_cmp_ne_u32_e32 vcc_lo, 0x7f00000, v3
                                        ; implicit-def: $vgpr3
	v_cndmask_b32_e32 v2, 0x7e, v2, vcc_lo
; %bb.1029:
	s_and_not1_saveexec_b32 s10, s10
; %bb.1030:
	v_add_f32_e32 v2, 0x46800000, v3
; %bb.1031:
	s_or_b32 exec_lo, exec_lo, s10
                                        ; implicit-def: $vgpr3
.LBB63_1032:
	s_and_not1_saveexec_b32 s9, s9
; %bb.1033:
	v_mov_b32_e32 v2, 0x7f
	v_cmp_lt_u32_e32 vcc_lo, 0x7f800000, v3
	s_delay_alu instid0(VALU_DEP_2)
	v_cndmask_b32_e32 v2, 0x7e, v2, vcc_lo
; %bb.1034:
	s_or_b32 exec_lo, exec_lo, s9
	global_store_b8 v[0:1], v2, off
.LBB63_1035:
	s_mov_b32 s9, 0
.LBB63_1036:
	s_delay_alu instid0(SALU_CYCLE_1)
	s_and_not1_b32 vcc_lo, exec_lo, s9
	s_cbranch_vccnz .LBB63_1046
; %bb.1037:
	s_wait_xcnt 0x0
	v_cndmask_b32_e64 v3, 0, 1.0, s6
	s_mov_b32 s9, exec_lo
                                        ; implicit-def: $vgpr2
	s_delay_alu instid0(VALU_DEP_1)
	v_cmpx_gt_u32_e32 0x47800000, v3
	s_xor_b32 s9, exec_lo, s9
	s_cbranch_execz .LBB63_1043
; %bb.1038:
	s_mov_b32 s10, exec_lo
                                        ; implicit-def: $vgpr2
	v_cmpx_lt_u32_e32 0x387fffff, v3
	s_xor_b32 s10, exec_lo, s10
; %bb.1039:
	v_bfe_u32 v2, v3, 21, 1
	s_delay_alu instid0(VALU_DEP_1) | instskip(NEXT) | instid1(VALU_DEP_1)
	v_add3_u32 v2, v3, v2, 0x80fffff
                                        ; implicit-def: $vgpr3
	v_lshrrev_b32_e32 v2, 21, v2
; %bb.1040:
	s_and_not1_saveexec_b32 s10, s10
; %bb.1041:
	v_add_f32_e32 v2, 0x43000000, v3
; %bb.1042:
	s_or_b32 exec_lo, exec_lo, s10
                                        ; implicit-def: $vgpr3
.LBB63_1043:
	s_and_not1_saveexec_b32 s9, s9
; %bb.1044:
	v_mov_b32_e32 v2, 0x7f
	v_cmp_lt_u32_e32 vcc_lo, 0x7f800000, v3
	s_delay_alu instid0(VALU_DEP_2)
	v_cndmask_b32_e32 v2, 0x7c, v2, vcc_lo
; %bb.1045:
	s_or_b32 exec_lo, exec_lo, s9
	global_store_b8 v[0:1], v2, off
.LBB63_1046:
	s_mov_b32 s9, 0
.LBB63_1047:
	s_delay_alu instid0(SALU_CYCLE_1)
	s_and_not1_b32 vcc_lo, exec_lo, s9
	s_mov_b32 s10, 0
	s_cbranch_vccnz .LBB63_1055
; %bb.1048:
	s_cmp_gt_i32 s4, 14
	s_mov_b32 s9, -1
	s_cbranch_scc0 .LBB63_1052
; %bb.1049:
	s_cmp_eq_u32 s4, 15
	s_mov_b32 s0, -1
	s_cbranch_scc0 .LBB63_1051
; %bb.1050:
	s_wait_xcnt 0x0
	v_cndmask_b32_e64 v2, 0, 1.0, s6
	s_mov_b32 s0, 0
	s_delay_alu instid0(VALU_DEP_1) | instskip(NEXT) | instid1(VALU_DEP_1)
	v_bfe_u32 v3, v2, 16, 1
	v_add3_u32 v2, v2, v3, 0x7fff
	global_store_d16_hi_b16 v[0:1], v2, off
.LBB63_1051:
	s_mov_b32 s9, 0
.LBB63_1052:
	s_delay_alu instid0(SALU_CYCLE_1)
	s_and_b32 vcc_lo, exec_lo, s9
	s_cbranch_vccz .LBB63_1055
; %bb.1053:
	s_cmp_lg_u32 s4, 11
	s_mov_b32 s10, -1
	s_cselect_b32 s4, -1, 0
	s_and_not1_b32 s0, s0, exec_lo
	s_and_b32 s4, s4, exec_lo
	s_delay_alu instid0(SALU_CYCLE_1)
	s_or_b32 s0, s0, s4
	s_branch .LBB63_1055
.LBB63_1054:
	s_mov_b32 s10, 0
.LBB63_1055:
	s_and_not1_b32 s4, s18, exec_lo
	s_and_b32 s0, s0, exec_lo
	s_and_b32 s9, s5, exec_lo
	;; [unrolled: 1-line block ×3, first 2 shown]
	s_or_b32 s18, s4, s0
	s_wait_xcnt 0x0
	s_or_b32 exec_lo, exec_lo, s8
	s_and_saveexec_b32 s0, s18
	s_cbranch_execz .LBB63_984
.LBB63_1056:
	s_or_b32 s1, s1, exec_lo
	s_and_not1_b32 s10, s10, exec_lo
	s_trap 2
	s_or_b32 exec_lo, exec_lo, s0
	s_and_saveexec_b32 s0, s10
	s_delay_alu instid0(SALU_CYCLE_1)
	s_xor_b32 s0, exec_lo, s0
	s_cbranch_execnz .LBB63_985
.LBB63_1057:
	s_or_b32 exec_lo, exec_lo, s0
	s_and_saveexec_b32 s0, s9
	s_delay_alu instid0(SALU_CYCLE_1)
	s_xor_b32 s0, exec_lo, s0
	s_cbranch_execz .LBB63_1095
.LBB63_1058:
	s_sext_i32_i16 s5, s7
	s_mov_b32 s4, -1
	s_cmp_lt_i32 s5, 5
	s_cbranch_scc1 .LBB63_1079
; %bb.1059:
	s_cmp_lt_i32 s5, 8
	s_cbranch_scc1 .LBB63_1069
; %bb.1060:
	;; [unrolled: 3-line block ×3, first 2 shown]
	s_cmp_gt_i32 s5, 9
	s_cbranch_scc0 .LBB63_1063
; %bb.1062:
	v_cndmask_b32_e64 v2, 0, 1, s6
	v_mov_b32_e32 v4, 0
	s_mov_b32 s4, 0
	s_delay_alu instid0(VALU_DEP_2) | instskip(NEXT) | instid1(VALU_DEP_2)
	v_cvt_f64_u32_e32 v[2:3], v2
	v_mov_b32_e32 v5, v4
	s_wait_loadcnt 0x0
	global_store_b128 v[0:1], v[2:5], off
.LBB63_1063:
	s_and_not1_b32 vcc_lo, exec_lo, s4
	s_cbranch_vccnz .LBB63_1065
; %bb.1064:
	s_wait_xcnt 0x0
	v_cndmask_b32_e64 v2, 0, 1.0, s6
	v_mov_b32_e32 v3, 0
	s_wait_loadcnt 0x0
	global_store_b64 v[0:1], v[2:3], off
.LBB63_1065:
	s_mov_b32 s4, 0
.LBB63_1066:
	s_delay_alu instid0(SALU_CYCLE_1)
	s_and_not1_b32 vcc_lo, exec_lo, s4
	s_cbranch_vccnz .LBB63_1068
; %bb.1067:
	s_wait_xcnt 0x0
	v_cndmask_b32_e64 v2, 0, 1.0, s6
	s_delay_alu instid0(VALU_DEP_1) | instskip(NEXT) | instid1(VALU_DEP_1)
	v_cvt_f16_f32_e32 v2, v2
	v_and_b32_e32 v2, 0xffff, v2
	s_wait_loadcnt 0x0
	global_store_b32 v[0:1], v2, off
.LBB63_1068:
	s_mov_b32 s4, 0
.LBB63_1069:
	s_delay_alu instid0(SALU_CYCLE_1)
	s_and_not1_b32 vcc_lo, exec_lo, s4
	s_cbranch_vccnz .LBB63_1078
; %bb.1070:
	s_sext_i32_i16 s5, s7
	s_mov_b32 s4, -1
	s_cmp_lt_i32 s5, 6
	s_cbranch_scc1 .LBB63_1076
; %bb.1071:
	s_cmp_gt_i32 s5, 6
	s_cbranch_scc0 .LBB63_1073
; %bb.1072:
	s_wait_xcnt 0x0
	v_cndmask_b32_e64 v2, 0, 1, s6
	s_mov_b32 s4, 0
	s_delay_alu instid0(VALU_DEP_1)
	v_cvt_f64_u32_e32 v[2:3], v2
	s_wait_loadcnt 0x0
	global_store_b64 v[0:1], v[2:3], off
.LBB63_1073:
	s_and_not1_b32 vcc_lo, exec_lo, s4
	s_cbranch_vccnz .LBB63_1075
; %bb.1074:
	s_wait_xcnt 0x0
	v_cndmask_b32_e64 v2, 0, 1.0, s6
	s_wait_loadcnt 0x0
	global_store_b32 v[0:1], v2, off
.LBB63_1075:
	s_mov_b32 s4, 0
.LBB63_1076:
	s_delay_alu instid0(SALU_CYCLE_1)
	s_and_not1_b32 vcc_lo, exec_lo, s4
	s_cbranch_vccnz .LBB63_1078
; %bb.1077:
	s_wait_xcnt 0x0
	v_cndmask_b32_e64 v2, 0, 1.0, s6
	s_delay_alu instid0(VALU_DEP_1)
	v_cvt_f16_f32_e32 v2, v2
	s_wait_loadcnt 0x0
	global_store_b16 v[0:1], v2, off
.LBB63_1078:
	s_mov_b32 s4, 0
.LBB63_1079:
	s_delay_alu instid0(SALU_CYCLE_1)
	s_and_not1_b32 vcc_lo, exec_lo, s4
	s_cbranch_vccnz .LBB63_1095
; %bb.1080:
	s_sext_i32_i16 s5, s7
	s_mov_b32 s4, -1
	s_cmp_lt_i32 s5, 2
	s_cbranch_scc1 .LBB63_1090
; %bb.1081:
	s_cmp_lt_i32 s5, 3
	s_cbranch_scc1 .LBB63_1087
; %bb.1082:
	s_cmp_gt_i32 s5, 3
	s_cbranch_scc0 .LBB63_1084
; %bb.1083:
	s_mov_b32 s4, 0
	s_wait_xcnt 0x0
	v_cndmask_b32_e64 v2, 0, 1, s6
	v_mov_b32_e32 v3, s4
	s_wait_loadcnt 0x0
	global_store_b64 v[0:1], v[2:3], off
.LBB63_1084:
	s_and_not1_b32 vcc_lo, exec_lo, s4
	s_cbranch_vccnz .LBB63_1086
; %bb.1085:
	s_wait_xcnt 0x0
	v_cndmask_b32_e64 v2, 0, 1, s6
	s_wait_loadcnt 0x0
	global_store_b32 v[0:1], v2, off
.LBB63_1086:
	s_mov_b32 s4, 0
.LBB63_1087:
	s_delay_alu instid0(SALU_CYCLE_1)
	s_and_not1_b32 vcc_lo, exec_lo, s4
	s_cbranch_vccnz .LBB63_1089
; %bb.1088:
	s_wait_xcnt 0x0
	v_cndmask_b32_e64 v2, 0, 1, s6
	s_wait_loadcnt 0x0
	global_store_b16 v[0:1], v2, off
.LBB63_1089:
	s_mov_b32 s4, 0
.LBB63_1090:
	s_delay_alu instid0(SALU_CYCLE_1)
	s_and_not1_b32 vcc_lo, exec_lo, s4
	s_cbranch_vccnz .LBB63_1095
; %bb.1091:
	s_sext_i32_i16 s4, s7
	s_delay_alu instid0(SALU_CYCLE_1)
	s_cmp_gt_i32 s4, 0
	s_mov_b32 s4, -1
	s_cbranch_scc0 .LBB63_1093
; %bb.1092:
	s_wait_xcnt 0x0
	v_cndmask_b32_e64 v2, 0, 1, s6
	s_mov_b32 s4, 0
	s_wait_loadcnt 0x0
	global_store_b8 v[0:1], v2, off
.LBB63_1093:
	s_and_not1_b32 vcc_lo, exec_lo, s4
	s_cbranch_vccnz .LBB63_1095
; %bb.1094:
	s_wait_xcnt 0x0
	v_cndmask_b32_e64 v2, 0, 1, s6
	s_wait_loadcnt 0x0
	global_store_b8 v[0:1], v2, off
.LBB63_1095:
	s_wait_xcnt 0x0
	s_or_b32 exec_lo, exec_lo, s0
	s_delay_alu instid0(SALU_CYCLE_1)
	s_and_b32 s8, s1, exec_lo
                                        ; implicit-def: $vgpr9
                                        ; implicit-def: $vgpr0
.LBB63_1096:
	s_or_saveexec_b32 s9, s33
	s_mov_b32 s0, 0
                                        ; implicit-def: $sgpr1
                                        ; implicit-def: $vgpr2_vgpr3
                                        ; implicit-def: $sgpr6
	s_xor_b32 exec_lo, exec_lo, s9
	s_cbranch_execz .LBB63_2108
; %bb.1097:
	s_wait_loadcnt 0x0
	v_cndmask_b32_e64 v1, 0, 1, s31
	s_and_not1_b32 vcc_lo, exec_lo, s31
	s_cbranch_vccnz .LBB63_1103
; %bb.1098:
	s_cmp_lg_u32 s28, 0
	s_mov_b32 s10, 0
	s_cbranch_scc0 .LBB63_1104
; %bb.1099:
	s_min_u32 s1, s29, 15
	s_delay_alu instid0(SALU_CYCLE_1)
	s_add_co_i32 s1, s1, 1
	s_cmp_eq_u32 s29, 2
	s_cbranch_scc1 .LBB63_1105
; %bb.1100:
	v_dual_mov_b32 v6, 0 :: v_dual_mov_b32 v14, 0
	v_mov_b32_e32 v2, v0
	s_and_b32 s0, s1, 28
	s_add_nc_u64 s[4:5], s[2:3], 0xc4
	s_mov_b32 s11, 0
	s_mov_b64 s[6:7], s[2:3]
.LBB63_1101:                            ; =>This Inner Loop Header: Depth=1
	s_clause 0x1
	s_load_b256 s[12:19], s[6:7], 0x4
	s_load_b128 s[36:39], s[6:7], 0x24
	s_load_b256 s[20:27], s[4:5], 0x0
	s_add_co_i32 s11, s11, 4
	s_wait_xcnt 0x0
	s_add_nc_u64 s[6:7], s[6:7], 48
	s_cmp_lg_u32 s0, s11
	s_add_nc_u64 s[4:5], s[4:5], 32
	s_wait_kmcnt 0x0
	v_mul_hi_u32 v3, s13, v2
	s_delay_alu instid0(VALU_DEP_1) | instskip(NEXT) | instid1(VALU_DEP_1)
	v_add_nc_u32_e32 v3, v2, v3
	v_lshrrev_b32_e32 v3, s14, v3
	s_delay_alu instid0(VALU_DEP_1) | instskip(NEXT) | instid1(VALU_DEP_1)
	v_mul_hi_u32 v4, s16, v3
	v_add_nc_u32_e32 v4, v3, v4
	s_delay_alu instid0(VALU_DEP_1) | instskip(NEXT) | instid1(VALU_DEP_1)
	v_lshrrev_b32_e32 v4, s17, v4
	v_mul_hi_u32 v5, s19, v4
	s_delay_alu instid0(VALU_DEP_1) | instskip(SKIP_1) | instid1(VALU_DEP_1)
	v_add_nc_u32_e32 v5, v4, v5
	v_mul_lo_u32 v7, v3, s12
	v_sub_nc_u32_e32 v2, v2, v7
	v_mul_lo_u32 v7, v4, s15
	s_delay_alu instid0(VALU_DEP_4) | instskip(NEXT) | instid1(VALU_DEP_3)
	v_lshrrev_b32_e32 v5, s36, v5
	v_mad_u32 v10, v2, s21, v14
	v_mad_u32 v2, v2, s20, v6
	s_delay_alu instid0(VALU_DEP_4) | instskip(NEXT) | instid1(VALU_DEP_4)
	v_sub_nc_u32_e32 v3, v3, v7
	v_mul_hi_u32 v8, s38, v5
	v_mul_lo_u32 v6, v5, s18
	s_delay_alu instid0(VALU_DEP_1) | instskip(NEXT) | instid1(VALU_DEP_4)
	v_dual_add_nc_u32 v7, v5, v8 :: v_dual_sub_nc_u32 v4, v4, v6
	v_mad_u32 v8, v3, s23, v10
	v_mad_u32 v3, v3, s22, v2
	s_delay_alu instid0(VALU_DEP_3) | instskip(NEXT) | instid1(VALU_DEP_1)
	v_lshrrev_b32_e32 v2, s39, v7
	v_mul_lo_u32 v6, v2, s37
	s_delay_alu instid0(VALU_DEP_4) | instskip(NEXT) | instid1(VALU_DEP_4)
	v_mad_u32 v7, v4, s25, v8
	v_mad_u32 v3, v4, s24, v3
	s_delay_alu instid0(VALU_DEP_3) | instskip(NEXT) | instid1(VALU_DEP_1)
	v_sub_nc_u32_e32 v4, v5, v6
	v_mad_u32 v14, v4, s27, v7
	s_delay_alu instid0(VALU_DEP_3)
	v_mad_u32 v6, v4, s26, v3
	s_cbranch_scc1 .LBB63_1101
; %bb.1102:
	s_delay_alu instid0(VALU_DEP_2)
	v_mov_b32_e32 v7, v14
	s_and_b32 s6, s1, 3
	s_mov_b32 s1, 0
	s_cmp_eq_u32 s6, 0
	s_cbranch_scc0 .LBB63_1106
	s_branch .LBB63_1109
.LBB63_1103:
	s_mov_b32 s10, -1
                                        ; implicit-def: $vgpr14
                                        ; implicit-def: $vgpr6
	s_branch .LBB63_1109
.LBB63_1104:
	v_dual_mov_b32 v14, 0 :: v_dual_mov_b32 v6, 0
	s_branch .LBB63_1109
.LBB63_1105:
	v_mov_b64_e32 v[6:7], 0
	v_mov_b32_e32 v2, v0
                                        ; implicit-def: $vgpr14
	s_and_b32 s6, s1, 3
	s_mov_b32 s1, 0
	s_cmp_eq_u32 s6, 0
	s_cbranch_scc1 .LBB63_1109
.LBB63_1106:
	s_lshl_b32 s4, s0, 3
	s_mov_b32 s5, s1
	s_mul_u64 s[12:13], s[0:1], 12
	s_add_nc_u64 s[4:5], s[2:3], s[4:5]
	s_delay_alu instid0(SALU_CYCLE_1)
	s_add_nc_u64 s[0:1], s[4:5], 0xc4
	s_add_nc_u64 s[4:5], s[2:3], s[12:13]
.LBB63_1107:                            ; =>This Inner Loop Header: Depth=1
	s_load_b96 s[12:14], s[4:5], 0x4
	s_add_co_i32 s6, s6, -1
	s_wait_xcnt 0x0
	s_add_nc_u64 s[4:5], s[4:5], 12
	s_cmp_lg_u32 s6, 0
	s_wait_kmcnt 0x0
	v_mul_hi_u32 v3, s13, v2
	s_delay_alu instid0(VALU_DEP_1) | instskip(NEXT) | instid1(VALU_DEP_1)
	v_add_nc_u32_e32 v3, v2, v3
	v_lshrrev_b32_e32 v3, s14, v3
	s_load_b64 s[14:15], s[0:1], 0x0
	s_wait_xcnt 0x0
	s_add_nc_u64 s[0:1], s[0:1], 8
	s_delay_alu instid0(VALU_DEP_1) | instskip(NEXT) | instid1(VALU_DEP_1)
	v_mul_lo_u32 v4, v3, s12
	v_sub_nc_u32_e32 v2, v2, v4
	s_wait_kmcnt 0x0
	s_delay_alu instid0(VALU_DEP_1)
	v_mad_u32 v7, v2, s15, v7
	v_mad_u32 v6, v2, s14, v6
	v_mov_b32_e32 v2, v3
	s_cbranch_scc1 .LBB63_1107
; %bb.1108:
	s_delay_alu instid0(VALU_DEP_3)
	v_mov_b32_e32 v14, v7
.LBB63_1109:
	s_and_not1_b32 vcc_lo, exec_lo, s10
	s_cbranch_vccnz .LBB63_1112
; %bb.1110:
	s_clause 0x1
	s_load_b96 s[4:6], s[2:3], 0x4
	s_load_b64 s[0:1], s[2:3], 0xc4
	s_cmp_lt_u32 s28, 2
	s_wait_kmcnt 0x0
	v_mul_hi_u32 v2, s5, v0
	s_delay_alu instid0(VALU_DEP_1) | instskip(NEXT) | instid1(VALU_DEP_1)
	v_add_nc_u32_e32 v2, v0, v2
	v_lshrrev_b32_e32 v2, s6, v2
	s_delay_alu instid0(VALU_DEP_1) | instskip(NEXT) | instid1(VALU_DEP_1)
	v_mul_lo_u32 v3, v2, s4
	v_sub_nc_u32_e32 v3, v0, v3
	s_delay_alu instid0(VALU_DEP_1)
	v_mul_lo_u32 v14, v3, s1
	v_mul_lo_u32 v6, v3, s0
	s_cbranch_scc1 .LBB63_1112
; %bb.1111:
	s_clause 0x1
	s_load_b96 s[4:6], s[2:3], 0x10
	s_load_b64 s[0:1], s[2:3], 0xcc
	s_wait_kmcnt 0x0
	v_mul_hi_u32 v3, s5, v2
	s_delay_alu instid0(VALU_DEP_1) | instskip(NEXT) | instid1(VALU_DEP_1)
	v_add_nc_u32_e32 v3, v2, v3
	v_lshrrev_b32_e32 v3, s6, v3
	s_delay_alu instid0(VALU_DEP_1) | instskip(NEXT) | instid1(VALU_DEP_1)
	v_mul_lo_u32 v3, v3, s4
	v_sub_nc_u32_e32 v2, v2, v3
	s_delay_alu instid0(VALU_DEP_1)
	v_mad_u32 v6, v2, s0, v6
	v_mad_u32 v14, v2, s1, v14
.LBB63_1112:
	v_cmp_ne_u32_e32 vcc_lo, 1, v1
	v_add_nc_u32_e32 v2, 0x80, v0
	s_cbranch_vccnz .LBB63_1118
; %bb.1113:
	s_cmp_lg_u32 s28, 0
	s_mov_b32 s10, 0
	s_cbranch_scc0 .LBB63_1119
; %bb.1114:
	s_min_u32 s1, s29, 15
	s_delay_alu instid0(SALU_CYCLE_1)
	s_add_co_i32 s1, s1, 1
	s_cmp_eq_u32 s29, 2
	s_cbranch_scc1 .LBB63_1120
; %bb.1115:
	v_dual_mov_b32 v4, 0 :: v_dual_mov_b32 v12, 0
	v_mov_b32_e32 v3, v2
	s_and_b32 s0, s1, 28
	s_add_nc_u64 s[4:5], s[2:3], 0xc4
	s_mov_b32 s11, 0
	s_mov_b64 s[6:7], s[2:3]
.LBB63_1116:                            ; =>This Inner Loop Header: Depth=1
	s_clause 0x1
	s_load_b256 s[12:19], s[6:7], 0x4
	s_load_b128 s[36:39], s[6:7], 0x24
	s_load_b256 s[20:27], s[4:5], 0x0
	s_add_co_i32 s11, s11, 4
	s_wait_xcnt 0x0
	s_add_nc_u64 s[6:7], s[6:7], 48
	s_cmp_lg_u32 s0, s11
	s_add_nc_u64 s[4:5], s[4:5], 32
	s_wait_kmcnt 0x0
	v_mul_hi_u32 v5, s13, v3
	s_delay_alu instid0(VALU_DEP_1) | instskip(NEXT) | instid1(VALU_DEP_1)
	v_add_nc_u32_e32 v5, v3, v5
	v_lshrrev_b32_e32 v5, s14, v5
	s_delay_alu instid0(VALU_DEP_1) | instskip(NEXT) | instid1(VALU_DEP_1)
	v_mul_hi_u32 v7, s16, v5
	v_add_nc_u32_e32 v7, v5, v7
	s_delay_alu instid0(VALU_DEP_1) | instskip(NEXT) | instid1(VALU_DEP_1)
	v_lshrrev_b32_e32 v7, s17, v7
	v_mul_hi_u32 v8, s19, v7
	s_delay_alu instid0(VALU_DEP_1) | instskip(SKIP_1) | instid1(VALU_DEP_1)
	v_add_nc_u32_e32 v8, v7, v8
	v_mul_lo_u32 v10, v5, s12
	v_sub_nc_u32_e32 v3, v3, v10
	v_mul_lo_u32 v10, v7, s15
	s_delay_alu instid0(VALU_DEP_4) | instskip(NEXT) | instid1(VALU_DEP_3)
	v_lshrrev_b32_e32 v8, s36, v8
	v_mad_u32 v12, v3, s21, v12
	v_mad_u32 v3, v3, s20, v4
	s_delay_alu instid0(VALU_DEP_4) | instskip(NEXT) | instid1(VALU_DEP_4)
	v_sub_nc_u32_e32 v4, v5, v10
	v_mul_hi_u32 v11, s38, v8
	v_mul_lo_u32 v5, v8, s18
	s_delay_alu instid0(VALU_DEP_1) | instskip(NEXT) | instid1(VALU_DEP_4)
	v_dual_add_nc_u32 v10, v8, v11 :: v_dual_sub_nc_u32 v5, v7, v5
	v_mad_u32 v11, v4, s23, v12
	v_mad_u32 v4, v4, s22, v3
	s_delay_alu instid0(VALU_DEP_3) | instskip(NEXT) | instid1(VALU_DEP_1)
	v_lshrrev_b32_e32 v3, s39, v10
	v_mul_lo_u32 v7, v3, s37
	s_delay_alu instid0(VALU_DEP_4) | instskip(NEXT) | instid1(VALU_DEP_4)
	v_mad_u32 v10, v5, s25, v11
	v_mad_u32 v4, v5, s24, v4
	s_delay_alu instid0(VALU_DEP_3) | instskip(NEXT) | instid1(VALU_DEP_1)
	v_sub_nc_u32_e32 v5, v8, v7
	v_mad_u32 v12, v5, s27, v10
	s_delay_alu instid0(VALU_DEP_3)
	v_mad_u32 v4, v5, s26, v4
	s_cbranch_scc1 .LBB63_1116
; %bb.1117:
	s_delay_alu instid0(VALU_DEP_2)
	v_mov_b32_e32 v5, v12
	s_and_b32 s6, s1, 3
	s_mov_b32 s1, 0
	s_cmp_eq_u32 s6, 0
	s_cbranch_scc0 .LBB63_1121
	s_branch .LBB63_1124
.LBB63_1118:
	s_mov_b32 s10, -1
                                        ; implicit-def: $vgpr12
                                        ; implicit-def: $vgpr4
	s_branch .LBB63_1124
.LBB63_1119:
	v_dual_mov_b32 v12, 0 :: v_dual_mov_b32 v4, 0
	s_branch .LBB63_1124
.LBB63_1120:
	v_mov_b64_e32 v[4:5], 0
	v_mov_b32_e32 v3, v2
	s_mov_b32 s0, 0
                                        ; implicit-def: $vgpr12
	s_and_b32 s6, s1, 3
	s_mov_b32 s1, 0
	s_cmp_eq_u32 s6, 0
	s_cbranch_scc1 .LBB63_1124
.LBB63_1121:
	s_lshl_b32 s4, s0, 3
	s_mov_b32 s5, s1
	s_mul_u64 s[12:13], s[0:1], 12
	s_add_nc_u64 s[4:5], s[2:3], s[4:5]
	s_delay_alu instid0(SALU_CYCLE_1)
	s_add_nc_u64 s[0:1], s[4:5], 0xc4
	s_add_nc_u64 s[4:5], s[2:3], s[12:13]
.LBB63_1122:                            ; =>This Inner Loop Header: Depth=1
	s_load_b96 s[12:14], s[4:5], 0x4
	s_add_co_i32 s6, s6, -1
	s_wait_xcnt 0x0
	s_add_nc_u64 s[4:5], s[4:5], 12
	s_cmp_lg_u32 s6, 0
	s_wait_kmcnt 0x0
	v_mul_hi_u32 v7, s13, v3
	s_delay_alu instid0(VALU_DEP_1) | instskip(NEXT) | instid1(VALU_DEP_1)
	v_add_nc_u32_e32 v7, v3, v7
	v_lshrrev_b32_e32 v7, s14, v7
	s_load_b64 s[14:15], s[0:1], 0x0
	s_wait_xcnt 0x0
	s_add_nc_u64 s[0:1], s[0:1], 8
	s_delay_alu instid0(VALU_DEP_1) | instskip(NEXT) | instid1(VALU_DEP_1)
	v_mul_lo_u32 v8, v7, s12
	v_sub_nc_u32_e32 v3, v3, v8
	s_wait_kmcnt 0x0
	s_delay_alu instid0(VALU_DEP_1)
	v_mad_u32 v5, v3, s15, v5
	v_mad_u32 v4, v3, s14, v4
	v_mov_b32_e32 v3, v7
	s_cbranch_scc1 .LBB63_1122
; %bb.1123:
	s_delay_alu instid0(VALU_DEP_3)
	v_mov_b32_e32 v12, v5
.LBB63_1124:
	s_and_not1_b32 vcc_lo, exec_lo, s10
	s_cbranch_vccnz .LBB63_1127
; %bb.1125:
	s_clause 0x1
	s_load_b96 s[4:6], s[2:3], 0x4
	s_load_b64 s[0:1], s[2:3], 0xc4
	s_cmp_lt_u32 s28, 2
	s_wait_kmcnt 0x0
	v_mul_hi_u32 v3, s5, v2
	s_delay_alu instid0(VALU_DEP_1) | instskip(NEXT) | instid1(VALU_DEP_1)
	v_add_nc_u32_e32 v3, v2, v3
	v_lshrrev_b32_e32 v3, s6, v3
	s_delay_alu instid0(VALU_DEP_1) | instskip(NEXT) | instid1(VALU_DEP_1)
	v_mul_lo_u32 v4, v3, s4
	v_sub_nc_u32_e32 v2, v2, v4
	s_delay_alu instid0(VALU_DEP_1)
	v_mul_lo_u32 v12, v2, s1
	v_mul_lo_u32 v4, v2, s0
	s_cbranch_scc1 .LBB63_1127
; %bb.1126:
	s_clause 0x1
	s_load_b96 s[4:6], s[2:3], 0x10
	s_load_b64 s[0:1], s[2:3], 0xcc
	s_wait_kmcnt 0x0
	v_mul_hi_u32 v2, s5, v3
	s_delay_alu instid0(VALU_DEP_1) | instskip(NEXT) | instid1(VALU_DEP_1)
	v_add_nc_u32_e32 v2, v3, v2
	v_lshrrev_b32_e32 v2, s6, v2
	s_delay_alu instid0(VALU_DEP_1) | instskip(NEXT) | instid1(VALU_DEP_1)
	v_mul_lo_u32 v2, v2, s4
	v_sub_nc_u32_e32 v2, v3, v2
	s_delay_alu instid0(VALU_DEP_1)
	v_mad_u32 v4, v2, s0, v4
	v_mad_u32 v12, v2, s1, v12
.LBB63_1127:
	v_cmp_ne_u32_e32 vcc_lo, 1, v1
	v_add_nc_u32_e32 v0, 0x100, v0
	s_cbranch_vccnz .LBB63_1133
; %bb.1128:
	s_cmp_lg_u32 s28, 0
	s_mov_b32 s10, 0
	s_cbranch_scc0 .LBB63_1134
; %bb.1129:
	s_min_u32 s1, s29, 15
	s_delay_alu instid0(SALU_CYCLE_1)
	s_add_co_i32 s1, s1, 1
	s_cmp_eq_u32 s29, 2
	s_cbranch_scc1 .LBB63_1135
; %bb.1130:
	v_dual_mov_b32 v2, 0 :: v_dual_mov_b32 v10, 0
	v_mov_b32_e32 v5, v0
	s_and_b32 s0, s1, 28
	s_add_nc_u64 s[4:5], s[2:3], 0xc4
	s_mov_b32 s11, 0
	s_mov_b64 s[6:7], s[2:3]
.LBB63_1131:                            ; =>This Inner Loop Header: Depth=1
	s_clause 0x1
	s_load_b256 s[12:19], s[6:7], 0x4
	s_load_b128 s[36:39], s[6:7], 0x24
	s_load_b256 s[20:27], s[4:5], 0x0
	s_add_co_i32 s11, s11, 4
	s_wait_xcnt 0x0
	s_add_nc_u64 s[6:7], s[6:7], 48
	s_cmp_lg_u32 s0, s11
	s_add_nc_u64 s[4:5], s[4:5], 32
	s_wait_kmcnt 0x0
	v_mul_hi_u32 v3, s13, v5
	s_delay_alu instid0(VALU_DEP_1) | instskip(NEXT) | instid1(VALU_DEP_1)
	v_add_nc_u32_e32 v3, v5, v3
	v_lshrrev_b32_e32 v3, s14, v3
	s_delay_alu instid0(VALU_DEP_1) | instskip(NEXT) | instid1(VALU_DEP_1)
	v_mul_hi_u32 v7, s16, v3
	v_add_nc_u32_e32 v7, v3, v7
	s_delay_alu instid0(VALU_DEP_1) | instskip(NEXT) | instid1(VALU_DEP_1)
	v_lshrrev_b32_e32 v7, s17, v7
	v_mul_hi_u32 v8, s19, v7
	s_delay_alu instid0(VALU_DEP_1) | instskip(NEXT) | instid1(VALU_DEP_1)
	v_add_nc_u32_e32 v8, v7, v8
	v_lshrrev_b32_e32 v8, s36, v8
	v_mul_lo_u32 v11, v3, s12
	s_delay_alu instid0(VALU_DEP_2) | instskip(NEXT) | instid1(VALU_DEP_2)
	v_mul_hi_u32 v13, s38, v8
	v_sub_nc_u32_e32 v5, v5, v11
	s_delay_alu instid0(VALU_DEP_1) | instskip(SKIP_1) | instid1(VALU_DEP_4)
	v_mad_u32 v10, v5, s21, v10
	v_mad_u32 v2, v5, s20, v2
	v_add_nc_u32_e32 v5, v8, v13
	s_delay_alu instid0(VALU_DEP_1) | instskip(SKIP_1) | instid1(VALU_DEP_1)
	v_lshrrev_b32_e32 v5, s39, v5
	v_mul_lo_u32 v11, v7, s15
	v_sub_nc_u32_e32 v3, v3, v11
	v_mul_lo_u32 v11, v8, s18
	s_delay_alu instid0(VALU_DEP_2) | instskip(SKIP_1) | instid1(VALU_DEP_3)
	v_mad_u32 v10, v3, s23, v10
	v_mad_u32 v2, v3, s22, v2
	v_sub_nc_u32_e32 v3, v7, v11
	v_mul_lo_u32 v7, v5, s37
	s_delay_alu instid0(VALU_DEP_2) | instskip(NEXT) | instid1(VALU_DEP_4)
	v_mad_u32 v10, v3, s25, v10
	v_mad_u32 v2, v3, s24, v2
	s_delay_alu instid0(VALU_DEP_3) | instskip(NEXT) | instid1(VALU_DEP_1)
	v_sub_nc_u32_e32 v3, v8, v7
	v_mad_u32 v10, v3, s27, v10
	s_delay_alu instid0(VALU_DEP_3)
	v_mad_u32 v2, v3, s26, v2
	s_cbranch_scc1 .LBB63_1131
; %bb.1132:
	s_delay_alu instid0(VALU_DEP_2)
	v_mov_b32_e32 v3, v10
	s_and_b32 s6, s1, 3
	s_mov_b32 s1, 0
	s_cmp_eq_u32 s6, 0
	s_cbranch_scc0 .LBB63_1136
	s_branch .LBB63_1139
.LBB63_1133:
	s_mov_b32 s10, -1
                                        ; implicit-def: $vgpr10
                                        ; implicit-def: $vgpr2
	s_branch .LBB63_1139
.LBB63_1134:
	v_dual_mov_b32 v10, 0 :: v_dual_mov_b32 v2, 0
	s_branch .LBB63_1139
.LBB63_1135:
	v_mov_b64_e32 v[2:3], 0
	v_mov_b32_e32 v5, v0
	s_mov_b32 s0, 0
                                        ; implicit-def: $vgpr10
	s_and_b32 s6, s1, 3
	s_mov_b32 s1, 0
	s_cmp_eq_u32 s6, 0
	s_cbranch_scc1 .LBB63_1139
.LBB63_1136:
	s_lshl_b32 s4, s0, 3
	s_mov_b32 s5, s1
	s_mul_u64 s[12:13], s[0:1], 12
	s_add_nc_u64 s[4:5], s[2:3], s[4:5]
	s_delay_alu instid0(SALU_CYCLE_1)
	s_add_nc_u64 s[0:1], s[4:5], 0xc4
	s_add_nc_u64 s[4:5], s[2:3], s[12:13]
.LBB63_1137:                            ; =>This Inner Loop Header: Depth=1
	s_load_b96 s[12:14], s[4:5], 0x4
	s_add_co_i32 s6, s6, -1
	s_wait_xcnt 0x0
	s_add_nc_u64 s[4:5], s[4:5], 12
	s_cmp_lg_u32 s6, 0
	s_wait_kmcnt 0x0
	v_mul_hi_u32 v7, s13, v5
	s_delay_alu instid0(VALU_DEP_1) | instskip(NEXT) | instid1(VALU_DEP_1)
	v_add_nc_u32_e32 v7, v5, v7
	v_lshrrev_b32_e32 v7, s14, v7
	s_load_b64 s[14:15], s[0:1], 0x0
	s_wait_xcnt 0x0
	s_add_nc_u64 s[0:1], s[0:1], 8
	s_delay_alu instid0(VALU_DEP_1) | instskip(NEXT) | instid1(VALU_DEP_1)
	v_mul_lo_u32 v8, v7, s12
	v_sub_nc_u32_e32 v5, v5, v8
	s_wait_kmcnt 0x0
	s_delay_alu instid0(VALU_DEP_1)
	v_mad_u32 v3, v5, s15, v3
	v_mad_u32 v2, v5, s14, v2
	v_mov_b32_e32 v5, v7
	s_cbranch_scc1 .LBB63_1137
; %bb.1138:
	s_delay_alu instid0(VALU_DEP_3)
	v_mov_b32_e32 v10, v3
.LBB63_1139:
	s_and_not1_b32 vcc_lo, exec_lo, s10
	s_cbranch_vccnz .LBB63_1142
; %bb.1140:
	s_clause 0x1
	s_load_b96 s[4:6], s[2:3], 0x4
	s_load_b64 s[0:1], s[2:3], 0xc4
	s_cmp_lt_u32 s28, 2
	s_wait_kmcnt 0x0
	v_mul_hi_u32 v2, s5, v0
	s_delay_alu instid0(VALU_DEP_1) | instskip(NEXT) | instid1(VALU_DEP_1)
	v_add_nc_u32_e32 v2, v0, v2
	v_lshrrev_b32_e32 v3, s6, v2
	s_delay_alu instid0(VALU_DEP_1) | instskip(NEXT) | instid1(VALU_DEP_1)
	v_mul_lo_u32 v2, v3, s4
	v_sub_nc_u32_e32 v0, v0, v2
	s_delay_alu instid0(VALU_DEP_1)
	v_mul_lo_u32 v10, v0, s1
	v_mul_lo_u32 v2, v0, s0
	s_cbranch_scc1 .LBB63_1142
; %bb.1141:
	s_clause 0x1
	s_load_b96 s[4:6], s[2:3], 0x10
	s_load_b64 s[0:1], s[2:3], 0xcc
	s_wait_kmcnt 0x0
	v_mul_hi_u32 v0, s5, v3
	s_delay_alu instid0(VALU_DEP_1) | instskip(NEXT) | instid1(VALU_DEP_1)
	v_add_nc_u32_e32 v0, v3, v0
	v_lshrrev_b32_e32 v0, s6, v0
	s_delay_alu instid0(VALU_DEP_1) | instskip(NEXT) | instid1(VALU_DEP_1)
	v_mul_lo_u32 v0, v0, s4
	v_sub_nc_u32_e32 v0, v3, v0
	s_delay_alu instid0(VALU_DEP_1)
	v_mad_u32 v2, v0, s0, v2
	v_mad_u32 v10, v0, s1, v10
.LBB63_1142:
	v_cmp_ne_u32_e32 vcc_lo, 1, v1
	s_cbranch_vccnz .LBB63_1148
; %bb.1143:
	s_cmp_lg_u32 s28, 0
	s_mov_b32 s10, 0
	s_cbranch_scc0 .LBB63_1149
; %bb.1144:
	s_min_u32 s1, s29, 15
	s_delay_alu instid0(SALU_CYCLE_1)
	s_add_co_i32 s1, s1, 1
	s_cmp_eq_u32 s29, 2
	s_cbranch_scc1 .LBB63_1150
; %bb.1145:
	v_dual_mov_b32 v0, 0 :: v_dual_mov_b32 v8, 0
	v_mov_b32_e32 v3, v9
	s_and_b32 s0, s1, 28
	s_add_nc_u64 s[4:5], s[2:3], 0xc4
	s_mov_b32 s11, 0
	s_mov_b64 s[6:7], s[2:3]
.LBB63_1146:                            ; =>This Inner Loop Header: Depth=1
	s_clause 0x1
	s_load_b256 s[12:19], s[6:7], 0x4
	s_load_b128 s[36:39], s[6:7], 0x24
	s_load_b256 s[20:27], s[4:5], 0x0
	s_add_co_i32 s11, s11, 4
	s_wait_xcnt 0x0
	s_add_nc_u64 s[6:7], s[6:7], 48
	s_cmp_lg_u32 s0, s11
	s_add_nc_u64 s[4:5], s[4:5], 32
	s_wait_kmcnt 0x0
	v_mul_hi_u32 v1, s13, v3
	s_delay_alu instid0(VALU_DEP_1) | instskip(NEXT) | instid1(VALU_DEP_1)
	v_add_nc_u32_e32 v1, v3, v1
	v_lshrrev_b32_e32 v1, s14, v1
	s_delay_alu instid0(VALU_DEP_1) | instskip(NEXT) | instid1(VALU_DEP_1)
	v_mul_lo_u32 v11, v1, s12
	v_sub_nc_u32_e32 v3, v3, v11
	v_mul_hi_u32 v5, s16, v1
	s_delay_alu instid0(VALU_DEP_2) | instskip(SKIP_1) | instid1(VALU_DEP_3)
	v_mad_u32 v8, v3, s21, v8
	v_mad_u32 v0, v3, s20, v0
	v_add_nc_u32_e32 v5, v1, v5
	s_delay_alu instid0(VALU_DEP_1) | instskip(NEXT) | instid1(VALU_DEP_1)
	v_lshrrev_b32_e32 v5, s17, v5
	v_mul_lo_u32 v11, v5, s15
	s_delay_alu instid0(VALU_DEP_1) | instskip(SKIP_1) | instid1(VALU_DEP_2)
	v_sub_nc_u32_e32 v1, v1, v11
	v_mul_hi_u32 v7, s19, v5
	v_mad_u32 v8, v1, s23, v8
	v_mad_u32 v0, v1, s22, v0
	s_delay_alu instid0(VALU_DEP_3) | instskip(NEXT) | instid1(VALU_DEP_1)
	v_add_nc_u32_e32 v7, v5, v7
	v_lshrrev_b32_e32 v7, s36, v7
	s_delay_alu instid0(VALU_DEP_1) | instskip(SKIP_1) | instid1(VALU_DEP_1)
	v_mul_hi_u32 v13, s38, v7
	v_mul_lo_u32 v11, v7, s18
	v_dual_add_nc_u32 v3, v7, v13 :: v_dual_sub_nc_u32 v1, v5, v11
	s_delay_alu instid0(VALU_DEP_1) | instskip(NEXT) | instid1(VALU_DEP_2)
	v_lshrrev_b32_e32 v3, s39, v3
	v_mad_u32 v8, v1, s25, v8
	v_mad_u32 v0, v1, s24, v0
	s_delay_alu instid0(VALU_DEP_3) | instskip(NEXT) | instid1(VALU_DEP_1)
	v_mul_lo_u32 v5, v3, s37
	v_sub_nc_u32_e32 v1, v7, v5
	s_delay_alu instid0(VALU_DEP_1) | instskip(NEXT) | instid1(VALU_DEP_4)
	v_mad_u32 v8, v1, s27, v8
	v_mad_u32 v0, v1, s26, v0
	s_cbranch_scc1 .LBB63_1146
; %bb.1147:
	s_delay_alu instid0(VALU_DEP_2)
	v_mov_b32_e32 v1, v8
	s_and_b32 s6, s1, 3
	s_mov_b32 s1, 0
	s_cmp_eq_u32 s6, 0
	s_cbranch_scc0 .LBB63_1151
	s_branch .LBB63_1154
.LBB63_1148:
	s_mov_b32 s10, -1
                                        ; implicit-def: $vgpr8
                                        ; implicit-def: $vgpr0
	s_branch .LBB63_1154
.LBB63_1149:
	v_dual_mov_b32 v8, 0 :: v_dual_mov_b32 v0, 0
	s_branch .LBB63_1154
.LBB63_1150:
	v_mov_b64_e32 v[0:1], 0
	v_mov_b32_e32 v3, v9
	s_mov_b32 s0, 0
                                        ; implicit-def: $vgpr8
	s_and_b32 s6, s1, 3
	s_mov_b32 s1, 0
	s_cmp_eq_u32 s6, 0
	s_cbranch_scc1 .LBB63_1154
.LBB63_1151:
	s_lshl_b32 s4, s0, 3
	s_mov_b32 s5, s1
	s_mul_u64 s[12:13], s[0:1], 12
	s_add_nc_u64 s[4:5], s[2:3], s[4:5]
	s_delay_alu instid0(SALU_CYCLE_1)
	s_add_nc_u64 s[0:1], s[4:5], 0xc4
	s_add_nc_u64 s[4:5], s[2:3], s[12:13]
.LBB63_1152:                            ; =>This Inner Loop Header: Depth=1
	s_load_b96 s[12:14], s[4:5], 0x4
	s_add_co_i32 s6, s6, -1
	s_wait_xcnt 0x0
	s_add_nc_u64 s[4:5], s[4:5], 12
	s_cmp_lg_u32 s6, 0
	s_wait_kmcnt 0x0
	v_mul_hi_u32 v5, s13, v3
	s_delay_alu instid0(VALU_DEP_1) | instskip(NEXT) | instid1(VALU_DEP_1)
	v_add_nc_u32_e32 v5, v3, v5
	v_lshrrev_b32_e32 v5, s14, v5
	s_load_b64 s[14:15], s[0:1], 0x0
	s_wait_xcnt 0x0
	s_add_nc_u64 s[0:1], s[0:1], 8
	s_delay_alu instid0(VALU_DEP_1) | instskip(NEXT) | instid1(VALU_DEP_1)
	v_mul_lo_u32 v7, v5, s12
	v_sub_nc_u32_e32 v3, v3, v7
	s_wait_kmcnt 0x0
	s_delay_alu instid0(VALU_DEP_1)
	v_mad_u32 v1, v3, s15, v1
	v_mad_u32 v0, v3, s14, v0
	v_mov_b32_e32 v3, v5
	s_cbranch_scc1 .LBB63_1152
; %bb.1153:
	s_delay_alu instid0(VALU_DEP_3)
	v_mov_b32_e32 v8, v1
.LBB63_1154:
	s_and_not1_b32 vcc_lo, exec_lo, s10
	s_cbranch_vccnz .LBB63_1157
; %bb.1155:
	s_clause 0x1
	s_load_b96 s[4:6], s[2:3], 0x4
	s_load_b64 s[0:1], s[2:3], 0xc4
	s_cmp_lt_u32 s28, 2
	s_wait_kmcnt 0x0
	v_mul_hi_u32 v0, s5, v9
	s_delay_alu instid0(VALU_DEP_1) | instskip(NEXT) | instid1(VALU_DEP_1)
	v_add_nc_u32_e32 v0, v9, v0
	v_lshrrev_b32_e32 v1, s6, v0
	s_delay_alu instid0(VALU_DEP_1) | instskip(NEXT) | instid1(VALU_DEP_1)
	v_mul_lo_u32 v0, v1, s4
	v_sub_nc_u32_e32 v0, v9, v0
	s_delay_alu instid0(VALU_DEP_1)
	v_mul_lo_u32 v8, v0, s1
	v_mul_lo_u32 v0, v0, s0
	s_cbranch_scc1 .LBB63_1157
; %bb.1156:
	s_clause 0x1
	s_load_b96 s[4:6], s[2:3], 0x10
	s_load_b64 s[0:1], s[2:3], 0xcc
	s_wait_kmcnt 0x0
	v_mul_hi_u32 v3, s5, v1
	s_delay_alu instid0(VALU_DEP_1) | instskip(NEXT) | instid1(VALU_DEP_1)
	v_add_nc_u32_e32 v3, v1, v3
	v_lshrrev_b32_e32 v3, s6, v3
	s_delay_alu instid0(VALU_DEP_1) | instskip(NEXT) | instid1(VALU_DEP_1)
	v_mul_lo_u32 v3, v3, s4
	v_sub_nc_u32_e32 v1, v1, v3
	s_delay_alu instid0(VALU_DEP_1)
	v_mad_u32 v0, v1, s0, v0
	v_mad_u32 v8, v1, s1, v8
.LBB63_1157:
	v_mov_b32_e32 v15, 0
	s_load_b128 s[4:7], s[2:3], 0x148
	global_load_u8 v1, v15, s[2:3] offset:346
	s_wait_kmcnt 0x0
	v_add_nc_u64_e32 v[14:15], s[6:7], v[14:15]
	s_wait_loadcnt 0x0
	v_and_b32_e32 v3, 0xffff, v1
	v_readfirstlane_b32 s0, v1
	s_delay_alu instid0(VALU_DEP_2)
	v_cmp_gt_i32_e32 vcc_lo, 11, v3
	s_cbranch_vccnz .LBB63_1164
; %bb.1158:
	s_and_b32 s1, 0xffff, s0
	s_mov_b32 s11, 0
	s_cmp_gt_i32 s1, 25
	s_cbranch_scc0 .LBB63_1166
; %bb.1159:
	s_cmp_gt_i32 s1, 28
	s_cbranch_scc0 .LBB63_1167
; %bb.1160:
	;; [unrolled: 3-line block ×4, first 2 shown]
	s_cmp_eq_u32 s1, 46
	s_mov_b32 s13, 0
	s_cbranch_scc0 .LBB63_1172
; %bb.1163:
	global_load_b32 v1, v[14:15], off
	s_mov_b32 s10, 0
	s_mov_b32 s12, -1
	s_branch .LBB63_1174
.LBB63_1164:
	s_mov_b32 s12, 0
	s_mov_b32 s10, s8
                                        ; implicit-def: $vgpr1
	s_cbranch_execnz .LBB63_1237
.LBB63_1165:
	s_and_not1_b32 vcc_lo, exec_lo, s12
	s_cbranch_vccz .LBB63_1282
	s_branch .LBB63_2106
.LBB63_1166:
	s_mov_b32 s12, 0
	s_mov_b32 s10, 0
                                        ; implicit-def: $vgpr1
	s_cbranch_execnz .LBB63_1202
	s_branch .LBB63_1233
.LBB63_1167:
	s_mov_b32 s13, -1
	s_mov_b32 s12, 0
	s_mov_b32 s10, 0
                                        ; implicit-def: $vgpr1
	s_branch .LBB63_1183
.LBB63_1168:
	s_mov_b32 s12, 0
	s_mov_b32 s10, 0
                                        ; implicit-def: $vgpr1
	s_cbranch_execnz .LBB63_1179
	s_branch .LBB63_1182
.LBB63_1169:
	s_mov_b32 s13, -1
	s_mov_b32 s12, 0
	s_mov_b32 s10, 0
	s_branch .LBB63_1173
.LBB63_1170:
	s_and_not1_saveexec_b32 s10, s10
	s_cbranch_execz .LBB63_1009
.LBB63_1171:
	v_add_f32_e32 v2, 0x46000000, v3
	s_and_not1_b32 s9, s9, exec_lo
	s_delay_alu instid0(VALU_DEP_1) | instskip(NEXT) | instid1(VALU_DEP_1)
	v_and_b32_e32 v2, 0xff, v2
	v_cmp_ne_u32_e32 vcc_lo, 0, v2
	s_and_b32 s11, vcc_lo, exec_lo
	s_delay_alu instid0(SALU_CYCLE_1)
	s_or_b32 s9, s9, s11
	s_or_b32 exec_lo, exec_lo, s10
	v_mov_b32_e32 v4, 0
	s_and_saveexec_b32 s10, s9
	s_cbranch_execnz .LBB63_1010
	s_branch .LBB63_1011
.LBB63_1172:
	s_mov_b32 s10, -1
	s_mov_b32 s12, 0
.LBB63_1173:
                                        ; implicit-def: $vgpr1
.LBB63_1174:
	s_and_b32 vcc_lo, exec_lo, s13
	s_cbranch_vccz .LBB63_1177
; %bb.1175:
	s_cmp_eq_u32 s1, 44
	s_cbranch_scc0 .LBB63_1178
; %bb.1176:
	s_wait_loadcnt 0x0
	global_load_u8 v1, v[14:15], off
	s_mov_b32 s10, 0
	s_mov_b32 s12, -1
	s_wait_loadcnt 0x0
	v_lshlrev_b32_e32 v3, 23, v1
	v_cmp_ne_u32_e32 vcc_lo, 0xff, v1
	s_delay_alu instid0(VALU_DEP_2) | instskip(SKIP_1) | instid1(VALU_DEP_2)
	v_cndmask_b32_e32 v3, 0x7f800001, v3, vcc_lo
	v_cmp_ne_u32_e32 vcc_lo, 0, v1
	v_cndmask_b32_e32 v1, 0x400000, v3, vcc_lo
	s_delay_alu instid0(VALU_DEP_1) | instskip(SKIP_1) | instid1(VALU_DEP_2)
	v_add_nc_u32_e32 v3, 0x7fff, v1
	v_cmp_o_f32_e32 vcc_lo, v1, v1
	v_lshrrev_b32_e32 v3, 16, v3
	s_delay_alu instid0(VALU_DEP_1)
	v_cndmask_b32_e32 v1, 0x7fc0, v3, vcc_lo
.LBB63_1177:
	s_branch .LBB63_1182
.LBB63_1178:
	s_mov_b32 s10, -1
                                        ; implicit-def: $vgpr1
	s_branch .LBB63_1182
.LBB63_1179:
	s_cmp_eq_u32 s1, 29
	s_cbranch_scc0 .LBB63_1181
; %bb.1180:
	global_load_b64 v[16:17], v[14:15], off
	s_mov_b32 s10, 0
	s_mov_b32 s12, -1
	s_mov_b32 s13, 0
	s_wait_loadcnt 0x0
	v_clz_i32_u32_e32 v1, v17
	s_delay_alu instid0(VALU_DEP_1) | instskip(NEXT) | instid1(VALU_DEP_1)
	v_min_u32_e32 v1, 32, v1
	v_lshlrev_b64_e32 v[16:17], v1, v[16:17]
	v_sub_nc_u32_e32 v1, 32, v1
	s_delay_alu instid0(VALU_DEP_2) | instskip(NEXT) | instid1(VALU_DEP_1)
	v_min_u32_e32 v3, 1, v16
	v_or_b32_e32 v3, v17, v3
	s_delay_alu instid0(VALU_DEP_1) | instskip(NEXT) | instid1(VALU_DEP_1)
	v_cvt_f32_u32_e32 v3, v3
	v_ldexp_f32 v1, v3, v1
	s_delay_alu instid0(VALU_DEP_1) | instskip(NEXT) | instid1(VALU_DEP_1)
	v_bfe_u32 v3, v1, 16, 1
	v_add3_u32 v1, v1, v3, 0x7fff
	s_delay_alu instid0(VALU_DEP_1)
	v_lshrrev_b32_e32 v1, 16, v1
	s_branch .LBB63_1183
.LBB63_1181:
	s_mov_b32 s10, -1
                                        ; implicit-def: $vgpr1
.LBB63_1182:
	s_mov_b32 s13, 0
.LBB63_1183:
	s_delay_alu instid0(SALU_CYCLE_1)
	s_and_b32 vcc_lo, exec_lo, s13
	s_cbranch_vccz .LBB63_1201
; %bb.1184:
	s_cmp_lt_i32 s1, 27
	s_cbranch_scc1 .LBB63_1187
; %bb.1185:
	s_cmp_gt_i32 s1, 27
	s_cbranch_scc0 .LBB63_1188
; %bb.1186:
	s_wait_loadcnt 0x0
	global_load_b32 v1, v[14:15], off
	s_mov_b32 s12, 0
	s_wait_loadcnt 0x0
	v_cvt_f32_u32_e32 v1, v1
	s_delay_alu instid0(VALU_DEP_1) | instskip(NEXT) | instid1(VALU_DEP_1)
	v_bfe_u32 v3, v1, 16, 1
	v_add3_u32 v1, v1, v3, 0x7fff
	s_delay_alu instid0(VALU_DEP_1)
	v_lshrrev_b32_e32 v1, 16, v1
	s_branch .LBB63_1189
.LBB63_1187:
	s_mov_b32 s12, -1
                                        ; implicit-def: $vgpr1
	s_branch .LBB63_1192
.LBB63_1188:
	s_mov_b32 s12, -1
                                        ; implicit-def: $vgpr1
.LBB63_1189:
	s_delay_alu instid0(SALU_CYCLE_1)
	s_and_not1_b32 vcc_lo, exec_lo, s12
	s_cbranch_vccnz .LBB63_1191
; %bb.1190:
	s_wait_loadcnt 0x0
	global_load_u16 v1, v[14:15], off
	s_wait_loadcnt 0x0
	v_cvt_f32_u32_e32 v1, v1
	s_delay_alu instid0(VALU_DEP_1) | instskip(NEXT) | instid1(VALU_DEP_1)
	v_bfe_u32 v3, v1, 16, 1
	v_add3_u32 v1, v1, v3, 0x7fff
	s_delay_alu instid0(VALU_DEP_1)
	v_lshrrev_b32_e32 v1, 16, v1
.LBB63_1191:
	s_mov_b32 s12, 0
.LBB63_1192:
	s_delay_alu instid0(SALU_CYCLE_1)
	s_and_not1_b32 vcc_lo, exec_lo, s12
	s_cbranch_vccnz .LBB63_1200
; %bb.1193:
	s_wait_loadcnt 0x0
	global_load_u8 v1, v[14:15], off
	s_mov_b32 s12, 0
	s_mov_b32 s13, exec_lo
	s_wait_loadcnt 0x0
	v_cmpx_lt_i16_e32 0x7f, v1
	s_xor_b32 s13, exec_lo, s13
	s_cbranch_execz .LBB63_1213
; %bb.1194:
	s_mov_b32 s12, -1
	s_mov_b32 s14, exec_lo
	v_cmpx_eq_u16_e32 0x80, v1
; %bb.1195:
	s_xor_b32 s12, exec_lo, -1
; %bb.1196:
	s_or_b32 exec_lo, exec_lo, s14
	s_delay_alu instid0(SALU_CYCLE_1)
	s_and_b32 s12, s12, exec_lo
	s_or_saveexec_b32 s13, s13
	v_mov_b32_e32 v3, 0x7f800001
	s_xor_b32 exec_lo, exec_lo, s13
	s_cbranch_execnz .LBB63_1214
.LBB63_1197:
	s_or_b32 exec_lo, exec_lo, s13
	s_and_saveexec_b32 s13, s12
	s_cbranch_execz .LBB63_1199
.LBB63_1198:
	v_and_b32_e32 v3, 0xffff, v1
	s_delay_alu instid0(VALU_DEP_1) | instskip(SKIP_1) | instid1(VALU_DEP_2)
	v_dual_lshlrev_b32 v1, 24, v1 :: v_dual_bitop2_b32 v5, 7, v3 bitop3:0x40
	v_bfe_u32 v11, v3, 3, 4
	v_and_b32_e32 v1, 0x80000000, v1
	s_delay_alu instid0(VALU_DEP_3) | instskip(NEXT) | instid1(VALU_DEP_3)
	v_clz_i32_u32_e32 v7, v5
	v_cmp_eq_u32_e32 vcc_lo, 0, v11
	s_delay_alu instid0(VALU_DEP_2) | instskip(NEXT) | instid1(VALU_DEP_1)
	v_min_u32_e32 v7, 32, v7
	v_subrev_nc_u32_e32 v9, 28, v7
	v_sub_nc_u32_e32 v7, 29, v7
	s_delay_alu instid0(VALU_DEP_2) | instskip(NEXT) | instid1(VALU_DEP_2)
	v_lshlrev_b32_e32 v3, v9, v3
	v_cndmask_b32_e32 v7, v11, v7, vcc_lo
	s_delay_alu instid0(VALU_DEP_2) | instskip(NEXT) | instid1(VALU_DEP_1)
	v_and_b32_e32 v3, 7, v3
	v_cndmask_b32_e32 v3, v5, v3, vcc_lo
	s_delay_alu instid0(VALU_DEP_3) | instskip(NEXT) | instid1(VALU_DEP_2)
	v_lshl_add_u32 v5, v7, 23, 0x3b800000
	v_lshlrev_b32_e32 v3, 20, v3
	s_delay_alu instid0(VALU_DEP_1)
	v_or3_b32 v3, v1, v5, v3
.LBB63_1199:
	s_or_b32 exec_lo, exec_lo, s13
	s_delay_alu instid0(VALU_DEP_1) | instskip(SKIP_1) | instid1(VALU_DEP_2)
	v_bfe_u32 v1, v3, 16, 1
	v_cmp_o_f32_e32 vcc_lo, v3, v3
	v_add3_u32 v1, v3, v1, 0x7fff
	s_delay_alu instid0(VALU_DEP_1) | instskip(NEXT) | instid1(VALU_DEP_1)
	v_lshrrev_b32_e32 v1, 16, v1
	v_cndmask_b32_e32 v1, 0x7fc0, v1, vcc_lo
.LBB63_1200:
	s_mov_b32 s12, -1
.LBB63_1201:
	s_branch .LBB63_1233
.LBB63_1202:
	s_cmp_gt_i32 s1, 22
	s_cbranch_scc0 .LBB63_1212
; %bb.1203:
	s_cmp_lt_i32 s1, 24
	s_cbranch_scc1 .LBB63_1215
; %bb.1204:
	s_cmp_gt_i32 s1, 24
	s_cbranch_scc0 .LBB63_1216
; %bb.1205:
	s_wait_loadcnt 0x0
	global_load_u8 v1, v[14:15], off
	s_mov_b32 s12, exec_lo
	s_wait_loadcnt 0x0
	v_cmpx_lt_i16_e32 0x7f, v1
	s_xor_b32 s12, exec_lo, s12
	s_cbranch_execz .LBB63_1227
; %bb.1206:
	s_mov_b32 s11, -1
	s_mov_b32 s13, exec_lo
	v_cmpx_eq_u16_e32 0x80, v1
; %bb.1207:
	s_xor_b32 s11, exec_lo, -1
; %bb.1208:
	s_or_b32 exec_lo, exec_lo, s13
	s_delay_alu instid0(SALU_CYCLE_1)
	s_and_b32 s11, s11, exec_lo
	s_or_saveexec_b32 s12, s12
	v_mov_b32_e32 v3, 0x7f800001
	s_xor_b32 exec_lo, exec_lo, s12
	s_cbranch_execnz .LBB63_1228
.LBB63_1209:
	s_or_b32 exec_lo, exec_lo, s12
	s_and_saveexec_b32 s12, s11
	s_cbranch_execz .LBB63_1211
.LBB63_1210:
	v_and_b32_e32 v3, 0xffff, v1
	s_delay_alu instid0(VALU_DEP_1) | instskip(SKIP_1) | instid1(VALU_DEP_2)
	v_dual_lshlrev_b32 v1, 24, v1 :: v_dual_bitop2_b32 v5, 3, v3 bitop3:0x40
	v_bfe_u32 v11, v3, 2, 5
	v_and_b32_e32 v1, 0x80000000, v1
	s_delay_alu instid0(VALU_DEP_3) | instskip(NEXT) | instid1(VALU_DEP_3)
	v_clz_i32_u32_e32 v7, v5
	v_cmp_eq_u32_e32 vcc_lo, 0, v11
	s_delay_alu instid0(VALU_DEP_2) | instskip(NEXT) | instid1(VALU_DEP_1)
	v_min_u32_e32 v7, 32, v7
	v_subrev_nc_u32_e32 v9, 29, v7
	v_sub_nc_u32_e32 v7, 30, v7
	s_delay_alu instid0(VALU_DEP_2) | instskip(NEXT) | instid1(VALU_DEP_2)
	v_lshlrev_b32_e32 v3, v9, v3
	v_cndmask_b32_e32 v7, v11, v7, vcc_lo
	s_delay_alu instid0(VALU_DEP_2) | instskip(NEXT) | instid1(VALU_DEP_1)
	v_and_b32_e32 v3, 3, v3
	v_cndmask_b32_e32 v3, v5, v3, vcc_lo
	s_delay_alu instid0(VALU_DEP_3) | instskip(NEXT) | instid1(VALU_DEP_2)
	v_lshl_add_u32 v5, v7, 23, 0x37800000
	v_lshlrev_b32_e32 v3, 21, v3
	s_delay_alu instid0(VALU_DEP_1)
	v_or3_b32 v3, v1, v5, v3
.LBB63_1211:
	s_or_b32 exec_lo, exec_lo, s12
	s_delay_alu instid0(VALU_DEP_1) | instskip(SKIP_2) | instid1(VALU_DEP_2)
	v_bfe_u32 v1, v3, 16, 1
	v_cmp_o_f32_e32 vcc_lo, v3, v3
	s_mov_b32 s11, 0
	v_add3_u32 v1, v3, v1, 0x7fff
	s_delay_alu instid0(VALU_DEP_1) | instskip(NEXT) | instid1(VALU_DEP_1)
	v_lshrrev_b32_e32 v1, 16, v1
	v_cndmask_b32_e32 v1, 0x7fc0, v1, vcc_lo
	s_branch .LBB63_1217
.LBB63_1212:
                                        ; implicit-def: $vgpr1
	s_mov_b32 s11, 0
	s_branch .LBB63_1223
.LBB63_1213:
	s_or_saveexec_b32 s13, s13
	v_mov_b32_e32 v3, 0x7f800001
	s_xor_b32 exec_lo, exec_lo, s13
	s_cbranch_execz .LBB63_1197
.LBB63_1214:
	v_cmp_ne_u16_e32 vcc_lo, 0, v1
	v_mov_b32_e32 v3, 0
	s_and_not1_b32 s12, s12, exec_lo
	s_and_b32 s14, vcc_lo, exec_lo
	s_delay_alu instid0(SALU_CYCLE_1)
	s_or_b32 s12, s12, s14
	s_or_b32 exec_lo, exec_lo, s13
	s_and_saveexec_b32 s13, s12
	s_cbranch_execnz .LBB63_1198
	s_branch .LBB63_1199
.LBB63_1215:
	s_mov_b32 s11, -1
                                        ; implicit-def: $vgpr1
	s_branch .LBB63_1220
.LBB63_1216:
	s_mov_b32 s11, -1
                                        ; implicit-def: $vgpr1
.LBB63_1217:
	s_delay_alu instid0(SALU_CYCLE_1)
	s_and_b32 vcc_lo, exec_lo, s11
	s_cbranch_vccz .LBB63_1219
; %bb.1218:
	s_wait_loadcnt 0x0
	global_load_u8 v1, v[14:15], off
	s_wait_loadcnt 0x0
	v_lshlrev_b32_e32 v1, 24, v1
	s_delay_alu instid0(VALU_DEP_1) | instskip(NEXT) | instid1(VALU_DEP_1)
	v_and_b32_e32 v3, 0x7f000000, v1
	v_clz_i32_u32_e32 v5, v3
	v_add_nc_u32_e32 v9, 0x1000000, v3
	v_cmp_ne_u32_e32 vcc_lo, 0, v3
	s_delay_alu instid0(VALU_DEP_3) | instskip(NEXT) | instid1(VALU_DEP_1)
	v_min_u32_e32 v5, 32, v5
	v_sub_nc_u32_e64 v5, v5, 4 clamp
	s_delay_alu instid0(VALU_DEP_1) | instskip(NEXT) | instid1(VALU_DEP_1)
	v_dual_lshlrev_b32 v7, v5, v3 :: v_dual_lshlrev_b32 v5, 23, v5
	v_lshrrev_b32_e32 v7, 4, v7
	s_delay_alu instid0(VALU_DEP_1) | instskip(SKIP_1) | instid1(VALU_DEP_2)
	v_sub_nc_u32_e32 v5, v7, v5
	v_ashrrev_i32_e32 v7, 8, v9
	v_add_nc_u32_e32 v5, 0x3c000000, v5
	s_delay_alu instid0(VALU_DEP_1) | instskip(NEXT) | instid1(VALU_DEP_1)
	v_and_or_b32 v5, 0x7f800000, v7, v5
	v_cndmask_b32_e32 v3, 0, v5, vcc_lo
	s_delay_alu instid0(VALU_DEP_1) | instskip(SKIP_1) | instid1(VALU_DEP_2)
	v_and_or_b32 v1, 0x80000000, v1, v3
	v_bfe_u32 v3, v3, 16, 1
	v_cmp_o_f32_e32 vcc_lo, v1, v1
	s_delay_alu instid0(VALU_DEP_2) | instskip(NEXT) | instid1(VALU_DEP_1)
	v_add3_u32 v3, v1, v3, 0x7fff
	v_lshrrev_b32_e32 v3, 16, v3
	s_delay_alu instid0(VALU_DEP_1)
	v_cndmask_b32_e32 v1, 0x7fc0, v3, vcc_lo
.LBB63_1219:
	s_mov_b32 s11, 0
.LBB63_1220:
	s_delay_alu instid0(SALU_CYCLE_1)
	s_and_not1_b32 vcc_lo, exec_lo, s11
	s_cbranch_vccnz .LBB63_1222
; %bb.1221:
	s_wait_loadcnt 0x0
	global_load_u8 v1, v[14:15], off
	s_wait_loadcnt 0x0
	v_lshlrev_b32_e32 v3, 25, v1
	v_lshlrev_b16 v1, 8, v1
	s_delay_alu instid0(VALU_DEP_1) | instskip(SKIP_1) | instid1(VALU_DEP_2)
	v_and_or_b32 v7, 0x7f00, v1, 0.5
	v_bfe_i32 v1, v1, 0, 16
	v_add_f32_e32 v7, -0.5, v7
	v_lshrrev_b32_e32 v5, 4, v3
	v_cmp_gt_u32_e32 vcc_lo, 0x8000000, v3
	s_delay_alu instid0(VALU_DEP_2) | instskip(NEXT) | instid1(VALU_DEP_1)
	v_or_b32_e32 v5, 0x70000000, v5
	v_mul_f32_e32 v5, 0x7800000, v5
	s_delay_alu instid0(VALU_DEP_1) | instskip(NEXT) | instid1(VALU_DEP_1)
	v_cndmask_b32_e32 v3, v5, v7, vcc_lo
	v_and_or_b32 v1, 0x80000000, v1, v3
	v_bfe_u32 v3, v3, 16, 1
	s_delay_alu instid0(VALU_DEP_2) | instskip(NEXT) | instid1(VALU_DEP_2)
	v_cmp_o_f32_e32 vcc_lo, v1, v1
	v_add3_u32 v3, v1, v3, 0x7fff
	s_delay_alu instid0(VALU_DEP_1) | instskip(NEXT) | instid1(VALU_DEP_1)
	v_lshrrev_b32_e32 v3, 16, v3
	v_cndmask_b32_e32 v1, 0x7fc0, v3, vcc_lo
.LBB63_1222:
	s_mov_b32 s12, -1
	s_mov_b32 s11, 0
	s_cbranch_execnz .LBB63_1233
.LBB63_1223:
	s_cmp_gt_i32 s1, 14
	s_cbranch_scc0 .LBB63_1226
; %bb.1224:
	s_cmp_eq_u32 s1, 15
	s_cbranch_scc0 .LBB63_1229
; %bb.1225:
	s_wait_loadcnt 0x0
	global_load_u16 v1, v[14:15], off
	s_mov_b32 s10, 0
	s_mov_b32 s12, -1
	s_branch .LBB63_1231
.LBB63_1226:
	s_mov_b32 s11, -1
	s_branch .LBB63_1230
.LBB63_1227:
	s_or_saveexec_b32 s12, s12
	v_mov_b32_e32 v3, 0x7f800001
	s_xor_b32 exec_lo, exec_lo, s12
	s_cbranch_execz .LBB63_1209
.LBB63_1228:
	v_cmp_ne_u16_e32 vcc_lo, 0, v1
	v_mov_b32_e32 v3, 0
	s_and_not1_b32 s11, s11, exec_lo
	s_and_b32 s13, vcc_lo, exec_lo
	s_delay_alu instid0(SALU_CYCLE_1)
	s_or_b32 s11, s11, s13
	s_or_b32 exec_lo, exec_lo, s12
	s_and_saveexec_b32 s12, s11
	s_cbranch_execnz .LBB63_1210
	s_branch .LBB63_1211
.LBB63_1229:
	s_mov_b32 s10, -1
.LBB63_1230:
                                        ; implicit-def: $vgpr1
.LBB63_1231:
	s_and_b32 vcc_lo, exec_lo, s11
	s_mov_b32 s11, 0
	s_cbranch_vccz .LBB63_1233
; %bb.1232:
	s_cmp_lg_u32 s1, 11
	s_mov_b32 s11, -1
	s_cselect_b32 s10, -1, 0
.LBB63_1233:
	s_delay_alu instid0(SALU_CYCLE_1)
	s_and_b32 vcc_lo, exec_lo, s10
	s_mov_b32 s10, s8
	s_cbranch_vccnz .LBB63_1294
; %bb.1234:
	s_and_not1_b32 vcc_lo, exec_lo, s11
	s_cbranch_vccnz .LBB63_1236
.LBB63_1235:
	s_wait_loadcnt 0x0
	global_load_u8 v1, v[14:15], off
	s_mov_b32 s12, -1
	s_wait_loadcnt 0x0
	v_cmp_ne_u16_e32 vcc_lo, 0, v1
	v_cndmask_b32_e64 v1, 0, 1.0, vcc_lo
	s_delay_alu instid0(VALU_DEP_1)
	v_lshrrev_b32_e32 v1, 16, v1
.LBB63_1236:
	s_branch .LBB63_1165
.LBB63_1237:
	s_and_b32 s1, 0xffff, s0
	s_delay_alu instid0(SALU_CYCLE_1)
	s_cmp_lt_i32 s1, 5
	s_cbranch_scc1 .LBB63_1242
; %bb.1238:
	s_cmp_lt_i32 s1, 8
	s_cbranch_scc1 .LBB63_1243
; %bb.1239:
	;; [unrolled: 3-line block ×3, first 2 shown]
	s_cmp_gt_i32 s1, 9
	s_cbranch_scc0 .LBB63_1245
; %bb.1241:
	global_load_b64 v[16:17], v[14:15], off
	s_mov_b32 s11, 0
	s_wait_loadcnt 0x0
	v_cvt_f32_f64_e32 v1, v[16:17]
	s_delay_alu instid0(VALU_DEP_1) | instskip(SKIP_1) | instid1(VALU_DEP_2)
	v_bfe_u32 v3, v1, 16, 1
	v_cmp_o_f32_e32 vcc_lo, v1, v1
	v_add3_u32 v3, v1, v3, 0x7fff
	s_delay_alu instid0(VALU_DEP_1) | instskip(NEXT) | instid1(VALU_DEP_1)
	v_lshrrev_b32_e32 v3, 16, v3
	v_cndmask_b32_e32 v1, 0x7fc0, v3, vcc_lo
	s_branch .LBB63_1246
.LBB63_1242:
                                        ; implicit-def: $vgpr1
	s_branch .LBB63_1263
.LBB63_1243:
                                        ; implicit-def: $vgpr1
	s_branch .LBB63_1252
.LBB63_1244:
	s_mov_b32 s11, -1
                                        ; implicit-def: $vgpr1
	s_branch .LBB63_1249
.LBB63_1245:
	s_mov_b32 s11, -1
                                        ; implicit-def: $vgpr1
.LBB63_1246:
	s_delay_alu instid0(SALU_CYCLE_1)
	s_and_not1_b32 vcc_lo, exec_lo, s11
	s_cbranch_vccnz .LBB63_1248
; %bb.1247:
	s_wait_loadcnt 0x0
	global_load_b32 v1, v[14:15], off
	s_wait_loadcnt 0x0
	v_bfe_u32 v3, v1, 16, 1
	v_cmp_o_f32_e32 vcc_lo, v1, v1
	s_delay_alu instid0(VALU_DEP_2) | instskip(NEXT) | instid1(VALU_DEP_1)
	v_add3_u32 v3, v1, v3, 0x7fff
	v_lshrrev_b32_e32 v3, 16, v3
	s_delay_alu instid0(VALU_DEP_1)
	v_cndmask_b32_e32 v1, 0x7fc0, v3, vcc_lo
.LBB63_1248:
	s_mov_b32 s11, 0
.LBB63_1249:
	s_delay_alu instid0(SALU_CYCLE_1)
	s_and_not1_b32 vcc_lo, exec_lo, s11
	s_cbranch_vccnz .LBB63_1251
; %bb.1250:
	s_wait_loadcnt 0x0
	global_load_b32 v1, v[14:15], off
	s_wait_loadcnt 0x0
	v_cvt_f32_f16_e32 v3, v1
	v_cmp_o_f16_e32 vcc_lo, v1, v1
	s_delay_alu instid0(VALU_DEP_2) | instskip(NEXT) | instid1(VALU_DEP_1)
	v_bfe_u32 v5, v3, 16, 1
	v_add3_u32 v3, v3, v5, 0x7fff
	s_delay_alu instid0(VALU_DEP_1) | instskip(NEXT) | instid1(VALU_DEP_1)
	v_lshrrev_b32_e32 v3, 16, v3
	v_cndmask_b32_e32 v1, 0x7fc0, v3, vcc_lo
.LBB63_1251:
	s_cbranch_execnz .LBB63_1262
.LBB63_1252:
	s_cmp_lt_i32 s1, 6
	s_cbranch_scc1 .LBB63_1255
; %bb.1253:
	s_cmp_gt_i32 s1, 6
	s_cbranch_scc0 .LBB63_1256
; %bb.1254:
	global_load_b64 v[16:17], v[14:15], off
	s_mov_b32 s11, 0
	s_wait_loadcnt 0x0
	v_cvt_f32_f64_e32 v1, v[16:17]
	s_delay_alu instid0(VALU_DEP_1) | instskip(SKIP_1) | instid1(VALU_DEP_2)
	v_bfe_u32 v3, v1, 16, 1
	v_cmp_o_f32_e32 vcc_lo, v1, v1
	v_add3_u32 v3, v1, v3, 0x7fff
	s_delay_alu instid0(VALU_DEP_1) | instskip(NEXT) | instid1(VALU_DEP_1)
	v_lshrrev_b32_e32 v3, 16, v3
	v_cndmask_b32_e32 v1, 0x7fc0, v3, vcc_lo
	s_branch .LBB63_1257
.LBB63_1255:
	s_mov_b32 s11, -1
                                        ; implicit-def: $vgpr1
	s_branch .LBB63_1260
.LBB63_1256:
	s_mov_b32 s11, -1
                                        ; implicit-def: $vgpr1
.LBB63_1257:
	s_delay_alu instid0(SALU_CYCLE_1)
	s_and_not1_b32 vcc_lo, exec_lo, s11
	s_cbranch_vccnz .LBB63_1259
; %bb.1258:
	s_wait_loadcnt 0x0
	global_load_b32 v1, v[14:15], off
	s_wait_loadcnt 0x0
	v_bfe_u32 v3, v1, 16, 1
	v_cmp_o_f32_e32 vcc_lo, v1, v1
	s_delay_alu instid0(VALU_DEP_2) | instskip(NEXT) | instid1(VALU_DEP_1)
	v_add3_u32 v3, v1, v3, 0x7fff
	v_lshrrev_b32_e32 v3, 16, v3
	s_delay_alu instid0(VALU_DEP_1)
	v_cndmask_b32_e32 v1, 0x7fc0, v3, vcc_lo
.LBB63_1259:
	s_mov_b32 s11, 0
.LBB63_1260:
	s_delay_alu instid0(SALU_CYCLE_1)
	s_and_not1_b32 vcc_lo, exec_lo, s11
	s_cbranch_vccnz .LBB63_1262
; %bb.1261:
	s_wait_loadcnt 0x0
	global_load_u16 v1, v[14:15], off
	s_wait_loadcnt 0x0
	v_cvt_f32_f16_e32 v3, v1
	v_cmp_o_f16_e32 vcc_lo, v1, v1
	s_delay_alu instid0(VALU_DEP_2) | instskip(NEXT) | instid1(VALU_DEP_1)
	v_bfe_u32 v5, v3, 16, 1
	v_add3_u32 v3, v3, v5, 0x7fff
	s_delay_alu instid0(VALU_DEP_1) | instskip(NEXT) | instid1(VALU_DEP_1)
	v_lshrrev_b32_e32 v3, 16, v3
	v_cndmask_b32_e32 v1, 0x7fc0, v3, vcc_lo
.LBB63_1262:
	s_cbranch_execnz .LBB63_1281
.LBB63_1263:
	s_cmp_lt_i32 s1, 2
	s_cbranch_scc1 .LBB63_1267
; %bb.1264:
	s_cmp_lt_i32 s1, 3
	s_cbranch_scc1 .LBB63_1268
; %bb.1265:
	s_cmp_gt_i32 s1, 3
	s_cbranch_scc0 .LBB63_1269
; %bb.1266:
	global_load_b64 v[16:17], v[14:15], off
	s_mov_b32 s11, 0
	s_wait_loadcnt 0x0
	v_xor_b32_e32 v1, v16, v17
	v_cls_i32_e32 v3, v17
	s_delay_alu instid0(VALU_DEP_2) | instskip(NEXT) | instid1(VALU_DEP_1)
	v_ashrrev_i32_e32 v1, 31, v1
	v_add_nc_u32_e32 v1, 32, v1
	s_delay_alu instid0(VALU_DEP_1) | instskip(NEXT) | instid1(VALU_DEP_1)
	v_add_min_u32_e64 v1, v3, -1, v1
	v_lshlrev_b64_e32 v[16:17], v1, v[16:17]
	v_sub_nc_u32_e32 v1, 32, v1
	s_delay_alu instid0(VALU_DEP_2) | instskip(NEXT) | instid1(VALU_DEP_1)
	v_min_u32_e32 v3, 1, v16
	v_or_b32_e32 v3, v17, v3
	s_delay_alu instid0(VALU_DEP_1) | instskip(NEXT) | instid1(VALU_DEP_1)
	v_cvt_f32_i32_e32 v3, v3
	v_ldexp_f32 v1, v3, v1
	s_delay_alu instid0(VALU_DEP_1) | instskip(NEXT) | instid1(VALU_DEP_1)
	v_bfe_u32 v3, v1, 16, 1
	v_add3_u32 v1, v1, v3, 0x7fff
	s_delay_alu instid0(VALU_DEP_1)
	v_lshrrev_b32_e32 v1, 16, v1
	s_branch .LBB63_1270
.LBB63_1267:
                                        ; implicit-def: $vgpr1
	s_branch .LBB63_1276
.LBB63_1268:
	s_mov_b32 s11, -1
                                        ; implicit-def: $vgpr1
	s_branch .LBB63_1273
.LBB63_1269:
	s_mov_b32 s11, -1
                                        ; implicit-def: $vgpr1
.LBB63_1270:
	s_delay_alu instid0(SALU_CYCLE_1)
	s_and_not1_b32 vcc_lo, exec_lo, s11
	s_cbranch_vccnz .LBB63_1272
; %bb.1271:
	s_wait_loadcnt 0x0
	global_load_b32 v1, v[14:15], off
	s_wait_loadcnt 0x0
	v_cvt_f32_i32_e32 v1, v1
	s_delay_alu instid0(VALU_DEP_1) | instskip(NEXT) | instid1(VALU_DEP_1)
	v_bfe_u32 v3, v1, 16, 1
	v_add3_u32 v1, v1, v3, 0x7fff
	s_delay_alu instid0(VALU_DEP_1)
	v_lshrrev_b32_e32 v1, 16, v1
.LBB63_1272:
	s_mov_b32 s11, 0
.LBB63_1273:
	s_delay_alu instid0(SALU_CYCLE_1)
	s_and_not1_b32 vcc_lo, exec_lo, s11
	s_cbranch_vccnz .LBB63_1275
; %bb.1274:
	s_wait_loadcnt 0x0
	global_load_i16 v1, v[14:15], off
	s_wait_loadcnt 0x0
	v_cvt_f32_i32_e32 v1, v1
	s_delay_alu instid0(VALU_DEP_1) | instskip(NEXT) | instid1(VALU_DEP_1)
	v_bfe_u32 v3, v1, 16, 1
	v_add3_u32 v1, v1, v3, 0x7fff
	s_delay_alu instid0(VALU_DEP_1)
	v_lshrrev_b32_e32 v1, 16, v1
.LBB63_1275:
	s_cbranch_execnz .LBB63_1281
.LBB63_1276:
	s_cmp_gt_i32 s1, 0
	s_mov_b32 s1, 0
	s_cbranch_scc0 .LBB63_1278
; %bb.1277:
	s_wait_loadcnt 0x0
	global_load_i8 v1, v[14:15], off
	s_wait_loadcnt 0x0
	v_cvt_f32_i32_e32 v1, v1
	s_delay_alu instid0(VALU_DEP_1) | instskip(NEXT) | instid1(VALU_DEP_1)
	v_bfe_u32 v3, v1, 16, 1
	v_add3_u32 v1, v1, v3, 0x7fff
	s_delay_alu instid0(VALU_DEP_1)
	v_lshrrev_b32_e32 v1, 16, v1
	s_branch .LBB63_1279
.LBB63_1278:
	s_mov_b32 s1, -1
                                        ; implicit-def: $vgpr1
.LBB63_1279:
	s_delay_alu instid0(SALU_CYCLE_1)
	s_and_not1_b32 vcc_lo, exec_lo, s1
	s_cbranch_vccnz .LBB63_1281
; %bb.1280:
	s_wait_loadcnt 0x0
	global_load_u8 v1, v[14:15], off
	s_wait_loadcnt 0x0
	v_cvt_f32_ubyte0_e32 v1, v1
	s_delay_alu instid0(VALU_DEP_1) | instskip(NEXT) | instid1(VALU_DEP_1)
	v_bfe_u32 v3, v1, 16, 1
	v_add3_u32 v1, v1, v3, 0x7fff
	s_delay_alu instid0(VALU_DEP_1)
	v_lshrrev_b32_e32 v1, 16, v1
.LBB63_1281:
.LBB63_1282:
	v_mov_b32_e32 v13, 0
	s_and_b32 s0, 0xffff, s0
	s_delay_alu instid0(SALU_CYCLE_1) | instskip(NEXT) | instid1(VALU_DEP_1)
	s_cmp_lt_i32 s0, 11
	v_add_nc_u64_e32 v[12:13], s[6:7], v[12:13]
	s_cbranch_scc1 .LBB63_1289
; %bb.1283:
	s_cmp_gt_i32 s0, 25
	s_mov_b32 s11, 0
	s_cbranch_scc0 .LBB63_1291
; %bb.1284:
	s_cmp_gt_i32 s0, 28
	s_cbranch_scc0 .LBB63_1292
; %bb.1285:
	s_cmp_gt_i32 s0, 43
	;; [unrolled: 3-line block ×3, first 2 shown]
	s_cbranch_scc0 .LBB63_1295
; %bb.1287:
	s_cmp_eq_u32 s0, 46
	s_mov_b32 s13, 0
	s_cbranch_scc0 .LBB63_1298
; %bb.1288:
	global_load_b32 v3, v[12:13], off
	s_mov_b32 s1, 0
	s_mov_b32 s12, -1
	s_branch .LBB63_1300
.LBB63_1289:
	s_mov_b32 s12, 0
                                        ; implicit-def: $vgpr3
	s_cbranch_execnz .LBB63_1365
.LBB63_1290:
	s_and_not1_b32 vcc_lo, exec_lo, s12
	s_cbranch_vccnz .LBB63_2106
	s_branch .LBB63_1412
.LBB63_1291:
	s_mov_b32 s12, 0
	s_mov_b32 s1, 0
                                        ; implicit-def: $vgpr3
	s_cbranch_execnz .LBB63_1329
	s_branch .LBB63_1361
.LBB63_1292:
	s_mov_b32 s13, -1
	s_mov_b32 s12, 0
	s_mov_b32 s1, 0
                                        ; implicit-def: $vgpr3
	s_branch .LBB63_1310
.LBB63_1293:
	s_mov_b32 s13, -1
	s_mov_b32 s12, 0
	s_mov_b32 s1, 0
                                        ; implicit-def: $vgpr3
	s_branch .LBB63_1305
.LBB63_1294:
	s_or_b32 s10, s8, exec_lo
	s_trap 2
	s_cbranch_execz .LBB63_1235
	s_branch .LBB63_1236
.LBB63_1295:
	s_mov_b32 s13, -1
	s_mov_b32 s12, 0
	s_mov_b32 s1, 0
	s_branch .LBB63_1299
.LBB63_1296:
	s_and_not1_saveexec_b32 s11, s11
	s_cbranch_execz .LBB63_1021
.LBB63_1297:
	v_add_f32_e32 v2, 0x42800000, v3
	s_and_not1_b32 s10, s10, exec_lo
	s_delay_alu instid0(VALU_DEP_1) | instskip(NEXT) | instid1(VALU_DEP_1)
	v_and_b32_e32 v2, 0xff, v2
	v_cmp_ne_u32_e32 vcc_lo, 0, v2
	s_and_b32 s12, vcc_lo, exec_lo
	s_delay_alu instid0(SALU_CYCLE_1)
	s_or_b32 s10, s10, s12
	s_or_b32 exec_lo, exec_lo, s11
	v_mov_b32_e32 v4, 0
	s_and_saveexec_b32 s11, s10
	s_cbranch_execnz .LBB63_1022
	s_branch .LBB63_1023
.LBB63_1298:
	s_mov_b32 s1, -1
	s_mov_b32 s12, 0
.LBB63_1299:
                                        ; implicit-def: $vgpr3
.LBB63_1300:
	s_and_b32 vcc_lo, exec_lo, s13
	s_cbranch_vccz .LBB63_1304
; %bb.1301:
	s_cmp_eq_u32 s0, 44
	s_cbranch_scc0 .LBB63_1303
; %bb.1302:
	s_wait_loadcnt 0x0
	global_load_u8 v3, v[12:13], off
	s_mov_b32 s1, 0
	s_mov_b32 s12, -1
	s_wait_loadcnt 0x0
	v_lshlrev_b32_e32 v5, 23, v3
	v_cmp_ne_u32_e32 vcc_lo, 0xff, v3
	s_delay_alu instid0(VALU_DEP_2) | instskip(SKIP_1) | instid1(VALU_DEP_2)
	v_cndmask_b32_e32 v5, 0x7f800001, v5, vcc_lo
	v_cmp_ne_u32_e32 vcc_lo, 0, v3
	v_cndmask_b32_e32 v3, 0x400000, v5, vcc_lo
	s_delay_alu instid0(VALU_DEP_1) | instskip(SKIP_1) | instid1(VALU_DEP_2)
	v_add_nc_u32_e32 v5, 0x7fff, v3
	v_cmp_o_f32_e32 vcc_lo, v3, v3
	v_lshrrev_b32_e32 v5, 16, v5
	s_delay_alu instid0(VALU_DEP_1)
	v_cndmask_b32_e32 v3, 0x7fc0, v5, vcc_lo
	s_branch .LBB63_1304
.LBB63_1303:
	s_mov_b32 s1, -1
                                        ; implicit-def: $vgpr3
.LBB63_1304:
	s_mov_b32 s13, 0
.LBB63_1305:
	s_delay_alu instid0(SALU_CYCLE_1)
	s_and_b32 vcc_lo, exec_lo, s13
	s_cbranch_vccz .LBB63_1309
; %bb.1306:
	s_cmp_eq_u32 s0, 29
	s_cbranch_scc0 .LBB63_1308
; %bb.1307:
	global_load_b64 v[14:15], v[12:13], off
	s_mov_b32 s1, 0
	s_mov_b32 s12, -1
	s_mov_b32 s13, 0
	s_wait_loadcnt 0x0
	v_clz_i32_u32_e32 v3, v15
	s_delay_alu instid0(VALU_DEP_1) | instskip(NEXT) | instid1(VALU_DEP_1)
	v_min_u32_e32 v3, 32, v3
	v_lshlrev_b64_e32 v[14:15], v3, v[14:15]
	v_sub_nc_u32_e32 v3, 32, v3
	s_delay_alu instid0(VALU_DEP_2) | instskip(NEXT) | instid1(VALU_DEP_1)
	v_min_u32_e32 v5, 1, v14
	v_or_b32_e32 v5, v15, v5
	s_delay_alu instid0(VALU_DEP_1) | instskip(NEXT) | instid1(VALU_DEP_1)
	v_cvt_f32_u32_e32 v5, v5
	v_ldexp_f32 v3, v5, v3
	s_delay_alu instid0(VALU_DEP_1) | instskip(NEXT) | instid1(VALU_DEP_1)
	v_bfe_u32 v5, v3, 16, 1
	v_add3_u32 v3, v3, v5, 0x7fff
	s_delay_alu instid0(VALU_DEP_1)
	v_lshrrev_b32_e32 v3, 16, v3
	s_branch .LBB63_1310
.LBB63_1308:
	s_mov_b32 s1, -1
                                        ; implicit-def: $vgpr3
.LBB63_1309:
	s_mov_b32 s13, 0
.LBB63_1310:
	s_delay_alu instid0(SALU_CYCLE_1)
	s_and_b32 vcc_lo, exec_lo, s13
	s_cbranch_vccz .LBB63_1328
; %bb.1311:
	s_cmp_lt_i32 s0, 27
	s_cbranch_scc1 .LBB63_1314
; %bb.1312:
	s_cmp_gt_i32 s0, 27
	s_cbranch_scc0 .LBB63_1315
; %bb.1313:
	s_wait_loadcnt 0x0
	global_load_b32 v3, v[12:13], off
	s_mov_b32 s12, 0
	s_wait_loadcnt 0x0
	v_cvt_f32_u32_e32 v3, v3
	s_delay_alu instid0(VALU_DEP_1) | instskip(NEXT) | instid1(VALU_DEP_1)
	v_bfe_u32 v5, v3, 16, 1
	v_add3_u32 v3, v3, v5, 0x7fff
	s_delay_alu instid0(VALU_DEP_1)
	v_lshrrev_b32_e32 v3, 16, v3
	s_branch .LBB63_1316
.LBB63_1314:
	s_mov_b32 s12, -1
                                        ; implicit-def: $vgpr3
	s_branch .LBB63_1319
.LBB63_1315:
	s_mov_b32 s12, -1
                                        ; implicit-def: $vgpr3
.LBB63_1316:
	s_delay_alu instid0(SALU_CYCLE_1)
	s_and_not1_b32 vcc_lo, exec_lo, s12
	s_cbranch_vccnz .LBB63_1318
; %bb.1317:
	s_wait_loadcnt 0x0
	global_load_u16 v3, v[12:13], off
	s_wait_loadcnt 0x0
	v_cvt_f32_u32_e32 v3, v3
	s_delay_alu instid0(VALU_DEP_1) | instskip(NEXT) | instid1(VALU_DEP_1)
	v_bfe_u32 v5, v3, 16, 1
	v_add3_u32 v3, v3, v5, 0x7fff
	s_delay_alu instid0(VALU_DEP_1)
	v_lshrrev_b32_e32 v3, 16, v3
.LBB63_1318:
	s_mov_b32 s12, 0
.LBB63_1319:
	s_delay_alu instid0(SALU_CYCLE_1)
	s_and_not1_b32 vcc_lo, exec_lo, s12
	s_cbranch_vccnz .LBB63_1327
; %bb.1320:
	s_wait_loadcnt 0x0
	global_load_u8 v3, v[12:13], off
	s_mov_b32 s12, 0
	s_mov_b32 s13, exec_lo
	s_wait_loadcnt 0x0
	v_cmpx_lt_i16_e32 0x7f, v3
	s_xor_b32 s13, exec_lo, s13
	s_cbranch_execz .LBB63_1340
; %bb.1321:
	s_mov_b32 s12, -1
	s_mov_b32 s14, exec_lo
	v_cmpx_eq_u16_e32 0x80, v3
; %bb.1322:
	s_xor_b32 s12, exec_lo, -1
; %bb.1323:
	s_or_b32 exec_lo, exec_lo, s14
	s_delay_alu instid0(SALU_CYCLE_1)
	s_and_b32 s12, s12, exec_lo
	s_or_saveexec_b32 s13, s13
	v_mov_b32_e32 v5, 0x7f800001
	s_xor_b32 exec_lo, exec_lo, s13
	s_cbranch_execnz .LBB63_1341
.LBB63_1324:
	s_or_b32 exec_lo, exec_lo, s13
	s_and_saveexec_b32 s13, s12
	s_cbranch_execz .LBB63_1326
.LBB63_1325:
	v_and_b32_e32 v5, 0xffff, v3
	s_delay_alu instid0(VALU_DEP_1) | instskip(SKIP_1) | instid1(VALU_DEP_2)
	v_dual_lshlrev_b32 v3, 24, v3 :: v_dual_bitop2_b32 v7, 7, v5 bitop3:0x40
	v_bfe_u32 v14, v5, 3, 4
	v_and_b32_e32 v3, 0x80000000, v3
	s_delay_alu instid0(VALU_DEP_3) | instskip(NEXT) | instid1(VALU_DEP_3)
	v_clz_i32_u32_e32 v9, v7
	v_cmp_eq_u32_e32 vcc_lo, 0, v14
	s_delay_alu instid0(VALU_DEP_2) | instskip(NEXT) | instid1(VALU_DEP_1)
	v_min_u32_e32 v9, 32, v9
	v_subrev_nc_u32_e32 v11, 28, v9
	v_sub_nc_u32_e32 v9, 29, v9
	s_delay_alu instid0(VALU_DEP_2) | instskip(NEXT) | instid1(VALU_DEP_2)
	v_lshlrev_b32_e32 v5, v11, v5
	v_cndmask_b32_e32 v9, v14, v9, vcc_lo
	s_delay_alu instid0(VALU_DEP_2) | instskip(NEXT) | instid1(VALU_DEP_1)
	v_and_b32_e32 v5, 7, v5
	v_cndmask_b32_e32 v5, v7, v5, vcc_lo
	s_delay_alu instid0(VALU_DEP_3) | instskip(NEXT) | instid1(VALU_DEP_2)
	v_lshl_add_u32 v7, v9, 23, 0x3b800000
	v_lshlrev_b32_e32 v5, 20, v5
	s_delay_alu instid0(VALU_DEP_1)
	v_or3_b32 v5, v3, v7, v5
.LBB63_1326:
	s_or_b32 exec_lo, exec_lo, s13
	s_delay_alu instid0(VALU_DEP_1) | instskip(SKIP_1) | instid1(VALU_DEP_2)
	v_bfe_u32 v3, v5, 16, 1
	v_cmp_o_f32_e32 vcc_lo, v5, v5
	v_add3_u32 v3, v5, v3, 0x7fff
	s_delay_alu instid0(VALU_DEP_1) | instskip(NEXT) | instid1(VALU_DEP_1)
	v_lshrrev_b32_e32 v3, 16, v3
	v_cndmask_b32_e32 v3, 0x7fc0, v3, vcc_lo
.LBB63_1327:
	s_mov_b32 s12, -1
.LBB63_1328:
	s_branch .LBB63_1361
.LBB63_1329:
	s_cmp_gt_i32 s0, 22
	s_cbranch_scc0 .LBB63_1339
; %bb.1330:
	s_cmp_lt_i32 s0, 24
	s_cbranch_scc1 .LBB63_1342
; %bb.1331:
	s_cmp_gt_i32 s0, 24
	s_cbranch_scc0 .LBB63_1343
; %bb.1332:
	s_wait_loadcnt 0x0
	global_load_u8 v3, v[12:13], off
	s_mov_b32 s12, exec_lo
	s_wait_loadcnt 0x0
	v_cmpx_lt_i16_e32 0x7f, v3
	s_xor_b32 s12, exec_lo, s12
	s_cbranch_execz .LBB63_1355
; %bb.1333:
	s_mov_b32 s11, -1
	s_mov_b32 s13, exec_lo
	v_cmpx_eq_u16_e32 0x80, v3
; %bb.1334:
	s_xor_b32 s11, exec_lo, -1
; %bb.1335:
	s_or_b32 exec_lo, exec_lo, s13
	s_delay_alu instid0(SALU_CYCLE_1)
	s_and_b32 s11, s11, exec_lo
	s_or_saveexec_b32 s12, s12
	v_mov_b32_e32 v5, 0x7f800001
	s_xor_b32 exec_lo, exec_lo, s12
	s_cbranch_execnz .LBB63_1356
.LBB63_1336:
	s_or_b32 exec_lo, exec_lo, s12
	s_and_saveexec_b32 s12, s11
	s_cbranch_execz .LBB63_1338
.LBB63_1337:
	v_and_b32_e32 v5, 0xffff, v3
	s_delay_alu instid0(VALU_DEP_1) | instskip(SKIP_1) | instid1(VALU_DEP_2)
	v_dual_lshlrev_b32 v3, 24, v3 :: v_dual_bitop2_b32 v7, 3, v5 bitop3:0x40
	v_bfe_u32 v14, v5, 2, 5
	v_and_b32_e32 v3, 0x80000000, v3
	s_delay_alu instid0(VALU_DEP_3) | instskip(NEXT) | instid1(VALU_DEP_3)
	v_clz_i32_u32_e32 v9, v7
	v_cmp_eq_u32_e32 vcc_lo, 0, v14
	s_delay_alu instid0(VALU_DEP_2) | instskip(NEXT) | instid1(VALU_DEP_1)
	v_min_u32_e32 v9, 32, v9
	v_subrev_nc_u32_e32 v11, 29, v9
	v_sub_nc_u32_e32 v9, 30, v9
	s_delay_alu instid0(VALU_DEP_2) | instskip(NEXT) | instid1(VALU_DEP_2)
	v_lshlrev_b32_e32 v5, v11, v5
	v_cndmask_b32_e32 v9, v14, v9, vcc_lo
	s_delay_alu instid0(VALU_DEP_2) | instskip(NEXT) | instid1(VALU_DEP_1)
	v_and_b32_e32 v5, 3, v5
	v_cndmask_b32_e32 v5, v7, v5, vcc_lo
	s_delay_alu instid0(VALU_DEP_3) | instskip(NEXT) | instid1(VALU_DEP_2)
	v_lshl_add_u32 v7, v9, 23, 0x37800000
	v_lshlrev_b32_e32 v5, 21, v5
	s_delay_alu instid0(VALU_DEP_1)
	v_or3_b32 v5, v3, v7, v5
.LBB63_1338:
	s_or_b32 exec_lo, exec_lo, s12
	s_delay_alu instid0(VALU_DEP_1) | instskip(SKIP_2) | instid1(VALU_DEP_2)
	v_bfe_u32 v3, v5, 16, 1
	v_cmp_o_f32_e32 vcc_lo, v5, v5
	s_mov_b32 s11, 0
	v_add3_u32 v3, v5, v3, 0x7fff
	s_delay_alu instid0(VALU_DEP_1) | instskip(NEXT) | instid1(VALU_DEP_1)
	v_lshrrev_b32_e32 v3, 16, v3
	v_cndmask_b32_e32 v3, 0x7fc0, v3, vcc_lo
	s_branch .LBB63_1344
.LBB63_1339:
	s_mov_b32 s11, -1
                                        ; implicit-def: $vgpr3
	s_branch .LBB63_1350
.LBB63_1340:
	s_or_saveexec_b32 s13, s13
	v_mov_b32_e32 v5, 0x7f800001
	s_xor_b32 exec_lo, exec_lo, s13
	s_cbranch_execz .LBB63_1324
.LBB63_1341:
	v_cmp_ne_u16_e32 vcc_lo, 0, v3
	v_mov_b32_e32 v5, 0
	s_and_not1_b32 s12, s12, exec_lo
	s_and_b32 s14, vcc_lo, exec_lo
	s_delay_alu instid0(SALU_CYCLE_1)
	s_or_b32 s12, s12, s14
	s_or_b32 exec_lo, exec_lo, s13
	s_and_saveexec_b32 s13, s12
	s_cbranch_execnz .LBB63_1325
	s_branch .LBB63_1326
.LBB63_1342:
	s_mov_b32 s11, -1
                                        ; implicit-def: $vgpr3
	s_branch .LBB63_1347
.LBB63_1343:
	s_mov_b32 s11, -1
                                        ; implicit-def: $vgpr3
.LBB63_1344:
	s_delay_alu instid0(SALU_CYCLE_1)
	s_and_b32 vcc_lo, exec_lo, s11
	s_cbranch_vccz .LBB63_1346
; %bb.1345:
	s_wait_loadcnt 0x0
	global_load_u8 v3, v[12:13], off
	s_wait_loadcnt 0x0
	v_lshlrev_b32_e32 v3, 24, v3
	s_delay_alu instid0(VALU_DEP_1) | instskip(NEXT) | instid1(VALU_DEP_1)
	v_and_b32_e32 v5, 0x7f000000, v3
	v_clz_i32_u32_e32 v7, v5
	v_add_nc_u32_e32 v11, 0x1000000, v5
	v_cmp_ne_u32_e32 vcc_lo, 0, v5
	s_delay_alu instid0(VALU_DEP_3) | instskip(NEXT) | instid1(VALU_DEP_1)
	v_min_u32_e32 v7, 32, v7
	v_sub_nc_u32_e64 v7, v7, 4 clamp
	s_delay_alu instid0(VALU_DEP_1) | instskip(NEXT) | instid1(VALU_DEP_1)
	v_dual_lshlrev_b32 v9, v7, v5 :: v_dual_lshlrev_b32 v7, 23, v7
	v_lshrrev_b32_e32 v9, 4, v9
	s_delay_alu instid0(VALU_DEP_1) | instskip(SKIP_1) | instid1(VALU_DEP_2)
	v_sub_nc_u32_e32 v7, v9, v7
	v_ashrrev_i32_e32 v9, 8, v11
	v_add_nc_u32_e32 v7, 0x3c000000, v7
	s_delay_alu instid0(VALU_DEP_1) | instskip(NEXT) | instid1(VALU_DEP_1)
	v_and_or_b32 v7, 0x7f800000, v9, v7
	v_cndmask_b32_e32 v5, 0, v7, vcc_lo
	s_delay_alu instid0(VALU_DEP_1) | instskip(SKIP_1) | instid1(VALU_DEP_2)
	v_and_or_b32 v3, 0x80000000, v3, v5
	v_bfe_u32 v5, v5, 16, 1
	v_cmp_o_f32_e32 vcc_lo, v3, v3
	s_delay_alu instid0(VALU_DEP_2) | instskip(NEXT) | instid1(VALU_DEP_1)
	v_add3_u32 v5, v3, v5, 0x7fff
	v_lshrrev_b32_e32 v5, 16, v5
	s_delay_alu instid0(VALU_DEP_1)
	v_cndmask_b32_e32 v3, 0x7fc0, v5, vcc_lo
.LBB63_1346:
	s_mov_b32 s11, 0
.LBB63_1347:
	s_delay_alu instid0(SALU_CYCLE_1)
	s_and_not1_b32 vcc_lo, exec_lo, s11
	s_cbranch_vccnz .LBB63_1349
; %bb.1348:
	s_wait_loadcnt 0x0
	global_load_u8 v3, v[12:13], off
	s_wait_loadcnt 0x0
	v_lshlrev_b32_e32 v5, 25, v3
	v_lshlrev_b16 v3, 8, v3
	s_delay_alu instid0(VALU_DEP_1) | instskip(SKIP_1) | instid1(VALU_DEP_2)
	v_and_or_b32 v9, 0x7f00, v3, 0.5
	v_bfe_i32 v3, v3, 0, 16
	v_add_f32_e32 v9, -0.5, v9
	v_lshrrev_b32_e32 v7, 4, v5
	v_cmp_gt_u32_e32 vcc_lo, 0x8000000, v5
	s_delay_alu instid0(VALU_DEP_2) | instskip(NEXT) | instid1(VALU_DEP_1)
	v_or_b32_e32 v7, 0x70000000, v7
	v_mul_f32_e32 v7, 0x7800000, v7
	s_delay_alu instid0(VALU_DEP_1) | instskip(NEXT) | instid1(VALU_DEP_1)
	v_cndmask_b32_e32 v5, v7, v9, vcc_lo
	v_and_or_b32 v3, 0x80000000, v3, v5
	v_bfe_u32 v5, v5, 16, 1
	s_delay_alu instid0(VALU_DEP_2) | instskip(NEXT) | instid1(VALU_DEP_2)
	v_cmp_o_f32_e32 vcc_lo, v3, v3
	v_add3_u32 v5, v3, v5, 0x7fff
	s_delay_alu instid0(VALU_DEP_1) | instskip(NEXT) | instid1(VALU_DEP_1)
	v_lshrrev_b32_e32 v5, 16, v5
	v_cndmask_b32_e32 v3, 0x7fc0, v5, vcc_lo
.LBB63_1349:
	s_mov_b32 s11, 0
	s_mov_b32 s12, -1
.LBB63_1350:
	s_and_not1_b32 vcc_lo, exec_lo, s11
	s_mov_b32 s11, 0
	s_cbranch_vccnz .LBB63_1361
; %bb.1351:
	s_cmp_gt_i32 s0, 14
	s_cbranch_scc0 .LBB63_1354
; %bb.1352:
	s_cmp_eq_u32 s0, 15
	s_cbranch_scc0 .LBB63_1357
; %bb.1353:
	s_wait_loadcnt 0x0
	global_load_u16 v3, v[12:13], off
	s_mov_b32 s1, 0
	s_mov_b32 s12, -1
	s_branch .LBB63_1359
.LBB63_1354:
	s_mov_b32 s11, -1
	s_branch .LBB63_1358
.LBB63_1355:
	s_or_saveexec_b32 s12, s12
	v_mov_b32_e32 v5, 0x7f800001
	s_xor_b32 exec_lo, exec_lo, s12
	s_cbranch_execz .LBB63_1336
.LBB63_1356:
	v_cmp_ne_u16_e32 vcc_lo, 0, v3
	v_mov_b32_e32 v5, 0
	s_and_not1_b32 s11, s11, exec_lo
	s_and_b32 s13, vcc_lo, exec_lo
	s_delay_alu instid0(SALU_CYCLE_1)
	s_or_b32 s11, s11, s13
	s_or_b32 exec_lo, exec_lo, s12
	s_and_saveexec_b32 s12, s11
	s_cbranch_execnz .LBB63_1337
	s_branch .LBB63_1338
.LBB63_1357:
	s_mov_b32 s1, -1
.LBB63_1358:
                                        ; implicit-def: $vgpr3
.LBB63_1359:
	s_and_b32 vcc_lo, exec_lo, s11
	s_mov_b32 s11, 0
	s_cbranch_vccz .LBB63_1361
; %bb.1360:
	s_cmp_lg_u32 s0, 11
	s_mov_b32 s11, -1
	s_cselect_b32 s1, -1, 0
.LBB63_1361:
	s_delay_alu instid0(SALU_CYCLE_1)
	s_and_b32 vcc_lo, exec_lo, s1
	s_cbranch_vccnz .LBB63_1424
; %bb.1362:
	s_and_not1_b32 vcc_lo, exec_lo, s11
	s_cbranch_vccnz .LBB63_1364
.LBB63_1363:
	s_wait_loadcnt 0x0
	global_load_u8 v3, v[12:13], off
	s_mov_b32 s12, -1
	s_wait_loadcnt 0x0
	v_cmp_ne_u16_e32 vcc_lo, 0, v3
	v_cndmask_b32_e64 v3, 0, 1.0, vcc_lo
	s_delay_alu instid0(VALU_DEP_1)
	v_lshrrev_b32_e32 v3, 16, v3
.LBB63_1364:
	s_branch .LBB63_1290
.LBB63_1365:
	s_cmp_lt_i32 s0, 5
	s_cbranch_scc1 .LBB63_1370
; %bb.1366:
	s_cmp_lt_i32 s0, 8
	s_cbranch_scc1 .LBB63_1371
; %bb.1367:
	;; [unrolled: 3-line block ×3, first 2 shown]
	s_cmp_gt_i32 s0, 9
	s_cbranch_scc0 .LBB63_1373
; %bb.1369:
	global_load_b64 v[14:15], v[12:13], off
	s_mov_b32 s1, 0
	s_wait_loadcnt 0x0
	v_cvt_f32_f64_e32 v3, v[14:15]
	s_delay_alu instid0(VALU_DEP_1) | instskip(SKIP_1) | instid1(VALU_DEP_2)
	v_bfe_u32 v5, v3, 16, 1
	v_cmp_o_f32_e32 vcc_lo, v3, v3
	v_add3_u32 v5, v3, v5, 0x7fff
	s_delay_alu instid0(VALU_DEP_1) | instskip(NEXT) | instid1(VALU_DEP_1)
	v_lshrrev_b32_e32 v5, 16, v5
	v_cndmask_b32_e32 v3, 0x7fc0, v5, vcc_lo
	s_branch .LBB63_1374
.LBB63_1370:
                                        ; implicit-def: $vgpr3
	s_branch .LBB63_1392
.LBB63_1371:
	s_mov_b32 s1, -1
                                        ; implicit-def: $vgpr3
	s_branch .LBB63_1380
.LBB63_1372:
	s_mov_b32 s1, -1
                                        ; implicit-def: $vgpr3
	s_branch .LBB63_1377
.LBB63_1373:
	s_mov_b32 s1, -1
                                        ; implicit-def: $vgpr3
.LBB63_1374:
	s_delay_alu instid0(SALU_CYCLE_1)
	s_and_not1_b32 vcc_lo, exec_lo, s1
	s_cbranch_vccnz .LBB63_1376
; %bb.1375:
	s_wait_loadcnt 0x0
	global_load_b32 v3, v[12:13], off
	s_wait_loadcnt 0x0
	v_bfe_u32 v5, v3, 16, 1
	v_cmp_o_f32_e32 vcc_lo, v3, v3
	s_delay_alu instid0(VALU_DEP_2) | instskip(NEXT) | instid1(VALU_DEP_1)
	v_add3_u32 v5, v3, v5, 0x7fff
	v_lshrrev_b32_e32 v5, 16, v5
	s_delay_alu instid0(VALU_DEP_1)
	v_cndmask_b32_e32 v3, 0x7fc0, v5, vcc_lo
.LBB63_1376:
	s_mov_b32 s1, 0
.LBB63_1377:
	s_delay_alu instid0(SALU_CYCLE_1)
	s_and_not1_b32 vcc_lo, exec_lo, s1
	s_cbranch_vccnz .LBB63_1379
; %bb.1378:
	s_wait_loadcnt 0x0
	global_load_b32 v3, v[12:13], off
	s_wait_loadcnt 0x0
	v_cvt_f32_f16_e32 v5, v3
	v_cmp_o_f16_e32 vcc_lo, v3, v3
	s_delay_alu instid0(VALU_DEP_2) | instskip(NEXT) | instid1(VALU_DEP_1)
	v_bfe_u32 v7, v5, 16, 1
	v_add3_u32 v5, v5, v7, 0x7fff
	s_delay_alu instid0(VALU_DEP_1) | instskip(NEXT) | instid1(VALU_DEP_1)
	v_lshrrev_b32_e32 v5, 16, v5
	v_cndmask_b32_e32 v3, 0x7fc0, v5, vcc_lo
.LBB63_1379:
	s_mov_b32 s1, 0
.LBB63_1380:
	s_delay_alu instid0(SALU_CYCLE_1)
	s_and_not1_b32 vcc_lo, exec_lo, s1
	s_cbranch_vccnz .LBB63_1391
; %bb.1381:
	s_cmp_lt_i32 s0, 6
	s_cbranch_scc1 .LBB63_1384
; %bb.1382:
	s_cmp_gt_i32 s0, 6
	s_cbranch_scc0 .LBB63_1385
; %bb.1383:
	global_load_b64 v[14:15], v[12:13], off
	s_mov_b32 s1, 0
	s_wait_loadcnt 0x0
	v_cvt_f32_f64_e32 v3, v[14:15]
	s_delay_alu instid0(VALU_DEP_1) | instskip(SKIP_1) | instid1(VALU_DEP_2)
	v_bfe_u32 v5, v3, 16, 1
	v_cmp_o_f32_e32 vcc_lo, v3, v3
	v_add3_u32 v5, v3, v5, 0x7fff
	s_delay_alu instid0(VALU_DEP_1) | instskip(NEXT) | instid1(VALU_DEP_1)
	v_lshrrev_b32_e32 v5, 16, v5
	v_cndmask_b32_e32 v3, 0x7fc0, v5, vcc_lo
	s_branch .LBB63_1386
.LBB63_1384:
	s_mov_b32 s1, -1
                                        ; implicit-def: $vgpr3
	s_branch .LBB63_1389
.LBB63_1385:
	s_mov_b32 s1, -1
                                        ; implicit-def: $vgpr3
.LBB63_1386:
	s_delay_alu instid0(SALU_CYCLE_1)
	s_and_not1_b32 vcc_lo, exec_lo, s1
	s_cbranch_vccnz .LBB63_1388
; %bb.1387:
	s_wait_loadcnt 0x0
	global_load_b32 v3, v[12:13], off
	s_wait_loadcnt 0x0
	v_bfe_u32 v5, v3, 16, 1
	v_cmp_o_f32_e32 vcc_lo, v3, v3
	s_delay_alu instid0(VALU_DEP_2) | instskip(NEXT) | instid1(VALU_DEP_1)
	v_add3_u32 v5, v3, v5, 0x7fff
	v_lshrrev_b32_e32 v5, 16, v5
	s_delay_alu instid0(VALU_DEP_1)
	v_cndmask_b32_e32 v3, 0x7fc0, v5, vcc_lo
.LBB63_1388:
	s_mov_b32 s1, 0
.LBB63_1389:
	s_delay_alu instid0(SALU_CYCLE_1)
	s_and_not1_b32 vcc_lo, exec_lo, s1
	s_cbranch_vccnz .LBB63_1391
; %bb.1390:
	s_wait_loadcnt 0x0
	global_load_u16 v3, v[12:13], off
	s_wait_loadcnt 0x0
	v_cvt_f32_f16_e32 v5, v3
	v_cmp_o_f16_e32 vcc_lo, v3, v3
	s_delay_alu instid0(VALU_DEP_2) | instskip(NEXT) | instid1(VALU_DEP_1)
	v_bfe_u32 v7, v5, 16, 1
	v_add3_u32 v5, v5, v7, 0x7fff
	s_delay_alu instid0(VALU_DEP_1) | instskip(NEXT) | instid1(VALU_DEP_1)
	v_lshrrev_b32_e32 v5, 16, v5
	v_cndmask_b32_e32 v3, 0x7fc0, v5, vcc_lo
.LBB63_1391:
	s_cbranch_execnz .LBB63_1411
.LBB63_1392:
	s_cmp_lt_i32 s0, 2
	s_cbranch_scc1 .LBB63_1396
; %bb.1393:
	s_cmp_lt_i32 s0, 3
	s_cbranch_scc1 .LBB63_1397
; %bb.1394:
	s_cmp_gt_i32 s0, 3
	s_cbranch_scc0 .LBB63_1398
; %bb.1395:
	global_load_b64 v[14:15], v[12:13], off
	s_mov_b32 s1, 0
	s_wait_loadcnt 0x0
	v_xor_b32_e32 v3, v14, v15
	v_cls_i32_e32 v5, v15
	s_delay_alu instid0(VALU_DEP_2) | instskip(NEXT) | instid1(VALU_DEP_1)
	v_ashrrev_i32_e32 v3, 31, v3
	v_add_nc_u32_e32 v3, 32, v3
	s_delay_alu instid0(VALU_DEP_1) | instskip(NEXT) | instid1(VALU_DEP_1)
	v_add_min_u32_e64 v3, v5, -1, v3
	v_lshlrev_b64_e32 v[14:15], v3, v[14:15]
	v_sub_nc_u32_e32 v3, 32, v3
	s_delay_alu instid0(VALU_DEP_2) | instskip(NEXT) | instid1(VALU_DEP_1)
	v_min_u32_e32 v5, 1, v14
	v_or_b32_e32 v5, v15, v5
	s_delay_alu instid0(VALU_DEP_1) | instskip(NEXT) | instid1(VALU_DEP_1)
	v_cvt_f32_i32_e32 v5, v5
	v_ldexp_f32 v3, v5, v3
	s_delay_alu instid0(VALU_DEP_1) | instskip(NEXT) | instid1(VALU_DEP_1)
	v_bfe_u32 v5, v3, 16, 1
	v_add3_u32 v3, v3, v5, 0x7fff
	s_delay_alu instid0(VALU_DEP_1)
	v_lshrrev_b32_e32 v3, 16, v3
	s_branch .LBB63_1399
.LBB63_1396:
	s_mov_b32 s1, -1
                                        ; implicit-def: $vgpr3
	s_branch .LBB63_1405
.LBB63_1397:
	s_mov_b32 s1, -1
                                        ; implicit-def: $vgpr3
	s_branch .LBB63_1402
.LBB63_1398:
	s_mov_b32 s1, -1
                                        ; implicit-def: $vgpr3
.LBB63_1399:
	s_delay_alu instid0(SALU_CYCLE_1)
	s_and_not1_b32 vcc_lo, exec_lo, s1
	s_cbranch_vccnz .LBB63_1401
; %bb.1400:
	s_wait_loadcnt 0x0
	global_load_b32 v3, v[12:13], off
	s_wait_loadcnt 0x0
	v_cvt_f32_i32_e32 v3, v3
	s_delay_alu instid0(VALU_DEP_1) | instskip(NEXT) | instid1(VALU_DEP_1)
	v_bfe_u32 v5, v3, 16, 1
	v_add3_u32 v3, v3, v5, 0x7fff
	s_delay_alu instid0(VALU_DEP_1)
	v_lshrrev_b32_e32 v3, 16, v3
.LBB63_1401:
	s_mov_b32 s1, 0
.LBB63_1402:
	s_delay_alu instid0(SALU_CYCLE_1)
	s_and_not1_b32 vcc_lo, exec_lo, s1
	s_cbranch_vccnz .LBB63_1404
; %bb.1403:
	s_wait_loadcnt 0x0
	global_load_i16 v3, v[12:13], off
	s_wait_loadcnt 0x0
	v_cvt_f32_i32_e32 v3, v3
	s_delay_alu instid0(VALU_DEP_1) | instskip(NEXT) | instid1(VALU_DEP_1)
	v_bfe_u32 v5, v3, 16, 1
	v_add3_u32 v3, v3, v5, 0x7fff
	s_delay_alu instid0(VALU_DEP_1)
	v_lshrrev_b32_e32 v3, 16, v3
.LBB63_1404:
	s_mov_b32 s1, 0
.LBB63_1405:
	s_delay_alu instid0(SALU_CYCLE_1)
	s_and_not1_b32 vcc_lo, exec_lo, s1
	s_cbranch_vccnz .LBB63_1411
; %bb.1406:
	s_cmp_gt_i32 s0, 0
	s_mov_b32 s1, 0
	s_cbranch_scc0 .LBB63_1408
; %bb.1407:
	s_wait_loadcnt 0x0
	global_load_i8 v3, v[12:13], off
	s_wait_loadcnt 0x0
	v_cvt_f32_i32_e32 v3, v3
	s_delay_alu instid0(VALU_DEP_1) | instskip(NEXT) | instid1(VALU_DEP_1)
	v_bfe_u32 v5, v3, 16, 1
	v_add3_u32 v3, v3, v5, 0x7fff
	s_delay_alu instid0(VALU_DEP_1)
	v_lshrrev_b32_e32 v3, 16, v3
	s_branch .LBB63_1409
.LBB63_1408:
	s_mov_b32 s1, -1
                                        ; implicit-def: $vgpr3
.LBB63_1409:
	s_delay_alu instid0(SALU_CYCLE_1)
	s_and_not1_b32 vcc_lo, exec_lo, s1
	s_cbranch_vccnz .LBB63_1411
; %bb.1410:
	s_wait_loadcnt 0x0
	global_load_u8 v3, v[12:13], off
	s_wait_loadcnt 0x0
	v_cvt_f32_ubyte0_e32 v3, v3
	s_delay_alu instid0(VALU_DEP_1) | instskip(NEXT) | instid1(VALU_DEP_1)
	v_bfe_u32 v5, v3, 16, 1
	v_add3_u32 v3, v3, v5, 0x7fff
	s_delay_alu instid0(VALU_DEP_1)
	v_lshrrev_b32_e32 v3, 16, v3
.LBB63_1411:
.LBB63_1412:
	v_mov_b32_e32 v11, 0
	s_cmp_lt_i32 s0, 11
	s_delay_alu instid0(VALU_DEP_1)
	v_add_nc_u64_e32 v[10:11], s[6:7], v[10:11]
	s_cbranch_scc1 .LBB63_1419
; %bb.1413:
	s_cmp_gt_i32 s0, 25
	s_mov_b32 s11, 0
	s_cbranch_scc0 .LBB63_1421
; %bb.1414:
	s_cmp_gt_i32 s0, 28
	s_cbranch_scc0 .LBB63_1422
; %bb.1415:
	s_cmp_gt_i32 s0, 43
	;; [unrolled: 3-line block ×3, first 2 shown]
	s_cbranch_scc0 .LBB63_1425
; %bb.1417:
	s_cmp_eq_u32 s0, 46
	s_mov_b32 s13, 0
	s_cbranch_scc0 .LBB63_1426
; %bb.1418:
	global_load_b32 v12, v[10:11], off
	s_mov_b32 s1, 0
	s_mov_b32 s12, -1
	s_branch .LBB63_1428
.LBB63_1419:
	s_mov_b32 s12, 0
                                        ; implicit-def: $vgpr12
	s_cbranch_execnz .LBB63_1494
.LBB63_1420:
	s_and_not1_b32 vcc_lo, exec_lo, s12
	s_cbranch_vccnz .LBB63_2106
	s_branch .LBB63_1542
.LBB63_1421:
	s_mov_b32 s13, -1
	s_mov_b32 s12, 0
	s_mov_b32 s1, 0
                                        ; implicit-def: $vgpr12
	s_branch .LBB63_1457
.LBB63_1422:
	s_mov_b32 s13, -1
	s_mov_b32 s12, 0
	s_mov_b32 s1, 0
                                        ; implicit-def: $vgpr12
	s_branch .LBB63_1438
.LBB63_1423:
	s_mov_b32 s13, -1
	s_mov_b32 s12, 0
	s_mov_b32 s1, 0
                                        ; implicit-def: $vgpr12
	s_branch .LBB63_1433
.LBB63_1424:
	s_or_b32 s10, s10, exec_lo
	s_trap 2
	s_cbranch_execz .LBB63_1363
	s_branch .LBB63_1364
.LBB63_1425:
	s_mov_b32 s13, -1
	s_mov_b32 s12, 0
	s_mov_b32 s1, 0
	s_branch .LBB63_1427
.LBB63_1426:
	s_mov_b32 s1, -1
	s_mov_b32 s12, 0
.LBB63_1427:
                                        ; implicit-def: $vgpr12
.LBB63_1428:
	s_and_b32 vcc_lo, exec_lo, s13
	s_cbranch_vccz .LBB63_1432
; %bb.1429:
	s_cmp_eq_u32 s0, 44
	s_cbranch_scc0 .LBB63_1431
; %bb.1430:
	global_load_u8 v5, v[10:11], off
	s_mov_b32 s1, 0
	s_mov_b32 s12, -1
	s_wait_loadcnt 0x0
	v_lshlrev_b32_e32 v7, 23, v5
	v_cmp_ne_u32_e32 vcc_lo, 0xff, v5
	s_delay_alu instid0(VALU_DEP_2) | instskip(SKIP_1) | instid1(VALU_DEP_2)
	v_cndmask_b32_e32 v7, 0x7f800001, v7, vcc_lo
	v_cmp_ne_u32_e32 vcc_lo, 0, v5
	v_cndmask_b32_e32 v5, 0x400000, v7, vcc_lo
	s_delay_alu instid0(VALU_DEP_1) | instskip(SKIP_1) | instid1(VALU_DEP_2)
	v_add_nc_u32_e32 v7, 0x7fff, v5
	v_cmp_o_f32_e32 vcc_lo, v5, v5
	v_lshrrev_b32_e32 v7, 16, v7
	s_wait_xcnt 0x1
	s_delay_alu instid0(VALU_DEP_1)
	v_cndmask_b32_e32 v12, 0x7fc0, v7, vcc_lo
	s_branch .LBB63_1432
.LBB63_1431:
	s_mov_b32 s1, -1
                                        ; implicit-def: $vgpr12
.LBB63_1432:
	s_mov_b32 s13, 0
.LBB63_1433:
	s_delay_alu instid0(SALU_CYCLE_1)
	s_and_b32 vcc_lo, exec_lo, s13
	s_cbranch_vccz .LBB63_1437
; %bb.1434:
	s_cmp_eq_u32 s0, 29
	s_cbranch_scc0 .LBB63_1436
; %bb.1435:
	s_wait_loadcnt 0x0
	global_load_b64 v[12:13], v[10:11], off
	s_mov_b32 s1, 0
	s_mov_b32 s12, -1
	s_mov_b32 s13, 0
	s_wait_loadcnt 0x0
	v_clz_i32_u32_e32 v5, v13
	s_delay_alu instid0(VALU_DEP_1) | instskip(NEXT) | instid1(VALU_DEP_1)
	v_min_u32_e32 v5, 32, v5
	v_lshlrev_b64_e32 v[12:13], v5, v[12:13]
	v_sub_nc_u32_e32 v5, 32, v5
	s_delay_alu instid0(VALU_DEP_2) | instskip(NEXT) | instid1(VALU_DEP_1)
	v_min_u32_e32 v7, 1, v12
	v_or_b32_e32 v7, v13, v7
	s_delay_alu instid0(VALU_DEP_1) | instskip(NEXT) | instid1(VALU_DEP_1)
	v_cvt_f32_u32_e32 v7, v7
	v_ldexp_f32 v5, v7, v5
	s_delay_alu instid0(VALU_DEP_1) | instskip(NEXT) | instid1(VALU_DEP_1)
	v_bfe_u32 v7, v5, 16, 1
	v_add3_u32 v5, v5, v7, 0x7fff
	s_delay_alu instid0(VALU_DEP_1)
	v_lshrrev_b32_e32 v12, 16, v5
	s_branch .LBB63_1438
.LBB63_1436:
	s_mov_b32 s1, -1
                                        ; implicit-def: $vgpr12
.LBB63_1437:
	s_mov_b32 s13, 0
.LBB63_1438:
	s_delay_alu instid0(SALU_CYCLE_1)
	s_and_b32 vcc_lo, exec_lo, s13
	s_cbranch_vccz .LBB63_1456
; %bb.1439:
	s_cmp_lt_i32 s0, 27
	s_cbranch_scc1 .LBB63_1442
; %bb.1440:
	s_cmp_gt_i32 s0, 27
	s_cbranch_scc0 .LBB63_1443
; %bb.1441:
	global_load_b32 v5, v[10:11], off
	s_mov_b32 s12, 0
	s_wait_loadcnt 0x0
	v_cvt_f32_u32_e32 v5, v5
	s_delay_alu instid0(VALU_DEP_1) | instskip(NEXT) | instid1(VALU_DEP_1)
	v_bfe_u32 v7, v5, 16, 1
	v_add3_u32 v5, v5, v7, 0x7fff
	s_wait_xcnt 0x1
	s_delay_alu instid0(VALU_DEP_1)
	v_lshrrev_b32_e32 v12, 16, v5
	s_branch .LBB63_1444
.LBB63_1442:
	s_mov_b32 s12, -1
                                        ; implicit-def: $vgpr12
	s_branch .LBB63_1447
.LBB63_1443:
	s_mov_b32 s12, -1
                                        ; implicit-def: $vgpr12
.LBB63_1444:
	s_delay_alu instid0(SALU_CYCLE_1)
	s_and_not1_b32 vcc_lo, exec_lo, s12
	s_cbranch_vccnz .LBB63_1446
; %bb.1445:
	global_load_u16 v5, v[10:11], off
	s_wait_loadcnt 0x0
	v_cvt_f32_u32_e32 v5, v5
	s_delay_alu instid0(VALU_DEP_1) | instskip(NEXT) | instid1(VALU_DEP_1)
	v_bfe_u32 v7, v5, 16, 1
	v_add3_u32 v5, v5, v7, 0x7fff
	s_wait_xcnt 0x1
	s_delay_alu instid0(VALU_DEP_1)
	v_lshrrev_b32_e32 v12, 16, v5
.LBB63_1446:
	s_mov_b32 s12, 0
.LBB63_1447:
	s_delay_alu instid0(SALU_CYCLE_1)
	s_and_not1_b32 vcc_lo, exec_lo, s12
	s_cbranch_vccnz .LBB63_1455
; %bb.1448:
	global_load_u8 v5, v[10:11], off
	s_mov_b32 s12, 0
	s_mov_b32 s13, exec_lo
	s_wait_loadcnt 0x0
	v_cmpx_lt_i16_e32 0x7f, v5
	s_xor_b32 s13, exec_lo, s13
	s_cbranch_execz .LBB63_1469
; %bb.1449:
	s_mov_b32 s12, -1
	s_mov_b32 s14, exec_lo
	v_cmpx_eq_u16_e32 0x80, v5
; %bb.1450:
	s_xor_b32 s12, exec_lo, -1
; %bb.1451:
	s_or_b32 exec_lo, exec_lo, s14
	s_delay_alu instid0(SALU_CYCLE_1)
	s_and_b32 s12, s12, exec_lo
	s_or_saveexec_b32 s13, s13
	v_mov_b32_e32 v7, 0x7f800001
	s_xor_b32 exec_lo, exec_lo, s13
	s_cbranch_execnz .LBB63_1470
.LBB63_1452:
	s_or_b32 exec_lo, exec_lo, s13
	s_and_saveexec_b32 s13, s12
	s_cbranch_execz .LBB63_1454
.LBB63_1453:
	v_and_b32_e32 v7, 0xffff, v5
	s_delay_alu instid0(VALU_DEP_1) | instskip(SKIP_1) | instid1(VALU_DEP_2)
	v_and_b32_e32 v9, 7, v7
	v_bfe_u32 v14, v7, 3, 4
	v_clz_i32_u32_e32 v12, v9
	s_delay_alu instid0(VALU_DEP_2) | instskip(NEXT) | instid1(VALU_DEP_2)
	v_cmp_eq_u32_e32 vcc_lo, 0, v14
	v_min_u32_e32 v12, 32, v12
	s_delay_alu instid0(VALU_DEP_1) | instskip(NEXT) | instid1(VALU_DEP_1)
	v_subrev_nc_u32_e32 v13, 28, v12
	v_dual_lshlrev_b32 v7, v13, v7 :: v_dual_sub_nc_u32 v12, 29, v12
	s_delay_alu instid0(VALU_DEP_1) | instskip(NEXT) | instid1(VALU_DEP_1)
	v_dual_lshlrev_b32 v5, 24, v5 :: v_dual_bitop2_b32 v7, 7, v7 bitop3:0x40
	v_dual_cndmask_b32 v12, v14, v12 :: v_dual_cndmask_b32 v7, v9, v7
	s_delay_alu instid0(VALU_DEP_2) | instskip(NEXT) | instid1(VALU_DEP_2)
	v_and_b32_e32 v5, 0x80000000, v5
	v_lshl_add_u32 v9, v12, 23, 0x3b800000
	s_delay_alu instid0(VALU_DEP_3) | instskip(NEXT) | instid1(VALU_DEP_1)
	v_lshlrev_b32_e32 v7, 20, v7
	v_or3_b32 v7, v5, v9, v7
.LBB63_1454:
	s_or_b32 exec_lo, exec_lo, s13
	s_delay_alu instid0(VALU_DEP_1) | instskip(SKIP_1) | instid1(VALU_DEP_2)
	v_bfe_u32 v5, v7, 16, 1
	v_cmp_o_f32_e32 vcc_lo, v7, v7
	v_add3_u32 v5, v7, v5, 0x7fff
	s_delay_alu instid0(VALU_DEP_1) | instskip(NEXT) | instid1(VALU_DEP_1)
	v_lshrrev_b32_e32 v5, 16, v5
	v_cndmask_b32_e32 v12, 0x7fc0, v5, vcc_lo
.LBB63_1455:
	s_mov_b32 s12, -1
.LBB63_1456:
	s_mov_b32 s13, 0
.LBB63_1457:
	s_delay_alu instid0(SALU_CYCLE_1)
	s_and_b32 vcc_lo, exec_lo, s13
	s_cbranch_vccz .LBB63_1490
; %bb.1458:
	s_cmp_gt_i32 s0, 22
	s_cbranch_scc0 .LBB63_1468
; %bb.1459:
	s_cmp_lt_i32 s0, 24
	s_cbranch_scc1 .LBB63_1471
; %bb.1460:
	s_cmp_gt_i32 s0, 24
	s_cbranch_scc0 .LBB63_1472
; %bb.1461:
	global_load_u8 v5, v[10:11], off
	s_mov_b32 s12, exec_lo
	s_wait_loadcnt 0x0
	v_cmpx_lt_i16_e32 0x7f, v5
	s_xor_b32 s12, exec_lo, s12
	s_cbranch_execz .LBB63_1484
; %bb.1462:
	s_mov_b32 s11, -1
	s_mov_b32 s13, exec_lo
	v_cmpx_eq_u16_e32 0x80, v5
; %bb.1463:
	s_xor_b32 s11, exec_lo, -1
; %bb.1464:
	s_or_b32 exec_lo, exec_lo, s13
	s_delay_alu instid0(SALU_CYCLE_1)
	s_and_b32 s11, s11, exec_lo
	s_or_saveexec_b32 s12, s12
	v_mov_b32_e32 v7, 0x7f800001
	s_xor_b32 exec_lo, exec_lo, s12
	s_cbranch_execnz .LBB63_1485
.LBB63_1465:
	s_or_b32 exec_lo, exec_lo, s12
	s_and_saveexec_b32 s12, s11
	s_cbranch_execz .LBB63_1467
.LBB63_1466:
	v_and_b32_e32 v7, 0xffff, v5
	s_delay_alu instid0(VALU_DEP_1) | instskip(SKIP_1) | instid1(VALU_DEP_2)
	v_and_b32_e32 v9, 3, v7
	v_bfe_u32 v14, v7, 2, 5
	v_clz_i32_u32_e32 v12, v9
	s_delay_alu instid0(VALU_DEP_2) | instskip(NEXT) | instid1(VALU_DEP_2)
	v_cmp_eq_u32_e32 vcc_lo, 0, v14
	v_min_u32_e32 v12, 32, v12
	s_delay_alu instid0(VALU_DEP_1) | instskip(NEXT) | instid1(VALU_DEP_1)
	v_subrev_nc_u32_e32 v13, 29, v12
	v_dual_lshlrev_b32 v7, v13, v7 :: v_dual_sub_nc_u32 v12, 30, v12
	s_delay_alu instid0(VALU_DEP_1) | instskip(NEXT) | instid1(VALU_DEP_1)
	v_dual_lshlrev_b32 v5, 24, v5 :: v_dual_bitop2_b32 v7, 3, v7 bitop3:0x40
	v_dual_cndmask_b32 v12, v14, v12 :: v_dual_cndmask_b32 v7, v9, v7
	s_delay_alu instid0(VALU_DEP_2) | instskip(NEXT) | instid1(VALU_DEP_2)
	v_and_b32_e32 v5, 0x80000000, v5
	v_lshl_add_u32 v9, v12, 23, 0x37800000
	s_delay_alu instid0(VALU_DEP_3) | instskip(NEXT) | instid1(VALU_DEP_1)
	v_lshlrev_b32_e32 v7, 21, v7
	v_or3_b32 v7, v5, v9, v7
.LBB63_1467:
	s_or_b32 exec_lo, exec_lo, s12
	s_delay_alu instid0(VALU_DEP_1) | instskip(SKIP_2) | instid1(VALU_DEP_2)
	v_bfe_u32 v5, v7, 16, 1
	v_cmp_o_f32_e32 vcc_lo, v7, v7
	s_mov_b32 s11, 0
	v_add3_u32 v5, v7, v5, 0x7fff
	s_delay_alu instid0(VALU_DEP_1) | instskip(NEXT) | instid1(VALU_DEP_1)
	v_lshrrev_b32_e32 v5, 16, v5
	v_cndmask_b32_e32 v12, 0x7fc0, v5, vcc_lo
	s_branch .LBB63_1473
.LBB63_1468:
	s_mov_b32 s11, -1
                                        ; implicit-def: $vgpr12
	s_branch .LBB63_1479
.LBB63_1469:
	s_or_saveexec_b32 s13, s13
	v_mov_b32_e32 v7, 0x7f800001
	s_xor_b32 exec_lo, exec_lo, s13
	s_cbranch_execz .LBB63_1452
.LBB63_1470:
	v_cmp_ne_u16_e32 vcc_lo, 0, v5
	v_mov_b32_e32 v7, 0
	s_and_not1_b32 s12, s12, exec_lo
	s_and_b32 s14, vcc_lo, exec_lo
	s_delay_alu instid0(SALU_CYCLE_1)
	s_or_b32 s12, s12, s14
	s_or_b32 exec_lo, exec_lo, s13
	s_and_saveexec_b32 s13, s12
	s_cbranch_execnz .LBB63_1453
	s_branch .LBB63_1454
.LBB63_1471:
	s_mov_b32 s11, -1
                                        ; implicit-def: $vgpr12
	s_branch .LBB63_1476
.LBB63_1472:
	s_mov_b32 s11, -1
                                        ; implicit-def: $vgpr12
.LBB63_1473:
	s_delay_alu instid0(SALU_CYCLE_1)
	s_and_b32 vcc_lo, exec_lo, s11
	s_cbranch_vccz .LBB63_1475
; %bb.1474:
	global_load_u8 v5, v[10:11], off
	s_wait_loadcnt 0x0
	v_lshlrev_b32_e32 v5, 24, v5
	s_delay_alu instid0(VALU_DEP_1) | instskip(NEXT) | instid1(VALU_DEP_1)
	v_and_b32_e32 v7, 0x7f000000, v5
	v_clz_i32_u32_e32 v9, v7
	s_wait_xcnt 0x1
	v_add_nc_u32_e32 v13, 0x1000000, v7
	v_cmp_ne_u32_e32 vcc_lo, 0, v7
	s_delay_alu instid0(VALU_DEP_3) | instskip(NEXT) | instid1(VALU_DEP_1)
	v_min_u32_e32 v9, 32, v9
	v_sub_nc_u32_e64 v9, v9, 4 clamp
	s_delay_alu instid0(VALU_DEP_1) | instskip(NEXT) | instid1(VALU_DEP_1)
	v_dual_lshlrev_b32 v12, v9, v7 :: v_dual_lshlrev_b32 v9, 23, v9
	v_lshrrev_b32_e32 v12, 4, v12
	s_delay_alu instid0(VALU_DEP_1) | instskip(SKIP_1) | instid1(VALU_DEP_2)
	v_sub_nc_u32_e32 v9, v12, v9
	v_ashrrev_i32_e32 v12, 8, v13
	v_add_nc_u32_e32 v9, 0x3c000000, v9
	s_delay_alu instid0(VALU_DEP_1) | instskip(NEXT) | instid1(VALU_DEP_1)
	v_and_or_b32 v9, 0x7f800000, v12, v9
	v_cndmask_b32_e32 v7, 0, v9, vcc_lo
	s_delay_alu instid0(VALU_DEP_1) | instskip(SKIP_1) | instid1(VALU_DEP_2)
	v_and_or_b32 v5, 0x80000000, v5, v7
	v_bfe_u32 v7, v7, 16, 1
	v_cmp_o_f32_e32 vcc_lo, v5, v5
	s_delay_alu instid0(VALU_DEP_2) | instskip(NEXT) | instid1(VALU_DEP_1)
	v_add3_u32 v7, v5, v7, 0x7fff
	v_lshrrev_b32_e32 v7, 16, v7
	s_delay_alu instid0(VALU_DEP_1)
	v_cndmask_b32_e32 v12, 0x7fc0, v7, vcc_lo
.LBB63_1475:
	s_mov_b32 s11, 0
.LBB63_1476:
	s_delay_alu instid0(SALU_CYCLE_1)
	s_and_not1_b32 vcc_lo, exec_lo, s11
	s_cbranch_vccnz .LBB63_1478
; %bb.1477:
	global_load_u8 v5, v[10:11], off
	s_wait_loadcnt 0x0
	v_lshlrev_b32_e32 v7, 25, v5
	v_lshlrev_b16 v5, 8, v5
	s_wait_xcnt 0x1
	s_delay_alu instid0(VALU_DEP_1) | instskip(SKIP_1) | instid1(VALU_DEP_2)
	v_and_or_b32 v12, 0x7f00, v5, 0.5
	v_bfe_i32 v5, v5, 0, 16
	v_dual_add_f32 v12, -0.5, v12 :: v_dual_lshrrev_b32 v9, 4, v7
	v_cmp_gt_u32_e32 vcc_lo, 0x8000000, v7
	s_delay_alu instid0(VALU_DEP_2) | instskip(NEXT) | instid1(VALU_DEP_1)
	v_or_b32_e32 v9, 0x70000000, v9
	v_mul_f32_e32 v9, 0x7800000, v9
	s_delay_alu instid0(VALU_DEP_1) | instskip(NEXT) | instid1(VALU_DEP_1)
	v_cndmask_b32_e32 v7, v9, v12, vcc_lo
	v_and_or_b32 v5, 0x80000000, v5, v7
	v_bfe_u32 v7, v7, 16, 1
	s_delay_alu instid0(VALU_DEP_2) | instskip(NEXT) | instid1(VALU_DEP_2)
	v_cmp_o_f32_e32 vcc_lo, v5, v5
	v_add3_u32 v7, v5, v7, 0x7fff
	s_delay_alu instid0(VALU_DEP_1) | instskip(NEXT) | instid1(VALU_DEP_1)
	v_lshrrev_b32_e32 v7, 16, v7
	v_cndmask_b32_e32 v12, 0x7fc0, v7, vcc_lo
.LBB63_1478:
	s_mov_b32 s11, 0
	s_mov_b32 s12, -1
.LBB63_1479:
	s_and_not1_b32 vcc_lo, exec_lo, s11
	s_mov_b32 s11, 0
	s_cbranch_vccnz .LBB63_1490
; %bb.1480:
	s_cmp_gt_i32 s0, 14
	s_cbranch_scc0 .LBB63_1483
; %bb.1481:
	s_cmp_eq_u32 s0, 15
	s_cbranch_scc0 .LBB63_1486
; %bb.1482:
	s_wait_loadcnt 0x0
	global_load_u16 v12, v[10:11], off
	s_mov_b32 s1, 0
	s_mov_b32 s12, -1
	s_branch .LBB63_1488
.LBB63_1483:
	s_mov_b32 s11, -1
	s_branch .LBB63_1487
.LBB63_1484:
	s_or_saveexec_b32 s12, s12
	v_mov_b32_e32 v7, 0x7f800001
	s_xor_b32 exec_lo, exec_lo, s12
	s_cbranch_execz .LBB63_1465
.LBB63_1485:
	v_cmp_ne_u16_e32 vcc_lo, 0, v5
	v_mov_b32_e32 v7, 0
	s_and_not1_b32 s11, s11, exec_lo
	s_and_b32 s13, vcc_lo, exec_lo
	s_delay_alu instid0(SALU_CYCLE_1)
	s_or_b32 s11, s11, s13
	s_or_b32 exec_lo, exec_lo, s12
	s_and_saveexec_b32 s12, s11
	s_cbranch_execnz .LBB63_1466
	s_branch .LBB63_1467
.LBB63_1486:
	s_mov_b32 s1, -1
.LBB63_1487:
                                        ; implicit-def: $vgpr12
.LBB63_1488:
	s_and_b32 vcc_lo, exec_lo, s11
	s_mov_b32 s11, 0
	s_cbranch_vccz .LBB63_1490
; %bb.1489:
	s_cmp_lg_u32 s0, 11
	s_mov_b32 s11, -1
	s_cselect_b32 s1, -1, 0
.LBB63_1490:
	s_delay_alu instid0(SALU_CYCLE_1)
	s_and_b32 vcc_lo, exec_lo, s1
	s_cbranch_vccnz .LBB63_1553
; %bb.1491:
	s_and_not1_b32 vcc_lo, exec_lo, s11
	s_cbranch_vccnz .LBB63_1493
.LBB63_1492:
	global_load_u8 v5, v[10:11], off
	s_mov_b32 s12, -1
	s_wait_loadcnt 0x0
	v_cmp_ne_u16_e32 vcc_lo, 0, v5
	v_cndmask_b32_e64 v5, 0, 1.0, vcc_lo
	s_wait_xcnt 0x1
	s_delay_alu instid0(VALU_DEP_1)
	v_lshrrev_b32_e32 v12, 16, v5
.LBB63_1493:
	s_branch .LBB63_1420
.LBB63_1494:
	s_cmp_lt_i32 s0, 5
	s_cbranch_scc1 .LBB63_1499
; %bb.1495:
	s_cmp_lt_i32 s0, 8
	s_cbranch_scc1 .LBB63_1500
; %bb.1496:
	;; [unrolled: 3-line block ×3, first 2 shown]
	s_cmp_gt_i32 s0, 9
	s_cbranch_scc0 .LBB63_1502
; %bb.1498:
	s_wait_loadcnt 0x0
	global_load_b64 v[12:13], v[10:11], off
	s_mov_b32 s1, 0
	s_wait_loadcnt 0x0
	v_cvt_f32_f64_e32 v5, v[12:13]
	s_delay_alu instid0(VALU_DEP_1) | instskip(SKIP_1) | instid1(VALU_DEP_2)
	v_bfe_u32 v7, v5, 16, 1
	v_cmp_o_f32_e32 vcc_lo, v5, v5
	v_add3_u32 v7, v5, v7, 0x7fff
	s_delay_alu instid0(VALU_DEP_1) | instskip(NEXT) | instid1(VALU_DEP_1)
	v_lshrrev_b32_e32 v7, 16, v7
	v_cndmask_b32_e32 v12, 0x7fc0, v7, vcc_lo
	s_branch .LBB63_1503
.LBB63_1499:
	s_mov_b32 s1, -1
                                        ; implicit-def: $vgpr12
	s_branch .LBB63_1521
.LBB63_1500:
	s_mov_b32 s1, -1
                                        ; implicit-def: $vgpr12
	s_branch .LBB63_1509
.LBB63_1501:
	s_mov_b32 s1, -1
                                        ; implicit-def: $vgpr12
	s_branch .LBB63_1506
.LBB63_1502:
	s_mov_b32 s1, -1
                                        ; implicit-def: $vgpr12
.LBB63_1503:
	s_delay_alu instid0(SALU_CYCLE_1)
	s_and_not1_b32 vcc_lo, exec_lo, s1
	s_cbranch_vccnz .LBB63_1505
; %bb.1504:
	global_load_b32 v5, v[10:11], off
	s_wait_loadcnt 0x0
	v_bfe_u32 v7, v5, 16, 1
	v_cmp_o_f32_e32 vcc_lo, v5, v5
	s_delay_alu instid0(VALU_DEP_2) | instskip(NEXT) | instid1(VALU_DEP_1)
	v_add3_u32 v7, v5, v7, 0x7fff
	v_lshrrev_b32_e32 v7, 16, v7
	s_wait_xcnt 0x1
	s_delay_alu instid0(VALU_DEP_1)
	v_cndmask_b32_e32 v12, 0x7fc0, v7, vcc_lo
.LBB63_1505:
	s_mov_b32 s1, 0
.LBB63_1506:
	s_delay_alu instid0(SALU_CYCLE_1)
	s_and_not1_b32 vcc_lo, exec_lo, s1
	s_cbranch_vccnz .LBB63_1508
; %bb.1507:
	global_load_b32 v5, v[10:11], off
	s_wait_loadcnt 0x0
	v_cvt_f32_f16_e32 v7, v5
	v_cmp_o_f16_e32 vcc_lo, v5, v5
	s_delay_alu instid0(VALU_DEP_2) | instskip(NEXT) | instid1(VALU_DEP_1)
	v_bfe_u32 v9, v7, 16, 1
	v_add3_u32 v7, v7, v9, 0x7fff
	s_delay_alu instid0(VALU_DEP_1) | instskip(SKIP_1) | instid1(VALU_DEP_1)
	v_lshrrev_b32_e32 v7, 16, v7
	s_wait_xcnt 0x1
	v_cndmask_b32_e32 v12, 0x7fc0, v7, vcc_lo
.LBB63_1508:
	s_mov_b32 s1, 0
.LBB63_1509:
	s_delay_alu instid0(SALU_CYCLE_1)
	s_and_not1_b32 vcc_lo, exec_lo, s1
	s_cbranch_vccnz .LBB63_1520
; %bb.1510:
	s_cmp_lt_i32 s0, 6
	s_cbranch_scc1 .LBB63_1513
; %bb.1511:
	s_cmp_gt_i32 s0, 6
	s_cbranch_scc0 .LBB63_1514
; %bb.1512:
	s_wait_loadcnt 0x0
	global_load_b64 v[12:13], v[10:11], off
	s_mov_b32 s1, 0
	s_wait_loadcnt 0x0
	v_cvt_f32_f64_e32 v5, v[12:13]
	s_delay_alu instid0(VALU_DEP_1) | instskip(SKIP_1) | instid1(VALU_DEP_2)
	v_bfe_u32 v7, v5, 16, 1
	v_cmp_o_f32_e32 vcc_lo, v5, v5
	v_add3_u32 v7, v5, v7, 0x7fff
	s_delay_alu instid0(VALU_DEP_1) | instskip(NEXT) | instid1(VALU_DEP_1)
	v_lshrrev_b32_e32 v7, 16, v7
	v_cndmask_b32_e32 v12, 0x7fc0, v7, vcc_lo
	s_branch .LBB63_1515
.LBB63_1513:
	s_mov_b32 s1, -1
                                        ; implicit-def: $vgpr12
	s_branch .LBB63_1518
.LBB63_1514:
	s_mov_b32 s1, -1
                                        ; implicit-def: $vgpr12
.LBB63_1515:
	s_delay_alu instid0(SALU_CYCLE_1)
	s_and_not1_b32 vcc_lo, exec_lo, s1
	s_cbranch_vccnz .LBB63_1517
; %bb.1516:
	global_load_b32 v5, v[10:11], off
	s_wait_loadcnt 0x0
	v_bfe_u32 v7, v5, 16, 1
	v_cmp_o_f32_e32 vcc_lo, v5, v5
	s_delay_alu instid0(VALU_DEP_2) | instskip(NEXT) | instid1(VALU_DEP_1)
	v_add3_u32 v7, v5, v7, 0x7fff
	v_lshrrev_b32_e32 v7, 16, v7
	s_wait_xcnt 0x1
	s_delay_alu instid0(VALU_DEP_1)
	v_cndmask_b32_e32 v12, 0x7fc0, v7, vcc_lo
.LBB63_1517:
	s_mov_b32 s1, 0
.LBB63_1518:
	s_delay_alu instid0(SALU_CYCLE_1)
	s_and_not1_b32 vcc_lo, exec_lo, s1
	s_cbranch_vccnz .LBB63_1520
; %bb.1519:
	global_load_u16 v5, v[10:11], off
	s_wait_loadcnt 0x0
	v_cvt_f32_f16_e32 v7, v5
	v_cmp_o_f16_e32 vcc_lo, v5, v5
	s_delay_alu instid0(VALU_DEP_2) | instskip(NEXT) | instid1(VALU_DEP_1)
	v_bfe_u32 v9, v7, 16, 1
	v_add3_u32 v7, v7, v9, 0x7fff
	s_delay_alu instid0(VALU_DEP_1) | instskip(SKIP_1) | instid1(VALU_DEP_1)
	v_lshrrev_b32_e32 v7, 16, v7
	s_wait_xcnt 0x1
	v_cndmask_b32_e32 v12, 0x7fc0, v7, vcc_lo
.LBB63_1520:
	s_mov_b32 s1, 0
.LBB63_1521:
	s_delay_alu instid0(SALU_CYCLE_1)
	s_and_not1_b32 vcc_lo, exec_lo, s1
	s_cbranch_vccnz .LBB63_1541
; %bb.1522:
	s_cmp_lt_i32 s0, 2
	s_cbranch_scc1 .LBB63_1526
; %bb.1523:
	s_cmp_lt_i32 s0, 3
	s_cbranch_scc1 .LBB63_1527
; %bb.1524:
	s_cmp_gt_i32 s0, 3
	s_cbranch_scc0 .LBB63_1528
; %bb.1525:
	s_wait_loadcnt 0x0
	global_load_b64 v[12:13], v[10:11], off
	s_mov_b32 s1, 0
	s_wait_loadcnt 0x0
	v_xor_b32_e32 v5, v12, v13
	v_cls_i32_e32 v7, v13
	s_delay_alu instid0(VALU_DEP_2) | instskip(NEXT) | instid1(VALU_DEP_1)
	v_ashrrev_i32_e32 v5, 31, v5
	v_add_nc_u32_e32 v5, 32, v5
	s_delay_alu instid0(VALU_DEP_1) | instskip(NEXT) | instid1(VALU_DEP_1)
	v_add_min_u32_e64 v5, v7, -1, v5
	v_lshlrev_b64_e32 v[12:13], v5, v[12:13]
	v_sub_nc_u32_e32 v5, 32, v5
	s_delay_alu instid0(VALU_DEP_2) | instskip(NEXT) | instid1(VALU_DEP_1)
	v_min_u32_e32 v7, 1, v12
	v_or_b32_e32 v7, v13, v7
	s_delay_alu instid0(VALU_DEP_1) | instskip(NEXT) | instid1(VALU_DEP_1)
	v_cvt_f32_i32_e32 v7, v7
	v_ldexp_f32 v5, v7, v5
	s_delay_alu instid0(VALU_DEP_1) | instskip(NEXT) | instid1(VALU_DEP_1)
	v_bfe_u32 v7, v5, 16, 1
	v_add3_u32 v5, v5, v7, 0x7fff
	s_delay_alu instid0(VALU_DEP_1)
	v_lshrrev_b32_e32 v12, 16, v5
	s_branch .LBB63_1529
.LBB63_1526:
	s_mov_b32 s1, -1
                                        ; implicit-def: $vgpr12
	s_branch .LBB63_1535
.LBB63_1527:
	s_mov_b32 s1, -1
                                        ; implicit-def: $vgpr12
	s_branch .LBB63_1532
.LBB63_1528:
	s_mov_b32 s1, -1
                                        ; implicit-def: $vgpr12
.LBB63_1529:
	s_delay_alu instid0(SALU_CYCLE_1)
	s_and_not1_b32 vcc_lo, exec_lo, s1
	s_cbranch_vccnz .LBB63_1531
; %bb.1530:
	global_load_b32 v5, v[10:11], off
	s_wait_loadcnt 0x0
	v_cvt_f32_i32_e32 v5, v5
	s_delay_alu instid0(VALU_DEP_1) | instskip(NEXT) | instid1(VALU_DEP_1)
	v_bfe_u32 v7, v5, 16, 1
	v_add3_u32 v5, v5, v7, 0x7fff
	s_wait_xcnt 0x1
	s_delay_alu instid0(VALU_DEP_1)
	v_lshrrev_b32_e32 v12, 16, v5
.LBB63_1531:
	s_mov_b32 s1, 0
.LBB63_1532:
	s_delay_alu instid0(SALU_CYCLE_1)
	s_and_not1_b32 vcc_lo, exec_lo, s1
	s_cbranch_vccnz .LBB63_1534
; %bb.1533:
	global_load_i16 v5, v[10:11], off
	s_wait_loadcnt 0x0
	v_cvt_f32_i32_e32 v5, v5
	s_delay_alu instid0(VALU_DEP_1) | instskip(NEXT) | instid1(VALU_DEP_1)
	v_bfe_u32 v7, v5, 16, 1
	v_add3_u32 v5, v5, v7, 0x7fff
	s_wait_xcnt 0x1
	s_delay_alu instid0(VALU_DEP_1)
	v_lshrrev_b32_e32 v12, 16, v5
.LBB63_1534:
	s_mov_b32 s1, 0
.LBB63_1535:
	s_delay_alu instid0(SALU_CYCLE_1)
	s_and_not1_b32 vcc_lo, exec_lo, s1
	s_cbranch_vccnz .LBB63_1541
; %bb.1536:
	s_cmp_gt_i32 s0, 0
	s_mov_b32 s1, 0
	s_cbranch_scc0 .LBB63_1538
; %bb.1537:
	global_load_i8 v5, v[10:11], off
	s_wait_loadcnt 0x0
	v_cvt_f32_i32_e32 v5, v5
	s_delay_alu instid0(VALU_DEP_1) | instskip(NEXT) | instid1(VALU_DEP_1)
	v_bfe_u32 v7, v5, 16, 1
	v_add3_u32 v5, v5, v7, 0x7fff
	s_wait_xcnt 0x1
	s_delay_alu instid0(VALU_DEP_1)
	v_lshrrev_b32_e32 v12, 16, v5
	s_branch .LBB63_1539
.LBB63_1538:
	s_mov_b32 s1, -1
                                        ; implicit-def: $vgpr12
.LBB63_1539:
	s_delay_alu instid0(SALU_CYCLE_1)
	s_and_not1_b32 vcc_lo, exec_lo, s1
	s_cbranch_vccnz .LBB63_1541
; %bb.1540:
	global_load_u8 v5, v[10:11], off
	s_wait_loadcnt 0x0
	v_cvt_f32_ubyte0_e32 v5, v5
	s_delay_alu instid0(VALU_DEP_1) | instskip(NEXT) | instid1(VALU_DEP_1)
	v_bfe_u32 v7, v5, 16, 1
	v_add3_u32 v5, v5, v7, 0x7fff
	s_wait_xcnt 0x1
	s_delay_alu instid0(VALU_DEP_1)
	v_lshrrev_b32_e32 v12, 16, v5
.LBB63_1541:
.LBB63_1542:
	v_mov_b32_e32 v9, 0
	s_cmp_lt_i32 s0, 11
	s_delay_alu instid0(VALU_DEP_1)
	v_add_nc_u64_e32 v[8:9], s[6:7], v[8:9]
	s_cbranch_scc1 .LBB63_1549
; %bb.1543:
	s_cmp_gt_i32 s0, 25
	s_mov_b32 s6, 0
	s_cbranch_scc0 .LBB63_1550
; %bb.1544:
	s_cmp_gt_i32 s0, 28
	s_cbranch_scc0 .LBB63_1551
; %bb.1545:
	s_cmp_gt_i32 s0, 43
	;; [unrolled: 3-line block ×3, first 2 shown]
	s_cbranch_scc0 .LBB63_1554
; %bb.1547:
	s_cmp_eq_u32 s0, 46
	s_mov_b32 s11, 0
	s_cbranch_scc0 .LBB63_1555
; %bb.1548:
	global_load_b32 v10, v[8:9], off
	s_mov_b32 s1, 0
	s_mov_b32 s7, -1
	s_branch .LBB63_1557
.LBB63_1549:
	s_mov_b32 s1, -1
	s_mov_b32 s7, 0
                                        ; implicit-def: $vgpr10
	s_branch .LBB63_1623
.LBB63_1550:
	s_mov_b32 s11, -1
	s_mov_b32 s7, 0
	s_mov_b32 s1, 0
                                        ; implicit-def: $vgpr10
	s_branch .LBB63_1586
.LBB63_1551:
	s_mov_b32 s11, -1
	s_mov_b32 s7, 0
	s_mov_b32 s1, 0
                                        ; implicit-def: $vgpr10
	s_branch .LBB63_1567
.LBB63_1552:
	s_mov_b32 s11, -1
	s_mov_b32 s7, 0
	s_mov_b32 s1, 0
                                        ; implicit-def: $vgpr10
	s_branch .LBB63_1562
.LBB63_1553:
	s_or_b32 s10, s10, exec_lo
	s_trap 2
	s_cbranch_execz .LBB63_1492
	s_branch .LBB63_1493
.LBB63_1554:
	s_mov_b32 s11, -1
	s_mov_b32 s7, 0
	s_mov_b32 s1, 0
	s_branch .LBB63_1556
.LBB63_1555:
	s_mov_b32 s1, -1
	s_mov_b32 s7, 0
.LBB63_1556:
                                        ; implicit-def: $vgpr10
.LBB63_1557:
	s_and_b32 vcc_lo, exec_lo, s11
	s_cbranch_vccz .LBB63_1561
; %bb.1558:
	s_cmp_eq_u32 s0, 44
	s_cbranch_scc0 .LBB63_1560
; %bb.1559:
	global_load_u8 v5, v[8:9], off
	s_mov_b32 s1, 0
	s_mov_b32 s7, -1
	s_wait_loadcnt 0x0
	v_lshlrev_b32_e32 v7, 23, v5
	v_cmp_ne_u32_e32 vcc_lo, 0xff, v5
	s_delay_alu instid0(VALU_DEP_2) | instskip(SKIP_1) | instid1(VALU_DEP_2)
	v_cndmask_b32_e32 v7, 0x7f800001, v7, vcc_lo
	v_cmp_ne_u32_e32 vcc_lo, 0, v5
	v_cndmask_b32_e32 v5, 0x400000, v7, vcc_lo
	s_delay_alu instid0(VALU_DEP_1) | instskip(SKIP_1) | instid1(VALU_DEP_2)
	v_add_nc_u32_e32 v7, 0x7fff, v5
	v_cmp_o_f32_e32 vcc_lo, v5, v5
	v_lshrrev_b32_e32 v7, 16, v7
	s_wait_xcnt 0x1
	s_delay_alu instid0(VALU_DEP_1)
	v_cndmask_b32_e32 v10, 0x7fc0, v7, vcc_lo
	s_branch .LBB63_1561
.LBB63_1560:
	s_mov_b32 s1, -1
                                        ; implicit-def: $vgpr10
.LBB63_1561:
	s_mov_b32 s11, 0
.LBB63_1562:
	s_delay_alu instid0(SALU_CYCLE_1)
	s_and_b32 vcc_lo, exec_lo, s11
	s_cbranch_vccz .LBB63_1566
; %bb.1563:
	s_cmp_eq_u32 s0, 29
	s_cbranch_scc0 .LBB63_1565
; %bb.1564:
	s_wait_loadcnt 0x0
	global_load_b64 v[10:11], v[8:9], off
	s_mov_b32 s1, 0
	s_mov_b32 s7, -1
	s_mov_b32 s11, 0
	s_wait_loadcnt 0x0
	v_clz_i32_u32_e32 v5, v11
	s_delay_alu instid0(VALU_DEP_1) | instskip(NEXT) | instid1(VALU_DEP_1)
	v_min_u32_e32 v5, 32, v5
	v_lshlrev_b64_e32 v[10:11], v5, v[10:11]
	v_sub_nc_u32_e32 v5, 32, v5
	s_delay_alu instid0(VALU_DEP_2) | instskip(NEXT) | instid1(VALU_DEP_1)
	v_min_u32_e32 v7, 1, v10
	v_or_b32_e32 v7, v11, v7
	s_delay_alu instid0(VALU_DEP_1) | instskip(NEXT) | instid1(VALU_DEP_1)
	v_cvt_f32_u32_e32 v7, v7
	v_ldexp_f32 v5, v7, v5
	s_delay_alu instid0(VALU_DEP_1) | instskip(NEXT) | instid1(VALU_DEP_1)
	v_bfe_u32 v7, v5, 16, 1
	v_add3_u32 v5, v5, v7, 0x7fff
	s_delay_alu instid0(VALU_DEP_1)
	v_lshrrev_b32_e32 v10, 16, v5
	s_branch .LBB63_1567
.LBB63_1565:
	s_mov_b32 s1, -1
                                        ; implicit-def: $vgpr10
.LBB63_1566:
	s_mov_b32 s11, 0
.LBB63_1567:
	s_delay_alu instid0(SALU_CYCLE_1)
	s_and_b32 vcc_lo, exec_lo, s11
	s_cbranch_vccz .LBB63_1585
; %bb.1568:
	s_cmp_lt_i32 s0, 27
	s_cbranch_scc1 .LBB63_1571
; %bb.1569:
	s_cmp_gt_i32 s0, 27
	s_cbranch_scc0 .LBB63_1572
; %bb.1570:
	global_load_b32 v5, v[8:9], off
	s_mov_b32 s7, 0
	s_wait_loadcnt 0x0
	v_cvt_f32_u32_e32 v5, v5
	s_delay_alu instid0(VALU_DEP_1) | instskip(NEXT) | instid1(VALU_DEP_1)
	v_bfe_u32 v7, v5, 16, 1
	v_add3_u32 v5, v5, v7, 0x7fff
	s_wait_xcnt 0x1
	s_delay_alu instid0(VALU_DEP_1)
	v_lshrrev_b32_e32 v10, 16, v5
	s_branch .LBB63_1573
.LBB63_1571:
	s_mov_b32 s7, -1
                                        ; implicit-def: $vgpr10
	s_branch .LBB63_1576
.LBB63_1572:
	s_mov_b32 s7, -1
                                        ; implicit-def: $vgpr10
.LBB63_1573:
	s_delay_alu instid0(SALU_CYCLE_1)
	s_and_not1_b32 vcc_lo, exec_lo, s7
	s_cbranch_vccnz .LBB63_1575
; %bb.1574:
	global_load_u16 v5, v[8:9], off
	s_wait_loadcnt 0x0
	v_cvt_f32_u32_e32 v5, v5
	s_delay_alu instid0(VALU_DEP_1) | instskip(NEXT) | instid1(VALU_DEP_1)
	v_bfe_u32 v7, v5, 16, 1
	v_add3_u32 v5, v5, v7, 0x7fff
	s_wait_xcnt 0x1
	s_delay_alu instid0(VALU_DEP_1)
	v_lshrrev_b32_e32 v10, 16, v5
.LBB63_1575:
	s_mov_b32 s7, 0
.LBB63_1576:
	s_delay_alu instid0(SALU_CYCLE_1)
	s_and_not1_b32 vcc_lo, exec_lo, s7
	s_cbranch_vccnz .LBB63_1584
; %bb.1577:
	global_load_u8 v5, v[8:9], off
	s_mov_b32 s7, 0
	s_mov_b32 s11, exec_lo
	s_wait_loadcnt 0x0
	v_cmpx_lt_i16_e32 0x7f, v5
	s_xor_b32 s11, exec_lo, s11
	s_cbranch_execz .LBB63_1598
; %bb.1578:
	s_mov_b32 s7, -1
	s_mov_b32 s12, exec_lo
	v_cmpx_eq_u16_e32 0x80, v5
; %bb.1579:
	s_xor_b32 s7, exec_lo, -1
; %bb.1580:
	s_or_b32 exec_lo, exec_lo, s12
	s_delay_alu instid0(SALU_CYCLE_1)
	s_and_b32 s7, s7, exec_lo
	s_or_saveexec_b32 s11, s11
	v_mov_b32_e32 v7, 0x7f800001
	s_xor_b32 exec_lo, exec_lo, s11
	s_cbranch_execnz .LBB63_1599
.LBB63_1581:
	s_or_b32 exec_lo, exec_lo, s11
	s_and_saveexec_b32 s11, s7
	s_cbranch_execz .LBB63_1583
.LBB63_1582:
	v_and_b32_e32 v7, 0xffff, v5
	s_delay_alu instid0(VALU_DEP_1) | instskip(SKIP_1) | instid1(VALU_DEP_2)
	v_dual_lshlrev_b32 v5, 24, v5 :: v_dual_bitop2_b32 v10, 7, v7 bitop3:0x40
	v_bfe_u32 v14, v7, 3, 4
	v_and_b32_e32 v5, 0x80000000, v5
	s_delay_alu instid0(VALU_DEP_3) | instskip(NEXT) | instid1(VALU_DEP_3)
	v_clz_i32_u32_e32 v11, v10
	v_cmp_eq_u32_e32 vcc_lo, 0, v14
	s_delay_alu instid0(VALU_DEP_2) | instskip(NEXT) | instid1(VALU_DEP_1)
	v_min_u32_e32 v11, 32, v11
	v_subrev_nc_u32_e32 v13, 28, v11
	v_sub_nc_u32_e32 v11, 29, v11
	s_delay_alu instid0(VALU_DEP_2) | instskip(NEXT) | instid1(VALU_DEP_2)
	v_lshlrev_b32_e32 v7, v13, v7
	v_cndmask_b32_e32 v11, v14, v11, vcc_lo
	s_delay_alu instid0(VALU_DEP_2) | instskip(NEXT) | instid1(VALU_DEP_1)
	v_and_b32_e32 v7, 7, v7
	v_cndmask_b32_e32 v7, v10, v7, vcc_lo
	s_delay_alu instid0(VALU_DEP_3) | instskip(NEXT) | instid1(VALU_DEP_2)
	v_lshl_add_u32 v10, v11, 23, 0x3b800000
	v_lshlrev_b32_e32 v7, 20, v7
	s_delay_alu instid0(VALU_DEP_1)
	v_or3_b32 v7, v5, v10, v7
.LBB63_1583:
	s_or_b32 exec_lo, exec_lo, s11
	s_delay_alu instid0(VALU_DEP_1) | instskip(SKIP_1) | instid1(VALU_DEP_2)
	v_bfe_u32 v5, v7, 16, 1
	v_cmp_o_f32_e32 vcc_lo, v7, v7
	v_add3_u32 v5, v7, v5, 0x7fff
	s_delay_alu instid0(VALU_DEP_1) | instskip(NEXT) | instid1(VALU_DEP_1)
	v_lshrrev_b32_e32 v5, 16, v5
	v_cndmask_b32_e32 v10, 0x7fc0, v5, vcc_lo
.LBB63_1584:
	s_mov_b32 s7, -1
.LBB63_1585:
	s_mov_b32 s11, 0
.LBB63_1586:
	s_delay_alu instid0(SALU_CYCLE_1)
	s_and_b32 vcc_lo, exec_lo, s11
	s_cbranch_vccz .LBB63_1619
; %bb.1587:
	s_cmp_gt_i32 s0, 22
	s_cbranch_scc0 .LBB63_1597
; %bb.1588:
	s_cmp_lt_i32 s0, 24
	s_cbranch_scc1 .LBB63_1600
; %bb.1589:
	s_cmp_gt_i32 s0, 24
	s_cbranch_scc0 .LBB63_1601
; %bb.1590:
	global_load_u8 v5, v[8:9], off
	s_mov_b32 s7, exec_lo
	s_wait_loadcnt 0x0
	v_cmpx_lt_i16_e32 0x7f, v5
	s_xor_b32 s7, exec_lo, s7
	s_cbranch_execz .LBB63_1613
; %bb.1591:
	s_mov_b32 s6, -1
	s_mov_b32 s11, exec_lo
	v_cmpx_eq_u16_e32 0x80, v5
; %bb.1592:
	s_xor_b32 s6, exec_lo, -1
; %bb.1593:
	s_or_b32 exec_lo, exec_lo, s11
	s_delay_alu instid0(SALU_CYCLE_1)
	s_and_b32 s6, s6, exec_lo
	s_or_saveexec_b32 s7, s7
	v_mov_b32_e32 v7, 0x7f800001
	s_xor_b32 exec_lo, exec_lo, s7
	s_cbranch_execnz .LBB63_1614
.LBB63_1594:
	s_or_b32 exec_lo, exec_lo, s7
	s_and_saveexec_b32 s7, s6
	s_cbranch_execz .LBB63_1596
.LBB63_1595:
	v_and_b32_e32 v7, 0xffff, v5
	s_delay_alu instid0(VALU_DEP_1) | instskip(SKIP_1) | instid1(VALU_DEP_2)
	v_dual_lshlrev_b32 v5, 24, v5 :: v_dual_bitop2_b32 v10, 3, v7 bitop3:0x40
	v_bfe_u32 v14, v7, 2, 5
	v_and_b32_e32 v5, 0x80000000, v5
	s_delay_alu instid0(VALU_DEP_3) | instskip(NEXT) | instid1(VALU_DEP_3)
	v_clz_i32_u32_e32 v11, v10
	v_cmp_eq_u32_e32 vcc_lo, 0, v14
	s_delay_alu instid0(VALU_DEP_2) | instskip(NEXT) | instid1(VALU_DEP_1)
	v_min_u32_e32 v11, 32, v11
	v_subrev_nc_u32_e32 v13, 29, v11
	v_sub_nc_u32_e32 v11, 30, v11
	s_delay_alu instid0(VALU_DEP_2) | instskip(NEXT) | instid1(VALU_DEP_2)
	v_lshlrev_b32_e32 v7, v13, v7
	v_cndmask_b32_e32 v11, v14, v11, vcc_lo
	s_delay_alu instid0(VALU_DEP_2) | instskip(NEXT) | instid1(VALU_DEP_1)
	v_and_b32_e32 v7, 3, v7
	v_cndmask_b32_e32 v7, v10, v7, vcc_lo
	s_delay_alu instid0(VALU_DEP_3) | instskip(NEXT) | instid1(VALU_DEP_2)
	v_lshl_add_u32 v10, v11, 23, 0x37800000
	v_lshlrev_b32_e32 v7, 21, v7
	s_delay_alu instid0(VALU_DEP_1)
	v_or3_b32 v7, v5, v10, v7
.LBB63_1596:
	s_or_b32 exec_lo, exec_lo, s7
	s_delay_alu instid0(VALU_DEP_1) | instskip(SKIP_2) | instid1(VALU_DEP_2)
	v_bfe_u32 v5, v7, 16, 1
	v_cmp_o_f32_e32 vcc_lo, v7, v7
	s_mov_b32 s6, 0
	v_add3_u32 v5, v7, v5, 0x7fff
	s_delay_alu instid0(VALU_DEP_1) | instskip(NEXT) | instid1(VALU_DEP_1)
	v_lshrrev_b32_e32 v5, 16, v5
	v_cndmask_b32_e32 v10, 0x7fc0, v5, vcc_lo
	s_branch .LBB63_1602
.LBB63_1597:
	s_mov_b32 s6, -1
                                        ; implicit-def: $vgpr10
	s_branch .LBB63_1608
.LBB63_1598:
	s_or_saveexec_b32 s11, s11
	v_mov_b32_e32 v7, 0x7f800001
	s_xor_b32 exec_lo, exec_lo, s11
	s_cbranch_execz .LBB63_1581
.LBB63_1599:
	v_cmp_ne_u16_e32 vcc_lo, 0, v5
	v_mov_b32_e32 v7, 0
	s_and_not1_b32 s7, s7, exec_lo
	s_and_b32 s12, vcc_lo, exec_lo
	s_delay_alu instid0(SALU_CYCLE_1)
	s_or_b32 s7, s7, s12
	s_or_b32 exec_lo, exec_lo, s11
	s_and_saveexec_b32 s11, s7
	s_cbranch_execnz .LBB63_1582
	s_branch .LBB63_1583
.LBB63_1600:
	s_mov_b32 s6, -1
                                        ; implicit-def: $vgpr10
	s_branch .LBB63_1605
.LBB63_1601:
	s_mov_b32 s6, -1
                                        ; implicit-def: $vgpr10
.LBB63_1602:
	s_delay_alu instid0(SALU_CYCLE_1)
	s_and_b32 vcc_lo, exec_lo, s6
	s_cbranch_vccz .LBB63_1604
; %bb.1603:
	global_load_u8 v5, v[8:9], off
	s_wait_loadcnt 0x0
	v_lshlrev_b32_e32 v5, 24, v5
	s_delay_alu instid0(VALU_DEP_1) | instskip(SKIP_1) | instid1(VALU_DEP_1)
	v_and_b32_e32 v7, 0x7f000000, v5
	s_wait_xcnt 0x1
	v_clz_i32_u32_e32 v10, v7
	v_add_nc_u32_e32 v13, 0x1000000, v7
	v_cmp_ne_u32_e32 vcc_lo, 0, v7
	s_delay_alu instid0(VALU_DEP_3) | instskip(NEXT) | instid1(VALU_DEP_1)
	v_min_u32_e32 v10, 32, v10
	v_sub_nc_u32_e64 v10, v10, 4 clamp
	s_delay_alu instid0(VALU_DEP_1) | instskip(NEXT) | instid1(VALU_DEP_1)
	v_dual_lshlrev_b32 v11, v10, v7 :: v_dual_lshlrev_b32 v10, 23, v10
	v_lshrrev_b32_e32 v11, 4, v11
	s_delay_alu instid0(VALU_DEP_1) | instskip(NEXT) | instid1(VALU_DEP_1)
	v_dual_sub_nc_u32 v10, v11, v10 :: v_dual_ashrrev_i32 v11, 8, v13
	v_add_nc_u32_e32 v10, 0x3c000000, v10
	s_delay_alu instid0(VALU_DEP_1) | instskip(NEXT) | instid1(VALU_DEP_1)
	v_and_or_b32 v10, 0x7f800000, v11, v10
	v_cndmask_b32_e32 v7, 0, v10, vcc_lo
	s_delay_alu instid0(VALU_DEP_1) | instskip(SKIP_1) | instid1(VALU_DEP_2)
	v_and_or_b32 v5, 0x80000000, v5, v7
	v_bfe_u32 v7, v7, 16, 1
	v_cmp_o_f32_e32 vcc_lo, v5, v5
	s_delay_alu instid0(VALU_DEP_2) | instskip(NEXT) | instid1(VALU_DEP_1)
	v_add3_u32 v7, v5, v7, 0x7fff
	v_lshrrev_b32_e32 v7, 16, v7
	s_delay_alu instid0(VALU_DEP_1)
	v_cndmask_b32_e32 v10, 0x7fc0, v7, vcc_lo
.LBB63_1604:
	s_mov_b32 s6, 0
.LBB63_1605:
	s_delay_alu instid0(SALU_CYCLE_1)
	s_and_not1_b32 vcc_lo, exec_lo, s6
	s_cbranch_vccnz .LBB63_1607
; %bb.1606:
	global_load_u8 v5, v[8:9], off
	s_wait_loadcnt 0x0
	v_lshlrev_b32_e32 v7, 25, v5
	v_lshlrev_b16 v5, 8, v5
	s_wait_xcnt 0x1
	s_delay_alu instid0(VALU_DEP_1) | instskip(SKIP_1) | instid1(VALU_DEP_2)
	v_and_or_b32 v11, 0x7f00, v5, 0.5
	v_bfe_i32 v5, v5, 0, 16
	v_add_f32_e32 v11, -0.5, v11
	v_lshrrev_b32_e32 v10, 4, v7
	v_cmp_gt_u32_e32 vcc_lo, 0x8000000, v7
	s_delay_alu instid0(VALU_DEP_2) | instskip(NEXT) | instid1(VALU_DEP_1)
	v_or_b32_e32 v10, 0x70000000, v10
	v_mul_f32_e32 v10, 0x7800000, v10
	s_delay_alu instid0(VALU_DEP_1) | instskip(NEXT) | instid1(VALU_DEP_1)
	v_cndmask_b32_e32 v7, v10, v11, vcc_lo
	v_and_or_b32 v5, 0x80000000, v5, v7
	v_bfe_u32 v7, v7, 16, 1
	s_delay_alu instid0(VALU_DEP_2) | instskip(NEXT) | instid1(VALU_DEP_2)
	v_cmp_o_f32_e32 vcc_lo, v5, v5
	v_add3_u32 v7, v5, v7, 0x7fff
	s_delay_alu instid0(VALU_DEP_1) | instskip(NEXT) | instid1(VALU_DEP_1)
	v_lshrrev_b32_e32 v7, 16, v7
	v_cndmask_b32_e32 v10, 0x7fc0, v7, vcc_lo
.LBB63_1607:
	s_mov_b32 s6, 0
	s_mov_b32 s7, -1
.LBB63_1608:
	s_and_not1_b32 vcc_lo, exec_lo, s6
	s_mov_b32 s6, 0
	s_cbranch_vccnz .LBB63_1619
; %bb.1609:
	s_cmp_gt_i32 s0, 14
	s_cbranch_scc0 .LBB63_1612
; %bb.1610:
	s_cmp_eq_u32 s0, 15
	s_cbranch_scc0 .LBB63_1615
; %bb.1611:
	s_wait_loadcnt 0x0
	global_load_u16 v10, v[8:9], off
	s_mov_b32 s1, 0
	s_mov_b32 s7, -1
	s_branch .LBB63_1617
.LBB63_1612:
	s_mov_b32 s6, -1
	s_branch .LBB63_1616
.LBB63_1613:
	s_or_saveexec_b32 s7, s7
	v_mov_b32_e32 v7, 0x7f800001
	s_xor_b32 exec_lo, exec_lo, s7
	s_cbranch_execz .LBB63_1594
.LBB63_1614:
	v_cmp_ne_u16_e32 vcc_lo, 0, v5
	v_mov_b32_e32 v7, 0
	s_and_not1_b32 s6, s6, exec_lo
	s_and_b32 s11, vcc_lo, exec_lo
	s_delay_alu instid0(SALU_CYCLE_1)
	s_or_b32 s6, s6, s11
	s_or_b32 exec_lo, exec_lo, s7
	s_and_saveexec_b32 s7, s6
	s_cbranch_execnz .LBB63_1595
	s_branch .LBB63_1596
.LBB63_1615:
	s_mov_b32 s1, -1
.LBB63_1616:
                                        ; implicit-def: $vgpr10
.LBB63_1617:
	s_and_b32 vcc_lo, exec_lo, s6
	s_mov_b32 s6, 0
	s_cbranch_vccz .LBB63_1619
; %bb.1618:
	s_cmp_lg_u32 s0, 11
	s_mov_b32 s6, -1
	s_cselect_b32 s1, -1, 0
.LBB63_1619:
	s_delay_alu instid0(SALU_CYCLE_1)
	s_and_b32 vcc_lo, exec_lo, s1
	s_cbranch_vccnz .LBB63_2152
; %bb.1620:
	s_and_not1_b32 vcc_lo, exec_lo, s6
	s_cbranch_vccnz .LBB63_1622
.LBB63_1621:
	global_load_u8 v5, v[8:9], off
	s_mov_b32 s7, -1
	s_wait_loadcnt 0x0
	v_cmp_ne_u16_e32 vcc_lo, 0, v5
	v_cndmask_b32_e64 v5, 0, 1.0, vcc_lo
	s_wait_xcnt 0x1
	s_delay_alu instid0(VALU_DEP_1)
	v_lshrrev_b32_e32 v10, 16, v5
.LBB63_1622:
	s_mov_b32 s1, 0
.LBB63_1623:
	s_delay_alu instid0(SALU_CYCLE_1)
	s_and_b32 vcc_lo, exec_lo, s1
	s_cbranch_vccz .LBB63_1672
; %bb.1624:
	s_cmp_lt_i32 s0, 5
	s_cbranch_scc1 .LBB63_1629
; %bb.1625:
	s_cmp_lt_i32 s0, 8
	s_cbranch_scc1 .LBB63_1630
	;; [unrolled: 3-line block ×3, first 2 shown]
; %bb.1627:
	s_cmp_gt_i32 s0, 9
	s_cbranch_scc0 .LBB63_1632
; %bb.1628:
	s_wait_loadcnt 0x0
	global_load_b64 v[10:11], v[8:9], off
	s_mov_b32 s1, 0
	s_wait_loadcnt 0x0
	v_cvt_f32_f64_e32 v5, v[10:11]
	s_delay_alu instid0(VALU_DEP_1) | instskip(SKIP_1) | instid1(VALU_DEP_2)
	v_bfe_u32 v7, v5, 16, 1
	v_cmp_o_f32_e32 vcc_lo, v5, v5
	v_add3_u32 v7, v5, v7, 0x7fff
	s_delay_alu instid0(VALU_DEP_1) | instskip(NEXT) | instid1(VALU_DEP_1)
	v_lshrrev_b32_e32 v7, 16, v7
	v_cndmask_b32_e32 v10, 0x7fc0, v7, vcc_lo
	s_branch .LBB63_1633
.LBB63_1629:
	s_mov_b32 s1, -1
                                        ; implicit-def: $vgpr10
	s_branch .LBB63_1651
.LBB63_1630:
	s_mov_b32 s1, -1
                                        ; implicit-def: $vgpr10
	s_branch .LBB63_1639
.LBB63_1631:
	s_mov_b32 s1, -1
                                        ; implicit-def: $vgpr10
	s_branch .LBB63_1636
.LBB63_1632:
	s_mov_b32 s1, -1
                                        ; implicit-def: $vgpr10
.LBB63_1633:
	s_delay_alu instid0(SALU_CYCLE_1)
	s_and_not1_b32 vcc_lo, exec_lo, s1
	s_cbranch_vccnz .LBB63_1635
; %bb.1634:
	global_load_b32 v5, v[8:9], off
	s_wait_loadcnt 0x0
	v_bfe_u32 v7, v5, 16, 1
	v_cmp_o_f32_e32 vcc_lo, v5, v5
	s_delay_alu instid0(VALU_DEP_2) | instskip(NEXT) | instid1(VALU_DEP_1)
	v_add3_u32 v7, v5, v7, 0x7fff
	v_lshrrev_b32_e32 v7, 16, v7
	s_wait_xcnt 0x1
	s_delay_alu instid0(VALU_DEP_1)
	v_cndmask_b32_e32 v10, 0x7fc0, v7, vcc_lo
.LBB63_1635:
	s_mov_b32 s1, 0
.LBB63_1636:
	s_delay_alu instid0(SALU_CYCLE_1)
	s_and_not1_b32 vcc_lo, exec_lo, s1
	s_cbranch_vccnz .LBB63_1638
; %bb.1637:
	global_load_b32 v5, v[8:9], off
	s_wait_loadcnt 0x0
	v_cvt_f32_f16_e32 v7, v5
	v_cmp_o_f16_e32 vcc_lo, v5, v5
	s_wait_xcnt 0x1
	s_delay_alu instid0(VALU_DEP_2) | instskip(NEXT) | instid1(VALU_DEP_1)
	v_bfe_u32 v10, v7, 16, 1
	v_add3_u32 v7, v7, v10, 0x7fff
	s_delay_alu instid0(VALU_DEP_1) | instskip(NEXT) | instid1(VALU_DEP_1)
	v_lshrrev_b32_e32 v7, 16, v7
	v_cndmask_b32_e32 v10, 0x7fc0, v7, vcc_lo
.LBB63_1638:
	s_mov_b32 s1, 0
.LBB63_1639:
	s_delay_alu instid0(SALU_CYCLE_1)
	s_and_not1_b32 vcc_lo, exec_lo, s1
	s_cbranch_vccnz .LBB63_1650
; %bb.1640:
	s_cmp_lt_i32 s0, 6
	s_cbranch_scc1 .LBB63_1643
; %bb.1641:
	s_cmp_gt_i32 s0, 6
	s_cbranch_scc0 .LBB63_1644
; %bb.1642:
	s_wait_loadcnt 0x0
	global_load_b64 v[10:11], v[8:9], off
	s_mov_b32 s1, 0
	s_wait_loadcnt 0x0
	v_cvt_f32_f64_e32 v5, v[10:11]
	s_delay_alu instid0(VALU_DEP_1) | instskip(SKIP_1) | instid1(VALU_DEP_2)
	v_bfe_u32 v7, v5, 16, 1
	v_cmp_o_f32_e32 vcc_lo, v5, v5
	v_add3_u32 v7, v5, v7, 0x7fff
	s_delay_alu instid0(VALU_DEP_1) | instskip(NEXT) | instid1(VALU_DEP_1)
	v_lshrrev_b32_e32 v7, 16, v7
	v_cndmask_b32_e32 v10, 0x7fc0, v7, vcc_lo
	s_branch .LBB63_1645
.LBB63_1643:
	s_mov_b32 s1, -1
                                        ; implicit-def: $vgpr10
	s_branch .LBB63_1648
.LBB63_1644:
	s_mov_b32 s1, -1
                                        ; implicit-def: $vgpr10
.LBB63_1645:
	s_delay_alu instid0(SALU_CYCLE_1)
	s_and_not1_b32 vcc_lo, exec_lo, s1
	s_cbranch_vccnz .LBB63_1647
; %bb.1646:
	global_load_b32 v5, v[8:9], off
	s_wait_loadcnt 0x0
	v_bfe_u32 v7, v5, 16, 1
	v_cmp_o_f32_e32 vcc_lo, v5, v5
	s_delay_alu instid0(VALU_DEP_2) | instskip(NEXT) | instid1(VALU_DEP_1)
	v_add3_u32 v7, v5, v7, 0x7fff
	v_lshrrev_b32_e32 v7, 16, v7
	s_wait_xcnt 0x1
	s_delay_alu instid0(VALU_DEP_1)
	v_cndmask_b32_e32 v10, 0x7fc0, v7, vcc_lo
.LBB63_1647:
	s_mov_b32 s1, 0
.LBB63_1648:
	s_delay_alu instid0(SALU_CYCLE_1)
	s_and_not1_b32 vcc_lo, exec_lo, s1
	s_cbranch_vccnz .LBB63_1650
; %bb.1649:
	global_load_u16 v5, v[8:9], off
	s_wait_loadcnt 0x0
	v_cvt_f32_f16_e32 v7, v5
	v_cmp_o_f16_e32 vcc_lo, v5, v5
	s_wait_xcnt 0x1
	s_delay_alu instid0(VALU_DEP_2) | instskip(NEXT) | instid1(VALU_DEP_1)
	v_bfe_u32 v10, v7, 16, 1
	v_add3_u32 v7, v7, v10, 0x7fff
	s_delay_alu instid0(VALU_DEP_1) | instskip(NEXT) | instid1(VALU_DEP_1)
	v_lshrrev_b32_e32 v7, 16, v7
	v_cndmask_b32_e32 v10, 0x7fc0, v7, vcc_lo
.LBB63_1650:
	s_mov_b32 s1, 0
.LBB63_1651:
	s_delay_alu instid0(SALU_CYCLE_1)
	s_and_not1_b32 vcc_lo, exec_lo, s1
	s_cbranch_vccnz .LBB63_1671
; %bb.1652:
	s_cmp_lt_i32 s0, 2
	s_cbranch_scc1 .LBB63_1656
; %bb.1653:
	s_cmp_lt_i32 s0, 3
	s_cbranch_scc1 .LBB63_1657
; %bb.1654:
	s_cmp_gt_i32 s0, 3
	s_cbranch_scc0 .LBB63_1658
; %bb.1655:
	s_wait_loadcnt 0x0
	global_load_b64 v[10:11], v[8:9], off
	s_mov_b32 s1, 0
	s_wait_loadcnt 0x0
	v_xor_b32_e32 v5, v10, v11
	v_cls_i32_e32 v7, v11
	s_delay_alu instid0(VALU_DEP_2) | instskip(NEXT) | instid1(VALU_DEP_1)
	v_ashrrev_i32_e32 v5, 31, v5
	v_add_nc_u32_e32 v5, 32, v5
	s_delay_alu instid0(VALU_DEP_1) | instskip(NEXT) | instid1(VALU_DEP_1)
	v_add_min_u32_e64 v5, v7, -1, v5
	v_lshlrev_b64_e32 v[10:11], v5, v[10:11]
	v_sub_nc_u32_e32 v5, 32, v5
	s_delay_alu instid0(VALU_DEP_2) | instskip(NEXT) | instid1(VALU_DEP_1)
	v_min_u32_e32 v7, 1, v10
	v_or_b32_e32 v7, v11, v7
	s_delay_alu instid0(VALU_DEP_1) | instskip(NEXT) | instid1(VALU_DEP_1)
	v_cvt_f32_i32_e32 v7, v7
	v_ldexp_f32 v5, v7, v5
	s_delay_alu instid0(VALU_DEP_1) | instskip(NEXT) | instid1(VALU_DEP_1)
	v_bfe_u32 v7, v5, 16, 1
	v_add3_u32 v5, v5, v7, 0x7fff
	s_delay_alu instid0(VALU_DEP_1)
	v_lshrrev_b32_e32 v10, 16, v5
	s_branch .LBB63_1659
.LBB63_1656:
	s_mov_b32 s1, -1
                                        ; implicit-def: $vgpr10
	s_branch .LBB63_1665
.LBB63_1657:
	s_mov_b32 s1, -1
                                        ; implicit-def: $vgpr10
	s_branch .LBB63_1662
.LBB63_1658:
	s_mov_b32 s1, -1
                                        ; implicit-def: $vgpr10
.LBB63_1659:
	s_delay_alu instid0(SALU_CYCLE_1)
	s_and_not1_b32 vcc_lo, exec_lo, s1
	s_cbranch_vccnz .LBB63_1661
; %bb.1660:
	global_load_b32 v5, v[8:9], off
	s_wait_loadcnt 0x0
	v_cvt_f32_i32_e32 v5, v5
	s_delay_alu instid0(VALU_DEP_1) | instskip(NEXT) | instid1(VALU_DEP_1)
	v_bfe_u32 v7, v5, 16, 1
	v_add3_u32 v5, v5, v7, 0x7fff
	s_wait_xcnt 0x1
	s_delay_alu instid0(VALU_DEP_1)
	v_lshrrev_b32_e32 v10, 16, v5
.LBB63_1661:
	s_mov_b32 s1, 0
.LBB63_1662:
	s_delay_alu instid0(SALU_CYCLE_1)
	s_and_not1_b32 vcc_lo, exec_lo, s1
	s_cbranch_vccnz .LBB63_1664
; %bb.1663:
	global_load_i16 v5, v[8:9], off
	s_wait_loadcnt 0x0
	v_cvt_f32_i32_e32 v5, v5
	s_delay_alu instid0(VALU_DEP_1) | instskip(NEXT) | instid1(VALU_DEP_1)
	v_bfe_u32 v7, v5, 16, 1
	v_add3_u32 v5, v5, v7, 0x7fff
	s_wait_xcnt 0x1
	s_delay_alu instid0(VALU_DEP_1)
	v_lshrrev_b32_e32 v10, 16, v5
.LBB63_1664:
	s_mov_b32 s1, 0
.LBB63_1665:
	s_delay_alu instid0(SALU_CYCLE_1)
	s_and_not1_b32 vcc_lo, exec_lo, s1
	s_cbranch_vccnz .LBB63_1671
; %bb.1666:
	s_cmp_gt_i32 s0, 0
	s_mov_b32 s0, 0
	s_cbranch_scc0 .LBB63_1668
; %bb.1667:
	global_load_i8 v5, v[8:9], off
	s_wait_loadcnt 0x0
	v_cvt_f32_i32_e32 v5, v5
	s_delay_alu instid0(VALU_DEP_1) | instskip(NEXT) | instid1(VALU_DEP_1)
	v_bfe_u32 v7, v5, 16, 1
	v_add3_u32 v5, v5, v7, 0x7fff
	s_wait_xcnt 0x1
	s_delay_alu instid0(VALU_DEP_1)
	v_lshrrev_b32_e32 v10, 16, v5
	s_branch .LBB63_1669
.LBB63_1668:
	s_mov_b32 s0, -1
                                        ; implicit-def: $vgpr10
.LBB63_1669:
	s_delay_alu instid0(SALU_CYCLE_1)
	s_and_not1_b32 vcc_lo, exec_lo, s0
	s_cbranch_vccnz .LBB63_1671
; %bb.1670:
	global_load_u8 v5, v[8:9], off
	s_wait_loadcnt 0x0
	v_cvt_f32_ubyte0_e32 v5, v5
	s_delay_alu instid0(VALU_DEP_1) | instskip(NEXT) | instid1(VALU_DEP_1)
	v_bfe_u32 v7, v5, 16, 1
	v_add3_u32 v5, v5, v7, 0x7fff
	s_wait_xcnt 0x1
	s_delay_alu instid0(VALU_DEP_1)
	v_lshrrev_b32_e32 v10, 16, v5
.LBB63_1671:
	s_mov_b32 s7, -1
.LBB63_1672:
	s_delay_alu instid0(SALU_CYCLE_1)
	s_and_not1_b32 vcc_lo, exec_lo, s7
	s_cbranch_vccnz .LBB63_2106
; %bb.1673:
	s_wait_loadcnt 0x0
	v_dual_mov_b32 v7, 0 :: v_dual_lshlrev_b32 v1, 16, v1
	global_load_u8 v5, v7, s[2:3] offset:345
	s_wait_xcnt 0x0
	v_add_nc_u64_e32 v[6:7], s[4:5], v[6:7]
	v_cmp_eq_f32_e64 s0, 0x7f800000, v1
	s_wait_loadcnt 0x0
	v_and_b32_e32 v8, 0xffff, v5
	v_readfirstlane_b32 s6, v5
	s_delay_alu instid0(VALU_DEP_2)
	v_cmp_gt_i32_e32 vcc_lo, 11, v8
	s_cbranch_vccnz .LBB63_1751
; %bb.1674:
	s_and_b32 s2, 0xffff, s6
	s_mov_b32 s11, -1
	s_mov_b32 s3, 0
	s_cmp_gt_i32 s2, 25
	s_mov_b32 s7, 0
	s_mov_b32 s1, 0
	s_cbranch_scc0 .LBB63_1707
; %bb.1675:
	s_cmp_gt_i32 s2, 28
	s_cbranch_scc0 .LBB63_1690
; %bb.1676:
	s_cmp_gt_i32 s2, 43
	;; [unrolled: 3-line block ×3, first 2 shown]
	s_cbranch_scc0 .LBB63_1680
; %bb.1678:
	s_mov_b32 s1, -1
	s_mov_b32 s11, 0
	s_cmp_eq_u32 s2, 46
	s_cbranch_scc0 .LBB63_1680
; %bb.1679:
	v_cndmask_b32_e64 v1, 0, 1.0, s0
	s_mov_b32 s1, 0
	s_mov_b32 s7, -1
	s_delay_alu instid0(VALU_DEP_1) | instskip(NEXT) | instid1(VALU_DEP_1)
	v_bfe_u32 v5, v1, 16, 1
	v_add3_u32 v1, v1, v5, 0x7fff
	s_delay_alu instid0(VALU_DEP_1)
	v_lshrrev_b32_e32 v1, 16, v1
	global_store_b32 v[6:7], v1, off
.LBB63_1680:
	s_and_b32 vcc_lo, exec_lo, s11
	s_cbranch_vccz .LBB63_1685
; %bb.1681:
	s_cmp_eq_u32 s2, 44
	s_mov_b32 s1, -1
	s_cbranch_scc0 .LBB63_1685
; %bb.1682:
	v_cndmask_b32_e64 v8, 0, 1.0, s0
	v_mov_b32_e32 v5, 0xff
	s_mov_b32 s7, exec_lo
	s_wait_xcnt 0x0
	s_delay_alu instid0(VALU_DEP_2) | instskip(NEXT) | instid1(VALU_DEP_1)
	v_lshrrev_b32_e32 v1, 23, v8
	v_cmpx_ne_u32_e32 0xff, v1
; %bb.1683:
	v_and_b32_e32 v5, 0x400000, v8
	v_and_or_b32 v8, 0x3fffff, v8, v1
	s_delay_alu instid0(VALU_DEP_2) | instskip(NEXT) | instid1(VALU_DEP_2)
	v_cmp_ne_u32_e32 vcc_lo, 0, v5
	v_cmp_ne_u32_e64 s1, 0, v8
	s_and_b32 s1, vcc_lo, s1
	s_delay_alu instid0(SALU_CYCLE_1) | instskip(NEXT) | instid1(VALU_DEP_1)
	v_cndmask_b32_e64 v5, 0, 1, s1
	v_add_nc_u32_e32 v5, v1, v5
; %bb.1684:
	s_or_b32 exec_lo, exec_lo, s7
	s_mov_b32 s1, 0
	s_mov_b32 s7, -1
	global_store_b8 v[6:7], v5, off
.LBB63_1685:
	s_mov_b32 s11, 0
.LBB63_1686:
	s_delay_alu instid0(SALU_CYCLE_1)
	s_and_b32 vcc_lo, exec_lo, s11
	s_cbranch_vccz .LBB63_1689
; %bb.1687:
	s_cmp_eq_u32 s2, 29
	s_mov_b32 s1, -1
	s_cbranch_scc0 .LBB63_1689
; %bb.1688:
	s_mov_b32 s1, 0
	v_cndmask_b32_e64 v8, 0, 1, s0
	v_mov_b32_e32 v9, s1
	s_mov_b32 s7, -1
	global_store_b64 v[6:7], v[8:9], off
.LBB63_1689:
	s_mov_b32 s11, 0
.LBB63_1690:
	s_delay_alu instid0(SALU_CYCLE_1)
	s_and_b32 vcc_lo, exec_lo, s11
	s_cbranch_vccz .LBB63_1706
; %bb.1691:
	s_cmp_lt_i32 s2, 27
	s_mov_b32 s7, -1
	s_cbranch_scc1 .LBB63_1697
; %bb.1692:
	s_cmp_gt_i32 s2, 27
	s_cbranch_scc0 .LBB63_1694
; %bb.1693:
	s_wait_xcnt 0x0
	v_cndmask_b32_e64 v1, 0, 1, s0
	s_mov_b32 s7, 0
	global_store_b32 v[6:7], v1, off
.LBB63_1694:
	s_and_not1_b32 vcc_lo, exec_lo, s7
	s_cbranch_vccnz .LBB63_1696
; %bb.1695:
	s_wait_xcnt 0x0
	v_cndmask_b32_e64 v1, 0, 1, s0
	global_store_b16 v[6:7], v1, off
.LBB63_1696:
	s_mov_b32 s7, 0
.LBB63_1697:
	s_delay_alu instid0(SALU_CYCLE_1)
	s_and_not1_b32 vcc_lo, exec_lo, s7
	s_cbranch_vccnz .LBB63_1705
; %bb.1698:
	s_wait_xcnt 0x0
	v_cndmask_b32_e64 v5, 0, 1.0, s0
	v_mov_b32_e32 v8, 0x80
	s_mov_b32 s7, exec_lo
	s_delay_alu instid0(VALU_DEP_2)
	v_cmpx_gt_u32_e32 0x43800000, v5
	s_cbranch_execz .LBB63_1704
; %bb.1699:
	s_mov_b32 s11, 0
	s_mov_b32 s12, exec_lo
                                        ; implicit-def: $vgpr1
	v_cmpx_lt_u32_e32 0x3bffffff, v5
	s_xor_b32 s12, exec_lo, s12
	s_cbranch_execz .LBB63_2153
; %bb.1700:
	v_bfe_u32 v1, v5, 20, 1
	s_mov_b32 s11, exec_lo
	s_delay_alu instid0(VALU_DEP_1) | instskip(NEXT) | instid1(VALU_DEP_1)
	v_add3_u32 v1, v5, v1, 0x487ffff
                                        ; implicit-def: $vgpr5
	v_lshrrev_b32_e32 v1, 20, v1
	s_and_not1_saveexec_b32 s12, s12
	s_cbranch_execnz .LBB63_2154
.LBB63_1701:
	s_or_b32 exec_lo, exec_lo, s12
	v_mov_b32_e32 v8, 0
	s_and_saveexec_b32 s12, s11
.LBB63_1702:
	v_mov_b32_e32 v8, v1
.LBB63_1703:
	s_or_b32 exec_lo, exec_lo, s12
.LBB63_1704:
	s_delay_alu instid0(SALU_CYCLE_1)
	s_or_b32 exec_lo, exec_lo, s7
	global_store_b8 v[6:7], v8, off
.LBB63_1705:
	s_mov_b32 s7, -1
.LBB63_1706:
	s_mov_b32 s11, 0
.LBB63_1707:
	s_delay_alu instid0(SALU_CYCLE_1)
	s_and_b32 vcc_lo, exec_lo, s11
	s_cbranch_vccz .LBB63_1747
; %bb.1708:
	s_cmp_gt_i32 s2, 22
	s_mov_b32 s3, -1
	s_cbranch_scc0 .LBB63_1740
; %bb.1709:
	s_cmp_lt_i32 s2, 24
	s_cbranch_scc1 .LBB63_1729
; %bb.1710:
	s_cmp_gt_i32 s2, 24
	s_cbranch_scc0 .LBB63_1718
; %bb.1711:
	s_wait_xcnt 0x0
	v_cndmask_b32_e64 v5, 0, 1.0, s0
	v_mov_b32_e32 v8, 0x80
	s_mov_b32 s3, exec_lo
	s_delay_alu instid0(VALU_DEP_2)
	v_cmpx_gt_u32_e32 0x47800000, v5
	s_cbranch_execz .LBB63_1717
; %bb.1712:
	s_mov_b32 s7, 0
	s_mov_b32 s11, exec_lo
                                        ; implicit-def: $vgpr1
	v_cmpx_lt_u32_e32 0x37ffffff, v5
	s_xor_b32 s11, exec_lo, s11
	s_cbranch_execz .LBB63_2156
; %bb.1713:
	v_bfe_u32 v1, v5, 21, 1
	s_mov_b32 s7, exec_lo
	s_delay_alu instid0(VALU_DEP_1) | instskip(NEXT) | instid1(VALU_DEP_1)
	v_add3_u32 v1, v5, v1, 0x88fffff
                                        ; implicit-def: $vgpr5
	v_lshrrev_b32_e32 v1, 21, v1
	s_and_not1_saveexec_b32 s11, s11
	s_cbranch_execnz .LBB63_2157
.LBB63_1714:
	s_or_b32 exec_lo, exec_lo, s11
	v_mov_b32_e32 v8, 0
	s_and_saveexec_b32 s11, s7
.LBB63_1715:
	v_mov_b32_e32 v8, v1
.LBB63_1716:
	s_or_b32 exec_lo, exec_lo, s11
.LBB63_1717:
	s_delay_alu instid0(SALU_CYCLE_1)
	s_or_b32 exec_lo, exec_lo, s3
	s_mov_b32 s3, 0
	global_store_b8 v[6:7], v8, off
.LBB63_1718:
	s_and_b32 vcc_lo, exec_lo, s3
	s_cbranch_vccz .LBB63_1728
; %bb.1719:
	s_wait_xcnt 0x0
	v_cndmask_b32_e64 v5, 0, 1.0, s0
	s_mov_b32 s3, exec_lo
                                        ; implicit-def: $vgpr1
	s_delay_alu instid0(VALU_DEP_1)
	v_cmpx_gt_u32_e32 0x43f00000, v5
	s_xor_b32 s3, exec_lo, s3
	s_cbranch_execz .LBB63_1725
; %bb.1720:
	s_mov_b32 s7, exec_lo
                                        ; implicit-def: $vgpr1
	v_cmpx_lt_u32_e32 0x3c7fffff, v5
	s_xor_b32 s7, exec_lo, s7
; %bb.1721:
	v_bfe_u32 v1, v5, 20, 1
	s_delay_alu instid0(VALU_DEP_1) | instskip(NEXT) | instid1(VALU_DEP_1)
	v_add3_u32 v1, v5, v1, 0x407ffff
	v_and_b32_e32 v5, 0xff00000, v1
	v_lshrrev_b32_e32 v1, 20, v1
	s_delay_alu instid0(VALU_DEP_2) | instskip(NEXT) | instid1(VALU_DEP_2)
	v_cmp_ne_u32_e32 vcc_lo, 0x7f00000, v5
                                        ; implicit-def: $vgpr5
	v_cndmask_b32_e32 v1, 0x7e, v1, vcc_lo
; %bb.1722:
	s_and_not1_saveexec_b32 s7, s7
; %bb.1723:
	v_add_f32_e32 v1, 0x46800000, v5
; %bb.1724:
	s_or_b32 exec_lo, exec_lo, s7
                                        ; implicit-def: $vgpr5
.LBB63_1725:
	s_and_not1_saveexec_b32 s3, s3
; %bb.1726:
	v_mov_b32_e32 v1, 0x7f
	v_cmp_lt_u32_e32 vcc_lo, 0x7f800000, v5
	s_delay_alu instid0(VALU_DEP_2)
	v_cndmask_b32_e32 v1, 0x7e, v1, vcc_lo
; %bb.1727:
	s_or_b32 exec_lo, exec_lo, s3
	global_store_b8 v[6:7], v1, off
.LBB63_1728:
	s_mov_b32 s3, 0
.LBB63_1729:
	s_delay_alu instid0(SALU_CYCLE_1)
	s_and_not1_b32 vcc_lo, exec_lo, s3
	s_cbranch_vccnz .LBB63_1739
; %bb.1730:
	s_wait_xcnt 0x0
	v_cndmask_b32_e64 v5, 0, 1.0, s0
	s_mov_b32 s3, exec_lo
                                        ; implicit-def: $vgpr1
	s_delay_alu instid0(VALU_DEP_1)
	v_cmpx_gt_u32_e32 0x47800000, v5
	s_xor_b32 s3, exec_lo, s3
	s_cbranch_execz .LBB63_1736
; %bb.1731:
	s_mov_b32 s7, exec_lo
                                        ; implicit-def: $vgpr1
	v_cmpx_lt_u32_e32 0x387fffff, v5
	s_xor_b32 s7, exec_lo, s7
; %bb.1732:
	v_bfe_u32 v1, v5, 21, 1
	s_delay_alu instid0(VALU_DEP_1) | instskip(NEXT) | instid1(VALU_DEP_1)
	v_add3_u32 v1, v5, v1, 0x80fffff
                                        ; implicit-def: $vgpr5
	v_lshrrev_b32_e32 v1, 21, v1
; %bb.1733:
	s_and_not1_saveexec_b32 s7, s7
; %bb.1734:
	v_add_f32_e32 v1, 0x43000000, v5
; %bb.1735:
	s_or_b32 exec_lo, exec_lo, s7
                                        ; implicit-def: $vgpr5
.LBB63_1736:
	s_and_not1_saveexec_b32 s3, s3
; %bb.1737:
	v_mov_b32_e32 v1, 0x7f
	v_cmp_lt_u32_e32 vcc_lo, 0x7f800000, v5
	s_delay_alu instid0(VALU_DEP_2)
	v_cndmask_b32_e32 v1, 0x7c, v1, vcc_lo
; %bb.1738:
	s_or_b32 exec_lo, exec_lo, s3
	global_store_b8 v[6:7], v1, off
.LBB63_1739:
	s_mov_b32 s3, 0
	s_mov_b32 s7, -1
.LBB63_1740:
	s_and_not1_b32 vcc_lo, exec_lo, s3
	s_mov_b32 s3, 0
	s_cbranch_vccnz .LBB63_1747
; %bb.1741:
	s_cmp_gt_i32 s2, 14
	s_mov_b32 s3, -1
	s_cbranch_scc0 .LBB63_1745
; %bb.1742:
	s_cmp_eq_u32 s2, 15
	s_mov_b32 s1, -1
	s_cbranch_scc0 .LBB63_1744
; %bb.1743:
	s_wait_xcnt 0x0
	v_cndmask_b32_e64 v1, 0, 1.0, s0
	s_mov_b32 s1, 0
	s_mov_b32 s7, -1
	s_delay_alu instid0(VALU_DEP_1) | instskip(NEXT) | instid1(VALU_DEP_1)
	v_bfe_u32 v5, v1, 16, 1
	v_add3_u32 v1, v1, v5, 0x7fff
	global_store_d16_hi_b16 v[6:7], v1, off
.LBB63_1744:
	s_mov_b32 s3, 0
.LBB63_1745:
	s_delay_alu instid0(SALU_CYCLE_1)
	s_and_b32 vcc_lo, exec_lo, s3
	s_mov_b32 s3, 0
	s_cbranch_vccz .LBB63_1747
; %bb.1746:
	s_cmp_lg_u32 s2, 11
	s_mov_b32 s3, -1
	s_cselect_b32 s1, -1, 0
.LBB63_1747:
	s_delay_alu instid0(SALU_CYCLE_1)
	s_and_b32 vcc_lo, exec_lo, s1
	s_cbranch_vccnz .LBB63_2155
; %bb.1748:
	s_and_not1_b32 vcc_lo, exec_lo, s3
	s_cbranch_vccnz .LBB63_1750
.LBB63_1749:
	s_wait_xcnt 0x0
	v_cndmask_b32_e64 v1, 0, 1, s0
	s_mov_b32 s7, -1
	global_store_b8 v[6:7], v1, off
.LBB63_1750:
	s_mov_b32 s1, 0
	s_branch .LBB63_1752
.LBB63_1751:
	s_mov_b32 s1, -1
	s_mov_b32 s7, 0
.LBB63_1752:
	s_and_b32 vcc_lo, exec_lo, s1
	s_cbranch_vccz .LBB63_1791
; %bb.1753:
	s_and_b32 s1, 0xffff, s6
	s_mov_b32 s2, -1
	s_cmp_lt_i32 s1, 5
	s_cbranch_scc1 .LBB63_1774
; %bb.1754:
	s_cmp_lt_i32 s1, 8
	s_cbranch_scc1 .LBB63_1764
; %bb.1755:
	;; [unrolled: 3-line block ×3, first 2 shown]
	s_cmp_gt_i32 s1, 9
	s_cbranch_scc0 .LBB63_1758
; %bb.1757:
	s_wait_xcnt 0x0
	v_cndmask_b32_e64 v1, 0, 1, s0
	v_mov_b32_e32 v16, 0
	s_mov_b32 s2, 0
	s_delay_alu instid0(VALU_DEP_2) | instskip(NEXT) | instid1(VALU_DEP_2)
	v_cvt_f64_u32_e32 v[14:15], v1
	v_mov_b32_e32 v17, v16
	global_store_b128 v[6:7], v[14:17], off
.LBB63_1758:
	s_and_not1_b32 vcc_lo, exec_lo, s2
	s_cbranch_vccnz .LBB63_1760
; %bb.1759:
	s_wait_xcnt 0x0
	v_cndmask_b32_e64 v8, 0, 1.0, s0
	v_mov_b32_e32 v9, 0
	global_store_b64 v[6:7], v[8:9], off
.LBB63_1760:
	s_mov_b32 s2, 0
.LBB63_1761:
	s_delay_alu instid0(SALU_CYCLE_1)
	s_and_not1_b32 vcc_lo, exec_lo, s2
	s_cbranch_vccnz .LBB63_1763
; %bb.1762:
	s_wait_xcnt 0x0
	v_cndmask_b32_e64 v1, 0, 1.0, s0
	s_delay_alu instid0(VALU_DEP_1) | instskip(NEXT) | instid1(VALU_DEP_1)
	v_cvt_f16_f32_e32 v1, v1
	v_and_b32_e32 v1, 0xffff, v1
	global_store_b32 v[6:7], v1, off
.LBB63_1763:
	s_mov_b32 s2, 0
.LBB63_1764:
	s_delay_alu instid0(SALU_CYCLE_1)
	s_and_not1_b32 vcc_lo, exec_lo, s2
	s_cbranch_vccnz .LBB63_1773
; %bb.1765:
	s_cmp_lt_i32 s1, 6
	s_mov_b32 s2, -1
	s_cbranch_scc1 .LBB63_1771
; %bb.1766:
	s_cmp_gt_i32 s1, 6
	s_cbranch_scc0 .LBB63_1768
; %bb.1767:
	s_wait_xcnt 0x0
	v_cndmask_b32_e64 v1, 0, 1, s0
	s_mov_b32 s2, 0
	s_delay_alu instid0(VALU_DEP_1)
	v_cvt_f64_u32_e32 v[8:9], v1
	global_store_b64 v[6:7], v[8:9], off
.LBB63_1768:
	s_and_not1_b32 vcc_lo, exec_lo, s2
	s_cbranch_vccnz .LBB63_1770
; %bb.1769:
	s_wait_xcnt 0x0
	v_cndmask_b32_e64 v1, 0, 1.0, s0
	global_store_b32 v[6:7], v1, off
.LBB63_1770:
	s_mov_b32 s2, 0
.LBB63_1771:
	s_delay_alu instid0(SALU_CYCLE_1)
	s_and_not1_b32 vcc_lo, exec_lo, s2
	s_cbranch_vccnz .LBB63_1773
; %bb.1772:
	s_wait_xcnt 0x0
	v_cndmask_b32_e64 v1, 0, 1.0, s0
	s_delay_alu instid0(VALU_DEP_1)
	v_cvt_f16_f32_e32 v1, v1
	global_store_b16 v[6:7], v1, off
.LBB63_1773:
	s_mov_b32 s2, 0
.LBB63_1774:
	s_delay_alu instid0(SALU_CYCLE_1)
	s_and_not1_b32 vcc_lo, exec_lo, s2
	s_cbranch_vccnz .LBB63_1790
; %bb.1775:
	s_cmp_lt_i32 s1, 2
	s_mov_b32 s2, -1
	s_cbranch_scc1 .LBB63_1785
; %bb.1776:
	s_cmp_lt_i32 s1, 3
	s_cbranch_scc1 .LBB63_1782
; %bb.1777:
	s_cmp_gt_i32 s1, 3
	s_cbranch_scc0 .LBB63_1779
; %bb.1778:
	s_mov_b32 s2, 0
	s_wait_xcnt 0x0
	v_cndmask_b32_e64 v8, 0, 1, s0
	v_mov_b32_e32 v9, s2
	global_store_b64 v[6:7], v[8:9], off
.LBB63_1779:
	s_and_not1_b32 vcc_lo, exec_lo, s2
	s_cbranch_vccnz .LBB63_1781
; %bb.1780:
	s_wait_xcnt 0x0
	v_cndmask_b32_e64 v1, 0, 1, s0
	global_store_b32 v[6:7], v1, off
.LBB63_1781:
	s_mov_b32 s2, 0
.LBB63_1782:
	s_delay_alu instid0(SALU_CYCLE_1)
	s_and_not1_b32 vcc_lo, exec_lo, s2
	s_cbranch_vccnz .LBB63_1784
; %bb.1783:
	s_wait_xcnt 0x0
	v_cndmask_b32_e64 v1, 0, 1, s0
	global_store_b16 v[6:7], v1, off
.LBB63_1784:
	s_mov_b32 s2, 0
.LBB63_1785:
	s_delay_alu instid0(SALU_CYCLE_1)
	s_and_not1_b32 vcc_lo, exec_lo, s2
	s_cbranch_vccnz .LBB63_1790
; %bb.1786:
	s_wait_xcnt 0x0
	v_cndmask_b32_e64 v1, 0, 1, s0
	s_cmp_gt_i32 s1, 0
	s_mov_b32 s0, -1
	s_cbranch_scc0 .LBB63_1788
; %bb.1787:
	s_mov_b32 s0, 0
	global_store_b8 v[6:7], v1, off
.LBB63_1788:
	s_and_not1_b32 vcc_lo, exec_lo, s0
	s_cbranch_vccnz .LBB63_1790
; %bb.1789:
	global_store_b8 v[6:7], v1, off
.LBB63_1790:
	s_mov_b32 s7, -1
.LBB63_1791:
	s_delay_alu instid0(SALU_CYCLE_1)
	s_and_not1_b32 vcc_lo, exec_lo, s7
	s_cbranch_vccnz .LBB63_2106
; %bb.1792:
	s_wait_xcnt 0x0
	v_dual_mov_b32 v5, 0 :: v_dual_lshlrev_b32 v1, 16, v3
	s_and_b32 s2, 0xffff, s6
	s_delay_alu instid0(SALU_CYCLE_1) | instskip(NEXT) | instid1(VALU_DEP_1)
	s_cmp_lt_i32 s2, 11
	v_add_nc_u64_e32 v[4:5], s[4:5], v[4:5]
	s_delay_alu instid0(VALU_DEP_2)
	v_cmp_eq_f32_e64 s0, 0x7f800000, v1
	s_cbranch_scc1 .LBB63_1870
; %bb.1793:
	s_mov_b32 s11, -1
	s_mov_b32 s3, 0
	s_cmp_gt_i32 s2, 25
	s_mov_b32 s7, 0
	s_mov_b32 s1, 0
	s_cbranch_scc0 .LBB63_1826
; %bb.1794:
	s_cmp_gt_i32 s2, 28
	s_cbranch_scc0 .LBB63_1809
; %bb.1795:
	s_cmp_gt_i32 s2, 43
	;; [unrolled: 3-line block ×3, first 2 shown]
	s_cbranch_scc0 .LBB63_1799
; %bb.1797:
	s_mov_b32 s1, -1
	s_mov_b32 s11, 0
	s_cmp_eq_u32 s2, 46
	s_cbranch_scc0 .LBB63_1799
; %bb.1798:
	v_cndmask_b32_e64 v1, 0, 1.0, s0
	s_mov_b32 s1, 0
	s_mov_b32 s7, -1
	s_delay_alu instid0(VALU_DEP_1) | instskip(NEXT) | instid1(VALU_DEP_1)
	v_bfe_u32 v3, v1, 16, 1
	v_add3_u32 v1, v1, v3, 0x7fff
	s_delay_alu instid0(VALU_DEP_1)
	v_lshrrev_b32_e32 v1, 16, v1
	global_store_b32 v[4:5], v1, off
.LBB63_1799:
	s_and_b32 vcc_lo, exec_lo, s11
	s_cbranch_vccz .LBB63_1804
; %bb.1800:
	s_cmp_eq_u32 s2, 44
	s_mov_b32 s1, -1
	s_cbranch_scc0 .LBB63_1804
; %bb.1801:
	v_cndmask_b32_e64 v6, 0, 1.0, s0
	v_mov_b32_e32 v3, 0xff
	s_mov_b32 s7, exec_lo
	s_wait_xcnt 0x0
	s_delay_alu instid0(VALU_DEP_2) | instskip(NEXT) | instid1(VALU_DEP_1)
	v_lshrrev_b32_e32 v1, 23, v6
	v_cmpx_ne_u32_e32 0xff, v1
; %bb.1802:
	v_and_b32_e32 v3, 0x400000, v6
	v_and_or_b32 v6, 0x3fffff, v6, v1
	s_delay_alu instid0(VALU_DEP_2) | instskip(NEXT) | instid1(VALU_DEP_2)
	v_cmp_ne_u32_e32 vcc_lo, 0, v3
	v_cmp_ne_u32_e64 s1, 0, v6
	s_and_b32 s1, vcc_lo, s1
	s_delay_alu instid0(SALU_CYCLE_1) | instskip(NEXT) | instid1(VALU_DEP_1)
	v_cndmask_b32_e64 v3, 0, 1, s1
	v_add_nc_u32_e32 v3, v1, v3
; %bb.1803:
	s_or_b32 exec_lo, exec_lo, s7
	s_mov_b32 s1, 0
	s_mov_b32 s7, -1
	global_store_b8 v[4:5], v3, off
.LBB63_1804:
	s_mov_b32 s11, 0
.LBB63_1805:
	s_delay_alu instid0(SALU_CYCLE_1)
	s_and_b32 vcc_lo, exec_lo, s11
	s_cbranch_vccz .LBB63_1808
; %bb.1806:
	s_cmp_eq_u32 s2, 29
	s_mov_b32 s1, -1
	s_cbranch_scc0 .LBB63_1808
; %bb.1807:
	s_mov_b32 s1, 0
	v_cndmask_b32_e64 v6, 0, 1, s0
	v_mov_b32_e32 v7, s1
	s_mov_b32 s7, -1
	global_store_b64 v[4:5], v[6:7], off
.LBB63_1808:
	s_mov_b32 s11, 0
.LBB63_1809:
	s_delay_alu instid0(SALU_CYCLE_1)
	s_and_b32 vcc_lo, exec_lo, s11
	s_cbranch_vccz .LBB63_1825
; %bb.1810:
	s_cmp_lt_i32 s2, 27
	s_mov_b32 s7, -1
	s_cbranch_scc1 .LBB63_1816
; %bb.1811:
	s_cmp_gt_i32 s2, 27
	s_cbranch_scc0 .LBB63_1813
; %bb.1812:
	s_wait_xcnt 0x0
	v_cndmask_b32_e64 v1, 0, 1, s0
	s_mov_b32 s7, 0
	global_store_b32 v[4:5], v1, off
.LBB63_1813:
	s_and_not1_b32 vcc_lo, exec_lo, s7
	s_cbranch_vccnz .LBB63_1815
; %bb.1814:
	s_wait_xcnt 0x0
	v_cndmask_b32_e64 v1, 0, 1, s0
	global_store_b16 v[4:5], v1, off
.LBB63_1815:
	s_mov_b32 s7, 0
.LBB63_1816:
	s_delay_alu instid0(SALU_CYCLE_1)
	s_and_not1_b32 vcc_lo, exec_lo, s7
	s_cbranch_vccnz .LBB63_1824
; %bb.1817:
	s_wait_xcnt 0x0
	v_cndmask_b32_e64 v3, 0, 1.0, s0
	v_mov_b32_e32 v6, 0x80
	s_mov_b32 s7, exec_lo
	s_delay_alu instid0(VALU_DEP_2)
	v_cmpx_gt_u32_e32 0x43800000, v3
	s_cbranch_execz .LBB63_1823
; %bb.1818:
	s_mov_b32 s11, 0
	s_mov_b32 s12, exec_lo
                                        ; implicit-def: $vgpr1
	v_cmpx_lt_u32_e32 0x3bffffff, v3
	s_xor_b32 s12, exec_lo, s12
	s_cbranch_execz .LBB63_2158
; %bb.1819:
	v_bfe_u32 v1, v3, 20, 1
	s_mov_b32 s11, exec_lo
	s_delay_alu instid0(VALU_DEP_1) | instskip(NEXT) | instid1(VALU_DEP_1)
	v_add3_u32 v1, v3, v1, 0x487ffff
                                        ; implicit-def: $vgpr3
	v_lshrrev_b32_e32 v1, 20, v1
	s_and_not1_saveexec_b32 s12, s12
	s_cbranch_execnz .LBB63_2159
.LBB63_1820:
	s_or_b32 exec_lo, exec_lo, s12
	v_mov_b32_e32 v6, 0
	s_and_saveexec_b32 s12, s11
.LBB63_1821:
	v_mov_b32_e32 v6, v1
.LBB63_1822:
	s_or_b32 exec_lo, exec_lo, s12
.LBB63_1823:
	s_delay_alu instid0(SALU_CYCLE_1)
	s_or_b32 exec_lo, exec_lo, s7
	global_store_b8 v[4:5], v6, off
.LBB63_1824:
	s_mov_b32 s7, -1
.LBB63_1825:
	s_mov_b32 s11, 0
.LBB63_1826:
	s_delay_alu instid0(SALU_CYCLE_1)
	s_and_b32 vcc_lo, exec_lo, s11
	s_cbranch_vccz .LBB63_1866
; %bb.1827:
	s_cmp_gt_i32 s2, 22
	s_mov_b32 s3, -1
	s_cbranch_scc0 .LBB63_1859
; %bb.1828:
	s_cmp_lt_i32 s2, 24
	s_cbranch_scc1 .LBB63_1848
; %bb.1829:
	s_cmp_gt_i32 s2, 24
	s_cbranch_scc0 .LBB63_1837
; %bb.1830:
	s_wait_xcnt 0x0
	v_cndmask_b32_e64 v3, 0, 1.0, s0
	v_mov_b32_e32 v6, 0x80
	s_mov_b32 s3, exec_lo
	s_delay_alu instid0(VALU_DEP_2)
	v_cmpx_gt_u32_e32 0x47800000, v3
	s_cbranch_execz .LBB63_1836
; %bb.1831:
	s_mov_b32 s7, 0
	s_mov_b32 s11, exec_lo
                                        ; implicit-def: $vgpr1
	v_cmpx_lt_u32_e32 0x37ffffff, v3
	s_xor_b32 s11, exec_lo, s11
	s_cbranch_execz .LBB63_2161
; %bb.1832:
	v_bfe_u32 v1, v3, 21, 1
	s_mov_b32 s7, exec_lo
	s_delay_alu instid0(VALU_DEP_1) | instskip(NEXT) | instid1(VALU_DEP_1)
	v_add3_u32 v1, v3, v1, 0x88fffff
                                        ; implicit-def: $vgpr3
	v_lshrrev_b32_e32 v1, 21, v1
	s_and_not1_saveexec_b32 s11, s11
	s_cbranch_execnz .LBB63_2162
.LBB63_1833:
	s_or_b32 exec_lo, exec_lo, s11
	v_mov_b32_e32 v6, 0
	s_and_saveexec_b32 s11, s7
.LBB63_1834:
	v_mov_b32_e32 v6, v1
.LBB63_1835:
	s_or_b32 exec_lo, exec_lo, s11
.LBB63_1836:
	s_delay_alu instid0(SALU_CYCLE_1)
	s_or_b32 exec_lo, exec_lo, s3
	s_mov_b32 s3, 0
	global_store_b8 v[4:5], v6, off
.LBB63_1837:
	s_and_b32 vcc_lo, exec_lo, s3
	s_cbranch_vccz .LBB63_1847
; %bb.1838:
	s_wait_xcnt 0x0
	v_cndmask_b32_e64 v3, 0, 1.0, s0
	s_mov_b32 s3, exec_lo
                                        ; implicit-def: $vgpr1
	s_delay_alu instid0(VALU_DEP_1)
	v_cmpx_gt_u32_e32 0x43f00000, v3
	s_xor_b32 s3, exec_lo, s3
	s_cbranch_execz .LBB63_1844
; %bb.1839:
	s_mov_b32 s7, exec_lo
                                        ; implicit-def: $vgpr1
	v_cmpx_lt_u32_e32 0x3c7fffff, v3
	s_xor_b32 s7, exec_lo, s7
; %bb.1840:
	v_bfe_u32 v1, v3, 20, 1
	s_delay_alu instid0(VALU_DEP_1) | instskip(NEXT) | instid1(VALU_DEP_1)
	v_add3_u32 v1, v3, v1, 0x407ffff
	v_and_b32_e32 v3, 0xff00000, v1
	v_lshrrev_b32_e32 v1, 20, v1
	s_delay_alu instid0(VALU_DEP_2) | instskip(NEXT) | instid1(VALU_DEP_2)
	v_cmp_ne_u32_e32 vcc_lo, 0x7f00000, v3
                                        ; implicit-def: $vgpr3
	v_cndmask_b32_e32 v1, 0x7e, v1, vcc_lo
; %bb.1841:
	s_and_not1_saveexec_b32 s7, s7
; %bb.1842:
	v_add_f32_e32 v1, 0x46800000, v3
; %bb.1843:
	s_or_b32 exec_lo, exec_lo, s7
                                        ; implicit-def: $vgpr3
.LBB63_1844:
	s_and_not1_saveexec_b32 s3, s3
; %bb.1845:
	v_mov_b32_e32 v1, 0x7f
	v_cmp_lt_u32_e32 vcc_lo, 0x7f800000, v3
	s_delay_alu instid0(VALU_DEP_2)
	v_cndmask_b32_e32 v1, 0x7e, v1, vcc_lo
; %bb.1846:
	s_or_b32 exec_lo, exec_lo, s3
	global_store_b8 v[4:5], v1, off
.LBB63_1847:
	s_mov_b32 s3, 0
.LBB63_1848:
	s_delay_alu instid0(SALU_CYCLE_1)
	s_and_not1_b32 vcc_lo, exec_lo, s3
	s_cbranch_vccnz .LBB63_1858
; %bb.1849:
	s_wait_xcnt 0x0
	v_cndmask_b32_e64 v3, 0, 1.0, s0
	s_mov_b32 s3, exec_lo
                                        ; implicit-def: $vgpr1
	s_delay_alu instid0(VALU_DEP_1)
	v_cmpx_gt_u32_e32 0x47800000, v3
	s_xor_b32 s3, exec_lo, s3
	s_cbranch_execz .LBB63_1855
; %bb.1850:
	s_mov_b32 s7, exec_lo
                                        ; implicit-def: $vgpr1
	v_cmpx_lt_u32_e32 0x387fffff, v3
	s_xor_b32 s7, exec_lo, s7
; %bb.1851:
	v_bfe_u32 v1, v3, 21, 1
	s_delay_alu instid0(VALU_DEP_1) | instskip(NEXT) | instid1(VALU_DEP_1)
	v_add3_u32 v1, v3, v1, 0x80fffff
                                        ; implicit-def: $vgpr3
	v_lshrrev_b32_e32 v1, 21, v1
; %bb.1852:
	s_and_not1_saveexec_b32 s7, s7
; %bb.1853:
	v_add_f32_e32 v1, 0x43000000, v3
; %bb.1854:
	s_or_b32 exec_lo, exec_lo, s7
                                        ; implicit-def: $vgpr3
.LBB63_1855:
	s_and_not1_saveexec_b32 s3, s3
; %bb.1856:
	v_mov_b32_e32 v1, 0x7f
	v_cmp_lt_u32_e32 vcc_lo, 0x7f800000, v3
	s_delay_alu instid0(VALU_DEP_2)
	v_cndmask_b32_e32 v1, 0x7c, v1, vcc_lo
; %bb.1857:
	s_or_b32 exec_lo, exec_lo, s3
	global_store_b8 v[4:5], v1, off
.LBB63_1858:
	s_mov_b32 s3, 0
	s_mov_b32 s7, -1
.LBB63_1859:
	s_and_not1_b32 vcc_lo, exec_lo, s3
	s_mov_b32 s3, 0
	s_cbranch_vccnz .LBB63_1866
; %bb.1860:
	s_cmp_gt_i32 s2, 14
	s_mov_b32 s3, -1
	s_cbranch_scc0 .LBB63_1864
; %bb.1861:
	s_cmp_eq_u32 s2, 15
	s_mov_b32 s1, -1
	s_cbranch_scc0 .LBB63_1863
; %bb.1862:
	s_wait_xcnt 0x0
	v_cndmask_b32_e64 v1, 0, 1.0, s0
	s_mov_b32 s1, 0
	s_mov_b32 s7, -1
	s_delay_alu instid0(VALU_DEP_1) | instskip(NEXT) | instid1(VALU_DEP_1)
	v_bfe_u32 v3, v1, 16, 1
	v_add3_u32 v1, v1, v3, 0x7fff
	global_store_d16_hi_b16 v[4:5], v1, off
.LBB63_1863:
	s_mov_b32 s3, 0
.LBB63_1864:
	s_delay_alu instid0(SALU_CYCLE_1)
	s_and_b32 vcc_lo, exec_lo, s3
	s_mov_b32 s3, 0
	s_cbranch_vccz .LBB63_1866
; %bb.1865:
	s_cmp_lg_u32 s2, 11
	s_mov_b32 s3, -1
	s_cselect_b32 s1, -1, 0
.LBB63_1866:
	s_delay_alu instid0(SALU_CYCLE_1)
	s_and_b32 vcc_lo, exec_lo, s1
	s_cbranch_vccnz .LBB63_2160
; %bb.1867:
	s_and_not1_b32 vcc_lo, exec_lo, s3
	s_cbranch_vccnz .LBB63_1869
.LBB63_1868:
	s_wait_xcnt 0x0
	v_cndmask_b32_e64 v1, 0, 1, s0
	s_mov_b32 s7, -1
	global_store_b8 v[4:5], v1, off
.LBB63_1869:
	s_mov_b32 s1, 0
	s_branch .LBB63_1871
.LBB63_1870:
	s_mov_b32 s1, -1
	s_mov_b32 s7, 0
.LBB63_1871:
	s_and_b32 vcc_lo, exec_lo, s1
	s_cbranch_vccz .LBB63_1910
; %bb.1872:
	s_cmp_lt_i32 s2, 5
	s_mov_b32 s1, -1
	s_cbranch_scc1 .LBB63_1893
; %bb.1873:
	s_cmp_lt_i32 s2, 8
	s_cbranch_scc1 .LBB63_1883
; %bb.1874:
	s_cmp_lt_i32 s2, 9
	s_cbranch_scc1 .LBB63_1880
; %bb.1875:
	s_cmp_gt_i32 s2, 9
	s_cbranch_scc0 .LBB63_1877
; %bb.1876:
	s_wait_xcnt 0x0
	v_cndmask_b32_e64 v1, 0, 1, s0
	v_mov_b32_e32 v8, 0
	s_mov_b32 s1, 0
	s_delay_alu instid0(VALU_DEP_2) | instskip(NEXT) | instid1(VALU_DEP_2)
	v_cvt_f64_u32_e32 v[6:7], v1
	v_mov_b32_e32 v9, v8
	global_store_b128 v[4:5], v[6:9], off
.LBB63_1877:
	s_and_not1_b32 vcc_lo, exec_lo, s1
	s_cbranch_vccnz .LBB63_1879
; %bb.1878:
	s_wait_xcnt 0x0
	v_cndmask_b32_e64 v6, 0, 1.0, s0
	v_mov_b32_e32 v7, 0
	global_store_b64 v[4:5], v[6:7], off
.LBB63_1879:
	s_mov_b32 s1, 0
.LBB63_1880:
	s_delay_alu instid0(SALU_CYCLE_1)
	s_and_not1_b32 vcc_lo, exec_lo, s1
	s_cbranch_vccnz .LBB63_1882
; %bb.1881:
	s_wait_xcnt 0x0
	v_cndmask_b32_e64 v1, 0, 1.0, s0
	s_delay_alu instid0(VALU_DEP_1) | instskip(NEXT) | instid1(VALU_DEP_1)
	v_cvt_f16_f32_e32 v1, v1
	v_and_b32_e32 v1, 0xffff, v1
	global_store_b32 v[4:5], v1, off
.LBB63_1882:
	s_mov_b32 s1, 0
.LBB63_1883:
	s_delay_alu instid0(SALU_CYCLE_1)
	s_and_not1_b32 vcc_lo, exec_lo, s1
	s_cbranch_vccnz .LBB63_1892
; %bb.1884:
	s_cmp_lt_i32 s2, 6
	s_mov_b32 s1, -1
	s_cbranch_scc1 .LBB63_1890
; %bb.1885:
	s_cmp_gt_i32 s2, 6
	s_cbranch_scc0 .LBB63_1887
; %bb.1886:
	s_wait_xcnt 0x0
	v_cndmask_b32_e64 v1, 0, 1, s0
	s_mov_b32 s1, 0
	s_delay_alu instid0(VALU_DEP_1)
	v_cvt_f64_u32_e32 v[6:7], v1
	global_store_b64 v[4:5], v[6:7], off
.LBB63_1887:
	s_and_not1_b32 vcc_lo, exec_lo, s1
	s_cbranch_vccnz .LBB63_1889
; %bb.1888:
	s_wait_xcnt 0x0
	v_cndmask_b32_e64 v1, 0, 1.0, s0
	global_store_b32 v[4:5], v1, off
.LBB63_1889:
	s_mov_b32 s1, 0
.LBB63_1890:
	s_delay_alu instid0(SALU_CYCLE_1)
	s_and_not1_b32 vcc_lo, exec_lo, s1
	s_cbranch_vccnz .LBB63_1892
; %bb.1891:
	s_wait_xcnt 0x0
	v_cndmask_b32_e64 v1, 0, 1.0, s0
	s_delay_alu instid0(VALU_DEP_1)
	v_cvt_f16_f32_e32 v1, v1
	global_store_b16 v[4:5], v1, off
.LBB63_1892:
	s_mov_b32 s1, 0
.LBB63_1893:
	s_delay_alu instid0(SALU_CYCLE_1)
	s_and_not1_b32 vcc_lo, exec_lo, s1
	s_cbranch_vccnz .LBB63_1909
; %bb.1894:
	s_cmp_lt_i32 s2, 2
	s_mov_b32 s1, -1
	s_cbranch_scc1 .LBB63_1904
; %bb.1895:
	s_cmp_lt_i32 s2, 3
	s_cbranch_scc1 .LBB63_1901
; %bb.1896:
	s_cmp_gt_i32 s2, 3
	s_cbranch_scc0 .LBB63_1898
; %bb.1897:
	s_mov_b32 s1, 0
	s_wait_xcnt 0x0
	v_cndmask_b32_e64 v6, 0, 1, s0
	v_mov_b32_e32 v7, s1
	global_store_b64 v[4:5], v[6:7], off
.LBB63_1898:
	s_and_not1_b32 vcc_lo, exec_lo, s1
	s_cbranch_vccnz .LBB63_1900
; %bb.1899:
	s_wait_xcnt 0x0
	v_cndmask_b32_e64 v1, 0, 1, s0
	global_store_b32 v[4:5], v1, off
.LBB63_1900:
	s_mov_b32 s1, 0
.LBB63_1901:
	s_delay_alu instid0(SALU_CYCLE_1)
	s_and_not1_b32 vcc_lo, exec_lo, s1
	s_cbranch_vccnz .LBB63_1903
; %bb.1902:
	s_wait_xcnt 0x0
	v_cndmask_b32_e64 v1, 0, 1, s0
	global_store_b16 v[4:5], v1, off
.LBB63_1903:
	s_mov_b32 s1, 0
.LBB63_1904:
	s_delay_alu instid0(SALU_CYCLE_1)
	s_and_not1_b32 vcc_lo, exec_lo, s1
	s_cbranch_vccnz .LBB63_1909
; %bb.1905:
	s_wait_xcnt 0x0
	v_cndmask_b32_e64 v1, 0, 1, s0
	s_cmp_gt_i32 s2, 0
	s_mov_b32 s0, -1
	s_cbranch_scc0 .LBB63_1907
; %bb.1906:
	s_mov_b32 s0, 0
	global_store_b8 v[4:5], v1, off
.LBB63_1907:
	s_and_not1_b32 vcc_lo, exec_lo, s0
	s_cbranch_vccnz .LBB63_1909
; %bb.1908:
	global_store_b8 v[4:5], v1, off
.LBB63_1909:
	s_mov_b32 s7, -1
.LBB63_1910:
	s_delay_alu instid0(SALU_CYCLE_1)
	s_and_not1_b32 vcc_lo, exec_lo, s7
	s_cbranch_vccnz .LBB63_2106
; %bb.1911:
	s_wait_xcnt 0x0
	v_dual_mov_b32 v3, 0 :: v_dual_lshlrev_b32 v1, 16, v12
	s_cmp_lt_i32 s2, 11
	s_delay_alu instid0(VALU_DEP_1) | instskip(NEXT) | instid1(VALU_DEP_2)
	v_add_nc_u64_e32 v[2:3], s[4:5], v[2:3]
	v_cmp_eq_f32_e64 s0, 0x7f800000, v1
	s_cbranch_scc1 .LBB63_1989
; %bb.1912:
	s_mov_b32 s11, -1
	s_mov_b32 s3, 0
	s_cmp_gt_i32 s2, 25
	s_mov_b32 s7, 0
	s_mov_b32 s1, 0
	s_cbranch_scc0 .LBB63_1945
; %bb.1913:
	s_cmp_gt_i32 s2, 28
	s_cbranch_scc0 .LBB63_1928
; %bb.1914:
	s_cmp_gt_i32 s2, 43
	;; [unrolled: 3-line block ×3, first 2 shown]
	s_cbranch_scc0 .LBB63_1918
; %bb.1916:
	s_mov_b32 s1, -1
	s_mov_b32 s11, 0
	s_cmp_eq_u32 s2, 46
	s_cbranch_scc0 .LBB63_1918
; %bb.1917:
	v_cndmask_b32_e64 v1, 0, 1.0, s0
	s_mov_b32 s1, 0
	s_mov_b32 s7, -1
	s_delay_alu instid0(VALU_DEP_1) | instskip(NEXT) | instid1(VALU_DEP_1)
	v_bfe_u32 v4, v1, 16, 1
	v_add3_u32 v1, v1, v4, 0x7fff
	s_delay_alu instid0(VALU_DEP_1)
	v_lshrrev_b32_e32 v1, 16, v1
	global_store_b32 v[2:3], v1, off
.LBB63_1918:
	s_and_b32 vcc_lo, exec_lo, s11
	s_cbranch_vccz .LBB63_1923
; %bb.1919:
	s_cmp_eq_u32 s2, 44
	s_mov_b32 s1, -1
	s_cbranch_scc0 .LBB63_1923
; %bb.1920:
	v_cndmask_b32_e64 v5, 0, 1.0, s0
	s_mov_b32 s7, exec_lo
	s_wait_xcnt 0x0
	s_delay_alu instid0(VALU_DEP_1) | instskip(NEXT) | instid1(VALU_DEP_1)
	v_dual_mov_b32 v4, 0xff :: v_dual_lshrrev_b32 v1, 23, v5
	v_cmpx_ne_u32_e32 0xff, v1
; %bb.1921:
	v_and_b32_e32 v4, 0x400000, v5
	v_and_or_b32 v5, 0x3fffff, v5, v1
	s_delay_alu instid0(VALU_DEP_2) | instskip(NEXT) | instid1(VALU_DEP_2)
	v_cmp_ne_u32_e32 vcc_lo, 0, v4
	v_cmp_ne_u32_e64 s1, 0, v5
	s_and_b32 s1, vcc_lo, s1
	s_delay_alu instid0(SALU_CYCLE_1) | instskip(NEXT) | instid1(VALU_DEP_1)
	v_cndmask_b32_e64 v4, 0, 1, s1
	v_add_nc_u32_e32 v4, v1, v4
; %bb.1922:
	s_or_b32 exec_lo, exec_lo, s7
	s_mov_b32 s1, 0
	s_mov_b32 s7, -1
	global_store_b8 v[2:3], v4, off
.LBB63_1923:
	s_mov_b32 s11, 0
.LBB63_1924:
	s_delay_alu instid0(SALU_CYCLE_1)
	s_and_b32 vcc_lo, exec_lo, s11
	s_cbranch_vccz .LBB63_1927
; %bb.1925:
	s_cmp_eq_u32 s2, 29
	s_mov_b32 s1, -1
	s_cbranch_scc0 .LBB63_1927
; %bb.1926:
	s_mov_b32 s1, 0
	s_wait_xcnt 0x0
	v_cndmask_b32_e64 v4, 0, 1, s0
	v_mov_b32_e32 v5, s1
	s_mov_b32 s7, -1
	global_store_b64 v[2:3], v[4:5], off
.LBB63_1927:
	s_mov_b32 s11, 0
.LBB63_1928:
	s_delay_alu instid0(SALU_CYCLE_1)
	s_and_b32 vcc_lo, exec_lo, s11
	s_cbranch_vccz .LBB63_1944
; %bb.1929:
	s_cmp_lt_i32 s2, 27
	s_mov_b32 s7, -1
	s_cbranch_scc1 .LBB63_1935
; %bb.1930:
	s_cmp_gt_i32 s2, 27
	s_cbranch_scc0 .LBB63_1932
; %bb.1931:
	s_wait_xcnt 0x0
	v_cndmask_b32_e64 v1, 0, 1, s0
	s_mov_b32 s7, 0
	global_store_b32 v[2:3], v1, off
.LBB63_1932:
	s_and_not1_b32 vcc_lo, exec_lo, s7
	s_cbranch_vccnz .LBB63_1934
; %bb.1933:
	s_wait_xcnt 0x0
	v_cndmask_b32_e64 v1, 0, 1, s0
	global_store_b16 v[2:3], v1, off
.LBB63_1934:
	s_mov_b32 s7, 0
.LBB63_1935:
	s_delay_alu instid0(SALU_CYCLE_1)
	s_and_not1_b32 vcc_lo, exec_lo, s7
	s_cbranch_vccnz .LBB63_1943
; %bb.1936:
	s_wait_xcnt 0x0
	v_cndmask_b32_e64 v4, 0, 1.0, s0
	v_mov_b32_e32 v5, 0x80
	s_mov_b32 s7, exec_lo
	s_delay_alu instid0(VALU_DEP_2)
	v_cmpx_gt_u32_e32 0x43800000, v4
	s_cbranch_execz .LBB63_1942
; %bb.1937:
	s_mov_b32 s11, 0
	s_mov_b32 s12, exec_lo
                                        ; implicit-def: $vgpr1
	v_cmpx_lt_u32_e32 0x3bffffff, v4
	s_xor_b32 s12, exec_lo, s12
	s_cbranch_execz .LBB63_2163
; %bb.1938:
	v_bfe_u32 v1, v4, 20, 1
	s_mov_b32 s11, exec_lo
	s_delay_alu instid0(VALU_DEP_1) | instskip(NEXT) | instid1(VALU_DEP_1)
	v_add3_u32 v1, v4, v1, 0x487ffff
                                        ; implicit-def: $vgpr4
	v_lshrrev_b32_e32 v1, 20, v1
	s_and_not1_saveexec_b32 s12, s12
	s_cbranch_execnz .LBB63_2164
.LBB63_1939:
	s_or_b32 exec_lo, exec_lo, s12
	v_mov_b32_e32 v5, 0
	s_and_saveexec_b32 s12, s11
.LBB63_1940:
	v_mov_b32_e32 v5, v1
.LBB63_1941:
	s_or_b32 exec_lo, exec_lo, s12
.LBB63_1942:
	s_delay_alu instid0(SALU_CYCLE_1)
	s_or_b32 exec_lo, exec_lo, s7
	global_store_b8 v[2:3], v5, off
.LBB63_1943:
	s_mov_b32 s7, -1
.LBB63_1944:
	s_mov_b32 s11, 0
.LBB63_1945:
	s_delay_alu instid0(SALU_CYCLE_1)
	s_and_b32 vcc_lo, exec_lo, s11
	s_cbranch_vccz .LBB63_1985
; %bb.1946:
	s_cmp_gt_i32 s2, 22
	s_mov_b32 s3, -1
	s_cbranch_scc0 .LBB63_1978
; %bb.1947:
	s_cmp_lt_i32 s2, 24
	s_cbranch_scc1 .LBB63_1967
; %bb.1948:
	s_cmp_gt_i32 s2, 24
	s_cbranch_scc0 .LBB63_1956
; %bb.1949:
	s_wait_xcnt 0x0
	v_cndmask_b32_e64 v4, 0, 1.0, s0
	v_mov_b32_e32 v5, 0x80
	s_mov_b32 s3, exec_lo
	s_delay_alu instid0(VALU_DEP_2)
	v_cmpx_gt_u32_e32 0x47800000, v4
	s_cbranch_execz .LBB63_1955
; %bb.1950:
	s_mov_b32 s7, 0
	s_mov_b32 s11, exec_lo
                                        ; implicit-def: $vgpr1
	v_cmpx_lt_u32_e32 0x37ffffff, v4
	s_xor_b32 s11, exec_lo, s11
	s_cbranch_execz .LBB63_2166
; %bb.1951:
	v_bfe_u32 v1, v4, 21, 1
	s_mov_b32 s7, exec_lo
	s_delay_alu instid0(VALU_DEP_1) | instskip(NEXT) | instid1(VALU_DEP_1)
	v_add3_u32 v1, v4, v1, 0x88fffff
                                        ; implicit-def: $vgpr4
	v_lshrrev_b32_e32 v1, 21, v1
	s_and_not1_saveexec_b32 s11, s11
	s_cbranch_execnz .LBB63_2167
.LBB63_1952:
	s_or_b32 exec_lo, exec_lo, s11
	v_mov_b32_e32 v5, 0
	s_and_saveexec_b32 s11, s7
.LBB63_1953:
	v_mov_b32_e32 v5, v1
.LBB63_1954:
	s_or_b32 exec_lo, exec_lo, s11
.LBB63_1955:
	s_delay_alu instid0(SALU_CYCLE_1)
	s_or_b32 exec_lo, exec_lo, s3
	s_mov_b32 s3, 0
	global_store_b8 v[2:3], v5, off
.LBB63_1956:
	s_and_b32 vcc_lo, exec_lo, s3
	s_cbranch_vccz .LBB63_1966
; %bb.1957:
	s_wait_xcnt 0x0
	v_cndmask_b32_e64 v4, 0, 1.0, s0
	s_mov_b32 s3, exec_lo
                                        ; implicit-def: $vgpr1
	s_delay_alu instid0(VALU_DEP_1)
	v_cmpx_gt_u32_e32 0x43f00000, v4
	s_xor_b32 s3, exec_lo, s3
	s_cbranch_execz .LBB63_1963
; %bb.1958:
	s_mov_b32 s7, exec_lo
                                        ; implicit-def: $vgpr1
	v_cmpx_lt_u32_e32 0x3c7fffff, v4
	s_xor_b32 s7, exec_lo, s7
; %bb.1959:
	v_bfe_u32 v1, v4, 20, 1
	s_delay_alu instid0(VALU_DEP_1) | instskip(NEXT) | instid1(VALU_DEP_1)
	v_add3_u32 v1, v4, v1, 0x407ffff
	v_and_b32_e32 v4, 0xff00000, v1
	v_lshrrev_b32_e32 v1, 20, v1
	s_delay_alu instid0(VALU_DEP_2) | instskip(NEXT) | instid1(VALU_DEP_2)
	v_cmp_ne_u32_e32 vcc_lo, 0x7f00000, v4
                                        ; implicit-def: $vgpr4
	v_cndmask_b32_e32 v1, 0x7e, v1, vcc_lo
; %bb.1960:
	s_and_not1_saveexec_b32 s7, s7
; %bb.1961:
	v_add_f32_e32 v1, 0x46800000, v4
; %bb.1962:
	s_or_b32 exec_lo, exec_lo, s7
                                        ; implicit-def: $vgpr4
.LBB63_1963:
	s_and_not1_saveexec_b32 s3, s3
; %bb.1964:
	v_mov_b32_e32 v1, 0x7f
	v_cmp_lt_u32_e32 vcc_lo, 0x7f800000, v4
	s_delay_alu instid0(VALU_DEP_2)
	v_cndmask_b32_e32 v1, 0x7e, v1, vcc_lo
; %bb.1965:
	s_or_b32 exec_lo, exec_lo, s3
	global_store_b8 v[2:3], v1, off
.LBB63_1966:
	s_mov_b32 s3, 0
.LBB63_1967:
	s_delay_alu instid0(SALU_CYCLE_1)
	s_and_not1_b32 vcc_lo, exec_lo, s3
	s_cbranch_vccnz .LBB63_1977
; %bb.1968:
	s_wait_xcnt 0x0
	v_cndmask_b32_e64 v4, 0, 1.0, s0
	s_mov_b32 s3, exec_lo
                                        ; implicit-def: $vgpr1
	s_delay_alu instid0(VALU_DEP_1)
	v_cmpx_gt_u32_e32 0x47800000, v4
	s_xor_b32 s3, exec_lo, s3
	s_cbranch_execz .LBB63_1974
; %bb.1969:
	s_mov_b32 s7, exec_lo
                                        ; implicit-def: $vgpr1
	v_cmpx_lt_u32_e32 0x387fffff, v4
	s_xor_b32 s7, exec_lo, s7
; %bb.1970:
	v_bfe_u32 v1, v4, 21, 1
	s_delay_alu instid0(VALU_DEP_1) | instskip(NEXT) | instid1(VALU_DEP_1)
	v_add3_u32 v1, v4, v1, 0x80fffff
                                        ; implicit-def: $vgpr4
	v_lshrrev_b32_e32 v1, 21, v1
; %bb.1971:
	s_and_not1_saveexec_b32 s7, s7
; %bb.1972:
	v_add_f32_e32 v1, 0x43000000, v4
; %bb.1973:
	s_or_b32 exec_lo, exec_lo, s7
                                        ; implicit-def: $vgpr4
.LBB63_1974:
	s_and_not1_saveexec_b32 s3, s3
; %bb.1975:
	v_mov_b32_e32 v1, 0x7f
	v_cmp_lt_u32_e32 vcc_lo, 0x7f800000, v4
	s_delay_alu instid0(VALU_DEP_2)
	v_cndmask_b32_e32 v1, 0x7c, v1, vcc_lo
; %bb.1976:
	s_or_b32 exec_lo, exec_lo, s3
	global_store_b8 v[2:3], v1, off
.LBB63_1977:
	s_mov_b32 s3, 0
	s_mov_b32 s7, -1
.LBB63_1978:
	s_and_not1_b32 vcc_lo, exec_lo, s3
	s_mov_b32 s3, 0
	s_cbranch_vccnz .LBB63_1985
; %bb.1979:
	s_cmp_gt_i32 s2, 14
	s_mov_b32 s3, -1
	s_cbranch_scc0 .LBB63_1983
; %bb.1980:
	s_cmp_eq_u32 s2, 15
	s_mov_b32 s1, -1
	s_cbranch_scc0 .LBB63_1982
; %bb.1981:
	s_wait_xcnt 0x0
	v_cndmask_b32_e64 v1, 0, 1.0, s0
	s_mov_b32 s1, 0
	s_mov_b32 s7, -1
	s_delay_alu instid0(VALU_DEP_1) | instskip(NEXT) | instid1(VALU_DEP_1)
	v_bfe_u32 v4, v1, 16, 1
	v_add3_u32 v1, v1, v4, 0x7fff
	global_store_d16_hi_b16 v[2:3], v1, off
.LBB63_1982:
	s_mov_b32 s3, 0
.LBB63_1983:
	s_delay_alu instid0(SALU_CYCLE_1)
	s_and_b32 vcc_lo, exec_lo, s3
	s_mov_b32 s3, 0
	s_cbranch_vccz .LBB63_1985
; %bb.1984:
	s_cmp_lg_u32 s2, 11
	s_mov_b32 s3, -1
	s_cselect_b32 s1, -1, 0
.LBB63_1985:
	s_delay_alu instid0(SALU_CYCLE_1)
	s_and_b32 vcc_lo, exec_lo, s1
	s_cbranch_vccnz .LBB63_2165
; %bb.1986:
	s_and_not1_b32 vcc_lo, exec_lo, s3
	s_cbranch_vccnz .LBB63_1988
.LBB63_1987:
	s_wait_xcnt 0x0
	v_cndmask_b32_e64 v1, 0, 1, s0
	s_mov_b32 s7, -1
	global_store_b8 v[2:3], v1, off
.LBB63_1988:
	s_mov_b32 s1, 0
	s_branch .LBB63_1990
.LBB63_1989:
	s_mov_b32 s1, -1
	s_mov_b32 s7, 0
.LBB63_1990:
	s_and_b32 vcc_lo, exec_lo, s1
	s_cbranch_vccz .LBB63_2029
; %bb.1991:
	s_cmp_lt_i32 s2, 5
	s_mov_b32 s1, -1
	s_cbranch_scc1 .LBB63_2012
; %bb.1992:
	s_cmp_lt_i32 s2, 8
	s_cbranch_scc1 .LBB63_2002
; %bb.1993:
	s_cmp_lt_i32 s2, 9
	s_cbranch_scc1 .LBB63_1999
; %bb.1994:
	s_cmp_gt_i32 s2, 9
	s_cbranch_scc0 .LBB63_1996
; %bb.1995:
	s_wait_xcnt 0x0
	v_cndmask_b32_e64 v1, 0, 1, s0
	v_mov_b32_e32 v6, 0
	s_mov_b32 s1, 0
	s_delay_alu instid0(VALU_DEP_2) | instskip(NEXT) | instid1(VALU_DEP_2)
	v_cvt_f64_u32_e32 v[4:5], v1
	v_mov_b32_e32 v7, v6
	global_store_b128 v[2:3], v[4:7], off
.LBB63_1996:
	s_and_not1_b32 vcc_lo, exec_lo, s1
	s_cbranch_vccnz .LBB63_1998
; %bb.1997:
	s_wait_xcnt 0x0
	v_cndmask_b32_e64 v4, 0, 1.0, s0
	v_mov_b32_e32 v5, 0
	global_store_b64 v[2:3], v[4:5], off
.LBB63_1998:
	s_mov_b32 s1, 0
.LBB63_1999:
	s_delay_alu instid0(SALU_CYCLE_1)
	s_and_not1_b32 vcc_lo, exec_lo, s1
	s_cbranch_vccnz .LBB63_2001
; %bb.2000:
	s_wait_xcnt 0x0
	v_cndmask_b32_e64 v1, 0, 1.0, s0
	s_delay_alu instid0(VALU_DEP_1) | instskip(NEXT) | instid1(VALU_DEP_1)
	v_cvt_f16_f32_e32 v1, v1
	v_and_b32_e32 v1, 0xffff, v1
	global_store_b32 v[2:3], v1, off
.LBB63_2001:
	s_mov_b32 s1, 0
.LBB63_2002:
	s_delay_alu instid0(SALU_CYCLE_1)
	s_and_not1_b32 vcc_lo, exec_lo, s1
	s_cbranch_vccnz .LBB63_2011
; %bb.2003:
	s_cmp_lt_i32 s2, 6
	s_mov_b32 s1, -1
	s_cbranch_scc1 .LBB63_2009
; %bb.2004:
	s_cmp_gt_i32 s2, 6
	s_cbranch_scc0 .LBB63_2006
; %bb.2005:
	s_wait_xcnt 0x0
	v_cndmask_b32_e64 v1, 0, 1, s0
	s_mov_b32 s1, 0
	s_delay_alu instid0(VALU_DEP_1)
	v_cvt_f64_u32_e32 v[4:5], v1
	global_store_b64 v[2:3], v[4:5], off
.LBB63_2006:
	s_and_not1_b32 vcc_lo, exec_lo, s1
	s_cbranch_vccnz .LBB63_2008
; %bb.2007:
	s_wait_xcnt 0x0
	v_cndmask_b32_e64 v1, 0, 1.0, s0
	global_store_b32 v[2:3], v1, off
.LBB63_2008:
	s_mov_b32 s1, 0
.LBB63_2009:
	s_delay_alu instid0(SALU_CYCLE_1)
	s_and_not1_b32 vcc_lo, exec_lo, s1
	s_cbranch_vccnz .LBB63_2011
; %bb.2010:
	s_wait_xcnt 0x0
	v_cndmask_b32_e64 v1, 0, 1.0, s0
	s_delay_alu instid0(VALU_DEP_1)
	v_cvt_f16_f32_e32 v1, v1
	global_store_b16 v[2:3], v1, off
.LBB63_2011:
	s_mov_b32 s1, 0
.LBB63_2012:
	s_delay_alu instid0(SALU_CYCLE_1)
	s_and_not1_b32 vcc_lo, exec_lo, s1
	s_cbranch_vccnz .LBB63_2028
; %bb.2013:
	s_cmp_lt_i32 s2, 2
	s_mov_b32 s1, -1
	s_cbranch_scc1 .LBB63_2023
; %bb.2014:
	s_cmp_lt_i32 s2, 3
	s_cbranch_scc1 .LBB63_2020
; %bb.2015:
	s_cmp_gt_i32 s2, 3
	s_cbranch_scc0 .LBB63_2017
; %bb.2016:
	s_mov_b32 s1, 0
	s_wait_xcnt 0x0
	v_cndmask_b32_e64 v4, 0, 1, s0
	v_mov_b32_e32 v5, s1
	global_store_b64 v[2:3], v[4:5], off
.LBB63_2017:
	s_and_not1_b32 vcc_lo, exec_lo, s1
	s_cbranch_vccnz .LBB63_2019
; %bb.2018:
	s_wait_xcnt 0x0
	v_cndmask_b32_e64 v1, 0, 1, s0
	global_store_b32 v[2:3], v1, off
.LBB63_2019:
	s_mov_b32 s1, 0
.LBB63_2020:
	s_delay_alu instid0(SALU_CYCLE_1)
	s_and_not1_b32 vcc_lo, exec_lo, s1
	s_cbranch_vccnz .LBB63_2022
; %bb.2021:
	s_wait_xcnt 0x0
	v_cndmask_b32_e64 v1, 0, 1, s0
	global_store_b16 v[2:3], v1, off
.LBB63_2022:
	s_mov_b32 s1, 0
.LBB63_2023:
	s_delay_alu instid0(SALU_CYCLE_1)
	s_and_not1_b32 vcc_lo, exec_lo, s1
	s_cbranch_vccnz .LBB63_2028
; %bb.2024:
	s_cmp_gt_i32 s2, 0
	s_mov_b32 s1, -1
	s_cbranch_scc0 .LBB63_2026
; %bb.2025:
	s_wait_xcnt 0x0
	v_cndmask_b32_e64 v1, 0, 1, s0
	s_mov_b32 s1, 0
	global_store_b8 v[2:3], v1, off
.LBB63_2026:
	s_and_not1_b32 vcc_lo, exec_lo, s1
	s_cbranch_vccnz .LBB63_2028
; %bb.2027:
	s_wait_xcnt 0x0
	v_cndmask_b32_e64 v1, 0, 1, s0
	global_store_b8 v[2:3], v1, off
.LBB63_2028:
	s_mov_b32 s7, -1
.LBB63_2029:
	s_delay_alu instid0(SALU_CYCLE_1)
	s_and_not1_b32 vcc_lo, exec_lo, s7
	s_cbranch_vccnz .LBB63_2106
; %bb.2030:
	s_wait_xcnt 0x0
	v_dual_mov_b32 v1, 0 :: v_dual_lshlrev_b32 v4, 16, v10
	s_cmp_lt_i32 s2, 11
	s_delay_alu instid0(VALU_DEP_1) | instskip(NEXT) | instid1(VALU_DEP_2)
	v_add_nc_u64_e32 v[2:3], s[4:5], v[0:1]
	v_cmp_eq_f32_e64 s1, 0x7f800000, v4
	s_cbranch_scc1 .LBB63_2151
; %bb.2031:
	s_mov_b32 s4, -1
	s_mov_b32 s3, 0
	s_cmp_gt_i32 s2, 25
	s_mov_b32 s0, 0
	s_cbranch_scc0 .LBB63_2064
; %bb.2032:
	s_cmp_gt_i32 s2, 28
	s_cbranch_scc0 .LBB63_2048
; %bb.2033:
	s_cmp_gt_i32 s2, 43
	;; [unrolled: 3-line block ×3, first 2 shown]
	s_cbranch_scc0 .LBB63_2038
; %bb.2035:
	s_cmp_eq_u32 s2, 46
	s_mov_b32 s0, -1
	s_cbranch_scc0 .LBB63_2037
; %bb.2036:
	v_cndmask_b32_e64 v0, 0, 1.0, s1
	s_mov_b32 s0, 0
	s_delay_alu instid0(VALU_DEP_1) | instskip(NEXT) | instid1(VALU_DEP_1)
	v_bfe_u32 v1, v0, 16, 1
	v_add3_u32 v0, v0, v1, 0x7fff
	s_delay_alu instid0(VALU_DEP_1)
	v_lshrrev_b32_e32 v0, 16, v0
	global_store_b32 v[2:3], v0, off
.LBB63_2037:
	s_mov_b32 s4, 0
.LBB63_2038:
	s_delay_alu instid0(SALU_CYCLE_1)
	s_and_b32 vcc_lo, exec_lo, s4
	s_cbranch_vccz .LBB63_2043
; %bb.2039:
	s_cmp_eq_u32 s2, 44
	s_mov_b32 s0, -1
	s_cbranch_scc0 .LBB63_2043
; %bb.2040:
	v_cndmask_b32_e64 v4, 0, 1.0, s1
	s_mov_b32 s4, exec_lo
	s_wait_xcnt 0x0
	s_delay_alu instid0(VALU_DEP_1) | instskip(NEXT) | instid1(VALU_DEP_1)
	v_dual_mov_b32 v1, 0xff :: v_dual_lshrrev_b32 v0, 23, v4
	v_cmpx_ne_u32_e32 0xff, v0
; %bb.2041:
	v_and_b32_e32 v1, 0x400000, v4
	v_and_or_b32 v4, 0x3fffff, v4, v0
	s_delay_alu instid0(VALU_DEP_2) | instskip(NEXT) | instid1(VALU_DEP_2)
	v_cmp_ne_u32_e32 vcc_lo, 0, v1
	v_cmp_ne_u32_e64 s0, 0, v4
	s_and_b32 s0, vcc_lo, s0
	s_delay_alu instid0(SALU_CYCLE_1) | instskip(NEXT) | instid1(VALU_DEP_1)
	v_cndmask_b32_e64 v1, 0, 1, s0
	v_add_nc_u32_e32 v1, v0, v1
; %bb.2042:
	s_or_b32 exec_lo, exec_lo, s4
	s_mov_b32 s0, 0
	global_store_b8 v[2:3], v1, off
.LBB63_2043:
	s_mov_b32 s4, 0
.LBB63_2044:
	s_delay_alu instid0(SALU_CYCLE_1)
	s_and_b32 vcc_lo, exec_lo, s4
	s_cbranch_vccz .LBB63_2047
; %bb.2045:
	s_cmp_eq_u32 s2, 29
	s_mov_b32 s0, -1
	s_cbranch_scc0 .LBB63_2047
; %bb.2046:
	s_mov_b32 s0, 0
	s_wait_xcnt 0x0
	v_cndmask_b32_e64 v0, 0, 1, s1
	v_mov_b32_e32 v1, s0
	global_store_b64 v[2:3], v[0:1], off
.LBB63_2047:
	s_mov_b32 s4, 0
.LBB63_2048:
	s_delay_alu instid0(SALU_CYCLE_1)
	s_and_b32 vcc_lo, exec_lo, s4
	s_cbranch_vccz .LBB63_2063
; %bb.2049:
	s_cmp_lt_i32 s2, 27
	s_mov_b32 s4, -1
	s_cbranch_scc1 .LBB63_2055
; %bb.2050:
	s_cmp_gt_i32 s2, 27
	s_cbranch_scc0 .LBB63_2052
; %bb.2051:
	s_wait_xcnt 0x0
	v_cndmask_b32_e64 v0, 0, 1, s1
	s_mov_b32 s4, 0
	global_store_b32 v[2:3], v0, off
.LBB63_2052:
	s_and_not1_b32 vcc_lo, exec_lo, s4
	s_cbranch_vccnz .LBB63_2054
; %bb.2053:
	s_wait_xcnt 0x0
	v_cndmask_b32_e64 v0, 0, 1, s1
	global_store_b16 v[2:3], v0, off
.LBB63_2054:
	s_mov_b32 s4, 0
.LBB63_2055:
	s_delay_alu instid0(SALU_CYCLE_1)
	s_and_not1_b32 vcc_lo, exec_lo, s4
	s_cbranch_vccnz .LBB63_2063
; %bb.2056:
	s_wait_xcnt 0x0
	v_cndmask_b32_e64 v1, 0, 1.0, s1
	v_mov_b32_e32 v4, 0x80
	s_mov_b32 s4, exec_lo
	s_delay_alu instid0(VALU_DEP_2)
	v_cmpx_gt_u32_e32 0x43800000, v1
	s_cbranch_execz .LBB63_2062
; %bb.2057:
	s_mov_b32 s5, 0
	s_mov_b32 s7, exec_lo
                                        ; implicit-def: $vgpr0
	v_cmpx_lt_u32_e32 0x3bffffff, v1
	s_xor_b32 s7, exec_lo, s7
	s_cbranch_execz .LBB63_2168
; %bb.2058:
	v_bfe_u32 v0, v1, 20, 1
	s_mov_b32 s5, exec_lo
	s_delay_alu instid0(VALU_DEP_1) | instskip(NEXT) | instid1(VALU_DEP_1)
	v_add3_u32 v0, v1, v0, 0x487ffff
                                        ; implicit-def: $vgpr1
	v_lshrrev_b32_e32 v0, 20, v0
	s_and_not1_saveexec_b32 s7, s7
	s_cbranch_execnz .LBB63_2169
.LBB63_2059:
	s_or_b32 exec_lo, exec_lo, s7
	v_mov_b32_e32 v4, 0
	s_and_saveexec_b32 s7, s5
.LBB63_2060:
	v_mov_b32_e32 v4, v0
.LBB63_2061:
	s_or_b32 exec_lo, exec_lo, s7
.LBB63_2062:
	s_delay_alu instid0(SALU_CYCLE_1)
	s_or_b32 exec_lo, exec_lo, s4
	global_store_b8 v[2:3], v4, off
.LBB63_2063:
	s_mov_b32 s4, 0
.LBB63_2064:
	s_delay_alu instid0(SALU_CYCLE_1)
	s_and_b32 vcc_lo, exec_lo, s4
	s_cbranch_vccz .LBB63_2104
; %bb.2065:
	s_cmp_gt_i32 s2, 22
	s_mov_b32 s3, -1
	s_cbranch_scc0 .LBB63_2097
; %bb.2066:
	s_cmp_lt_i32 s2, 24
	s_cbranch_scc1 .LBB63_2086
; %bb.2067:
	s_cmp_gt_i32 s2, 24
	s_cbranch_scc0 .LBB63_2075
; %bb.2068:
	s_wait_xcnt 0x0
	v_cndmask_b32_e64 v1, 0, 1.0, s1
	v_mov_b32_e32 v4, 0x80
	s_mov_b32 s3, exec_lo
	s_delay_alu instid0(VALU_DEP_2)
	v_cmpx_gt_u32_e32 0x47800000, v1
	s_cbranch_execz .LBB63_2074
; %bb.2069:
	s_mov_b32 s4, 0
	s_mov_b32 s5, exec_lo
                                        ; implicit-def: $vgpr0
	v_cmpx_lt_u32_e32 0x37ffffff, v1
	s_xor_b32 s5, exec_lo, s5
	s_cbranch_execz .LBB63_2171
; %bb.2070:
	v_bfe_u32 v0, v1, 21, 1
	s_mov_b32 s4, exec_lo
	s_delay_alu instid0(VALU_DEP_1) | instskip(NEXT) | instid1(VALU_DEP_1)
	v_add3_u32 v0, v1, v0, 0x88fffff
                                        ; implicit-def: $vgpr1
	v_lshrrev_b32_e32 v0, 21, v0
	s_and_not1_saveexec_b32 s5, s5
	s_cbranch_execnz .LBB63_2172
.LBB63_2071:
	s_or_b32 exec_lo, exec_lo, s5
	v_mov_b32_e32 v4, 0
	s_and_saveexec_b32 s5, s4
.LBB63_2072:
	v_mov_b32_e32 v4, v0
.LBB63_2073:
	s_or_b32 exec_lo, exec_lo, s5
.LBB63_2074:
	s_delay_alu instid0(SALU_CYCLE_1)
	s_or_b32 exec_lo, exec_lo, s3
	s_mov_b32 s3, 0
	global_store_b8 v[2:3], v4, off
.LBB63_2075:
	s_and_b32 vcc_lo, exec_lo, s3
	s_cbranch_vccz .LBB63_2085
; %bb.2076:
	s_wait_xcnt 0x0
	v_cndmask_b32_e64 v1, 0, 1.0, s1
	s_mov_b32 s3, exec_lo
                                        ; implicit-def: $vgpr0
	s_delay_alu instid0(VALU_DEP_1)
	v_cmpx_gt_u32_e32 0x43f00000, v1
	s_xor_b32 s3, exec_lo, s3
	s_cbranch_execz .LBB63_2082
; %bb.2077:
	s_mov_b32 s4, exec_lo
                                        ; implicit-def: $vgpr0
	v_cmpx_lt_u32_e32 0x3c7fffff, v1
	s_xor_b32 s4, exec_lo, s4
; %bb.2078:
	v_bfe_u32 v0, v1, 20, 1
	s_delay_alu instid0(VALU_DEP_1) | instskip(NEXT) | instid1(VALU_DEP_1)
	v_add3_u32 v0, v1, v0, 0x407ffff
	v_and_b32_e32 v1, 0xff00000, v0
	v_lshrrev_b32_e32 v0, 20, v0
	s_delay_alu instid0(VALU_DEP_2) | instskip(NEXT) | instid1(VALU_DEP_2)
	v_cmp_ne_u32_e32 vcc_lo, 0x7f00000, v1
                                        ; implicit-def: $vgpr1
	v_cndmask_b32_e32 v0, 0x7e, v0, vcc_lo
; %bb.2079:
	s_and_not1_saveexec_b32 s4, s4
; %bb.2080:
	v_add_f32_e32 v0, 0x46800000, v1
; %bb.2081:
	s_or_b32 exec_lo, exec_lo, s4
                                        ; implicit-def: $vgpr1
.LBB63_2082:
	s_and_not1_saveexec_b32 s3, s3
; %bb.2083:
	v_mov_b32_e32 v0, 0x7f
	v_cmp_lt_u32_e32 vcc_lo, 0x7f800000, v1
	s_delay_alu instid0(VALU_DEP_2)
	v_cndmask_b32_e32 v0, 0x7e, v0, vcc_lo
; %bb.2084:
	s_or_b32 exec_lo, exec_lo, s3
	global_store_b8 v[2:3], v0, off
.LBB63_2085:
	s_mov_b32 s3, 0
.LBB63_2086:
	s_delay_alu instid0(SALU_CYCLE_1)
	s_and_not1_b32 vcc_lo, exec_lo, s3
	s_cbranch_vccnz .LBB63_2096
; %bb.2087:
	s_wait_xcnt 0x0
	v_cndmask_b32_e64 v1, 0, 1.0, s1
	s_mov_b32 s3, exec_lo
                                        ; implicit-def: $vgpr0
	s_delay_alu instid0(VALU_DEP_1)
	v_cmpx_gt_u32_e32 0x47800000, v1
	s_xor_b32 s3, exec_lo, s3
	s_cbranch_execz .LBB63_2093
; %bb.2088:
	s_mov_b32 s4, exec_lo
                                        ; implicit-def: $vgpr0
	v_cmpx_lt_u32_e32 0x387fffff, v1
	s_xor_b32 s4, exec_lo, s4
; %bb.2089:
	v_bfe_u32 v0, v1, 21, 1
	s_delay_alu instid0(VALU_DEP_1) | instskip(NEXT) | instid1(VALU_DEP_1)
	v_add3_u32 v0, v1, v0, 0x80fffff
                                        ; implicit-def: $vgpr1
	v_lshrrev_b32_e32 v0, 21, v0
; %bb.2090:
	s_and_not1_saveexec_b32 s4, s4
; %bb.2091:
	v_add_f32_e32 v0, 0x43000000, v1
; %bb.2092:
	s_or_b32 exec_lo, exec_lo, s4
                                        ; implicit-def: $vgpr1
.LBB63_2093:
	s_and_not1_saveexec_b32 s3, s3
; %bb.2094:
	v_mov_b32_e32 v0, 0x7f
	v_cmp_lt_u32_e32 vcc_lo, 0x7f800000, v1
	s_delay_alu instid0(VALU_DEP_2)
	v_cndmask_b32_e32 v0, 0x7c, v0, vcc_lo
; %bb.2095:
	s_or_b32 exec_lo, exec_lo, s3
	global_store_b8 v[2:3], v0, off
.LBB63_2096:
	s_mov_b32 s3, 0
.LBB63_2097:
	s_delay_alu instid0(SALU_CYCLE_1)
	s_and_not1_b32 vcc_lo, exec_lo, s3
	s_mov_b32 s3, 0
	s_cbranch_vccnz .LBB63_2104
; %bb.2098:
	s_cmp_gt_i32 s2, 14
	s_mov_b32 s3, -1
	s_cbranch_scc0 .LBB63_2102
; %bb.2099:
	s_cmp_eq_u32 s2, 15
	s_mov_b32 s0, -1
	s_cbranch_scc0 .LBB63_2101
; %bb.2100:
	s_wait_xcnt 0x0
	v_cndmask_b32_e64 v0, 0, 1.0, s1
	s_mov_b32 s0, 0
	s_delay_alu instid0(VALU_DEP_1) | instskip(NEXT) | instid1(VALU_DEP_1)
	v_bfe_u32 v1, v0, 16, 1
	v_add3_u32 v0, v0, v1, 0x7fff
	global_store_d16_hi_b16 v[2:3], v0, off
.LBB63_2101:
	s_mov_b32 s3, 0
.LBB63_2102:
	s_delay_alu instid0(SALU_CYCLE_1)
	s_and_b32 vcc_lo, exec_lo, s3
	s_mov_b32 s3, 0
	s_cbranch_vccz .LBB63_2104
; %bb.2103:
	s_cmp_lg_u32 s2, 11
	s_mov_b32 s3, -1
	s_cselect_b32 s0, -1, 0
.LBB63_2104:
	s_delay_alu instid0(SALU_CYCLE_1)
	s_and_b32 vcc_lo, exec_lo, s0
	s_cbranch_vccnz .LBB63_2170
.LBB63_2105:
	s_mov_b32 s0, 0
	s_branch .LBB63_2107
.LBB63_2106:
	s_mov_b32 s0, 0
	s_mov_b32 s3, 0
                                        ; implicit-def: $sgpr1
                                        ; implicit-def: $vgpr2_vgpr3
                                        ; implicit-def: $sgpr6
.LBB63_2107:
	s_and_not1_b32 s2, s8, exec_lo
	s_and_b32 s4, s10, exec_lo
	s_and_b32 s0, s0, exec_lo
	;; [unrolled: 1-line block ×3, first 2 shown]
	s_or_b32 s8, s2, s4
.LBB63_2108:
	s_wait_xcnt 0x0
	s_or_b32 exec_lo, exec_lo, s9
	s_and_saveexec_b32 s2, s8
	s_cbranch_execz .LBB63_2111
; %bb.2109:
	; divergent unreachable
	s_or_b32 exec_lo, exec_lo, s2
	s_and_saveexec_b32 s2, s30
	s_delay_alu instid0(SALU_CYCLE_1)
	s_xor_b32 s2, exec_lo, s2
	s_cbranch_execnz .LBB63_2112
.LBB63_2110:
	s_or_b32 exec_lo, exec_lo, s2
	s_and_saveexec_b32 s2, s0
	s_cbranch_execnz .LBB63_2113
	s_branch .LBB63_2150
.LBB63_2111:
	s_or_b32 exec_lo, exec_lo, s2
	s_and_saveexec_b32 s2, s30
	s_delay_alu instid0(SALU_CYCLE_1)
	s_xor_b32 s2, exec_lo, s2
	s_cbranch_execz .LBB63_2110
.LBB63_2112:
	v_cndmask_b32_e64 v0, 0, 1, s1
	s_wait_loadcnt 0x0
	global_store_b8 v[2:3], v0, off
	s_wait_xcnt 0x0
	s_or_b32 exec_lo, exec_lo, s2
	s_and_saveexec_b32 s2, s0
	s_cbranch_execz .LBB63_2150
.LBB63_2113:
	s_sext_i32_i16 s2, s6
	s_mov_b32 s0, -1
	s_cmp_lt_i32 s2, 5
	s_cbranch_scc1 .LBB63_2134
; %bb.2114:
	s_cmp_lt_i32 s2, 8
	s_cbranch_scc1 .LBB63_2124
; %bb.2115:
	;; [unrolled: 3-line block ×3, first 2 shown]
	s_cmp_gt_i32 s2, 9
	s_cbranch_scc0 .LBB63_2118
; %bb.2117:
	v_cndmask_b32_e64 v0, 0, 1, s1
	s_wait_loadcnt 0x0
	v_mov_b32_e32 v6, 0
	s_mov_b32 s0, 0
	s_delay_alu instid0(VALU_DEP_2) | instskip(NEXT) | instid1(VALU_DEP_2)
	v_cvt_f64_u32_e32 v[4:5], v0
	v_mov_b32_e32 v7, v6
	global_store_b128 v[2:3], v[4:7], off
.LBB63_2118:
	s_and_not1_b32 vcc_lo, exec_lo, s0
	s_cbranch_vccnz .LBB63_2120
; %bb.2119:
	v_cndmask_b32_e64 v0, 0, 1.0, s1
	s_wait_loadcnt 0x0
	v_mov_b32_e32 v1, 0
	global_store_b64 v[2:3], v[0:1], off
.LBB63_2120:
	s_mov_b32 s0, 0
.LBB63_2121:
	s_delay_alu instid0(SALU_CYCLE_1)
	s_and_not1_b32 vcc_lo, exec_lo, s0
	s_cbranch_vccnz .LBB63_2123
; %bb.2122:
	s_wait_xcnt 0x0
	v_cndmask_b32_e64 v0, 0, 1.0, s1
	s_delay_alu instid0(VALU_DEP_1) | instskip(NEXT) | instid1(VALU_DEP_1)
	v_cvt_f16_f32_e32 v0, v0
	v_and_b32_e32 v0, 0xffff, v0
	s_wait_loadcnt 0x0
	global_store_b32 v[2:3], v0, off
.LBB63_2123:
	s_mov_b32 s0, 0
.LBB63_2124:
	s_delay_alu instid0(SALU_CYCLE_1)
	s_and_not1_b32 vcc_lo, exec_lo, s0
	s_cbranch_vccnz .LBB63_2133
; %bb.2125:
	s_sext_i32_i16 s2, s6
	s_mov_b32 s0, -1
	s_cmp_lt_i32 s2, 6
	s_cbranch_scc1 .LBB63_2131
; %bb.2126:
	s_cmp_gt_i32 s2, 6
	s_cbranch_scc0 .LBB63_2128
; %bb.2127:
	s_wait_xcnt 0x0
	v_cndmask_b32_e64 v0, 0, 1, s1
	s_mov_b32 s0, 0
	s_wait_loadcnt 0x0
	s_delay_alu instid0(VALU_DEP_1)
	v_cvt_f64_u32_e32 v[0:1], v0
	global_store_b64 v[2:3], v[0:1], off
.LBB63_2128:
	s_and_not1_b32 vcc_lo, exec_lo, s0
	s_cbranch_vccnz .LBB63_2130
; %bb.2129:
	s_wait_xcnt 0x0
	v_cndmask_b32_e64 v0, 0, 1.0, s1
	s_wait_loadcnt 0x0
	global_store_b32 v[2:3], v0, off
.LBB63_2130:
	s_mov_b32 s0, 0
.LBB63_2131:
	s_delay_alu instid0(SALU_CYCLE_1)
	s_and_not1_b32 vcc_lo, exec_lo, s0
	s_cbranch_vccnz .LBB63_2133
; %bb.2132:
	s_wait_xcnt 0x0
	v_cndmask_b32_e64 v0, 0, 1.0, s1
	s_delay_alu instid0(VALU_DEP_1)
	v_cvt_f16_f32_e32 v0, v0
	s_wait_loadcnt 0x0
	global_store_b16 v[2:3], v0, off
.LBB63_2133:
	s_mov_b32 s0, 0
.LBB63_2134:
	s_delay_alu instid0(SALU_CYCLE_1)
	s_and_not1_b32 vcc_lo, exec_lo, s0
	s_cbranch_vccnz .LBB63_2150
; %bb.2135:
	s_sext_i32_i16 s2, s6
	s_mov_b32 s0, -1
	s_cmp_lt_i32 s2, 2
	s_cbranch_scc1 .LBB63_2145
; %bb.2136:
	s_cmp_lt_i32 s2, 3
	s_cbranch_scc1 .LBB63_2142
; %bb.2137:
	s_cmp_gt_i32 s2, 3
	s_cbranch_scc0 .LBB63_2139
; %bb.2138:
	s_mov_b32 s0, 0
	s_wait_xcnt 0x0
	v_cndmask_b32_e64 v0, 0, 1, s1
	s_wait_loadcnt 0x0
	v_mov_b32_e32 v1, s0
	global_store_b64 v[2:3], v[0:1], off
.LBB63_2139:
	s_and_not1_b32 vcc_lo, exec_lo, s0
	s_cbranch_vccnz .LBB63_2141
; %bb.2140:
	s_wait_xcnt 0x0
	v_cndmask_b32_e64 v0, 0, 1, s1
	s_wait_loadcnt 0x0
	global_store_b32 v[2:3], v0, off
.LBB63_2141:
	s_mov_b32 s0, 0
.LBB63_2142:
	s_delay_alu instid0(SALU_CYCLE_1)
	s_and_not1_b32 vcc_lo, exec_lo, s0
	s_cbranch_vccnz .LBB63_2144
; %bb.2143:
	s_wait_xcnt 0x0
	v_cndmask_b32_e64 v0, 0, 1, s1
	s_wait_loadcnt 0x0
	global_store_b16 v[2:3], v0, off
.LBB63_2144:
	s_mov_b32 s0, 0
.LBB63_2145:
	s_delay_alu instid0(SALU_CYCLE_1)
	s_and_not1_b32 vcc_lo, exec_lo, s0
	s_cbranch_vccnz .LBB63_2150
; %bb.2146:
	s_sext_i32_i16 s0, s6
	s_delay_alu instid0(SALU_CYCLE_1)
	s_cmp_gt_i32 s0, 0
	s_mov_b32 s0, -1
	s_cbranch_scc0 .LBB63_2148
; %bb.2147:
	s_wait_xcnt 0x0
	v_cndmask_b32_e64 v0, 0, 1, s1
	s_mov_b32 s0, 0
	s_wait_loadcnt 0x0
	global_store_b8 v[2:3], v0, off
.LBB63_2148:
	s_and_not1_b32 vcc_lo, exec_lo, s0
	s_cbranch_vccnz .LBB63_2150
; %bb.2149:
	s_wait_xcnt 0x0
	v_cndmask_b32_e64 v0, 0, 1, s1
	s_wait_loadcnt 0x0
	global_store_b8 v[2:3], v0, off
	s_endpgm
.LBB63_2150:
	s_endpgm
.LBB63_2151:
	s_mov_b32 s3, 0
	s_mov_b32 s0, -1
	s_branch .LBB63_2107
.LBB63_2152:
	s_or_b32 s10, s10, exec_lo
	s_trap 2
	s_cbranch_execz .LBB63_1621
	s_branch .LBB63_1622
.LBB63_2153:
	s_and_not1_saveexec_b32 s12, s12
	s_cbranch_execz .LBB63_1701
.LBB63_2154:
	v_add_f32_e32 v1, 0x46000000, v5
	s_and_not1_b32 s11, s11, exec_lo
	s_delay_alu instid0(VALU_DEP_1) | instskip(NEXT) | instid1(VALU_DEP_1)
	v_and_b32_e32 v1, 0xff, v1
	v_cmp_ne_u32_e32 vcc_lo, 0, v1
	s_and_b32 s13, vcc_lo, exec_lo
	s_delay_alu instid0(SALU_CYCLE_1)
	s_or_b32 s11, s11, s13
	s_or_b32 exec_lo, exec_lo, s12
	v_mov_b32_e32 v8, 0
	s_and_saveexec_b32 s12, s11
	s_cbranch_execnz .LBB63_1702
	s_branch .LBB63_1703
.LBB63_2155:
	s_or_b32 s10, s10, exec_lo
	s_trap 2
	s_cbranch_execz .LBB63_1749
	s_branch .LBB63_1750
.LBB63_2156:
	s_and_not1_saveexec_b32 s11, s11
	s_cbranch_execz .LBB63_1714
.LBB63_2157:
	v_add_f32_e32 v1, 0x42800000, v5
	s_and_not1_b32 s7, s7, exec_lo
	s_delay_alu instid0(VALU_DEP_1) | instskip(NEXT) | instid1(VALU_DEP_1)
	v_and_b32_e32 v1, 0xff, v1
	v_cmp_ne_u32_e32 vcc_lo, 0, v1
	s_and_b32 s12, vcc_lo, exec_lo
	s_delay_alu instid0(SALU_CYCLE_1)
	s_or_b32 s7, s7, s12
	s_or_b32 exec_lo, exec_lo, s11
	v_mov_b32_e32 v8, 0
	s_and_saveexec_b32 s11, s7
	s_cbranch_execnz .LBB63_1715
	s_branch .LBB63_1716
.LBB63_2158:
	s_and_not1_saveexec_b32 s12, s12
	s_cbranch_execz .LBB63_1820
.LBB63_2159:
	v_add_f32_e32 v1, 0x46000000, v3
	s_and_not1_b32 s11, s11, exec_lo
	s_delay_alu instid0(VALU_DEP_1) | instskip(NEXT) | instid1(VALU_DEP_1)
	v_and_b32_e32 v1, 0xff, v1
	v_cmp_ne_u32_e32 vcc_lo, 0, v1
	s_and_b32 s13, vcc_lo, exec_lo
	s_delay_alu instid0(SALU_CYCLE_1)
	s_or_b32 s11, s11, s13
	s_or_b32 exec_lo, exec_lo, s12
	v_mov_b32_e32 v6, 0
	s_and_saveexec_b32 s12, s11
	s_cbranch_execnz .LBB63_1821
	s_branch .LBB63_1822
.LBB63_2160:
	s_or_b32 s10, s10, exec_lo
	s_trap 2
	s_cbranch_execz .LBB63_1868
	s_branch .LBB63_1869
.LBB63_2161:
	s_and_not1_saveexec_b32 s11, s11
	s_cbranch_execz .LBB63_1833
.LBB63_2162:
	v_add_f32_e32 v1, 0x42800000, v3
	s_and_not1_b32 s7, s7, exec_lo
	s_delay_alu instid0(VALU_DEP_1) | instskip(NEXT) | instid1(VALU_DEP_1)
	v_and_b32_e32 v1, 0xff, v1
	v_cmp_ne_u32_e32 vcc_lo, 0, v1
	s_and_b32 s12, vcc_lo, exec_lo
	s_delay_alu instid0(SALU_CYCLE_1)
	s_or_b32 s7, s7, s12
	s_or_b32 exec_lo, exec_lo, s11
	v_mov_b32_e32 v6, 0
	s_and_saveexec_b32 s11, s7
	s_cbranch_execnz .LBB63_1834
	s_branch .LBB63_1835
.LBB63_2163:
	s_and_not1_saveexec_b32 s12, s12
	s_cbranch_execz .LBB63_1939
.LBB63_2164:
	v_add_f32_e32 v1, 0x46000000, v4
	s_and_not1_b32 s11, s11, exec_lo
	s_delay_alu instid0(VALU_DEP_1) | instskip(NEXT) | instid1(VALU_DEP_1)
	v_and_b32_e32 v1, 0xff, v1
	v_cmp_ne_u32_e32 vcc_lo, 0, v1
	s_and_b32 s13, vcc_lo, exec_lo
	s_delay_alu instid0(SALU_CYCLE_1)
	s_or_b32 s11, s11, s13
	s_or_b32 exec_lo, exec_lo, s12
	v_mov_b32_e32 v5, 0
	s_and_saveexec_b32 s12, s11
	s_cbranch_execnz .LBB63_1940
	s_branch .LBB63_1941
.LBB63_2165:
	s_or_b32 s10, s10, exec_lo
	s_trap 2
	s_cbranch_execz .LBB63_1987
	s_branch .LBB63_1988
.LBB63_2166:
	s_and_not1_saveexec_b32 s11, s11
	s_cbranch_execz .LBB63_1952
.LBB63_2167:
	v_add_f32_e32 v1, 0x42800000, v4
	s_and_not1_b32 s7, s7, exec_lo
	s_delay_alu instid0(VALU_DEP_1) | instskip(NEXT) | instid1(VALU_DEP_1)
	v_and_b32_e32 v1, 0xff, v1
	v_cmp_ne_u32_e32 vcc_lo, 0, v1
	s_and_b32 s12, vcc_lo, exec_lo
	s_delay_alu instid0(SALU_CYCLE_1)
	s_or_b32 s7, s7, s12
	s_or_b32 exec_lo, exec_lo, s11
	v_mov_b32_e32 v5, 0
	s_and_saveexec_b32 s11, s7
	s_cbranch_execnz .LBB63_1953
	s_branch .LBB63_1954
.LBB63_2168:
	s_and_not1_saveexec_b32 s7, s7
	s_cbranch_execz .LBB63_2059
.LBB63_2169:
	v_add_f32_e32 v0, 0x46000000, v1
	s_and_not1_b32 s5, s5, exec_lo
	s_delay_alu instid0(VALU_DEP_1) | instskip(NEXT) | instid1(VALU_DEP_1)
	v_and_b32_e32 v0, 0xff, v0
	v_cmp_ne_u32_e32 vcc_lo, 0, v0
	s_and_b32 s11, vcc_lo, exec_lo
	s_delay_alu instid0(SALU_CYCLE_1)
	s_or_b32 s5, s5, s11
	s_or_b32 exec_lo, exec_lo, s7
	v_mov_b32_e32 v4, 0
	s_and_saveexec_b32 s7, s5
	s_cbranch_execnz .LBB63_2060
	s_branch .LBB63_2061
.LBB63_2170:
	s_mov_b32 s3, 0
	s_or_b32 s10, s10, exec_lo
	s_trap 2
	s_branch .LBB63_2105
.LBB63_2171:
	s_and_not1_saveexec_b32 s5, s5
	s_cbranch_execz .LBB63_2071
.LBB63_2172:
	v_add_f32_e32 v0, 0x42800000, v1
	s_and_not1_b32 s4, s4, exec_lo
	s_delay_alu instid0(VALU_DEP_1) | instskip(NEXT) | instid1(VALU_DEP_1)
	v_and_b32_e32 v0, 0xff, v0
	v_cmp_ne_u32_e32 vcc_lo, 0, v0
	s_and_b32 s7, vcc_lo, exec_lo
	s_delay_alu instid0(SALU_CYCLE_1)
	s_or_b32 s4, s4, s7
	s_or_b32 exec_lo, exec_lo, s5
	v_mov_b32_e32 v4, 0
	s_and_saveexec_b32 s5, s4
	s_cbranch_execnz .LBB63_2072
	s_branch .LBB63_2073
	.section	.rodata,"a",@progbits
	.p2align	6, 0x0
	.amdhsa_kernel _ZN2at6native32elementwise_kernel_manual_unrollILi128ELi4EZNS0_15gpu_kernel_implIZZZNS0_12_GLOBAL__N_120isposinf_kernel_implERNS_18TensorIteratorBaseEENKUlvE_clEvENKUlvE2_clEvEUlN3c108BFloat16EE_EEvS5_RKT_EUlibE0_EEviT1_
		.amdhsa_group_segment_fixed_size 0
		.amdhsa_private_segment_fixed_size 0
		.amdhsa_kernarg_size 360
		.amdhsa_user_sgpr_count 2
		.amdhsa_user_sgpr_dispatch_ptr 0
		.amdhsa_user_sgpr_queue_ptr 0
		.amdhsa_user_sgpr_kernarg_segment_ptr 1
		.amdhsa_user_sgpr_dispatch_id 0
		.amdhsa_user_sgpr_kernarg_preload_length 0
		.amdhsa_user_sgpr_kernarg_preload_offset 0
		.amdhsa_user_sgpr_private_segment_size 0
		.amdhsa_wavefront_size32 1
		.amdhsa_uses_dynamic_stack 0
		.amdhsa_enable_private_segment 0
		.amdhsa_system_sgpr_workgroup_id_x 1
		.amdhsa_system_sgpr_workgroup_id_y 0
		.amdhsa_system_sgpr_workgroup_id_z 0
		.amdhsa_system_sgpr_workgroup_info 0
		.amdhsa_system_vgpr_workitem_id 0
		.amdhsa_next_free_vgpr 18
		.amdhsa_next_free_sgpr 68
		.amdhsa_named_barrier_count 0
		.amdhsa_reserve_vcc 1
		.amdhsa_float_round_mode_32 0
		.amdhsa_float_round_mode_16_64 0
		.amdhsa_float_denorm_mode_32 3
		.amdhsa_float_denorm_mode_16_64 3
		.amdhsa_fp16_overflow 0
		.amdhsa_memory_ordered 1
		.amdhsa_forward_progress 1
		.amdhsa_inst_pref_size 255
		.amdhsa_round_robin_scheduling 0
		.amdhsa_exception_fp_ieee_invalid_op 0
		.amdhsa_exception_fp_denorm_src 0
		.amdhsa_exception_fp_ieee_div_zero 0
		.amdhsa_exception_fp_ieee_overflow 0
		.amdhsa_exception_fp_ieee_underflow 0
		.amdhsa_exception_fp_ieee_inexact 0
		.amdhsa_exception_int_div_zero 0
	.end_amdhsa_kernel
	.section	.text._ZN2at6native32elementwise_kernel_manual_unrollILi128ELi4EZNS0_15gpu_kernel_implIZZZNS0_12_GLOBAL__N_120isposinf_kernel_implERNS_18TensorIteratorBaseEENKUlvE_clEvENKUlvE2_clEvEUlN3c108BFloat16EE_EEvS5_RKT_EUlibE0_EEviT1_,"axG",@progbits,_ZN2at6native32elementwise_kernel_manual_unrollILi128ELi4EZNS0_15gpu_kernel_implIZZZNS0_12_GLOBAL__N_120isposinf_kernel_implERNS_18TensorIteratorBaseEENKUlvE_clEvENKUlvE2_clEvEUlN3c108BFloat16EE_EEvS5_RKT_EUlibE0_EEviT1_,comdat
.Lfunc_end63:
	.size	_ZN2at6native32elementwise_kernel_manual_unrollILi128ELi4EZNS0_15gpu_kernel_implIZZZNS0_12_GLOBAL__N_120isposinf_kernel_implERNS_18TensorIteratorBaseEENKUlvE_clEvENKUlvE2_clEvEUlN3c108BFloat16EE_EEvS5_RKT_EUlibE0_EEviT1_, .Lfunc_end63-_ZN2at6native32elementwise_kernel_manual_unrollILi128ELi4EZNS0_15gpu_kernel_implIZZZNS0_12_GLOBAL__N_120isposinf_kernel_implERNS_18TensorIteratorBaseEENKUlvE_clEvENKUlvE2_clEvEUlN3c108BFloat16EE_EEvS5_RKT_EUlibE0_EEviT1_
                                        ; -- End function
	.set _ZN2at6native32elementwise_kernel_manual_unrollILi128ELi4EZNS0_15gpu_kernel_implIZZZNS0_12_GLOBAL__N_120isposinf_kernel_implERNS_18TensorIteratorBaseEENKUlvE_clEvENKUlvE2_clEvEUlN3c108BFloat16EE_EEvS5_RKT_EUlibE0_EEviT1_.num_vgpr, 18
	.set _ZN2at6native32elementwise_kernel_manual_unrollILi128ELi4EZNS0_15gpu_kernel_implIZZZNS0_12_GLOBAL__N_120isposinf_kernel_implERNS_18TensorIteratorBaseEENKUlvE_clEvENKUlvE2_clEvEUlN3c108BFloat16EE_EEvS5_RKT_EUlibE0_EEviT1_.num_agpr, 0
	.set _ZN2at6native32elementwise_kernel_manual_unrollILi128ELi4EZNS0_15gpu_kernel_implIZZZNS0_12_GLOBAL__N_120isposinf_kernel_implERNS_18TensorIteratorBaseEENKUlvE_clEvENKUlvE2_clEvEUlN3c108BFloat16EE_EEvS5_RKT_EUlibE0_EEviT1_.numbered_sgpr, 68
	.set _ZN2at6native32elementwise_kernel_manual_unrollILi128ELi4EZNS0_15gpu_kernel_implIZZZNS0_12_GLOBAL__N_120isposinf_kernel_implERNS_18TensorIteratorBaseEENKUlvE_clEvENKUlvE2_clEvEUlN3c108BFloat16EE_EEvS5_RKT_EUlibE0_EEviT1_.num_named_barrier, 0
	.set _ZN2at6native32elementwise_kernel_manual_unrollILi128ELi4EZNS0_15gpu_kernel_implIZZZNS0_12_GLOBAL__N_120isposinf_kernel_implERNS_18TensorIteratorBaseEENKUlvE_clEvENKUlvE2_clEvEUlN3c108BFloat16EE_EEvS5_RKT_EUlibE0_EEviT1_.private_seg_size, 0
	.set _ZN2at6native32elementwise_kernel_manual_unrollILi128ELi4EZNS0_15gpu_kernel_implIZZZNS0_12_GLOBAL__N_120isposinf_kernel_implERNS_18TensorIteratorBaseEENKUlvE_clEvENKUlvE2_clEvEUlN3c108BFloat16EE_EEvS5_RKT_EUlibE0_EEviT1_.uses_vcc, 1
	.set _ZN2at6native32elementwise_kernel_manual_unrollILi128ELi4EZNS0_15gpu_kernel_implIZZZNS0_12_GLOBAL__N_120isposinf_kernel_implERNS_18TensorIteratorBaseEENKUlvE_clEvENKUlvE2_clEvEUlN3c108BFloat16EE_EEvS5_RKT_EUlibE0_EEviT1_.uses_flat_scratch, 0
	.set _ZN2at6native32elementwise_kernel_manual_unrollILi128ELi4EZNS0_15gpu_kernel_implIZZZNS0_12_GLOBAL__N_120isposinf_kernel_implERNS_18TensorIteratorBaseEENKUlvE_clEvENKUlvE2_clEvEUlN3c108BFloat16EE_EEvS5_RKT_EUlibE0_EEviT1_.has_dyn_sized_stack, 0
	.set _ZN2at6native32elementwise_kernel_manual_unrollILi128ELi4EZNS0_15gpu_kernel_implIZZZNS0_12_GLOBAL__N_120isposinf_kernel_implERNS_18TensorIteratorBaseEENKUlvE_clEvENKUlvE2_clEvEUlN3c108BFloat16EE_EEvS5_RKT_EUlibE0_EEviT1_.has_recursion, 0
	.set _ZN2at6native32elementwise_kernel_manual_unrollILi128ELi4EZNS0_15gpu_kernel_implIZZZNS0_12_GLOBAL__N_120isposinf_kernel_implERNS_18TensorIteratorBaseEENKUlvE_clEvENKUlvE2_clEvEUlN3c108BFloat16EE_EEvS5_RKT_EUlibE0_EEviT1_.has_indirect_call, 0
	.section	.AMDGPU.csdata,"",@progbits
; Kernel info:
; codeLenInByte = 47840
; TotalNumSgprs: 70
; NumVgprs: 18
; ScratchSize: 0
; MemoryBound: 0
; FloatMode: 240
; IeeeMode: 1
; LDSByteSize: 0 bytes/workgroup (compile time only)
; SGPRBlocks: 0
; VGPRBlocks: 1
; NumSGPRsForWavesPerEU: 70
; NumVGPRsForWavesPerEU: 18
; NamedBarCnt: 0
; Occupancy: 16
; WaveLimiterHint : 1
; COMPUTE_PGM_RSRC2:SCRATCH_EN: 0
; COMPUTE_PGM_RSRC2:USER_SGPR: 2
; COMPUTE_PGM_RSRC2:TRAP_HANDLER: 0
; COMPUTE_PGM_RSRC2:TGID_X_EN: 1
; COMPUTE_PGM_RSRC2:TGID_Y_EN: 0
; COMPUTE_PGM_RSRC2:TGID_Z_EN: 0
; COMPUTE_PGM_RSRC2:TIDIG_COMP_CNT: 0
	.section	.text._ZN2at6native29vectorized_elementwise_kernelILi16EZZZNS0_12_GLOBAL__N_120isneginf_kernel_implERNS_18TensorIteratorBaseEENKUlvE_clEvENKUlvE_clEvEUldE_St5arrayIPcLm2EEEEviT0_T1_,"axG",@progbits,_ZN2at6native29vectorized_elementwise_kernelILi16EZZZNS0_12_GLOBAL__N_120isneginf_kernel_implERNS_18TensorIteratorBaseEENKUlvE_clEvENKUlvE_clEvEUldE_St5arrayIPcLm2EEEEviT0_T1_,comdat
	.globl	_ZN2at6native29vectorized_elementwise_kernelILi16EZZZNS0_12_GLOBAL__N_120isneginf_kernel_implERNS_18TensorIteratorBaseEENKUlvE_clEvENKUlvE_clEvEUldE_St5arrayIPcLm2EEEEviT0_T1_ ; -- Begin function _ZN2at6native29vectorized_elementwise_kernelILi16EZZZNS0_12_GLOBAL__N_120isneginf_kernel_implERNS_18TensorIteratorBaseEENKUlvE_clEvENKUlvE_clEvEUldE_St5arrayIPcLm2EEEEviT0_T1_
	.p2align	8
	.type	_ZN2at6native29vectorized_elementwise_kernelILi16EZZZNS0_12_GLOBAL__N_120isneginf_kernel_implERNS_18TensorIteratorBaseEENKUlvE_clEvENKUlvE_clEvEUldE_St5arrayIPcLm2EEEEviT0_T1_,@function
_ZN2at6native29vectorized_elementwise_kernelILi16EZZZNS0_12_GLOBAL__N_120isneginf_kernel_implERNS_18TensorIteratorBaseEENKUlvE_clEvENKUlvE_clEvEUldE_St5arrayIPcLm2EEEEviT0_T1_: ; @_ZN2at6native29vectorized_elementwise_kernelILi16EZZZNS0_12_GLOBAL__N_120isneginf_kernel_implERNS_18TensorIteratorBaseEENKUlvE_clEvENKUlvE_clEvEUldE_St5arrayIPcLm2EEEEviT0_T1_
; %bb.0:
	s_clause 0x1
	s_load_b32 s3, s[0:1], 0x0
	s_load_b128 s[4:7], s[0:1], 0x8
	s_wait_xcnt 0x0
	s_bfe_u32 s0, ttmp6, 0x4000c
	s_and_b32 s1, ttmp6, 15
	s_add_co_i32 s0, s0, 1
	s_getreg_b32 s2, hwreg(HW_REG_IB_STS2, 6, 4)
	s_mul_i32 s0, ttmp9, s0
	s_delay_alu instid0(SALU_CYCLE_1) | instskip(SKIP_2) | instid1(SALU_CYCLE_1)
	s_add_co_i32 s1, s1, s0
	s_cmp_eq_u32 s2, 0
	s_cselect_b32 s0, ttmp9, s1
	s_lshl_b32 s2, s0, 12
	s_mov_b32 s0, -1
	s_wait_kmcnt 0x0
	s_sub_co_i32 s1, s3, s2
	s_delay_alu instid0(SALU_CYCLE_1)
	s_cmp_gt_i32 s1, 0xfff
	s_cbranch_scc0 .LBB64_2
; %bb.1:
	s_ashr_i32 s3, s2, 31
	v_lshlrev_b32_e32 v1, 7, v0
	s_lshl_b64 s[8:9], s[2:3], 3
	s_mov_b32 s0, 0
	s_add_nc_u64 s[8:9], s[6:7], s[8:9]
	s_clause 0x7
	global_load_b128 v[2:5], v1, s[8:9] offset:32
	global_load_b128 v[6:9], v1, s[8:9] offset:48
	global_load_b128 v[10:13], v1, s[8:9]
	global_load_b128 v[14:17], v1, s[8:9] offset:16
	global_load_b128 v[18:21], v1, s[8:9] offset:96
	;; [unrolled: 1-line block ×5, first 2 shown]
	s_wait_xcnt 0x0
	s_add_nc_u64 s[8:9], s[4:5], s[2:3]
	s_wait_loadcnt 0x7
	v_cmp_eq_f64_e32 vcc_lo, 0xfff00000, v[4:5]
	v_cndmask_b32_e64 v1, 0, 1, vcc_lo
	v_cmp_eq_f64_e32 vcc_lo, 0xfff00000, v[2:3]
	s_delay_alu instid0(VALU_DEP_2) | instskip(SKIP_3) | instid1(VALU_DEP_2)
	v_lshlrev_b16 v1, 8, v1
	v_cndmask_b32_e64 v2, 0, 1, vcc_lo
	s_wait_loadcnt 0x6
	v_cmp_eq_f64_e32 vcc_lo, 0xfff00000, v[8:9]
	v_or_b32_e32 v1, v2, v1
	v_cndmask_b32_e64 v3, 0, 1, vcc_lo
	v_cmp_eq_f64_e32 vcc_lo, 0xfff00000, v[6:7]
	s_delay_alu instid0(VALU_DEP_2) | instskip(SKIP_3) | instid1(VALU_DEP_2)
	v_lshlrev_b16 v3, 8, v3
	v_cndmask_b32_e64 v4, 0, 1, vcc_lo
	s_wait_loadcnt 0x5
	v_cmp_eq_f64_e32 vcc_lo, 0xfff00000, v[12:13]
	v_or_b32_e32 v2, v4, v3
	s_delay_alu instid0(VALU_DEP_1) | instskip(SKIP_3) | instid1(VALU_DEP_2)
	v_lshlrev_b32_e32 v2, 16, v2
	v_and_b32_e32 v1, 0xffff, v1
	v_cndmask_b32_e64 v5, 0, 1, vcc_lo
	v_cmp_eq_f64_e32 vcc_lo, 0xfff00000, v[10:11]
	v_lshlrev_b16 v5, 8, v5
	v_cndmask_b32_e64 v6, 0, 1, vcc_lo
	s_wait_loadcnt 0x4
	v_cmp_eq_f64_e32 vcc_lo, 0xfff00000, v[16:17]
	v_cndmask_b32_e64 v7, 0, 1, vcc_lo
	v_cmp_eq_f64_e32 vcc_lo, 0xfff00000, v[14:15]
	s_delay_alu instid0(VALU_DEP_2) | instskip(SKIP_3) | instid1(VALU_DEP_2)
	v_lshlrev_b16 v7, 8, v7
	v_cndmask_b32_e64 v8, 0, 1, vcc_lo
	s_wait_loadcnt 0x3
	v_cmp_eq_f64_e32 vcc_lo, 0xfff00000, v[20:21]
	v_or_b32_e32 v4, v8, v7
	v_or_b32_e32 v3, v6, v5
	v_cndmask_b32_e64 v9, 0, 1, vcc_lo
	v_cmp_eq_f64_e32 vcc_lo, 0xfff00000, v[18:19]
	s_delay_alu instid0(VALU_DEP_2)
	v_lshlrev_b16 v9, 8, v9
	v_cndmask_b32_e64 v10, 0, 1, vcc_lo
	s_wait_loadcnt 0x2
	v_cmp_eq_f64_e32 vcc_lo, 0xfff00000, v[24:25]
	v_cndmask_b32_e64 v11, 0, 1, vcc_lo
	v_cmp_eq_f64_e32 vcc_lo, 0xfff00000, v[22:23]
	s_delay_alu instid0(VALU_DEP_2) | instskip(SKIP_3) | instid1(VALU_DEP_2)
	v_lshlrev_b16 v11, 8, v11
	v_cndmask_b32_e64 v12, 0, 1, vcc_lo
	s_wait_loadcnt 0x1
	v_cmp_eq_f64_e32 vcc_lo, 0xfff00000, v[28:29]
	v_or_b32_e32 v6, v12, v11
	s_delay_alu instid0(VALU_DEP_1) | instskip(SKIP_2) | instid1(VALU_DEP_2)
	v_dual_lshlrev_b32 v6, 16, v6 :: v_dual_lshlrev_b32 v4, 16, v4
	v_cndmask_b32_e64 v13, 0, 1, vcc_lo
	v_cmp_eq_f64_e32 vcc_lo, 0xfff00000, v[26:27]
	v_lshlrev_b16 v13, 8, v13
	v_cndmask_b32_e64 v14, 0, 1, vcc_lo
	s_wait_loadcnt 0x0
	v_cmp_eq_f64_e32 vcc_lo, 0xfff00000, v[32:33]
	s_delay_alu instid0(VALU_DEP_2) | instskip(NEXT) | instid1(VALU_DEP_1)
	v_or_b32_e32 v7, v14, v13
	v_and_b32_e32 v7, 0xffff, v7
	v_cndmask_b32_e64 v15, 0, 1, vcc_lo
	v_cmp_eq_f64_e32 vcc_lo, 0xfff00000, v[30:31]
	s_delay_alu instid0(VALU_DEP_2) | instskip(SKIP_1) | instid1(VALU_DEP_1)
	v_lshlrev_b16 v15, 8, v15
	v_cndmask_b32_e64 v16, 0, 1, vcc_lo
	v_or_b32_e32 v8, v16, v15
	v_or_b32_e32 v5, v10, v9
	v_and_b32_e32 v9, 0xffff, v3
	s_delay_alu instid0(VALU_DEP_3) | instskip(NEXT) | instid1(VALU_DEP_3)
	v_dual_lshlrev_b32 v8, 16, v8 :: v_dual_bitop2_b32 v3, v1, v2 bitop3:0x54
	v_and_b32_e32 v5, 0xffff, v5
	s_delay_alu instid0(VALU_DEP_3) | instskip(NEXT) | instid1(VALU_DEP_3)
	v_or_b32_e32 v2, v9, v4
	v_or_b32_e32 v4, v7, v8
	s_delay_alu instid0(VALU_DEP_3)
	v_or_b32_e32 v5, v5, v6
	global_store_b128 v0, v[2:5], s[8:9] scale_offset
.LBB64_2:
	s_and_not1_b32 vcc_lo, exec_lo, s0
	s_cbranch_vccnz .LBB64_50
; %bb.3:
	v_cmp_gt_i32_e32 vcc_lo, s1, v0
	s_wait_xcnt 0x0
	v_dual_mov_b32 v3, v0 :: v_dual_bitop2_b32 v1, s2, v0 bitop3:0x54
	v_or_b32_e32 v2, 0x100, v0
	s_mov_b32 s3, 0
	s_mov_b32 s9, 0
	s_and_saveexec_b32 s8, vcc_lo
	s_cbranch_execz .LBB64_5
; %bb.4:
	global_load_b64 v[4:5], v1, s[6:7] scale_offset
	v_or_b32_e32 v3, 0x100, v0
	s_wait_loadcnt 0x0
	v_cmp_eq_f64_e64 s0, 0xfff00000, v[4:5]
	s_and_b32 s9, s0, exec_lo
.LBB64_5:
	s_wait_xcnt 0x0
	s_or_b32 exec_lo, exec_lo, s8
	s_delay_alu instid0(SALU_CYCLE_1)
	s_mov_b32 s8, exec_lo
	v_cmpx_gt_i32_e64 s1, v3
	s_cbranch_execz .LBB64_7
; %bb.6:
	v_add_nc_u32_e32 v4, s2, v3
	v_add_nc_u32_e32 v3, 0x100, v3
	global_load_b64 v[4:5], v4, s[6:7] scale_offset
	s_wait_loadcnt 0x0
	v_cmp_eq_f64_e64 s0, 0xfff00000, v[4:5]
	s_and_b32 s3, s0, exec_lo
.LBB64_7:
	s_wait_xcnt 0x0
	s_or_b32 exec_lo, exec_lo, s8
	s_mov_b32 s8, 0
	s_mov_b32 s11, 0
	s_mov_b32 s10, exec_lo
	v_cmpx_gt_i32_e64 s1, v3
	s_cbranch_execz .LBB64_9
; %bb.8:
	v_add_nc_u32_e32 v4, s2, v3
	v_add_nc_u32_e32 v3, 0x100, v3
	global_load_b64 v[4:5], v4, s[6:7] scale_offset
	s_wait_loadcnt 0x0
	v_cmp_eq_f64_e64 s0, 0xfff00000, v[4:5]
	s_and_b32 s11, s0, exec_lo
.LBB64_9:
	s_wait_xcnt 0x0
	s_or_b32 exec_lo, exec_lo, s10
	s_delay_alu instid0(SALU_CYCLE_1)
	s_mov_b32 s10, exec_lo
	v_cmpx_gt_i32_e64 s1, v3
	s_cbranch_execz .LBB64_11
; %bb.10:
	v_add_nc_u32_e32 v4, s2, v3
	v_add_nc_u32_e32 v3, 0x100, v3
	global_load_b64 v[4:5], v4, s[6:7] scale_offset
	s_wait_loadcnt 0x0
	v_cmp_eq_f64_e64 s0, 0xfff00000, v[4:5]
	s_and_b32 s8, s0, exec_lo
.LBB64_11:
	s_wait_xcnt 0x0
	s_or_b32 exec_lo, exec_lo, s10
	s_mov_b32 s10, 0
	s_mov_b32 s13, 0
	s_mov_b32 s12, exec_lo
	v_cmpx_gt_i32_e64 s1, v3
	s_cbranch_execz .LBB64_13
; %bb.12:
	v_add_nc_u32_e32 v4, s2, v3
	v_add_nc_u32_e32 v3, 0x100, v3
	global_load_b64 v[4:5], v4, s[6:7] scale_offset
	s_wait_loadcnt 0x0
	v_cmp_eq_f64_e64 s0, 0xfff00000, v[4:5]
	s_and_b32 s13, s0, exec_lo
.LBB64_13:
	;; [unrolled: 29-line block ×6, first 2 shown]
	s_wait_xcnt 0x0
	s_or_b32 exec_lo, exec_lo, s20
	s_delay_alu instid0(SALU_CYCLE_1)
	s_mov_b32 s20, exec_lo
	v_cmpx_gt_i32_e64 s1, v3
	s_cbranch_execz .LBB64_31
; %bb.30:
	v_add_nc_u32_e32 v4, s2, v3
	v_add_nc_u32_e32 v3, 0x100, v3
	global_load_b64 v[4:5], v4, s[6:7] scale_offset
	s_wait_loadcnt 0x0
	v_cmp_eq_f64_e64 s0, 0xfff00000, v[4:5]
	s_and_b32 s18, s0, exec_lo
.LBB64_31:
	s_wait_xcnt 0x0
	s_or_b32 exec_lo, exec_lo, s20
	s_mov_b32 s20, 0
	s_mov_b32 s22, 0
	s_mov_b32 s23, exec_lo
	v_cmpx_gt_i32_e64 s1, v3
	s_cbranch_execnz .LBB64_51
; %bb.32:
	s_or_b32 exec_lo, exec_lo, s23
	s_delay_alu instid0(SALU_CYCLE_1)
	s_mov_b32 s23, exec_lo
	v_cmpx_gt_i32_e64 s1, v3
	s_cbranch_execnz .LBB64_52
.LBB64_33:
	s_or_b32 exec_lo, exec_lo, s23
	s_and_saveexec_b32 s0, vcc_lo
	s_cbranch_execnz .LBB64_53
.LBB64_34:
	s_or_b32 exec_lo, exec_lo, s0
	s_delay_alu instid0(SALU_CYCLE_1)
	s_mov_b32 s0, exec_lo
	v_cmpx_gt_i32_e64 s1, v0
	s_cbranch_execnz .LBB64_54
.LBB64_35:
	s_or_b32 exec_lo, exec_lo, s0
	s_delay_alu instid0(SALU_CYCLE_1)
	s_mov_b32 s0, exec_lo
	v_cmpx_gt_i32_e64 s1, v0
	s_cbranch_execnz .LBB64_55
.LBB64_36:
	s_or_b32 exec_lo, exec_lo, s0
	s_delay_alu instid0(SALU_CYCLE_1)
	s_mov_b32 s0, exec_lo
	v_cmpx_gt_i32_e64 s1, v0
	s_cbranch_execnz .LBB64_56
.LBB64_37:
	s_or_b32 exec_lo, exec_lo, s0
	s_delay_alu instid0(SALU_CYCLE_1)
	s_mov_b32 s0, exec_lo
	v_cmpx_gt_i32_e64 s1, v0
	s_cbranch_execnz .LBB64_57
.LBB64_38:
	s_or_b32 exec_lo, exec_lo, s0
	s_delay_alu instid0(SALU_CYCLE_1)
	s_mov_b32 s0, exec_lo
	v_cmpx_gt_i32_e64 s1, v0
	s_cbranch_execnz .LBB64_58
.LBB64_39:
	s_or_b32 exec_lo, exec_lo, s0
	s_delay_alu instid0(SALU_CYCLE_1)
	s_mov_b32 s0, exec_lo
	v_cmpx_gt_i32_e64 s1, v0
	s_cbranch_execnz .LBB64_59
.LBB64_40:
	s_or_b32 exec_lo, exec_lo, s0
	s_delay_alu instid0(SALU_CYCLE_1)
	s_mov_b32 s0, exec_lo
	v_cmpx_gt_i32_e64 s1, v0
	s_cbranch_execnz .LBB64_60
.LBB64_41:
	s_or_b32 exec_lo, exec_lo, s0
	s_delay_alu instid0(SALU_CYCLE_1)
	s_mov_b32 s0, exec_lo
	v_cmpx_gt_i32_e64 s1, v0
	s_cbranch_execnz .LBB64_61
.LBB64_42:
	s_or_b32 exec_lo, exec_lo, s0
	s_delay_alu instid0(SALU_CYCLE_1)
	s_mov_b32 s0, exec_lo
	v_cmpx_gt_i32_e64 s1, v0
	s_cbranch_execnz .LBB64_62
.LBB64_43:
	s_or_b32 exec_lo, exec_lo, s0
	s_delay_alu instid0(SALU_CYCLE_1)
	s_mov_b32 s0, exec_lo
	v_cmpx_gt_i32_e64 s1, v0
	s_cbranch_execnz .LBB64_63
.LBB64_44:
	s_or_b32 exec_lo, exec_lo, s0
	s_delay_alu instid0(SALU_CYCLE_1)
	s_mov_b32 s0, exec_lo
	v_cmpx_gt_i32_e64 s1, v0
	s_cbranch_execnz .LBB64_64
.LBB64_45:
	s_or_b32 exec_lo, exec_lo, s0
	s_delay_alu instid0(SALU_CYCLE_1)
	s_mov_b32 s0, exec_lo
	v_cmpx_gt_i32_e64 s1, v0
	s_cbranch_execnz .LBB64_65
.LBB64_46:
	s_or_b32 exec_lo, exec_lo, s0
	s_delay_alu instid0(SALU_CYCLE_1)
	s_mov_b32 s0, exec_lo
	v_cmpx_gt_i32_e64 s1, v0
	s_cbranch_execnz .LBB64_66
.LBB64_47:
	s_or_b32 exec_lo, exec_lo, s0
	s_delay_alu instid0(SALU_CYCLE_1)
	s_mov_b32 s0, exec_lo
	v_cmpx_gt_i32_e64 s1, v0
	s_cbranch_execnz .LBB64_67
.LBB64_48:
	s_or_b32 exec_lo, exec_lo, s0
	s_delay_alu instid0(SALU_CYCLE_1)
	s_mov_b32 s0, exec_lo
	v_cmpx_gt_i32_e64 s1, v0
	s_cbranch_execz .LBB64_50
.LBB64_49:
	v_cndmask_b32_e64 v1, 0, 1, s20
	v_add_nc_u32_e32 v0, s2, v0
	global_store_b8 v0, v1, s[4:5]
.LBB64_50:
	s_endpgm
.LBB64_51:
	v_add_nc_u32_e32 v4, s2, v3
	v_add_nc_u32_e32 v3, 0x100, v3
	global_load_b64 v[4:5], v4, s[6:7] scale_offset
	s_wait_loadcnt 0x0
	v_cmp_eq_f64_e64 s0, 0xfff00000, v[4:5]
	s_and_b32 s22, s0, exec_lo
	s_wait_xcnt 0x0
	s_or_b32 exec_lo, exec_lo, s23
	s_delay_alu instid0(SALU_CYCLE_1)
	s_mov_b32 s23, exec_lo
	v_cmpx_gt_i32_e64 s1, v3
	s_cbranch_execz .LBB64_33
.LBB64_52:
	v_add_nc_u32_e32 v3, s2, v3
	global_load_b64 v[4:5], v3, s[6:7] scale_offset
	s_wait_loadcnt 0x0
	v_cmp_eq_f64_e64 s0, 0xfff00000, v[4:5]
	s_and_b32 s20, s0, exec_lo
	s_wait_xcnt 0x0
	s_or_b32 exec_lo, exec_lo, s23
	s_and_saveexec_b32 s0, vcc_lo
	s_cbranch_execz .LBB64_34
.LBB64_53:
	v_cndmask_b32_e64 v3, 0, 1, s9
	v_mov_b32_e32 v0, v2
	global_store_b8 v1, v3, s[4:5]
	s_wait_xcnt 0x0
	s_or_b32 exec_lo, exec_lo, s0
	s_delay_alu instid0(SALU_CYCLE_1)
	s_mov_b32 s0, exec_lo
	v_cmpx_gt_i32_e64 s1, v0
	s_cbranch_execz .LBB64_35
.LBB64_54:
	v_cndmask_b32_e64 v1, 0, 1, s3
	v_add_nc_u32_e32 v2, s2, v0
	v_add_nc_u32_e32 v0, 0x100, v0
	global_store_b8 v2, v1, s[4:5]
	s_wait_xcnt 0x0
	s_or_b32 exec_lo, exec_lo, s0
	s_delay_alu instid0(SALU_CYCLE_1)
	s_mov_b32 s0, exec_lo
	v_cmpx_gt_i32_e64 s1, v0
	s_cbranch_execz .LBB64_36
.LBB64_55:
	v_cndmask_b32_e64 v1, 0, 1, s11
	v_add_nc_u32_e32 v2, s2, v0
	v_add_nc_u32_e32 v0, 0x100, v0
	global_store_b8 v2, v1, s[4:5]
	s_wait_xcnt 0x0
	s_or_b32 exec_lo, exec_lo, s0
	s_delay_alu instid0(SALU_CYCLE_1)
	s_mov_b32 s0, exec_lo
	v_cmpx_gt_i32_e64 s1, v0
	s_cbranch_execz .LBB64_37
.LBB64_56:
	v_cndmask_b32_e64 v1, 0, 1, s8
	v_add_nc_u32_e32 v2, s2, v0
	v_add_nc_u32_e32 v0, 0x100, v0
	global_store_b8 v2, v1, s[4:5]
	s_wait_xcnt 0x0
	s_or_b32 exec_lo, exec_lo, s0
	s_delay_alu instid0(SALU_CYCLE_1)
	s_mov_b32 s0, exec_lo
	v_cmpx_gt_i32_e64 s1, v0
	s_cbranch_execz .LBB64_38
.LBB64_57:
	v_cndmask_b32_e64 v1, 0, 1, s13
	v_add_nc_u32_e32 v2, s2, v0
	v_add_nc_u32_e32 v0, 0x100, v0
	global_store_b8 v2, v1, s[4:5]
	s_wait_xcnt 0x0
	s_or_b32 exec_lo, exec_lo, s0
	s_delay_alu instid0(SALU_CYCLE_1)
	s_mov_b32 s0, exec_lo
	v_cmpx_gt_i32_e64 s1, v0
	s_cbranch_execz .LBB64_39
.LBB64_58:
	v_cndmask_b32_e64 v1, 0, 1, s10
	v_add_nc_u32_e32 v2, s2, v0
	v_add_nc_u32_e32 v0, 0x100, v0
	global_store_b8 v2, v1, s[4:5]
	s_wait_xcnt 0x0
	s_or_b32 exec_lo, exec_lo, s0
	s_delay_alu instid0(SALU_CYCLE_1)
	s_mov_b32 s0, exec_lo
	v_cmpx_gt_i32_e64 s1, v0
	s_cbranch_execz .LBB64_40
.LBB64_59:
	v_cndmask_b32_e64 v1, 0, 1, s15
	v_add_nc_u32_e32 v2, s2, v0
	v_add_nc_u32_e32 v0, 0x100, v0
	global_store_b8 v2, v1, s[4:5]
	s_wait_xcnt 0x0
	s_or_b32 exec_lo, exec_lo, s0
	s_delay_alu instid0(SALU_CYCLE_1)
	s_mov_b32 s0, exec_lo
	v_cmpx_gt_i32_e64 s1, v0
	s_cbranch_execz .LBB64_41
.LBB64_60:
	v_cndmask_b32_e64 v1, 0, 1, s12
	v_add_nc_u32_e32 v2, s2, v0
	v_add_nc_u32_e32 v0, 0x100, v0
	global_store_b8 v2, v1, s[4:5]
	s_wait_xcnt 0x0
	s_or_b32 exec_lo, exec_lo, s0
	s_delay_alu instid0(SALU_CYCLE_1)
	s_mov_b32 s0, exec_lo
	v_cmpx_gt_i32_e64 s1, v0
	s_cbranch_execz .LBB64_42
.LBB64_61:
	v_cndmask_b32_e64 v1, 0, 1, s17
	v_add_nc_u32_e32 v2, s2, v0
	v_add_nc_u32_e32 v0, 0x100, v0
	global_store_b8 v2, v1, s[4:5]
	s_wait_xcnt 0x0
	s_or_b32 exec_lo, exec_lo, s0
	s_delay_alu instid0(SALU_CYCLE_1)
	s_mov_b32 s0, exec_lo
	v_cmpx_gt_i32_e64 s1, v0
	s_cbranch_execz .LBB64_43
.LBB64_62:
	v_cndmask_b32_e64 v1, 0, 1, s14
	v_add_nc_u32_e32 v2, s2, v0
	v_add_nc_u32_e32 v0, 0x100, v0
	global_store_b8 v2, v1, s[4:5]
	s_wait_xcnt 0x0
	s_or_b32 exec_lo, exec_lo, s0
	s_delay_alu instid0(SALU_CYCLE_1)
	s_mov_b32 s0, exec_lo
	v_cmpx_gt_i32_e64 s1, v0
	s_cbranch_execz .LBB64_44
.LBB64_63:
	v_cndmask_b32_e64 v1, 0, 1, s19
	v_add_nc_u32_e32 v2, s2, v0
	v_add_nc_u32_e32 v0, 0x100, v0
	global_store_b8 v2, v1, s[4:5]
	s_wait_xcnt 0x0
	s_or_b32 exec_lo, exec_lo, s0
	s_delay_alu instid0(SALU_CYCLE_1)
	s_mov_b32 s0, exec_lo
	v_cmpx_gt_i32_e64 s1, v0
	s_cbranch_execz .LBB64_45
.LBB64_64:
	v_cndmask_b32_e64 v1, 0, 1, s16
	v_add_nc_u32_e32 v2, s2, v0
	v_add_nc_u32_e32 v0, 0x100, v0
	global_store_b8 v2, v1, s[4:5]
	s_wait_xcnt 0x0
	s_or_b32 exec_lo, exec_lo, s0
	s_delay_alu instid0(SALU_CYCLE_1)
	s_mov_b32 s0, exec_lo
	v_cmpx_gt_i32_e64 s1, v0
	s_cbranch_execz .LBB64_46
.LBB64_65:
	v_cndmask_b32_e64 v1, 0, 1, s21
	v_add_nc_u32_e32 v2, s2, v0
	v_add_nc_u32_e32 v0, 0x100, v0
	global_store_b8 v2, v1, s[4:5]
	s_wait_xcnt 0x0
	s_or_b32 exec_lo, exec_lo, s0
	s_delay_alu instid0(SALU_CYCLE_1)
	s_mov_b32 s0, exec_lo
	v_cmpx_gt_i32_e64 s1, v0
	s_cbranch_execz .LBB64_47
.LBB64_66:
	v_cndmask_b32_e64 v1, 0, 1, s18
	v_add_nc_u32_e32 v2, s2, v0
	v_add_nc_u32_e32 v0, 0x100, v0
	global_store_b8 v2, v1, s[4:5]
	s_wait_xcnt 0x0
	s_or_b32 exec_lo, exec_lo, s0
	s_delay_alu instid0(SALU_CYCLE_1)
	s_mov_b32 s0, exec_lo
	v_cmpx_gt_i32_e64 s1, v0
	s_cbranch_execz .LBB64_48
.LBB64_67:
	v_cndmask_b32_e64 v1, 0, 1, s22
	v_add_nc_u32_e32 v2, s2, v0
	v_add_nc_u32_e32 v0, 0x100, v0
	global_store_b8 v2, v1, s[4:5]
	s_wait_xcnt 0x0
	s_or_b32 exec_lo, exec_lo, s0
	s_delay_alu instid0(SALU_CYCLE_1)
	s_mov_b32 s0, exec_lo
	v_cmpx_gt_i32_e64 s1, v0
	s_cbranch_execnz .LBB64_49
	s_branch .LBB64_50
	.section	.rodata,"a",@progbits
	.p2align	6, 0x0
	.amdhsa_kernel _ZN2at6native29vectorized_elementwise_kernelILi16EZZZNS0_12_GLOBAL__N_120isneginf_kernel_implERNS_18TensorIteratorBaseEENKUlvE_clEvENKUlvE_clEvEUldE_St5arrayIPcLm2EEEEviT0_T1_
		.amdhsa_group_segment_fixed_size 0
		.amdhsa_private_segment_fixed_size 0
		.amdhsa_kernarg_size 24
		.amdhsa_user_sgpr_count 2
		.amdhsa_user_sgpr_dispatch_ptr 0
		.amdhsa_user_sgpr_queue_ptr 0
		.amdhsa_user_sgpr_kernarg_segment_ptr 1
		.amdhsa_user_sgpr_dispatch_id 0
		.amdhsa_user_sgpr_kernarg_preload_length 0
		.amdhsa_user_sgpr_kernarg_preload_offset 0
		.amdhsa_user_sgpr_private_segment_size 0
		.amdhsa_wavefront_size32 1
		.amdhsa_uses_dynamic_stack 0
		.amdhsa_enable_private_segment 0
		.amdhsa_system_sgpr_workgroup_id_x 1
		.amdhsa_system_sgpr_workgroup_id_y 0
		.amdhsa_system_sgpr_workgroup_id_z 0
		.amdhsa_system_sgpr_workgroup_info 0
		.amdhsa_system_vgpr_workitem_id 0
		.amdhsa_next_free_vgpr 34
		.amdhsa_next_free_sgpr 24
		.amdhsa_named_barrier_count 0
		.amdhsa_reserve_vcc 1
		.amdhsa_float_round_mode_32 0
		.amdhsa_float_round_mode_16_64 0
		.amdhsa_float_denorm_mode_32 3
		.amdhsa_float_denorm_mode_16_64 3
		.amdhsa_fp16_overflow 0
		.amdhsa_memory_ordered 1
		.amdhsa_forward_progress 1
		.amdhsa_inst_pref_size 26
		.amdhsa_round_robin_scheduling 0
		.amdhsa_exception_fp_ieee_invalid_op 0
		.amdhsa_exception_fp_denorm_src 0
		.amdhsa_exception_fp_ieee_div_zero 0
		.amdhsa_exception_fp_ieee_overflow 0
		.amdhsa_exception_fp_ieee_underflow 0
		.amdhsa_exception_fp_ieee_inexact 0
		.amdhsa_exception_int_div_zero 0
	.end_amdhsa_kernel
	.section	.text._ZN2at6native29vectorized_elementwise_kernelILi16EZZZNS0_12_GLOBAL__N_120isneginf_kernel_implERNS_18TensorIteratorBaseEENKUlvE_clEvENKUlvE_clEvEUldE_St5arrayIPcLm2EEEEviT0_T1_,"axG",@progbits,_ZN2at6native29vectorized_elementwise_kernelILi16EZZZNS0_12_GLOBAL__N_120isneginf_kernel_implERNS_18TensorIteratorBaseEENKUlvE_clEvENKUlvE_clEvEUldE_St5arrayIPcLm2EEEEviT0_T1_,comdat
.Lfunc_end64:
	.size	_ZN2at6native29vectorized_elementwise_kernelILi16EZZZNS0_12_GLOBAL__N_120isneginf_kernel_implERNS_18TensorIteratorBaseEENKUlvE_clEvENKUlvE_clEvEUldE_St5arrayIPcLm2EEEEviT0_T1_, .Lfunc_end64-_ZN2at6native29vectorized_elementwise_kernelILi16EZZZNS0_12_GLOBAL__N_120isneginf_kernel_implERNS_18TensorIteratorBaseEENKUlvE_clEvENKUlvE_clEvEUldE_St5arrayIPcLm2EEEEviT0_T1_
                                        ; -- End function
	.set _ZN2at6native29vectorized_elementwise_kernelILi16EZZZNS0_12_GLOBAL__N_120isneginf_kernel_implERNS_18TensorIteratorBaseEENKUlvE_clEvENKUlvE_clEvEUldE_St5arrayIPcLm2EEEEviT0_T1_.num_vgpr, 34
	.set _ZN2at6native29vectorized_elementwise_kernelILi16EZZZNS0_12_GLOBAL__N_120isneginf_kernel_implERNS_18TensorIteratorBaseEENKUlvE_clEvENKUlvE_clEvEUldE_St5arrayIPcLm2EEEEviT0_T1_.num_agpr, 0
	.set _ZN2at6native29vectorized_elementwise_kernelILi16EZZZNS0_12_GLOBAL__N_120isneginf_kernel_implERNS_18TensorIteratorBaseEENKUlvE_clEvENKUlvE_clEvEUldE_St5arrayIPcLm2EEEEviT0_T1_.numbered_sgpr, 24
	.set _ZN2at6native29vectorized_elementwise_kernelILi16EZZZNS0_12_GLOBAL__N_120isneginf_kernel_implERNS_18TensorIteratorBaseEENKUlvE_clEvENKUlvE_clEvEUldE_St5arrayIPcLm2EEEEviT0_T1_.num_named_barrier, 0
	.set _ZN2at6native29vectorized_elementwise_kernelILi16EZZZNS0_12_GLOBAL__N_120isneginf_kernel_implERNS_18TensorIteratorBaseEENKUlvE_clEvENKUlvE_clEvEUldE_St5arrayIPcLm2EEEEviT0_T1_.private_seg_size, 0
	.set _ZN2at6native29vectorized_elementwise_kernelILi16EZZZNS0_12_GLOBAL__N_120isneginf_kernel_implERNS_18TensorIteratorBaseEENKUlvE_clEvENKUlvE_clEvEUldE_St5arrayIPcLm2EEEEviT0_T1_.uses_vcc, 1
	.set _ZN2at6native29vectorized_elementwise_kernelILi16EZZZNS0_12_GLOBAL__N_120isneginf_kernel_implERNS_18TensorIteratorBaseEENKUlvE_clEvENKUlvE_clEvEUldE_St5arrayIPcLm2EEEEviT0_T1_.uses_flat_scratch, 0
	.set _ZN2at6native29vectorized_elementwise_kernelILi16EZZZNS0_12_GLOBAL__N_120isneginf_kernel_implERNS_18TensorIteratorBaseEENKUlvE_clEvENKUlvE_clEvEUldE_St5arrayIPcLm2EEEEviT0_T1_.has_dyn_sized_stack, 0
	.set _ZN2at6native29vectorized_elementwise_kernelILi16EZZZNS0_12_GLOBAL__N_120isneginf_kernel_implERNS_18TensorIteratorBaseEENKUlvE_clEvENKUlvE_clEvEUldE_St5arrayIPcLm2EEEEviT0_T1_.has_recursion, 0
	.set _ZN2at6native29vectorized_elementwise_kernelILi16EZZZNS0_12_GLOBAL__N_120isneginf_kernel_implERNS_18TensorIteratorBaseEENKUlvE_clEvENKUlvE_clEvEUldE_St5arrayIPcLm2EEEEviT0_T1_.has_indirect_call, 0
	.section	.AMDGPU.csdata,"",@progbits
; Kernel info:
; codeLenInByte = 3268
; TotalNumSgprs: 26
; NumVgprs: 34
; ScratchSize: 0
; MemoryBound: 1
; FloatMode: 240
; IeeeMode: 1
; LDSByteSize: 0 bytes/workgroup (compile time only)
; SGPRBlocks: 0
; VGPRBlocks: 2
; NumSGPRsForWavesPerEU: 26
; NumVGPRsForWavesPerEU: 34
; NamedBarCnt: 0
; Occupancy: 16
; WaveLimiterHint : 0
; COMPUTE_PGM_RSRC2:SCRATCH_EN: 0
; COMPUTE_PGM_RSRC2:USER_SGPR: 2
; COMPUTE_PGM_RSRC2:TRAP_HANDLER: 0
; COMPUTE_PGM_RSRC2:TGID_X_EN: 1
; COMPUTE_PGM_RSRC2:TGID_Y_EN: 0
; COMPUTE_PGM_RSRC2:TGID_Z_EN: 0
; COMPUTE_PGM_RSRC2:TIDIG_COMP_CNT: 0
	.section	.text._ZN2at6native29vectorized_elementwise_kernelILi8EZZZNS0_12_GLOBAL__N_120isneginf_kernel_implERNS_18TensorIteratorBaseEENKUlvE_clEvENKUlvE_clEvEUldE_St5arrayIPcLm2EEEEviT0_T1_,"axG",@progbits,_ZN2at6native29vectorized_elementwise_kernelILi8EZZZNS0_12_GLOBAL__N_120isneginf_kernel_implERNS_18TensorIteratorBaseEENKUlvE_clEvENKUlvE_clEvEUldE_St5arrayIPcLm2EEEEviT0_T1_,comdat
	.globl	_ZN2at6native29vectorized_elementwise_kernelILi8EZZZNS0_12_GLOBAL__N_120isneginf_kernel_implERNS_18TensorIteratorBaseEENKUlvE_clEvENKUlvE_clEvEUldE_St5arrayIPcLm2EEEEviT0_T1_ ; -- Begin function _ZN2at6native29vectorized_elementwise_kernelILi8EZZZNS0_12_GLOBAL__N_120isneginf_kernel_implERNS_18TensorIteratorBaseEENKUlvE_clEvENKUlvE_clEvEUldE_St5arrayIPcLm2EEEEviT0_T1_
	.p2align	8
	.type	_ZN2at6native29vectorized_elementwise_kernelILi8EZZZNS0_12_GLOBAL__N_120isneginf_kernel_implERNS_18TensorIteratorBaseEENKUlvE_clEvENKUlvE_clEvEUldE_St5arrayIPcLm2EEEEviT0_T1_,@function
_ZN2at6native29vectorized_elementwise_kernelILi8EZZZNS0_12_GLOBAL__N_120isneginf_kernel_implERNS_18TensorIteratorBaseEENKUlvE_clEvENKUlvE_clEvEUldE_St5arrayIPcLm2EEEEviT0_T1_: ; @_ZN2at6native29vectorized_elementwise_kernelILi8EZZZNS0_12_GLOBAL__N_120isneginf_kernel_implERNS_18TensorIteratorBaseEENKUlvE_clEvENKUlvE_clEvEUldE_St5arrayIPcLm2EEEEviT0_T1_
; %bb.0:
	s_clause 0x1
	s_load_b32 s3, s[0:1], 0x0
	s_load_b128 s[4:7], s[0:1], 0x8
	s_wait_xcnt 0x0
	s_bfe_u32 s0, ttmp6, 0x4000c
	s_and_b32 s1, ttmp6, 15
	s_add_co_i32 s0, s0, 1
	s_getreg_b32 s2, hwreg(HW_REG_IB_STS2, 6, 4)
	s_mul_i32 s0, ttmp9, s0
	s_delay_alu instid0(SALU_CYCLE_1) | instskip(SKIP_2) | instid1(SALU_CYCLE_1)
	s_add_co_i32 s1, s1, s0
	s_cmp_eq_u32 s2, 0
	s_cselect_b32 s0, ttmp9, s1
	s_lshl_b32 s2, s0, 12
	s_mov_b32 s0, -1
	s_wait_kmcnt 0x0
	s_sub_co_i32 s1, s3, s2
	s_delay_alu instid0(SALU_CYCLE_1)
	s_cmp_gt_i32 s1, 0xfff
	s_cbranch_scc0 .LBB65_2
; %bb.1:
	s_ashr_i32 s3, s2, 31
	v_lshlrev_b32_e32 v1, 6, v0
	s_lshl_b64 s[8:9], s[2:3], 3
	s_mov_b32 s0, 0
	s_add_nc_u64 s[8:9], s[6:7], s[8:9]
	s_clause 0x7
	global_load_b128 v[2:5], v1, s[8:9]
	global_load_b128 v[6:9], v1, s[8:9] offset:16
	global_load_b128 v[10:13], v1, s[8:9] offset:32
	;; [unrolled: 1-line block ×7, first 2 shown]
	s_wait_xcnt 0x0
	v_or3_b32 v1, 0, 0, 0
	s_add_nc_u64 s[8:9], s[4:5], s[2:3]
	s_wait_loadcnt 0x7
	v_cmp_eq_f64_e32 vcc_lo, 0xfff00000, v[2:3]
	v_cndmask_b32_e64 v2, 0, 1, vcc_lo
	v_cmp_eq_f64_e32 vcc_lo, 0xfff00000, v[4:5]
	v_cndmask_b32_e64 v3, 0, 0x100, vcc_lo
	s_wait_loadcnt 0x6
	v_cmp_eq_f64_e32 vcc_lo, 0xfff00000, v[6:7]
	s_delay_alu instid0(VALU_DEP_2)
	v_or_b32_e32 v2, v3, v2
	v_cndmask_b32_e64 v4, 0, 0x10000, vcc_lo
	v_cmp_eq_f64_e32 vcc_lo, 0xfff00000, v[8:9]
	v_cndmask_b32_e64 v5, 0, 0x1000000, vcc_lo
	s_wait_loadcnt 0x5
	v_cmp_eq_f64_e32 vcc_lo, 0xfff00000, v[10:11]
	s_delay_alu instid0(VALU_DEP_2) | instskip(NEXT) | instid1(VALU_DEP_1)
	v_or3_b32 v2, v2, v4, v5
	v_or3_b32 v2, v2, 0, 0
	s_delay_alu instid0(VALU_DEP_1)
	v_or3_b32 v2, v2, 0, 0
	v_cndmask_b32_e64 v6, 0, 1, vcc_lo
	v_cmp_eq_f64_e32 vcc_lo, 0xfff00000, v[12:13]
	v_cndmask_b32_e64 v7, 0, 0x100, vcc_lo
	s_wait_loadcnt 0x4
	v_cmp_eq_f64_e32 vcc_lo, 0xfff00000, v[14:15]
	s_delay_alu instid0(VALU_DEP_2)
	v_or3_b32 v5, v1, v6, v7
	v_cndmask_b32_e64 v8, 0, 0x10000, vcc_lo
	v_cmp_eq_f64_e32 vcc_lo, 0xfff00000, v[16:17]
	v_cndmask_b32_e64 v9, 0, 0x1000000, vcc_lo
	s_wait_loadcnt 0x3
	v_cmp_eq_f64_e32 vcc_lo, 0xfff00000, v[18:19]
	v_cndmask_b32_e64 v10, 0, 1, vcc_lo
	v_cmp_eq_f64_e32 vcc_lo, 0xfff00000, v[20:21]
	v_cndmask_b32_e64 v11, 0, 0x100, vcc_lo
	s_wait_loadcnt 0x2
	v_cmp_eq_f64_e32 vcc_lo, 0xfff00000, v[22:23]
	s_delay_alu instid0(VALU_DEP_2)
	v_or_b32_e32 v3, v11, v10
	v_cndmask_b32_e64 v12, 0, 0x10000, vcc_lo
	v_cmp_eq_f64_e32 vcc_lo, 0xfff00000, v[24:25]
	v_cndmask_b32_e64 v13, 0, 0x1000000, vcc_lo
	s_wait_loadcnt 0x1
	v_cmp_eq_f64_e32 vcc_lo, 0xfff00000, v[26:27]
	s_delay_alu instid0(VALU_DEP_2) | instskip(NEXT) | instid1(VALU_DEP_1)
	v_or3_b32 v3, v3, v12, v13
	v_or3_b32 v6, v3, 0, 0
	;; [unrolled: 1-line block ×3, first 2 shown]
	v_cndmask_b32_e64 v14, 0, 1, vcc_lo
	v_cmp_eq_f64_e32 vcc_lo, 0xfff00000, v[28:29]
	v_cndmask_b32_e64 v10, 0, 0x100, vcc_lo
	s_wait_loadcnt 0x0
	v_cmp_eq_f64_e32 vcc_lo, 0xfff00000, v[30:31]
	s_delay_alu instid0(VALU_DEP_2) | instskip(SKIP_3) | instid1(VALU_DEP_1)
	v_or3_b32 v1, v1, v14, v10
	v_cndmask_b32_e64 v11, 0, 0x10000, vcc_lo
	v_cmp_eq_f64_e32 vcc_lo, 0xfff00000, v[32:33]
	v_cndmask_b32_e64 v4, 0, 0x1000000, vcc_lo
	v_or3_b32 v5, v1, v11, v4
	v_or3_b32 v4, v6, 0, 0
	s_clause 0x1
	global_store_b64 v0, v[2:3], s[8:9] scale_offset
	global_store_b64 v0, v[4:5], s[8:9] offset:2048 scale_offset
.LBB65_2:
	s_and_not1_b32 vcc_lo, exec_lo, s0
	s_cbranch_vccnz .LBB65_50
; %bb.3:
	v_cmp_gt_i32_e32 vcc_lo, s1, v0
	s_wait_xcnt 0x1
	v_dual_mov_b32 v3, v0 :: v_dual_bitop2_b32 v1, s2, v0 bitop3:0x54
	v_or_b32_e32 v2, 0x100, v0
	s_mov_b32 s3, 0
	s_wait_xcnt 0x0
	s_mov_b32 s9, 0
	s_and_saveexec_b32 s8, vcc_lo
	s_cbranch_execz .LBB65_5
; %bb.4:
	global_load_b64 v[4:5], v1, s[6:7] scale_offset
	v_or_b32_e32 v3, 0x100, v0
	s_wait_loadcnt 0x0
	v_cmp_eq_f64_e64 s0, 0xfff00000, v[4:5]
	s_and_b32 s9, s0, exec_lo
.LBB65_5:
	s_wait_xcnt 0x0
	s_or_b32 exec_lo, exec_lo, s8
	s_delay_alu instid0(SALU_CYCLE_1)
	s_mov_b32 s8, exec_lo
	v_cmpx_gt_i32_e64 s1, v3
	s_cbranch_execz .LBB65_7
; %bb.6:
	v_add_nc_u32_e32 v4, s2, v3
	v_add_nc_u32_e32 v3, 0x100, v3
	global_load_b64 v[4:5], v4, s[6:7] scale_offset
	s_wait_loadcnt 0x0
	v_cmp_eq_f64_e64 s0, 0xfff00000, v[4:5]
	s_and_b32 s3, s0, exec_lo
.LBB65_7:
	s_wait_xcnt 0x0
	s_or_b32 exec_lo, exec_lo, s8
	s_mov_b32 s8, 0
	s_mov_b32 s11, 0
	s_mov_b32 s10, exec_lo
	v_cmpx_gt_i32_e64 s1, v3
	s_cbranch_execz .LBB65_9
; %bb.8:
	v_add_nc_u32_e32 v4, s2, v3
	v_add_nc_u32_e32 v3, 0x100, v3
	global_load_b64 v[4:5], v4, s[6:7] scale_offset
	s_wait_loadcnt 0x0
	v_cmp_eq_f64_e64 s0, 0xfff00000, v[4:5]
	s_and_b32 s11, s0, exec_lo
.LBB65_9:
	s_wait_xcnt 0x0
	s_or_b32 exec_lo, exec_lo, s10
	s_delay_alu instid0(SALU_CYCLE_1)
	s_mov_b32 s10, exec_lo
	v_cmpx_gt_i32_e64 s1, v3
	s_cbranch_execz .LBB65_11
; %bb.10:
	v_add_nc_u32_e32 v4, s2, v3
	v_add_nc_u32_e32 v3, 0x100, v3
	global_load_b64 v[4:5], v4, s[6:7] scale_offset
	s_wait_loadcnt 0x0
	v_cmp_eq_f64_e64 s0, 0xfff00000, v[4:5]
	s_and_b32 s8, s0, exec_lo
.LBB65_11:
	s_wait_xcnt 0x0
	s_or_b32 exec_lo, exec_lo, s10
	s_mov_b32 s10, 0
	s_mov_b32 s13, 0
	s_mov_b32 s12, exec_lo
	v_cmpx_gt_i32_e64 s1, v3
	s_cbranch_execz .LBB65_13
; %bb.12:
	v_add_nc_u32_e32 v4, s2, v3
	v_add_nc_u32_e32 v3, 0x100, v3
	global_load_b64 v[4:5], v4, s[6:7] scale_offset
	s_wait_loadcnt 0x0
	v_cmp_eq_f64_e64 s0, 0xfff00000, v[4:5]
	s_and_b32 s13, s0, exec_lo
.LBB65_13:
	;; [unrolled: 29-line block ×6, first 2 shown]
	s_wait_xcnt 0x0
	s_or_b32 exec_lo, exec_lo, s20
	s_delay_alu instid0(SALU_CYCLE_1)
	s_mov_b32 s20, exec_lo
	v_cmpx_gt_i32_e64 s1, v3
	s_cbranch_execz .LBB65_31
; %bb.30:
	v_add_nc_u32_e32 v4, s2, v3
	v_add_nc_u32_e32 v3, 0x100, v3
	global_load_b64 v[4:5], v4, s[6:7] scale_offset
	s_wait_loadcnt 0x0
	v_cmp_eq_f64_e64 s0, 0xfff00000, v[4:5]
	s_and_b32 s18, s0, exec_lo
.LBB65_31:
	s_wait_xcnt 0x0
	s_or_b32 exec_lo, exec_lo, s20
	s_mov_b32 s20, 0
	s_mov_b32 s22, 0
	s_mov_b32 s23, exec_lo
	v_cmpx_gt_i32_e64 s1, v3
	s_cbranch_execnz .LBB65_51
; %bb.32:
	s_or_b32 exec_lo, exec_lo, s23
	s_delay_alu instid0(SALU_CYCLE_1)
	s_mov_b32 s23, exec_lo
	v_cmpx_gt_i32_e64 s1, v3
	s_cbranch_execnz .LBB65_52
.LBB65_33:
	s_or_b32 exec_lo, exec_lo, s23
	s_and_saveexec_b32 s0, vcc_lo
	s_cbranch_execnz .LBB65_53
.LBB65_34:
	s_or_b32 exec_lo, exec_lo, s0
	s_delay_alu instid0(SALU_CYCLE_1)
	s_mov_b32 s0, exec_lo
	v_cmpx_gt_i32_e64 s1, v0
	s_cbranch_execnz .LBB65_54
.LBB65_35:
	s_or_b32 exec_lo, exec_lo, s0
	s_delay_alu instid0(SALU_CYCLE_1)
	s_mov_b32 s0, exec_lo
	v_cmpx_gt_i32_e64 s1, v0
	s_cbranch_execnz .LBB65_55
.LBB65_36:
	s_or_b32 exec_lo, exec_lo, s0
	s_delay_alu instid0(SALU_CYCLE_1)
	s_mov_b32 s0, exec_lo
	v_cmpx_gt_i32_e64 s1, v0
	s_cbranch_execnz .LBB65_56
.LBB65_37:
	s_or_b32 exec_lo, exec_lo, s0
	s_delay_alu instid0(SALU_CYCLE_1)
	s_mov_b32 s0, exec_lo
	v_cmpx_gt_i32_e64 s1, v0
	s_cbranch_execnz .LBB65_57
.LBB65_38:
	s_or_b32 exec_lo, exec_lo, s0
	s_delay_alu instid0(SALU_CYCLE_1)
	s_mov_b32 s0, exec_lo
	v_cmpx_gt_i32_e64 s1, v0
	s_cbranch_execnz .LBB65_58
.LBB65_39:
	s_or_b32 exec_lo, exec_lo, s0
	s_delay_alu instid0(SALU_CYCLE_1)
	s_mov_b32 s0, exec_lo
	v_cmpx_gt_i32_e64 s1, v0
	s_cbranch_execnz .LBB65_59
.LBB65_40:
	s_or_b32 exec_lo, exec_lo, s0
	s_delay_alu instid0(SALU_CYCLE_1)
	s_mov_b32 s0, exec_lo
	v_cmpx_gt_i32_e64 s1, v0
	s_cbranch_execnz .LBB65_60
.LBB65_41:
	s_or_b32 exec_lo, exec_lo, s0
	s_delay_alu instid0(SALU_CYCLE_1)
	s_mov_b32 s0, exec_lo
	v_cmpx_gt_i32_e64 s1, v0
	s_cbranch_execnz .LBB65_61
.LBB65_42:
	s_or_b32 exec_lo, exec_lo, s0
	s_delay_alu instid0(SALU_CYCLE_1)
	s_mov_b32 s0, exec_lo
	v_cmpx_gt_i32_e64 s1, v0
	s_cbranch_execnz .LBB65_62
.LBB65_43:
	s_or_b32 exec_lo, exec_lo, s0
	s_delay_alu instid0(SALU_CYCLE_1)
	s_mov_b32 s0, exec_lo
	v_cmpx_gt_i32_e64 s1, v0
	s_cbranch_execnz .LBB65_63
.LBB65_44:
	s_or_b32 exec_lo, exec_lo, s0
	s_delay_alu instid0(SALU_CYCLE_1)
	s_mov_b32 s0, exec_lo
	v_cmpx_gt_i32_e64 s1, v0
	s_cbranch_execnz .LBB65_64
.LBB65_45:
	s_or_b32 exec_lo, exec_lo, s0
	s_delay_alu instid0(SALU_CYCLE_1)
	s_mov_b32 s0, exec_lo
	v_cmpx_gt_i32_e64 s1, v0
	s_cbranch_execnz .LBB65_65
.LBB65_46:
	s_or_b32 exec_lo, exec_lo, s0
	s_delay_alu instid0(SALU_CYCLE_1)
	s_mov_b32 s0, exec_lo
	v_cmpx_gt_i32_e64 s1, v0
	s_cbranch_execnz .LBB65_66
.LBB65_47:
	s_or_b32 exec_lo, exec_lo, s0
	s_delay_alu instid0(SALU_CYCLE_1)
	s_mov_b32 s0, exec_lo
	v_cmpx_gt_i32_e64 s1, v0
	s_cbranch_execnz .LBB65_67
.LBB65_48:
	s_or_b32 exec_lo, exec_lo, s0
	s_delay_alu instid0(SALU_CYCLE_1)
	s_mov_b32 s0, exec_lo
	v_cmpx_gt_i32_e64 s1, v0
	s_cbranch_execz .LBB65_50
.LBB65_49:
	v_cndmask_b32_e64 v1, 0, 1, s20
	v_add_nc_u32_e32 v0, s2, v0
	global_store_b8 v0, v1, s[4:5]
.LBB65_50:
	s_endpgm
.LBB65_51:
	v_add_nc_u32_e32 v4, s2, v3
	v_add_nc_u32_e32 v3, 0x100, v3
	global_load_b64 v[4:5], v4, s[6:7] scale_offset
	s_wait_loadcnt 0x0
	v_cmp_eq_f64_e64 s0, 0xfff00000, v[4:5]
	s_and_b32 s22, s0, exec_lo
	s_wait_xcnt 0x0
	s_or_b32 exec_lo, exec_lo, s23
	s_delay_alu instid0(SALU_CYCLE_1)
	s_mov_b32 s23, exec_lo
	v_cmpx_gt_i32_e64 s1, v3
	s_cbranch_execz .LBB65_33
.LBB65_52:
	v_add_nc_u32_e32 v3, s2, v3
	global_load_b64 v[4:5], v3, s[6:7] scale_offset
	s_wait_loadcnt 0x0
	v_cmp_eq_f64_e64 s0, 0xfff00000, v[4:5]
	s_and_b32 s20, s0, exec_lo
	s_wait_xcnt 0x0
	s_or_b32 exec_lo, exec_lo, s23
	s_and_saveexec_b32 s0, vcc_lo
	s_cbranch_execz .LBB65_34
.LBB65_53:
	v_cndmask_b32_e64 v3, 0, 1, s9
	v_mov_b32_e32 v0, v2
	global_store_b8 v1, v3, s[4:5]
	s_wait_xcnt 0x0
	s_or_b32 exec_lo, exec_lo, s0
	s_delay_alu instid0(SALU_CYCLE_1)
	s_mov_b32 s0, exec_lo
	v_cmpx_gt_i32_e64 s1, v0
	s_cbranch_execz .LBB65_35
.LBB65_54:
	v_cndmask_b32_e64 v1, 0, 1, s3
	v_add_nc_u32_e32 v2, s2, v0
	v_add_nc_u32_e32 v0, 0x100, v0
	global_store_b8 v2, v1, s[4:5]
	s_wait_xcnt 0x0
	s_or_b32 exec_lo, exec_lo, s0
	s_delay_alu instid0(SALU_CYCLE_1)
	s_mov_b32 s0, exec_lo
	v_cmpx_gt_i32_e64 s1, v0
	s_cbranch_execz .LBB65_36
.LBB65_55:
	v_cndmask_b32_e64 v1, 0, 1, s11
	v_add_nc_u32_e32 v2, s2, v0
	v_add_nc_u32_e32 v0, 0x100, v0
	global_store_b8 v2, v1, s[4:5]
	s_wait_xcnt 0x0
	s_or_b32 exec_lo, exec_lo, s0
	s_delay_alu instid0(SALU_CYCLE_1)
	s_mov_b32 s0, exec_lo
	v_cmpx_gt_i32_e64 s1, v0
	s_cbranch_execz .LBB65_37
.LBB65_56:
	v_cndmask_b32_e64 v1, 0, 1, s8
	v_add_nc_u32_e32 v2, s2, v0
	v_add_nc_u32_e32 v0, 0x100, v0
	global_store_b8 v2, v1, s[4:5]
	s_wait_xcnt 0x0
	s_or_b32 exec_lo, exec_lo, s0
	s_delay_alu instid0(SALU_CYCLE_1)
	s_mov_b32 s0, exec_lo
	v_cmpx_gt_i32_e64 s1, v0
	s_cbranch_execz .LBB65_38
.LBB65_57:
	v_cndmask_b32_e64 v1, 0, 1, s13
	v_add_nc_u32_e32 v2, s2, v0
	v_add_nc_u32_e32 v0, 0x100, v0
	global_store_b8 v2, v1, s[4:5]
	s_wait_xcnt 0x0
	s_or_b32 exec_lo, exec_lo, s0
	s_delay_alu instid0(SALU_CYCLE_1)
	s_mov_b32 s0, exec_lo
	v_cmpx_gt_i32_e64 s1, v0
	s_cbranch_execz .LBB65_39
.LBB65_58:
	v_cndmask_b32_e64 v1, 0, 1, s10
	v_add_nc_u32_e32 v2, s2, v0
	v_add_nc_u32_e32 v0, 0x100, v0
	global_store_b8 v2, v1, s[4:5]
	s_wait_xcnt 0x0
	s_or_b32 exec_lo, exec_lo, s0
	s_delay_alu instid0(SALU_CYCLE_1)
	s_mov_b32 s0, exec_lo
	v_cmpx_gt_i32_e64 s1, v0
	s_cbranch_execz .LBB65_40
.LBB65_59:
	v_cndmask_b32_e64 v1, 0, 1, s15
	v_add_nc_u32_e32 v2, s2, v0
	v_add_nc_u32_e32 v0, 0x100, v0
	global_store_b8 v2, v1, s[4:5]
	s_wait_xcnt 0x0
	s_or_b32 exec_lo, exec_lo, s0
	s_delay_alu instid0(SALU_CYCLE_1)
	s_mov_b32 s0, exec_lo
	v_cmpx_gt_i32_e64 s1, v0
	s_cbranch_execz .LBB65_41
.LBB65_60:
	v_cndmask_b32_e64 v1, 0, 1, s12
	v_add_nc_u32_e32 v2, s2, v0
	v_add_nc_u32_e32 v0, 0x100, v0
	global_store_b8 v2, v1, s[4:5]
	s_wait_xcnt 0x0
	s_or_b32 exec_lo, exec_lo, s0
	s_delay_alu instid0(SALU_CYCLE_1)
	s_mov_b32 s0, exec_lo
	v_cmpx_gt_i32_e64 s1, v0
	s_cbranch_execz .LBB65_42
.LBB65_61:
	v_cndmask_b32_e64 v1, 0, 1, s17
	v_add_nc_u32_e32 v2, s2, v0
	v_add_nc_u32_e32 v0, 0x100, v0
	global_store_b8 v2, v1, s[4:5]
	s_wait_xcnt 0x0
	s_or_b32 exec_lo, exec_lo, s0
	s_delay_alu instid0(SALU_CYCLE_1)
	s_mov_b32 s0, exec_lo
	v_cmpx_gt_i32_e64 s1, v0
	s_cbranch_execz .LBB65_43
.LBB65_62:
	v_cndmask_b32_e64 v1, 0, 1, s14
	v_add_nc_u32_e32 v2, s2, v0
	v_add_nc_u32_e32 v0, 0x100, v0
	global_store_b8 v2, v1, s[4:5]
	s_wait_xcnt 0x0
	s_or_b32 exec_lo, exec_lo, s0
	s_delay_alu instid0(SALU_CYCLE_1)
	s_mov_b32 s0, exec_lo
	v_cmpx_gt_i32_e64 s1, v0
	s_cbranch_execz .LBB65_44
.LBB65_63:
	v_cndmask_b32_e64 v1, 0, 1, s19
	v_add_nc_u32_e32 v2, s2, v0
	v_add_nc_u32_e32 v0, 0x100, v0
	global_store_b8 v2, v1, s[4:5]
	s_wait_xcnt 0x0
	s_or_b32 exec_lo, exec_lo, s0
	s_delay_alu instid0(SALU_CYCLE_1)
	s_mov_b32 s0, exec_lo
	v_cmpx_gt_i32_e64 s1, v0
	s_cbranch_execz .LBB65_45
.LBB65_64:
	v_cndmask_b32_e64 v1, 0, 1, s16
	v_add_nc_u32_e32 v2, s2, v0
	v_add_nc_u32_e32 v0, 0x100, v0
	global_store_b8 v2, v1, s[4:5]
	s_wait_xcnt 0x0
	s_or_b32 exec_lo, exec_lo, s0
	s_delay_alu instid0(SALU_CYCLE_1)
	s_mov_b32 s0, exec_lo
	v_cmpx_gt_i32_e64 s1, v0
	s_cbranch_execz .LBB65_46
.LBB65_65:
	v_cndmask_b32_e64 v1, 0, 1, s21
	v_add_nc_u32_e32 v2, s2, v0
	v_add_nc_u32_e32 v0, 0x100, v0
	global_store_b8 v2, v1, s[4:5]
	s_wait_xcnt 0x0
	s_or_b32 exec_lo, exec_lo, s0
	s_delay_alu instid0(SALU_CYCLE_1)
	s_mov_b32 s0, exec_lo
	v_cmpx_gt_i32_e64 s1, v0
	s_cbranch_execz .LBB65_47
.LBB65_66:
	v_cndmask_b32_e64 v1, 0, 1, s18
	v_add_nc_u32_e32 v2, s2, v0
	v_add_nc_u32_e32 v0, 0x100, v0
	global_store_b8 v2, v1, s[4:5]
	s_wait_xcnt 0x0
	s_or_b32 exec_lo, exec_lo, s0
	s_delay_alu instid0(SALU_CYCLE_1)
	s_mov_b32 s0, exec_lo
	v_cmpx_gt_i32_e64 s1, v0
	s_cbranch_execz .LBB65_48
.LBB65_67:
	v_cndmask_b32_e64 v1, 0, 1, s22
	v_add_nc_u32_e32 v2, s2, v0
	v_add_nc_u32_e32 v0, 0x100, v0
	global_store_b8 v2, v1, s[4:5]
	s_wait_xcnt 0x0
	s_or_b32 exec_lo, exec_lo, s0
	s_delay_alu instid0(SALU_CYCLE_1)
	s_mov_b32 s0, exec_lo
	v_cmpx_gt_i32_e64 s1, v0
	s_cbranch_execnz .LBB65_49
	s_branch .LBB65_50
	.section	.rodata,"a",@progbits
	.p2align	6, 0x0
	.amdhsa_kernel _ZN2at6native29vectorized_elementwise_kernelILi8EZZZNS0_12_GLOBAL__N_120isneginf_kernel_implERNS_18TensorIteratorBaseEENKUlvE_clEvENKUlvE_clEvEUldE_St5arrayIPcLm2EEEEviT0_T1_
		.amdhsa_group_segment_fixed_size 0
		.amdhsa_private_segment_fixed_size 0
		.amdhsa_kernarg_size 24
		.amdhsa_user_sgpr_count 2
		.amdhsa_user_sgpr_dispatch_ptr 0
		.amdhsa_user_sgpr_queue_ptr 0
		.amdhsa_user_sgpr_kernarg_segment_ptr 1
		.amdhsa_user_sgpr_dispatch_id 0
		.amdhsa_user_sgpr_kernarg_preload_length 0
		.amdhsa_user_sgpr_kernarg_preload_offset 0
		.amdhsa_user_sgpr_private_segment_size 0
		.amdhsa_wavefront_size32 1
		.amdhsa_uses_dynamic_stack 0
		.amdhsa_enable_private_segment 0
		.amdhsa_system_sgpr_workgroup_id_x 1
		.amdhsa_system_sgpr_workgroup_id_y 0
		.amdhsa_system_sgpr_workgroup_id_z 0
		.amdhsa_system_sgpr_workgroup_info 0
		.amdhsa_system_vgpr_workitem_id 0
		.amdhsa_next_free_vgpr 34
		.amdhsa_next_free_sgpr 24
		.amdhsa_named_barrier_count 0
		.amdhsa_reserve_vcc 1
		.amdhsa_float_round_mode_32 0
		.amdhsa_float_round_mode_16_64 0
		.amdhsa_float_denorm_mode_32 3
		.amdhsa_float_denorm_mode_16_64 3
		.amdhsa_fp16_overflow 0
		.amdhsa_memory_ordered 1
		.amdhsa_forward_progress 1
		.amdhsa_inst_pref_size 26
		.amdhsa_round_robin_scheduling 0
		.amdhsa_exception_fp_ieee_invalid_op 0
		.amdhsa_exception_fp_denorm_src 0
		.amdhsa_exception_fp_ieee_div_zero 0
		.amdhsa_exception_fp_ieee_overflow 0
		.amdhsa_exception_fp_ieee_underflow 0
		.amdhsa_exception_fp_ieee_inexact 0
		.amdhsa_exception_int_div_zero 0
	.end_amdhsa_kernel
	.section	.text._ZN2at6native29vectorized_elementwise_kernelILi8EZZZNS0_12_GLOBAL__N_120isneginf_kernel_implERNS_18TensorIteratorBaseEENKUlvE_clEvENKUlvE_clEvEUldE_St5arrayIPcLm2EEEEviT0_T1_,"axG",@progbits,_ZN2at6native29vectorized_elementwise_kernelILi8EZZZNS0_12_GLOBAL__N_120isneginf_kernel_implERNS_18TensorIteratorBaseEENKUlvE_clEvENKUlvE_clEvEUldE_St5arrayIPcLm2EEEEviT0_T1_,comdat
.Lfunc_end65:
	.size	_ZN2at6native29vectorized_elementwise_kernelILi8EZZZNS0_12_GLOBAL__N_120isneginf_kernel_implERNS_18TensorIteratorBaseEENKUlvE_clEvENKUlvE_clEvEUldE_St5arrayIPcLm2EEEEviT0_T1_, .Lfunc_end65-_ZN2at6native29vectorized_elementwise_kernelILi8EZZZNS0_12_GLOBAL__N_120isneginf_kernel_implERNS_18TensorIteratorBaseEENKUlvE_clEvENKUlvE_clEvEUldE_St5arrayIPcLm2EEEEviT0_T1_
                                        ; -- End function
	.set _ZN2at6native29vectorized_elementwise_kernelILi8EZZZNS0_12_GLOBAL__N_120isneginf_kernel_implERNS_18TensorIteratorBaseEENKUlvE_clEvENKUlvE_clEvEUldE_St5arrayIPcLm2EEEEviT0_T1_.num_vgpr, 34
	.set _ZN2at6native29vectorized_elementwise_kernelILi8EZZZNS0_12_GLOBAL__N_120isneginf_kernel_implERNS_18TensorIteratorBaseEENKUlvE_clEvENKUlvE_clEvEUldE_St5arrayIPcLm2EEEEviT0_T1_.num_agpr, 0
	.set _ZN2at6native29vectorized_elementwise_kernelILi8EZZZNS0_12_GLOBAL__N_120isneginf_kernel_implERNS_18TensorIteratorBaseEENKUlvE_clEvENKUlvE_clEvEUldE_St5arrayIPcLm2EEEEviT0_T1_.numbered_sgpr, 24
	.set _ZN2at6native29vectorized_elementwise_kernelILi8EZZZNS0_12_GLOBAL__N_120isneginf_kernel_implERNS_18TensorIteratorBaseEENKUlvE_clEvENKUlvE_clEvEUldE_St5arrayIPcLm2EEEEviT0_T1_.num_named_barrier, 0
	.set _ZN2at6native29vectorized_elementwise_kernelILi8EZZZNS0_12_GLOBAL__N_120isneginf_kernel_implERNS_18TensorIteratorBaseEENKUlvE_clEvENKUlvE_clEvEUldE_St5arrayIPcLm2EEEEviT0_T1_.private_seg_size, 0
	.set _ZN2at6native29vectorized_elementwise_kernelILi8EZZZNS0_12_GLOBAL__N_120isneginf_kernel_implERNS_18TensorIteratorBaseEENKUlvE_clEvENKUlvE_clEvEUldE_St5arrayIPcLm2EEEEviT0_T1_.uses_vcc, 1
	.set _ZN2at6native29vectorized_elementwise_kernelILi8EZZZNS0_12_GLOBAL__N_120isneginf_kernel_implERNS_18TensorIteratorBaseEENKUlvE_clEvENKUlvE_clEvEUldE_St5arrayIPcLm2EEEEviT0_T1_.uses_flat_scratch, 0
	.set _ZN2at6native29vectorized_elementwise_kernelILi8EZZZNS0_12_GLOBAL__N_120isneginf_kernel_implERNS_18TensorIteratorBaseEENKUlvE_clEvENKUlvE_clEvEUldE_St5arrayIPcLm2EEEEviT0_T1_.has_dyn_sized_stack, 0
	.set _ZN2at6native29vectorized_elementwise_kernelILi8EZZZNS0_12_GLOBAL__N_120isneginf_kernel_implERNS_18TensorIteratorBaseEENKUlvE_clEvENKUlvE_clEvEUldE_St5arrayIPcLm2EEEEviT0_T1_.has_recursion, 0
	.set _ZN2at6native29vectorized_elementwise_kernelILi8EZZZNS0_12_GLOBAL__N_120isneginf_kernel_implERNS_18TensorIteratorBaseEENKUlvE_clEvENKUlvE_clEvEUldE_St5arrayIPcLm2EEEEviT0_T1_.has_indirect_call, 0
	.section	.AMDGPU.csdata,"",@progbits
; Kernel info:
; codeLenInByte = 3244
; TotalNumSgprs: 26
; NumVgprs: 34
; ScratchSize: 0
; MemoryBound: 0
; FloatMode: 240
; IeeeMode: 1
; LDSByteSize: 0 bytes/workgroup (compile time only)
; SGPRBlocks: 0
; VGPRBlocks: 2
; NumSGPRsForWavesPerEU: 26
; NumVGPRsForWavesPerEU: 34
; NamedBarCnt: 0
; Occupancy: 16
; WaveLimiterHint : 1
; COMPUTE_PGM_RSRC2:SCRATCH_EN: 0
; COMPUTE_PGM_RSRC2:USER_SGPR: 2
; COMPUTE_PGM_RSRC2:TRAP_HANDLER: 0
; COMPUTE_PGM_RSRC2:TGID_X_EN: 1
; COMPUTE_PGM_RSRC2:TGID_Y_EN: 0
; COMPUTE_PGM_RSRC2:TGID_Z_EN: 0
; COMPUTE_PGM_RSRC2:TIDIG_COMP_CNT: 0
	.section	.text._ZN2at6native29vectorized_elementwise_kernelILi4EZZZNS0_12_GLOBAL__N_120isneginf_kernel_implERNS_18TensorIteratorBaseEENKUlvE_clEvENKUlvE_clEvEUldE_St5arrayIPcLm2EEEEviT0_T1_,"axG",@progbits,_ZN2at6native29vectorized_elementwise_kernelILi4EZZZNS0_12_GLOBAL__N_120isneginf_kernel_implERNS_18TensorIteratorBaseEENKUlvE_clEvENKUlvE_clEvEUldE_St5arrayIPcLm2EEEEviT0_T1_,comdat
	.globl	_ZN2at6native29vectorized_elementwise_kernelILi4EZZZNS0_12_GLOBAL__N_120isneginf_kernel_implERNS_18TensorIteratorBaseEENKUlvE_clEvENKUlvE_clEvEUldE_St5arrayIPcLm2EEEEviT0_T1_ ; -- Begin function _ZN2at6native29vectorized_elementwise_kernelILi4EZZZNS0_12_GLOBAL__N_120isneginf_kernel_implERNS_18TensorIteratorBaseEENKUlvE_clEvENKUlvE_clEvEUldE_St5arrayIPcLm2EEEEviT0_T1_
	.p2align	8
	.type	_ZN2at6native29vectorized_elementwise_kernelILi4EZZZNS0_12_GLOBAL__N_120isneginf_kernel_implERNS_18TensorIteratorBaseEENKUlvE_clEvENKUlvE_clEvEUldE_St5arrayIPcLm2EEEEviT0_T1_,@function
_ZN2at6native29vectorized_elementwise_kernelILi4EZZZNS0_12_GLOBAL__N_120isneginf_kernel_implERNS_18TensorIteratorBaseEENKUlvE_clEvENKUlvE_clEvEUldE_St5arrayIPcLm2EEEEviT0_T1_: ; @_ZN2at6native29vectorized_elementwise_kernelILi4EZZZNS0_12_GLOBAL__N_120isneginf_kernel_implERNS_18TensorIteratorBaseEENKUlvE_clEvENKUlvE_clEvEUldE_St5arrayIPcLm2EEEEviT0_T1_
; %bb.0:
	s_clause 0x1
	s_load_b32 s3, s[0:1], 0x0
	s_load_b128 s[4:7], s[0:1], 0x8
	s_wait_xcnt 0x0
	s_bfe_u32 s0, ttmp6, 0x4000c
	s_and_b32 s1, ttmp6, 15
	s_add_co_i32 s0, s0, 1
	s_getreg_b32 s2, hwreg(HW_REG_IB_STS2, 6, 4)
	s_mul_i32 s0, ttmp9, s0
	s_delay_alu instid0(SALU_CYCLE_1) | instskip(SKIP_2) | instid1(SALU_CYCLE_1)
	s_add_co_i32 s1, s1, s0
	s_cmp_eq_u32 s2, 0
	s_cselect_b32 s0, ttmp9, s1
	s_lshl_b32 s2, s0, 12
	s_mov_b32 s0, -1
	s_wait_kmcnt 0x0
	s_sub_co_i32 s1, s3, s2
	s_delay_alu instid0(SALU_CYCLE_1)
	s_cmp_gt_i32 s1, 0xfff
	s_cbranch_scc0 .LBB66_2
; %bb.1:
	s_ashr_i32 s3, s2, 31
	v_lshlrev_b32_e32 v1, 5, v0
	s_lshl_b64 s[8:9], s[2:3], 3
	s_mov_b32 s0, 0
	s_add_nc_u64 s[8:9], s[6:7], s[8:9]
	s_clause 0x7
	global_load_b128 v[2:5], v1, s[8:9]
	global_load_b128 v[6:9], v1, s[8:9] offset:16
	global_load_b128 v[10:13], v1, s[8:9] offset:8192
	;; [unrolled: 1-line block ×7, first 2 shown]
	s_wait_xcnt 0x0
	s_add_nc_u64 s[8:9], s[4:5], s[2:3]
	s_wait_loadcnt 0x7
	v_cmp_eq_f64_e32 vcc_lo, 0xfff00000, v[2:3]
	v_cndmask_b32_e64 v1, 0, 1, vcc_lo
	v_cmp_eq_f64_e32 vcc_lo, 0xfff00000, v[4:5]
	v_cndmask_b32_e64 v2, 0, 0x100, vcc_lo
	s_wait_loadcnt 0x6
	v_cmp_eq_f64_e32 vcc_lo, 0xfff00000, v[6:7]
	s_delay_alu instid0(VALU_DEP_2)
	v_or_b32_e32 v1, v2, v1
	v_cndmask_b32_e64 v3, 0, 0x10000, vcc_lo
	v_cmp_eq_f64_e32 vcc_lo, 0xfff00000, v[8:9]
	v_cndmask_b32_e64 v4, 0, 0x1000000, vcc_lo
	s_wait_loadcnt 0x5
	v_cmp_eq_f64_e32 vcc_lo, 0xfff00000, v[10:11]
	s_delay_alu instid0(VALU_DEP_2)
	v_or3_b32 v1, v1, v3, v4
	v_cndmask_b32_e64 v5, 0, 1, vcc_lo
	v_cmp_eq_f64_e32 vcc_lo, 0xfff00000, v[12:13]
	v_cndmask_b32_e64 v6, 0, 0x100, vcc_lo
	s_wait_loadcnt 0x4
	v_cmp_eq_f64_e32 vcc_lo, 0xfff00000, v[14:15]
	s_delay_alu instid0(VALU_DEP_2)
	v_or_b32_e32 v2, v6, v5
	v_cndmask_b32_e64 v7, 0, 0x10000, vcc_lo
	v_cmp_eq_f64_e32 vcc_lo, 0xfff00000, v[16:17]
	v_cndmask_b32_e64 v8, 0, 0x1000000, vcc_lo
	s_wait_loadcnt 0x3
	v_cmp_eq_f64_e32 vcc_lo, 0xfff00000, v[18:19]
	s_delay_alu instid0(VALU_DEP_2)
	v_or3_b32 v2, v2, v7, v8
	;; [unrolled: 14-line block ×3, first 2 shown]
	v_cndmask_b32_e64 v13, 0, 1, vcc_lo
	v_cmp_eq_f64_e32 vcc_lo, 0xfff00000, v[28:29]
	v_cndmask_b32_e64 v14, 0, 0x100, vcc_lo
	s_wait_loadcnt 0x0
	v_cmp_eq_f64_e32 vcc_lo, 0xfff00000, v[30:31]
	s_delay_alu instid0(VALU_DEP_2) | instskip(SKIP_3) | instid1(VALU_DEP_1)
	v_or_b32_e32 v6, v14, v13
	v_cndmask_b32_e64 v15, 0, 0x10000, vcc_lo
	v_cmp_eq_f64_e32 vcc_lo, 0xfff00000, v[32:33]
	v_cndmask_b32_e64 v16, 0, 0x1000000, vcc_lo
	v_or3_b32 v4, v6, v15, v16
	s_clause 0x3
	global_store_b32 v0, v1, s[8:9] scale_offset
	global_store_b32 v0, v2, s[8:9] offset:1024 scale_offset
	global_store_b32 v0, v3, s[8:9] offset:2048 scale_offset
	;; [unrolled: 1-line block ×3, first 2 shown]
.LBB66_2:
	s_and_not1_b32 vcc_lo, exec_lo, s0
	s_cbranch_vccnz .LBB66_50
; %bb.3:
	v_cmp_gt_i32_e32 vcc_lo, s1, v0
	s_wait_xcnt 0x1
	v_dual_mov_b32 v3, v0 :: v_dual_bitop2_b32 v1, s2, v0 bitop3:0x54
	v_or_b32_e32 v2, 0x100, v0
	s_mov_b32 s3, 0
	s_wait_xcnt 0x0
	s_mov_b32 s9, 0
	s_and_saveexec_b32 s8, vcc_lo
	s_cbranch_execz .LBB66_5
; %bb.4:
	global_load_b64 v[4:5], v1, s[6:7] scale_offset
	v_or_b32_e32 v3, 0x100, v0
	s_wait_loadcnt 0x0
	v_cmp_eq_f64_e64 s0, 0xfff00000, v[4:5]
	s_and_b32 s9, s0, exec_lo
.LBB66_5:
	s_wait_xcnt 0x0
	s_or_b32 exec_lo, exec_lo, s8
	s_delay_alu instid0(SALU_CYCLE_1)
	s_mov_b32 s8, exec_lo
	v_cmpx_gt_i32_e64 s1, v3
	s_cbranch_execz .LBB66_7
; %bb.6:
	v_add_nc_u32_e32 v4, s2, v3
	v_add_nc_u32_e32 v3, 0x100, v3
	global_load_b64 v[4:5], v4, s[6:7] scale_offset
	s_wait_loadcnt 0x0
	v_cmp_eq_f64_e64 s0, 0xfff00000, v[4:5]
	s_and_b32 s3, s0, exec_lo
.LBB66_7:
	s_wait_xcnt 0x0
	s_or_b32 exec_lo, exec_lo, s8
	s_mov_b32 s8, 0
	s_mov_b32 s11, 0
	s_mov_b32 s10, exec_lo
	v_cmpx_gt_i32_e64 s1, v3
	s_cbranch_execz .LBB66_9
; %bb.8:
	v_add_nc_u32_e32 v4, s2, v3
	v_add_nc_u32_e32 v3, 0x100, v3
	global_load_b64 v[4:5], v4, s[6:7] scale_offset
	s_wait_loadcnt 0x0
	v_cmp_eq_f64_e64 s0, 0xfff00000, v[4:5]
	s_and_b32 s11, s0, exec_lo
.LBB66_9:
	s_wait_xcnt 0x0
	s_or_b32 exec_lo, exec_lo, s10
	s_delay_alu instid0(SALU_CYCLE_1)
	s_mov_b32 s10, exec_lo
	v_cmpx_gt_i32_e64 s1, v3
	s_cbranch_execz .LBB66_11
; %bb.10:
	v_add_nc_u32_e32 v4, s2, v3
	v_add_nc_u32_e32 v3, 0x100, v3
	global_load_b64 v[4:5], v4, s[6:7] scale_offset
	s_wait_loadcnt 0x0
	v_cmp_eq_f64_e64 s0, 0xfff00000, v[4:5]
	s_and_b32 s8, s0, exec_lo
.LBB66_11:
	s_wait_xcnt 0x0
	s_or_b32 exec_lo, exec_lo, s10
	s_mov_b32 s10, 0
	s_mov_b32 s13, 0
	s_mov_b32 s12, exec_lo
	v_cmpx_gt_i32_e64 s1, v3
	s_cbranch_execz .LBB66_13
; %bb.12:
	v_add_nc_u32_e32 v4, s2, v3
	v_add_nc_u32_e32 v3, 0x100, v3
	global_load_b64 v[4:5], v4, s[6:7] scale_offset
	s_wait_loadcnt 0x0
	v_cmp_eq_f64_e64 s0, 0xfff00000, v[4:5]
	s_and_b32 s13, s0, exec_lo
.LBB66_13:
	;; [unrolled: 29-line block ×6, first 2 shown]
	s_wait_xcnt 0x0
	s_or_b32 exec_lo, exec_lo, s20
	s_delay_alu instid0(SALU_CYCLE_1)
	s_mov_b32 s20, exec_lo
	v_cmpx_gt_i32_e64 s1, v3
	s_cbranch_execz .LBB66_31
; %bb.30:
	v_add_nc_u32_e32 v4, s2, v3
	v_add_nc_u32_e32 v3, 0x100, v3
	global_load_b64 v[4:5], v4, s[6:7] scale_offset
	s_wait_loadcnt 0x0
	v_cmp_eq_f64_e64 s0, 0xfff00000, v[4:5]
	s_and_b32 s18, s0, exec_lo
.LBB66_31:
	s_wait_xcnt 0x0
	s_or_b32 exec_lo, exec_lo, s20
	s_mov_b32 s20, 0
	s_mov_b32 s22, 0
	s_mov_b32 s23, exec_lo
	v_cmpx_gt_i32_e64 s1, v3
	s_cbranch_execnz .LBB66_51
; %bb.32:
	s_or_b32 exec_lo, exec_lo, s23
	s_delay_alu instid0(SALU_CYCLE_1)
	s_mov_b32 s23, exec_lo
	v_cmpx_gt_i32_e64 s1, v3
	s_cbranch_execnz .LBB66_52
.LBB66_33:
	s_or_b32 exec_lo, exec_lo, s23
	s_and_saveexec_b32 s0, vcc_lo
	s_cbranch_execnz .LBB66_53
.LBB66_34:
	s_or_b32 exec_lo, exec_lo, s0
	s_delay_alu instid0(SALU_CYCLE_1)
	s_mov_b32 s0, exec_lo
	v_cmpx_gt_i32_e64 s1, v0
	s_cbranch_execnz .LBB66_54
.LBB66_35:
	s_or_b32 exec_lo, exec_lo, s0
	s_delay_alu instid0(SALU_CYCLE_1)
	s_mov_b32 s0, exec_lo
	v_cmpx_gt_i32_e64 s1, v0
	s_cbranch_execnz .LBB66_55
.LBB66_36:
	s_or_b32 exec_lo, exec_lo, s0
	s_delay_alu instid0(SALU_CYCLE_1)
	s_mov_b32 s0, exec_lo
	v_cmpx_gt_i32_e64 s1, v0
	s_cbranch_execnz .LBB66_56
.LBB66_37:
	s_or_b32 exec_lo, exec_lo, s0
	s_delay_alu instid0(SALU_CYCLE_1)
	s_mov_b32 s0, exec_lo
	v_cmpx_gt_i32_e64 s1, v0
	s_cbranch_execnz .LBB66_57
.LBB66_38:
	s_or_b32 exec_lo, exec_lo, s0
	s_delay_alu instid0(SALU_CYCLE_1)
	s_mov_b32 s0, exec_lo
	v_cmpx_gt_i32_e64 s1, v0
	s_cbranch_execnz .LBB66_58
.LBB66_39:
	s_or_b32 exec_lo, exec_lo, s0
	s_delay_alu instid0(SALU_CYCLE_1)
	s_mov_b32 s0, exec_lo
	v_cmpx_gt_i32_e64 s1, v0
	s_cbranch_execnz .LBB66_59
.LBB66_40:
	s_or_b32 exec_lo, exec_lo, s0
	s_delay_alu instid0(SALU_CYCLE_1)
	s_mov_b32 s0, exec_lo
	v_cmpx_gt_i32_e64 s1, v0
	s_cbranch_execnz .LBB66_60
.LBB66_41:
	s_or_b32 exec_lo, exec_lo, s0
	s_delay_alu instid0(SALU_CYCLE_1)
	s_mov_b32 s0, exec_lo
	v_cmpx_gt_i32_e64 s1, v0
	s_cbranch_execnz .LBB66_61
.LBB66_42:
	s_or_b32 exec_lo, exec_lo, s0
	s_delay_alu instid0(SALU_CYCLE_1)
	s_mov_b32 s0, exec_lo
	v_cmpx_gt_i32_e64 s1, v0
	s_cbranch_execnz .LBB66_62
.LBB66_43:
	s_or_b32 exec_lo, exec_lo, s0
	s_delay_alu instid0(SALU_CYCLE_1)
	s_mov_b32 s0, exec_lo
	v_cmpx_gt_i32_e64 s1, v0
	s_cbranch_execnz .LBB66_63
.LBB66_44:
	s_or_b32 exec_lo, exec_lo, s0
	s_delay_alu instid0(SALU_CYCLE_1)
	s_mov_b32 s0, exec_lo
	v_cmpx_gt_i32_e64 s1, v0
	s_cbranch_execnz .LBB66_64
.LBB66_45:
	s_or_b32 exec_lo, exec_lo, s0
	s_delay_alu instid0(SALU_CYCLE_1)
	s_mov_b32 s0, exec_lo
	v_cmpx_gt_i32_e64 s1, v0
	s_cbranch_execnz .LBB66_65
.LBB66_46:
	s_or_b32 exec_lo, exec_lo, s0
	s_delay_alu instid0(SALU_CYCLE_1)
	s_mov_b32 s0, exec_lo
	v_cmpx_gt_i32_e64 s1, v0
	s_cbranch_execnz .LBB66_66
.LBB66_47:
	s_or_b32 exec_lo, exec_lo, s0
	s_delay_alu instid0(SALU_CYCLE_1)
	s_mov_b32 s0, exec_lo
	v_cmpx_gt_i32_e64 s1, v0
	s_cbranch_execnz .LBB66_67
.LBB66_48:
	s_or_b32 exec_lo, exec_lo, s0
	s_delay_alu instid0(SALU_CYCLE_1)
	s_mov_b32 s0, exec_lo
	v_cmpx_gt_i32_e64 s1, v0
	s_cbranch_execz .LBB66_50
.LBB66_49:
	v_cndmask_b32_e64 v1, 0, 1, s20
	v_add_nc_u32_e32 v0, s2, v0
	global_store_b8 v0, v1, s[4:5]
.LBB66_50:
	s_endpgm
.LBB66_51:
	v_add_nc_u32_e32 v4, s2, v3
	v_add_nc_u32_e32 v3, 0x100, v3
	global_load_b64 v[4:5], v4, s[6:7] scale_offset
	s_wait_loadcnt 0x0
	v_cmp_eq_f64_e64 s0, 0xfff00000, v[4:5]
	s_and_b32 s22, s0, exec_lo
	s_wait_xcnt 0x0
	s_or_b32 exec_lo, exec_lo, s23
	s_delay_alu instid0(SALU_CYCLE_1)
	s_mov_b32 s23, exec_lo
	v_cmpx_gt_i32_e64 s1, v3
	s_cbranch_execz .LBB66_33
.LBB66_52:
	v_add_nc_u32_e32 v3, s2, v3
	global_load_b64 v[4:5], v3, s[6:7] scale_offset
	s_wait_loadcnt 0x0
	v_cmp_eq_f64_e64 s0, 0xfff00000, v[4:5]
	s_and_b32 s20, s0, exec_lo
	s_wait_xcnt 0x0
	s_or_b32 exec_lo, exec_lo, s23
	s_and_saveexec_b32 s0, vcc_lo
	s_cbranch_execz .LBB66_34
.LBB66_53:
	v_cndmask_b32_e64 v3, 0, 1, s9
	v_mov_b32_e32 v0, v2
	global_store_b8 v1, v3, s[4:5]
	s_wait_xcnt 0x0
	s_or_b32 exec_lo, exec_lo, s0
	s_delay_alu instid0(SALU_CYCLE_1)
	s_mov_b32 s0, exec_lo
	v_cmpx_gt_i32_e64 s1, v0
	s_cbranch_execz .LBB66_35
.LBB66_54:
	v_cndmask_b32_e64 v1, 0, 1, s3
	v_add_nc_u32_e32 v2, s2, v0
	v_add_nc_u32_e32 v0, 0x100, v0
	global_store_b8 v2, v1, s[4:5]
	s_wait_xcnt 0x0
	s_or_b32 exec_lo, exec_lo, s0
	s_delay_alu instid0(SALU_CYCLE_1)
	s_mov_b32 s0, exec_lo
	v_cmpx_gt_i32_e64 s1, v0
	s_cbranch_execz .LBB66_36
.LBB66_55:
	v_cndmask_b32_e64 v1, 0, 1, s11
	v_add_nc_u32_e32 v2, s2, v0
	v_add_nc_u32_e32 v0, 0x100, v0
	global_store_b8 v2, v1, s[4:5]
	s_wait_xcnt 0x0
	s_or_b32 exec_lo, exec_lo, s0
	s_delay_alu instid0(SALU_CYCLE_1)
	s_mov_b32 s0, exec_lo
	v_cmpx_gt_i32_e64 s1, v0
	s_cbranch_execz .LBB66_37
.LBB66_56:
	v_cndmask_b32_e64 v1, 0, 1, s8
	v_add_nc_u32_e32 v2, s2, v0
	v_add_nc_u32_e32 v0, 0x100, v0
	global_store_b8 v2, v1, s[4:5]
	s_wait_xcnt 0x0
	s_or_b32 exec_lo, exec_lo, s0
	s_delay_alu instid0(SALU_CYCLE_1)
	s_mov_b32 s0, exec_lo
	v_cmpx_gt_i32_e64 s1, v0
	s_cbranch_execz .LBB66_38
.LBB66_57:
	v_cndmask_b32_e64 v1, 0, 1, s13
	v_add_nc_u32_e32 v2, s2, v0
	v_add_nc_u32_e32 v0, 0x100, v0
	global_store_b8 v2, v1, s[4:5]
	s_wait_xcnt 0x0
	s_or_b32 exec_lo, exec_lo, s0
	s_delay_alu instid0(SALU_CYCLE_1)
	s_mov_b32 s0, exec_lo
	v_cmpx_gt_i32_e64 s1, v0
	s_cbranch_execz .LBB66_39
.LBB66_58:
	v_cndmask_b32_e64 v1, 0, 1, s10
	v_add_nc_u32_e32 v2, s2, v0
	v_add_nc_u32_e32 v0, 0x100, v0
	global_store_b8 v2, v1, s[4:5]
	s_wait_xcnt 0x0
	s_or_b32 exec_lo, exec_lo, s0
	s_delay_alu instid0(SALU_CYCLE_1)
	s_mov_b32 s0, exec_lo
	v_cmpx_gt_i32_e64 s1, v0
	s_cbranch_execz .LBB66_40
.LBB66_59:
	v_cndmask_b32_e64 v1, 0, 1, s15
	v_add_nc_u32_e32 v2, s2, v0
	v_add_nc_u32_e32 v0, 0x100, v0
	global_store_b8 v2, v1, s[4:5]
	s_wait_xcnt 0x0
	s_or_b32 exec_lo, exec_lo, s0
	s_delay_alu instid0(SALU_CYCLE_1)
	s_mov_b32 s0, exec_lo
	v_cmpx_gt_i32_e64 s1, v0
	s_cbranch_execz .LBB66_41
.LBB66_60:
	v_cndmask_b32_e64 v1, 0, 1, s12
	v_add_nc_u32_e32 v2, s2, v0
	v_add_nc_u32_e32 v0, 0x100, v0
	global_store_b8 v2, v1, s[4:5]
	s_wait_xcnt 0x0
	s_or_b32 exec_lo, exec_lo, s0
	s_delay_alu instid0(SALU_CYCLE_1)
	s_mov_b32 s0, exec_lo
	v_cmpx_gt_i32_e64 s1, v0
	s_cbranch_execz .LBB66_42
.LBB66_61:
	v_cndmask_b32_e64 v1, 0, 1, s17
	v_add_nc_u32_e32 v2, s2, v0
	v_add_nc_u32_e32 v0, 0x100, v0
	global_store_b8 v2, v1, s[4:5]
	s_wait_xcnt 0x0
	s_or_b32 exec_lo, exec_lo, s0
	s_delay_alu instid0(SALU_CYCLE_1)
	s_mov_b32 s0, exec_lo
	v_cmpx_gt_i32_e64 s1, v0
	s_cbranch_execz .LBB66_43
.LBB66_62:
	v_cndmask_b32_e64 v1, 0, 1, s14
	v_add_nc_u32_e32 v2, s2, v0
	v_add_nc_u32_e32 v0, 0x100, v0
	global_store_b8 v2, v1, s[4:5]
	s_wait_xcnt 0x0
	s_or_b32 exec_lo, exec_lo, s0
	s_delay_alu instid0(SALU_CYCLE_1)
	s_mov_b32 s0, exec_lo
	v_cmpx_gt_i32_e64 s1, v0
	s_cbranch_execz .LBB66_44
.LBB66_63:
	v_cndmask_b32_e64 v1, 0, 1, s19
	v_add_nc_u32_e32 v2, s2, v0
	v_add_nc_u32_e32 v0, 0x100, v0
	global_store_b8 v2, v1, s[4:5]
	s_wait_xcnt 0x0
	s_or_b32 exec_lo, exec_lo, s0
	s_delay_alu instid0(SALU_CYCLE_1)
	s_mov_b32 s0, exec_lo
	v_cmpx_gt_i32_e64 s1, v0
	s_cbranch_execz .LBB66_45
.LBB66_64:
	v_cndmask_b32_e64 v1, 0, 1, s16
	v_add_nc_u32_e32 v2, s2, v0
	v_add_nc_u32_e32 v0, 0x100, v0
	global_store_b8 v2, v1, s[4:5]
	s_wait_xcnt 0x0
	s_or_b32 exec_lo, exec_lo, s0
	s_delay_alu instid0(SALU_CYCLE_1)
	s_mov_b32 s0, exec_lo
	v_cmpx_gt_i32_e64 s1, v0
	s_cbranch_execz .LBB66_46
.LBB66_65:
	v_cndmask_b32_e64 v1, 0, 1, s21
	v_add_nc_u32_e32 v2, s2, v0
	v_add_nc_u32_e32 v0, 0x100, v0
	global_store_b8 v2, v1, s[4:5]
	s_wait_xcnt 0x0
	s_or_b32 exec_lo, exec_lo, s0
	s_delay_alu instid0(SALU_CYCLE_1)
	s_mov_b32 s0, exec_lo
	v_cmpx_gt_i32_e64 s1, v0
	s_cbranch_execz .LBB66_47
.LBB66_66:
	v_cndmask_b32_e64 v1, 0, 1, s18
	v_add_nc_u32_e32 v2, s2, v0
	v_add_nc_u32_e32 v0, 0x100, v0
	global_store_b8 v2, v1, s[4:5]
	s_wait_xcnt 0x0
	s_or_b32 exec_lo, exec_lo, s0
	s_delay_alu instid0(SALU_CYCLE_1)
	s_mov_b32 s0, exec_lo
	v_cmpx_gt_i32_e64 s1, v0
	s_cbranch_execz .LBB66_48
.LBB66_67:
	v_cndmask_b32_e64 v1, 0, 1, s22
	v_add_nc_u32_e32 v2, s2, v0
	v_add_nc_u32_e32 v0, 0x100, v0
	global_store_b8 v2, v1, s[4:5]
	s_wait_xcnt 0x0
	s_or_b32 exec_lo, exec_lo, s0
	s_delay_alu instid0(SALU_CYCLE_1)
	s_mov_b32 s0, exec_lo
	v_cmpx_gt_i32_e64 s1, v0
	s_cbranch_execnz .LBB66_49
	s_branch .LBB66_50
	.section	.rodata,"a",@progbits
	.p2align	6, 0x0
	.amdhsa_kernel _ZN2at6native29vectorized_elementwise_kernelILi4EZZZNS0_12_GLOBAL__N_120isneginf_kernel_implERNS_18TensorIteratorBaseEENKUlvE_clEvENKUlvE_clEvEUldE_St5arrayIPcLm2EEEEviT0_T1_
		.amdhsa_group_segment_fixed_size 0
		.amdhsa_private_segment_fixed_size 0
		.amdhsa_kernarg_size 24
		.amdhsa_user_sgpr_count 2
		.amdhsa_user_sgpr_dispatch_ptr 0
		.amdhsa_user_sgpr_queue_ptr 0
		.amdhsa_user_sgpr_kernarg_segment_ptr 1
		.amdhsa_user_sgpr_dispatch_id 0
		.amdhsa_user_sgpr_kernarg_preload_length 0
		.amdhsa_user_sgpr_kernarg_preload_offset 0
		.amdhsa_user_sgpr_private_segment_size 0
		.amdhsa_wavefront_size32 1
		.amdhsa_uses_dynamic_stack 0
		.amdhsa_enable_private_segment 0
		.amdhsa_system_sgpr_workgroup_id_x 1
		.amdhsa_system_sgpr_workgroup_id_y 0
		.amdhsa_system_sgpr_workgroup_id_z 0
		.amdhsa_system_sgpr_workgroup_info 0
		.amdhsa_system_vgpr_workitem_id 0
		.amdhsa_next_free_vgpr 34
		.amdhsa_next_free_sgpr 24
		.amdhsa_named_barrier_count 0
		.amdhsa_reserve_vcc 1
		.amdhsa_float_round_mode_32 0
		.amdhsa_float_round_mode_16_64 0
		.amdhsa_float_denorm_mode_32 3
		.amdhsa_float_denorm_mode_16_64 3
		.amdhsa_fp16_overflow 0
		.amdhsa_memory_ordered 1
		.amdhsa_forward_progress 1
		.amdhsa_inst_pref_size 26
		.amdhsa_round_robin_scheduling 0
		.amdhsa_exception_fp_ieee_invalid_op 0
		.amdhsa_exception_fp_denorm_src 0
		.amdhsa_exception_fp_ieee_div_zero 0
		.amdhsa_exception_fp_ieee_overflow 0
		.amdhsa_exception_fp_ieee_underflow 0
		.amdhsa_exception_fp_ieee_inexact 0
		.amdhsa_exception_int_div_zero 0
	.end_amdhsa_kernel
	.section	.text._ZN2at6native29vectorized_elementwise_kernelILi4EZZZNS0_12_GLOBAL__N_120isneginf_kernel_implERNS_18TensorIteratorBaseEENKUlvE_clEvENKUlvE_clEvEUldE_St5arrayIPcLm2EEEEviT0_T1_,"axG",@progbits,_ZN2at6native29vectorized_elementwise_kernelILi4EZZZNS0_12_GLOBAL__N_120isneginf_kernel_implERNS_18TensorIteratorBaseEENKUlvE_clEvENKUlvE_clEvEUldE_St5arrayIPcLm2EEEEviT0_T1_,comdat
.Lfunc_end66:
	.size	_ZN2at6native29vectorized_elementwise_kernelILi4EZZZNS0_12_GLOBAL__N_120isneginf_kernel_implERNS_18TensorIteratorBaseEENKUlvE_clEvENKUlvE_clEvEUldE_St5arrayIPcLm2EEEEviT0_T1_, .Lfunc_end66-_ZN2at6native29vectorized_elementwise_kernelILi4EZZZNS0_12_GLOBAL__N_120isneginf_kernel_implERNS_18TensorIteratorBaseEENKUlvE_clEvENKUlvE_clEvEUldE_St5arrayIPcLm2EEEEviT0_T1_
                                        ; -- End function
	.set _ZN2at6native29vectorized_elementwise_kernelILi4EZZZNS0_12_GLOBAL__N_120isneginf_kernel_implERNS_18TensorIteratorBaseEENKUlvE_clEvENKUlvE_clEvEUldE_St5arrayIPcLm2EEEEviT0_T1_.num_vgpr, 34
	.set _ZN2at6native29vectorized_elementwise_kernelILi4EZZZNS0_12_GLOBAL__N_120isneginf_kernel_implERNS_18TensorIteratorBaseEENKUlvE_clEvENKUlvE_clEvEUldE_St5arrayIPcLm2EEEEviT0_T1_.num_agpr, 0
	.set _ZN2at6native29vectorized_elementwise_kernelILi4EZZZNS0_12_GLOBAL__N_120isneginf_kernel_implERNS_18TensorIteratorBaseEENKUlvE_clEvENKUlvE_clEvEUldE_St5arrayIPcLm2EEEEviT0_T1_.numbered_sgpr, 24
	.set _ZN2at6native29vectorized_elementwise_kernelILi4EZZZNS0_12_GLOBAL__N_120isneginf_kernel_implERNS_18TensorIteratorBaseEENKUlvE_clEvENKUlvE_clEvEUldE_St5arrayIPcLm2EEEEviT0_T1_.num_named_barrier, 0
	.set _ZN2at6native29vectorized_elementwise_kernelILi4EZZZNS0_12_GLOBAL__N_120isneginf_kernel_implERNS_18TensorIteratorBaseEENKUlvE_clEvENKUlvE_clEvEUldE_St5arrayIPcLm2EEEEviT0_T1_.private_seg_size, 0
	.set _ZN2at6native29vectorized_elementwise_kernelILi4EZZZNS0_12_GLOBAL__N_120isneginf_kernel_implERNS_18TensorIteratorBaseEENKUlvE_clEvENKUlvE_clEvEUldE_St5arrayIPcLm2EEEEviT0_T1_.uses_vcc, 1
	.set _ZN2at6native29vectorized_elementwise_kernelILi4EZZZNS0_12_GLOBAL__N_120isneginf_kernel_implERNS_18TensorIteratorBaseEENKUlvE_clEvENKUlvE_clEvEUldE_St5arrayIPcLm2EEEEviT0_T1_.uses_flat_scratch, 0
	.set _ZN2at6native29vectorized_elementwise_kernelILi4EZZZNS0_12_GLOBAL__N_120isneginf_kernel_implERNS_18TensorIteratorBaseEENKUlvE_clEvENKUlvE_clEvEUldE_St5arrayIPcLm2EEEEviT0_T1_.has_dyn_sized_stack, 0
	.set _ZN2at6native29vectorized_elementwise_kernelILi4EZZZNS0_12_GLOBAL__N_120isneginf_kernel_implERNS_18TensorIteratorBaseEENKUlvE_clEvENKUlvE_clEvEUldE_St5arrayIPcLm2EEEEviT0_T1_.has_recursion, 0
	.set _ZN2at6native29vectorized_elementwise_kernelILi4EZZZNS0_12_GLOBAL__N_120isneginf_kernel_implERNS_18TensorIteratorBaseEENKUlvE_clEvENKUlvE_clEvEUldE_St5arrayIPcLm2EEEEviT0_T1_.has_indirect_call, 0
	.section	.AMDGPU.csdata,"",@progbits
; Kernel info:
; codeLenInByte = 3220
; TotalNumSgprs: 26
; NumVgprs: 34
; ScratchSize: 0
; MemoryBound: 0
; FloatMode: 240
; IeeeMode: 1
; LDSByteSize: 0 bytes/workgroup (compile time only)
; SGPRBlocks: 0
; VGPRBlocks: 2
; NumSGPRsForWavesPerEU: 26
; NumVGPRsForWavesPerEU: 34
; NamedBarCnt: 0
; Occupancy: 16
; WaveLimiterHint : 1
; COMPUTE_PGM_RSRC2:SCRATCH_EN: 0
; COMPUTE_PGM_RSRC2:USER_SGPR: 2
; COMPUTE_PGM_RSRC2:TRAP_HANDLER: 0
; COMPUTE_PGM_RSRC2:TGID_X_EN: 1
; COMPUTE_PGM_RSRC2:TGID_Y_EN: 0
; COMPUTE_PGM_RSRC2:TGID_Z_EN: 0
; COMPUTE_PGM_RSRC2:TIDIG_COMP_CNT: 0
	.section	.text._ZN2at6native29vectorized_elementwise_kernelILi2EZZZNS0_12_GLOBAL__N_120isneginf_kernel_implERNS_18TensorIteratorBaseEENKUlvE_clEvENKUlvE_clEvEUldE_St5arrayIPcLm2EEEEviT0_T1_,"axG",@progbits,_ZN2at6native29vectorized_elementwise_kernelILi2EZZZNS0_12_GLOBAL__N_120isneginf_kernel_implERNS_18TensorIteratorBaseEENKUlvE_clEvENKUlvE_clEvEUldE_St5arrayIPcLm2EEEEviT0_T1_,comdat
	.globl	_ZN2at6native29vectorized_elementwise_kernelILi2EZZZNS0_12_GLOBAL__N_120isneginf_kernel_implERNS_18TensorIteratorBaseEENKUlvE_clEvENKUlvE_clEvEUldE_St5arrayIPcLm2EEEEviT0_T1_ ; -- Begin function _ZN2at6native29vectorized_elementwise_kernelILi2EZZZNS0_12_GLOBAL__N_120isneginf_kernel_implERNS_18TensorIteratorBaseEENKUlvE_clEvENKUlvE_clEvEUldE_St5arrayIPcLm2EEEEviT0_T1_
	.p2align	8
	.type	_ZN2at6native29vectorized_elementwise_kernelILi2EZZZNS0_12_GLOBAL__N_120isneginf_kernel_implERNS_18TensorIteratorBaseEENKUlvE_clEvENKUlvE_clEvEUldE_St5arrayIPcLm2EEEEviT0_T1_,@function
_ZN2at6native29vectorized_elementwise_kernelILi2EZZZNS0_12_GLOBAL__N_120isneginf_kernel_implERNS_18TensorIteratorBaseEENKUlvE_clEvENKUlvE_clEvEUldE_St5arrayIPcLm2EEEEviT0_T1_: ; @_ZN2at6native29vectorized_elementwise_kernelILi2EZZZNS0_12_GLOBAL__N_120isneginf_kernel_implERNS_18TensorIteratorBaseEENKUlvE_clEvENKUlvE_clEvEUldE_St5arrayIPcLm2EEEEviT0_T1_
; %bb.0:
	s_clause 0x1
	s_load_b32 s3, s[0:1], 0x0
	s_load_b128 s[4:7], s[0:1], 0x8
	s_wait_xcnt 0x0
	s_bfe_u32 s0, ttmp6, 0x4000c
	s_and_b32 s1, ttmp6, 15
	s_add_co_i32 s0, s0, 1
	s_getreg_b32 s2, hwreg(HW_REG_IB_STS2, 6, 4)
	s_mul_i32 s0, ttmp9, s0
	s_delay_alu instid0(SALU_CYCLE_1) | instskip(SKIP_2) | instid1(SALU_CYCLE_1)
	s_add_co_i32 s1, s1, s0
	s_cmp_eq_u32 s2, 0
	s_cselect_b32 s0, ttmp9, s1
	s_lshl_b32 s2, s0, 12
	s_mov_b32 s0, -1
	s_wait_kmcnt 0x0
	s_sub_co_i32 s1, s3, s2
	s_delay_alu instid0(SALU_CYCLE_1)
	s_cmp_gt_i32 s1, 0xfff
	s_cbranch_scc0 .LBB67_2
; %bb.1:
	s_ashr_i32 s3, s2, 31
	s_mov_b32 s0, 0
	s_lshl_b64 s[8:9], s[2:3], 3
	s_delay_alu instid0(SALU_CYCLE_1)
	s_add_nc_u64 s[8:9], s[6:7], s[8:9]
	s_clause 0x7
	global_load_b128 v[2:5], v0, s[8:9] scale_offset
	global_load_b128 v[6:9], v0, s[8:9] offset:4096 scale_offset
	global_load_b128 v[10:13], v0, s[8:9] offset:8192 scale_offset
	;; [unrolled: 1-line block ×7, first 2 shown]
	s_wait_xcnt 0x0
	s_add_nc_u64 s[8:9], s[4:5], s[2:3]
	s_wait_loadcnt 0x7
	v_cmp_eq_f64_e32 vcc_lo, 0xfff00000, v[2:3]
	v_cndmask_b32_e64 v1, 0, 1, vcc_lo
	v_cmp_eq_f64_e32 vcc_lo, 0xfff00000, v[4:5]
	v_cndmask_b32_e64 v2, 0, 0x100, vcc_lo
	s_wait_loadcnt 0x6
	v_cmp_eq_f64_e32 vcc_lo, 0xfff00000, v[6:7]
	s_delay_alu instid0(VALU_DEP_2)
	v_or_b32_e32 v1, v2, v1
	v_cndmask_b32_e64 v3, 0, 1, vcc_lo
	v_cmp_eq_f64_e32 vcc_lo, 0xfff00000, v[8:9]
	v_cndmask_b32_e64 v4, 0, 0x100, vcc_lo
	s_wait_loadcnt 0x5
	v_cmp_eq_f64_e32 vcc_lo, 0xfff00000, v[10:11]
	s_delay_alu instid0(VALU_DEP_2)
	v_or_b32_e32 v2, v4, v3
	;; [unrolled: 7-line block ×6, first 2 shown]
	v_cndmask_b32_e64 v13, 0, 1, vcc_lo
	v_cmp_eq_f64_e32 vcc_lo, 0xfff00000, v[28:29]
	v_cndmask_b32_e64 v14, 0, 0x100, vcc_lo
	s_wait_loadcnt 0x0
	v_cmp_eq_f64_e32 vcc_lo, 0xfff00000, v[30:31]
	s_delay_alu instid0(VALU_DEP_2) | instskip(SKIP_3) | instid1(VALU_DEP_1)
	v_or_b32_e32 v7, v14, v13
	v_cndmask_b32_e64 v15, 0, 1, vcc_lo
	v_cmp_eq_f64_e32 vcc_lo, 0xfff00000, v[32:33]
	v_cndmask_b32_e64 v16, 0, 0x100, vcc_lo
	v_or_b32_e32 v8, v16, v15
	s_clause 0x7
	global_store_b16 v0, v1, s[8:9] scale_offset
	global_store_b16 v0, v2, s[8:9] offset:512 scale_offset
	global_store_b16 v0, v3, s[8:9] offset:1024 scale_offset
	;; [unrolled: 1-line block ×7, first 2 shown]
.LBB67_2:
	s_and_not1_b32 vcc_lo, exec_lo, s0
	s_cbranch_vccnz .LBB67_50
; %bb.3:
	v_cmp_gt_i32_e32 vcc_lo, s1, v0
	s_wait_xcnt 0x5
	v_dual_mov_b32 v3, v0 :: v_dual_bitop2_b32 v1, s2, v0 bitop3:0x54
	v_or_b32_e32 v2, 0x100, v0
	s_mov_b32 s3, 0
	s_wait_xcnt 0x0
	s_mov_b32 s9, 0
	s_and_saveexec_b32 s8, vcc_lo
	s_cbranch_execz .LBB67_5
; %bb.4:
	global_load_b64 v[4:5], v1, s[6:7] scale_offset
	v_or_b32_e32 v3, 0x100, v0
	s_wait_loadcnt 0x0
	v_cmp_eq_f64_e64 s0, 0xfff00000, v[4:5]
	s_and_b32 s9, s0, exec_lo
.LBB67_5:
	s_wait_xcnt 0x0
	s_or_b32 exec_lo, exec_lo, s8
	s_delay_alu instid0(SALU_CYCLE_1)
	s_mov_b32 s8, exec_lo
	v_cmpx_gt_i32_e64 s1, v3
	s_cbranch_execz .LBB67_7
; %bb.6:
	v_add_nc_u32_e32 v4, s2, v3
	v_add_nc_u32_e32 v3, 0x100, v3
	global_load_b64 v[4:5], v4, s[6:7] scale_offset
	s_wait_loadcnt 0x0
	v_cmp_eq_f64_e64 s0, 0xfff00000, v[4:5]
	s_and_b32 s3, s0, exec_lo
.LBB67_7:
	s_wait_xcnt 0x0
	s_or_b32 exec_lo, exec_lo, s8
	s_mov_b32 s8, 0
	s_mov_b32 s11, 0
	s_mov_b32 s10, exec_lo
	v_cmpx_gt_i32_e64 s1, v3
	s_cbranch_execz .LBB67_9
; %bb.8:
	v_add_nc_u32_e32 v4, s2, v3
	v_add_nc_u32_e32 v3, 0x100, v3
	global_load_b64 v[4:5], v4, s[6:7] scale_offset
	s_wait_loadcnt 0x0
	v_cmp_eq_f64_e64 s0, 0xfff00000, v[4:5]
	s_and_b32 s11, s0, exec_lo
.LBB67_9:
	s_wait_xcnt 0x0
	s_or_b32 exec_lo, exec_lo, s10
	s_delay_alu instid0(SALU_CYCLE_1)
	s_mov_b32 s10, exec_lo
	v_cmpx_gt_i32_e64 s1, v3
	s_cbranch_execz .LBB67_11
; %bb.10:
	v_add_nc_u32_e32 v4, s2, v3
	v_add_nc_u32_e32 v3, 0x100, v3
	global_load_b64 v[4:5], v4, s[6:7] scale_offset
	s_wait_loadcnt 0x0
	v_cmp_eq_f64_e64 s0, 0xfff00000, v[4:5]
	s_and_b32 s8, s0, exec_lo
.LBB67_11:
	s_wait_xcnt 0x0
	s_or_b32 exec_lo, exec_lo, s10
	s_mov_b32 s10, 0
	s_mov_b32 s13, 0
	s_mov_b32 s12, exec_lo
	v_cmpx_gt_i32_e64 s1, v3
	s_cbranch_execz .LBB67_13
; %bb.12:
	v_add_nc_u32_e32 v4, s2, v3
	v_add_nc_u32_e32 v3, 0x100, v3
	global_load_b64 v[4:5], v4, s[6:7] scale_offset
	s_wait_loadcnt 0x0
	v_cmp_eq_f64_e64 s0, 0xfff00000, v[4:5]
	s_and_b32 s13, s0, exec_lo
.LBB67_13:
	;; [unrolled: 29-line block ×6, first 2 shown]
	s_wait_xcnt 0x0
	s_or_b32 exec_lo, exec_lo, s20
	s_delay_alu instid0(SALU_CYCLE_1)
	s_mov_b32 s20, exec_lo
	v_cmpx_gt_i32_e64 s1, v3
	s_cbranch_execz .LBB67_31
; %bb.30:
	v_add_nc_u32_e32 v4, s2, v3
	v_add_nc_u32_e32 v3, 0x100, v3
	global_load_b64 v[4:5], v4, s[6:7] scale_offset
	s_wait_loadcnt 0x0
	v_cmp_eq_f64_e64 s0, 0xfff00000, v[4:5]
	s_and_b32 s18, s0, exec_lo
.LBB67_31:
	s_wait_xcnt 0x0
	s_or_b32 exec_lo, exec_lo, s20
	s_mov_b32 s20, 0
	s_mov_b32 s22, 0
	s_mov_b32 s23, exec_lo
	v_cmpx_gt_i32_e64 s1, v3
	s_cbranch_execnz .LBB67_51
; %bb.32:
	s_or_b32 exec_lo, exec_lo, s23
	s_delay_alu instid0(SALU_CYCLE_1)
	s_mov_b32 s23, exec_lo
	v_cmpx_gt_i32_e64 s1, v3
	s_cbranch_execnz .LBB67_52
.LBB67_33:
	s_or_b32 exec_lo, exec_lo, s23
	s_and_saveexec_b32 s0, vcc_lo
	s_cbranch_execnz .LBB67_53
.LBB67_34:
	s_or_b32 exec_lo, exec_lo, s0
	s_delay_alu instid0(SALU_CYCLE_1)
	s_mov_b32 s0, exec_lo
	v_cmpx_gt_i32_e64 s1, v0
	s_cbranch_execnz .LBB67_54
.LBB67_35:
	s_or_b32 exec_lo, exec_lo, s0
	s_delay_alu instid0(SALU_CYCLE_1)
	s_mov_b32 s0, exec_lo
	v_cmpx_gt_i32_e64 s1, v0
	s_cbranch_execnz .LBB67_55
.LBB67_36:
	s_or_b32 exec_lo, exec_lo, s0
	s_delay_alu instid0(SALU_CYCLE_1)
	s_mov_b32 s0, exec_lo
	v_cmpx_gt_i32_e64 s1, v0
	s_cbranch_execnz .LBB67_56
.LBB67_37:
	s_or_b32 exec_lo, exec_lo, s0
	s_delay_alu instid0(SALU_CYCLE_1)
	s_mov_b32 s0, exec_lo
	v_cmpx_gt_i32_e64 s1, v0
	s_cbranch_execnz .LBB67_57
.LBB67_38:
	s_or_b32 exec_lo, exec_lo, s0
	s_delay_alu instid0(SALU_CYCLE_1)
	s_mov_b32 s0, exec_lo
	v_cmpx_gt_i32_e64 s1, v0
	s_cbranch_execnz .LBB67_58
.LBB67_39:
	s_or_b32 exec_lo, exec_lo, s0
	s_delay_alu instid0(SALU_CYCLE_1)
	s_mov_b32 s0, exec_lo
	v_cmpx_gt_i32_e64 s1, v0
	s_cbranch_execnz .LBB67_59
.LBB67_40:
	s_or_b32 exec_lo, exec_lo, s0
	s_delay_alu instid0(SALU_CYCLE_1)
	s_mov_b32 s0, exec_lo
	v_cmpx_gt_i32_e64 s1, v0
	s_cbranch_execnz .LBB67_60
.LBB67_41:
	s_or_b32 exec_lo, exec_lo, s0
	s_delay_alu instid0(SALU_CYCLE_1)
	s_mov_b32 s0, exec_lo
	v_cmpx_gt_i32_e64 s1, v0
	s_cbranch_execnz .LBB67_61
.LBB67_42:
	s_or_b32 exec_lo, exec_lo, s0
	s_delay_alu instid0(SALU_CYCLE_1)
	s_mov_b32 s0, exec_lo
	v_cmpx_gt_i32_e64 s1, v0
	s_cbranch_execnz .LBB67_62
.LBB67_43:
	s_or_b32 exec_lo, exec_lo, s0
	s_delay_alu instid0(SALU_CYCLE_1)
	s_mov_b32 s0, exec_lo
	v_cmpx_gt_i32_e64 s1, v0
	s_cbranch_execnz .LBB67_63
.LBB67_44:
	s_or_b32 exec_lo, exec_lo, s0
	s_delay_alu instid0(SALU_CYCLE_1)
	s_mov_b32 s0, exec_lo
	v_cmpx_gt_i32_e64 s1, v0
	s_cbranch_execnz .LBB67_64
.LBB67_45:
	s_or_b32 exec_lo, exec_lo, s0
	s_delay_alu instid0(SALU_CYCLE_1)
	s_mov_b32 s0, exec_lo
	v_cmpx_gt_i32_e64 s1, v0
	s_cbranch_execnz .LBB67_65
.LBB67_46:
	s_or_b32 exec_lo, exec_lo, s0
	s_delay_alu instid0(SALU_CYCLE_1)
	s_mov_b32 s0, exec_lo
	v_cmpx_gt_i32_e64 s1, v0
	s_cbranch_execnz .LBB67_66
.LBB67_47:
	s_or_b32 exec_lo, exec_lo, s0
	s_delay_alu instid0(SALU_CYCLE_1)
	s_mov_b32 s0, exec_lo
	v_cmpx_gt_i32_e64 s1, v0
	s_cbranch_execnz .LBB67_67
.LBB67_48:
	s_or_b32 exec_lo, exec_lo, s0
	s_delay_alu instid0(SALU_CYCLE_1)
	s_mov_b32 s0, exec_lo
	v_cmpx_gt_i32_e64 s1, v0
	s_cbranch_execz .LBB67_50
.LBB67_49:
	v_cndmask_b32_e64 v1, 0, 1, s20
	v_add_nc_u32_e32 v0, s2, v0
	global_store_b8 v0, v1, s[4:5]
.LBB67_50:
	s_endpgm
.LBB67_51:
	v_add_nc_u32_e32 v4, s2, v3
	v_add_nc_u32_e32 v3, 0x100, v3
	global_load_b64 v[4:5], v4, s[6:7] scale_offset
	s_wait_loadcnt 0x0
	v_cmp_eq_f64_e64 s0, 0xfff00000, v[4:5]
	s_and_b32 s22, s0, exec_lo
	s_wait_xcnt 0x0
	s_or_b32 exec_lo, exec_lo, s23
	s_delay_alu instid0(SALU_CYCLE_1)
	s_mov_b32 s23, exec_lo
	v_cmpx_gt_i32_e64 s1, v3
	s_cbranch_execz .LBB67_33
.LBB67_52:
	v_add_nc_u32_e32 v3, s2, v3
	global_load_b64 v[4:5], v3, s[6:7] scale_offset
	s_wait_loadcnt 0x0
	v_cmp_eq_f64_e64 s0, 0xfff00000, v[4:5]
	s_and_b32 s20, s0, exec_lo
	s_wait_xcnt 0x0
	s_or_b32 exec_lo, exec_lo, s23
	s_and_saveexec_b32 s0, vcc_lo
	s_cbranch_execz .LBB67_34
.LBB67_53:
	v_cndmask_b32_e64 v3, 0, 1, s9
	v_mov_b32_e32 v0, v2
	global_store_b8 v1, v3, s[4:5]
	s_wait_xcnt 0x0
	s_or_b32 exec_lo, exec_lo, s0
	s_delay_alu instid0(SALU_CYCLE_1)
	s_mov_b32 s0, exec_lo
	v_cmpx_gt_i32_e64 s1, v0
	s_cbranch_execz .LBB67_35
.LBB67_54:
	v_cndmask_b32_e64 v1, 0, 1, s3
	v_add_nc_u32_e32 v2, s2, v0
	v_add_nc_u32_e32 v0, 0x100, v0
	global_store_b8 v2, v1, s[4:5]
	s_wait_xcnt 0x0
	s_or_b32 exec_lo, exec_lo, s0
	s_delay_alu instid0(SALU_CYCLE_1)
	s_mov_b32 s0, exec_lo
	v_cmpx_gt_i32_e64 s1, v0
	s_cbranch_execz .LBB67_36
.LBB67_55:
	v_cndmask_b32_e64 v1, 0, 1, s11
	v_add_nc_u32_e32 v2, s2, v0
	v_add_nc_u32_e32 v0, 0x100, v0
	global_store_b8 v2, v1, s[4:5]
	s_wait_xcnt 0x0
	s_or_b32 exec_lo, exec_lo, s0
	s_delay_alu instid0(SALU_CYCLE_1)
	s_mov_b32 s0, exec_lo
	v_cmpx_gt_i32_e64 s1, v0
	s_cbranch_execz .LBB67_37
.LBB67_56:
	v_cndmask_b32_e64 v1, 0, 1, s8
	v_add_nc_u32_e32 v2, s2, v0
	v_add_nc_u32_e32 v0, 0x100, v0
	global_store_b8 v2, v1, s[4:5]
	s_wait_xcnt 0x0
	s_or_b32 exec_lo, exec_lo, s0
	s_delay_alu instid0(SALU_CYCLE_1)
	s_mov_b32 s0, exec_lo
	v_cmpx_gt_i32_e64 s1, v0
	s_cbranch_execz .LBB67_38
.LBB67_57:
	v_cndmask_b32_e64 v1, 0, 1, s13
	v_add_nc_u32_e32 v2, s2, v0
	v_add_nc_u32_e32 v0, 0x100, v0
	global_store_b8 v2, v1, s[4:5]
	s_wait_xcnt 0x0
	s_or_b32 exec_lo, exec_lo, s0
	s_delay_alu instid0(SALU_CYCLE_1)
	s_mov_b32 s0, exec_lo
	v_cmpx_gt_i32_e64 s1, v0
	s_cbranch_execz .LBB67_39
.LBB67_58:
	v_cndmask_b32_e64 v1, 0, 1, s10
	v_add_nc_u32_e32 v2, s2, v0
	v_add_nc_u32_e32 v0, 0x100, v0
	global_store_b8 v2, v1, s[4:5]
	s_wait_xcnt 0x0
	s_or_b32 exec_lo, exec_lo, s0
	s_delay_alu instid0(SALU_CYCLE_1)
	s_mov_b32 s0, exec_lo
	v_cmpx_gt_i32_e64 s1, v0
	s_cbranch_execz .LBB67_40
.LBB67_59:
	v_cndmask_b32_e64 v1, 0, 1, s15
	v_add_nc_u32_e32 v2, s2, v0
	v_add_nc_u32_e32 v0, 0x100, v0
	global_store_b8 v2, v1, s[4:5]
	s_wait_xcnt 0x0
	s_or_b32 exec_lo, exec_lo, s0
	s_delay_alu instid0(SALU_CYCLE_1)
	s_mov_b32 s0, exec_lo
	v_cmpx_gt_i32_e64 s1, v0
	s_cbranch_execz .LBB67_41
.LBB67_60:
	v_cndmask_b32_e64 v1, 0, 1, s12
	v_add_nc_u32_e32 v2, s2, v0
	v_add_nc_u32_e32 v0, 0x100, v0
	global_store_b8 v2, v1, s[4:5]
	s_wait_xcnt 0x0
	s_or_b32 exec_lo, exec_lo, s0
	s_delay_alu instid0(SALU_CYCLE_1)
	s_mov_b32 s0, exec_lo
	v_cmpx_gt_i32_e64 s1, v0
	s_cbranch_execz .LBB67_42
.LBB67_61:
	v_cndmask_b32_e64 v1, 0, 1, s17
	v_add_nc_u32_e32 v2, s2, v0
	v_add_nc_u32_e32 v0, 0x100, v0
	global_store_b8 v2, v1, s[4:5]
	s_wait_xcnt 0x0
	s_or_b32 exec_lo, exec_lo, s0
	s_delay_alu instid0(SALU_CYCLE_1)
	s_mov_b32 s0, exec_lo
	v_cmpx_gt_i32_e64 s1, v0
	s_cbranch_execz .LBB67_43
.LBB67_62:
	v_cndmask_b32_e64 v1, 0, 1, s14
	v_add_nc_u32_e32 v2, s2, v0
	v_add_nc_u32_e32 v0, 0x100, v0
	global_store_b8 v2, v1, s[4:5]
	s_wait_xcnt 0x0
	s_or_b32 exec_lo, exec_lo, s0
	s_delay_alu instid0(SALU_CYCLE_1)
	s_mov_b32 s0, exec_lo
	v_cmpx_gt_i32_e64 s1, v0
	s_cbranch_execz .LBB67_44
.LBB67_63:
	v_cndmask_b32_e64 v1, 0, 1, s19
	v_add_nc_u32_e32 v2, s2, v0
	v_add_nc_u32_e32 v0, 0x100, v0
	global_store_b8 v2, v1, s[4:5]
	s_wait_xcnt 0x0
	s_or_b32 exec_lo, exec_lo, s0
	s_delay_alu instid0(SALU_CYCLE_1)
	s_mov_b32 s0, exec_lo
	v_cmpx_gt_i32_e64 s1, v0
	s_cbranch_execz .LBB67_45
.LBB67_64:
	v_cndmask_b32_e64 v1, 0, 1, s16
	v_add_nc_u32_e32 v2, s2, v0
	v_add_nc_u32_e32 v0, 0x100, v0
	global_store_b8 v2, v1, s[4:5]
	s_wait_xcnt 0x0
	s_or_b32 exec_lo, exec_lo, s0
	s_delay_alu instid0(SALU_CYCLE_1)
	s_mov_b32 s0, exec_lo
	v_cmpx_gt_i32_e64 s1, v0
	s_cbranch_execz .LBB67_46
.LBB67_65:
	v_cndmask_b32_e64 v1, 0, 1, s21
	v_add_nc_u32_e32 v2, s2, v0
	v_add_nc_u32_e32 v0, 0x100, v0
	global_store_b8 v2, v1, s[4:5]
	s_wait_xcnt 0x0
	s_or_b32 exec_lo, exec_lo, s0
	s_delay_alu instid0(SALU_CYCLE_1)
	s_mov_b32 s0, exec_lo
	v_cmpx_gt_i32_e64 s1, v0
	s_cbranch_execz .LBB67_47
.LBB67_66:
	v_cndmask_b32_e64 v1, 0, 1, s18
	v_add_nc_u32_e32 v2, s2, v0
	v_add_nc_u32_e32 v0, 0x100, v0
	global_store_b8 v2, v1, s[4:5]
	s_wait_xcnt 0x0
	s_or_b32 exec_lo, exec_lo, s0
	s_delay_alu instid0(SALU_CYCLE_1)
	s_mov_b32 s0, exec_lo
	v_cmpx_gt_i32_e64 s1, v0
	s_cbranch_execz .LBB67_48
.LBB67_67:
	v_cndmask_b32_e64 v1, 0, 1, s22
	v_add_nc_u32_e32 v2, s2, v0
	v_add_nc_u32_e32 v0, 0x100, v0
	global_store_b8 v2, v1, s[4:5]
	s_wait_xcnt 0x0
	s_or_b32 exec_lo, exec_lo, s0
	s_delay_alu instid0(SALU_CYCLE_1)
	s_mov_b32 s0, exec_lo
	v_cmpx_gt_i32_e64 s1, v0
	s_cbranch_execnz .LBB67_49
	s_branch .LBB67_50
	.section	.rodata,"a",@progbits
	.p2align	6, 0x0
	.amdhsa_kernel _ZN2at6native29vectorized_elementwise_kernelILi2EZZZNS0_12_GLOBAL__N_120isneginf_kernel_implERNS_18TensorIteratorBaseEENKUlvE_clEvENKUlvE_clEvEUldE_St5arrayIPcLm2EEEEviT0_T1_
		.amdhsa_group_segment_fixed_size 0
		.amdhsa_private_segment_fixed_size 0
		.amdhsa_kernarg_size 24
		.amdhsa_user_sgpr_count 2
		.amdhsa_user_sgpr_dispatch_ptr 0
		.amdhsa_user_sgpr_queue_ptr 0
		.amdhsa_user_sgpr_kernarg_segment_ptr 1
		.amdhsa_user_sgpr_dispatch_id 0
		.amdhsa_user_sgpr_kernarg_preload_length 0
		.amdhsa_user_sgpr_kernarg_preload_offset 0
		.amdhsa_user_sgpr_private_segment_size 0
		.amdhsa_wavefront_size32 1
		.amdhsa_uses_dynamic_stack 0
		.amdhsa_enable_private_segment 0
		.amdhsa_system_sgpr_workgroup_id_x 1
		.amdhsa_system_sgpr_workgroup_id_y 0
		.amdhsa_system_sgpr_workgroup_id_z 0
		.amdhsa_system_sgpr_workgroup_info 0
		.amdhsa_system_vgpr_workitem_id 0
		.amdhsa_next_free_vgpr 34
		.amdhsa_next_free_sgpr 24
		.amdhsa_named_barrier_count 0
		.amdhsa_reserve_vcc 1
		.amdhsa_float_round_mode_32 0
		.amdhsa_float_round_mode_16_64 0
		.amdhsa_float_denorm_mode_32 3
		.amdhsa_float_denorm_mode_16_64 3
		.amdhsa_fp16_overflow 0
		.amdhsa_memory_ordered 1
		.amdhsa_forward_progress 1
		.amdhsa_inst_pref_size 26
		.amdhsa_round_robin_scheduling 0
		.amdhsa_exception_fp_ieee_invalid_op 0
		.amdhsa_exception_fp_denorm_src 0
		.amdhsa_exception_fp_ieee_div_zero 0
		.amdhsa_exception_fp_ieee_overflow 0
		.amdhsa_exception_fp_ieee_underflow 0
		.amdhsa_exception_fp_ieee_inexact 0
		.amdhsa_exception_int_div_zero 0
	.end_amdhsa_kernel
	.section	.text._ZN2at6native29vectorized_elementwise_kernelILi2EZZZNS0_12_GLOBAL__N_120isneginf_kernel_implERNS_18TensorIteratorBaseEENKUlvE_clEvENKUlvE_clEvEUldE_St5arrayIPcLm2EEEEviT0_T1_,"axG",@progbits,_ZN2at6native29vectorized_elementwise_kernelILi2EZZZNS0_12_GLOBAL__N_120isneginf_kernel_implERNS_18TensorIteratorBaseEENKUlvE_clEvENKUlvE_clEvEUldE_St5arrayIPcLm2EEEEviT0_T1_,comdat
.Lfunc_end67:
	.size	_ZN2at6native29vectorized_elementwise_kernelILi2EZZZNS0_12_GLOBAL__N_120isneginf_kernel_implERNS_18TensorIteratorBaseEENKUlvE_clEvENKUlvE_clEvEUldE_St5arrayIPcLm2EEEEviT0_T1_, .Lfunc_end67-_ZN2at6native29vectorized_elementwise_kernelILi2EZZZNS0_12_GLOBAL__N_120isneginf_kernel_implERNS_18TensorIteratorBaseEENKUlvE_clEvENKUlvE_clEvEUldE_St5arrayIPcLm2EEEEviT0_T1_
                                        ; -- End function
	.set _ZN2at6native29vectorized_elementwise_kernelILi2EZZZNS0_12_GLOBAL__N_120isneginf_kernel_implERNS_18TensorIteratorBaseEENKUlvE_clEvENKUlvE_clEvEUldE_St5arrayIPcLm2EEEEviT0_T1_.num_vgpr, 34
	.set _ZN2at6native29vectorized_elementwise_kernelILi2EZZZNS0_12_GLOBAL__N_120isneginf_kernel_implERNS_18TensorIteratorBaseEENKUlvE_clEvENKUlvE_clEvEUldE_St5arrayIPcLm2EEEEviT0_T1_.num_agpr, 0
	.set _ZN2at6native29vectorized_elementwise_kernelILi2EZZZNS0_12_GLOBAL__N_120isneginf_kernel_implERNS_18TensorIteratorBaseEENKUlvE_clEvENKUlvE_clEvEUldE_St5arrayIPcLm2EEEEviT0_T1_.numbered_sgpr, 24
	.set _ZN2at6native29vectorized_elementwise_kernelILi2EZZZNS0_12_GLOBAL__N_120isneginf_kernel_implERNS_18TensorIteratorBaseEENKUlvE_clEvENKUlvE_clEvEUldE_St5arrayIPcLm2EEEEviT0_T1_.num_named_barrier, 0
	.set _ZN2at6native29vectorized_elementwise_kernelILi2EZZZNS0_12_GLOBAL__N_120isneginf_kernel_implERNS_18TensorIteratorBaseEENKUlvE_clEvENKUlvE_clEvEUldE_St5arrayIPcLm2EEEEviT0_T1_.private_seg_size, 0
	.set _ZN2at6native29vectorized_elementwise_kernelILi2EZZZNS0_12_GLOBAL__N_120isneginf_kernel_implERNS_18TensorIteratorBaseEENKUlvE_clEvENKUlvE_clEvEUldE_St5arrayIPcLm2EEEEviT0_T1_.uses_vcc, 1
	.set _ZN2at6native29vectorized_elementwise_kernelILi2EZZZNS0_12_GLOBAL__N_120isneginf_kernel_implERNS_18TensorIteratorBaseEENKUlvE_clEvENKUlvE_clEvEUldE_St5arrayIPcLm2EEEEviT0_T1_.uses_flat_scratch, 0
	.set _ZN2at6native29vectorized_elementwise_kernelILi2EZZZNS0_12_GLOBAL__N_120isneginf_kernel_implERNS_18TensorIteratorBaseEENKUlvE_clEvENKUlvE_clEvEUldE_St5arrayIPcLm2EEEEviT0_T1_.has_dyn_sized_stack, 0
	.set _ZN2at6native29vectorized_elementwise_kernelILi2EZZZNS0_12_GLOBAL__N_120isneginf_kernel_implERNS_18TensorIteratorBaseEENKUlvE_clEvENKUlvE_clEvEUldE_St5arrayIPcLm2EEEEviT0_T1_.has_recursion, 0
	.set _ZN2at6native29vectorized_elementwise_kernelILi2EZZZNS0_12_GLOBAL__N_120isneginf_kernel_implERNS_18TensorIteratorBaseEENKUlvE_clEvENKUlvE_clEvEUldE_St5arrayIPcLm2EEEEviT0_T1_.has_indirect_call, 0
	.section	.AMDGPU.csdata,"",@progbits
; Kernel info:
; codeLenInByte = 3236
; TotalNumSgprs: 26
; NumVgprs: 34
; ScratchSize: 0
; MemoryBound: 0
; FloatMode: 240
; IeeeMode: 1
; LDSByteSize: 0 bytes/workgroup (compile time only)
; SGPRBlocks: 0
; VGPRBlocks: 2
; NumSGPRsForWavesPerEU: 26
; NumVGPRsForWavesPerEU: 34
; NamedBarCnt: 0
; Occupancy: 16
; WaveLimiterHint : 1
; COMPUTE_PGM_RSRC2:SCRATCH_EN: 0
; COMPUTE_PGM_RSRC2:USER_SGPR: 2
; COMPUTE_PGM_RSRC2:TRAP_HANDLER: 0
; COMPUTE_PGM_RSRC2:TGID_X_EN: 1
; COMPUTE_PGM_RSRC2:TGID_Y_EN: 0
; COMPUTE_PGM_RSRC2:TGID_Z_EN: 0
; COMPUTE_PGM_RSRC2:TIDIG_COMP_CNT: 0
	.section	.text._ZN2at6native27unrolled_elementwise_kernelIZZZNS0_12_GLOBAL__N_120isneginf_kernel_implERNS_18TensorIteratorBaseEENKUlvE_clEvENKUlvE_clEvEUldE_St5arrayIPcLm2EELi4E23TrivialOffsetCalculatorILi1EjESC_NS0_6memory15LoadWithoutCastENSD_16StoreWithoutCastEEEviT_T0_T2_T3_T4_T5_,"axG",@progbits,_ZN2at6native27unrolled_elementwise_kernelIZZZNS0_12_GLOBAL__N_120isneginf_kernel_implERNS_18TensorIteratorBaseEENKUlvE_clEvENKUlvE_clEvEUldE_St5arrayIPcLm2EELi4E23TrivialOffsetCalculatorILi1EjESC_NS0_6memory15LoadWithoutCastENSD_16StoreWithoutCastEEEviT_T0_T2_T3_T4_T5_,comdat
	.globl	_ZN2at6native27unrolled_elementwise_kernelIZZZNS0_12_GLOBAL__N_120isneginf_kernel_implERNS_18TensorIteratorBaseEENKUlvE_clEvENKUlvE_clEvEUldE_St5arrayIPcLm2EELi4E23TrivialOffsetCalculatorILi1EjESC_NS0_6memory15LoadWithoutCastENSD_16StoreWithoutCastEEEviT_T0_T2_T3_T4_T5_ ; -- Begin function _ZN2at6native27unrolled_elementwise_kernelIZZZNS0_12_GLOBAL__N_120isneginf_kernel_implERNS_18TensorIteratorBaseEENKUlvE_clEvENKUlvE_clEvEUldE_St5arrayIPcLm2EELi4E23TrivialOffsetCalculatorILi1EjESC_NS0_6memory15LoadWithoutCastENSD_16StoreWithoutCastEEEviT_T0_T2_T3_T4_T5_
	.p2align	8
	.type	_ZN2at6native27unrolled_elementwise_kernelIZZZNS0_12_GLOBAL__N_120isneginf_kernel_implERNS_18TensorIteratorBaseEENKUlvE_clEvENKUlvE_clEvEUldE_St5arrayIPcLm2EELi4E23TrivialOffsetCalculatorILi1EjESC_NS0_6memory15LoadWithoutCastENSD_16StoreWithoutCastEEEviT_T0_T2_T3_T4_T5_,@function
_ZN2at6native27unrolled_elementwise_kernelIZZZNS0_12_GLOBAL__N_120isneginf_kernel_implERNS_18TensorIteratorBaseEENKUlvE_clEvENKUlvE_clEvEUldE_St5arrayIPcLm2EELi4E23TrivialOffsetCalculatorILi1EjESC_NS0_6memory15LoadWithoutCastENSD_16StoreWithoutCastEEEviT_T0_T2_T3_T4_T5_: ; @_ZN2at6native27unrolled_elementwise_kernelIZZZNS0_12_GLOBAL__N_120isneginf_kernel_implERNS_18TensorIteratorBaseEENKUlvE_clEvENKUlvE_clEvEUldE_St5arrayIPcLm2EELi4E23TrivialOffsetCalculatorILi1EjESC_NS0_6memory15LoadWithoutCastENSD_16StoreWithoutCastEEEviT_T0_T2_T3_T4_T5_
; %bb.0:
	s_clause 0x1
	s_load_b32 s2, s[0:1], 0x0
	s_load_b128 s[4:7], s[0:1], 0x8
	s_bfe_u32 s3, ttmp6, 0x4000c
	s_wait_xcnt 0x0
	s_and_b32 s0, ttmp6, 15
	s_add_co_i32 s3, s3, 1
	v_or_b32_e32 v1, 0x100, v0
	s_mul_i32 s1, ttmp9, s3
	s_getreg_b32 s3, hwreg(HW_REG_IB_STS2, 6, 4)
	s_add_co_i32 s0, s0, s1
	s_cmp_eq_u32 s3, 0
	s_mov_b32 s8, 0
	s_cselect_b32 s0, ttmp9, s0
	s_mov_b32 s3, 0
	s_lshl_b32 s1, s0, 10
	s_delay_alu instid0(SALU_CYCLE_1) | instskip(SKIP_2) | instid1(SALU_CYCLE_1)
	v_dual_mov_b32 v3, v0 :: v_dual_bitop2_b32 v2, s1, v0 bitop3:0x54
	s_wait_kmcnt 0x0
	s_sub_co_i32 s2, s2, s1
	v_cmp_gt_i32_e32 vcc_lo, s2, v0
	s_and_saveexec_b32 s9, vcc_lo
	s_cbranch_execz .LBB68_2
; %bb.1:
	global_load_b64 v[4:5], v2, s[6:7] scale_offset
	v_or_b32_e32 v3, 0x100, v0
	s_wait_loadcnt 0x0
	v_cmp_eq_f64_e64 s0, 0xfff00000, v[4:5]
	s_and_b32 s3, s0, exec_lo
.LBB68_2:
	s_or_b32 exec_lo, exec_lo, s9
	s_delay_alu instid0(SALU_CYCLE_1)
	s_mov_b32 s9, exec_lo
	v_cmpx_gt_i32_e64 s2, v3
	s_cbranch_execz .LBB68_4
; %bb.3:
	v_add_nc_u32_e32 v4, s1, v3
	v_add_nc_u32_e32 v3, 0x100, v3
	global_load_b64 v[4:5], v4, s[6:7] scale_offset
	s_wait_loadcnt 0x0
	v_cmp_eq_f64_e64 s0, 0xfff00000, v[4:5]
	s_and_b32 s8, s0, exec_lo
.LBB68_4:
	s_or_b32 exec_lo, exec_lo, s9
	s_mov_b32 s9, 0
	s_mov_b32 s10, 0
	s_mov_b32 s11, exec_lo
	v_cmpx_gt_i32_e64 s2, v3
	s_cbranch_execz .LBB68_6
; %bb.5:
	v_add_nc_u32_e32 v4, s1, v3
	v_add_nc_u32_e32 v3, 0x100, v3
	global_load_b64 v[4:5], v4, s[6:7] scale_offset
	s_wait_loadcnt 0x0
	v_cmp_eq_f64_e64 s0, 0xfff00000, v[4:5]
	s_and_b32 s10, s0, exec_lo
.LBB68_6:
	s_or_b32 exec_lo, exec_lo, s11
	s_delay_alu instid0(SALU_CYCLE_1)
	s_mov_b32 s11, exec_lo
	v_cmpx_gt_i32_e64 s2, v3
	s_cbranch_execz .LBB68_8
; %bb.7:
	v_add_nc_u32_e32 v3, s1, v3
	global_load_b64 v[4:5], v3, s[6:7] scale_offset
	s_wait_loadcnt 0x0
	v_cmp_eq_f64_e64 s0, 0xfff00000, v[4:5]
	s_and_b32 s9, s0, exec_lo
.LBB68_8:
	s_or_b32 exec_lo, exec_lo, s11
	v_cndmask_b32_e64 v3, 0, 1, s3
	v_cndmask_b32_e64 v4, 0, 1, s8
	;; [unrolled: 1-line block ×3, first 2 shown]
	v_cmp_gt_i32_e64 s0, s2, v1
	s_delay_alu instid0(VALU_DEP_4) | instskip(NEXT) | instid1(VALU_DEP_4)
	v_cndmask_b32_e32 v3, 0, v3, vcc_lo
	v_lshlrev_b16 v4, 8, v4
	s_delay_alu instid0(VALU_DEP_1) | instskip(NEXT) | instid1(VALU_DEP_1)
	v_dual_lshlrev_b32 v5, 16, v5 :: v_dual_bitop2_b32 v4, v3, v4 bitop3:0x54
	v_and_b32_e32 v4, 0xffff, v4
	s_delay_alu instid0(VALU_DEP_1) | instskip(SKIP_1) | instid1(VALU_DEP_2)
	v_cndmask_b32_e64 v3, v3, v4, s0
	v_or_b32_e32 v4, 0x200, v0
	v_or_b32_e32 v5, v3, v5
	s_delay_alu instid0(VALU_DEP_2) | instskip(SKIP_1) | instid1(VALU_DEP_2)
	v_cmp_gt_i32_e64 s0, s2, v4
	v_cndmask_b32_e64 v4, 0, 1, s9
	v_cndmask_b32_e64 v3, v3, v5, s0
	s_delay_alu instid0(VALU_DEP_2) | instskip(NEXT) | instid1(VALU_DEP_2)
	v_lshlrev_b16 v4, 8, v4
	v_lshrrev_b32_e32 v5, 16, v3
	s_delay_alu instid0(VALU_DEP_1) | instskip(SKIP_1) | instid1(VALU_DEP_2)
	v_bitop3_b16 v4, v5, v4, 0xff bitop3:0xec
	v_or_b32_e32 v5, 0x300, v0
	v_lshlrev_b32_e32 v4, 16, v4
	s_delay_alu instid0(VALU_DEP_2) | instskip(NEXT) | instid1(VALU_DEP_2)
	v_cmp_gt_i32_e64 s0, s2, v5
	v_and_or_b32 v4, 0xffff, v3, v4
	s_delay_alu instid0(VALU_DEP_1)
	v_cndmask_b32_e64 v3, v3, v4, s0
	s_and_saveexec_b32 s0, vcc_lo
	s_cbranch_execnz .LBB68_13
; %bb.9:
	s_or_b32 exec_lo, exec_lo, s0
	s_delay_alu instid0(SALU_CYCLE_1)
	s_mov_b32 s0, exec_lo
	v_cmpx_gt_i32_e64 s2, v0
	s_cbranch_execnz .LBB68_14
.LBB68_10:
	s_or_b32 exec_lo, exec_lo, s0
	s_delay_alu instid0(SALU_CYCLE_1)
	s_mov_b32 s0, exec_lo
	v_cmpx_gt_i32_e64 s2, v0
	s_cbranch_execnz .LBB68_15
.LBB68_11:
	s_or_b32 exec_lo, exec_lo, s0
	s_delay_alu instid0(SALU_CYCLE_1)
	s_mov_b32 s0, exec_lo
	v_cmpx_gt_i32_e64 s2, v0
	s_cbranch_execnz .LBB68_16
.LBB68_12:
	s_endpgm
.LBB68_13:
	v_mov_b32_e32 v0, v1
	global_store_b8 v2, v3, s[4:5]
	s_wait_xcnt 0x0
	s_or_b32 exec_lo, exec_lo, s0
	s_delay_alu instid0(SALU_CYCLE_1)
	s_mov_b32 s0, exec_lo
	v_cmpx_gt_i32_e64 s2, v0
	s_cbranch_execz .LBB68_10
.LBB68_14:
	v_add_nc_u32_e32 v1, 0x100, v0
	v_dual_add_nc_u32 v2, s1, v0 :: v_dual_lshrrev_b32 v4, 8, v3
	s_delay_alu instid0(VALU_DEP_2) | instskip(SKIP_3) | instid1(SALU_CYCLE_1)
	v_mov_b32_e32 v0, v1
	global_store_b8 v2, v4, s[4:5]
	s_wait_xcnt 0x0
	s_or_b32 exec_lo, exec_lo, s0
	s_mov_b32 s0, exec_lo
	v_cmpx_gt_i32_e64 s2, v0
	s_cbranch_execz .LBB68_11
.LBB68_15:
	v_add_nc_u32_e32 v1, 0x100, v0
	s_delay_alu instid0(VALU_DEP_1) | instskip(SKIP_3) | instid1(SALU_CYCLE_1)
	v_dual_add_nc_u32 v2, s1, v0 :: v_dual_mov_b32 v0, v1
	global_store_d16_hi_b8 v2, v3, s[4:5]
	s_wait_xcnt 0x0
	s_or_b32 exec_lo, exec_lo, s0
	s_mov_b32 s0, exec_lo
	v_cmpx_gt_i32_e64 s2, v0
	s_cbranch_execz .LBB68_12
.LBB68_16:
	v_dual_add_nc_u32 v0, s1, v0 :: v_dual_lshrrev_b32 v1, 24, v3
	global_store_b8 v0, v1, s[4:5]
	s_endpgm
	.section	.rodata,"a",@progbits
	.p2align	6, 0x0
	.amdhsa_kernel _ZN2at6native27unrolled_elementwise_kernelIZZZNS0_12_GLOBAL__N_120isneginf_kernel_implERNS_18TensorIteratorBaseEENKUlvE_clEvENKUlvE_clEvEUldE_St5arrayIPcLm2EELi4E23TrivialOffsetCalculatorILi1EjESC_NS0_6memory15LoadWithoutCastENSD_16StoreWithoutCastEEEviT_T0_T2_T3_T4_T5_
		.amdhsa_group_segment_fixed_size 0
		.amdhsa_private_segment_fixed_size 0
		.amdhsa_kernarg_size 28
		.amdhsa_user_sgpr_count 2
		.amdhsa_user_sgpr_dispatch_ptr 0
		.amdhsa_user_sgpr_queue_ptr 0
		.amdhsa_user_sgpr_kernarg_segment_ptr 1
		.amdhsa_user_sgpr_dispatch_id 0
		.amdhsa_user_sgpr_kernarg_preload_length 0
		.amdhsa_user_sgpr_kernarg_preload_offset 0
		.amdhsa_user_sgpr_private_segment_size 0
		.amdhsa_wavefront_size32 1
		.amdhsa_uses_dynamic_stack 0
		.amdhsa_enable_private_segment 0
		.amdhsa_system_sgpr_workgroup_id_x 1
		.amdhsa_system_sgpr_workgroup_id_y 0
		.amdhsa_system_sgpr_workgroup_id_z 0
		.amdhsa_system_sgpr_workgroup_info 0
		.amdhsa_system_vgpr_workitem_id 0
		.amdhsa_next_free_vgpr 6
		.amdhsa_next_free_sgpr 12
		.amdhsa_named_barrier_count 0
		.amdhsa_reserve_vcc 1
		.amdhsa_float_round_mode_32 0
		.amdhsa_float_round_mode_16_64 0
		.amdhsa_float_denorm_mode_32 3
		.amdhsa_float_denorm_mode_16_64 3
		.amdhsa_fp16_overflow 0
		.amdhsa_memory_ordered 1
		.amdhsa_forward_progress 1
		.amdhsa_inst_pref_size 7
		.amdhsa_round_robin_scheduling 0
		.amdhsa_exception_fp_ieee_invalid_op 0
		.amdhsa_exception_fp_denorm_src 0
		.amdhsa_exception_fp_ieee_div_zero 0
		.amdhsa_exception_fp_ieee_overflow 0
		.amdhsa_exception_fp_ieee_underflow 0
		.amdhsa_exception_fp_ieee_inexact 0
		.amdhsa_exception_int_div_zero 0
	.end_amdhsa_kernel
	.section	.text._ZN2at6native27unrolled_elementwise_kernelIZZZNS0_12_GLOBAL__N_120isneginf_kernel_implERNS_18TensorIteratorBaseEENKUlvE_clEvENKUlvE_clEvEUldE_St5arrayIPcLm2EELi4E23TrivialOffsetCalculatorILi1EjESC_NS0_6memory15LoadWithoutCastENSD_16StoreWithoutCastEEEviT_T0_T2_T3_T4_T5_,"axG",@progbits,_ZN2at6native27unrolled_elementwise_kernelIZZZNS0_12_GLOBAL__N_120isneginf_kernel_implERNS_18TensorIteratorBaseEENKUlvE_clEvENKUlvE_clEvEUldE_St5arrayIPcLm2EELi4E23TrivialOffsetCalculatorILi1EjESC_NS0_6memory15LoadWithoutCastENSD_16StoreWithoutCastEEEviT_T0_T2_T3_T4_T5_,comdat
.Lfunc_end68:
	.size	_ZN2at6native27unrolled_elementwise_kernelIZZZNS0_12_GLOBAL__N_120isneginf_kernel_implERNS_18TensorIteratorBaseEENKUlvE_clEvENKUlvE_clEvEUldE_St5arrayIPcLm2EELi4E23TrivialOffsetCalculatorILi1EjESC_NS0_6memory15LoadWithoutCastENSD_16StoreWithoutCastEEEviT_T0_T2_T3_T4_T5_, .Lfunc_end68-_ZN2at6native27unrolled_elementwise_kernelIZZZNS0_12_GLOBAL__N_120isneginf_kernel_implERNS_18TensorIteratorBaseEENKUlvE_clEvENKUlvE_clEvEUldE_St5arrayIPcLm2EELi4E23TrivialOffsetCalculatorILi1EjESC_NS0_6memory15LoadWithoutCastENSD_16StoreWithoutCastEEEviT_T0_T2_T3_T4_T5_
                                        ; -- End function
	.set _ZN2at6native27unrolled_elementwise_kernelIZZZNS0_12_GLOBAL__N_120isneginf_kernel_implERNS_18TensorIteratorBaseEENKUlvE_clEvENKUlvE_clEvEUldE_St5arrayIPcLm2EELi4E23TrivialOffsetCalculatorILi1EjESC_NS0_6memory15LoadWithoutCastENSD_16StoreWithoutCastEEEviT_T0_T2_T3_T4_T5_.num_vgpr, 6
	.set _ZN2at6native27unrolled_elementwise_kernelIZZZNS0_12_GLOBAL__N_120isneginf_kernel_implERNS_18TensorIteratorBaseEENKUlvE_clEvENKUlvE_clEvEUldE_St5arrayIPcLm2EELi4E23TrivialOffsetCalculatorILi1EjESC_NS0_6memory15LoadWithoutCastENSD_16StoreWithoutCastEEEviT_T0_T2_T3_T4_T5_.num_agpr, 0
	.set _ZN2at6native27unrolled_elementwise_kernelIZZZNS0_12_GLOBAL__N_120isneginf_kernel_implERNS_18TensorIteratorBaseEENKUlvE_clEvENKUlvE_clEvEUldE_St5arrayIPcLm2EELi4E23TrivialOffsetCalculatorILi1EjESC_NS0_6memory15LoadWithoutCastENSD_16StoreWithoutCastEEEviT_T0_T2_T3_T4_T5_.numbered_sgpr, 12
	.set _ZN2at6native27unrolled_elementwise_kernelIZZZNS0_12_GLOBAL__N_120isneginf_kernel_implERNS_18TensorIteratorBaseEENKUlvE_clEvENKUlvE_clEvEUldE_St5arrayIPcLm2EELi4E23TrivialOffsetCalculatorILi1EjESC_NS0_6memory15LoadWithoutCastENSD_16StoreWithoutCastEEEviT_T0_T2_T3_T4_T5_.num_named_barrier, 0
	.set _ZN2at6native27unrolled_elementwise_kernelIZZZNS0_12_GLOBAL__N_120isneginf_kernel_implERNS_18TensorIteratorBaseEENKUlvE_clEvENKUlvE_clEvEUldE_St5arrayIPcLm2EELi4E23TrivialOffsetCalculatorILi1EjESC_NS0_6memory15LoadWithoutCastENSD_16StoreWithoutCastEEEviT_T0_T2_T3_T4_T5_.private_seg_size, 0
	.set _ZN2at6native27unrolled_elementwise_kernelIZZZNS0_12_GLOBAL__N_120isneginf_kernel_implERNS_18TensorIteratorBaseEENKUlvE_clEvENKUlvE_clEvEUldE_St5arrayIPcLm2EELi4E23TrivialOffsetCalculatorILi1EjESC_NS0_6memory15LoadWithoutCastENSD_16StoreWithoutCastEEEviT_T0_T2_T3_T4_T5_.uses_vcc, 1
	.set _ZN2at6native27unrolled_elementwise_kernelIZZZNS0_12_GLOBAL__N_120isneginf_kernel_implERNS_18TensorIteratorBaseEENKUlvE_clEvENKUlvE_clEvEUldE_St5arrayIPcLm2EELi4E23TrivialOffsetCalculatorILi1EjESC_NS0_6memory15LoadWithoutCastENSD_16StoreWithoutCastEEEviT_T0_T2_T3_T4_T5_.uses_flat_scratch, 0
	.set _ZN2at6native27unrolled_elementwise_kernelIZZZNS0_12_GLOBAL__N_120isneginf_kernel_implERNS_18TensorIteratorBaseEENKUlvE_clEvENKUlvE_clEvEUldE_St5arrayIPcLm2EELi4E23TrivialOffsetCalculatorILi1EjESC_NS0_6memory15LoadWithoutCastENSD_16StoreWithoutCastEEEviT_T0_T2_T3_T4_T5_.has_dyn_sized_stack, 0
	.set _ZN2at6native27unrolled_elementwise_kernelIZZZNS0_12_GLOBAL__N_120isneginf_kernel_implERNS_18TensorIteratorBaseEENKUlvE_clEvENKUlvE_clEvEUldE_St5arrayIPcLm2EELi4E23TrivialOffsetCalculatorILi1EjESC_NS0_6memory15LoadWithoutCastENSD_16StoreWithoutCastEEEviT_T0_T2_T3_T4_T5_.has_recursion, 0
	.set _ZN2at6native27unrolled_elementwise_kernelIZZZNS0_12_GLOBAL__N_120isneginf_kernel_implERNS_18TensorIteratorBaseEENKUlvE_clEvENKUlvE_clEvEUldE_St5arrayIPcLm2EELi4E23TrivialOffsetCalculatorILi1EjESC_NS0_6memory15LoadWithoutCastENSD_16StoreWithoutCastEEEviT_T0_T2_T3_T4_T5_.has_indirect_call, 0
	.section	.AMDGPU.csdata,"",@progbits
; Kernel info:
; codeLenInByte = 844
; TotalNumSgprs: 14
; NumVgprs: 6
; ScratchSize: 0
; MemoryBound: 0
; FloatMode: 240
; IeeeMode: 1
; LDSByteSize: 0 bytes/workgroup (compile time only)
; SGPRBlocks: 0
; VGPRBlocks: 0
; NumSGPRsForWavesPerEU: 14
; NumVGPRsForWavesPerEU: 6
; NamedBarCnt: 0
; Occupancy: 16
; WaveLimiterHint : 0
; COMPUTE_PGM_RSRC2:SCRATCH_EN: 0
; COMPUTE_PGM_RSRC2:USER_SGPR: 2
; COMPUTE_PGM_RSRC2:TRAP_HANDLER: 0
; COMPUTE_PGM_RSRC2:TGID_X_EN: 1
; COMPUTE_PGM_RSRC2:TGID_Y_EN: 0
; COMPUTE_PGM_RSRC2:TGID_Z_EN: 0
; COMPUTE_PGM_RSRC2:TIDIG_COMP_CNT: 0
	.section	.text._ZN2at6native32elementwise_kernel_manual_unrollILi128ELi8EZNS0_22gpu_kernel_impl_nocastIZZZNS0_12_GLOBAL__N_120isneginf_kernel_implERNS_18TensorIteratorBaseEENKUlvE_clEvENKUlvE_clEvEUldE_EEvS5_RKT_EUlibE_EEviT1_,"axG",@progbits,_ZN2at6native32elementwise_kernel_manual_unrollILi128ELi8EZNS0_22gpu_kernel_impl_nocastIZZZNS0_12_GLOBAL__N_120isneginf_kernel_implERNS_18TensorIteratorBaseEENKUlvE_clEvENKUlvE_clEvEUldE_EEvS5_RKT_EUlibE_EEviT1_,comdat
	.globl	_ZN2at6native32elementwise_kernel_manual_unrollILi128ELi8EZNS0_22gpu_kernel_impl_nocastIZZZNS0_12_GLOBAL__N_120isneginf_kernel_implERNS_18TensorIteratorBaseEENKUlvE_clEvENKUlvE_clEvEUldE_EEvS5_RKT_EUlibE_EEviT1_ ; -- Begin function _ZN2at6native32elementwise_kernel_manual_unrollILi128ELi8EZNS0_22gpu_kernel_impl_nocastIZZZNS0_12_GLOBAL__N_120isneginf_kernel_implERNS_18TensorIteratorBaseEENKUlvE_clEvENKUlvE_clEvEUldE_EEvS5_RKT_EUlibE_EEviT1_
	.p2align	8
	.type	_ZN2at6native32elementwise_kernel_manual_unrollILi128ELi8EZNS0_22gpu_kernel_impl_nocastIZZZNS0_12_GLOBAL__N_120isneginf_kernel_implERNS_18TensorIteratorBaseEENKUlvE_clEvENKUlvE_clEvEUldE_EEvS5_RKT_EUlibE_EEviT1_,@function
_ZN2at6native32elementwise_kernel_manual_unrollILi128ELi8EZNS0_22gpu_kernel_impl_nocastIZZZNS0_12_GLOBAL__N_120isneginf_kernel_implERNS_18TensorIteratorBaseEENKUlvE_clEvENKUlvE_clEvEUldE_EEvS5_RKT_EUlibE_EEviT1_: ; @_ZN2at6native32elementwise_kernel_manual_unrollILi128ELi8EZNS0_22gpu_kernel_impl_nocastIZZZNS0_12_GLOBAL__N_120isneginf_kernel_implERNS_18TensorIteratorBaseEENKUlvE_clEvENKUlvE_clEvEUldE_EEvS5_RKT_EUlibE_EEviT1_
; %bb.0:
	s_clause 0x1
	s_load_b32 s28, s[0:1], 0x8
	s_load_b32 s34, s[0:1], 0x0
	s_bfe_u32 s2, ttmp6, 0x4000c
	s_and_b32 s3, ttmp6, 15
	s_add_co_i32 s2, s2, 1
	s_getreg_b32 s4, hwreg(HW_REG_IB_STS2, 6, 4)
	s_mul_i32 s2, ttmp9, s2
	s_add_nc_u64 s[12:13], s[0:1], 8
	s_add_co_i32 s3, s3, s2
	s_cmp_eq_u32 s4, 0
	s_mov_b32 s17, 0
	s_cselect_b32 s2, ttmp9, s3
	s_wait_xcnt 0x0
	s_mov_b32 s0, exec_lo
	v_lshl_or_b32 v0, s2, 10, v0
	s_delay_alu instid0(VALU_DEP_1) | instskip(SKIP_2) | instid1(SALU_CYCLE_1)
	v_or_b32_e32 v16, 0x380, v0
	s_wait_kmcnt 0x0
	s_add_co_i32 s29, s28, -1
	s_cmp_gt_u32 s29, 1
	s_cselect_b32 s30, -1, 0
	v_cmpx_le_i32_e64 s34, v16
	s_xor_b32 s31, exec_lo, s0
	s_cbranch_execz .LBB69_7
; %bb.1:
	s_clause 0x3
	s_load_b128 s[4:7], s[12:13], 0x4
	s_load_b64 s[14:15], s[12:13], 0x14
	s_load_b128 s[8:11], s[12:13], 0xc4
	s_load_b128 s[0:3], s[12:13], 0x148
	s_cmp_lg_u32 s28, 0
	s_add_nc_u64 s[20:21], s[12:13], 0xc4
	s_cselect_b32 s36, -1, 0
	s_min_u32 s35, s29, 15
	s_cmp_gt_u32 s28, 1
	s_mov_b32 s19, s17
	s_cselect_b32 s33, -1, 0
	s_wait_kmcnt 0x0
	s_mov_b32 s16, s5
	s_mov_b32 s18, s14
	s_mov_b32 s5, exec_lo
	v_cmpx_gt_i32_e64 s34, v0
	s_cbranch_execz .LBB69_14
; %bb.2:
	s_and_not1_b32 vcc_lo, exec_lo, s30
	s_cbranch_vccnz .LBB69_21
; %bb.3:
	s_and_not1_b32 vcc_lo, exec_lo, s36
	s_cbranch_vccnz .LBB69_129
; %bb.4:
	s_add_co_i32 s14, s35, 1
	s_cmp_eq_u32 s29, 2
	s_cbranch_scc1 .LBB69_131
; %bb.5:
	v_dual_mov_b32 v2, 0 :: v_dual_mov_b32 v3, 0
	v_mov_b32_e32 v1, v0
	s_and_b32 s22, s14, 28
	s_mov_b32 s23, 0
	s_mov_b64 s[24:25], s[12:13]
	s_mov_b64 s[26:27], s[20:21]
.LBB69_6:                               ; =>This Inner Loop Header: Depth=1
	s_clause 0x1
	s_load_b256 s[40:47], s[24:25], 0x4
	s_load_b128 s[56:59], s[24:25], 0x24
	s_load_b256 s[48:55], s[26:27], 0x0
	s_add_co_i32 s23, s23, 4
	s_wait_xcnt 0x0
	s_add_nc_u64 s[24:25], s[24:25], 48
	s_cmp_lg_u32 s22, s23
	s_add_nc_u64 s[26:27], s[26:27], 32
	s_wait_kmcnt 0x0
	v_mul_hi_u32 v4, s41, v1
	s_delay_alu instid0(VALU_DEP_1) | instskip(NEXT) | instid1(VALU_DEP_1)
	v_add_nc_u32_e32 v4, v1, v4
	v_lshrrev_b32_e32 v4, s42, v4
	s_delay_alu instid0(VALU_DEP_1) | instskip(NEXT) | instid1(VALU_DEP_1)
	v_mul_hi_u32 v5, s44, v4
	v_add_nc_u32_e32 v5, v4, v5
	s_delay_alu instid0(VALU_DEP_1) | instskip(NEXT) | instid1(VALU_DEP_1)
	v_lshrrev_b32_e32 v5, s45, v5
	v_mul_hi_u32 v6, s47, v5
	s_delay_alu instid0(VALU_DEP_1) | instskip(SKIP_1) | instid1(VALU_DEP_1)
	v_add_nc_u32_e32 v6, v5, v6
	v_mul_lo_u32 v7, v4, s40
	v_sub_nc_u32_e32 v1, v1, v7
	v_mul_lo_u32 v7, v5, s43
	s_delay_alu instid0(VALU_DEP_4) | instskip(NEXT) | instid1(VALU_DEP_3)
	v_lshrrev_b32_e32 v6, s56, v6
	v_mad_u32 v3, v1, s49, v3
	v_mad_u32 v1, v1, s48, v2
	s_delay_alu instid0(VALU_DEP_4) | instskip(NEXT) | instid1(VALU_DEP_4)
	v_sub_nc_u32_e32 v2, v4, v7
	v_mul_hi_u32 v8, s58, v6
	v_mul_lo_u32 v4, v6, s46
	s_delay_alu instid0(VALU_DEP_3) | instskip(SKIP_1) | instid1(VALU_DEP_4)
	v_mad_u32 v3, v2, s51, v3
	v_mad_u32 v2, v2, s50, v1
	v_add_nc_u32_e32 v7, v6, v8
	s_delay_alu instid0(VALU_DEP_1) | instskip(NEXT) | instid1(VALU_DEP_1)
	v_dual_sub_nc_u32 v4, v5, v4 :: v_dual_lshrrev_b32 v1, s59, v7
	v_mad_u32 v3, v4, s53, v3
	s_delay_alu instid0(VALU_DEP_4) | instskip(NEXT) | instid1(VALU_DEP_3)
	v_mad_u32 v2, v4, s52, v2
	v_mul_lo_u32 v5, v1, s57
	s_delay_alu instid0(VALU_DEP_1) | instskip(NEXT) | instid1(VALU_DEP_1)
	v_sub_nc_u32_e32 v4, v6, v5
	v_mad_u32 v3, v4, s55, v3
	s_delay_alu instid0(VALU_DEP_4)
	v_mad_u32 v2, v4, s54, v2
	s_cbranch_scc1 .LBB69_6
	s_branch .LBB69_132
.LBB69_7:
	s_and_not1_saveexec_b32 s0, s31
	s_cbranch_execz .LBB69_221
.LBB69_8:
	v_cndmask_b32_e64 v14, 0, 1, s30
	s_and_not1_b32 vcc_lo, exec_lo, s30
	s_cbranch_vccnz .LBB69_20
; %bb.9:
	s_cmp_lg_u32 s28, 0
	s_mov_b32 s6, 0
	s_cbranch_scc0 .LBB69_23
; %bb.10:
	s_min_u32 s1, s29, 15
	s_delay_alu instid0(SALU_CYCLE_1)
	s_add_co_i32 s1, s1, 1
	s_cmp_eq_u32 s29, 2
	s_cbranch_scc1 .LBB69_24
; %bb.11:
	v_dual_mov_b32 v2, 0 :: v_dual_mov_b32 v3, 0
	v_mov_b32_e32 v1, v0
	s_and_b32 s0, s1, 28
	s_add_nc_u64 s[2:3], s[12:13], 0xc4
	s_mov_b32 s7, 0
	s_mov_b64 s[4:5], s[12:13]
.LBB69_12:                              ; =>This Inner Loop Header: Depth=1
	s_clause 0x1
	s_load_b256 s[16:23], s[4:5], 0x4
	s_load_b128 s[8:11], s[4:5], 0x24
	s_load_b256 s[36:43], s[2:3], 0x0
	s_add_co_i32 s7, s7, 4
	s_wait_xcnt 0x0
	s_add_nc_u64 s[4:5], s[4:5], 48
	s_cmp_lg_u32 s0, s7
	s_add_nc_u64 s[2:3], s[2:3], 32
	s_wait_kmcnt 0x0
	v_mul_hi_u32 v4, s17, v1
	s_delay_alu instid0(VALU_DEP_1) | instskip(NEXT) | instid1(VALU_DEP_1)
	v_add_nc_u32_e32 v4, v1, v4
	v_lshrrev_b32_e32 v4, s18, v4
	s_delay_alu instid0(VALU_DEP_1) | instskip(NEXT) | instid1(VALU_DEP_1)
	v_mul_hi_u32 v5, s20, v4
	v_add_nc_u32_e32 v5, v4, v5
	s_delay_alu instid0(VALU_DEP_1) | instskip(NEXT) | instid1(VALU_DEP_1)
	v_lshrrev_b32_e32 v5, s21, v5
	v_mul_hi_u32 v6, s23, v5
	s_delay_alu instid0(VALU_DEP_1) | instskip(SKIP_1) | instid1(VALU_DEP_1)
	v_add_nc_u32_e32 v6, v5, v6
	v_mul_lo_u32 v7, v4, s16
	v_sub_nc_u32_e32 v1, v1, v7
	v_mul_lo_u32 v7, v5, s19
	s_delay_alu instid0(VALU_DEP_4) | instskip(NEXT) | instid1(VALU_DEP_3)
	v_lshrrev_b32_e32 v6, s8, v6
	v_mad_u32 v3, v1, s37, v3
	v_mad_u32 v1, v1, s36, v2
	s_delay_alu instid0(VALU_DEP_4) | instskip(NEXT) | instid1(VALU_DEP_4)
	v_sub_nc_u32_e32 v2, v4, v7
	v_mul_hi_u32 v8, s10, v6
	v_mul_lo_u32 v4, v6, s22
	s_delay_alu instid0(VALU_DEP_3) | instskip(SKIP_1) | instid1(VALU_DEP_4)
	v_mad_u32 v3, v2, s39, v3
	v_mad_u32 v2, v2, s38, v1
	v_add_nc_u32_e32 v7, v6, v8
	s_delay_alu instid0(VALU_DEP_1) | instskip(NEXT) | instid1(VALU_DEP_1)
	v_dual_sub_nc_u32 v4, v5, v4 :: v_dual_lshrrev_b32 v1, s11, v7
	v_mad_u32 v3, v4, s41, v3
	s_delay_alu instid0(VALU_DEP_4) | instskip(NEXT) | instid1(VALU_DEP_3)
	v_mad_u32 v2, v4, s40, v2
	v_mul_lo_u32 v5, v1, s9
	s_delay_alu instid0(VALU_DEP_1) | instskip(NEXT) | instid1(VALU_DEP_1)
	v_sub_nc_u32_e32 v4, v6, v5
	v_mad_u32 v3, v4, s43, v3
	s_delay_alu instid0(VALU_DEP_4)
	v_mad_u32 v2, v4, s42, v2
	s_cbranch_scc1 .LBB69_12
; %bb.13:
	s_and_b32 s4, s1, 3
	s_mov_b32 s1, 0
	s_cmp_eq_u32 s4, 0
	s_cbranch_scc0 .LBB69_25
	s_branch .LBB69_27
.LBB69_14:
	s_or_b32 exec_lo, exec_lo, s5
	s_delay_alu instid0(SALU_CYCLE_1)
	s_mov_b32 s5, exec_lo
	v_cmpx_gt_i32_e64 s34, v0
	s_cbranch_execz .LBB69_139
.LBB69_15:
	s_and_not1_b32 vcc_lo, exec_lo, s30
	s_cbranch_vccnz .LBB69_22
; %bb.16:
	s_and_not1_b32 vcc_lo, exec_lo, s36
	s_cbranch_vccnz .LBB69_130
; %bb.17:
	s_add_co_i32 s14, s35, 1
	s_cmp_eq_u32 s29, 2
	s_cbranch_scc1 .LBB69_147
; %bb.18:
	v_dual_mov_b32 v2, 0 :: v_dual_mov_b32 v3, 0
	v_mov_b32_e32 v1, v0
	s_and_b32 s22, s14, 28
	s_mov_b32 s23, 0
	s_mov_b64 s[24:25], s[12:13]
	s_mov_b64 s[26:27], s[20:21]
.LBB69_19:                              ; =>This Inner Loop Header: Depth=1
	s_clause 0x1
	s_load_b256 s[40:47], s[24:25], 0x4
	s_load_b128 s[56:59], s[24:25], 0x24
	s_load_b256 s[48:55], s[26:27], 0x0
	s_add_co_i32 s23, s23, 4
	s_wait_xcnt 0x0
	s_add_nc_u64 s[24:25], s[24:25], 48
	s_cmp_eq_u32 s22, s23
	s_add_nc_u64 s[26:27], s[26:27], 32
	s_wait_kmcnt 0x0
	v_mul_hi_u32 v4, s41, v1
	s_delay_alu instid0(VALU_DEP_1) | instskip(NEXT) | instid1(VALU_DEP_1)
	v_add_nc_u32_e32 v4, v1, v4
	v_lshrrev_b32_e32 v4, s42, v4
	s_delay_alu instid0(VALU_DEP_1) | instskip(NEXT) | instid1(VALU_DEP_1)
	v_mul_hi_u32 v5, s44, v4
	v_add_nc_u32_e32 v5, v4, v5
	s_delay_alu instid0(VALU_DEP_1) | instskip(NEXT) | instid1(VALU_DEP_1)
	v_lshrrev_b32_e32 v5, s45, v5
	v_mul_hi_u32 v6, s47, v5
	s_delay_alu instid0(VALU_DEP_1) | instskip(SKIP_1) | instid1(VALU_DEP_1)
	v_add_nc_u32_e32 v6, v5, v6
	v_mul_lo_u32 v7, v4, s40
	v_sub_nc_u32_e32 v1, v1, v7
	v_mul_lo_u32 v7, v5, s43
	s_delay_alu instid0(VALU_DEP_4) | instskip(NEXT) | instid1(VALU_DEP_3)
	v_lshrrev_b32_e32 v6, s56, v6
	v_mad_u32 v3, v1, s49, v3
	v_mad_u32 v1, v1, s48, v2
	s_delay_alu instid0(VALU_DEP_4) | instskip(NEXT) | instid1(VALU_DEP_4)
	v_sub_nc_u32_e32 v2, v4, v7
	v_mul_hi_u32 v8, s58, v6
	v_mul_lo_u32 v4, v6, s46
	s_delay_alu instid0(VALU_DEP_3) | instskip(SKIP_1) | instid1(VALU_DEP_4)
	v_mad_u32 v3, v2, s51, v3
	v_mad_u32 v2, v2, s50, v1
	v_add_nc_u32_e32 v7, v6, v8
	s_delay_alu instid0(VALU_DEP_1) | instskip(NEXT) | instid1(VALU_DEP_1)
	v_dual_sub_nc_u32 v4, v5, v4 :: v_dual_lshrrev_b32 v1, s59, v7
	v_mad_u32 v3, v4, s53, v3
	s_delay_alu instid0(VALU_DEP_4) | instskip(NEXT) | instid1(VALU_DEP_3)
	v_mad_u32 v2, v4, s52, v2
	v_mul_lo_u32 v5, v1, s57
	s_delay_alu instid0(VALU_DEP_1) | instskip(NEXT) | instid1(VALU_DEP_1)
	v_sub_nc_u32_e32 v4, v6, v5
	v_mad_u32 v3, v4, s55, v3
	s_delay_alu instid0(VALU_DEP_4)
	v_mad_u32 v2, v4, s54, v2
	s_cbranch_scc0 .LBB69_19
	s_branch .LBB69_148
.LBB69_20:
	s_mov_b32 s6, -1
                                        ; implicit-def: $vgpr3
	s_branch .LBB69_27
.LBB69_21:
                                        ; implicit-def: $vgpr3
	s_branch .LBB69_136
.LBB69_22:
                                        ; implicit-def: $vgpr3
	s_branch .LBB69_152
.LBB69_23:
	v_dual_mov_b32 v3, 0 :: v_dual_mov_b32 v2, 0
	s_branch .LBB69_27
.LBB69_24:
	v_mov_b64_e32 v[2:3], 0
	v_mov_b32_e32 v1, v0
	s_mov_b32 s0, 0
	s_and_b32 s4, s1, 3
	s_mov_b32 s1, 0
	s_cmp_eq_u32 s4, 0
	s_cbranch_scc1 .LBB69_27
.LBB69_25:
	s_lshl_b32 s2, s0, 3
	s_mov_b32 s3, s1
	s_mul_u64 s[8:9], s[0:1], 12
	s_add_nc_u64 s[2:3], s[12:13], s[2:3]
	s_delay_alu instid0(SALU_CYCLE_1)
	s_add_nc_u64 s[0:1], s[2:3], 0xc4
	s_add_nc_u64 s[2:3], s[12:13], s[8:9]
.LBB69_26:                              ; =>This Inner Loop Header: Depth=1
	s_load_b96 s[8:10], s[2:3], 0x4
	s_add_co_i32 s4, s4, -1
	s_wait_xcnt 0x0
	s_add_nc_u64 s[2:3], s[2:3], 12
	s_cmp_lg_u32 s4, 0
	s_wait_kmcnt 0x0
	v_mul_hi_u32 v4, s9, v1
	s_delay_alu instid0(VALU_DEP_1) | instskip(NEXT) | instid1(VALU_DEP_1)
	v_add_nc_u32_e32 v4, v1, v4
	v_lshrrev_b32_e32 v4, s10, v4
	s_load_b64 s[10:11], s[0:1], 0x0
	s_wait_xcnt 0x0
	s_add_nc_u64 s[0:1], s[0:1], 8
	s_delay_alu instid0(VALU_DEP_1) | instskip(NEXT) | instid1(VALU_DEP_1)
	v_mul_lo_u32 v5, v4, s8
	v_sub_nc_u32_e32 v1, v1, v5
	s_wait_kmcnt 0x0
	s_delay_alu instid0(VALU_DEP_1)
	v_mad_u32 v3, v1, s11, v3
	v_mad_u32 v2, v1, s10, v2
	v_mov_b32_e32 v1, v4
	s_cbranch_scc1 .LBB69_26
.LBB69_27:
	s_and_not1_b32 vcc_lo, exec_lo, s6
	s_cbranch_vccnz .LBB69_30
; %bb.28:
	s_clause 0x1
	s_load_b96 s[0:2], s[12:13], 0x4
	s_load_b64 s[4:5], s[12:13], 0xc4
	s_cmp_lt_u32 s28, 2
	s_wait_kmcnt 0x0
	v_mul_hi_u32 v1, s1, v0
	s_delay_alu instid0(VALU_DEP_1) | instskip(NEXT) | instid1(VALU_DEP_1)
	v_add_nc_u32_e32 v1, v0, v1
	v_lshrrev_b32_e32 v1, s2, v1
	s_delay_alu instid0(VALU_DEP_1) | instskip(NEXT) | instid1(VALU_DEP_1)
	v_mul_lo_u32 v2, v1, s0
	v_sub_nc_u32_e32 v2, v0, v2
	s_delay_alu instid0(VALU_DEP_1)
	v_mul_lo_u32 v3, v2, s5
	v_mul_lo_u32 v2, v2, s4
	s_cbranch_scc1 .LBB69_30
; %bb.29:
	s_clause 0x1
	s_load_b96 s[0:2], s[12:13], 0x10
	s_load_b64 s[4:5], s[12:13], 0xcc
	s_wait_kmcnt 0x0
	v_mul_hi_u32 v4, s1, v1
	s_delay_alu instid0(VALU_DEP_1) | instskip(NEXT) | instid1(VALU_DEP_1)
	v_add_nc_u32_e32 v4, v1, v4
	v_lshrrev_b32_e32 v4, s2, v4
	s_delay_alu instid0(VALU_DEP_1) | instskip(NEXT) | instid1(VALU_DEP_1)
	v_mul_lo_u32 v4, v4, s0
	v_sub_nc_u32_e32 v1, v1, v4
	s_delay_alu instid0(VALU_DEP_1)
	v_mad_u32 v2, v1, s4, v2
	v_mad_u32 v3, v1, s5, v3
.LBB69_30:
	v_cmp_ne_u32_e32 vcc_lo, 1, v14
	v_add_nc_u32_e32 v1, 0x80, v0
	s_cbranch_vccnz .LBB69_36
; %bb.31:
	s_cmp_lg_u32 s28, 0
	s_mov_b32 s6, 0
	s_cbranch_scc0 .LBB69_37
; %bb.32:
	s_min_u32 s1, s29, 15
	s_delay_alu instid0(SALU_CYCLE_1)
	s_add_co_i32 s1, s1, 1
	s_cmp_eq_u32 s29, 2
	s_cbranch_scc1 .LBB69_38
; %bb.33:
	v_dual_mov_b32 v4, 0 :: v_dual_mov_b32 v5, 0
	v_mov_b32_e32 v6, v1
	s_and_b32 s0, s1, 28
	s_add_nc_u64 s[2:3], s[12:13], 0xc4
	s_mov_b32 s7, 0
	s_mov_b64 s[4:5], s[12:13]
.LBB69_34:                              ; =>This Inner Loop Header: Depth=1
	s_clause 0x1
	s_load_b256 s[16:23], s[4:5], 0x4
	s_load_b128 s[8:11], s[4:5], 0x24
	s_load_b256 s[36:43], s[2:3], 0x0
	s_add_co_i32 s7, s7, 4
	s_wait_xcnt 0x0
	s_add_nc_u64 s[4:5], s[4:5], 48
	s_cmp_lg_u32 s0, s7
	s_add_nc_u64 s[2:3], s[2:3], 32
	s_wait_kmcnt 0x0
	v_mul_hi_u32 v7, s17, v6
	s_delay_alu instid0(VALU_DEP_1) | instskip(NEXT) | instid1(VALU_DEP_1)
	v_add_nc_u32_e32 v7, v6, v7
	v_lshrrev_b32_e32 v7, s18, v7
	s_delay_alu instid0(VALU_DEP_1) | instskip(NEXT) | instid1(VALU_DEP_1)
	v_mul_hi_u32 v8, s20, v7
	v_add_nc_u32_e32 v8, v7, v8
	s_delay_alu instid0(VALU_DEP_1) | instskip(NEXT) | instid1(VALU_DEP_1)
	v_lshrrev_b32_e32 v8, s21, v8
	v_mul_hi_u32 v9, s23, v8
	s_delay_alu instid0(VALU_DEP_1) | instskip(SKIP_1) | instid1(VALU_DEP_1)
	v_add_nc_u32_e32 v9, v8, v9
	v_mul_lo_u32 v10, v7, s16
	v_sub_nc_u32_e32 v6, v6, v10
	v_mul_lo_u32 v10, v8, s19
	s_delay_alu instid0(VALU_DEP_4) | instskip(NEXT) | instid1(VALU_DEP_3)
	v_lshrrev_b32_e32 v9, s8, v9
	v_mad_u32 v5, v6, s37, v5
	v_mad_u32 v4, v6, s36, v4
	s_delay_alu instid0(VALU_DEP_4) | instskip(NEXT) | instid1(VALU_DEP_4)
	v_sub_nc_u32_e32 v6, v7, v10
	v_mul_hi_u32 v11, s10, v9
	v_mul_lo_u32 v7, v9, s22
	s_delay_alu instid0(VALU_DEP_3) | instskip(SKIP_1) | instid1(VALU_DEP_4)
	v_mad_u32 v5, v6, s39, v5
	v_mad_u32 v4, v6, s38, v4
	v_add_nc_u32_e32 v10, v9, v11
	s_delay_alu instid0(VALU_DEP_1) | instskip(NEXT) | instid1(VALU_DEP_1)
	v_dual_sub_nc_u32 v7, v8, v7 :: v_dual_lshrrev_b32 v6, s11, v10
	v_mad_u32 v5, v7, s41, v5
	s_delay_alu instid0(VALU_DEP_4) | instskip(NEXT) | instid1(VALU_DEP_3)
	v_mad_u32 v4, v7, s40, v4
	v_mul_lo_u32 v8, v6, s9
	s_delay_alu instid0(VALU_DEP_1) | instskip(NEXT) | instid1(VALU_DEP_1)
	v_sub_nc_u32_e32 v7, v9, v8
	v_mad_u32 v5, v7, s43, v5
	s_delay_alu instid0(VALU_DEP_4)
	v_mad_u32 v4, v7, s42, v4
	s_cbranch_scc1 .LBB69_34
; %bb.35:
	s_and_b32 s4, s1, 3
	s_mov_b32 s1, 0
	s_cmp_eq_u32 s4, 0
	s_cbranch_scc0 .LBB69_39
	s_branch .LBB69_41
.LBB69_36:
	s_mov_b32 s6, -1
                                        ; implicit-def: $vgpr5
	s_branch .LBB69_41
.LBB69_37:
	v_dual_mov_b32 v5, 0 :: v_dual_mov_b32 v4, 0
	s_branch .LBB69_41
.LBB69_38:
	v_mov_b64_e32 v[4:5], 0
	v_mov_b32_e32 v6, v1
	s_mov_b32 s0, 0
	s_and_b32 s4, s1, 3
	s_mov_b32 s1, 0
	s_cmp_eq_u32 s4, 0
	s_cbranch_scc1 .LBB69_41
.LBB69_39:
	s_lshl_b32 s2, s0, 3
	s_mov_b32 s3, s1
	s_mul_u64 s[8:9], s[0:1], 12
	s_add_nc_u64 s[2:3], s[12:13], s[2:3]
	s_delay_alu instid0(SALU_CYCLE_1)
	s_add_nc_u64 s[0:1], s[2:3], 0xc4
	s_add_nc_u64 s[2:3], s[12:13], s[8:9]
.LBB69_40:                              ; =>This Inner Loop Header: Depth=1
	s_load_b96 s[8:10], s[2:3], 0x4
	s_add_co_i32 s4, s4, -1
	s_wait_xcnt 0x0
	s_add_nc_u64 s[2:3], s[2:3], 12
	s_cmp_lg_u32 s4, 0
	s_wait_kmcnt 0x0
	v_mul_hi_u32 v7, s9, v6
	s_delay_alu instid0(VALU_DEP_1) | instskip(NEXT) | instid1(VALU_DEP_1)
	v_add_nc_u32_e32 v7, v6, v7
	v_lshrrev_b32_e32 v7, s10, v7
	s_load_b64 s[10:11], s[0:1], 0x0
	s_wait_xcnt 0x0
	s_add_nc_u64 s[0:1], s[0:1], 8
	s_delay_alu instid0(VALU_DEP_1) | instskip(NEXT) | instid1(VALU_DEP_1)
	v_mul_lo_u32 v8, v7, s8
	v_sub_nc_u32_e32 v6, v6, v8
	s_wait_kmcnt 0x0
	s_delay_alu instid0(VALU_DEP_1)
	v_mad_u32 v5, v6, s11, v5
	v_mad_u32 v4, v6, s10, v4
	v_mov_b32_e32 v6, v7
	s_cbranch_scc1 .LBB69_40
.LBB69_41:
	s_and_not1_b32 vcc_lo, exec_lo, s6
	s_cbranch_vccnz .LBB69_44
; %bb.42:
	s_clause 0x1
	s_load_b96 s[0:2], s[12:13], 0x4
	s_load_b64 s[4:5], s[12:13], 0xc4
	s_cmp_lt_u32 s28, 2
	s_wait_kmcnt 0x0
	v_mul_hi_u32 v4, s1, v1
	s_delay_alu instid0(VALU_DEP_1) | instskip(NEXT) | instid1(VALU_DEP_1)
	v_add_nc_u32_e32 v4, v1, v4
	v_lshrrev_b32_e32 v6, s2, v4
	s_delay_alu instid0(VALU_DEP_1) | instskip(NEXT) | instid1(VALU_DEP_1)
	v_mul_lo_u32 v4, v6, s0
	v_sub_nc_u32_e32 v1, v1, v4
	s_delay_alu instid0(VALU_DEP_1)
	v_mul_lo_u32 v5, v1, s5
	v_mul_lo_u32 v4, v1, s4
	s_cbranch_scc1 .LBB69_44
; %bb.43:
	s_clause 0x1
	s_load_b96 s[0:2], s[12:13], 0x10
	s_load_b64 s[4:5], s[12:13], 0xcc
	s_wait_kmcnt 0x0
	v_mul_hi_u32 v1, s1, v6
	s_delay_alu instid0(VALU_DEP_1) | instskip(NEXT) | instid1(VALU_DEP_1)
	v_add_nc_u32_e32 v1, v6, v1
	v_lshrrev_b32_e32 v1, s2, v1
	s_delay_alu instid0(VALU_DEP_1) | instskip(NEXT) | instid1(VALU_DEP_1)
	v_mul_lo_u32 v1, v1, s0
	v_sub_nc_u32_e32 v1, v6, v1
	s_delay_alu instid0(VALU_DEP_1)
	v_mad_u32 v4, v1, s4, v4
	v_mad_u32 v5, v1, s5, v5
.LBB69_44:
	v_cmp_ne_u32_e32 vcc_lo, 1, v14
	v_add_nc_u32_e32 v1, 0x100, v0
	s_cbranch_vccnz .LBB69_50
; %bb.45:
	s_cmp_lg_u32 s28, 0
	s_mov_b32 s6, 0
	s_cbranch_scc0 .LBB69_51
; %bb.46:
	s_min_u32 s1, s29, 15
	s_delay_alu instid0(SALU_CYCLE_1)
	s_add_co_i32 s1, s1, 1
	s_cmp_eq_u32 s29, 2
	s_cbranch_scc1 .LBB69_52
; %bb.47:
	v_dual_mov_b32 v6, 0 :: v_dual_mov_b32 v7, 0
	v_mov_b32_e32 v8, v1
	s_and_b32 s0, s1, 28
	s_add_nc_u64 s[2:3], s[12:13], 0xc4
	s_mov_b32 s7, 0
	s_mov_b64 s[4:5], s[12:13]
.LBB69_48:                              ; =>This Inner Loop Header: Depth=1
	s_clause 0x1
	s_load_b256 s[16:23], s[4:5], 0x4
	s_load_b128 s[8:11], s[4:5], 0x24
	s_load_b256 s[36:43], s[2:3], 0x0
	s_add_co_i32 s7, s7, 4
	s_wait_xcnt 0x0
	s_add_nc_u64 s[4:5], s[4:5], 48
	s_cmp_lg_u32 s0, s7
	s_add_nc_u64 s[2:3], s[2:3], 32
	s_wait_kmcnt 0x0
	v_mul_hi_u32 v9, s17, v8
	s_delay_alu instid0(VALU_DEP_1) | instskip(NEXT) | instid1(VALU_DEP_1)
	v_add_nc_u32_e32 v9, v8, v9
	v_lshrrev_b32_e32 v9, s18, v9
	s_delay_alu instid0(VALU_DEP_1) | instskip(NEXT) | instid1(VALU_DEP_1)
	v_mul_hi_u32 v10, s20, v9
	v_add_nc_u32_e32 v10, v9, v10
	s_delay_alu instid0(VALU_DEP_1) | instskip(NEXT) | instid1(VALU_DEP_1)
	v_lshrrev_b32_e32 v10, s21, v10
	v_mul_hi_u32 v11, s23, v10
	s_delay_alu instid0(VALU_DEP_1) | instskip(SKIP_1) | instid1(VALU_DEP_1)
	v_add_nc_u32_e32 v11, v10, v11
	v_mul_lo_u32 v12, v9, s16
	v_sub_nc_u32_e32 v8, v8, v12
	v_mul_lo_u32 v12, v10, s19
	s_delay_alu instid0(VALU_DEP_4) | instskip(NEXT) | instid1(VALU_DEP_3)
	v_lshrrev_b32_e32 v11, s8, v11
	v_mad_u32 v7, v8, s37, v7
	v_mad_u32 v6, v8, s36, v6
	s_delay_alu instid0(VALU_DEP_4) | instskip(NEXT) | instid1(VALU_DEP_4)
	v_sub_nc_u32_e32 v8, v9, v12
	v_mul_hi_u32 v13, s10, v11
	v_mul_lo_u32 v9, v11, s22
	s_delay_alu instid0(VALU_DEP_3) | instskip(SKIP_1) | instid1(VALU_DEP_4)
	v_mad_u32 v7, v8, s39, v7
	v_mad_u32 v6, v8, s38, v6
	v_add_nc_u32_e32 v12, v11, v13
	s_delay_alu instid0(VALU_DEP_1) | instskip(NEXT) | instid1(VALU_DEP_1)
	v_dual_sub_nc_u32 v9, v10, v9 :: v_dual_lshrrev_b32 v8, s11, v12
	v_mad_u32 v7, v9, s41, v7
	s_delay_alu instid0(VALU_DEP_4) | instskip(NEXT) | instid1(VALU_DEP_3)
	v_mad_u32 v6, v9, s40, v6
	v_mul_lo_u32 v10, v8, s9
	s_delay_alu instid0(VALU_DEP_1) | instskip(NEXT) | instid1(VALU_DEP_1)
	v_sub_nc_u32_e32 v9, v11, v10
	v_mad_u32 v7, v9, s43, v7
	s_delay_alu instid0(VALU_DEP_4)
	v_mad_u32 v6, v9, s42, v6
	s_cbranch_scc1 .LBB69_48
; %bb.49:
	s_and_b32 s4, s1, 3
	s_mov_b32 s1, 0
	s_cmp_eq_u32 s4, 0
	s_cbranch_scc0 .LBB69_53
	s_branch .LBB69_55
.LBB69_50:
	s_mov_b32 s6, -1
                                        ; implicit-def: $vgpr7
	s_branch .LBB69_55
.LBB69_51:
	v_dual_mov_b32 v7, 0 :: v_dual_mov_b32 v6, 0
	s_branch .LBB69_55
.LBB69_52:
	v_mov_b64_e32 v[6:7], 0
	v_mov_b32_e32 v8, v1
	s_mov_b32 s0, 0
	s_and_b32 s4, s1, 3
	s_mov_b32 s1, 0
	s_cmp_eq_u32 s4, 0
	s_cbranch_scc1 .LBB69_55
.LBB69_53:
	s_lshl_b32 s2, s0, 3
	s_mov_b32 s3, s1
	s_mul_u64 s[8:9], s[0:1], 12
	s_add_nc_u64 s[2:3], s[12:13], s[2:3]
	s_delay_alu instid0(SALU_CYCLE_1)
	s_add_nc_u64 s[0:1], s[2:3], 0xc4
	s_add_nc_u64 s[2:3], s[12:13], s[8:9]
.LBB69_54:                              ; =>This Inner Loop Header: Depth=1
	s_load_b96 s[8:10], s[2:3], 0x4
	s_add_co_i32 s4, s4, -1
	s_wait_xcnt 0x0
	s_add_nc_u64 s[2:3], s[2:3], 12
	s_cmp_lg_u32 s4, 0
	s_wait_kmcnt 0x0
	v_mul_hi_u32 v9, s9, v8
	s_delay_alu instid0(VALU_DEP_1) | instskip(NEXT) | instid1(VALU_DEP_1)
	v_add_nc_u32_e32 v9, v8, v9
	v_lshrrev_b32_e32 v9, s10, v9
	s_load_b64 s[10:11], s[0:1], 0x0
	s_wait_xcnt 0x0
	s_add_nc_u64 s[0:1], s[0:1], 8
	s_delay_alu instid0(VALU_DEP_1) | instskip(NEXT) | instid1(VALU_DEP_1)
	v_mul_lo_u32 v10, v9, s8
	v_sub_nc_u32_e32 v8, v8, v10
	s_wait_kmcnt 0x0
	s_delay_alu instid0(VALU_DEP_1)
	v_mad_u32 v7, v8, s11, v7
	v_mad_u32 v6, v8, s10, v6
	v_mov_b32_e32 v8, v9
	s_cbranch_scc1 .LBB69_54
.LBB69_55:
	s_and_not1_b32 vcc_lo, exec_lo, s6
	s_cbranch_vccnz .LBB69_58
; %bb.56:
	s_clause 0x1
	s_load_b96 s[0:2], s[12:13], 0x4
	s_load_b64 s[4:5], s[12:13], 0xc4
	s_cmp_lt_u32 s28, 2
	s_wait_kmcnt 0x0
	v_mul_hi_u32 v6, s1, v1
	s_delay_alu instid0(VALU_DEP_1) | instskip(NEXT) | instid1(VALU_DEP_1)
	v_add_nc_u32_e32 v6, v1, v6
	v_lshrrev_b32_e32 v8, s2, v6
	s_delay_alu instid0(VALU_DEP_1) | instskip(NEXT) | instid1(VALU_DEP_1)
	v_mul_lo_u32 v6, v8, s0
	v_sub_nc_u32_e32 v1, v1, v6
	s_delay_alu instid0(VALU_DEP_1)
	v_mul_lo_u32 v7, v1, s5
	v_mul_lo_u32 v6, v1, s4
	s_cbranch_scc1 .LBB69_58
; %bb.57:
	s_clause 0x1
	s_load_b96 s[0:2], s[12:13], 0x10
	s_load_b64 s[4:5], s[12:13], 0xcc
	s_wait_kmcnt 0x0
	v_mul_hi_u32 v1, s1, v8
	s_delay_alu instid0(VALU_DEP_1) | instskip(NEXT) | instid1(VALU_DEP_1)
	v_add_nc_u32_e32 v1, v8, v1
	v_lshrrev_b32_e32 v1, s2, v1
	s_delay_alu instid0(VALU_DEP_1) | instskip(NEXT) | instid1(VALU_DEP_1)
	v_mul_lo_u32 v1, v1, s0
	v_sub_nc_u32_e32 v1, v8, v1
	s_delay_alu instid0(VALU_DEP_1)
	v_mad_u32 v6, v1, s4, v6
	v_mad_u32 v7, v1, s5, v7
.LBB69_58:
	v_cmp_ne_u32_e32 vcc_lo, 1, v14
	v_add_nc_u32_e32 v1, 0x180, v0
	s_cbranch_vccnz .LBB69_64
; %bb.59:
	s_cmp_lg_u32 s28, 0
	s_mov_b32 s6, 0
	s_cbranch_scc0 .LBB69_65
; %bb.60:
	s_min_u32 s1, s29, 15
	s_delay_alu instid0(SALU_CYCLE_1)
	s_add_co_i32 s1, s1, 1
	s_cmp_eq_u32 s29, 2
	s_cbranch_scc1 .LBB69_66
; %bb.61:
	v_dual_mov_b32 v8, 0 :: v_dual_mov_b32 v9, 0
	v_mov_b32_e32 v10, v1
	s_and_b32 s0, s1, 28
	s_add_nc_u64 s[2:3], s[12:13], 0xc4
	s_mov_b32 s7, 0
	s_mov_b64 s[4:5], s[12:13]
.LBB69_62:                              ; =>This Inner Loop Header: Depth=1
	s_clause 0x1
	s_load_b256 s[16:23], s[4:5], 0x4
	s_load_b128 s[8:11], s[4:5], 0x24
	s_load_b256 s[36:43], s[2:3], 0x0
	s_add_co_i32 s7, s7, 4
	s_wait_xcnt 0x0
	s_add_nc_u64 s[4:5], s[4:5], 48
	s_cmp_lg_u32 s0, s7
	s_add_nc_u64 s[2:3], s[2:3], 32
	s_wait_kmcnt 0x0
	v_mul_hi_u32 v11, s17, v10
	s_delay_alu instid0(VALU_DEP_1) | instskip(NEXT) | instid1(VALU_DEP_1)
	v_add_nc_u32_e32 v11, v10, v11
	v_lshrrev_b32_e32 v11, s18, v11
	s_delay_alu instid0(VALU_DEP_1) | instskip(NEXT) | instid1(VALU_DEP_1)
	v_mul_hi_u32 v12, s20, v11
	v_add_nc_u32_e32 v12, v11, v12
	s_delay_alu instid0(VALU_DEP_1) | instskip(NEXT) | instid1(VALU_DEP_1)
	v_lshrrev_b32_e32 v12, s21, v12
	v_mul_hi_u32 v13, s23, v12
	s_delay_alu instid0(VALU_DEP_1) | instskip(SKIP_1) | instid1(VALU_DEP_1)
	v_add_nc_u32_e32 v13, v12, v13
	v_mul_lo_u32 v15, v11, s16
	v_sub_nc_u32_e32 v10, v10, v15
	v_mul_lo_u32 v15, v12, s19
	s_delay_alu instid0(VALU_DEP_4) | instskip(NEXT) | instid1(VALU_DEP_3)
	v_lshrrev_b32_e32 v13, s8, v13
	v_mad_u32 v9, v10, s37, v9
	v_mad_u32 v8, v10, s36, v8
	s_delay_alu instid0(VALU_DEP_4) | instskip(NEXT) | instid1(VALU_DEP_4)
	v_sub_nc_u32_e32 v10, v11, v15
	v_mul_hi_u32 v17, s10, v13
	v_mul_lo_u32 v11, v13, s22
	s_delay_alu instid0(VALU_DEP_3) | instskip(SKIP_1) | instid1(VALU_DEP_3)
	v_mad_u32 v9, v10, s39, v9
	v_mad_u32 v8, v10, s38, v8
	v_dual_add_nc_u32 v15, v13, v17 :: v_dual_sub_nc_u32 v11, v12, v11
	s_delay_alu instid0(VALU_DEP_1) | instskip(NEXT) | instid1(VALU_DEP_2)
	v_lshrrev_b32_e32 v10, s11, v15
	v_mad_u32 v9, v11, s41, v9
	s_delay_alu instid0(VALU_DEP_4) | instskip(NEXT) | instid1(VALU_DEP_3)
	v_mad_u32 v8, v11, s40, v8
	v_mul_lo_u32 v12, v10, s9
	s_delay_alu instid0(VALU_DEP_1) | instskip(NEXT) | instid1(VALU_DEP_1)
	v_sub_nc_u32_e32 v11, v13, v12
	v_mad_u32 v9, v11, s43, v9
	s_delay_alu instid0(VALU_DEP_4)
	v_mad_u32 v8, v11, s42, v8
	s_cbranch_scc1 .LBB69_62
; %bb.63:
	s_and_b32 s4, s1, 3
	s_mov_b32 s1, 0
	s_cmp_eq_u32 s4, 0
	s_cbranch_scc0 .LBB69_67
	s_branch .LBB69_69
.LBB69_64:
	s_mov_b32 s6, -1
                                        ; implicit-def: $vgpr9
	s_branch .LBB69_69
.LBB69_65:
	v_dual_mov_b32 v9, 0 :: v_dual_mov_b32 v8, 0
	s_branch .LBB69_69
.LBB69_66:
	v_mov_b64_e32 v[8:9], 0
	v_mov_b32_e32 v10, v1
	s_mov_b32 s0, 0
	s_and_b32 s4, s1, 3
	s_mov_b32 s1, 0
	s_cmp_eq_u32 s4, 0
	s_cbranch_scc1 .LBB69_69
.LBB69_67:
	s_lshl_b32 s2, s0, 3
	s_mov_b32 s3, s1
	s_mul_u64 s[8:9], s[0:1], 12
	s_add_nc_u64 s[2:3], s[12:13], s[2:3]
	s_delay_alu instid0(SALU_CYCLE_1)
	s_add_nc_u64 s[0:1], s[2:3], 0xc4
	s_add_nc_u64 s[2:3], s[12:13], s[8:9]
.LBB69_68:                              ; =>This Inner Loop Header: Depth=1
	s_load_b96 s[8:10], s[2:3], 0x4
	s_add_co_i32 s4, s4, -1
	s_wait_xcnt 0x0
	s_add_nc_u64 s[2:3], s[2:3], 12
	s_cmp_lg_u32 s4, 0
	s_wait_kmcnt 0x0
	v_mul_hi_u32 v11, s9, v10
	s_delay_alu instid0(VALU_DEP_1) | instskip(NEXT) | instid1(VALU_DEP_1)
	v_add_nc_u32_e32 v11, v10, v11
	v_lshrrev_b32_e32 v11, s10, v11
	s_load_b64 s[10:11], s[0:1], 0x0
	s_wait_xcnt 0x0
	s_add_nc_u64 s[0:1], s[0:1], 8
	s_delay_alu instid0(VALU_DEP_1) | instskip(NEXT) | instid1(VALU_DEP_1)
	v_mul_lo_u32 v12, v11, s8
	v_sub_nc_u32_e32 v10, v10, v12
	s_wait_kmcnt 0x0
	s_delay_alu instid0(VALU_DEP_1)
	v_mad_u32 v9, v10, s11, v9
	v_mad_u32 v8, v10, s10, v8
	v_mov_b32_e32 v10, v11
	s_cbranch_scc1 .LBB69_68
.LBB69_69:
	s_and_not1_b32 vcc_lo, exec_lo, s6
	s_cbranch_vccnz .LBB69_72
; %bb.70:
	s_clause 0x1
	s_load_b96 s[0:2], s[12:13], 0x4
	s_load_b64 s[4:5], s[12:13], 0xc4
	s_cmp_lt_u32 s28, 2
	s_wait_kmcnt 0x0
	v_mul_hi_u32 v8, s1, v1
	s_delay_alu instid0(VALU_DEP_1) | instskip(NEXT) | instid1(VALU_DEP_1)
	v_add_nc_u32_e32 v8, v1, v8
	v_lshrrev_b32_e32 v10, s2, v8
	s_delay_alu instid0(VALU_DEP_1) | instskip(NEXT) | instid1(VALU_DEP_1)
	v_mul_lo_u32 v8, v10, s0
	v_sub_nc_u32_e32 v1, v1, v8
	s_delay_alu instid0(VALU_DEP_1)
	v_mul_lo_u32 v9, v1, s5
	v_mul_lo_u32 v8, v1, s4
	s_cbranch_scc1 .LBB69_72
; %bb.71:
	s_clause 0x1
	s_load_b96 s[0:2], s[12:13], 0x10
	s_load_b64 s[4:5], s[12:13], 0xcc
	s_wait_kmcnt 0x0
	v_mul_hi_u32 v1, s1, v10
	s_delay_alu instid0(VALU_DEP_1) | instskip(NEXT) | instid1(VALU_DEP_1)
	v_add_nc_u32_e32 v1, v10, v1
	v_lshrrev_b32_e32 v1, s2, v1
	s_delay_alu instid0(VALU_DEP_1) | instskip(NEXT) | instid1(VALU_DEP_1)
	v_mul_lo_u32 v1, v1, s0
	v_sub_nc_u32_e32 v1, v10, v1
	s_delay_alu instid0(VALU_DEP_1)
	v_mad_u32 v8, v1, s4, v8
	v_mad_u32 v9, v1, s5, v9
.LBB69_72:
	v_cmp_ne_u32_e32 vcc_lo, 1, v14
	v_add_nc_u32_e32 v1, 0x200, v0
	s_cbranch_vccnz .LBB69_78
; %bb.73:
	s_cmp_lg_u32 s28, 0
	s_mov_b32 s6, 0
	s_cbranch_scc0 .LBB69_79
; %bb.74:
	s_min_u32 s1, s29, 15
	s_delay_alu instid0(SALU_CYCLE_1)
	s_add_co_i32 s1, s1, 1
	s_cmp_eq_u32 s29, 2
	s_cbranch_scc1 .LBB69_80
; %bb.75:
	v_dual_mov_b32 v10, 0 :: v_dual_mov_b32 v11, 0
	v_mov_b32_e32 v12, v1
	s_and_b32 s0, s1, 28
	s_add_nc_u64 s[2:3], s[12:13], 0xc4
	s_mov_b32 s7, 0
	s_mov_b64 s[4:5], s[12:13]
.LBB69_76:                              ; =>This Inner Loop Header: Depth=1
	s_clause 0x1
	s_load_b256 s[16:23], s[4:5], 0x4
	s_load_b128 s[8:11], s[4:5], 0x24
	s_load_b256 s[36:43], s[2:3], 0x0
	s_add_co_i32 s7, s7, 4
	s_wait_xcnt 0x0
	s_add_nc_u64 s[4:5], s[4:5], 48
	s_cmp_lg_u32 s0, s7
	s_add_nc_u64 s[2:3], s[2:3], 32
	s_wait_kmcnt 0x0
	v_mul_hi_u32 v13, s17, v12
	s_delay_alu instid0(VALU_DEP_1) | instskip(NEXT) | instid1(VALU_DEP_1)
	v_add_nc_u32_e32 v13, v12, v13
	v_lshrrev_b32_e32 v13, s18, v13
	s_delay_alu instid0(VALU_DEP_1) | instskip(NEXT) | instid1(VALU_DEP_1)
	v_mul_lo_u32 v18, v13, s16
	v_sub_nc_u32_e32 v12, v12, v18
	v_mul_hi_u32 v15, s20, v13
	s_delay_alu instid0(VALU_DEP_2) | instskip(SKIP_1) | instid1(VALU_DEP_3)
	v_mad_u32 v11, v12, s37, v11
	v_mad_u32 v10, v12, s36, v10
	v_add_nc_u32_e32 v15, v13, v15
	s_delay_alu instid0(VALU_DEP_1) | instskip(NEXT) | instid1(VALU_DEP_1)
	v_lshrrev_b32_e32 v15, s21, v15
	v_mul_hi_u32 v17, s23, v15
	v_mul_lo_u32 v18, v15, s19
	s_delay_alu instid0(VALU_DEP_1) | instskip(NEXT) | instid1(VALU_DEP_1)
	v_dual_add_nc_u32 v17, v15, v17 :: v_dual_sub_nc_u32 v12, v13, v18
	v_lshrrev_b32_e32 v17, s8, v17
	s_delay_alu instid0(VALU_DEP_2) | instskip(SKIP_1) | instid1(VALU_DEP_3)
	v_mad_u32 v11, v12, s39, v11
	v_mad_u32 v10, v12, s38, v10
	v_mul_hi_u32 v19, s10, v17
	v_mul_lo_u32 v13, v17, s22
	s_delay_alu instid0(VALU_DEP_1) | instskip(NEXT) | instid1(VALU_DEP_1)
	v_dual_add_nc_u32 v18, v17, v19 :: v_dual_sub_nc_u32 v13, v15, v13
	v_lshrrev_b32_e32 v12, s11, v18
	s_delay_alu instid0(VALU_DEP_2) | instskip(SKIP_1) | instid1(VALU_DEP_3)
	v_mad_u32 v11, v13, s41, v11
	v_mad_u32 v10, v13, s40, v10
	v_mul_lo_u32 v15, v12, s9
	s_delay_alu instid0(VALU_DEP_1) | instskip(NEXT) | instid1(VALU_DEP_1)
	v_sub_nc_u32_e32 v13, v17, v15
	v_mad_u32 v11, v13, s43, v11
	s_delay_alu instid0(VALU_DEP_4)
	v_mad_u32 v10, v13, s42, v10
	s_cbranch_scc1 .LBB69_76
; %bb.77:
	s_and_b32 s4, s1, 3
	s_mov_b32 s1, 0
	s_cmp_eq_u32 s4, 0
	s_cbranch_scc0 .LBB69_81
	s_branch .LBB69_83
.LBB69_78:
	s_mov_b32 s6, -1
                                        ; implicit-def: $vgpr11
	s_branch .LBB69_83
.LBB69_79:
	v_dual_mov_b32 v11, 0 :: v_dual_mov_b32 v10, 0
	s_branch .LBB69_83
.LBB69_80:
	v_mov_b64_e32 v[10:11], 0
	v_mov_b32_e32 v12, v1
	s_mov_b32 s0, 0
	s_and_b32 s4, s1, 3
	s_mov_b32 s1, 0
	s_cmp_eq_u32 s4, 0
	s_cbranch_scc1 .LBB69_83
.LBB69_81:
	s_lshl_b32 s2, s0, 3
	s_mov_b32 s3, s1
	s_mul_u64 s[8:9], s[0:1], 12
	s_add_nc_u64 s[2:3], s[12:13], s[2:3]
	s_delay_alu instid0(SALU_CYCLE_1)
	s_add_nc_u64 s[0:1], s[2:3], 0xc4
	s_add_nc_u64 s[2:3], s[12:13], s[8:9]
.LBB69_82:                              ; =>This Inner Loop Header: Depth=1
	s_load_b96 s[8:10], s[2:3], 0x4
	s_add_co_i32 s4, s4, -1
	s_wait_xcnt 0x0
	s_add_nc_u64 s[2:3], s[2:3], 12
	s_cmp_lg_u32 s4, 0
	s_wait_kmcnt 0x0
	v_mul_hi_u32 v13, s9, v12
	s_delay_alu instid0(VALU_DEP_1) | instskip(NEXT) | instid1(VALU_DEP_1)
	v_add_nc_u32_e32 v13, v12, v13
	v_lshrrev_b32_e32 v13, s10, v13
	s_load_b64 s[10:11], s[0:1], 0x0
	s_wait_xcnt 0x0
	s_add_nc_u64 s[0:1], s[0:1], 8
	s_delay_alu instid0(VALU_DEP_1) | instskip(NEXT) | instid1(VALU_DEP_1)
	v_mul_lo_u32 v15, v13, s8
	v_sub_nc_u32_e32 v12, v12, v15
	s_wait_kmcnt 0x0
	s_delay_alu instid0(VALU_DEP_1)
	v_mad_u32 v11, v12, s11, v11
	v_mad_u32 v10, v12, s10, v10
	v_mov_b32_e32 v12, v13
	s_cbranch_scc1 .LBB69_82
.LBB69_83:
	s_and_not1_b32 vcc_lo, exec_lo, s6
	s_cbranch_vccnz .LBB69_86
; %bb.84:
	s_clause 0x1
	s_load_b96 s[0:2], s[12:13], 0x4
	s_load_b64 s[4:5], s[12:13], 0xc4
	s_cmp_lt_u32 s28, 2
	s_wait_kmcnt 0x0
	v_mul_hi_u32 v10, s1, v1
	s_delay_alu instid0(VALU_DEP_1) | instskip(NEXT) | instid1(VALU_DEP_1)
	v_add_nc_u32_e32 v10, v1, v10
	v_lshrrev_b32_e32 v12, s2, v10
	s_delay_alu instid0(VALU_DEP_1) | instskip(NEXT) | instid1(VALU_DEP_1)
	v_mul_lo_u32 v10, v12, s0
	v_sub_nc_u32_e32 v1, v1, v10
	s_delay_alu instid0(VALU_DEP_1)
	v_mul_lo_u32 v11, v1, s5
	v_mul_lo_u32 v10, v1, s4
	s_cbranch_scc1 .LBB69_86
; %bb.85:
	s_clause 0x1
	s_load_b96 s[0:2], s[12:13], 0x10
	s_load_b64 s[4:5], s[12:13], 0xcc
	s_wait_kmcnt 0x0
	v_mul_hi_u32 v1, s1, v12
	s_delay_alu instid0(VALU_DEP_1) | instskip(NEXT) | instid1(VALU_DEP_1)
	v_add_nc_u32_e32 v1, v12, v1
	v_lshrrev_b32_e32 v1, s2, v1
	s_delay_alu instid0(VALU_DEP_1) | instskip(NEXT) | instid1(VALU_DEP_1)
	v_mul_lo_u32 v1, v1, s0
	v_sub_nc_u32_e32 v1, v12, v1
	s_delay_alu instid0(VALU_DEP_1)
	v_mad_u32 v10, v1, s4, v10
	v_mad_u32 v11, v1, s5, v11
.LBB69_86:
	v_cmp_ne_u32_e32 vcc_lo, 1, v14
	v_add_nc_u32_e32 v1, 0x280, v0
	s_cbranch_vccnz .LBB69_92
; %bb.87:
	s_cmp_lg_u32 s28, 0
	s_mov_b32 s6, 0
	s_cbranch_scc0 .LBB69_93
; %bb.88:
	s_min_u32 s1, s29, 15
	s_delay_alu instid0(SALU_CYCLE_1)
	s_add_co_i32 s1, s1, 1
	s_cmp_eq_u32 s29, 2
	s_cbranch_scc1 .LBB69_94
; %bb.89:
	v_dual_mov_b32 v12, 0 :: v_dual_mov_b32 v13, 0
	v_mov_b32_e32 v15, v1
	s_and_b32 s0, s1, 28
	s_add_nc_u64 s[2:3], s[12:13], 0xc4
	s_mov_b32 s7, 0
	s_mov_b64 s[4:5], s[12:13]
.LBB69_90:                              ; =>This Inner Loop Header: Depth=1
	s_clause 0x1
	s_load_b256 s[16:23], s[4:5], 0x4
	s_load_b128 s[8:11], s[4:5], 0x24
	s_load_b256 s[36:43], s[2:3], 0x0
	s_add_co_i32 s7, s7, 4
	s_wait_xcnt 0x0
	s_add_nc_u64 s[4:5], s[4:5], 48
	s_cmp_lg_u32 s0, s7
	s_add_nc_u64 s[2:3], s[2:3], 32
	s_wait_kmcnt 0x0
	v_mul_hi_u32 v17, s17, v15
	s_delay_alu instid0(VALU_DEP_1) | instskip(NEXT) | instid1(VALU_DEP_1)
	v_add_nc_u32_e32 v17, v15, v17
	v_lshrrev_b32_e32 v17, s18, v17
	s_delay_alu instid0(VALU_DEP_1) | instskip(NEXT) | instid1(VALU_DEP_1)
	v_mul_hi_u32 v18, s20, v17
	v_add_nc_u32_e32 v18, v17, v18
	s_delay_alu instid0(VALU_DEP_1) | instskip(NEXT) | instid1(VALU_DEP_1)
	v_lshrrev_b32_e32 v18, s21, v18
	v_mul_hi_u32 v19, s23, v18
	s_delay_alu instid0(VALU_DEP_1) | instskip(SKIP_1) | instid1(VALU_DEP_1)
	v_add_nc_u32_e32 v19, v18, v19
	v_mul_lo_u32 v20, v17, s16
	v_sub_nc_u32_e32 v15, v15, v20
	v_mul_lo_u32 v20, v18, s19
	s_delay_alu instid0(VALU_DEP_4) | instskip(NEXT) | instid1(VALU_DEP_3)
	v_lshrrev_b32_e32 v19, s8, v19
	v_mad_u32 v13, v15, s37, v13
	v_mad_u32 v12, v15, s36, v12
	s_delay_alu instid0(VALU_DEP_4) | instskip(NEXT) | instid1(VALU_DEP_4)
	v_sub_nc_u32_e32 v15, v17, v20
	v_mul_hi_u32 v21, s10, v19
	v_mul_lo_u32 v17, v19, s22
	s_delay_alu instid0(VALU_DEP_3) | instskip(SKIP_1) | instid1(VALU_DEP_4)
	v_mad_u32 v13, v15, s39, v13
	v_mad_u32 v12, v15, s38, v12
	v_add_nc_u32_e32 v20, v19, v21
	s_delay_alu instid0(VALU_DEP_1) | instskip(NEXT) | instid1(VALU_DEP_1)
	v_dual_sub_nc_u32 v17, v18, v17 :: v_dual_lshrrev_b32 v15, s11, v20
	v_mad_u32 v13, v17, s41, v13
	s_delay_alu instid0(VALU_DEP_4) | instskip(NEXT) | instid1(VALU_DEP_3)
	v_mad_u32 v12, v17, s40, v12
	v_mul_lo_u32 v18, v15, s9
	s_delay_alu instid0(VALU_DEP_1) | instskip(NEXT) | instid1(VALU_DEP_1)
	v_sub_nc_u32_e32 v17, v19, v18
	v_mad_u32 v13, v17, s43, v13
	s_delay_alu instid0(VALU_DEP_4)
	v_mad_u32 v12, v17, s42, v12
	s_cbranch_scc1 .LBB69_90
; %bb.91:
	s_and_b32 s4, s1, 3
	s_mov_b32 s1, 0
	s_cmp_eq_u32 s4, 0
	s_cbranch_scc0 .LBB69_95
	s_branch .LBB69_97
.LBB69_92:
	s_mov_b32 s6, -1
                                        ; implicit-def: $vgpr13
	s_branch .LBB69_97
.LBB69_93:
	v_dual_mov_b32 v13, 0 :: v_dual_mov_b32 v12, 0
	s_branch .LBB69_97
.LBB69_94:
	v_mov_b64_e32 v[12:13], 0
	v_mov_b32_e32 v15, v1
	s_mov_b32 s0, 0
	s_and_b32 s4, s1, 3
	s_mov_b32 s1, 0
	s_cmp_eq_u32 s4, 0
	s_cbranch_scc1 .LBB69_97
.LBB69_95:
	s_lshl_b32 s2, s0, 3
	s_mov_b32 s3, s1
	s_mul_u64 s[8:9], s[0:1], 12
	s_add_nc_u64 s[2:3], s[12:13], s[2:3]
	s_delay_alu instid0(SALU_CYCLE_1)
	s_add_nc_u64 s[0:1], s[2:3], 0xc4
	s_add_nc_u64 s[2:3], s[12:13], s[8:9]
.LBB69_96:                              ; =>This Inner Loop Header: Depth=1
	s_load_b96 s[8:10], s[2:3], 0x4
	s_add_co_i32 s4, s4, -1
	s_wait_xcnt 0x0
	s_add_nc_u64 s[2:3], s[2:3], 12
	s_cmp_lg_u32 s4, 0
	s_wait_kmcnt 0x0
	v_mul_hi_u32 v17, s9, v15
	s_delay_alu instid0(VALU_DEP_1) | instskip(NEXT) | instid1(VALU_DEP_1)
	v_add_nc_u32_e32 v17, v15, v17
	v_lshrrev_b32_e32 v17, s10, v17
	s_load_b64 s[10:11], s[0:1], 0x0
	s_wait_xcnt 0x0
	s_add_nc_u64 s[0:1], s[0:1], 8
	s_delay_alu instid0(VALU_DEP_1) | instskip(NEXT) | instid1(VALU_DEP_1)
	v_mul_lo_u32 v18, v17, s8
	v_sub_nc_u32_e32 v15, v15, v18
	s_wait_kmcnt 0x0
	s_delay_alu instid0(VALU_DEP_1)
	v_mad_u32 v13, v15, s11, v13
	v_mad_u32 v12, v15, s10, v12
	v_mov_b32_e32 v15, v17
	s_cbranch_scc1 .LBB69_96
.LBB69_97:
	s_and_not1_b32 vcc_lo, exec_lo, s6
	s_cbranch_vccnz .LBB69_100
; %bb.98:
	s_clause 0x1
	s_load_b96 s[0:2], s[12:13], 0x4
	s_load_b64 s[4:5], s[12:13], 0xc4
	s_cmp_lt_u32 s28, 2
	s_wait_kmcnt 0x0
	v_mul_hi_u32 v12, s1, v1
	s_delay_alu instid0(VALU_DEP_1) | instskip(NEXT) | instid1(VALU_DEP_1)
	v_add_nc_u32_e32 v12, v1, v12
	v_lshrrev_b32_e32 v15, s2, v12
	s_delay_alu instid0(VALU_DEP_1) | instskip(NEXT) | instid1(VALU_DEP_1)
	v_mul_lo_u32 v12, v15, s0
	v_sub_nc_u32_e32 v1, v1, v12
	s_delay_alu instid0(VALU_DEP_1)
	v_mul_lo_u32 v13, v1, s5
	v_mul_lo_u32 v12, v1, s4
	s_cbranch_scc1 .LBB69_100
; %bb.99:
	s_clause 0x1
	s_load_b96 s[0:2], s[12:13], 0x10
	s_load_b64 s[4:5], s[12:13], 0xcc
	s_wait_kmcnt 0x0
	v_mul_hi_u32 v1, s1, v15
	s_delay_alu instid0(VALU_DEP_1) | instskip(NEXT) | instid1(VALU_DEP_1)
	v_add_nc_u32_e32 v1, v15, v1
	v_lshrrev_b32_e32 v1, s2, v1
	s_delay_alu instid0(VALU_DEP_1) | instskip(NEXT) | instid1(VALU_DEP_1)
	v_mul_lo_u32 v1, v1, s0
	v_sub_nc_u32_e32 v1, v15, v1
	s_delay_alu instid0(VALU_DEP_1)
	v_mad_u32 v12, v1, s4, v12
	v_mad_u32 v13, v1, s5, v13
.LBB69_100:
	v_cmp_ne_u32_e32 vcc_lo, 1, v14
	v_add_nc_u32_e32 v15, 0x300, v0
	s_cbranch_vccnz .LBB69_106
; %bb.101:
	s_cmp_lg_u32 s28, 0
	s_mov_b32 s6, 0
	s_cbranch_scc0 .LBB69_107
; %bb.102:
	s_min_u32 s1, s29, 15
	s_delay_alu instid0(SALU_CYCLE_1)
	s_add_co_i32 s1, s1, 1
	s_cmp_eq_u32 s29, 2
	s_cbranch_scc1 .LBB69_108
; %bb.103:
	v_dual_mov_b32 v0, 0 :: v_dual_mov_b32 v1, 0
	v_mov_b32_e32 v17, v15
	s_and_b32 s0, s1, 28
	s_add_nc_u64 s[2:3], s[12:13], 0xc4
	s_mov_b32 s7, 0
	s_mov_b64 s[4:5], s[12:13]
.LBB69_104:                             ; =>This Inner Loop Header: Depth=1
	s_clause 0x1
	s_load_b256 s[16:23], s[4:5], 0x4
	s_load_b128 s[8:11], s[4:5], 0x24
	s_load_b256 s[36:43], s[2:3], 0x0
	s_add_co_i32 s7, s7, 4
	s_wait_xcnt 0x0
	s_add_nc_u64 s[4:5], s[4:5], 48
	s_cmp_lg_u32 s0, s7
	s_add_nc_u64 s[2:3], s[2:3], 32
	s_wait_kmcnt 0x0
	v_mul_hi_u32 v18, s17, v17
	s_delay_alu instid0(VALU_DEP_1) | instskip(NEXT) | instid1(VALU_DEP_1)
	v_add_nc_u32_e32 v18, v17, v18
	v_lshrrev_b32_e32 v18, s18, v18
	s_delay_alu instid0(VALU_DEP_1) | instskip(NEXT) | instid1(VALU_DEP_1)
	v_mul_hi_u32 v19, s20, v18
	v_add_nc_u32_e32 v19, v18, v19
	s_delay_alu instid0(VALU_DEP_1) | instskip(NEXT) | instid1(VALU_DEP_1)
	v_lshrrev_b32_e32 v19, s21, v19
	v_mul_hi_u32 v20, s23, v19
	s_delay_alu instid0(VALU_DEP_1) | instskip(SKIP_1) | instid1(VALU_DEP_1)
	v_add_nc_u32_e32 v20, v19, v20
	v_mul_lo_u32 v21, v18, s16
	v_sub_nc_u32_e32 v17, v17, v21
	v_mul_lo_u32 v21, v19, s19
	s_delay_alu instid0(VALU_DEP_4) | instskip(NEXT) | instid1(VALU_DEP_3)
	v_lshrrev_b32_e32 v20, s8, v20
	v_mad_u32 v1, v17, s37, v1
	v_mad_u32 v0, v17, s36, v0
	s_delay_alu instid0(VALU_DEP_4) | instskip(NEXT) | instid1(VALU_DEP_4)
	v_sub_nc_u32_e32 v17, v18, v21
	v_mul_hi_u32 v22, s10, v20
	v_mul_lo_u32 v18, v20, s22
	s_delay_alu instid0(VALU_DEP_3) | instskip(SKIP_1) | instid1(VALU_DEP_4)
	v_mad_u32 v1, v17, s39, v1
	v_mad_u32 v0, v17, s38, v0
	v_add_nc_u32_e32 v21, v20, v22
	s_delay_alu instid0(VALU_DEP_1) | instskip(NEXT) | instid1(VALU_DEP_1)
	v_dual_sub_nc_u32 v18, v19, v18 :: v_dual_lshrrev_b32 v17, s11, v21
	v_mad_u32 v1, v18, s41, v1
	s_delay_alu instid0(VALU_DEP_4) | instskip(NEXT) | instid1(VALU_DEP_3)
	v_mad_u32 v0, v18, s40, v0
	v_mul_lo_u32 v19, v17, s9
	s_delay_alu instid0(VALU_DEP_1) | instskip(NEXT) | instid1(VALU_DEP_1)
	v_sub_nc_u32_e32 v18, v20, v19
	v_mad_u32 v1, v18, s43, v1
	s_delay_alu instid0(VALU_DEP_4)
	v_mad_u32 v0, v18, s42, v0
	s_cbranch_scc1 .LBB69_104
; %bb.105:
	s_and_b32 s4, s1, 3
	s_mov_b32 s1, 0
	s_cmp_eq_u32 s4, 0
	s_cbranch_scc0 .LBB69_109
	s_branch .LBB69_111
.LBB69_106:
	s_mov_b32 s6, -1
                                        ; implicit-def: $vgpr1
	s_branch .LBB69_111
.LBB69_107:
	v_dual_mov_b32 v1, 0 :: v_dual_mov_b32 v0, 0
	s_branch .LBB69_111
.LBB69_108:
	v_mov_b64_e32 v[0:1], 0
	v_mov_b32_e32 v17, v15
	s_mov_b32 s0, 0
	s_and_b32 s4, s1, 3
	s_mov_b32 s1, 0
	s_cmp_eq_u32 s4, 0
	s_cbranch_scc1 .LBB69_111
.LBB69_109:
	s_lshl_b32 s2, s0, 3
	s_mov_b32 s3, s1
	s_mul_u64 s[8:9], s[0:1], 12
	s_add_nc_u64 s[2:3], s[12:13], s[2:3]
	s_delay_alu instid0(SALU_CYCLE_1)
	s_add_nc_u64 s[0:1], s[2:3], 0xc4
	s_add_nc_u64 s[2:3], s[12:13], s[8:9]
.LBB69_110:                             ; =>This Inner Loop Header: Depth=1
	s_load_b96 s[8:10], s[2:3], 0x4
	s_add_co_i32 s4, s4, -1
	s_wait_xcnt 0x0
	s_add_nc_u64 s[2:3], s[2:3], 12
	s_cmp_lg_u32 s4, 0
	s_wait_kmcnt 0x0
	v_mul_hi_u32 v18, s9, v17
	s_delay_alu instid0(VALU_DEP_1) | instskip(NEXT) | instid1(VALU_DEP_1)
	v_add_nc_u32_e32 v18, v17, v18
	v_lshrrev_b32_e32 v18, s10, v18
	s_load_b64 s[10:11], s[0:1], 0x0
	s_wait_xcnt 0x0
	s_add_nc_u64 s[0:1], s[0:1], 8
	s_delay_alu instid0(VALU_DEP_1) | instskip(NEXT) | instid1(VALU_DEP_1)
	v_mul_lo_u32 v19, v18, s8
	v_sub_nc_u32_e32 v17, v17, v19
	s_wait_kmcnt 0x0
	s_delay_alu instid0(VALU_DEP_1)
	v_mad_u32 v1, v17, s11, v1
	v_mad_u32 v0, v17, s10, v0
	v_mov_b32_e32 v17, v18
	s_cbranch_scc1 .LBB69_110
.LBB69_111:
	s_and_not1_b32 vcc_lo, exec_lo, s6
	s_cbranch_vccnz .LBB69_114
; %bb.112:
	s_clause 0x1
	s_load_b96 s[0:2], s[12:13], 0x4
	s_load_b64 s[4:5], s[12:13], 0xc4
	s_cmp_lt_u32 s28, 2
	s_wait_kmcnt 0x0
	v_mul_hi_u32 v0, s1, v15
	s_delay_alu instid0(VALU_DEP_1) | instskip(NEXT) | instid1(VALU_DEP_1)
	v_add_nc_u32_e32 v0, v15, v0
	v_lshrrev_b32_e32 v17, s2, v0
	s_delay_alu instid0(VALU_DEP_1) | instskip(NEXT) | instid1(VALU_DEP_1)
	v_mul_lo_u32 v0, v17, s0
	v_sub_nc_u32_e32 v0, v15, v0
	s_delay_alu instid0(VALU_DEP_1)
	v_mul_lo_u32 v1, v0, s5
	v_mul_lo_u32 v0, v0, s4
	s_cbranch_scc1 .LBB69_114
; %bb.113:
	s_clause 0x1
	s_load_b96 s[0:2], s[12:13], 0x10
	s_load_b64 s[4:5], s[12:13], 0xcc
	s_wait_kmcnt 0x0
	v_mul_hi_u32 v15, s1, v17
	s_delay_alu instid0(VALU_DEP_1) | instskip(NEXT) | instid1(VALU_DEP_1)
	v_add_nc_u32_e32 v15, v17, v15
	v_lshrrev_b32_e32 v15, s2, v15
	s_delay_alu instid0(VALU_DEP_1) | instskip(NEXT) | instid1(VALU_DEP_1)
	v_mul_lo_u32 v15, v15, s0
	v_sub_nc_u32_e32 v15, v17, v15
	s_delay_alu instid0(VALU_DEP_1)
	v_mad_u32 v0, v15, s4, v0
	v_mad_u32 v1, v15, s5, v1
.LBB69_114:
	v_cmp_ne_u32_e32 vcc_lo, 1, v14
	s_cbranch_vccnz .LBB69_120
; %bb.115:
	s_cmp_lg_u32 s28, 0
	s_mov_b32 s6, 0
	s_cbranch_scc0 .LBB69_121
; %bb.116:
	s_min_u32 s1, s29, 15
	s_delay_alu instid0(SALU_CYCLE_1)
	s_add_co_i32 s1, s1, 1
	s_cmp_eq_u32 s29, 2
	s_cbranch_scc1 .LBB69_122
; %bb.117:
	v_dual_mov_b32 v14, 0 :: v_dual_mov_b32 v15, 0
	v_mov_b32_e32 v17, v16
	s_and_b32 s0, s1, 28
	s_add_nc_u64 s[2:3], s[12:13], 0xc4
	s_mov_b32 s7, 0
	s_mov_b64 s[4:5], s[12:13]
.LBB69_118:                             ; =>This Inner Loop Header: Depth=1
	s_clause 0x1
	s_load_b256 s[16:23], s[4:5], 0x4
	s_load_b128 s[8:11], s[4:5], 0x24
	s_load_b256 s[36:43], s[2:3], 0x0
	s_add_co_i32 s7, s7, 4
	s_wait_xcnt 0x0
	s_add_nc_u64 s[4:5], s[4:5], 48
	s_cmp_lg_u32 s0, s7
	s_add_nc_u64 s[2:3], s[2:3], 32
	s_wait_kmcnt 0x0
	v_mul_hi_u32 v18, s17, v17
	s_delay_alu instid0(VALU_DEP_1) | instskip(NEXT) | instid1(VALU_DEP_1)
	v_add_nc_u32_e32 v18, v17, v18
	v_lshrrev_b32_e32 v18, s18, v18
	s_delay_alu instid0(VALU_DEP_1) | instskip(NEXT) | instid1(VALU_DEP_1)
	v_mul_hi_u32 v19, s20, v18
	v_add_nc_u32_e32 v19, v18, v19
	s_delay_alu instid0(VALU_DEP_1) | instskip(NEXT) | instid1(VALU_DEP_1)
	v_lshrrev_b32_e32 v19, s21, v19
	v_mul_hi_u32 v20, s23, v19
	s_delay_alu instid0(VALU_DEP_1) | instskip(SKIP_1) | instid1(VALU_DEP_1)
	v_add_nc_u32_e32 v20, v19, v20
	v_mul_lo_u32 v21, v18, s16
	v_sub_nc_u32_e32 v17, v17, v21
	v_mul_lo_u32 v21, v19, s19
	s_delay_alu instid0(VALU_DEP_4) | instskip(NEXT) | instid1(VALU_DEP_3)
	v_lshrrev_b32_e32 v20, s8, v20
	v_mad_u32 v15, v17, s37, v15
	v_mad_u32 v14, v17, s36, v14
	s_delay_alu instid0(VALU_DEP_4) | instskip(NEXT) | instid1(VALU_DEP_4)
	v_sub_nc_u32_e32 v17, v18, v21
	v_mul_hi_u32 v22, s10, v20
	v_mul_lo_u32 v18, v20, s22
	s_delay_alu instid0(VALU_DEP_3) | instskip(SKIP_1) | instid1(VALU_DEP_4)
	v_mad_u32 v15, v17, s39, v15
	v_mad_u32 v14, v17, s38, v14
	v_add_nc_u32_e32 v21, v20, v22
	s_delay_alu instid0(VALU_DEP_1) | instskip(NEXT) | instid1(VALU_DEP_1)
	v_dual_sub_nc_u32 v18, v19, v18 :: v_dual_lshrrev_b32 v17, s11, v21
	v_mad_u32 v15, v18, s41, v15
	s_delay_alu instid0(VALU_DEP_4) | instskip(NEXT) | instid1(VALU_DEP_3)
	v_mad_u32 v14, v18, s40, v14
	v_mul_lo_u32 v19, v17, s9
	s_delay_alu instid0(VALU_DEP_1) | instskip(NEXT) | instid1(VALU_DEP_1)
	v_sub_nc_u32_e32 v18, v20, v19
	v_mad_u32 v15, v18, s43, v15
	s_delay_alu instid0(VALU_DEP_4)
	v_mad_u32 v14, v18, s42, v14
	s_cbranch_scc1 .LBB69_118
; %bb.119:
	s_and_b32 s4, s1, 3
	s_mov_b32 s1, 0
	s_cmp_eq_u32 s4, 0
	s_cbranch_scc0 .LBB69_123
	s_branch .LBB69_125
.LBB69_120:
	s_mov_b32 s6, -1
                                        ; implicit-def: $vgpr15
	s_branch .LBB69_125
.LBB69_121:
	v_dual_mov_b32 v15, 0 :: v_dual_mov_b32 v14, 0
	s_branch .LBB69_125
.LBB69_122:
	v_mov_b64_e32 v[14:15], 0
	v_mov_b32_e32 v17, v16
	s_mov_b32 s0, 0
	s_and_b32 s4, s1, 3
	s_mov_b32 s1, 0
	s_cmp_eq_u32 s4, 0
	s_cbranch_scc1 .LBB69_125
.LBB69_123:
	s_lshl_b32 s2, s0, 3
	s_mov_b32 s3, s1
	s_mul_u64 s[8:9], s[0:1], 12
	s_add_nc_u64 s[2:3], s[12:13], s[2:3]
	s_delay_alu instid0(SALU_CYCLE_1)
	s_add_nc_u64 s[0:1], s[2:3], 0xc4
	s_add_nc_u64 s[2:3], s[12:13], s[8:9]
.LBB69_124:                             ; =>This Inner Loop Header: Depth=1
	s_load_b96 s[8:10], s[2:3], 0x4
	s_add_co_i32 s4, s4, -1
	s_wait_xcnt 0x0
	s_add_nc_u64 s[2:3], s[2:3], 12
	s_cmp_lg_u32 s4, 0
	s_wait_kmcnt 0x0
	v_mul_hi_u32 v18, s9, v17
	s_delay_alu instid0(VALU_DEP_1) | instskip(NEXT) | instid1(VALU_DEP_1)
	v_add_nc_u32_e32 v18, v17, v18
	v_lshrrev_b32_e32 v18, s10, v18
	s_load_b64 s[10:11], s[0:1], 0x0
	s_wait_xcnt 0x0
	s_add_nc_u64 s[0:1], s[0:1], 8
	s_delay_alu instid0(VALU_DEP_1) | instskip(NEXT) | instid1(VALU_DEP_1)
	v_mul_lo_u32 v19, v18, s8
	v_sub_nc_u32_e32 v17, v17, v19
	s_wait_kmcnt 0x0
	s_delay_alu instid0(VALU_DEP_1)
	v_mad_u32 v15, v17, s11, v15
	v_mad_u32 v14, v17, s10, v14
	v_mov_b32_e32 v17, v18
	s_cbranch_scc1 .LBB69_124
.LBB69_125:
	s_and_not1_b32 vcc_lo, exec_lo, s6
	s_cbranch_vccnz .LBB69_128
; %bb.126:
	s_clause 0x1
	s_load_b96 s[0:2], s[12:13], 0x4
	s_load_b64 s[4:5], s[12:13], 0xc4
	s_cmp_lt_u32 s28, 2
	s_wait_kmcnt 0x0
	v_mul_hi_u32 v14, s1, v16
	s_delay_alu instid0(VALU_DEP_1) | instskip(NEXT) | instid1(VALU_DEP_1)
	v_add_nc_u32_e32 v14, v16, v14
	v_lshrrev_b32_e32 v17, s2, v14
	s_delay_alu instid0(VALU_DEP_1) | instskip(NEXT) | instid1(VALU_DEP_1)
	v_mul_lo_u32 v14, v17, s0
	v_sub_nc_u32_e32 v14, v16, v14
	s_delay_alu instid0(VALU_DEP_1)
	v_mul_lo_u32 v15, v14, s5
	v_mul_lo_u32 v14, v14, s4
	s_cbranch_scc1 .LBB69_128
; %bb.127:
	s_clause 0x1
	s_load_b96 s[0:2], s[12:13], 0x10
	s_load_b64 s[4:5], s[12:13], 0xcc
	s_wait_kmcnt 0x0
	v_mul_hi_u32 v16, s1, v17
	s_delay_alu instid0(VALU_DEP_1) | instskip(NEXT) | instid1(VALU_DEP_1)
	v_add_nc_u32_e32 v16, v17, v16
	v_lshrrev_b32_e32 v16, s2, v16
	s_delay_alu instid0(VALU_DEP_1) | instskip(NEXT) | instid1(VALU_DEP_1)
	v_mul_lo_u32 v16, v16, s0
	v_sub_nc_u32_e32 v16, v17, v16
	s_delay_alu instid0(VALU_DEP_1)
	v_mad_u32 v14, v16, s4, v14
	v_mad_u32 v15, v16, s5, v15
.LBB69_128:
	s_load_b128 s[0:3], s[12:13], 0x148
	s_wait_kmcnt 0x0
	s_clause 0x7
	global_load_b64 v[16:17], v3, s[2:3]
	global_load_b64 v[18:19], v5, s[2:3]
	;; [unrolled: 1-line block ×8, first 2 shown]
	s_wait_loadcnt 0x7
	v_cmp_eq_f64_e32 vcc_lo, 0xfff00000, v[16:17]
	s_wait_xcnt 0x1
	v_cndmask_b32_e64 v1, 0, 1, vcc_lo
	s_wait_loadcnt 0x6
	v_cmp_eq_f64_e32 vcc_lo, 0xfff00000, v[18:19]
	v_cndmask_b32_e64 v3, 0, 1, vcc_lo
	s_wait_loadcnt 0x5
	v_cmp_eq_f64_e32 vcc_lo, 0xfff00000, v[20:21]
	;; [unrolled: 3-line block ×7, first 2 shown]
	s_wait_xcnt 0x0
	v_cndmask_b32_e64 v15, 0, 1, vcc_lo
	s_clause 0x7
	global_store_b8 v2, v1, s[0:1]
	global_store_b8 v4, v3, s[0:1]
	;; [unrolled: 1-line block ×8, first 2 shown]
	s_endpgm
.LBB69_129:
	v_dual_mov_b32 v3, 0 :: v_dual_mov_b32 v2, 0
	s_branch .LBB69_135
.LBB69_130:
	v_dual_mov_b32 v3, 0 :: v_dual_mov_b32 v2, 0
	s_branch .LBB69_151
.LBB69_131:
	v_mov_b64_e32 v[2:3], 0
	v_mov_b32_e32 v1, v0
	s_mov_b32 s22, 0
.LBB69_132:
	s_and_b32 s14, s14, 3
	s_mov_b32 s23, 0
	s_cmp_eq_u32 s14, 0
	s_cbranch_scc1 .LBB69_135
; %bb.133:
	s_lshl_b32 s24, s22, 3
	s_mov_b32 s25, s23
	s_mul_u64 s[26:27], s[22:23], 12
	s_add_nc_u64 s[24:25], s[12:13], s[24:25]
	s_delay_alu instid0(SALU_CYCLE_1)
	s_add_nc_u64 s[22:23], s[24:25], 0xc4
	s_add_nc_u64 s[24:25], s[12:13], s[26:27]
.LBB69_134:                             ; =>This Inner Loop Header: Depth=1
	s_load_b96 s[40:42], s[24:25], 0x4
	s_load_b64 s[26:27], s[22:23], 0x0
	s_add_co_i32 s14, s14, -1
	s_wait_xcnt 0x0
	s_add_nc_u64 s[24:25], s[24:25], 12
	s_cmp_lg_u32 s14, 0
	s_add_nc_u64 s[22:23], s[22:23], 8
	s_wait_kmcnt 0x0
	v_mul_hi_u32 v4, s41, v1
	s_delay_alu instid0(VALU_DEP_1) | instskip(NEXT) | instid1(VALU_DEP_1)
	v_add_nc_u32_e32 v4, v1, v4
	v_lshrrev_b32_e32 v4, s42, v4
	s_delay_alu instid0(VALU_DEP_1) | instskip(NEXT) | instid1(VALU_DEP_1)
	v_mul_lo_u32 v5, v4, s40
	v_sub_nc_u32_e32 v1, v1, v5
	s_delay_alu instid0(VALU_DEP_1)
	v_mad_u32 v3, v1, s27, v3
	v_mad_u32 v2, v1, s26, v2
	v_mov_b32_e32 v1, v4
	s_cbranch_scc1 .LBB69_134
.LBB69_135:
	s_cbranch_execnz .LBB69_138
.LBB69_136:
	v_mov_b32_e32 v1, 0
	s_and_not1_b32 vcc_lo, exec_lo, s33
	s_delay_alu instid0(VALU_DEP_1) | instskip(NEXT) | instid1(VALU_DEP_1)
	v_mul_u64_e32 v[2:3], s[16:17], v[0:1]
	v_add_nc_u32_e32 v2, v0, v3
	s_delay_alu instid0(VALU_DEP_1) | instskip(NEXT) | instid1(VALU_DEP_1)
	v_lshrrev_b32_e32 v4, s6, v2
	v_mul_lo_u32 v2, v4, s4
	s_delay_alu instid0(VALU_DEP_1) | instskip(NEXT) | instid1(VALU_DEP_1)
	v_sub_nc_u32_e32 v2, v0, v2
	v_mul_lo_u32 v3, v2, s9
	v_mul_lo_u32 v2, v2, s8
	s_cbranch_vccnz .LBB69_138
; %bb.137:
	v_mov_b32_e32 v5, v1
	s_delay_alu instid0(VALU_DEP_1) | instskip(NEXT) | instid1(VALU_DEP_1)
	v_mul_u64_e32 v[6:7], s[18:19], v[4:5]
	v_add_nc_u32_e32 v1, v4, v7
	s_delay_alu instid0(VALU_DEP_1) | instskip(NEXT) | instid1(VALU_DEP_1)
	v_lshrrev_b32_e32 v1, s15, v1
	v_mul_lo_u32 v1, v1, s7
	s_delay_alu instid0(VALU_DEP_1) | instskip(NEXT) | instid1(VALU_DEP_1)
	v_sub_nc_u32_e32 v1, v4, v1
	v_mad_u32 v2, v1, s10, v2
	v_mad_u32 v3, v1, s11, v3
.LBB69_138:
	global_load_b64 v[4:5], v3, s[2:3]
	v_add_nc_u32_e32 v0, 0x80, v0
	s_wait_loadcnt 0x0
	v_cmp_eq_f64_e32 vcc_lo, 0xfff00000, v[4:5]
	v_cndmask_b32_e64 v1, 0, 1, vcc_lo
	global_store_b8 v2, v1, s[0:1]
	s_wait_xcnt 0x0
	s_or_b32 exec_lo, exec_lo, s5
	s_delay_alu instid0(SALU_CYCLE_1)
	s_mov_b32 s5, exec_lo
	v_cmpx_gt_i32_e64 s34, v0
	s_cbranch_execnz .LBB69_15
.LBB69_139:
	s_or_b32 exec_lo, exec_lo, s5
	s_delay_alu instid0(SALU_CYCLE_1)
	s_mov_b32 s5, exec_lo
	v_cmpx_gt_i32_e64 s34, v0
	s_cbranch_execz .LBB69_155
.LBB69_140:
	s_and_not1_b32 vcc_lo, exec_lo, s30
	s_cbranch_vccnz .LBB69_145
; %bb.141:
	s_and_not1_b32 vcc_lo, exec_lo, s36
	s_cbranch_vccnz .LBB69_146
; %bb.142:
	s_add_co_i32 s14, s35, 1
	s_cmp_eq_u32 s29, 2
	s_cbranch_scc1 .LBB69_163
; %bb.143:
	v_dual_mov_b32 v2, 0 :: v_dual_mov_b32 v3, 0
	v_mov_b32_e32 v1, v0
	s_and_b32 s22, s14, 28
	s_mov_b32 s23, 0
	s_mov_b64 s[24:25], s[12:13]
	s_mov_b64 s[26:27], s[20:21]
.LBB69_144:                             ; =>This Inner Loop Header: Depth=1
	s_clause 0x1
	s_load_b256 s[40:47], s[24:25], 0x4
	s_load_b128 s[56:59], s[24:25], 0x24
	s_load_b256 s[48:55], s[26:27], 0x0
	s_add_co_i32 s23, s23, 4
	s_wait_xcnt 0x0
	s_add_nc_u64 s[24:25], s[24:25], 48
	s_cmp_eq_u32 s22, s23
	s_add_nc_u64 s[26:27], s[26:27], 32
	s_wait_kmcnt 0x0
	v_mul_hi_u32 v4, s41, v1
	s_delay_alu instid0(VALU_DEP_1) | instskip(NEXT) | instid1(VALU_DEP_1)
	v_add_nc_u32_e32 v4, v1, v4
	v_lshrrev_b32_e32 v4, s42, v4
	s_delay_alu instid0(VALU_DEP_1) | instskip(NEXT) | instid1(VALU_DEP_1)
	v_mul_hi_u32 v5, s44, v4
	v_add_nc_u32_e32 v5, v4, v5
	s_delay_alu instid0(VALU_DEP_1) | instskip(NEXT) | instid1(VALU_DEP_1)
	v_lshrrev_b32_e32 v5, s45, v5
	v_mul_hi_u32 v6, s47, v5
	s_delay_alu instid0(VALU_DEP_1) | instskip(SKIP_1) | instid1(VALU_DEP_1)
	v_add_nc_u32_e32 v6, v5, v6
	v_mul_lo_u32 v7, v4, s40
	v_sub_nc_u32_e32 v1, v1, v7
	v_mul_lo_u32 v7, v5, s43
	s_delay_alu instid0(VALU_DEP_4) | instskip(NEXT) | instid1(VALU_DEP_3)
	v_lshrrev_b32_e32 v6, s56, v6
	v_mad_u32 v3, v1, s49, v3
	v_mad_u32 v1, v1, s48, v2
	s_delay_alu instid0(VALU_DEP_4) | instskip(NEXT) | instid1(VALU_DEP_4)
	v_sub_nc_u32_e32 v2, v4, v7
	v_mul_hi_u32 v8, s58, v6
	v_mul_lo_u32 v4, v6, s46
	s_delay_alu instid0(VALU_DEP_3) | instskip(SKIP_1) | instid1(VALU_DEP_4)
	v_mad_u32 v3, v2, s51, v3
	v_mad_u32 v2, v2, s50, v1
	v_add_nc_u32_e32 v7, v6, v8
	s_delay_alu instid0(VALU_DEP_1) | instskip(NEXT) | instid1(VALU_DEP_1)
	v_dual_sub_nc_u32 v4, v5, v4 :: v_dual_lshrrev_b32 v1, s59, v7
	v_mad_u32 v3, v4, s53, v3
	s_delay_alu instid0(VALU_DEP_4) | instskip(NEXT) | instid1(VALU_DEP_3)
	v_mad_u32 v2, v4, s52, v2
	v_mul_lo_u32 v5, v1, s57
	s_delay_alu instid0(VALU_DEP_1) | instskip(NEXT) | instid1(VALU_DEP_1)
	v_sub_nc_u32_e32 v4, v6, v5
	v_mad_u32 v3, v4, s55, v3
	s_delay_alu instid0(VALU_DEP_4)
	v_mad_u32 v2, v4, s54, v2
	s_cbranch_scc0 .LBB69_144
	s_branch .LBB69_164
.LBB69_145:
                                        ; implicit-def: $vgpr3
	s_branch .LBB69_168
.LBB69_146:
	v_dual_mov_b32 v3, 0 :: v_dual_mov_b32 v2, 0
	s_branch .LBB69_167
.LBB69_147:
	v_mov_b64_e32 v[2:3], 0
	v_mov_b32_e32 v1, v0
	s_mov_b32 s22, 0
.LBB69_148:
	s_and_b32 s14, s14, 3
	s_mov_b32 s23, 0
	s_cmp_eq_u32 s14, 0
	s_cbranch_scc1 .LBB69_151
; %bb.149:
	s_lshl_b32 s24, s22, 3
	s_mov_b32 s25, s23
	s_mul_u64 s[26:27], s[22:23], 12
	s_add_nc_u64 s[24:25], s[12:13], s[24:25]
	s_delay_alu instid0(SALU_CYCLE_1)
	s_add_nc_u64 s[22:23], s[24:25], 0xc4
	s_add_nc_u64 s[24:25], s[12:13], s[26:27]
.LBB69_150:                             ; =>This Inner Loop Header: Depth=1
	s_load_b96 s[40:42], s[24:25], 0x4
	s_load_b64 s[26:27], s[22:23], 0x0
	s_add_co_i32 s14, s14, -1
	s_wait_xcnt 0x0
	s_add_nc_u64 s[24:25], s[24:25], 12
	s_cmp_lg_u32 s14, 0
	s_add_nc_u64 s[22:23], s[22:23], 8
	s_wait_kmcnt 0x0
	v_mul_hi_u32 v4, s41, v1
	s_delay_alu instid0(VALU_DEP_1) | instskip(NEXT) | instid1(VALU_DEP_1)
	v_add_nc_u32_e32 v4, v1, v4
	v_lshrrev_b32_e32 v4, s42, v4
	s_delay_alu instid0(VALU_DEP_1) | instskip(NEXT) | instid1(VALU_DEP_1)
	v_mul_lo_u32 v5, v4, s40
	v_sub_nc_u32_e32 v1, v1, v5
	s_delay_alu instid0(VALU_DEP_1)
	v_mad_u32 v3, v1, s27, v3
	v_mad_u32 v2, v1, s26, v2
	v_mov_b32_e32 v1, v4
	s_cbranch_scc1 .LBB69_150
.LBB69_151:
	s_cbranch_execnz .LBB69_154
.LBB69_152:
	v_mov_b32_e32 v1, 0
	s_and_not1_b32 vcc_lo, exec_lo, s33
	s_delay_alu instid0(VALU_DEP_1) | instskip(NEXT) | instid1(VALU_DEP_1)
	v_mul_u64_e32 v[2:3], s[16:17], v[0:1]
	v_add_nc_u32_e32 v2, v0, v3
	s_delay_alu instid0(VALU_DEP_1) | instskip(NEXT) | instid1(VALU_DEP_1)
	v_lshrrev_b32_e32 v4, s6, v2
	v_mul_lo_u32 v2, v4, s4
	s_delay_alu instid0(VALU_DEP_1) | instskip(NEXT) | instid1(VALU_DEP_1)
	v_sub_nc_u32_e32 v2, v0, v2
	v_mul_lo_u32 v3, v2, s9
	v_mul_lo_u32 v2, v2, s8
	s_cbranch_vccnz .LBB69_154
; %bb.153:
	v_mov_b32_e32 v5, v1
	s_delay_alu instid0(VALU_DEP_1) | instskip(NEXT) | instid1(VALU_DEP_1)
	v_mul_u64_e32 v[6:7], s[18:19], v[4:5]
	v_add_nc_u32_e32 v1, v4, v7
	s_delay_alu instid0(VALU_DEP_1) | instskip(NEXT) | instid1(VALU_DEP_1)
	v_lshrrev_b32_e32 v1, s15, v1
	v_mul_lo_u32 v1, v1, s7
	s_delay_alu instid0(VALU_DEP_1) | instskip(NEXT) | instid1(VALU_DEP_1)
	v_sub_nc_u32_e32 v1, v4, v1
	v_mad_u32 v2, v1, s10, v2
	v_mad_u32 v3, v1, s11, v3
.LBB69_154:
	global_load_b64 v[4:5], v3, s[2:3]
	v_add_nc_u32_e32 v0, 0x80, v0
	s_wait_loadcnt 0x0
	v_cmp_eq_f64_e32 vcc_lo, 0xfff00000, v[4:5]
	v_cndmask_b32_e64 v1, 0, 1, vcc_lo
	global_store_b8 v2, v1, s[0:1]
	s_wait_xcnt 0x0
	s_or_b32 exec_lo, exec_lo, s5
	s_delay_alu instid0(SALU_CYCLE_1)
	s_mov_b32 s5, exec_lo
	v_cmpx_gt_i32_e64 s34, v0
	s_cbranch_execnz .LBB69_140
.LBB69_155:
	s_or_b32 exec_lo, exec_lo, s5
	s_delay_alu instid0(SALU_CYCLE_1)
	s_mov_b32 s5, exec_lo
	v_cmpx_gt_i32_e64 s34, v0
	s_cbranch_execz .LBB69_171
.LBB69_156:
	s_and_not1_b32 vcc_lo, exec_lo, s30
	s_cbranch_vccnz .LBB69_161
; %bb.157:
	s_and_not1_b32 vcc_lo, exec_lo, s36
	s_cbranch_vccnz .LBB69_162
; %bb.158:
	s_add_co_i32 s14, s35, 1
	s_cmp_eq_u32 s29, 2
	s_cbranch_scc1 .LBB69_179
; %bb.159:
	v_dual_mov_b32 v2, 0 :: v_dual_mov_b32 v3, 0
	v_mov_b32_e32 v1, v0
	s_and_b32 s22, s14, 28
	s_mov_b32 s23, 0
	s_mov_b64 s[24:25], s[12:13]
	s_mov_b64 s[26:27], s[20:21]
.LBB69_160:                             ; =>This Inner Loop Header: Depth=1
	s_clause 0x1
	s_load_b256 s[40:47], s[24:25], 0x4
	s_load_b128 s[56:59], s[24:25], 0x24
	s_load_b256 s[48:55], s[26:27], 0x0
	s_add_co_i32 s23, s23, 4
	s_wait_xcnt 0x0
	s_add_nc_u64 s[24:25], s[24:25], 48
	s_cmp_eq_u32 s22, s23
	s_add_nc_u64 s[26:27], s[26:27], 32
	s_wait_kmcnt 0x0
	v_mul_hi_u32 v4, s41, v1
	s_delay_alu instid0(VALU_DEP_1) | instskip(NEXT) | instid1(VALU_DEP_1)
	v_add_nc_u32_e32 v4, v1, v4
	v_lshrrev_b32_e32 v4, s42, v4
	s_delay_alu instid0(VALU_DEP_1) | instskip(NEXT) | instid1(VALU_DEP_1)
	v_mul_hi_u32 v5, s44, v4
	v_add_nc_u32_e32 v5, v4, v5
	s_delay_alu instid0(VALU_DEP_1) | instskip(NEXT) | instid1(VALU_DEP_1)
	v_lshrrev_b32_e32 v5, s45, v5
	v_mul_hi_u32 v6, s47, v5
	s_delay_alu instid0(VALU_DEP_1) | instskip(SKIP_1) | instid1(VALU_DEP_1)
	v_add_nc_u32_e32 v6, v5, v6
	v_mul_lo_u32 v7, v4, s40
	v_sub_nc_u32_e32 v1, v1, v7
	v_mul_lo_u32 v7, v5, s43
	s_delay_alu instid0(VALU_DEP_4) | instskip(NEXT) | instid1(VALU_DEP_3)
	v_lshrrev_b32_e32 v6, s56, v6
	v_mad_u32 v3, v1, s49, v3
	v_mad_u32 v1, v1, s48, v2
	s_delay_alu instid0(VALU_DEP_4) | instskip(NEXT) | instid1(VALU_DEP_4)
	v_sub_nc_u32_e32 v2, v4, v7
	v_mul_hi_u32 v8, s58, v6
	v_mul_lo_u32 v4, v6, s46
	s_delay_alu instid0(VALU_DEP_3) | instskip(SKIP_1) | instid1(VALU_DEP_4)
	v_mad_u32 v3, v2, s51, v3
	v_mad_u32 v2, v2, s50, v1
	v_add_nc_u32_e32 v7, v6, v8
	s_delay_alu instid0(VALU_DEP_1) | instskip(NEXT) | instid1(VALU_DEP_1)
	v_dual_sub_nc_u32 v4, v5, v4 :: v_dual_lshrrev_b32 v1, s59, v7
	v_mad_u32 v3, v4, s53, v3
	s_delay_alu instid0(VALU_DEP_4) | instskip(NEXT) | instid1(VALU_DEP_3)
	v_mad_u32 v2, v4, s52, v2
	v_mul_lo_u32 v5, v1, s57
	s_delay_alu instid0(VALU_DEP_1) | instskip(NEXT) | instid1(VALU_DEP_1)
	v_sub_nc_u32_e32 v4, v6, v5
	v_mad_u32 v3, v4, s55, v3
	s_delay_alu instid0(VALU_DEP_4)
	v_mad_u32 v2, v4, s54, v2
	s_cbranch_scc0 .LBB69_160
	s_branch .LBB69_180
.LBB69_161:
                                        ; implicit-def: $vgpr3
	s_branch .LBB69_184
.LBB69_162:
	v_dual_mov_b32 v3, 0 :: v_dual_mov_b32 v2, 0
	s_branch .LBB69_183
.LBB69_163:
	v_mov_b64_e32 v[2:3], 0
	v_mov_b32_e32 v1, v0
	s_mov_b32 s22, 0
.LBB69_164:
	s_and_b32 s14, s14, 3
	s_mov_b32 s23, 0
	s_cmp_eq_u32 s14, 0
	s_cbranch_scc1 .LBB69_167
; %bb.165:
	s_lshl_b32 s24, s22, 3
	s_mov_b32 s25, s23
	s_mul_u64 s[26:27], s[22:23], 12
	s_add_nc_u64 s[24:25], s[12:13], s[24:25]
	s_delay_alu instid0(SALU_CYCLE_1)
	s_add_nc_u64 s[22:23], s[24:25], 0xc4
	s_add_nc_u64 s[24:25], s[12:13], s[26:27]
.LBB69_166:                             ; =>This Inner Loop Header: Depth=1
	s_load_b96 s[40:42], s[24:25], 0x4
	s_load_b64 s[26:27], s[22:23], 0x0
	s_add_co_i32 s14, s14, -1
	s_wait_xcnt 0x0
	s_add_nc_u64 s[24:25], s[24:25], 12
	s_cmp_lg_u32 s14, 0
	s_add_nc_u64 s[22:23], s[22:23], 8
	s_wait_kmcnt 0x0
	v_mul_hi_u32 v4, s41, v1
	s_delay_alu instid0(VALU_DEP_1) | instskip(NEXT) | instid1(VALU_DEP_1)
	v_add_nc_u32_e32 v4, v1, v4
	v_lshrrev_b32_e32 v4, s42, v4
	s_delay_alu instid0(VALU_DEP_1) | instskip(NEXT) | instid1(VALU_DEP_1)
	v_mul_lo_u32 v5, v4, s40
	v_sub_nc_u32_e32 v1, v1, v5
	s_delay_alu instid0(VALU_DEP_1)
	v_mad_u32 v3, v1, s27, v3
	v_mad_u32 v2, v1, s26, v2
	v_mov_b32_e32 v1, v4
	s_cbranch_scc1 .LBB69_166
.LBB69_167:
	s_cbranch_execnz .LBB69_170
.LBB69_168:
	v_mov_b32_e32 v1, 0
	s_and_not1_b32 vcc_lo, exec_lo, s33
	s_delay_alu instid0(VALU_DEP_1) | instskip(NEXT) | instid1(VALU_DEP_1)
	v_mul_u64_e32 v[2:3], s[16:17], v[0:1]
	v_add_nc_u32_e32 v2, v0, v3
	s_delay_alu instid0(VALU_DEP_1) | instskip(NEXT) | instid1(VALU_DEP_1)
	v_lshrrev_b32_e32 v4, s6, v2
	v_mul_lo_u32 v2, v4, s4
	s_delay_alu instid0(VALU_DEP_1) | instskip(NEXT) | instid1(VALU_DEP_1)
	v_sub_nc_u32_e32 v2, v0, v2
	v_mul_lo_u32 v3, v2, s9
	v_mul_lo_u32 v2, v2, s8
	s_cbranch_vccnz .LBB69_170
; %bb.169:
	v_mov_b32_e32 v5, v1
	s_delay_alu instid0(VALU_DEP_1) | instskip(NEXT) | instid1(VALU_DEP_1)
	v_mul_u64_e32 v[6:7], s[18:19], v[4:5]
	v_add_nc_u32_e32 v1, v4, v7
	s_delay_alu instid0(VALU_DEP_1) | instskip(NEXT) | instid1(VALU_DEP_1)
	v_lshrrev_b32_e32 v1, s15, v1
	v_mul_lo_u32 v1, v1, s7
	s_delay_alu instid0(VALU_DEP_1) | instskip(NEXT) | instid1(VALU_DEP_1)
	v_sub_nc_u32_e32 v1, v4, v1
	v_mad_u32 v2, v1, s10, v2
	v_mad_u32 v3, v1, s11, v3
.LBB69_170:
	global_load_b64 v[4:5], v3, s[2:3]
	v_add_nc_u32_e32 v0, 0x80, v0
	s_wait_loadcnt 0x0
	v_cmp_eq_f64_e32 vcc_lo, 0xfff00000, v[4:5]
	v_cndmask_b32_e64 v1, 0, 1, vcc_lo
	global_store_b8 v2, v1, s[0:1]
	s_wait_xcnt 0x0
	s_or_b32 exec_lo, exec_lo, s5
	s_delay_alu instid0(SALU_CYCLE_1)
	s_mov_b32 s5, exec_lo
	v_cmpx_gt_i32_e64 s34, v0
	s_cbranch_execnz .LBB69_156
.LBB69_171:
	s_or_b32 exec_lo, exec_lo, s5
	s_delay_alu instid0(SALU_CYCLE_1)
	s_mov_b32 s5, exec_lo
	v_cmpx_gt_i32_e64 s34, v0
	s_cbranch_execz .LBB69_187
.LBB69_172:
	s_and_not1_b32 vcc_lo, exec_lo, s30
	s_cbranch_vccnz .LBB69_177
; %bb.173:
	s_and_not1_b32 vcc_lo, exec_lo, s36
	s_cbranch_vccnz .LBB69_178
; %bb.174:
	s_add_co_i32 s14, s35, 1
	s_cmp_eq_u32 s29, 2
	s_cbranch_scc1 .LBB69_195
; %bb.175:
	v_dual_mov_b32 v2, 0 :: v_dual_mov_b32 v3, 0
	v_mov_b32_e32 v1, v0
	s_and_b32 s22, s14, 28
	s_mov_b32 s23, 0
	s_mov_b64 s[24:25], s[12:13]
	s_mov_b64 s[26:27], s[20:21]
.LBB69_176:                             ; =>This Inner Loop Header: Depth=1
	s_clause 0x1
	s_load_b256 s[40:47], s[24:25], 0x4
	s_load_b128 s[56:59], s[24:25], 0x24
	s_load_b256 s[48:55], s[26:27], 0x0
	s_add_co_i32 s23, s23, 4
	s_wait_xcnt 0x0
	s_add_nc_u64 s[24:25], s[24:25], 48
	s_cmp_eq_u32 s22, s23
	s_add_nc_u64 s[26:27], s[26:27], 32
	s_wait_kmcnt 0x0
	v_mul_hi_u32 v4, s41, v1
	s_delay_alu instid0(VALU_DEP_1) | instskip(NEXT) | instid1(VALU_DEP_1)
	v_add_nc_u32_e32 v4, v1, v4
	v_lshrrev_b32_e32 v4, s42, v4
	s_delay_alu instid0(VALU_DEP_1) | instskip(NEXT) | instid1(VALU_DEP_1)
	v_mul_hi_u32 v5, s44, v4
	v_add_nc_u32_e32 v5, v4, v5
	s_delay_alu instid0(VALU_DEP_1) | instskip(NEXT) | instid1(VALU_DEP_1)
	v_lshrrev_b32_e32 v5, s45, v5
	v_mul_hi_u32 v6, s47, v5
	s_delay_alu instid0(VALU_DEP_1) | instskip(SKIP_1) | instid1(VALU_DEP_1)
	v_add_nc_u32_e32 v6, v5, v6
	v_mul_lo_u32 v7, v4, s40
	v_sub_nc_u32_e32 v1, v1, v7
	v_mul_lo_u32 v7, v5, s43
	s_delay_alu instid0(VALU_DEP_4) | instskip(NEXT) | instid1(VALU_DEP_3)
	v_lshrrev_b32_e32 v6, s56, v6
	v_mad_u32 v3, v1, s49, v3
	v_mad_u32 v1, v1, s48, v2
	s_delay_alu instid0(VALU_DEP_4) | instskip(NEXT) | instid1(VALU_DEP_4)
	v_sub_nc_u32_e32 v2, v4, v7
	v_mul_hi_u32 v8, s58, v6
	v_mul_lo_u32 v4, v6, s46
	s_delay_alu instid0(VALU_DEP_3) | instskip(SKIP_1) | instid1(VALU_DEP_4)
	v_mad_u32 v3, v2, s51, v3
	v_mad_u32 v2, v2, s50, v1
	v_add_nc_u32_e32 v7, v6, v8
	s_delay_alu instid0(VALU_DEP_1) | instskip(NEXT) | instid1(VALU_DEP_1)
	v_dual_sub_nc_u32 v4, v5, v4 :: v_dual_lshrrev_b32 v1, s59, v7
	v_mad_u32 v3, v4, s53, v3
	s_delay_alu instid0(VALU_DEP_4) | instskip(NEXT) | instid1(VALU_DEP_3)
	v_mad_u32 v2, v4, s52, v2
	v_mul_lo_u32 v5, v1, s57
	s_delay_alu instid0(VALU_DEP_1) | instskip(NEXT) | instid1(VALU_DEP_1)
	v_sub_nc_u32_e32 v4, v6, v5
	v_mad_u32 v3, v4, s55, v3
	s_delay_alu instid0(VALU_DEP_4)
	v_mad_u32 v2, v4, s54, v2
	s_cbranch_scc0 .LBB69_176
	s_branch .LBB69_196
.LBB69_177:
                                        ; implicit-def: $vgpr3
	s_branch .LBB69_200
.LBB69_178:
	v_dual_mov_b32 v3, 0 :: v_dual_mov_b32 v2, 0
	s_branch .LBB69_199
.LBB69_179:
	v_mov_b64_e32 v[2:3], 0
	v_mov_b32_e32 v1, v0
	s_mov_b32 s22, 0
.LBB69_180:
	s_and_b32 s14, s14, 3
	s_mov_b32 s23, 0
	s_cmp_eq_u32 s14, 0
	s_cbranch_scc1 .LBB69_183
; %bb.181:
	s_lshl_b32 s24, s22, 3
	s_mov_b32 s25, s23
	s_mul_u64 s[26:27], s[22:23], 12
	s_add_nc_u64 s[24:25], s[12:13], s[24:25]
	s_delay_alu instid0(SALU_CYCLE_1)
	s_add_nc_u64 s[22:23], s[24:25], 0xc4
	s_add_nc_u64 s[24:25], s[12:13], s[26:27]
.LBB69_182:                             ; =>This Inner Loop Header: Depth=1
	s_load_b96 s[40:42], s[24:25], 0x4
	s_load_b64 s[26:27], s[22:23], 0x0
	s_add_co_i32 s14, s14, -1
	s_wait_xcnt 0x0
	s_add_nc_u64 s[24:25], s[24:25], 12
	s_cmp_lg_u32 s14, 0
	s_add_nc_u64 s[22:23], s[22:23], 8
	s_wait_kmcnt 0x0
	v_mul_hi_u32 v4, s41, v1
	s_delay_alu instid0(VALU_DEP_1) | instskip(NEXT) | instid1(VALU_DEP_1)
	v_add_nc_u32_e32 v4, v1, v4
	v_lshrrev_b32_e32 v4, s42, v4
	s_delay_alu instid0(VALU_DEP_1) | instskip(NEXT) | instid1(VALU_DEP_1)
	v_mul_lo_u32 v5, v4, s40
	v_sub_nc_u32_e32 v1, v1, v5
	s_delay_alu instid0(VALU_DEP_1)
	v_mad_u32 v3, v1, s27, v3
	v_mad_u32 v2, v1, s26, v2
	v_mov_b32_e32 v1, v4
	s_cbranch_scc1 .LBB69_182
.LBB69_183:
	s_cbranch_execnz .LBB69_186
.LBB69_184:
	v_mov_b32_e32 v1, 0
	s_and_not1_b32 vcc_lo, exec_lo, s33
	s_delay_alu instid0(VALU_DEP_1) | instskip(NEXT) | instid1(VALU_DEP_1)
	v_mul_u64_e32 v[2:3], s[16:17], v[0:1]
	v_add_nc_u32_e32 v2, v0, v3
	s_delay_alu instid0(VALU_DEP_1) | instskip(NEXT) | instid1(VALU_DEP_1)
	v_lshrrev_b32_e32 v4, s6, v2
	v_mul_lo_u32 v2, v4, s4
	s_delay_alu instid0(VALU_DEP_1) | instskip(NEXT) | instid1(VALU_DEP_1)
	v_sub_nc_u32_e32 v2, v0, v2
	v_mul_lo_u32 v3, v2, s9
	v_mul_lo_u32 v2, v2, s8
	s_cbranch_vccnz .LBB69_186
; %bb.185:
	v_mov_b32_e32 v5, v1
	s_delay_alu instid0(VALU_DEP_1) | instskip(NEXT) | instid1(VALU_DEP_1)
	v_mul_u64_e32 v[6:7], s[18:19], v[4:5]
	v_add_nc_u32_e32 v1, v4, v7
	s_delay_alu instid0(VALU_DEP_1) | instskip(NEXT) | instid1(VALU_DEP_1)
	v_lshrrev_b32_e32 v1, s15, v1
	v_mul_lo_u32 v1, v1, s7
	s_delay_alu instid0(VALU_DEP_1) | instskip(NEXT) | instid1(VALU_DEP_1)
	v_sub_nc_u32_e32 v1, v4, v1
	v_mad_u32 v2, v1, s10, v2
	v_mad_u32 v3, v1, s11, v3
.LBB69_186:
	global_load_b64 v[4:5], v3, s[2:3]
	v_add_nc_u32_e32 v0, 0x80, v0
	s_wait_loadcnt 0x0
	v_cmp_eq_f64_e32 vcc_lo, 0xfff00000, v[4:5]
	v_cndmask_b32_e64 v1, 0, 1, vcc_lo
	global_store_b8 v2, v1, s[0:1]
	s_wait_xcnt 0x0
	s_or_b32 exec_lo, exec_lo, s5
	s_delay_alu instid0(SALU_CYCLE_1)
	s_mov_b32 s5, exec_lo
	v_cmpx_gt_i32_e64 s34, v0
	s_cbranch_execnz .LBB69_172
.LBB69_187:
	s_or_b32 exec_lo, exec_lo, s5
	s_delay_alu instid0(SALU_CYCLE_1)
	s_mov_b32 s5, exec_lo
	v_cmpx_gt_i32_e64 s34, v0
	s_cbranch_execz .LBB69_203
.LBB69_188:
	s_and_not1_b32 vcc_lo, exec_lo, s30
	s_cbranch_vccnz .LBB69_193
; %bb.189:
	s_and_not1_b32 vcc_lo, exec_lo, s36
	s_cbranch_vccnz .LBB69_194
; %bb.190:
	s_add_co_i32 s14, s35, 1
	s_cmp_eq_u32 s29, 2
	s_cbranch_scc1 .LBB69_211
; %bb.191:
	v_dual_mov_b32 v2, 0 :: v_dual_mov_b32 v3, 0
	v_mov_b32_e32 v1, v0
	s_and_b32 s22, s14, 28
	s_mov_b32 s23, 0
	s_mov_b64 s[24:25], s[12:13]
	s_mov_b64 s[26:27], s[20:21]
.LBB69_192:                             ; =>This Inner Loop Header: Depth=1
	s_clause 0x1
	s_load_b256 s[40:47], s[24:25], 0x4
	s_load_b128 s[56:59], s[24:25], 0x24
	s_load_b256 s[48:55], s[26:27], 0x0
	s_add_co_i32 s23, s23, 4
	s_wait_xcnt 0x0
	s_add_nc_u64 s[24:25], s[24:25], 48
	s_cmp_eq_u32 s22, s23
	s_add_nc_u64 s[26:27], s[26:27], 32
	s_wait_kmcnt 0x0
	v_mul_hi_u32 v4, s41, v1
	s_delay_alu instid0(VALU_DEP_1) | instskip(NEXT) | instid1(VALU_DEP_1)
	v_add_nc_u32_e32 v4, v1, v4
	v_lshrrev_b32_e32 v4, s42, v4
	s_delay_alu instid0(VALU_DEP_1) | instskip(NEXT) | instid1(VALU_DEP_1)
	v_mul_hi_u32 v5, s44, v4
	v_add_nc_u32_e32 v5, v4, v5
	s_delay_alu instid0(VALU_DEP_1) | instskip(NEXT) | instid1(VALU_DEP_1)
	v_lshrrev_b32_e32 v5, s45, v5
	v_mul_hi_u32 v6, s47, v5
	s_delay_alu instid0(VALU_DEP_1) | instskip(SKIP_1) | instid1(VALU_DEP_1)
	v_add_nc_u32_e32 v6, v5, v6
	v_mul_lo_u32 v7, v4, s40
	v_sub_nc_u32_e32 v1, v1, v7
	v_mul_lo_u32 v7, v5, s43
	s_delay_alu instid0(VALU_DEP_4) | instskip(NEXT) | instid1(VALU_DEP_3)
	v_lshrrev_b32_e32 v6, s56, v6
	v_mad_u32 v3, v1, s49, v3
	v_mad_u32 v1, v1, s48, v2
	s_delay_alu instid0(VALU_DEP_4) | instskip(NEXT) | instid1(VALU_DEP_4)
	v_sub_nc_u32_e32 v2, v4, v7
	v_mul_hi_u32 v8, s58, v6
	v_mul_lo_u32 v4, v6, s46
	s_delay_alu instid0(VALU_DEP_3) | instskip(SKIP_1) | instid1(VALU_DEP_4)
	v_mad_u32 v3, v2, s51, v3
	v_mad_u32 v2, v2, s50, v1
	v_add_nc_u32_e32 v7, v6, v8
	s_delay_alu instid0(VALU_DEP_1) | instskip(NEXT) | instid1(VALU_DEP_1)
	v_dual_sub_nc_u32 v4, v5, v4 :: v_dual_lshrrev_b32 v1, s59, v7
	v_mad_u32 v3, v4, s53, v3
	s_delay_alu instid0(VALU_DEP_4) | instskip(NEXT) | instid1(VALU_DEP_3)
	v_mad_u32 v2, v4, s52, v2
	v_mul_lo_u32 v5, v1, s57
	s_delay_alu instid0(VALU_DEP_1) | instskip(NEXT) | instid1(VALU_DEP_1)
	v_sub_nc_u32_e32 v4, v6, v5
	v_mad_u32 v3, v4, s55, v3
	s_delay_alu instid0(VALU_DEP_4)
	v_mad_u32 v2, v4, s54, v2
	s_cbranch_scc0 .LBB69_192
	s_branch .LBB69_212
.LBB69_193:
                                        ; implicit-def: $vgpr3
	s_branch .LBB69_216
.LBB69_194:
	v_dual_mov_b32 v3, 0 :: v_dual_mov_b32 v2, 0
	s_branch .LBB69_215
.LBB69_195:
	v_mov_b64_e32 v[2:3], 0
	v_mov_b32_e32 v1, v0
	s_mov_b32 s22, 0
.LBB69_196:
	s_and_b32 s14, s14, 3
	s_mov_b32 s23, 0
	s_cmp_eq_u32 s14, 0
	s_cbranch_scc1 .LBB69_199
; %bb.197:
	s_lshl_b32 s24, s22, 3
	s_mov_b32 s25, s23
	s_mul_u64 s[26:27], s[22:23], 12
	s_add_nc_u64 s[24:25], s[12:13], s[24:25]
	s_delay_alu instid0(SALU_CYCLE_1)
	s_add_nc_u64 s[22:23], s[24:25], 0xc4
	s_add_nc_u64 s[24:25], s[12:13], s[26:27]
.LBB69_198:                             ; =>This Inner Loop Header: Depth=1
	s_load_b96 s[40:42], s[24:25], 0x4
	s_load_b64 s[26:27], s[22:23], 0x0
	s_add_co_i32 s14, s14, -1
	s_wait_xcnt 0x0
	s_add_nc_u64 s[24:25], s[24:25], 12
	s_cmp_lg_u32 s14, 0
	s_add_nc_u64 s[22:23], s[22:23], 8
	s_wait_kmcnt 0x0
	v_mul_hi_u32 v4, s41, v1
	s_delay_alu instid0(VALU_DEP_1) | instskip(NEXT) | instid1(VALU_DEP_1)
	v_add_nc_u32_e32 v4, v1, v4
	v_lshrrev_b32_e32 v4, s42, v4
	s_delay_alu instid0(VALU_DEP_1) | instskip(NEXT) | instid1(VALU_DEP_1)
	v_mul_lo_u32 v5, v4, s40
	v_sub_nc_u32_e32 v1, v1, v5
	s_delay_alu instid0(VALU_DEP_1)
	v_mad_u32 v3, v1, s27, v3
	v_mad_u32 v2, v1, s26, v2
	v_mov_b32_e32 v1, v4
	s_cbranch_scc1 .LBB69_198
.LBB69_199:
	s_cbranch_execnz .LBB69_202
.LBB69_200:
	v_mov_b32_e32 v1, 0
	s_and_not1_b32 vcc_lo, exec_lo, s33
	s_delay_alu instid0(VALU_DEP_1) | instskip(NEXT) | instid1(VALU_DEP_1)
	v_mul_u64_e32 v[2:3], s[16:17], v[0:1]
	v_add_nc_u32_e32 v2, v0, v3
	s_delay_alu instid0(VALU_DEP_1) | instskip(NEXT) | instid1(VALU_DEP_1)
	v_lshrrev_b32_e32 v4, s6, v2
	v_mul_lo_u32 v2, v4, s4
	s_delay_alu instid0(VALU_DEP_1) | instskip(NEXT) | instid1(VALU_DEP_1)
	v_sub_nc_u32_e32 v2, v0, v2
	v_mul_lo_u32 v3, v2, s9
	v_mul_lo_u32 v2, v2, s8
	s_cbranch_vccnz .LBB69_202
; %bb.201:
	v_mov_b32_e32 v5, v1
	s_delay_alu instid0(VALU_DEP_1) | instskip(NEXT) | instid1(VALU_DEP_1)
	v_mul_u64_e32 v[6:7], s[18:19], v[4:5]
	v_add_nc_u32_e32 v1, v4, v7
	s_delay_alu instid0(VALU_DEP_1) | instskip(NEXT) | instid1(VALU_DEP_1)
	v_lshrrev_b32_e32 v1, s15, v1
	v_mul_lo_u32 v1, v1, s7
	s_delay_alu instid0(VALU_DEP_1) | instskip(NEXT) | instid1(VALU_DEP_1)
	v_sub_nc_u32_e32 v1, v4, v1
	v_mad_u32 v2, v1, s10, v2
	v_mad_u32 v3, v1, s11, v3
.LBB69_202:
	global_load_b64 v[4:5], v3, s[2:3]
	v_add_nc_u32_e32 v0, 0x80, v0
	s_wait_loadcnt 0x0
	v_cmp_eq_f64_e32 vcc_lo, 0xfff00000, v[4:5]
	v_cndmask_b32_e64 v1, 0, 1, vcc_lo
	global_store_b8 v2, v1, s[0:1]
	s_wait_xcnt 0x0
	s_or_b32 exec_lo, exec_lo, s5
	s_delay_alu instid0(SALU_CYCLE_1)
	s_mov_b32 s5, exec_lo
	v_cmpx_gt_i32_e64 s34, v0
	s_cbranch_execnz .LBB69_188
.LBB69_203:
	s_or_b32 exec_lo, exec_lo, s5
	s_delay_alu instid0(SALU_CYCLE_1)
	s_mov_b32 s5, exec_lo
	v_cmpx_gt_i32_e64 s34, v0
	s_cbranch_execz .LBB69_219
.LBB69_204:
	s_and_not1_b32 vcc_lo, exec_lo, s30
	s_cbranch_vccnz .LBB69_209
; %bb.205:
	s_and_not1_b32 vcc_lo, exec_lo, s36
	s_cbranch_vccnz .LBB69_210
; %bb.206:
	s_add_co_i32 s14, s35, 1
	s_cmp_eq_u32 s29, 2
	s_cbranch_scc1 .LBB69_222
; %bb.207:
	v_dual_mov_b32 v2, 0 :: v_dual_mov_b32 v3, 0
	v_mov_b32_e32 v1, v0
	s_and_b32 s22, s14, 28
	s_mov_b32 s23, 0
	s_mov_b64 s[24:25], s[12:13]
	s_mov_b64 s[26:27], s[20:21]
.LBB69_208:                             ; =>This Inner Loop Header: Depth=1
	s_clause 0x1
	s_load_b256 s[40:47], s[24:25], 0x4
	s_load_b128 s[56:59], s[24:25], 0x24
	s_load_b256 s[48:55], s[26:27], 0x0
	s_add_co_i32 s23, s23, 4
	s_wait_xcnt 0x0
	s_add_nc_u64 s[24:25], s[24:25], 48
	s_cmp_eq_u32 s22, s23
	s_add_nc_u64 s[26:27], s[26:27], 32
	s_wait_kmcnt 0x0
	v_mul_hi_u32 v4, s41, v1
	s_delay_alu instid0(VALU_DEP_1) | instskip(NEXT) | instid1(VALU_DEP_1)
	v_add_nc_u32_e32 v4, v1, v4
	v_lshrrev_b32_e32 v4, s42, v4
	s_delay_alu instid0(VALU_DEP_1) | instskip(NEXT) | instid1(VALU_DEP_1)
	v_mul_hi_u32 v5, s44, v4
	v_add_nc_u32_e32 v5, v4, v5
	s_delay_alu instid0(VALU_DEP_1) | instskip(NEXT) | instid1(VALU_DEP_1)
	v_lshrrev_b32_e32 v5, s45, v5
	v_mul_hi_u32 v6, s47, v5
	s_delay_alu instid0(VALU_DEP_1) | instskip(SKIP_1) | instid1(VALU_DEP_1)
	v_add_nc_u32_e32 v6, v5, v6
	v_mul_lo_u32 v7, v4, s40
	v_sub_nc_u32_e32 v1, v1, v7
	v_mul_lo_u32 v7, v5, s43
	s_delay_alu instid0(VALU_DEP_4) | instskip(NEXT) | instid1(VALU_DEP_3)
	v_lshrrev_b32_e32 v6, s56, v6
	v_mad_u32 v3, v1, s49, v3
	v_mad_u32 v1, v1, s48, v2
	s_delay_alu instid0(VALU_DEP_4) | instskip(NEXT) | instid1(VALU_DEP_4)
	v_sub_nc_u32_e32 v2, v4, v7
	v_mul_hi_u32 v8, s58, v6
	v_mul_lo_u32 v4, v6, s46
	s_delay_alu instid0(VALU_DEP_3) | instskip(SKIP_1) | instid1(VALU_DEP_4)
	v_mad_u32 v3, v2, s51, v3
	v_mad_u32 v2, v2, s50, v1
	v_add_nc_u32_e32 v7, v6, v8
	s_delay_alu instid0(VALU_DEP_1) | instskip(NEXT) | instid1(VALU_DEP_1)
	v_dual_sub_nc_u32 v4, v5, v4 :: v_dual_lshrrev_b32 v1, s59, v7
	v_mad_u32 v3, v4, s53, v3
	s_delay_alu instid0(VALU_DEP_4) | instskip(NEXT) | instid1(VALU_DEP_3)
	v_mad_u32 v2, v4, s52, v2
	v_mul_lo_u32 v5, v1, s57
	s_delay_alu instid0(VALU_DEP_1) | instskip(NEXT) | instid1(VALU_DEP_1)
	v_sub_nc_u32_e32 v4, v6, v5
	v_mad_u32 v3, v4, s55, v3
	s_delay_alu instid0(VALU_DEP_4)
	v_mad_u32 v2, v4, s54, v2
	s_cbranch_scc0 .LBB69_208
	s_branch .LBB69_223
.LBB69_209:
                                        ; implicit-def: $vgpr3
	s_branch .LBB69_227
.LBB69_210:
	v_dual_mov_b32 v3, 0 :: v_dual_mov_b32 v2, 0
	s_branch .LBB69_226
.LBB69_211:
	v_mov_b64_e32 v[2:3], 0
	v_mov_b32_e32 v1, v0
	s_mov_b32 s22, 0
.LBB69_212:
	s_and_b32 s14, s14, 3
	s_mov_b32 s23, 0
	s_cmp_eq_u32 s14, 0
	s_cbranch_scc1 .LBB69_215
; %bb.213:
	s_lshl_b32 s24, s22, 3
	s_mov_b32 s25, s23
	s_mul_u64 s[26:27], s[22:23], 12
	s_add_nc_u64 s[24:25], s[12:13], s[24:25]
	s_delay_alu instid0(SALU_CYCLE_1)
	s_add_nc_u64 s[22:23], s[24:25], 0xc4
	s_add_nc_u64 s[24:25], s[12:13], s[26:27]
.LBB69_214:                             ; =>This Inner Loop Header: Depth=1
	s_load_b96 s[40:42], s[24:25], 0x4
	s_load_b64 s[26:27], s[22:23], 0x0
	s_add_co_i32 s14, s14, -1
	s_wait_xcnt 0x0
	s_add_nc_u64 s[24:25], s[24:25], 12
	s_cmp_lg_u32 s14, 0
	s_add_nc_u64 s[22:23], s[22:23], 8
	s_wait_kmcnt 0x0
	v_mul_hi_u32 v4, s41, v1
	s_delay_alu instid0(VALU_DEP_1) | instskip(NEXT) | instid1(VALU_DEP_1)
	v_add_nc_u32_e32 v4, v1, v4
	v_lshrrev_b32_e32 v4, s42, v4
	s_delay_alu instid0(VALU_DEP_1) | instskip(NEXT) | instid1(VALU_DEP_1)
	v_mul_lo_u32 v5, v4, s40
	v_sub_nc_u32_e32 v1, v1, v5
	s_delay_alu instid0(VALU_DEP_1)
	v_mad_u32 v3, v1, s27, v3
	v_mad_u32 v2, v1, s26, v2
	v_mov_b32_e32 v1, v4
	s_cbranch_scc1 .LBB69_214
.LBB69_215:
	s_cbranch_execnz .LBB69_218
.LBB69_216:
	v_mov_b32_e32 v1, 0
	s_and_not1_b32 vcc_lo, exec_lo, s33
	s_delay_alu instid0(VALU_DEP_1) | instskip(NEXT) | instid1(VALU_DEP_1)
	v_mul_u64_e32 v[2:3], s[16:17], v[0:1]
	v_add_nc_u32_e32 v2, v0, v3
	s_delay_alu instid0(VALU_DEP_1) | instskip(NEXT) | instid1(VALU_DEP_1)
	v_lshrrev_b32_e32 v4, s6, v2
	v_mul_lo_u32 v2, v4, s4
	s_delay_alu instid0(VALU_DEP_1) | instskip(NEXT) | instid1(VALU_DEP_1)
	v_sub_nc_u32_e32 v2, v0, v2
	v_mul_lo_u32 v3, v2, s9
	v_mul_lo_u32 v2, v2, s8
	s_cbranch_vccnz .LBB69_218
; %bb.217:
	v_mov_b32_e32 v5, v1
	s_delay_alu instid0(VALU_DEP_1) | instskip(NEXT) | instid1(VALU_DEP_1)
	v_mul_u64_e32 v[6:7], s[18:19], v[4:5]
	v_add_nc_u32_e32 v1, v4, v7
	s_delay_alu instid0(VALU_DEP_1) | instskip(NEXT) | instid1(VALU_DEP_1)
	v_lshrrev_b32_e32 v1, s15, v1
	v_mul_lo_u32 v1, v1, s7
	s_delay_alu instid0(VALU_DEP_1) | instskip(NEXT) | instid1(VALU_DEP_1)
	v_sub_nc_u32_e32 v1, v4, v1
	v_mad_u32 v2, v1, s10, v2
	v_mad_u32 v3, v1, s11, v3
.LBB69_218:
	global_load_b64 v[4:5], v3, s[2:3]
	v_add_nc_u32_e32 v0, 0x80, v0
	s_wait_loadcnt 0x0
	v_cmp_eq_f64_e32 vcc_lo, 0xfff00000, v[4:5]
	v_cndmask_b32_e64 v1, 0, 1, vcc_lo
	global_store_b8 v2, v1, s[0:1]
	s_wait_xcnt 0x0
	s_or_b32 exec_lo, exec_lo, s5
	s_delay_alu instid0(SALU_CYCLE_1)
	s_mov_b32 s5, exec_lo
	v_cmpx_gt_i32_e64 s34, v0
	s_cbranch_execnz .LBB69_204
.LBB69_219:
	s_or_b32 exec_lo, exec_lo, s5
	s_delay_alu instid0(SALU_CYCLE_1)
	s_mov_b32 s5, exec_lo
	v_cmpx_gt_i32_e64 s34, v0
	s_cbranch_execnz .LBB69_230
.LBB69_220:
	s_or_b32 exec_lo, exec_lo, s5
                                        ; implicit-def: $vgpr16
                                        ; implicit-def: $vgpr0
	s_and_not1_saveexec_b32 s0, s31
	s_cbranch_execnz .LBB69_8
.LBB69_221:
	s_endpgm
.LBB69_222:
	v_mov_b64_e32 v[2:3], 0
	v_mov_b32_e32 v1, v0
	s_mov_b32 s22, 0
.LBB69_223:
	s_and_b32 s14, s14, 3
	s_mov_b32 s23, 0
	s_cmp_eq_u32 s14, 0
	s_cbranch_scc1 .LBB69_226
; %bb.224:
	s_lshl_b32 s24, s22, 3
	s_mov_b32 s25, s23
	s_mul_u64 s[26:27], s[22:23], 12
	s_add_nc_u64 s[24:25], s[12:13], s[24:25]
	s_delay_alu instid0(SALU_CYCLE_1)
	s_add_nc_u64 s[22:23], s[24:25], 0xc4
	s_add_nc_u64 s[24:25], s[12:13], s[26:27]
.LBB69_225:                             ; =>This Inner Loop Header: Depth=1
	s_load_b96 s[40:42], s[24:25], 0x4
	s_load_b64 s[26:27], s[22:23], 0x0
	s_add_co_i32 s14, s14, -1
	s_wait_xcnt 0x0
	s_add_nc_u64 s[24:25], s[24:25], 12
	s_cmp_lg_u32 s14, 0
	s_add_nc_u64 s[22:23], s[22:23], 8
	s_wait_kmcnt 0x0
	v_mul_hi_u32 v4, s41, v1
	s_delay_alu instid0(VALU_DEP_1) | instskip(NEXT) | instid1(VALU_DEP_1)
	v_add_nc_u32_e32 v4, v1, v4
	v_lshrrev_b32_e32 v4, s42, v4
	s_delay_alu instid0(VALU_DEP_1) | instskip(NEXT) | instid1(VALU_DEP_1)
	v_mul_lo_u32 v5, v4, s40
	v_sub_nc_u32_e32 v1, v1, v5
	s_delay_alu instid0(VALU_DEP_1)
	v_mad_u32 v3, v1, s27, v3
	v_mad_u32 v2, v1, s26, v2
	v_mov_b32_e32 v1, v4
	s_cbranch_scc1 .LBB69_225
.LBB69_226:
	s_cbranch_execnz .LBB69_229
.LBB69_227:
	v_mov_b32_e32 v1, 0
	s_and_not1_b32 vcc_lo, exec_lo, s33
	s_delay_alu instid0(VALU_DEP_1) | instskip(NEXT) | instid1(VALU_DEP_1)
	v_mul_u64_e32 v[2:3], s[16:17], v[0:1]
	v_add_nc_u32_e32 v2, v0, v3
	s_delay_alu instid0(VALU_DEP_1) | instskip(NEXT) | instid1(VALU_DEP_1)
	v_lshrrev_b32_e32 v4, s6, v2
	v_mul_lo_u32 v2, v4, s4
	s_delay_alu instid0(VALU_DEP_1) | instskip(NEXT) | instid1(VALU_DEP_1)
	v_sub_nc_u32_e32 v2, v0, v2
	v_mul_lo_u32 v3, v2, s9
	v_mul_lo_u32 v2, v2, s8
	s_cbranch_vccnz .LBB69_229
; %bb.228:
	v_mov_b32_e32 v5, v1
	s_delay_alu instid0(VALU_DEP_1) | instskip(NEXT) | instid1(VALU_DEP_1)
	v_mul_u64_e32 v[6:7], s[18:19], v[4:5]
	v_add_nc_u32_e32 v1, v4, v7
	s_delay_alu instid0(VALU_DEP_1) | instskip(NEXT) | instid1(VALU_DEP_1)
	v_lshrrev_b32_e32 v1, s15, v1
	v_mul_lo_u32 v1, v1, s7
	s_delay_alu instid0(VALU_DEP_1) | instskip(NEXT) | instid1(VALU_DEP_1)
	v_sub_nc_u32_e32 v1, v4, v1
	v_mad_u32 v2, v1, s10, v2
	v_mad_u32 v3, v1, s11, v3
.LBB69_229:
	global_load_b64 v[4:5], v3, s[2:3]
	v_add_nc_u32_e32 v0, 0x80, v0
	s_wait_loadcnt 0x0
	v_cmp_eq_f64_e32 vcc_lo, 0xfff00000, v[4:5]
	v_cndmask_b32_e64 v1, 0, 1, vcc_lo
	global_store_b8 v2, v1, s[0:1]
	s_wait_xcnt 0x0
	s_or_b32 exec_lo, exec_lo, s5
	s_delay_alu instid0(SALU_CYCLE_1)
	s_mov_b32 s5, exec_lo
	v_cmpx_gt_i32_e64 s34, v0
	s_cbranch_execz .LBB69_220
.LBB69_230:
	s_and_not1_b32 vcc_lo, exec_lo, s30
	s_cbranch_vccnz .LBB69_235
; %bb.231:
	s_and_not1_b32 vcc_lo, exec_lo, s36
	s_cbranch_vccnz .LBB69_236
; %bb.232:
	s_add_co_i32 s35, s35, 1
	s_cmp_eq_u32 s29, 2
	s_cbranch_scc1 .LBB69_237
; %bb.233:
	v_dual_mov_b32 v2, 0 :: v_dual_mov_b32 v3, 0
	v_mov_b32_e32 v1, v0
	s_and_b32 s22, s35, 28
	s_mov_b32 s14, 0
	s_mov_b64 s[24:25], s[12:13]
.LBB69_234:                             ; =>This Inner Loop Header: Depth=1
	s_clause 0x1
	s_load_b256 s[36:43], s[24:25], 0x4
	s_load_b128 s[52:55], s[24:25], 0x24
	s_load_b256 s[44:51], s[20:21], 0x0
	s_add_co_i32 s14, s14, 4
	s_wait_xcnt 0x0
	s_add_nc_u64 s[24:25], s[24:25], 48
	s_cmp_eq_u32 s22, s14
	s_add_nc_u64 s[20:21], s[20:21], 32
	s_wait_kmcnt 0x0
	v_mul_hi_u32 v4, s37, v1
	s_delay_alu instid0(VALU_DEP_1) | instskip(NEXT) | instid1(VALU_DEP_1)
	v_add_nc_u32_e32 v4, v1, v4
	v_lshrrev_b32_e32 v4, s38, v4
	s_delay_alu instid0(VALU_DEP_1) | instskip(NEXT) | instid1(VALU_DEP_1)
	v_mul_hi_u32 v5, s40, v4
	v_add_nc_u32_e32 v5, v4, v5
	s_delay_alu instid0(VALU_DEP_1) | instskip(NEXT) | instid1(VALU_DEP_1)
	v_lshrrev_b32_e32 v5, s41, v5
	v_mul_hi_u32 v6, s43, v5
	s_delay_alu instid0(VALU_DEP_1) | instskip(SKIP_1) | instid1(VALU_DEP_1)
	v_add_nc_u32_e32 v6, v5, v6
	v_mul_lo_u32 v7, v4, s36
	v_sub_nc_u32_e32 v1, v1, v7
	v_mul_lo_u32 v7, v5, s39
	s_delay_alu instid0(VALU_DEP_4) | instskip(NEXT) | instid1(VALU_DEP_3)
	v_lshrrev_b32_e32 v6, s52, v6
	v_mad_u32 v3, v1, s45, v3
	v_mad_u32 v1, v1, s44, v2
	s_delay_alu instid0(VALU_DEP_4) | instskip(NEXT) | instid1(VALU_DEP_4)
	v_sub_nc_u32_e32 v2, v4, v7
	v_mul_hi_u32 v8, s54, v6
	v_mul_lo_u32 v4, v6, s42
	s_delay_alu instid0(VALU_DEP_3) | instskip(SKIP_1) | instid1(VALU_DEP_4)
	v_mad_u32 v3, v2, s47, v3
	v_mad_u32 v2, v2, s46, v1
	v_add_nc_u32_e32 v7, v6, v8
	s_delay_alu instid0(VALU_DEP_1) | instskip(NEXT) | instid1(VALU_DEP_1)
	v_dual_sub_nc_u32 v4, v5, v4 :: v_dual_lshrrev_b32 v1, s55, v7
	v_mad_u32 v3, v4, s49, v3
	s_delay_alu instid0(VALU_DEP_4) | instskip(NEXT) | instid1(VALU_DEP_3)
	v_mad_u32 v2, v4, s48, v2
	v_mul_lo_u32 v5, v1, s53
	s_delay_alu instid0(VALU_DEP_1) | instskip(NEXT) | instid1(VALU_DEP_1)
	v_sub_nc_u32_e32 v4, v6, v5
	v_mad_u32 v3, v4, s51, v3
	s_delay_alu instid0(VALU_DEP_4)
	v_mad_u32 v2, v4, s50, v2
	s_cbranch_scc0 .LBB69_234
	s_branch .LBB69_238
.LBB69_235:
                                        ; implicit-def: $vgpr3
	s_branch .LBB69_242
.LBB69_236:
	v_dual_mov_b32 v3, 0 :: v_dual_mov_b32 v2, 0
	s_branch .LBB69_241
.LBB69_237:
	v_mov_b64_e32 v[2:3], 0
	v_mov_b32_e32 v1, v0
	s_mov_b32 s22, 0
.LBB69_238:
	s_and_b32 s14, s35, 3
	s_mov_b32 s23, 0
	s_cmp_eq_u32 s14, 0
	s_cbranch_scc1 .LBB69_241
; %bb.239:
	s_lshl_b32 s20, s22, 3
	s_mov_b32 s21, s23
	s_mul_u64 s[22:23], s[22:23], 12
	s_add_nc_u64 s[20:21], s[12:13], s[20:21]
	s_add_nc_u64 s[22:23], s[12:13], s[22:23]
	;; [unrolled: 1-line block ×3, first 2 shown]
.LBB69_240:                             ; =>This Inner Loop Header: Depth=1
	s_load_b96 s[24:26], s[22:23], 0x4
	s_add_co_i32 s14, s14, -1
	s_wait_xcnt 0x0
	s_add_nc_u64 s[22:23], s[22:23], 12
	s_cmp_lg_u32 s14, 0
	s_wait_kmcnt 0x0
	v_mul_hi_u32 v4, s25, v1
	s_delay_alu instid0(VALU_DEP_1) | instskip(NEXT) | instid1(VALU_DEP_1)
	v_add_nc_u32_e32 v4, v1, v4
	v_lshrrev_b32_e32 v4, s26, v4
	s_load_b64 s[26:27], s[20:21], 0x0
	s_wait_xcnt 0x0
	s_add_nc_u64 s[20:21], s[20:21], 8
	s_delay_alu instid0(VALU_DEP_1) | instskip(NEXT) | instid1(VALU_DEP_1)
	v_mul_lo_u32 v5, v4, s24
	v_sub_nc_u32_e32 v1, v1, v5
	s_wait_kmcnt 0x0
	s_delay_alu instid0(VALU_DEP_1)
	v_mad_u32 v3, v1, s27, v3
	v_mad_u32 v2, v1, s26, v2
	v_mov_b32_e32 v1, v4
	s_cbranch_scc1 .LBB69_240
.LBB69_241:
	s_cbranch_execnz .LBB69_244
.LBB69_242:
	v_mov_b32_e32 v1, 0
	s_and_not1_b32 vcc_lo, exec_lo, s33
	s_delay_alu instid0(VALU_DEP_1) | instskip(NEXT) | instid1(VALU_DEP_1)
	v_mul_u64_e32 v[2:3], s[16:17], v[0:1]
	v_add_nc_u32_e32 v2, v0, v3
	s_delay_alu instid0(VALU_DEP_1) | instskip(NEXT) | instid1(VALU_DEP_1)
	v_lshrrev_b32_e32 v4, s6, v2
	v_mul_lo_u32 v2, v4, s4
	s_delay_alu instid0(VALU_DEP_1) | instskip(NEXT) | instid1(VALU_DEP_1)
	v_sub_nc_u32_e32 v0, v0, v2
	v_mul_lo_u32 v3, v0, s9
	v_mul_lo_u32 v2, v0, s8
	s_cbranch_vccnz .LBB69_244
; %bb.243:
	v_mov_b32_e32 v5, v1
	s_delay_alu instid0(VALU_DEP_1) | instskip(NEXT) | instid1(VALU_DEP_1)
	v_mul_u64_e32 v[0:1], s[18:19], v[4:5]
	v_add_nc_u32_e32 v0, v4, v1
	s_delay_alu instid0(VALU_DEP_1) | instskip(NEXT) | instid1(VALU_DEP_1)
	v_lshrrev_b32_e32 v0, s15, v0
	v_mul_lo_u32 v0, v0, s7
	s_delay_alu instid0(VALU_DEP_1) | instskip(NEXT) | instid1(VALU_DEP_1)
	v_sub_nc_u32_e32 v0, v4, v0
	v_mad_u32 v2, v0, s10, v2
	v_mad_u32 v3, v0, s11, v3
.LBB69_244:
	global_load_b64 v[0:1], v3, s[2:3]
	s_wait_loadcnt 0x0
	v_cmp_eq_f64_e32 vcc_lo, 0xfff00000, v[0:1]
	v_cndmask_b32_e64 v0, 0, 1, vcc_lo
	global_store_b8 v2, v0, s[0:1]
	s_wait_xcnt 0x0
	s_or_b32 exec_lo, exec_lo, s5
                                        ; implicit-def: $vgpr16
                                        ; implicit-def: $vgpr0
	s_and_not1_saveexec_b32 s0, s31
	s_cbranch_execz .LBB69_221
	s_branch .LBB69_8
	.section	.rodata,"a",@progbits
	.p2align	6, 0x0
	.amdhsa_kernel _ZN2at6native32elementwise_kernel_manual_unrollILi128ELi8EZNS0_22gpu_kernel_impl_nocastIZZZNS0_12_GLOBAL__N_120isneginf_kernel_implERNS_18TensorIteratorBaseEENKUlvE_clEvENKUlvE_clEvEUldE_EEvS5_RKT_EUlibE_EEviT1_
		.amdhsa_group_segment_fixed_size 0
		.amdhsa_private_segment_fixed_size 0
		.amdhsa_kernarg_size 360
		.amdhsa_user_sgpr_count 2
		.amdhsa_user_sgpr_dispatch_ptr 0
		.amdhsa_user_sgpr_queue_ptr 0
		.amdhsa_user_sgpr_kernarg_segment_ptr 1
		.amdhsa_user_sgpr_dispatch_id 0
		.amdhsa_user_sgpr_kernarg_preload_length 0
		.amdhsa_user_sgpr_kernarg_preload_offset 0
		.amdhsa_user_sgpr_private_segment_size 0
		.amdhsa_wavefront_size32 1
		.amdhsa_uses_dynamic_stack 0
		.amdhsa_enable_private_segment 0
		.amdhsa_system_sgpr_workgroup_id_x 1
		.amdhsa_system_sgpr_workgroup_id_y 0
		.amdhsa_system_sgpr_workgroup_id_z 0
		.amdhsa_system_sgpr_workgroup_info 0
		.amdhsa_system_vgpr_workitem_id 0
		.amdhsa_next_free_vgpr 32
		.amdhsa_next_free_sgpr 60
		.amdhsa_named_barrier_count 0
		.amdhsa_reserve_vcc 1
		.amdhsa_float_round_mode_32 0
		.amdhsa_float_round_mode_16_64 0
		.amdhsa_float_denorm_mode_32 3
		.amdhsa_float_denorm_mode_16_64 3
		.amdhsa_fp16_overflow 0
		.amdhsa_memory_ordered 1
		.amdhsa_forward_progress 1
		.amdhsa_inst_pref_size 99
		.amdhsa_round_robin_scheduling 0
		.amdhsa_exception_fp_ieee_invalid_op 0
		.amdhsa_exception_fp_denorm_src 0
		.amdhsa_exception_fp_ieee_div_zero 0
		.amdhsa_exception_fp_ieee_overflow 0
		.amdhsa_exception_fp_ieee_underflow 0
		.amdhsa_exception_fp_ieee_inexact 0
		.amdhsa_exception_int_div_zero 0
	.end_amdhsa_kernel
	.section	.text._ZN2at6native32elementwise_kernel_manual_unrollILi128ELi8EZNS0_22gpu_kernel_impl_nocastIZZZNS0_12_GLOBAL__N_120isneginf_kernel_implERNS_18TensorIteratorBaseEENKUlvE_clEvENKUlvE_clEvEUldE_EEvS5_RKT_EUlibE_EEviT1_,"axG",@progbits,_ZN2at6native32elementwise_kernel_manual_unrollILi128ELi8EZNS0_22gpu_kernel_impl_nocastIZZZNS0_12_GLOBAL__N_120isneginf_kernel_implERNS_18TensorIteratorBaseEENKUlvE_clEvENKUlvE_clEvEUldE_EEvS5_RKT_EUlibE_EEviT1_,comdat
.Lfunc_end69:
	.size	_ZN2at6native32elementwise_kernel_manual_unrollILi128ELi8EZNS0_22gpu_kernel_impl_nocastIZZZNS0_12_GLOBAL__N_120isneginf_kernel_implERNS_18TensorIteratorBaseEENKUlvE_clEvENKUlvE_clEvEUldE_EEvS5_RKT_EUlibE_EEviT1_, .Lfunc_end69-_ZN2at6native32elementwise_kernel_manual_unrollILi128ELi8EZNS0_22gpu_kernel_impl_nocastIZZZNS0_12_GLOBAL__N_120isneginf_kernel_implERNS_18TensorIteratorBaseEENKUlvE_clEvENKUlvE_clEvEUldE_EEvS5_RKT_EUlibE_EEviT1_
                                        ; -- End function
	.set _ZN2at6native32elementwise_kernel_manual_unrollILi128ELi8EZNS0_22gpu_kernel_impl_nocastIZZZNS0_12_GLOBAL__N_120isneginf_kernel_implERNS_18TensorIteratorBaseEENKUlvE_clEvENKUlvE_clEvEUldE_EEvS5_RKT_EUlibE_EEviT1_.num_vgpr, 32
	.set _ZN2at6native32elementwise_kernel_manual_unrollILi128ELi8EZNS0_22gpu_kernel_impl_nocastIZZZNS0_12_GLOBAL__N_120isneginf_kernel_implERNS_18TensorIteratorBaseEENKUlvE_clEvENKUlvE_clEvEUldE_EEvS5_RKT_EUlibE_EEviT1_.num_agpr, 0
	.set _ZN2at6native32elementwise_kernel_manual_unrollILi128ELi8EZNS0_22gpu_kernel_impl_nocastIZZZNS0_12_GLOBAL__N_120isneginf_kernel_implERNS_18TensorIteratorBaseEENKUlvE_clEvENKUlvE_clEvEUldE_EEvS5_RKT_EUlibE_EEviT1_.numbered_sgpr, 60
	.set _ZN2at6native32elementwise_kernel_manual_unrollILi128ELi8EZNS0_22gpu_kernel_impl_nocastIZZZNS0_12_GLOBAL__N_120isneginf_kernel_implERNS_18TensorIteratorBaseEENKUlvE_clEvENKUlvE_clEvEUldE_EEvS5_RKT_EUlibE_EEviT1_.num_named_barrier, 0
	.set _ZN2at6native32elementwise_kernel_manual_unrollILi128ELi8EZNS0_22gpu_kernel_impl_nocastIZZZNS0_12_GLOBAL__N_120isneginf_kernel_implERNS_18TensorIteratorBaseEENKUlvE_clEvENKUlvE_clEvEUldE_EEvS5_RKT_EUlibE_EEviT1_.private_seg_size, 0
	.set _ZN2at6native32elementwise_kernel_manual_unrollILi128ELi8EZNS0_22gpu_kernel_impl_nocastIZZZNS0_12_GLOBAL__N_120isneginf_kernel_implERNS_18TensorIteratorBaseEENKUlvE_clEvENKUlvE_clEvEUldE_EEvS5_RKT_EUlibE_EEviT1_.uses_vcc, 1
	.set _ZN2at6native32elementwise_kernel_manual_unrollILi128ELi8EZNS0_22gpu_kernel_impl_nocastIZZZNS0_12_GLOBAL__N_120isneginf_kernel_implERNS_18TensorIteratorBaseEENKUlvE_clEvENKUlvE_clEvEUldE_EEvS5_RKT_EUlibE_EEviT1_.uses_flat_scratch, 0
	.set _ZN2at6native32elementwise_kernel_manual_unrollILi128ELi8EZNS0_22gpu_kernel_impl_nocastIZZZNS0_12_GLOBAL__N_120isneginf_kernel_implERNS_18TensorIteratorBaseEENKUlvE_clEvENKUlvE_clEvEUldE_EEvS5_RKT_EUlibE_EEviT1_.has_dyn_sized_stack, 0
	.set _ZN2at6native32elementwise_kernel_manual_unrollILi128ELi8EZNS0_22gpu_kernel_impl_nocastIZZZNS0_12_GLOBAL__N_120isneginf_kernel_implERNS_18TensorIteratorBaseEENKUlvE_clEvENKUlvE_clEvEUldE_EEvS5_RKT_EUlibE_EEviT1_.has_recursion, 0
	.set _ZN2at6native32elementwise_kernel_manual_unrollILi128ELi8EZNS0_22gpu_kernel_impl_nocastIZZZNS0_12_GLOBAL__N_120isneginf_kernel_implERNS_18TensorIteratorBaseEENKUlvE_clEvENKUlvE_clEvEUldE_EEvS5_RKT_EUlibE_EEviT1_.has_indirect_call, 0
	.section	.AMDGPU.csdata,"",@progbits
; Kernel info:
; codeLenInByte = 12548
; TotalNumSgprs: 62
; NumVgprs: 32
; ScratchSize: 0
; MemoryBound: 0
; FloatMode: 240
; IeeeMode: 1
; LDSByteSize: 0 bytes/workgroup (compile time only)
; SGPRBlocks: 0
; VGPRBlocks: 1
; NumSGPRsForWavesPerEU: 62
; NumVGPRsForWavesPerEU: 32
; NamedBarCnt: 0
; Occupancy: 16
; WaveLimiterHint : 1
; COMPUTE_PGM_RSRC2:SCRATCH_EN: 0
; COMPUTE_PGM_RSRC2:USER_SGPR: 2
; COMPUTE_PGM_RSRC2:TRAP_HANDLER: 0
; COMPUTE_PGM_RSRC2:TGID_X_EN: 1
; COMPUTE_PGM_RSRC2:TGID_Y_EN: 0
; COMPUTE_PGM_RSRC2:TGID_Z_EN: 0
; COMPUTE_PGM_RSRC2:TIDIG_COMP_CNT: 0
	.section	.text._ZN2at6native32elementwise_kernel_manual_unrollILi128ELi4EZNS0_15gpu_kernel_implIZZZNS0_12_GLOBAL__N_120isneginf_kernel_implERNS_18TensorIteratorBaseEENKUlvE_clEvENKUlvE_clEvEUldE_EEvS5_RKT_EUlibE_EEviT1_,"axG",@progbits,_ZN2at6native32elementwise_kernel_manual_unrollILi128ELi4EZNS0_15gpu_kernel_implIZZZNS0_12_GLOBAL__N_120isneginf_kernel_implERNS_18TensorIteratorBaseEENKUlvE_clEvENKUlvE_clEvEUldE_EEvS5_RKT_EUlibE_EEviT1_,comdat
	.globl	_ZN2at6native32elementwise_kernel_manual_unrollILi128ELi4EZNS0_15gpu_kernel_implIZZZNS0_12_GLOBAL__N_120isneginf_kernel_implERNS_18TensorIteratorBaseEENKUlvE_clEvENKUlvE_clEvEUldE_EEvS5_RKT_EUlibE_EEviT1_ ; -- Begin function _ZN2at6native32elementwise_kernel_manual_unrollILi128ELi4EZNS0_15gpu_kernel_implIZZZNS0_12_GLOBAL__N_120isneginf_kernel_implERNS_18TensorIteratorBaseEENKUlvE_clEvENKUlvE_clEvEUldE_EEvS5_RKT_EUlibE_EEviT1_
	.p2align	8
	.type	_ZN2at6native32elementwise_kernel_manual_unrollILi128ELi4EZNS0_15gpu_kernel_implIZZZNS0_12_GLOBAL__N_120isneginf_kernel_implERNS_18TensorIteratorBaseEENKUlvE_clEvENKUlvE_clEvEUldE_EEvS5_RKT_EUlibE_EEviT1_,@function
_ZN2at6native32elementwise_kernel_manual_unrollILi128ELi4EZNS0_15gpu_kernel_implIZZZNS0_12_GLOBAL__N_120isneginf_kernel_implERNS_18TensorIteratorBaseEENKUlvE_clEvENKUlvE_clEvEUldE_EEvS5_RKT_EUlibE_EEviT1_: ; @_ZN2at6native32elementwise_kernel_manual_unrollILi128ELi4EZNS0_15gpu_kernel_implIZZZNS0_12_GLOBAL__N_120isneginf_kernel_implERNS_18TensorIteratorBaseEENKUlvE_clEvENKUlvE_clEvEUldE_EEvS5_RKT_EUlibE_EEviT1_
; %bb.0:
	v_mov_b32_e32 v1, 0
	s_bfe_u32 s10, ttmp6, 0x4000c
	s_clause 0x1
	s_load_b32 s13, s[0:1], 0x0
	s_load_b128 s[4:7], s[0:1], 0x8
	s_add_co_i32 s10, s10, 1
	s_and_b32 s9, ttmp6, 15
	global_load_u16 v1, v1, s[0:1] offset:33
	s_load_b64 s[2:3], s[0:1], 0x18
	s_wait_xcnt 0x0
	s_mul_i32 s1, ttmp9, s10
	s_getreg_b32 s11, hwreg(HW_REG_IB_STS2, 6, 4)
	s_add_co_i32 s9, s9, s1
	s_mov_b32 s12, 0
	s_wait_loadcnt 0x0
	v_readfirstlane_b32 s8, v1
	s_and_b32 s0, 0xffff, s8
	s_delay_alu instid0(SALU_CYCLE_1)
	s_lshr_b32 s10, s0, 8
	s_cmp_eq_u32 s11, 0
	s_cselect_b32 s0, ttmp9, s9
	s_mov_b32 s9, 0
	v_lshl_or_b32 v10, s0, 9, v0
	s_mov_b32 s0, exec_lo
	s_delay_alu instid0(VALU_DEP_1) | instskip(SKIP_1) | instid1(VALU_DEP_1)
	v_or_b32_e32 v0, 0x180, v10
	s_wait_kmcnt 0x0
	v_cmpx_le_i32_e64 s13, v0
	s_xor_b32 s11, exec_lo, s0
	s_cbranch_execz .LBB70_1031
; %bb.1:
	s_mov_b32 s1, -1
	s_mov_b32 s16, 0
	s_mov_b32 s14, 0
	s_mov_b32 s15, exec_lo
	v_cmpx_gt_i32_e64 s13, v10
	s_cbranch_execz .LBB70_252
; %bb.2:
	v_mul_lo_u32 v0, v10, s3
	s_and_b32 s0, 0xffff, s10
	s_delay_alu instid0(SALU_CYCLE_1) | instskip(NEXT) | instid1(VALU_DEP_1)
	s_cmp_lt_i32 s0, 11
	v_ashrrev_i32_e32 v1, 31, v0
	s_delay_alu instid0(VALU_DEP_1)
	v_add_nc_u64_e32 v[0:1], s[6:7], v[0:1]
	s_cbranch_scc1 .LBB70_9
; %bb.3:
	s_cmp_gt_i32 s0, 25
	s_cbranch_scc0 .LBB70_18
; %bb.4:
	s_cmp_gt_i32 s0, 28
	s_cbranch_scc0 .LBB70_21
	;; [unrolled: 3-line block ×4, first 2 shown]
; %bb.7:
	s_cmp_eq_u32 s0, 46
	s_cbranch_scc0 .LBB70_27
; %bb.8:
	global_load_b32 v2, v[0:1], off
	s_wait_loadcnt 0x0
	v_lshlrev_b32_e32 v2, 16, v2
	s_delay_alu instid0(VALU_DEP_1)
	v_cvt_f64_f32_e32 v[2:3], v2
	s_branch .LBB70_29
.LBB70_9:
	s_mov_b32 s1, 0
                                        ; implicit-def: $vgpr2_vgpr3
	s_cbranch_execnz .LBB70_202
.LBB70_10:
	s_and_not1_b32 vcc_lo, exec_lo, s1
	s_cbranch_vccnz .LBB70_249
.LBB70_11:
	s_wait_loadcnt 0x0
	s_delay_alu instid0(VALU_DEP_1) | instskip(SKIP_2) | instid1(SALU_CYCLE_1)
	v_cmp_eq_f64_e64 s0, 0xfff00000, v[2:3]
	v_mul_lo_u32 v0, v10, s2
	s_and_b32 s12, s8, 0xff
	s_cmp_lt_i32 s12, 11
	s_delay_alu instid0(VALU_DEP_1) | instskip(NEXT) | instid1(VALU_DEP_1)
	v_ashrrev_i32_e32 v1, 31, v0
	v_add_nc_u64_e32 v[0:1], s[4:5], v[0:1]
	s_cbranch_scc1 .LBB70_19
; %bb.12:
	s_and_b32 s17, 0xffff, s12
	s_delay_alu instid0(SALU_CYCLE_1)
	s_cmp_gt_i32 s17, 25
	s_cbranch_scc0 .LBB70_22
; %bb.13:
	s_cmp_gt_i32 s17, 28
	s_cbranch_scc0 .LBB70_24
; %bb.14:
	;; [unrolled: 3-line block ×4, first 2 shown]
	s_mov_b32 s19, 0
	s_mov_b32 s1, -1
	s_cmp_eq_u32 s17, 46
	s_mov_b32 s18, 0
	s_cbranch_scc0 .LBB70_33
; %bb.17:
	v_cndmask_b32_e64 v2, 0, 1.0, s0
	s_mov_b32 s18, -1
	s_mov_b32 s1, 0
	s_delay_alu instid0(VALU_DEP_1) | instskip(NEXT) | instid1(VALU_DEP_1)
	v_bfe_u32 v3, v2, 16, 1
	v_add3_u32 v2, v2, v3, 0x7fff
	s_delay_alu instid0(VALU_DEP_1)
	v_lshrrev_b32_e32 v2, 16, v2
	global_store_b32 v[0:1], v2, off
	s_branch .LBB70_33
.LBB70_18:
	s_mov_b32 s1, 0
                                        ; implicit-def: $vgpr2_vgpr3
	s_cbranch_execnz .LBB70_167
	s_branch .LBB70_201
.LBB70_19:
	s_mov_b32 s1, 0
	s_mov_b32 s18, 0
	s_cbranch_execnz .LBB70_102
.LBB70_20:
	s_and_not1_b32 vcc_lo, exec_lo, s18
	s_cbranch_vccnz .LBB70_250
	s_branch .LBB70_140
.LBB70_21:
	s_mov_b32 s12, -1
	s_mov_b32 s1, 0
                                        ; implicit-def: $vgpr2_vgpr3
	s_branch .LBB70_148
.LBB70_22:
	s_mov_b32 s19, -1
	s_mov_b32 s1, 0
	s_mov_b32 s18, 0
	s_branch .LBB70_60
.LBB70_23:
	s_mov_b32 s12, -1
	s_mov_b32 s1, 0
                                        ; implicit-def: $vgpr2_vgpr3
	s_branch .LBB70_143
.LBB70_24:
	s_mov_b32 s19, -1
	s_mov_b32 s1, 0
	s_mov_b32 s18, 0
	s_branch .LBB70_43
.LBB70_25:
	s_mov_b32 s12, -1
	s_branch .LBB70_28
.LBB70_26:
	s_mov_b32 s19, -1
	s_mov_b32 s1, 0
	s_mov_b32 s18, 0
	s_branch .LBB70_39
.LBB70_27:
	s_mov_b32 s14, -1
.LBB70_28:
	s_mov_b32 s1, 0
                                        ; implicit-def: $vgpr2_vgpr3
.LBB70_29:
	s_and_b32 vcc_lo, exec_lo, s12
	s_cbranch_vccz .LBB70_142
; %bb.30:
	s_cmp_eq_u32 s0, 44
	s_cbranch_scc0 .LBB70_141
; %bb.31:
	global_load_u8 v4, v[0:1], off
	s_mov_b32 s14, 0
	s_mov_b32 s1, -1
	s_wait_loadcnt 0x0
	v_cmp_ne_u32_e32 vcc_lo, 0xff, v4
	v_lshlrev_b32_e32 v2, 23, v4
	s_delay_alu instid0(VALU_DEP_1) | instskip(NEXT) | instid1(VALU_DEP_1)
	v_cvt_f64_f32_e32 v[2:3], v2
	v_cndmask_b32_e32 v2, 0x20000000, v2, vcc_lo
	s_delay_alu instid0(VALU_DEP_2) | instskip(SKIP_1) | instid1(VALU_DEP_2)
	v_cndmask_b32_e32 v3, 0x7ff80000, v3, vcc_lo
	v_cmp_ne_u32_e32 vcc_lo, 0, v4
	v_cndmask_b32_e32 v3, 0x38000000, v3, vcc_lo
	s_delay_alu instid0(VALU_DEP_4)
	v_cndmask_b32_e32 v2, 0, v2, vcc_lo
	s_branch .LBB70_142
.LBB70_32:
	s_mov_b32 s19, -1
	s_mov_b32 s1, 0
	s_mov_b32 s18, 0
.LBB70_33:
	s_and_b32 vcc_lo, exec_lo, s19
	s_cbranch_vccz .LBB70_38
; %bb.34:
	s_cmp_eq_u32 s17, 44
	s_mov_b32 s1, -1
	s_cbranch_scc0 .LBB70_38
; %bb.35:
	v_cndmask_b32_e64 v4, 0, 1.0, s0
	s_mov_b32 s18, exec_lo
	s_wait_xcnt 0x0
	s_delay_alu instid0(VALU_DEP_1) | instskip(NEXT) | instid1(VALU_DEP_1)
	v_dual_mov_b32 v3, 0xff :: v_dual_lshrrev_b32 v2, 23, v4
	v_cmpx_ne_u32_e32 0xff, v2
; %bb.36:
	v_and_b32_e32 v3, 0x400000, v4
	v_and_or_b32 v4, 0x3fffff, v4, v2
	s_delay_alu instid0(VALU_DEP_2) | instskip(NEXT) | instid1(VALU_DEP_2)
	v_cmp_ne_u32_e32 vcc_lo, 0, v3
	v_cmp_ne_u32_e64 s1, 0, v4
	s_and_b32 s1, vcc_lo, s1
	s_delay_alu instid0(SALU_CYCLE_1) | instskip(NEXT) | instid1(VALU_DEP_1)
	v_cndmask_b32_e64 v3, 0, 1, s1
	v_add_nc_u32_e32 v3, v2, v3
; %bb.37:
	s_or_b32 exec_lo, exec_lo, s18
	s_mov_b32 s18, -1
	s_mov_b32 s1, 0
	global_store_b8 v[0:1], v3, off
.LBB70_38:
	s_mov_b32 s19, 0
.LBB70_39:
	s_delay_alu instid0(SALU_CYCLE_1)
	s_and_b32 vcc_lo, exec_lo, s19
	s_cbranch_vccz .LBB70_42
; %bb.40:
	s_cmp_eq_u32 s17, 29
	s_mov_b32 s1, -1
	s_cbranch_scc0 .LBB70_42
; %bb.41:
	s_mov_b32 s1, 0
	s_wait_xcnt 0x0
	v_cndmask_b32_e64 v2, 0, 1, s0
	v_mov_b32_e32 v3, s1
	s_mov_b32 s18, -1
	s_mov_b32 s19, 0
	global_store_b64 v[0:1], v[2:3], off
	s_branch .LBB70_43
.LBB70_42:
	s_mov_b32 s19, 0
.LBB70_43:
	s_delay_alu instid0(SALU_CYCLE_1)
	s_and_b32 vcc_lo, exec_lo, s19
	s_cbranch_vccz .LBB70_59
; %bb.44:
	s_cmp_lt_i32 s17, 27
	s_mov_b32 s18, -1
	s_cbranch_scc1 .LBB70_50
; %bb.45:
	s_cmp_gt_i32 s17, 27
	s_cbranch_scc0 .LBB70_47
; %bb.46:
	s_wait_xcnt 0x0
	v_cndmask_b32_e64 v2, 0, 1, s0
	s_mov_b32 s18, 0
	global_store_b32 v[0:1], v2, off
.LBB70_47:
	s_and_not1_b32 vcc_lo, exec_lo, s18
	s_cbranch_vccnz .LBB70_49
; %bb.48:
	s_wait_xcnt 0x0
	v_cndmask_b32_e64 v2, 0, 1, s0
	global_store_b16 v[0:1], v2, off
.LBB70_49:
	s_mov_b32 s18, 0
.LBB70_50:
	s_delay_alu instid0(SALU_CYCLE_1)
	s_and_not1_b32 vcc_lo, exec_lo, s18
	s_cbranch_vccnz .LBB70_58
; %bb.51:
	s_wait_xcnt 0x0
	v_cndmask_b32_e64 v3, 0, 1.0, s0
	v_mov_b32_e32 v4, 0x80
	s_mov_b32 s18, exec_lo
	s_delay_alu instid0(VALU_DEP_2)
	v_cmpx_gt_u32_e32 0x43800000, v3
	s_cbranch_execz .LBB70_57
; %bb.52:
	s_mov_b32 s19, 0
	s_mov_b32 s20, exec_lo
                                        ; implicit-def: $vgpr2
	v_cmpx_lt_u32_e32 0x3bffffff, v3
	s_xor_b32 s20, exec_lo, s20
	s_cbranch_execz .LBB70_279
; %bb.53:
	v_bfe_u32 v2, v3, 20, 1
	s_mov_b32 s19, exec_lo
	s_delay_alu instid0(VALU_DEP_1) | instskip(NEXT) | instid1(VALU_DEP_1)
	v_add3_u32 v2, v3, v2, 0x487ffff
                                        ; implicit-def: $vgpr3
	v_lshrrev_b32_e32 v2, 20, v2
	s_and_not1_saveexec_b32 s20, s20
	s_cbranch_execnz .LBB70_280
.LBB70_54:
	s_or_b32 exec_lo, exec_lo, s20
	v_mov_b32_e32 v4, 0
	s_and_saveexec_b32 s20, s19
.LBB70_55:
	v_mov_b32_e32 v4, v2
.LBB70_56:
	s_or_b32 exec_lo, exec_lo, s20
.LBB70_57:
	s_delay_alu instid0(SALU_CYCLE_1)
	s_or_b32 exec_lo, exec_lo, s18
	global_store_b8 v[0:1], v4, off
.LBB70_58:
	s_mov_b32 s18, -1
.LBB70_59:
	s_mov_b32 s19, 0
.LBB70_60:
	s_delay_alu instid0(SALU_CYCLE_1)
	s_and_b32 vcc_lo, exec_lo, s19
	s_cbranch_vccz .LBB70_101
; %bb.61:
	s_cmp_gt_i32 s17, 22
	s_mov_b32 s19, -1
	s_cbranch_scc0 .LBB70_93
; %bb.62:
	s_cmp_lt_i32 s17, 24
	s_mov_b32 s18, -1
	s_cbranch_scc1 .LBB70_82
; %bb.63:
	s_cmp_gt_i32 s17, 24
	s_cbranch_scc0 .LBB70_71
; %bb.64:
	s_wait_xcnt 0x0
	v_cndmask_b32_e64 v3, 0, 1.0, s0
	v_mov_b32_e32 v4, 0x80
	s_mov_b32 s18, exec_lo
	s_delay_alu instid0(VALU_DEP_2)
	v_cmpx_gt_u32_e32 0x47800000, v3
	s_cbranch_execz .LBB70_70
; %bb.65:
	s_mov_b32 s19, 0
	s_mov_b32 s20, exec_lo
                                        ; implicit-def: $vgpr2
	v_cmpx_lt_u32_e32 0x37ffffff, v3
	s_xor_b32 s20, exec_lo, s20
	s_cbranch_execz .LBB70_283
; %bb.66:
	v_bfe_u32 v2, v3, 21, 1
	s_mov_b32 s19, exec_lo
	s_delay_alu instid0(VALU_DEP_1) | instskip(NEXT) | instid1(VALU_DEP_1)
	v_add3_u32 v2, v3, v2, 0x88fffff
                                        ; implicit-def: $vgpr3
	v_lshrrev_b32_e32 v2, 21, v2
	s_and_not1_saveexec_b32 s20, s20
	s_cbranch_execnz .LBB70_284
.LBB70_67:
	s_or_b32 exec_lo, exec_lo, s20
	v_mov_b32_e32 v4, 0
	s_and_saveexec_b32 s20, s19
.LBB70_68:
	v_mov_b32_e32 v4, v2
.LBB70_69:
	s_or_b32 exec_lo, exec_lo, s20
.LBB70_70:
	s_delay_alu instid0(SALU_CYCLE_1)
	s_or_b32 exec_lo, exec_lo, s18
	s_mov_b32 s18, 0
	global_store_b8 v[0:1], v4, off
.LBB70_71:
	s_and_b32 vcc_lo, exec_lo, s18
	s_cbranch_vccz .LBB70_81
; %bb.72:
	s_wait_xcnt 0x0
	v_cndmask_b32_e64 v3, 0, 1.0, s0
	s_mov_b32 s18, exec_lo
                                        ; implicit-def: $vgpr2
	s_delay_alu instid0(VALU_DEP_1)
	v_cmpx_gt_u32_e32 0x43f00000, v3
	s_xor_b32 s18, exec_lo, s18
	s_cbranch_execz .LBB70_78
; %bb.73:
	s_mov_b32 s19, exec_lo
                                        ; implicit-def: $vgpr2
	v_cmpx_lt_u32_e32 0x3c7fffff, v3
	s_xor_b32 s19, exec_lo, s19
; %bb.74:
	v_bfe_u32 v2, v3, 20, 1
	s_delay_alu instid0(VALU_DEP_1) | instskip(NEXT) | instid1(VALU_DEP_1)
	v_add3_u32 v2, v3, v2, 0x407ffff
	v_and_b32_e32 v3, 0xff00000, v2
	v_lshrrev_b32_e32 v2, 20, v2
	s_delay_alu instid0(VALU_DEP_2) | instskip(NEXT) | instid1(VALU_DEP_2)
	v_cmp_ne_u32_e32 vcc_lo, 0x7f00000, v3
                                        ; implicit-def: $vgpr3
	v_cndmask_b32_e32 v2, 0x7e, v2, vcc_lo
; %bb.75:
	s_and_not1_saveexec_b32 s19, s19
; %bb.76:
	v_add_f32_e32 v2, 0x46800000, v3
; %bb.77:
	s_or_b32 exec_lo, exec_lo, s19
                                        ; implicit-def: $vgpr3
.LBB70_78:
	s_and_not1_saveexec_b32 s18, s18
; %bb.79:
	v_mov_b32_e32 v2, 0x7f
	v_cmp_lt_u32_e32 vcc_lo, 0x7f800000, v3
	s_delay_alu instid0(VALU_DEP_2)
	v_cndmask_b32_e32 v2, 0x7e, v2, vcc_lo
; %bb.80:
	s_or_b32 exec_lo, exec_lo, s18
	global_store_b8 v[0:1], v2, off
.LBB70_81:
	s_mov_b32 s18, 0
.LBB70_82:
	s_delay_alu instid0(SALU_CYCLE_1)
	s_and_not1_b32 vcc_lo, exec_lo, s18
	s_cbranch_vccnz .LBB70_92
; %bb.83:
	s_wait_xcnt 0x0
	v_cndmask_b32_e64 v3, 0, 1.0, s0
	s_mov_b32 s18, exec_lo
                                        ; implicit-def: $vgpr2
	s_delay_alu instid0(VALU_DEP_1)
	v_cmpx_gt_u32_e32 0x47800000, v3
	s_xor_b32 s18, exec_lo, s18
	s_cbranch_execz .LBB70_89
; %bb.84:
	s_mov_b32 s19, exec_lo
                                        ; implicit-def: $vgpr2
	v_cmpx_lt_u32_e32 0x387fffff, v3
	s_xor_b32 s19, exec_lo, s19
; %bb.85:
	v_bfe_u32 v2, v3, 21, 1
	s_delay_alu instid0(VALU_DEP_1) | instskip(NEXT) | instid1(VALU_DEP_1)
	v_add3_u32 v2, v3, v2, 0x80fffff
                                        ; implicit-def: $vgpr3
	v_lshrrev_b32_e32 v2, 21, v2
; %bb.86:
	s_and_not1_saveexec_b32 s19, s19
; %bb.87:
	v_add_f32_e32 v2, 0x43000000, v3
; %bb.88:
	s_or_b32 exec_lo, exec_lo, s19
                                        ; implicit-def: $vgpr3
.LBB70_89:
	s_and_not1_saveexec_b32 s18, s18
; %bb.90:
	v_mov_b32_e32 v2, 0x7f
	v_cmp_lt_u32_e32 vcc_lo, 0x7f800000, v3
	s_delay_alu instid0(VALU_DEP_2)
	v_cndmask_b32_e32 v2, 0x7c, v2, vcc_lo
; %bb.91:
	s_or_b32 exec_lo, exec_lo, s18
	global_store_b8 v[0:1], v2, off
.LBB70_92:
	s_mov_b32 s19, 0
	s_mov_b32 s18, -1
.LBB70_93:
	s_and_not1_b32 vcc_lo, exec_lo, s19
	s_cbranch_vccnz .LBB70_101
; %bb.94:
	s_cmp_gt_i32 s17, 14
	s_mov_b32 s19, -1
	s_cbranch_scc0 .LBB70_98
; %bb.95:
	s_cmp_eq_u32 s17, 15
	s_mov_b32 s1, -1
	s_cbranch_scc0 .LBB70_97
; %bb.96:
	s_wait_xcnt 0x0
	v_cndmask_b32_e64 v2, 0, 1.0, s0
	s_mov_b32 s18, -1
	s_mov_b32 s1, 0
	s_delay_alu instid0(VALU_DEP_1) | instskip(NEXT) | instid1(VALU_DEP_1)
	v_bfe_u32 v3, v2, 16, 1
	v_add3_u32 v2, v2, v3, 0x7fff
	global_store_d16_hi_b16 v[0:1], v2, off
.LBB70_97:
	s_mov_b32 s19, 0
.LBB70_98:
	s_delay_alu instid0(SALU_CYCLE_1)
	s_and_b32 vcc_lo, exec_lo, s19
	s_cbranch_vccz .LBB70_101
; %bb.99:
	s_cmp_eq_u32 s17, 11
	s_mov_b32 s1, -1
	s_cbranch_scc0 .LBB70_101
; %bb.100:
	s_wait_xcnt 0x0
	v_cndmask_b32_e64 v2, 0, 1, s0
	s_mov_b32 s18, -1
	s_mov_b32 s1, 0
	global_store_b8 v[0:1], v2, off
.LBB70_101:
	s_branch .LBB70_20
.LBB70_102:
	s_and_b32 s12, 0xffff, s12
	s_mov_b32 s17, -1
	s_cmp_lt_i32 s12, 5
	s_cbranch_scc1 .LBB70_123
; %bb.103:
	s_cmp_lt_i32 s12, 8
	s_cbranch_scc1 .LBB70_113
; %bb.104:
	s_cmp_lt_i32 s12, 9
	s_cbranch_scc1 .LBB70_110
; %bb.105:
	s_cmp_gt_i32 s12, 9
	s_cbranch_scc0 .LBB70_107
; %bb.106:
	s_wait_xcnt 0x0
	v_cndmask_b32_e64 v2, 0, 1, s0
	v_mov_b32_e32 v4, 0
	s_mov_b32 s17, 0
	s_delay_alu instid0(VALU_DEP_2) | instskip(NEXT) | instid1(VALU_DEP_2)
	v_cvt_f64_u32_e32 v[2:3], v2
	v_mov_b32_e32 v5, v4
	global_store_b128 v[0:1], v[2:5], off
.LBB70_107:
	s_and_not1_b32 vcc_lo, exec_lo, s17
	s_cbranch_vccnz .LBB70_109
; %bb.108:
	s_wait_xcnt 0x0
	v_cndmask_b32_e64 v2, 0, 1.0, s0
	v_mov_b32_e32 v3, 0
	global_store_b64 v[0:1], v[2:3], off
.LBB70_109:
	s_mov_b32 s17, 0
.LBB70_110:
	s_delay_alu instid0(SALU_CYCLE_1)
	s_and_not1_b32 vcc_lo, exec_lo, s17
	s_cbranch_vccnz .LBB70_112
; %bb.111:
	s_wait_xcnt 0x0
	v_cndmask_b32_e64 v2, 0, 1.0, s0
	s_delay_alu instid0(VALU_DEP_1) | instskip(NEXT) | instid1(VALU_DEP_1)
	v_cvt_f16_f32_e32 v2, v2
	v_and_b32_e32 v2, 0xffff, v2
	global_store_b32 v[0:1], v2, off
.LBB70_112:
	s_mov_b32 s17, 0
.LBB70_113:
	s_delay_alu instid0(SALU_CYCLE_1)
	s_and_not1_b32 vcc_lo, exec_lo, s17
	s_cbranch_vccnz .LBB70_122
; %bb.114:
	s_cmp_lt_i32 s12, 6
	s_mov_b32 s17, -1
	s_cbranch_scc1 .LBB70_120
; %bb.115:
	s_cmp_gt_i32 s12, 6
	s_cbranch_scc0 .LBB70_117
; %bb.116:
	s_wait_xcnt 0x0
	v_cndmask_b32_e64 v2, 0, 1, s0
	s_mov_b32 s17, 0
	s_delay_alu instid0(VALU_DEP_1)
	v_cvt_f64_u32_e32 v[2:3], v2
	global_store_b64 v[0:1], v[2:3], off
.LBB70_117:
	s_and_not1_b32 vcc_lo, exec_lo, s17
	s_cbranch_vccnz .LBB70_119
; %bb.118:
	s_wait_xcnt 0x0
	v_cndmask_b32_e64 v2, 0, 1.0, s0
	global_store_b32 v[0:1], v2, off
.LBB70_119:
	s_mov_b32 s17, 0
.LBB70_120:
	s_delay_alu instid0(SALU_CYCLE_1)
	s_and_not1_b32 vcc_lo, exec_lo, s17
	s_cbranch_vccnz .LBB70_122
; %bb.121:
	s_wait_xcnt 0x0
	v_cndmask_b32_e64 v2, 0, 1.0, s0
	s_delay_alu instid0(VALU_DEP_1)
	v_cvt_f16_f32_e32 v2, v2
	global_store_b16 v[0:1], v2, off
.LBB70_122:
	s_mov_b32 s17, 0
.LBB70_123:
	s_delay_alu instid0(SALU_CYCLE_1)
	s_and_not1_b32 vcc_lo, exec_lo, s17
	s_cbranch_vccnz .LBB70_139
; %bb.124:
	s_cmp_lt_i32 s12, 2
	s_mov_b32 s17, -1
	s_cbranch_scc1 .LBB70_134
; %bb.125:
	s_cmp_lt_i32 s12, 3
	s_cbranch_scc1 .LBB70_131
; %bb.126:
	s_cmp_gt_i32 s12, 3
	s_cbranch_scc0 .LBB70_128
; %bb.127:
	s_mov_b32 s17, 0
	s_wait_xcnt 0x0
	v_cndmask_b32_e64 v2, 0, 1, s0
	v_mov_b32_e32 v3, s17
	global_store_b64 v[0:1], v[2:3], off
.LBB70_128:
	s_and_not1_b32 vcc_lo, exec_lo, s17
	s_cbranch_vccnz .LBB70_130
; %bb.129:
	s_wait_xcnt 0x0
	v_cndmask_b32_e64 v2, 0, 1, s0
	global_store_b32 v[0:1], v2, off
.LBB70_130:
	s_mov_b32 s17, 0
.LBB70_131:
	s_delay_alu instid0(SALU_CYCLE_1)
	s_and_not1_b32 vcc_lo, exec_lo, s17
	s_cbranch_vccnz .LBB70_133
; %bb.132:
	s_wait_xcnt 0x0
	v_cndmask_b32_e64 v2, 0, 1, s0
	global_store_b16 v[0:1], v2, off
.LBB70_133:
	s_mov_b32 s17, 0
.LBB70_134:
	s_delay_alu instid0(SALU_CYCLE_1)
	s_and_not1_b32 vcc_lo, exec_lo, s17
	s_cbranch_vccnz .LBB70_139
; %bb.135:
	s_wait_xcnt 0x0
	v_cndmask_b32_e64 v2, 0, 1, s0
	s_cmp_gt_i32 s12, 0
	s_mov_b32 s0, -1
	s_cbranch_scc0 .LBB70_137
; %bb.136:
	s_mov_b32 s0, 0
	global_store_b8 v[0:1], v2, off
.LBB70_137:
	s_and_not1_b32 vcc_lo, exec_lo, s0
	s_cbranch_vccnz .LBB70_139
; %bb.138:
	global_store_b8 v[0:1], v2, off
.LBB70_139:
.LBB70_140:
	v_add_nc_u32_e32 v10, 0x80, v10
	s_mov_b32 s0, -1
	s_branch .LBB70_251
.LBB70_141:
	s_mov_b32 s14, -1
                                        ; implicit-def: $vgpr2_vgpr3
.LBB70_142:
	s_mov_b32 s12, 0
.LBB70_143:
	s_delay_alu instid0(SALU_CYCLE_1)
	s_and_b32 vcc_lo, exec_lo, s12
	s_cbranch_vccz .LBB70_147
; %bb.144:
	s_cmp_eq_u32 s0, 29
	s_cbranch_scc0 .LBB70_146
; %bb.145:
	global_load_b64 v[2:3], v[0:1], off
	s_mov_b32 s1, -1
	s_mov_b32 s14, 0
	s_mov_b32 s12, 0
	s_wait_loadcnt 0x0
	v_cvt_f64_u32_e32 v[4:5], v3
	v_cvt_f64_u32_e32 v[2:3], v2
	s_delay_alu instid0(VALU_DEP_2) | instskip(NEXT) | instid1(VALU_DEP_1)
	v_ldexp_f64 v[4:5], v[4:5], 32
	v_add_f64_e32 v[2:3], v[4:5], v[2:3]
	s_branch .LBB70_148
.LBB70_146:
	s_mov_b32 s14, -1
                                        ; implicit-def: $vgpr2_vgpr3
.LBB70_147:
	s_mov_b32 s12, 0
.LBB70_148:
	s_delay_alu instid0(SALU_CYCLE_1)
	s_and_b32 vcc_lo, exec_lo, s12
	s_cbranch_vccz .LBB70_166
; %bb.149:
	s_cmp_lt_i32 s0, 27
	s_cbranch_scc1 .LBB70_152
; %bb.150:
	s_cmp_gt_i32 s0, 27
	s_cbranch_scc0 .LBB70_153
; %bb.151:
	global_load_b32 v2, v[0:1], off
	s_mov_b32 s1, 0
	s_wait_loadcnt 0x0
	v_cvt_f64_u32_e32 v[2:3], v2
	s_branch .LBB70_154
.LBB70_152:
	s_mov_b32 s1, -1
                                        ; implicit-def: $vgpr2_vgpr3
	s_branch .LBB70_157
.LBB70_153:
	s_mov_b32 s1, -1
                                        ; implicit-def: $vgpr2_vgpr3
.LBB70_154:
	s_delay_alu instid0(SALU_CYCLE_1)
	s_and_not1_b32 vcc_lo, exec_lo, s1
	s_cbranch_vccnz .LBB70_156
; %bb.155:
	global_load_u16 v2, v[0:1], off
	s_wait_loadcnt 0x0
	v_cvt_f64_u32_e32 v[2:3], v2
.LBB70_156:
	s_mov_b32 s1, 0
.LBB70_157:
	s_delay_alu instid0(SALU_CYCLE_1)
	s_and_not1_b32 vcc_lo, exec_lo, s1
	s_cbranch_vccnz .LBB70_165
; %bb.158:
	global_load_u8 v4, v[0:1], off
	s_mov_b32 s1, 0
	s_mov_b32 s12, exec_lo
	s_wait_loadcnt 0x0
	v_cmpx_lt_i16_e32 0x7f, v4
	s_xor_b32 s12, exec_lo, s12
	s_cbranch_execz .LBB70_178
; %bb.159:
	s_mov_b32 s1, -1
	s_mov_b32 s17, exec_lo
	v_cmpx_eq_u16_e32 0x80, v4
; %bb.160:
	s_xor_b32 s1, exec_lo, -1
; %bb.161:
	s_or_b32 exec_lo, exec_lo, s17
	s_delay_alu instid0(SALU_CYCLE_1)
	s_and_b32 s1, s1, exec_lo
	s_or_saveexec_b32 s12, s12
	v_mov_b64_e32 v[2:3], 0x7ff8000020000000
	s_xor_b32 exec_lo, exec_lo, s12
	s_cbranch_execnz .LBB70_179
.LBB70_162:
	s_or_b32 exec_lo, exec_lo, s12
	s_and_saveexec_b32 s12, s1
	s_cbranch_execz .LBB70_164
.LBB70_163:
	v_and_b32_e32 v2, 0xffff, v4
	s_delay_alu instid0(VALU_DEP_1) | instskip(SKIP_1) | instid1(VALU_DEP_2)
	v_and_b32_e32 v3, 7, v2
	v_bfe_u32 v7, v2, 3, 4
	v_clz_i32_u32_e32 v5, v3
	s_delay_alu instid0(VALU_DEP_2) | instskip(NEXT) | instid1(VALU_DEP_2)
	v_cmp_eq_u32_e32 vcc_lo, 0, v7
	v_min_u32_e32 v5, 32, v5
	s_delay_alu instid0(VALU_DEP_1) | instskip(NEXT) | instid1(VALU_DEP_1)
	v_subrev_nc_u32_e32 v6, 28, v5
	v_dual_lshlrev_b32 v2, v6, v2 :: v_dual_sub_nc_u32 v5, 29, v5
	s_delay_alu instid0(VALU_DEP_1) | instskip(NEXT) | instid1(VALU_DEP_2)
	v_dual_lshlrev_b32 v4, 24, v4 :: v_dual_bitop2_b32 v2, 7, v2 bitop3:0x40
	v_cndmask_b32_e32 v5, v7, v5, vcc_lo
	s_delay_alu instid0(VALU_DEP_2) | instskip(NEXT) | instid1(VALU_DEP_3)
	v_cndmask_b32_e32 v2, v3, v2, vcc_lo
	v_and_b32_e32 v3, 0x80000000, v4
	s_delay_alu instid0(VALU_DEP_3) | instskip(NEXT) | instid1(VALU_DEP_3)
	v_lshl_add_u32 v4, v5, 23, 0x3b800000
	v_lshlrev_b32_e32 v2, 20, v2
	s_delay_alu instid0(VALU_DEP_1) | instskip(NEXT) | instid1(VALU_DEP_1)
	v_or3_b32 v2, v3, v4, v2
	v_cvt_f64_f32_e32 v[2:3], v2
.LBB70_164:
	s_or_b32 exec_lo, exec_lo, s12
.LBB70_165:
	s_mov_b32 s1, -1
.LBB70_166:
	s_branch .LBB70_201
.LBB70_167:
	s_cmp_gt_i32 s0, 22
	s_cbranch_scc0 .LBB70_177
; %bb.168:
	s_cmp_lt_i32 s0, 24
	s_cbranch_scc1 .LBB70_180
; %bb.169:
	s_cmp_gt_i32 s0, 24
	s_cbranch_scc0 .LBB70_181
; %bb.170:
	global_load_u8 v4, v[0:1], off
	s_mov_b32 s1, 0
	s_mov_b32 s12, exec_lo
	s_wait_loadcnt 0x0
	v_cmpx_lt_i16_e32 0x7f, v4
	s_xor_b32 s12, exec_lo, s12
	s_cbranch_execz .LBB70_193
; %bb.171:
	s_mov_b32 s1, -1
	s_mov_b32 s17, exec_lo
	v_cmpx_eq_u16_e32 0x80, v4
; %bb.172:
	s_xor_b32 s1, exec_lo, -1
; %bb.173:
	s_or_b32 exec_lo, exec_lo, s17
	s_delay_alu instid0(SALU_CYCLE_1)
	s_and_b32 s1, s1, exec_lo
	s_or_saveexec_b32 s12, s12
	v_mov_b64_e32 v[2:3], 0x7ff8000020000000
	s_xor_b32 exec_lo, exec_lo, s12
	s_cbranch_execnz .LBB70_194
.LBB70_174:
	s_or_b32 exec_lo, exec_lo, s12
	s_and_saveexec_b32 s12, s1
	s_cbranch_execz .LBB70_176
.LBB70_175:
	v_and_b32_e32 v2, 0xffff, v4
	s_delay_alu instid0(VALU_DEP_1) | instskip(SKIP_1) | instid1(VALU_DEP_2)
	v_and_b32_e32 v3, 3, v2
	v_bfe_u32 v7, v2, 2, 5
	v_clz_i32_u32_e32 v5, v3
	s_delay_alu instid0(VALU_DEP_2) | instskip(NEXT) | instid1(VALU_DEP_2)
	v_cmp_eq_u32_e32 vcc_lo, 0, v7
	v_min_u32_e32 v5, 32, v5
	s_delay_alu instid0(VALU_DEP_1) | instskip(NEXT) | instid1(VALU_DEP_1)
	v_subrev_nc_u32_e32 v6, 29, v5
	v_dual_lshlrev_b32 v2, v6, v2 :: v_dual_sub_nc_u32 v5, 30, v5
	s_delay_alu instid0(VALU_DEP_1) | instskip(NEXT) | instid1(VALU_DEP_2)
	v_dual_lshlrev_b32 v4, 24, v4 :: v_dual_bitop2_b32 v2, 3, v2 bitop3:0x40
	v_cndmask_b32_e32 v5, v7, v5, vcc_lo
	s_delay_alu instid0(VALU_DEP_2) | instskip(NEXT) | instid1(VALU_DEP_3)
	v_cndmask_b32_e32 v2, v3, v2, vcc_lo
	v_and_b32_e32 v3, 0x80000000, v4
	s_delay_alu instid0(VALU_DEP_3) | instskip(NEXT) | instid1(VALU_DEP_3)
	v_lshl_add_u32 v4, v5, 23, 0x37800000
	v_lshlrev_b32_e32 v2, 21, v2
	s_delay_alu instid0(VALU_DEP_1) | instskip(NEXT) | instid1(VALU_DEP_1)
	v_or3_b32 v2, v3, v4, v2
	v_cvt_f64_f32_e32 v[2:3], v2
.LBB70_176:
	s_or_b32 exec_lo, exec_lo, s12
	s_mov_b32 s1, 0
	s_branch .LBB70_182
.LBB70_177:
	s_mov_b32 s12, -1
                                        ; implicit-def: $vgpr2_vgpr3
	s_branch .LBB70_188
.LBB70_178:
	s_or_saveexec_b32 s12, s12
	v_mov_b64_e32 v[2:3], 0x7ff8000020000000
	s_xor_b32 exec_lo, exec_lo, s12
	s_cbranch_execz .LBB70_162
.LBB70_179:
	v_cmp_ne_u16_e32 vcc_lo, 0, v4
	v_mov_b64_e32 v[2:3], 0
	s_and_not1_b32 s1, s1, exec_lo
	s_and_b32 s17, vcc_lo, exec_lo
	s_delay_alu instid0(SALU_CYCLE_1)
	s_or_b32 s1, s1, s17
	s_or_b32 exec_lo, exec_lo, s12
	s_and_saveexec_b32 s12, s1
	s_cbranch_execnz .LBB70_163
	s_branch .LBB70_164
.LBB70_180:
	s_mov_b32 s1, -1
                                        ; implicit-def: $vgpr2_vgpr3
	s_branch .LBB70_185
.LBB70_181:
	s_mov_b32 s1, -1
                                        ; implicit-def: $vgpr2_vgpr3
.LBB70_182:
	s_delay_alu instid0(SALU_CYCLE_1)
	s_and_b32 vcc_lo, exec_lo, s1
	s_cbranch_vccz .LBB70_184
; %bb.183:
	global_load_u8 v2, v[0:1], off
	s_wait_loadcnt 0x0
	v_lshlrev_b32_e32 v2, 24, v2
	s_delay_alu instid0(VALU_DEP_1) | instskip(NEXT) | instid1(VALU_DEP_1)
	v_and_b32_e32 v3, 0x7f000000, v2
	v_clz_i32_u32_e32 v4, v3
	v_cmp_ne_u32_e32 vcc_lo, 0, v3
	v_add_nc_u32_e32 v6, 0x1000000, v3
	s_delay_alu instid0(VALU_DEP_3) | instskip(NEXT) | instid1(VALU_DEP_1)
	v_min_u32_e32 v4, 32, v4
	v_sub_nc_u32_e64 v4, v4, 4 clamp
	s_delay_alu instid0(VALU_DEP_1) | instskip(NEXT) | instid1(VALU_DEP_1)
	v_dual_lshlrev_b32 v5, v4, v3 :: v_dual_lshlrev_b32 v4, 23, v4
	v_lshrrev_b32_e32 v5, 4, v5
	s_delay_alu instid0(VALU_DEP_1) | instskip(NEXT) | instid1(VALU_DEP_1)
	v_dual_sub_nc_u32 v4, v5, v4 :: v_dual_ashrrev_i32 v5, 8, v6
	v_add_nc_u32_e32 v4, 0x3c000000, v4
	s_delay_alu instid0(VALU_DEP_1) | instskip(NEXT) | instid1(VALU_DEP_1)
	v_and_or_b32 v4, 0x7f800000, v5, v4
	v_cndmask_b32_e32 v3, 0, v4, vcc_lo
	s_delay_alu instid0(VALU_DEP_1) | instskip(NEXT) | instid1(VALU_DEP_1)
	v_and_or_b32 v2, 0x80000000, v2, v3
	v_cvt_f64_f32_e32 v[2:3], v2
.LBB70_184:
	s_mov_b32 s1, 0
.LBB70_185:
	s_delay_alu instid0(SALU_CYCLE_1)
	s_and_not1_b32 vcc_lo, exec_lo, s1
	s_cbranch_vccnz .LBB70_187
; %bb.186:
	global_load_u8 v2, v[0:1], off
	s_wait_loadcnt 0x0
	v_lshlrev_b32_e32 v3, 25, v2
	v_lshlrev_b16 v2, 8, v2
	s_delay_alu instid0(VALU_DEP_1) | instskip(SKIP_1) | instid1(VALU_DEP_2)
	v_and_or_b32 v5, 0x7f00, v2, 0.5
	v_bfe_i32 v2, v2, 0, 16
	v_dual_add_f32 v5, -0.5, v5 :: v_dual_lshrrev_b32 v4, 4, v3
	v_cmp_gt_u32_e32 vcc_lo, 0x8000000, v3
	s_delay_alu instid0(VALU_DEP_2) | instskip(NEXT) | instid1(VALU_DEP_1)
	v_or_b32_e32 v4, 0x70000000, v4
	v_mul_f32_e32 v4, 0x7800000, v4
	s_delay_alu instid0(VALU_DEP_1) | instskip(NEXT) | instid1(VALU_DEP_1)
	v_cndmask_b32_e32 v3, v4, v5, vcc_lo
	v_and_or_b32 v2, 0x80000000, v2, v3
	s_delay_alu instid0(VALU_DEP_1)
	v_cvt_f64_f32_e32 v[2:3], v2
.LBB70_187:
	s_mov_b32 s12, 0
	s_mov_b32 s1, -1
.LBB70_188:
	s_and_not1_b32 vcc_lo, exec_lo, s12
	s_cbranch_vccnz .LBB70_201
; %bb.189:
	s_cmp_gt_i32 s0, 14
	s_cbranch_scc0 .LBB70_192
; %bb.190:
	s_cmp_eq_u32 s0, 15
	s_cbranch_scc0 .LBB70_195
; %bb.191:
	global_load_u16 v2, v[0:1], off
	s_mov_b32 s1, -1
	s_mov_b32 s14, 0
	s_wait_loadcnt 0x0
	v_lshlrev_b32_e32 v2, 16, v2
	s_delay_alu instid0(VALU_DEP_1)
	v_cvt_f64_f32_e32 v[2:3], v2
	s_branch .LBB70_196
.LBB70_192:
	s_mov_b32 s12, -1
                                        ; implicit-def: $vgpr2_vgpr3
	s_branch .LBB70_197
.LBB70_193:
	s_or_saveexec_b32 s12, s12
	v_mov_b64_e32 v[2:3], 0x7ff8000020000000
	s_xor_b32 exec_lo, exec_lo, s12
	s_cbranch_execz .LBB70_174
.LBB70_194:
	v_cmp_ne_u16_e32 vcc_lo, 0, v4
	v_mov_b64_e32 v[2:3], 0
	s_and_not1_b32 s1, s1, exec_lo
	s_and_b32 s17, vcc_lo, exec_lo
	s_delay_alu instid0(SALU_CYCLE_1)
	s_or_b32 s1, s1, s17
	s_or_b32 exec_lo, exec_lo, s12
	s_and_saveexec_b32 s12, s1
	s_cbranch_execnz .LBB70_175
	s_branch .LBB70_176
.LBB70_195:
	s_mov_b32 s14, -1
                                        ; implicit-def: $vgpr2_vgpr3
.LBB70_196:
	s_mov_b32 s12, 0
.LBB70_197:
	s_delay_alu instid0(SALU_CYCLE_1)
	s_and_b32 vcc_lo, exec_lo, s12
	s_cbranch_vccz .LBB70_201
; %bb.198:
	s_cmp_eq_u32 s0, 11
	s_cbranch_scc0 .LBB70_200
; %bb.199:
	global_load_u8 v2, v[0:1], off
	s_mov_b32 s14, 0
	s_mov_b32 s1, -1
	s_wait_loadcnt 0x0
	v_cmp_ne_u16_e32 vcc_lo, 0, v2
	v_mov_b32_e32 v2, 0
	v_cndmask_b32_e64 v3, 0, 0x3ff00000, vcc_lo
	s_branch .LBB70_201
.LBB70_200:
	s_mov_b32 s14, -1
                                        ; implicit-def: $vgpr2_vgpr3
.LBB70_201:
	s_branch .LBB70_10
.LBB70_202:
	s_cmp_lt_i32 s0, 5
	s_cbranch_scc1 .LBB70_207
; %bb.203:
	s_cmp_lt_i32 s0, 8
	s_cbranch_scc1 .LBB70_208
; %bb.204:
	;; [unrolled: 3-line block ×3, first 2 shown]
	s_cmp_gt_i32 s0, 9
	s_cbranch_scc0 .LBB70_210
; %bb.206:
	global_load_b64 v[2:3], v[0:1], off
	s_mov_b32 s1, 0
	s_branch .LBB70_211
.LBB70_207:
                                        ; implicit-def: $vgpr2_vgpr3
	s_branch .LBB70_229
.LBB70_208:
	s_mov_b32 s1, -1
                                        ; implicit-def: $vgpr2_vgpr3
	s_branch .LBB70_217
.LBB70_209:
	s_mov_b32 s1, -1
                                        ; implicit-def: $vgpr2_vgpr3
	s_branch .LBB70_214
.LBB70_210:
	s_mov_b32 s1, -1
                                        ; implicit-def: $vgpr2_vgpr3
.LBB70_211:
	s_delay_alu instid0(SALU_CYCLE_1)
	s_and_not1_b32 vcc_lo, exec_lo, s1
	s_cbranch_vccnz .LBB70_213
; %bb.212:
	s_wait_loadcnt 0x0
	global_load_b32 v2, v[0:1], off
	s_wait_loadcnt 0x0
	v_cvt_f64_f32_e32 v[2:3], v2
.LBB70_213:
	s_mov_b32 s1, 0
.LBB70_214:
	s_delay_alu instid0(SALU_CYCLE_1)
	s_and_not1_b32 vcc_lo, exec_lo, s1
	s_cbranch_vccnz .LBB70_216
; %bb.215:
	s_wait_loadcnt 0x0
	global_load_b32 v2, v[0:1], off
	s_wait_loadcnt 0x0
	v_cvt_f32_f16_e32 v2, v2
	s_delay_alu instid0(VALU_DEP_1)
	v_cvt_f64_f32_e32 v[2:3], v2
.LBB70_216:
	s_mov_b32 s1, 0
.LBB70_217:
	s_delay_alu instid0(SALU_CYCLE_1)
	s_and_not1_b32 vcc_lo, exec_lo, s1
	s_cbranch_vccnz .LBB70_228
; %bb.218:
	s_cmp_lt_i32 s0, 6
	s_cbranch_scc1 .LBB70_221
; %bb.219:
	s_cmp_gt_i32 s0, 6
	s_cbranch_scc0 .LBB70_222
; %bb.220:
	s_wait_loadcnt 0x0
	global_load_b64 v[2:3], v[0:1], off
	s_mov_b32 s1, 0
	s_branch .LBB70_223
.LBB70_221:
	s_mov_b32 s1, -1
                                        ; implicit-def: $vgpr2_vgpr3
	s_branch .LBB70_226
.LBB70_222:
	s_mov_b32 s1, -1
                                        ; implicit-def: $vgpr2_vgpr3
.LBB70_223:
	s_delay_alu instid0(SALU_CYCLE_1)
	s_and_not1_b32 vcc_lo, exec_lo, s1
	s_cbranch_vccnz .LBB70_225
; %bb.224:
	s_wait_loadcnt 0x0
	global_load_b32 v2, v[0:1], off
	s_wait_loadcnt 0x0
	v_cvt_f64_f32_e32 v[2:3], v2
.LBB70_225:
	s_mov_b32 s1, 0
.LBB70_226:
	s_delay_alu instid0(SALU_CYCLE_1)
	s_and_not1_b32 vcc_lo, exec_lo, s1
	s_cbranch_vccnz .LBB70_228
; %bb.227:
	s_wait_loadcnt 0x0
	global_load_u16 v2, v[0:1], off
	s_wait_loadcnt 0x0
	v_cvt_f32_f16_e32 v2, v2
	s_delay_alu instid0(VALU_DEP_1)
	v_cvt_f64_f32_e32 v[2:3], v2
.LBB70_228:
	s_cbranch_execnz .LBB70_248
.LBB70_229:
	s_cmp_lt_i32 s0, 2
	s_cbranch_scc1 .LBB70_233
; %bb.230:
	s_cmp_lt_i32 s0, 3
	s_cbranch_scc1 .LBB70_234
; %bb.231:
	s_cmp_gt_i32 s0, 3
	s_cbranch_scc0 .LBB70_235
; %bb.232:
	s_wait_loadcnt 0x0
	global_load_b64 v[2:3], v[0:1], off
	s_mov_b32 s1, 0
	s_wait_loadcnt 0x0
	v_cvt_f64_i32_e32 v[4:5], v3
	v_cvt_f64_u32_e32 v[2:3], v2
	s_delay_alu instid0(VALU_DEP_2) | instskip(NEXT) | instid1(VALU_DEP_1)
	v_ldexp_f64 v[4:5], v[4:5], 32
	v_add_f64_e32 v[2:3], v[4:5], v[2:3]
	s_branch .LBB70_236
.LBB70_233:
	s_mov_b32 s1, -1
                                        ; implicit-def: $vgpr2_vgpr3
	s_branch .LBB70_242
.LBB70_234:
	s_mov_b32 s1, -1
                                        ; implicit-def: $vgpr2_vgpr3
	s_branch .LBB70_239
.LBB70_235:
	s_mov_b32 s1, -1
                                        ; implicit-def: $vgpr2_vgpr3
.LBB70_236:
	s_delay_alu instid0(SALU_CYCLE_1)
	s_and_not1_b32 vcc_lo, exec_lo, s1
	s_cbranch_vccnz .LBB70_238
; %bb.237:
	s_wait_loadcnt 0x0
	global_load_b32 v2, v[0:1], off
	s_wait_loadcnt 0x0
	v_cvt_f64_i32_e32 v[2:3], v2
.LBB70_238:
	s_mov_b32 s1, 0
.LBB70_239:
	s_delay_alu instid0(SALU_CYCLE_1)
	s_and_not1_b32 vcc_lo, exec_lo, s1
	s_cbranch_vccnz .LBB70_241
; %bb.240:
	s_wait_loadcnt 0x0
	global_load_i16 v2, v[0:1], off
	s_wait_loadcnt 0x0
	v_cvt_f64_i32_e32 v[2:3], v2
.LBB70_241:
	s_mov_b32 s1, 0
.LBB70_242:
	s_delay_alu instid0(SALU_CYCLE_1)
	s_and_not1_b32 vcc_lo, exec_lo, s1
	s_cbranch_vccnz .LBB70_248
; %bb.243:
	s_cmp_gt_i32 s0, 0
	s_mov_b32 s0, 0
	s_cbranch_scc0 .LBB70_245
; %bb.244:
	s_wait_loadcnt 0x0
	global_load_i8 v2, v[0:1], off
	s_wait_loadcnt 0x0
	v_cvt_f64_i32_e32 v[2:3], v2
	s_branch .LBB70_246
.LBB70_245:
	s_mov_b32 s0, -1
                                        ; implicit-def: $vgpr2_vgpr3
.LBB70_246:
	s_delay_alu instid0(SALU_CYCLE_1)
	s_and_not1_b32 vcc_lo, exec_lo, s0
	s_cbranch_vccnz .LBB70_248
; %bb.247:
	global_load_u8 v0, v[0:1], off
	s_wait_loadcnt 0x0
	v_cvt_f64_u32_e32 v[2:3], v0
.LBB70_248:
	s_branch .LBB70_11
.LBB70_249:
	s_mov_b32 s1, 0
.LBB70_250:
	s_mov_b32 s0, 0
                                        ; implicit-def: $vgpr10
.LBB70_251:
	s_and_b32 s12, s1, exec_lo
	s_and_b32 s14, s14, exec_lo
	s_or_not1_b32 s1, s0, exec_lo
.LBB70_252:
	s_wait_xcnt 0x0
	s_or_b32 exec_lo, exec_lo, s15
	s_mov_b32 s17, 0
	s_mov_b32 s0, 0
                                        ; implicit-def: $vgpr0_vgpr1
                                        ; implicit-def: $vgpr2_vgpr3
	s_and_saveexec_b32 s15, s1
	s_cbranch_execz .LBB70_261
; %bb.253:
	s_mov_b32 s0, -1
	s_mov_b32 s16, s14
	s_mov_b32 s17, s12
	s_mov_b32 s18, exec_lo
	v_cmpx_gt_i32_e64 s13, v10
	s_cbranch_execz .LBB70_515
; %bb.254:
	v_mul_lo_u32 v0, v10, s3
	s_and_b32 s0, 0xffff, s10
	s_delay_alu instid0(SALU_CYCLE_1) | instskip(NEXT) | instid1(VALU_DEP_1)
	s_cmp_lt_i32 s0, 11
	v_ashrrev_i32_e32 v1, 31, v0
	s_delay_alu instid0(VALU_DEP_1)
	v_add_nc_u64_e32 v[0:1], s[6:7], v[0:1]
	s_cbranch_scc1 .LBB70_264
; %bb.255:
	s_cmp_gt_i32 s0, 25
	s_cbranch_scc0 .LBB70_273
; %bb.256:
	s_cmp_gt_i32 s0, 28
	s_cbranch_scc0 .LBB70_275
	;; [unrolled: 3-line block ×4, first 2 shown]
; %bb.259:
	s_cmp_eq_u32 s0, 46
	s_mov_b32 s17, 0
	s_cbranch_scc0 .LBB70_285
; %bb.260:
	s_wait_loadcnt 0x0
	global_load_b32 v2, v[0:1], off
	s_mov_b32 s1, -1
	s_mov_b32 s16, 0
	s_wait_loadcnt 0x0
	v_lshlrev_b32_e32 v2, 16, v2
	s_delay_alu instid0(VALU_DEP_1)
	v_cvt_f64_f32_e32 v[2:3], v2
	s_branch .LBB70_287
.LBB70_261:
	s_or_b32 exec_lo, exec_lo, s15
	s_mov_b32 s1, 0
	s_and_saveexec_b32 s13, s14
	s_cbranch_execnz .LBB70_863
.LBB70_262:
	s_or_b32 exec_lo, exec_lo, s13
	s_and_saveexec_b32 s13, s16
	s_delay_alu instid0(SALU_CYCLE_1)
	s_xor_b32 s13, exec_lo, s13
	s_cbranch_execz .LBB70_864
.LBB70_263:
	s_wait_loadcnt 0x0
	global_load_u8 v2, v[0:1], off
	s_or_b32 s0, s0, exec_lo
	s_wait_loadcnt 0x0
	v_cmp_ne_u16_e32 vcc_lo, 0, v2
	v_mov_b32_e32 v2, 0
	v_cndmask_b32_e64 v3, 0, 0x3ff00000, vcc_lo
	s_wait_xcnt 0x0
	s_or_b32 exec_lo, exec_lo, s13
	s_and_saveexec_b32 s13, s17
	s_cbranch_execz .LBB70_910
	s_branch .LBB70_865
.LBB70_264:
	s_mov_b32 s1, 0
	s_mov_b32 s16, s14
                                        ; implicit-def: $vgpr2_vgpr3
	s_cbranch_execnz .LBB70_464
.LBB70_265:
	s_and_not1_b32 vcc_lo, exec_lo, s1
	s_cbranch_vccnz .LBB70_512
.LBB70_266:
	s_wait_loadcnt 0x0
	s_delay_alu instid0(VALU_DEP_1) | instskip(SKIP_3) | instid1(SALU_CYCLE_1)
	v_cmp_eq_f64_e64 s0, 0xfff00000, v[2:3]
	s_wait_xcnt 0x0
	v_mul_lo_u32 v0, v10, s2
	s_and_b32 s17, s8, 0xff
	s_cmp_lt_i32 s17, 11
	s_delay_alu instid0(VALU_DEP_1) | instskip(NEXT) | instid1(VALU_DEP_1)
	v_ashrrev_i32_e32 v1, 31, v0
	v_add_nc_u64_e32 v[0:1], s[4:5], v[0:1]
	s_cbranch_scc1 .LBB70_274
; %bb.267:
	s_and_b32 s19, 0xffff, s17
	s_delay_alu instid0(SALU_CYCLE_1)
	s_cmp_gt_i32 s19, 25
	s_cbranch_scc0 .LBB70_276
; %bb.268:
	s_cmp_gt_i32 s19, 28
	s_cbranch_scc0 .LBB70_278
; %bb.269:
	;; [unrolled: 3-line block ×4, first 2 shown]
	s_mov_b32 s21, 0
	s_mov_b32 s1, -1
	s_cmp_eq_u32 s19, 46
	s_mov_b32 s20, 0
	s_cbranch_scc0 .LBB70_291
; %bb.272:
	v_cndmask_b32_e64 v2, 0, 1.0, s0
	s_mov_b32 s20, -1
	s_mov_b32 s1, 0
	s_delay_alu instid0(VALU_DEP_1) | instskip(NEXT) | instid1(VALU_DEP_1)
	v_bfe_u32 v3, v2, 16, 1
	v_add3_u32 v2, v2, v3, 0x7fff
	s_delay_alu instid0(VALU_DEP_1)
	v_lshrrev_b32_e32 v2, 16, v2
	global_store_b32 v[0:1], v2, off
	s_branch .LBB70_291
.LBB70_273:
	s_mov_b32 s17, -1
	s_mov_b32 s1, 0
	s_mov_b32 s16, s14
                                        ; implicit-def: $vgpr2_vgpr3
	s_branch .LBB70_428
.LBB70_274:
	s_mov_b32 s19, -1
	s_mov_b32 s20, 0
	s_mov_b32 s1, s12
	s_branch .LBB70_360
.LBB70_275:
	s_mov_b32 s17, -1
	s_mov_b32 s1, 0
	s_mov_b32 s16, s14
                                        ; implicit-def: $vgpr2_vgpr3
	s_branch .LBB70_409
.LBB70_276:
	s_mov_b32 s21, -1
	s_mov_b32 s20, 0
	s_mov_b32 s1, s12
	s_branch .LBB70_318
.LBB70_277:
	s_mov_b32 s17, -1
	s_mov_b32 s1, 0
	s_mov_b32 s16, s14
                                        ; implicit-def: $vgpr2_vgpr3
	s_branch .LBB70_404
.LBB70_278:
	s_mov_b32 s21, -1
	s_mov_b32 s20, 0
	s_mov_b32 s1, s12
	s_branch .LBB70_301
.LBB70_279:
	s_and_not1_saveexec_b32 s20, s20
	s_cbranch_execz .LBB70_54
.LBB70_280:
	v_add_f32_e32 v2, 0x46000000, v3
	s_and_not1_b32 s19, s19, exec_lo
	s_delay_alu instid0(VALU_DEP_1) | instskip(NEXT) | instid1(VALU_DEP_1)
	v_and_b32_e32 v2, 0xff, v2
	v_cmp_ne_u32_e32 vcc_lo, 0, v2
	s_and_b32 s21, vcc_lo, exec_lo
	s_delay_alu instid0(SALU_CYCLE_1)
	s_or_b32 s19, s19, s21
	s_or_b32 exec_lo, exec_lo, s20
	v_mov_b32_e32 v4, 0
	s_and_saveexec_b32 s20, s19
	s_cbranch_execnz .LBB70_55
	s_branch .LBB70_56
.LBB70_281:
	s_mov_b32 s17, -1
	s_mov_b32 s1, 0
	s_mov_b32 s16, s14
	s_branch .LBB70_286
.LBB70_282:
	s_mov_b32 s21, -1
	s_mov_b32 s20, 0
	s_mov_b32 s1, s12
	s_branch .LBB70_297
.LBB70_283:
	s_and_not1_saveexec_b32 s20, s20
	s_cbranch_execz .LBB70_67
.LBB70_284:
	v_add_f32_e32 v2, 0x42800000, v3
	s_and_not1_b32 s19, s19, exec_lo
	s_delay_alu instid0(VALU_DEP_1) | instskip(NEXT) | instid1(VALU_DEP_1)
	v_and_b32_e32 v2, 0xff, v2
	v_cmp_ne_u32_e32 vcc_lo, 0, v2
	s_and_b32 s21, vcc_lo, exec_lo
	s_delay_alu instid0(SALU_CYCLE_1)
	s_or_b32 s19, s19, s21
	s_or_b32 exec_lo, exec_lo, s20
	v_mov_b32_e32 v4, 0
	s_and_saveexec_b32 s20, s19
	s_cbranch_execnz .LBB70_68
	s_branch .LBB70_69
.LBB70_285:
	s_mov_b32 s16, -1
	s_mov_b32 s1, 0
.LBB70_286:
                                        ; implicit-def: $vgpr2_vgpr3
.LBB70_287:
	s_and_b32 vcc_lo, exec_lo, s17
	s_cbranch_vccz .LBB70_403
; %bb.288:
	s_cmp_eq_u32 s0, 44
	s_cbranch_scc0 .LBB70_402
; %bb.289:
	global_load_u8 v4, v[0:1], off
	s_mov_b32 s16, 0
	s_mov_b32 s1, -1
	s_wait_loadcnt 0x0
	v_cmp_ne_u32_e32 vcc_lo, 0xff, v4
	v_lshlrev_b32_e32 v2, 23, v4
	s_delay_alu instid0(VALU_DEP_1) | instskip(NEXT) | instid1(VALU_DEP_1)
	v_cvt_f64_f32_e32 v[2:3], v2
	v_cndmask_b32_e32 v2, 0x20000000, v2, vcc_lo
	s_delay_alu instid0(VALU_DEP_2) | instskip(SKIP_1) | instid1(VALU_DEP_2)
	v_cndmask_b32_e32 v3, 0x7ff80000, v3, vcc_lo
	v_cmp_ne_u32_e32 vcc_lo, 0, v4
	v_cndmask_b32_e32 v3, 0x38000000, v3, vcc_lo
	s_delay_alu instid0(VALU_DEP_4)
	v_cndmask_b32_e32 v2, 0, v2, vcc_lo
	s_branch .LBB70_403
.LBB70_290:
	s_mov_b32 s21, -1
	s_mov_b32 s20, 0
	s_mov_b32 s1, s12
.LBB70_291:
	s_and_b32 vcc_lo, exec_lo, s21
	s_cbranch_vccz .LBB70_296
; %bb.292:
	s_cmp_eq_u32 s19, 44
	s_mov_b32 s1, -1
	s_cbranch_scc0 .LBB70_296
; %bb.293:
	v_cndmask_b32_e64 v4, 0, 1.0, s0
	s_mov_b32 s20, exec_lo
	s_wait_xcnt 0x0
	s_delay_alu instid0(VALU_DEP_1) | instskip(NEXT) | instid1(VALU_DEP_1)
	v_dual_mov_b32 v3, 0xff :: v_dual_lshrrev_b32 v2, 23, v4
	v_cmpx_ne_u32_e32 0xff, v2
; %bb.294:
	v_and_b32_e32 v3, 0x400000, v4
	v_and_or_b32 v4, 0x3fffff, v4, v2
	s_delay_alu instid0(VALU_DEP_2) | instskip(NEXT) | instid1(VALU_DEP_2)
	v_cmp_ne_u32_e32 vcc_lo, 0, v3
	v_cmp_ne_u32_e64 s1, 0, v4
	s_and_b32 s1, vcc_lo, s1
	s_delay_alu instid0(SALU_CYCLE_1) | instskip(NEXT) | instid1(VALU_DEP_1)
	v_cndmask_b32_e64 v3, 0, 1, s1
	v_add_nc_u32_e32 v3, v2, v3
; %bb.295:
	s_or_b32 exec_lo, exec_lo, s20
	s_mov_b32 s20, -1
	s_mov_b32 s1, 0
	global_store_b8 v[0:1], v3, off
.LBB70_296:
	s_mov_b32 s21, 0
.LBB70_297:
	s_delay_alu instid0(SALU_CYCLE_1)
	s_and_b32 vcc_lo, exec_lo, s21
	s_cbranch_vccz .LBB70_300
; %bb.298:
	s_cmp_eq_u32 s19, 29
	s_mov_b32 s1, -1
	s_cbranch_scc0 .LBB70_300
; %bb.299:
	s_mov_b32 s1, 0
	s_wait_xcnt 0x0
	v_cndmask_b32_e64 v2, 0, 1, s0
	v_mov_b32_e32 v3, s1
	s_mov_b32 s20, -1
	s_mov_b32 s21, 0
	global_store_b64 v[0:1], v[2:3], off
	s_branch .LBB70_301
.LBB70_300:
	s_mov_b32 s21, 0
.LBB70_301:
	s_delay_alu instid0(SALU_CYCLE_1)
	s_and_b32 vcc_lo, exec_lo, s21
	s_cbranch_vccz .LBB70_317
; %bb.302:
	s_cmp_lt_i32 s19, 27
	s_mov_b32 s20, -1
	s_cbranch_scc1 .LBB70_308
; %bb.303:
	s_cmp_gt_i32 s19, 27
	s_cbranch_scc0 .LBB70_305
; %bb.304:
	s_wait_xcnt 0x0
	v_cndmask_b32_e64 v2, 0, 1, s0
	s_mov_b32 s20, 0
	global_store_b32 v[0:1], v2, off
.LBB70_305:
	s_and_not1_b32 vcc_lo, exec_lo, s20
	s_cbranch_vccnz .LBB70_307
; %bb.306:
	s_wait_xcnt 0x0
	v_cndmask_b32_e64 v2, 0, 1, s0
	global_store_b16 v[0:1], v2, off
.LBB70_307:
	s_mov_b32 s20, 0
.LBB70_308:
	s_delay_alu instid0(SALU_CYCLE_1)
	s_and_not1_b32 vcc_lo, exec_lo, s20
	s_cbranch_vccnz .LBB70_316
; %bb.309:
	s_wait_xcnt 0x0
	v_cndmask_b32_e64 v3, 0, 1.0, s0
	v_mov_b32_e32 v4, 0x80
	s_mov_b32 s20, exec_lo
	s_delay_alu instid0(VALU_DEP_2)
	v_cmpx_gt_u32_e32 0x43800000, v3
	s_cbranch_execz .LBB70_315
; %bb.310:
	s_mov_b32 s21, 0
	s_mov_b32 s22, exec_lo
                                        ; implicit-def: $vgpr2
	v_cmpx_lt_u32_e32 0x3bffffff, v3
	s_xor_b32 s22, exec_lo, s22
	s_cbranch_execz .LBB70_528
; %bb.311:
	v_bfe_u32 v2, v3, 20, 1
	s_mov_b32 s21, exec_lo
	s_delay_alu instid0(VALU_DEP_1) | instskip(NEXT) | instid1(VALU_DEP_1)
	v_add3_u32 v2, v3, v2, 0x487ffff
                                        ; implicit-def: $vgpr3
	v_lshrrev_b32_e32 v2, 20, v2
	s_and_not1_saveexec_b32 s22, s22
	s_cbranch_execnz .LBB70_529
.LBB70_312:
	s_or_b32 exec_lo, exec_lo, s22
	v_mov_b32_e32 v4, 0
	s_and_saveexec_b32 s22, s21
.LBB70_313:
	v_mov_b32_e32 v4, v2
.LBB70_314:
	s_or_b32 exec_lo, exec_lo, s22
.LBB70_315:
	s_delay_alu instid0(SALU_CYCLE_1)
	s_or_b32 exec_lo, exec_lo, s20
	global_store_b8 v[0:1], v4, off
.LBB70_316:
	s_mov_b32 s20, -1
.LBB70_317:
	s_mov_b32 s21, 0
.LBB70_318:
	s_delay_alu instid0(SALU_CYCLE_1)
	s_and_b32 vcc_lo, exec_lo, s21
	s_cbranch_vccz .LBB70_359
; %bb.319:
	s_cmp_gt_i32 s19, 22
	s_mov_b32 s21, -1
	s_cbranch_scc0 .LBB70_351
; %bb.320:
	s_cmp_lt_i32 s19, 24
	s_mov_b32 s20, -1
	s_cbranch_scc1 .LBB70_340
; %bb.321:
	s_cmp_gt_i32 s19, 24
	s_cbranch_scc0 .LBB70_329
; %bb.322:
	s_wait_xcnt 0x0
	v_cndmask_b32_e64 v3, 0, 1.0, s0
	v_mov_b32_e32 v4, 0x80
	s_mov_b32 s20, exec_lo
	s_delay_alu instid0(VALU_DEP_2)
	v_cmpx_gt_u32_e32 0x47800000, v3
	s_cbranch_execz .LBB70_328
; %bb.323:
	s_mov_b32 s21, 0
	s_mov_b32 s22, exec_lo
                                        ; implicit-def: $vgpr2
	v_cmpx_lt_u32_e32 0x37ffffff, v3
	s_xor_b32 s22, exec_lo, s22
	s_cbranch_execz .LBB70_531
; %bb.324:
	v_bfe_u32 v2, v3, 21, 1
	s_mov_b32 s21, exec_lo
	s_delay_alu instid0(VALU_DEP_1) | instskip(NEXT) | instid1(VALU_DEP_1)
	v_add3_u32 v2, v3, v2, 0x88fffff
                                        ; implicit-def: $vgpr3
	v_lshrrev_b32_e32 v2, 21, v2
	s_and_not1_saveexec_b32 s22, s22
	s_cbranch_execnz .LBB70_532
.LBB70_325:
	s_or_b32 exec_lo, exec_lo, s22
	v_mov_b32_e32 v4, 0
	s_and_saveexec_b32 s22, s21
.LBB70_326:
	v_mov_b32_e32 v4, v2
.LBB70_327:
	s_or_b32 exec_lo, exec_lo, s22
.LBB70_328:
	s_delay_alu instid0(SALU_CYCLE_1)
	s_or_b32 exec_lo, exec_lo, s20
	s_mov_b32 s20, 0
	global_store_b8 v[0:1], v4, off
.LBB70_329:
	s_and_b32 vcc_lo, exec_lo, s20
	s_cbranch_vccz .LBB70_339
; %bb.330:
	s_wait_xcnt 0x0
	v_cndmask_b32_e64 v3, 0, 1.0, s0
	s_mov_b32 s20, exec_lo
                                        ; implicit-def: $vgpr2
	s_delay_alu instid0(VALU_DEP_1)
	v_cmpx_gt_u32_e32 0x43f00000, v3
	s_xor_b32 s20, exec_lo, s20
	s_cbranch_execz .LBB70_336
; %bb.331:
	s_mov_b32 s21, exec_lo
                                        ; implicit-def: $vgpr2
	v_cmpx_lt_u32_e32 0x3c7fffff, v3
	s_xor_b32 s21, exec_lo, s21
; %bb.332:
	v_bfe_u32 v2, v3, 20, 1
	s_delay_alu instid0(VALU_DEP_1) | instskip(NEXT) | instid1(VALU_DEP_1)
	v_add3_u32 v2, v3, v2, 0x407ffff
	v_and_b32_e32 v3, 0xff00000, v2
	v_lshrrev_b32_e32 v2, 20, v2
	s_delay_alu instid0(VALU_DEP_2) | instskip(NEXT) | instid1(VALU_DEP_2)
	v_cmp_ne_u32_e32 vcc_lo, 0x7f00000, v3
                                        ; implicit-def: $vgpr3
	v_cndmask_b32_e32 v2, 0x7e, v2, vcc_lo
; %bb.333:
	s_and_not1_saveexec_b32 s21, s21
; %bb.334:
	v_add_f32_e32 v2, 0x46800000, v3
; %bb.335:
	s_or_b32 exec_lo, exec_lo, s21
                                        ; implicit-def: $vgpr3
.LBB70_336:
	s_and_not1_saveexec_b32 s20, s20
; %bb.337:
	v_mov_b32_e32 v2, 0x7f
	v_cmp_lt_u32_e32 vcc_lo, 0x7f800000, v3
	s_delay_alu instid0(VALU_DEP_2)
	v_cndmask_b32_e32 v2, 0x7e, v2, vcc_lo
; %bb.338:
	s_or_b32 exec_lo, exec_lo, s20
	global_store_b8 v[0:1], v2, off
.LBB70_339:
	s_mov_b32 s20, 0
.LBB70_340:
	s_delay_alu instid0(SALU_CYCLE_1)
	s_and_not1_b32 vcc_lo, exec_lo, s20
	s_cbranch_vccnz .LBB70_350
; %bb.341:
	s_wait_xcnt 0x0
	v_cndmask_b32_e64 v3, 0, 1.0, s0
	s_mov_b32 s20, exec_lo
                                        ; implicit-def: $vgpr2
	s_delay_alu instid0(VALU_DEP_1)
	v_cmpx_gt_u32_e32 0x47800000, v3
	s_xor_b32 s20, exec_lo, s20
	s_cbranch_execz .LBB70_347
; %bb.342:
	s_mov_b32 s21, exec_lo
                                        ; implicit-def: $vgpr2
	v_cmpx_lt_u32_e32 0x387fffff, v3
	s_xor_b32 s21, exec_lo, s21
; %bb.343:
	v_bfe_u32 v2, v3, 21, 1
	s_delay_alu instid0(VALU_DEP_1) | instskip(NEXT) | instid1(VALU_DEP_1)
	v_add3_u32 v2, v3, v2, 0x80fffff
                                        ; implicit-def: $vgpr3
	v_lshrrev_b32_e32 v2, 21, v2
; %bb.344:
	s_and_not1_saveexec_b32 s21, s21
; %bb.345:
	v_add_f32_e32 v2, 0x43000000, v3
; %bb.346:
	s_or_b32 exec_lo, exec_lo, s21
                                        ; implicit-def: $vgpr3
.LBB70_347:
	s_and_not1_saveexec_b32 s20, s20
; %bb.348:
	v_mov_b32_e32 v2, 0x7f
	v_cmp_lt_u32_e32 vcc_lo, 0x7f800000, v3
	s_delay_alu instid0(VALU_DEP_2)
	v_cndmask_b32_e32 v2, 0x7c, v2, vcc_lo
; %bb.349:
	s_or_b32 exec_lo, exec_lo, s20
	global_store_b8 v[0:1], v2, off
.LBB70_350:
	s_mov_b32 s21, 0
	s_mov_b32 s20, -1
.LBB70_351:
	s_and_not1_b32 vcc_lo, exec_lo, s21
	s_cbranch_vccnz .LBB70_359
; %bb.352:
	s_cmp_gt_i32 s19, 14
	s_mov_b32 s21, -1
	s_cbranch_scc0 .LBB70_356
; %bb.353:
	s_cmp_eq_u32 s19, 15
	s_mov_b32 s1, -1
	s_cbranch_scc0 .LBB70_355
; %bb.354:
	s_wait_xcnt 0x0
	v_cndmask_b32_e64 v2, 0, 1.0, s0
	s_mov_b32 s20, -1
	s_mov_b32 s1, 0
	s_delay_alu instid0(VALU_DEP_1) | instskip(NEXT) | instid1(VALU_DEP_1)
	v_bfe_u32 v3, v2, 16, 1
	v_add3_u32 v2, v2, v3, 0x7fff
	global_store_d16_hi_b16 v[0:1], v2, off
.LBB70_355:
	s_mov_b32 s21, 0
.LBB70_356:
	s_delay_alu instid0(SALU_CYCLE_1)
	s_and_b32 vcc_lo, exec_lo, s21
	s_cbranch_vccz .LBB70_359
; %bb.357:
	s_cmp_eq_u32 s19, 11
	s_mov_b32 s1, -1
	s_cbranch_scc0 .LBB70_359
; %bb.358:
	s_wait_xcnt 0x0
	v_cndmask_b32_e64 v2, 0, 1, s0
	s_mov_b32 s20, -1
	s_mov_b32 s1, 0
	global_store_b8 v[0:1], v2, off
.LBB70_359:
	s_mov_b32 s19, 0
.LBB70_360:
	s_delay_alu instid0(SALU_CYCLE_1)
	s_and_b32 vcc_lo, exec_lo, s19
	s_cbranch_vccz .LBB70_399
; %bb.361:
	s_and_b32 s17, 0xffff, s17
	s_mov_b32 s19, -1
	s_cmp_lt_i32 s17, 5
	s_cbranch_scc1 .LBB70_382
; %bb.362:
	s_cmp_lt_i32 s17, 8
	s_cbranch_scc1 .LBB70_372
; %bb.363:
	;; [unrolled: 3-line block ×3, first 2 shown]
	s_cmp_gt_i32 s17, 9
	s_cbranch_scc0 .LBB70_366
; %bb.365:
	s_wait_xcnt 0x0
	v_cndmask_b32_e64 v2, 0, 1, s0
	v_mov_b32_e32 v4, 0
	s_mov_b32 s19, 0
	s_delay_alu instid0(VALU_DEP_2) | instskip(NEXT) | instid1(VALU_DEP_2)
	v_cvt_f64_u32_e32 v[2:3], v2
	v_mov_b32_e32 v5, v4
	global_store_b128 v[0:1], v[2:5], off
.LBB70_366:
	s_and_not1_b32 vcc_lo, exec_lo, s19
	s_cbranch_vccnz .LBB70_368
; %bb.367:
	s_wait_xcnt 0x0
	v_cndmask_b32_e64 v2, 0, 1.0, s0
	v_mov_b32_e32 v3, 0
	global_store_b64 v[0:1], v[2:3], off
.LBB70_368:
	s_mov_b32 s19, 0
.LBB70_369:
	s_delay_alu instid0(SALU_CYCLE_1)
	s_and_not1_b32 vcc_lo, exec_lo, s19
	s_cbranch_vccnz .LBB70_371
; %bb.370:
	s_wait_xcnt 0x0
	v_cndmask_b32_e64 v2, 0, 1.0, s0
	s_delay_alu instid0(VALU_DEP_1) | instskip(NEXT) | instid1(VALU_DEP_1)
	v_cvt_f16_f32_e32 v2, v2
	v_and_b32_e32 v2, 0xffff, v2
	global_store_b32 v[0:1], v2, off
.LBB70_371:
	s_mov_b32 s19, 0
.LBB70_372:
	s_delay_alu instid0(SALU_CYCLE_1)
	s_and_not1_b32 vcc_lo, exec_lo, s19
	s_cbranch_vccnz .LBB70_381
; %bb.373:
	s_cmp_lt_i32 s17, 6
	s_mov_b32 s19, -1
	s_cbranch_scc1 .LBB70_379
; %bb.374:
	s_cmp_gt_i32 s17, 6
	s_cbranch_scc0 .LBB70_376
; %bb.375:
	s_wait_xcnt 0x0
	v_cndmask_b32_e64 v2, 0, 1, s0
	s_mov_b32 s19, 0
	s_delay_alu instid0(VALU_DEP_1)
	v_cvt_f64_u32_e32 v[2:3], v2
	global_store_b64 v[0:1], v[2:3], off
.LBB70_376:
	s_and_not1_b32 vcc_lo, exec_lo, s19
	s_cbranch_vccnz .LBB70_378
; %bb.377:
	s_wait_xcnt 0x0
	v_cndmask_b32_e64 v2, 0, 1.0, s0
	global_store_b32 v[0:1], v2, off
.LBB70_378:
	s_mov_b32 s19, 0
.LBB70_379:
	s_delay_alu instid0(SALU_CYCLE_1)
	s_and_not1_b32 vcc_lo, exec_lo, s19
	s_cbranch_vccnz .LBB70_381
; %bb.380:
	s_wait_xcnt 0x0
	v_cndmask_b32_e64 v2, 0, 1.0, s0
	s_delay_alu instid0(VALU_DEP_1)
	v_cvt_f16_f32_e32 v2, v2
	global_store_b16 v[0:1], v2, off
.LBB70_381:
	s_mov_b32 s19, 0
.LBB70_382:
	s_delay_alu instid0(SALU_CYCLE_1)
	s_and_not1_b32 vcc_lo, exec_lo, s19
	s_cbranch_vccnz .LBB70_398
; %bb.383:
	s_cmp_lt_i32 s17, 2
	s_mov_b32 s19, -1
	s_cbranch_scc1 .LBB70_393
; %bb.384:
	s_cmp_lt_i32 s17, 3
	s_cbranch_scc1 .LBB70_390
; %bb.385:
	s_cmp_gt_i32 s17, 3
	s_cbranch_scc0 .LBB70_387
; %bb.386:
	s_mov_b32 s19, 0
	s_wait_xcnt 0x0
	v_cndmask_b32_e64 v2, 0, 1, s0
	v_mov_b32_e32 v3, s19
	global_store_b64 v[0:1], v[2:3], off
.LBB70_387:
	s_and_not1_b32 vcc_lo, exec_lo, s19
	s_cbranch_vccnz .LBB70_389
; %bb.388:
	s_wait_xcnt 0x0
	v_cndmask_b32_e64 v2, 0, 1, s0
	global_store_b32 v[0:1], v2, off
.LBB70_389:
	s_mov_b32 s19, 0
.LBB70_390:
	s_delay_alu instid0(SALU_CYCLE_1)
	s_and_not1_b32 vcc_lo, exec_lo, s19
	s_cbranch_vccnz .LBB70_392
; %bb.391:
	s_wait_xcnt 0x0
	v_cndmask_b32_e64 v2, 0, 1, s0
	global_store_b16 v[0:1], v2, off
.LBB70_392:
	s_mov_b32 s19, 0
.LBB70_393:
	s_delay_alu instid0(SALU_CYCLE_1)
	s_and_not1_b32 vcc_lo, exec_lo, s19
	s_cbranch_vccnz .LBB70_398
; %bb.394:
	s_wait_xcnt 0x0
	v_cndmask_b32_e64 v2, 0, 1, s0
	s_cmp_gt_i32 s17, 0
	s_mov_b32 s0, -1
	s_cbranch_scc0 .LBB70_396
; %bb.395:
	s_mov_b32 s0, 0
	global_store_b8 v[0:1], v2, off
.LBB70_396:
	s_and_not1_b32 vcc_lo, exec_lo, s0
	s_cbranch_vccnz .LBB70_398
; %bb.397:
	global_store_b8 v[0:1], v2, off
.LBB70_398:
	s_mov_b32 s20, -1
.LBB70_399:
	s_delay_alu instid0(SALU_CYCLE_1)
	s_and_not1_b32 vcc_lo, exec_lo, s20
	s_cbranch_vccnz .LBB70_401
; %bb.400:
	v_add_nc_u32_e32 v10, 0x80, v10
	s_mov_b32 s0, -1
	s_branch .LBB70_514
.LBB70_401:
	s_mov_b32 s0, 0
	s_branch .LBB70_513
.LBB70_402:
	s_mov_b32 s16, -1
                                        ; implicit-def: $vgpr2_vgpr3
.LBB70_403:
	s_mov_b32 s17, 0
.LBB70_404:
	s_delay_alu instid0(SALU_CYCLE_1)
	s_and_b32 vcc_lo, exec_lo, s17
	s_cbranch_vccz .LBB70_408
; %bb.405:
	s_cmp_eq_u32 s0, 29
	s_cbranch_scc0 .LBB70_407
; %bb.406:
	s_wait_loadcnt 0x0
	global_load_b64 v[2:3], v[0:1], off
	s_mov_b32 s1, -1
	s_mov_b32 s16, 0
	s_mov_b32 s17, 0
	s_wait_loadcnt 0x0
	v_cvt_f64_u32_e32 v[4:5], v3
	v_cvt_f64_u32_e32 v[2:3], v2
	s_delay_alu instid0(VALU_DEP_2) | instskip(NEXT) | instid1(VALU_DEP_1)
	v_ldexp_f64 v[4:5], v[4:5], 32
	v_add_f64_e32 v[2:3], v[4:5], v[2:3]
	s_branch .LBB70_409
.LBB70_407:
	s_mov_b32 s16, -1
                                        ; implicit-def: $vgpr2_vgpr3
.LBB70_408:
	s_mov_b32 s17, 0
.LBB70_409:
	s_delay_alu instid0(SALU_CYCLE_1)
	s_and_b32 vcc_lo, exec_lo, s17
	s_cbranch_vccz .LBB70_427
; %bb.410:
	s_cmp_lt_i32 s0, 27
	s_cbranch_scc1 .LBB70_413
; %bb.411:
	s_cmp_gt_i32 s0, 27
	s_cbranch_scc0 .LBB70_414
; %bb.412:
	s_wait_loadcnt 0x0
	global_load_b32 v2, v[0:1], off
	s_mov_b32 s1, 0
	s_wait_loadcnt 0x0
	v_cvt_f64_u32_e32 v[2:3], v2
	s_branch .LBB70_415
.LBB70_413:
	s_mov_b32 s1, -1
                                        ; implicit-def: $vgpr2_vgpr3
	s_branch .LBB70_418
.LBB70_414:
	s_mov_b32 s1, -1
                                        ; implicit-def: $vgpr2_vgpr3
.LBB70_415:
	s_delay_alu instid0(SALU_CYCLE_1)
	s_and_not1_b32 vcc_lo, exec_lo, s1
	s_cbranch_vccnz .LBB70_417
; %bb.416:
	s_wait_loadcnt 0x0
	global_load_u16 v2, v[0:1], off
	s_wait_loadcnt 0x0
	v_cvt_f64_u32_e32 v[2:3], v2
.LBB70_417:
	s_mov_b32 s1, 0
.LBB70_418:
	s_delay_alu instid0(SALU_CYCLE_1)
	s_and_not1_b32 vcc_lo, exec_lo, s1
	s_cbranch_vccnz .LBB70_426
; %bb.419:
	global_load_u8 v4, v[0:1], off
	s_mov_b32 s1, 0
	s_mov_b32 s17, exec_lo
	s_wait_loadcnt 0x0
	v_cmpx_lt_i16_e32 0x7f, v4
	s_xor_b32 s17, exec_lo, s17
	s_cbranch_execz .LBB70_440
; %bb.420:
	s_mov_b32 s1, -1
	s_mov_b32 s19, exec_lo
	v_cmpx_eq_u16_e32 0x80, v4
; %bb.421:
	s_xor_b32 s1, exec_lo, -1
; %bb.422:
	s_or_b32 exec_lo, exec_lo, s19
	s_delay_alu instid0(SALU_CYCLE_1)
	s_and_b32 s1, s1, exec_lo
	s_or_saveexec_b32 s17, s17
	v_mov_b64_e32 v[2:3], 0x7ff8000020000000
	s_xor_b32 exec_lo, exec_lo, s17
	s_cbranch_execnz .LBB70_441
.LBB70_423:
	s_or_b32 exec_lo, exec_lo, s17
	s_and_saveexec_b32 s17, s1
	s_cbranch_execz .LBB70_425
.LBB70_424:
	v_and_b32_e32 v2, 0xffff, v4
	s_delay_alu instid0(VALU_DEP_1) | instskip(SKIP_1) | instid1(VALU_DEP_2)
	v_and_b32_e32 v3, 7, v2
	v_bfe_u32 v7, v2, 3, 4
	v_clz_i32_u32_e32 v5, v3
	s_delay_alu instid0(VALU_DEP_2) | instskip(NEXT) | instid1(VALU_DEP_2)
	v_cmp_eq_u32_e32 vcc_lo, 0, v7
	v_min_u32_e32 v5, 32, v5
	s_delay_alu instid0(VALU_DEP_1) | instskip(NEXT) | instid1(VALU_DEP_1)
	v_subrev_nc_u32_e32 v6, 28, v5
	v_dual_lshlrev_b32 v2, v6, v2 :: v_dual_sub_nc_u32 v5, 29, v5
	s_delay_alu instid0(VALU_DEP_1) | instskip(NEXT) | instid1(VALU_DEP_2)
	v_dual_lshlrev_b32 v4, 24, v4 :: v_dual_bitop2_b32 v2, 7, v2 bitop3:0x40
	v_cndmask_b32_e32 v5, v7, v5, vcc_lo
	s_delay_alu instid0(VALU_DEP_2) | instskip(NEXT) | instid1(VALU_DEP_3)
	v_cndmask_b32_e32 v2, v3, v2, vcc_lo
	v_and_b32_e32 v3, 0x80000000, v4
	s_delay_alu instid0(VALU_DEP_3) | instskip(NEXT) | instid1(VALU_DEP_3)
	v_lshl_add_u32 v4, v5, 23, 0x3b800000
	v_lshlrev_b32_e32 v2, 20, v2
	s_delay_alu instid0(VALU_DEP_1) | instskip(NEXT) | instid1(VALU_DEP_1)
	v_or3_b32 v2, v3, v4, v2
	v_cvt_f64_f32_e32 v[2:3], v2
.LBB70_425:
	s_or_b32 exec_lo, exec_lo, s17
.LBB70_426:
	s_mov_b32 s1, -1
.LBB70_427:
	s_mov_b32 s17, 0
.LBB70_428:
	s_delay_alu instid0(SALU_CYCLE_1)
	s_and_b32 vcc_lo, exec_lo, s17
	s_cbranch_vccz .LBB70_463
; %bb.429:
	s_cmp_gt_i32 s0, 22
	s_cbranch_scc0 .LBB70_439
; %bb.430:
	s_cmp_lt_i32 s0, 24
	s_cbranch_scc1 .LBB70_442
; %bb.431:
	s_cmp_gt_i32 s0, 24
	s_cbranch_scc0 .LBB70_443
; %bb.432:
	global_load_u8 v4, v[0:1], off
	s_mov_b32 s1, 0
	s_mov_b32 s17, exec_lo
	s_wait_loadcnt 0x0
	v_cmpx_lt_i16_e32 0x7f, v4
	s_xor_b32 s17, exec_lo, s17
	s_cbranch_execz .LBB70_455
; %bb.433:
	s_mov_b32 s1, -1
	s_mov_b32 s19, exec_lo
	v_cmpx_eq_u16_e32 0x80, v4
; %bb.434:
	s_xor_b32 s1, exec_lo, -1
; %bb.435:
	s_or_b32 exec_lo, exec_lo, s19
	s_delay_alu instid0(SALU_CYCLE_1)
	s_and_b32 s1, s1, exec_lo
	s_or_saveexec_b32 s17, s17
	v_mov_b64_e32 v[2:3], 0x7ff8000020000000
	s_xor_b32 exec_lo, exec_lo, s17
	s_cbranch_execnz .LBB70_456
.LBB70_436:
	s_or_b32 exec_lo, exec_lo, s17
	s_and_saveexec_b32 s17, s1
	s_cbranch_execz .LBB70_438
.LBB70_437:
	v_and_b32_e32 v2, 0xffff, v4
	s_delay_alu instid0(VALU_DEP_1) | instskip(SKIP_1) | instid1(VALU_DEP_2)
	v_and_b32_e32 v3, 3, v2
	v_bfe_u32 v7, v2, 2, 5
	v_clz_i32_u32_e32 v5, v3
	s_delay_alu instid0(VALU_DEP_2) | instskip(NEXT) | instid1(VALU_DEP_2)
	v_cmp_eq_u32_e32 vcc_lo, 0, v7
	v_min_u32_e32 v5, 32, v5
	s_delay_alu instid0(VALU_DEP_1) | instskip(NEXT) | instid1(VALU_DEP_1)
	v_subrev_nc_u32_e32 v6, 29, v5
	v_dual_lshlrev_b32 v2, v6, v2 :: v_dual_sub_nc_u32 v5, 30, v5
	s_delay_alu instid0(VALU_DEP_1) | instskip(NEXT) | instid1(VALU_DEP_2)
	v_dual_lshlrev_b32 v4, 24, v4 :: v_dual_bitop2_b32 v2, 3, v2 bitop3:0x40
	v_cndmask_b32_e32 v5, v7, v5, vcc_lo
	s_delay_alu instid0(VALU_DEP_2) | instskip(NEXT) | instid1(VALU_DEP_3)
	v_cndmask_b32_e32 v2, v3, v2, vcc_lo
	v_and_b32_e32 v3, 0x80000000, v4
	s_delay_alu instid0(VALU_DEP_3) | instskip(NEXT) | instid1(VALU_DEP_3)
	v_lshl_add_u32 v4, v5, 23, 0x37800000
	v_lshlrev_b32_e32 v2, 21, v2
	s_delay_alu instid0(VALU_DEP_1) | instskip(NEXT) | instid1(VALU_DEP_1)
	v_or3_b32 v2, v3, v4, v2
	v_cvt_f64_f32_e32 v[2:3], v2
.LBB70_438:
	s_or_b32 exec_lo, exec_lo, s17
	s_mov_b32 s1, 0
	s_branch .LBB70_444
.LBB70_439:
	s_mov_b32 s17, -1
                                        ; implicit-def: $vgpr2_vgpr3
	s_branch .LBB70_450
.LBB70_440:
	s_or_saveexec_b32 s17, s17
	v_mov_b64_e32 v[2:3], 0x7ff8000020000000
	s_xor_b32 exec_lo, exec_lo, s17
	s_cbranch_execz .LBB70_423
.LBB70_441:
	v_cmp_ne_u16_e32 vcc_lo, 0, v4
	v_mov_b64_e32 v[2:3], 0
	s_and_not1_b32 s1, s1, exec_lo
	s_and_b32 s19, vcc_lo, exec_lo
	s_delay_alu instid0(SALU_CYCLE_1)
	s_or_b32 s1, s1, s19
	s_or_b32 exec_lo, exec_lo, s17
	s_and_saveexec_b32 s17, s1
	s_cbranch_execnz .LBB70_424
	s_branch .LBB70_425
.LBB70_442:
	s_mov_b32 s1, -1
                                        ; implicit-def: $vgpr2_vgpr3
	s_branch .LBB70_447
.LBB70_443:
	s_mov_b32 s1, -1
                                        ; implicit-def: $vgpr2_vgpr3
.LBB70_444:
	s_delay_alu instid0(SALU_CYCLE_1)
	s_and_b32 vcc_lo, exec_lo, s1
	s_cbranch_vccz .LBB70_446
; %bb.445:
	s_wait_loadcnt 0x0
	global_load_u8 v2, v[0:1], off
	s_wait_loadcnt 0x0
	v_lshlrev_b32_e32 v2, 24, v2
	s_delay_alu instid0(VALU_DEP_1) | instskip(NEXT) | instid1(VALU_DEP_1)
	v_and_b32_e32 v3, 0x7f000000, v2
	v_clz_i32_u32_e32 v4, v3
	v_cmp_ne_u32_e32 vcc_lo, 0, v3
	v_add_nc_u32_e32 v6, 0x1000000, v3
	s_delay_alu instid0(VALU_DEP_3) | instskip(NEXT) | instid1(VALU_DEP_1)
	v_min_u32_e32 v4, 32, v4
	v_sub_nc_u32_e64 v4, v4, 4 clamp
	s_delay_alu instid0(VALU_DEP_1) | instskip(NEXT) | instid1(VALU_DEP_1)
	v_dual_lshlrev_b32 v5, v4, v3 :: v_dual_lshlrev_b32 v4, 23, v4
	v_lshrrev_b32_e32 v5, 4, v5
	s_delay_alu instid0(VALU_DEP_1) | instskip(NEXT) | instid1(VALU_DEP_1)
	v_dual_sub_nc_u32 v4, v5, v4 :: v_dual_ashrrev_i32 v5, 8, v6
	v_add_nc_u32_e32 v4, 0x3c000000, v4
	s_delay_alu instid0(VALU_DEP_1) | instskip(NEXT) | instid1(VALU_DEP_1)
	v_and_or_b32 v4, 0x7f800000, v5, v4
	v_cndmask_b32_e32 v3, 0, v4, vcc_lo
	s_delay_alu instid0(VALU_DEP_1) | instskip(NEXT) | instid1(VALU_DEP_1)
	v_and_or_b32 v2, 0x80000000, v2, v3
	v_cvt_f64_f32_e32 v[2:3], v2
.LBB70_446:
	s_mov_b32 s1, 0
.LBB70_447:
	s_delay_alu instid0(SALU_CYCLE_1)
	s_and_not1_b32 vcc_lo, exec_lo, s1
	s_cbranch_vccnz .LBB70_449
; %bb.448:
	s_wait_loadcnt 0x0
	global_load_u8 v2, v[0:1], off
	s_wait_loadcnt 0x0
	v_lshlrev_b32_e32 v3, 25, v2
	v_lshlrev_b16 v2, 8, v2
	s_delay_alu instid0(VALU_DEP_1) | instskip(SKIP_1) | instid1(VALU_DEP_2)
	v_and_or_b32 v5, 0x7f00, v2, 0.5
	v_bfe_i32 v2, v2, 0, 16
	v_dual_add_f32 v5, -0.5, v5 :: v_dual_lshrrev_b32 v4, 4, v3
	v_cmp_gt_u32_e32 vcc_lo, 0x8000000, v3
	s_delay_alu instid0(VALU_DEP_2) | instskip(NEXT) | instid1(VALU_DEP_1)
	v_or_b32_e32 v4, 0x70000000, v4
	v_mul_f32_e32 v4, 0x7800000, v4
	s_delay_alu instid0(VALU_DEP_1) | instskip(NEXT) | instid1(VALU_DEP_1)
	v_cndmask_b32_e32 v3, v4, v5, vcc_lo
	v_and_or_b32 v2, 0x80000000, v2, v3
	s_delay_alu instid0(VALU_DEP_1)
	v_cvt_f64_f32_e32 v[2:3], v2
.LBB70_449:
	s_mov_b32 s17, 0
	s_mov_b32 s1, -1
.LBB70_450:
	s_and_not1_b32 vcc_lo, exec_lo, s17
	s_cbranch_vccnz .LBB70_463
; %bb.451:
	s_cmp_gt_i32 s0, 14
	s_cbranch_scc0 .LBB70_454
; %bb.452:
	s_cmp_eq_u32 s0, 15
	s_cbranch_scc0 .LBB70_457
; %bb.453:
	s_wait_loadcnt 0x0
	global_load_u16 v2, v[0:1], off
	s_mov_b32 s1, -1
	s_mov_b32 s16, 0
	s_wait_loadcnt 0x0
	v_lshlrev_b32_e32 v2, 16, v2
	s_delay_alu instid0(VALU_DEP_1)
	v_cvt_f64_f32_e32 v[2:3], v2
	s_branch .LBB70_458
.LBB70_454:
	s_mov_b32 s17, -1
                                        ; implicit-def: $vgpr2_vgpr3
	s_branch .LBB70_459
.LBB70_455:
	s_or_saveexec_b32 s17, s17
	v_mov_b64_e32 v[2:3], 0x7ff8000020000000
	s_xor_b32 exec_lo, exec_lo, s17
	s_cbranch_execz .LBB70_436
.LBB70_456:
	v_cmp_ne_u16_e32 vcc_lo, 0, v4
	v_mov_b64_e32 v[2:3], 0
	s_and_not1_b32 s1, s1, exec_lo
	s_and_b32 s19, vcc_lo, exec_lo
	s_delay_alu instid0(SALU_CYCLE_1)
	s_or_b32 s1, s1, s19
	s_or_b32 exec_lo, exec_lo, s17
	s_and_saveexec_b32 s17, s1
	s_cbranch_execnz .LBB70_437
	s_branch .LBB70_438
.LBB70_457:
	s_mov_b32 s16, -1
                                        ; implicit-def: $vgpr2_vgpr3
.LBB70_458:
	s_mov_b32 s17, 0
.LBB70_459:
	s_delay_alu instid0(SALU_CYCLE_1)
	s_and_b32 vcc_lo, exec_lo, s17
	s_cbranch_vccz .LBB70_463
; %bb.460:
	s_cmp_eq_u32 s0, 11
	s_cbranch_scc0 .LBB70_462
; %bb.461:
	s_wait_loadcnt 0x0
	global_load_u8 v2, v[0:1], off
	s_mov_b32 s16, 0
	s_mov_b32 s1, -1
	s_wait_loadcnt 0x0
	v_cmp_ne_u16_e32 vcc_lo, 0, v2
	v_mov_b32_e32 v2, 0
	v_cndmask_b32_e64 v3, 0, 0x3ff00000, vcc_lo
	s_branch .LBB70_463
.LBB70_462:
	s_mov_b32 s16, -1
                                        ; implicit-def: $vgpr2_vgpr3
.LBB70_463:
	s_branch .LBB70_265
.LBB70_464:
	s_cmp_lt_i32 s0, 5
	s_cbranch_scc1 .LBB70_469
; %bb.465:
	s_cmp_lt_i32 s0, 8
	s_cbranch_scc1 .LBB70_470
; %bb.466:
	;; [unrolled: 3-line block ×3, first 2 shown]
	s_cmp_gt_i32 s0, 9
	s_cbranch_scc0 .LBB70_472
; %bb.468:
	s_wait_loadcnt 0x0
	global_load_b64 v[2:3], v[0:1], off
	s_mov_b32 s1, 0
	s_branch .LBB70_473
.LBB70_469:
	s_mov_b32 s1, -1
                                        ; implicit-def: $vgpr2_vgpr3
	s_branch .LBB70_491
.LBB70_470:
	s_mov_b32 s1, -1
                                        ; implicit-def: $vgpr2_vgpr3
	s_branch .LBB70_479
.LBB70_471:
	s_mov_b32 s1, -1
                                        ; implicit-def: $vgpr2_vgpr3
	s_branch .LBB70_476
.LBB70_472:
	s_mov_b32 s1, -1
                                        ; implicit-def: $vgpr2_vgpr3
.LBB70_473:
	s_delay_alu instid0(SALU_CYCLE_1)
	s_and_not1_b32 vcc_lo, exec_lo, s1
	s_cbranch_vccnz .LBB70_475
; %bb.474:
	s_wait_loadcnt 0x0
	global_load_b32 v2, v[0:1], off
	s_wait_loadcnt 0x0
	v_cvt_f64_f32_e32 v[2:3], v2
.LBB70_475:
	s_mov_b32 s1, 0
.LBB70_476:
	s_delay_alu instid0(SALU_CYCLE_1)
	s_and_not1_b32 vcc_lo, exec_lo, s1
	s_cbranch_vccnz .LBB70_478
; %bb.477:
	s_wait_loadcnt 0x0
	global_load_b32 v2, v[0:1], off
	s_wait_loadcnt 0x0
	v_cvt_f32_f16_e32 v2, v2
	s_delay_alu instid0(VALU_DEP_1)
	v_cvt_f64_f32_e32 v[2:3], v2
.LBB70_478:
	s_mov_b32 s1, 0
.LBB70_479:
	s_delay_alu instid0(SALU_CYCLE_1)
	s_and_not1_b32 vcc_lo, exec_lo, s1
	s_cbranch_vccnz .LBB70_490
; %bb.480:
	s_cmp_lt_i32 s0, 6
	s_cbranch_scc1 .LBB70_483
; %bb.481:
	s_cmp_gt_i32 s0, 6
	s_cbranch_scc0 .LBB70_484
; %bb.482:
	s_wait_loadcnt 0x0
	global_load_b64 v[2:3], v[0:1], off
	s_mov_b32 s1, 0
	s_branch .LBB70_485
.LBB70_483:
	s_mov_b32 s1, -1
                                        ; implicit-def: $vgpr2_vgpr3
	s_branch .LBB70_488
.LBB70_484:
	s_mov_b32 s1, -1
                                        ; implicit-def: $vgpr2_vgpr3
.LBB70_485:
	s_delay_alu instid0(SALU_CYCLE_1)
	s_and_not1_b32 vcc_lo, exec_lo, s1
	s_cbranch_vccnz .LBB70_487
; %bb.486:
	s_wait_loadcnt 0x0
	global_load_b32 v2, v[0:1], off
	s_wait_loadcnt 0x0
	v_cvt_f64_f32_e32 v[2:3], v2
.LBB70_487:
	s_mov_b32 s1, 0
.LBB70_488:
	s_delay_alu instid0(SALU_CYCLE_1)
	s_and_not1_b32 vcc_lo, exec_lo, s1
	s_cbranch_vccnz .LBB70_490
; %bb.489:
	s_wait_loadcnt 0x0
	global_load_u16 v2, v[0:1], off
	s_wait_loadcnt 0x0
	v_cvt_f32_f16_e32 v2, v2
	s_delay_alu instid0(VALU_DEP_1)
	v_cvt_f64_f32_e32 v[2:3], v2
.LBB70_490:
	s_mov_b32 s1, 0
.LBB70_491:
	s_delay_alu instid0(SALU_CYCLE_1)
	s_and_not1_b32 vcc_lo, exec_lo, s1
	s_cbranch_vccnz .LBB70_511
; %bb.492:
	s_cmp_lt_i32 s0, 2
	s_cbranch_scc1 .LBB70_496
; %bb.493:
	s_cmp_lt_i32 s0, 3
	s_cbranch_scc1 .LBB70_497
; %bb.494:
	s_cmp_gt_i32 s0, 3
	s_cbranch_scc0 .LBB70_498
; %bb.495:
	s_wait_loadcnt 0x0
	global_load_b64 v[2:3], v[0:1], off
	s_mov_b32 s1, 0
	s_wait_loadcnt 0x0
	v_cvt_f64_i32_e32 v[4:5], v3
	v_cvt_f64_u32_e32 v[2:3], v2
	s_delay_alu instid0(VALU_DEP_2) | instskip(NEXT) | instid1(VALU_DEP_1)
	v_ldexp_f64 v[4:5], v[4:5], 32
	v_add_f64_e32 v[2:3], v[4:5], v[2:3]
	s_branch .LBB70_499
.LBB70_496:
	s_mov_b32 s1, -1
                                        ; implicit-def: $vgpr2_vgpr3
	s_branch .LBB70_505
.LBB70_497:
	s_mov_b32 s1, -1
                                        ; implicit-def: $vgpr2_vgpr3
	s_branch .LBB70_502
.LBB70_498:
	s_mov_b32 s1, -1
                                        ; implicit-def: $vgpr2_vgpr3
.LBB70_499:
	s_delay_alu instid0(SALU_CYCLE_1)
	s_and_not1_b32 vcc_lo, exec_lo, s1
	s_cbranch_vccnz .LBB70_501
; %bb.500:
	s_wait_loadcnt 0x0
	global_load_b32 v2, v[0:1], off
	s_wait_loadcnt 0x0
	v_cvt_f64_i32_e32 v[2:3], v2
.LBB70_501:
	s_mov_b32 s1, 0
.LBB70_502:
	s_delay_alu instid0(SALU_CYCLE_1)
	s_and_not1_b32 vcc_lo, exec_lo, s1
	s_cbranch_vccnz .LBB70_504
; %bb.503:
	s_wait_loadcnt 0x0
	global_load_i16 v2, v[0:1], off
	s_wait_loadcnt 0x0
	v_cvt_f64_i32_e32 v[2:3], v2
.LBB70_504:
	s_mov_b32 s1, 0
.LBB70_505:
	s_delay_alu instid0(SALU_CYCLE_1)
	s_and_not1_b32 vcc_lo, exec_lo, s1
	s_cbranch_vccnz .LBB70_511
; %bb.506:
	s_cmp_gt_i32 s0, 0
	s_mov_b32 s0, 0
	s_cbranch_scc0 .LBB70_508
; %bb.507:
	s_wait_loadcnt 0x0
	global_load_i8 v2, v[0:1], off
	s_wait_loadcnt 0x0
	v_cvt_f64_i32_e32 v[2:3], v2
	s_branch .LBB70_509
.LBB70_508:
	s_mov_b32 s0, -1
                                        ; implicit-def: $vgpr2_vgpr3
.LBB70_509:
	s_delay_alu instid0(SALU_CYCLE_1)
	s_and_not1_b32 vcc_lo, exec_lo, s0
	s_cbranch_vccnz .LBB70_511
; %bb.510:
	global_load_u8 v0, v[0:1], off
	s_wait_loadcnt 0x0
	v_cvt_f64_u32_e32 v[2:3], v0
.LBB70_511:
	s_branch .LBB70_266
.LBB70_512:
	s_mov_b32 s0, 0
	s_mov_b32 s1, s12
.LBB70_513:
                                        ; implicit-def: $vgpr10
.LBB70_514:
	s_and_not1_b32 s17, s12, exec_lo
	s_and_b32 s1, s1, exec_lo
	s_and_not1_b32 s19, s14, exec_lo
	s_and_b32 s16, s16, exec_lo
	s_or_b32 s17, s17, s1
	s_or_b32 s16, s19, s16
	s_or_not1_b32 s0, s0, exec_lo
.LBB70_515:
	s_wait_xcnt 0x0
	s_or_b32 exec_lo, exec_lo, s18
	s_mov_b32 s1, 0
	s_mov_b32 s19, 0
	;; [unrolled: 1-line block ×3, first 2 shown]
                                        ; implicit-def: $vgpr0_vgpr1
                                        ; implicit-def: $vgpr2_vgpr3
	s_and_saveexec_b32 s18, s0
	s_cbranch_execz .LBB70_862
; %bb.516:
	s_mov_b32 s20, -1
	s_mov_b32 s0, s16
	s_mov_b32 s1, s17
	s_mov_b32 s19, exec_lo
	v_cmpx_gt_i32_e64 s13, v10
	s_cbranch_execz .LBB70_776
; %bb.517:
	v_mul_lo_u32 v0, v10, s3
	s_and_b32 s0, 0xffff, s10
	s_delay_alu instid0(SALU_CYCLE_1) | instskip(NEXT) | instid1(VALU_DEP_1)
	s_cmp_lt_i32 s0, 11
	v_ashrrev_i32_e32 v1, 31, v0
	s_delay_alu instid0(VALU_DEP_1)
	v_add_nc_u64_e32 v[0:1], s[6:7], v[0:1]
	s_cbranch_scc1 .LBB70_524
; %bb.518:
	s_cmp_gt_i32 s0, 25
	s_cbranch_scc0 .LBB70_525
; %bb.519:
	s_cmp_gt_i32 s0, 28
	s_cbranch_scc0 .LBB70_526
	;; [unrolled: 3-line block ×4, first 2 shown]
; %bb.522:
	s_cmp_eq_u32 s0, 46
	s_mov_b32 s21, 0
	s_cbranch_scc0 .LBB70_533
; %bb.523:
	s_wait_loadcnt 0x0
	global_load_b32 v2, v[0:1], off
	s_mov_b32 s1, -1
	s_mov_b32 s20, 0
	s_wait_loadcnt 0x0
	v_lshlrev_b32_e32 v2, 16, v2
	s_delay_alu instid0(VALU_DEP_1)
	v_cvt_f64_f32_e32 v[2:3], v2
	s_branch .LBB70_535
.LBB70_524:
	s_mov_b32 s21, -1
	s_mov_b32 s1, 0
	s_mov_b32 s20, s16
                                        ; implicit-def: $vgpr2_vgpr3
	s_branch .LBB70_600
.LBB70_525:
	s_mov_b32 s21, -1
	s_mov_b32 s1, 0
	s_mov_b32 s20, s16
                                        ; implicit-def: $vgpr2_vgpr3
	s_branch .LBB70_564
.LBB70_526:
	s_mov_b32 s21, -1
	s_mov_b32 s1, 0
	s_mov_b32 s20, s16
                                        ; implicit-def: $vgpr2_vgpr3
	s_branch .LBB70_545
.LBB70_527:
	s_mov_b32 s21, -1
	s_mov_b32 s1, 0
	s_mov_b32 s20, s16
                                        ; implicit-def: $vgpr2_vgpr3
	s_branch .LBB70_540
.LBB70_528:
	s_and_not1_saveexec_b32 s22, s22
	s_cbranch_execz .LBB70_312
.LBB70_529:
	v_add_f32_e32 v2, 0x46000000, v3
	s_and_not1_b32 s21, s21, exec_lo
	s_delay_alu instid0(VALU_DEP_1) | instskip(NEXT) | instid1(VALU_DEP_1)
	v_and_b32_e32 v2, 0xff, v2
	v_cmp_ne_u32_e32 vcc_lo, 0, v2
	s_and_b32 s23, vcc_lo, exec_lo
	s_delay_alu instid0(SALU_CYCLE_1)
	s_or_b32 s21, s21, s23
	s_or_b32 exec_lo, exec_lo, s22
	v_mov_b32_e32 v4, 0
	s_and_saveexec_b32 s22, s21
	s_cbranch_execnz .LBB70_313
	s_branch .LBB70_314
.LBB70_530:
	s_mov_b32 s21, -1
	s_mov_b32 s1, 0
	s_mov_b32 s20, s16
	s_branch .LBB70_534
.LBB70_531:
	s_and_not1_saveexec_b32 s22, s22
	s_cbranch_execz .LBB70_325
.LBB70_532:
	v_add_f32_e32 v2, 0x42800000, v3
	s_and_not1_b32 s21, s21, exec_lo
	s_delay_alu instid0(VALU_DEP_1) | instskip(NEXT) | instid1(VALU_DEP_1)
	v_and_b32_e32 v2, 0xff, v2
	v_cmp_ne_u32_e32 vcc_lo, 0, v2
	s_and_b32 s23, vcc_lo, exec_lo
	s_delay_alu instid0(SALU_CYCLE_1)
	s_or_b32 s21, s21, s23
	s_or_b32 exec_lo, exec_lo, s22
	v_mov_b32_e32 v4, 0
	s_and_saveexec_b32 s22, s21
	s_cbranch_execnz .LBB70_326
	s_branch .LBB70_327
.LBB70_533:
	s_mov_b32 s1, 0
.LBB70_534:
                                        ; implicit-def: $vgpr2_vgpr3
.LBB70_535:
	s_and_b32 vcc_lo, exec_lo, s21
	s_cbranch_vccz .LBB70_539
; %bb.536:
	s_cmp_eq_u32 s0, 44
	s_cbranch_scc0 .LBB70_538
; %bb.537:
	global_load_u8 v4, v[0:1], off
	s_mov_b32 s20, 0
	s_mov_b32 s1, -1
	s_wait_loadcnt 0x0
	v_cmp_ne_u32_e32 vcc_lo, 0xff, v4
	v_lshlrev_b32_e32 v2, 23, v4
	s_delay_alu instid0(VALU_DEP_1) | instskip(NEXT) | instid1(VALU_DEP_1)
	v_cvt_f64_f32_e32 v[2:3], v2
	v_cndmask_b32_e32 v2, 0x20000000, v2, vcc_lo
	s_delay_alu instid0(VALU_DEP_2) | instskip(SKIP_1) | instid1(VALU_DEP_2)
	v_cndmask_b32_e32 v3, 0x7ff80000, v3, vcc_lo
	v_cmp_ne_u32_e32 vcc_lo, 0, v4
	v_cndmask_b32_e32 v3, 0x38000000, v3, vcc_lo
	s_delay_alu instid0(VALU_DEP_4)
	v_cndmask_b32_e32 v2, 0, v2, vcc_lo
	s_branch .LBB70_539
.LBB70_538:
	s_mov_b32 s20, -1
                                        ; implicit-def: $vgpr2_vgpr3
.LBB70_539:
	s_mov_b32 s21, 0
.LBB70_540:
	s_delay_alu instid0(SALU_CYCLE_1)
	s_and_b32 vcc_lo, exec_lo, s21
	s_cbranch_vccz .LBB70_544
; %bb.541:
	s_cmp_eq_u32 s0, 29
	s_cbranch_scc0 .LBB70_543
; %bb.542:
	s_wait_loadcnt 0x0
	global_load_b64 v[2:3], v[0:1], off
	s_mov_b32 s1, -1
	s_mov_b32 s20, 0
	s_mov_b32 s21, 0
	s_wait_loadcnt 0x0
	v_cvt_f64_u32_e32 v[4:5], v3
	v_cvt_f64_u32_e32 v[2:3], v2
	s_delay_alu instid0(VALU_DEP_2) | instskip(NEXT) | instid1(VALU_DEP_1)
	v_ldexp_f64 v[4:5], v[4:5], 32
	v_add_f64_e32 v[2:3], v[4:5], v[2:3]
	s_branch .LBB70_545
.LBB70_543:
	s_mov_b32 s20, -1
                                        ; implicit-def: $vgpr2_vgpr3
.LBB70_544:
	s_mov_b32 s21, 0
.LBB70_545:
	s_delay_alu instid0(SALU_CYCLE_1)
	s_and_b32 vcc_lo, exec_lo, s21
	s_cbranch_vccz .LBB70_563
; %bb.546:
	s_cmp_lt_i32 s0, 27
	s_cbranch_scc1 .LBB70_549
; %bb.547:
	s_cmp_gt_i32 s0, 27
	s_cbranch_scc0 .LBB70_550
; %bb.548:
	s_wait_loadcnt 0x0
	global_load_b32 v2, v[0:1], off
	s_mov_b32 s1, 0
	s_wait_loadcnt 0x0
	v_cvt_f64_u32_e32 v[2:3], v2
	s_branch .LBB70_551
.LBB70_549:
	s_mov_b32 s1, -1
                                        ; implicit-def: $vgpr2_vgpr3
	s_branch .LBB70_554
.LBB70_550:
	s_mov_b32 s1, -1
                                        ; implicit-def: $vgpr2_vgpr3
.LBB70_551:
	s_delay_alu instid0(SALU_CYCLE_1)
	s_and_not1_b32 vcc_lo, exec_lo, s1
	s_cbranch_vccnz .LBB70_553
; %bb.552:
	s_wait_loadcnt 0x0
	global_load_u16 v2, v[0:1], off
	s_wait_loadcnt 0x0
	v_cvt_f64_u32_e32 v[2:3], v2
.LBB70_553:
	s_mov_b32 s1, 0
.LBB70_554:
	s_delay_alu instid0(SALU_CYCLE_1)
	s_and_not1_b32 vcc_lo, exec_lo, s1
	s_cbranch_vccnz .LBB70_562
; %bb.555:
	global_load_u8 v4, v[0:1], off
	s_mov_b32 s1, 0
	s_mov_b32 s21, exec_lo
	s_wait_loadcnt 0x0
	v_cmpx_lt_i16_e32 0x7f, v4
	s_xor_b32 s21, exec_lo, s21
	s_cbranch_execz .LBB70_576
; %bb.556:
	s_mov_b32 s1, -1
	s_mov_b32 s22, exec_lo
	v_cmpx_eq_u16_e32 0x80, v4
; %bb.557:
	s_xor_b32 s1, exec_lo, -1
; %bb.558:
	s_or_b32 exec_lo, exec_lo, s22
	s_delay_alu instid0(SALU_CYCLE_1)
	s_and_b32 s1, s1, exec_lo
	s_or_saveexec_b32 s21, s21
	v_mov_b64_e32 v[2:3], 0x7ff8000020000000
	s_xor_b32 exec_lo, exec_lo, s21
	s_cbranch_execnz .LBB70_577
.LBB70_559:
	s_or_b32 exec_lo, exec_lo, s21
	s_and_saveexec_b32 s21, s1
	s_cbranch_execz .LBB70_561
.LBB70_560:
	v_and_b32_e32 v2, 0xffff, v4
	s_delay_alu instid0(VALU_DEP_1) | instskip(SKIP_1) | instid1(VALU_DEP_2)
	v_and_b32_e32 v3, 7, v2
	v_bfe_u32 v7, v2, 3, 4
	v_clz_i32_u32_e32 v5, v3
	s_delay_alu instid0(VALU_DEP_2) | instskip(NEXT) | instid1(VALU_DEP_2)
	v_cmp_eq_u32_e32 vcc_lo, 0, v7
	v_min_u32_e32 v5, 32, v5
	s_delay_alu instid0(VALU_DEP_1) | instskip(NEXT) | instid1(VALU_DEP_1)
	v_subrev_nc_u32_e32 v6, 28, v5
	v_dual_lshlrev_b32 v2, v6, v2 :: v_dual_sub_nc_u32 v5, 29, v5
	s_delay_alu instid0(VALU_DEP_1) | instskip(NEXT) | instid1(VALU_DEP_2)
	v_dual_lshlrev_b32 v4, 24, v4 :: v_dual_bitop2_b32 v2, 7, v2 bitop3:0x40
	v_cndmask_b32_e32 v5, v7, v5, vcc_lo
	s_delay_alu instid0(VALU_DEP_2) | instskip(NEXT) | instid1(VALU_DEP_3)
	v_cndmask_b32_e32 v2, v3, v2, vcc_lo
	v_and_b32_e32 v3, 0x80000000, v4
	s_delay_alu instid0(VALU_DEP_3) | instskip(NEXT) | instid1(VALU_DEP_3)
	v_lshl_add_u32 v4, v5, 23, 0x3b800000
	v_lshlrev_b32_e32 v2, 20, v2
	s_delay_alu instid0(VALU_DEP_1) | instskip(NEXT) | instid1(VALU_DEP_1)
	v_or3_b32 v2, v3, v4, v2
	v_cvt_f64_f32_e32 v[2:3], v2
.LBB70_561:
	s_or_b32 exec_lo, exec_lo, s21
.LBB70_562:
	s_mov_b32 s1, -1
.LBB70_563:
	s_mov_b32 s21, 0
.LBB70_564:
	s_delay_alu instid0(SALU_CYCLE_1)
	s_and_b32 vcc_lo, exec_lo, s21
	s_cbranch_vccz .LBB70_599
; %bb.565:
	s_cmp_gt_i32 s0, 22
	s_cbranch_scc0 .LBB70_575
; %bb.566:
	s_cmp_lt_i32 s0, 24
	s_cbranch_scc1 .LBB70_578
; %bb.567:
	s_cmp_gt_i32 s0, 24
	s_cbranch_scc0 .LBB70_579
; %bb.568:
	global_load_u8 v4, v[0:1], off
	s_mov_b32 s1, 0
	s_mov_b32 s21, exec_lo
	s_wait_loadcnt 0x0
	v_cmpx_lt_i16_e32 0x7f, v4
	s_xor_b32 s21, exec_lo, s21
	s_cbranch_execz .LBB70_591
; %bb.569:
	s_mov_b32 s1, -1
	s_mov_b32 s22, exec_lo
	v_cmpx_eq_u16_e32 0x80, v4
; %bb.570:
	s_xor_b32 s1, exec_lo, -1
; %bb.571:
	s_or_b32 exec_lo, exec_lo, s22
	s_delay_alu instid0(SALU_CYCLE_1)
	s_and_b32 s1, s1, exec_lo
	s_or_saveexec_b32 s21, s21
	v_mov_b64_e32 v[2:3], 0x7ff8000020000000
	s_xor_b32 exec_lo, exec_lo, s21
	s_cbranch_execnz .LBB70_592
.LBB70_572:
	s_or_b32 exec_lo, exec_lo, s21
	s_and_saveexec_b32 s21, s1
	s_cbranch_execz .LBB70_574
.LBB70_573:
	v_and_b32_e32 v2, 0xffff, v4
	s_delay_alu instid0(VALU_DEP_1) | instskip(SKIP_1) | instid1(VALU_DEP_2)
	v_and_b32_e32 v3, 3, v2
	v_bfe_u32 v7, v2, 2, 5
	v_clz_i32_u32_e32 v5, v3
	s_delay_alu instid0(VALU_DEP_2) | instskip(NEXT) | instid1(VALU_DEP_2)
	v_cmp_eq_u32_e32 vcc_lo, 0, v7
	v_min_u32_e32 v5, 32, v5
	s_delay_alu instid0(VALU_DEP_1) | instskip(NEXT) | instid1(VALU_DEP_1)
	v_subrev_nc_u32_e32 v6, 29, v5
	v_dual_lshlrev_b32 v2, v6, v2 :: v_dual_sub_nc_u32 v5, 30, v5
	s_delay_alu instid0(VALU_DEP_1) | instskip(NEXT) | instid1(VALU_DEP_2)
	v_dual_lshlrev_b32 v4, 24, v4 :: v_dual_bitop2_b32 v2, 3, v2 bitop3:0x40
	v_cndmask_b32_e32 v5, v7, v5, vcc_lo
	s_delay_alu instid0(VALU_DEP_2) | instskip(NEXT) | instid1(VALU_DEP_3)
	v_cndmask_b32_e32 v2, v3, v2, vcc_lo
	v_and_b32_e32 v3, 0x80000000, v4
	s_delay_alu instid0(VALU_DEP_3) | instskip(NEXT) | instid1(VALU_DEP_3)
	v_lshl_add_u32 v4, v5, 23, 0x37800000
	v_lshlrev_b32_e32 v2, 21, v2
	s_delay_alu instid0(VALU_DEP_1) | instskip(NEXT) | instid1(VALU_DEP_1)
	v_or3_b32 v2, v3, v4, v2
	v_cvt_f64_f32_e32 v[2:3], v2
.LBB70_574:
	s_or_b32 exec_lo, exec_lo, s21
	s_mov_b32 s1, 0
	s_branch .LBB70_580
.LBB70_575:
	s_mov_b32 s21, -1
                                        ; implicit-def: $vgpr2_vgpr3
	s_branch .LBB70_586
.LBB70_576:
	s_or_saveexec_b32 s21, s21
	v_mov_b64_e32 v[2:3], 0x7ff8000020000000
	s_xor_b32 exec_lo, exec_lo, s21
	s_cbranch_execz .LBB70_559
.LBB70_577:
	v_cmp_ne_u16_e32 vcc_lo, 0, v4
	v_mov_b64_e32 v[2:3], 0
	s_and_not1_b32 s1, s1, exec_lo
	s_and_b32 s22, vcc_lo, exec_lo
	s_delay_alu instid0(SALU_CYCLE_1)
	s_or_b32 s1, s1, s22
	s_or_b32 exec_lo, exec_lo, s21
	s_and_saveexec_b32 s21, s1
	s_cbranch_execnz .LBB70_560
	s_branch .LBB70_561
.LBB70_578:
	s_mov_b32 s1, -1
                                        ; implicit-def: $vgpr2_vgpr3
	s_branch .LBB70_583
.LBB70_579:
	s_mov_b32 s1, -1
                                        ; implicit-def: $vgpr2_vgpr3
.LBB70_580:
	s_delay_alu instid0(SALU_CYCLE_1)
	s_and_b32 vcc_lo, exec_lo, s1
	s_cbranch_vccz .LBB70_582
; %bb.581:
	s_wait_loadcnt 0x0
	global_load_u8 v2, v[0:1], off
	s_wait_loadcnt 0x0
	v_lshlrev_b32_e32 v2, 24, v2
	s_delay_alu instid0(VALU_DEP_1) | instskip(NEXT) | instid1(VALU_DEP_1)
	v_and_b32_e32 v3, 0x7f000000, v2
	v_clz_i32_u32_e32 v4, v3
	v_cmp_ne_u32_e32 vcc_lo, 0, v3
	v_add_nc_u32_e32 v6, 0x1000000, v3
	s_delay_alu instid0(VALU_DEP_3) | instskip(NEXT) | instid1(VALU_DEP_1)
	v_min_u32_e32 v4, 32, v4
	v_sub_nc_u32_e64 v4, v4, 4 clamp
	s_delay_alu instid0(VALU_DEP_1) | instskip(NEXT) | instid1(VALU_DEP_1)
	v_dual_lshlrev_b32 v5, v4, v3 :: v_dual_lshlrev_b32 v4, 23, v4
	v_lshrrev_b32_e32 v5, 4, v5
	s_delay_alu instid0(VALU_DEP_1) | instskip(NEXT) | instid1(VALU_DEP_1)
	v_dual_sub_nc_u32 v4, v5, v4 :: v_dual_ashrrev_i32 v5, 8, v6
	v_add_nc_u32_e32 v4, 0x3c000000, v4
	s_delay_alu instid0(VALU_DEP_1) | instskip(NEXT) | instid1(VALU_DEP_1)
	v_and_or_b32 v4, 0x7f800000, v5, v4
	v_cndmask_b32_e32 v3, 0, v4, vcc_lo
	s_delay_alu instid0(VALU_DEP_1) | instskip(NEXT) | instid1(VALU_DEP_1)
	v_and_or_b32 v2, 0x80000000, v2, v3
	v_cvt_f64_f32_e32 v[2:3], v2
.LBB70_582:
	s_mov_b32 s1, 0
.LBB70_583:
	s_delay_alu instid0(SALU_CYCLE_1)
	s_and_not1_b32 vcc_lo, exec_lo, s1
	s_cbranch_vccnz .LBB70_585
; %bb.584:
	s_wait_loadcnt 0x0
	global_load_u8 v2, v[0:1], off
	s_wait_loadcnt 0x0
	v_lshlrev_b32_e32 v3, 25, v2
	v_lshlrev_b16 v2, 8, v2
	s_delay_alu instid0(VALU_DEP_1) | instskip(SKIP_1) | instid1(VALU_DEP_2)
	v_and_or_b32 v5, 0x7f00, v2, 0.5
	v_bfe_i32 v2, v2, 0, 16
	v_dual_add_f32 v5, -0.5, v5 :: v_dual_lshrrev_b32 v4, 4, v3
	v_cmp_gt_u32_e32 vcc_lo, 0x8000000, v3
	s_delay_alu instid0(VALU_DEP_2) | instskip(NEXT) | instid1(VALU_DEP_1)
	v_or_b32_e32 v4, 0x70000000, v4
	v_mul_f32_e32 v4, 0x7800000, v4
	s_delay_alu instid0(VALU_DEP_1) | instskip(NEXT) | instid1(VALU_DEP_1)
	v_cndmask_b32_e32 v3, v4, v5, vcc_lo
	v_and_or_b32 v2, 0x80000000, v2, v3
	s_delay_alu instid0(VALU_DEP_1)
	v_cvt_f64_f32_e32 v[2:3], v2
.LBB70_585:
	s_mov_b32 s21, 0
	s_mov_b32 s1, -1
.LBB70_586:
	s_and_not1_b32 vcc_lo, exec_lo, s21
	s_cbranch_vccnz .LBB70_599
; %bb.587:
	s_cmp_gt_i32 s0, 14
	s_cbranch_scc0 .LBB70_590
; %bb.588:
	s_cmp_eq_u32 s0, 15
	s_cbranch_scc0 .LBB70_593
; %bb.589:
	s_wait_loadcnt 0x0
	global_load_u16 v2, v[0:1], off
	s_mov_b32 s1, -1
	s_mov_b32 s20, 0
	s_wait_loadcnt 0x0
	v_lshlrev_b32_e32 v2, 16, v2
	s_delay_alu instid0(VALU_DEP_1)
	v_cvt_f64_f32_e32 v[2:3], v2
	s_branch .LBB70_594
.LBB70_590:
	s_mov_b32 s21, -1
                                        ; implicit-def: $vgpr2_vgpr3
	s_branch .LBB70_595
.LBB70_591:
	s_or_saveexec_b32 s21, s21
	v_mov_b64_e32 v[2:3], 0x7ff8000020000000
	s_xor_b32 exec_lo, exec_lo, s21
	s_cbranch_execz .LBB70_572
.LBB70_592:
	v_cmp_ne_u16_e32 vcc_lo, 0, v4
	v_mov_b64_e32 v[2:3], 0
	s_and_not1_b32 s1, s1, exec_lo
	s_and_b32 s22, vcc_lo, exec_lo
	s_delay_alu instid0(SALU_CYCLE_1)
	s_or_b32 s1, s1, s22
	s_or_b32 exec_lo, exec_lo, s21
	s_and_saveexec_b32 s21, s1
	s_cbranch_execnz .LBB70_573
	s_branch .LBB70_574
.LBB70_593:
	s_mov_b32 s20, -1
                                        ; implicit-def: $vgpr2_vgpr3
.LBB70_594:
	s_mov_b32 s21, 0
.LBB70_595:
	s_delay_alu instid0(SALU_CYCLE_1)
	s_and_b32 vcc_lo, exec_lo, s21
	s_cbranch_vccz .LBB70_599
; %bb.596:
	s_cmp_eq_u32 s0, 11
	s_cbranch_scc0 .LBB70_598
; %bb.597:
	s_wait_loadcnt 0x0
	global_load_u8 v2, v[0:1], off
	s_mov_b32 s20, 0
	s_mov_b32 s1, -1
	s_wait_loadcnt 0x0
	v_cmp_ne_u16_e32 vcc_lo, 0, v2
	v_mov_b32_e32 v2, 0
	v_cndmask_b32_e64 v3, 0, 0x3ff00000, vcc_lo
	s_branch .LBB70_599
.LBB70_598:
	s_mov_b32 s20, -1
                                        ; implicit-def: $vgpr2_vgpr3
.LBB70_599:
	s_mov_b32 s21, 0
.LBB70_600:
	s_delay_alu instid0(SALU_CYCLE_1)
	s_and_b32 vcc_lo, exec_lo, s21
	s_cbranch_vccz .LBB70_649
; %bb.601:
	s_cmp_lt_i32 s0, 5
	s_cbranch_scc1 .LBB70_606
; %bb.602:
	s_cmp_lt_i32 s0, 8
	s_cbranch_scc1 .LBB70_607
	;; [unrolled: 3-line block ×3, first 2 shown]
; %bb.604:
	s_cmp_gt_i32 s0, 9
	s_cbranch_scc0 .LBB70_609
; %bb.605:
	s_wait_loadcnt 0x0
	global_load_b64 v[2:3], v[0:1], off
	s_mov_b32 s1, 0
	s_branch .LBB70_610
.LBB70_606:
	s_mov_b32 s1, -1
                                        ; implicit-def: $vgpr2_vgpr3
	s_branch .LBB70_628
.LBB70_607:
	s_mov_b32 s1, -1
                                        ; implicit-def: $vgpr2_vgpr3
	s_branch .LBB70_616
.LBB70_608:
	s_mov_b32 s1, -1
                                        ; implicit-def: $vgpr2_vgpr3
	s_branch .LBB70_613
.LBB70_609:
	s_mov_b32 s1, -1
                                        ; implicit-def: $vgpr2_vgpr3
.LBB70_610:
	s_delay_alu instid0(SALU_CYCLE_1)
	s_and_not1_b32 vcc_lo, exec_lo, s1
	s_cbranch_vccnz .LBB70_612
; %bb.611:
	s_wait_loadcnt 0x0
	global_load_b32 v2, v[0:1], off
	s_wait_loadcnt 0x0
	v_cvt_f64_f32_e32 v[2:3], v2
.LBB70_612:
	s_mov_b32 s1, 0
.LBB70_613:
	s_delay_alu instid0(SALU_CYCLE_1)
	s_and_not1_b32 vcc_lo, exec_lo, s1
	s_cbranch_vccnz .LBB70_615
; %bb.614:
	s_wait_loadcnt 0x0
	global_load_b32 v2, v[0:1], off
	s_wait_loadcnt 0x0
	v_cvt_f32_f16_e32 v2, v2
	s_delay_alu instid0(VALU_DEP_1)
	v_cvt_f64_f32_e32 v[2:3], v2
.LBB70_615:
	s_mov_b32 s1, 0
.LBB70_616:
	s_delay_alu instid0(SALU_CYCLE_1)
	s_and_not1_b32 vcc_lo, exec_lo, s1
	s_cbranch_vccnz .LBB70_627
; %bb.617:
	s_cmp_lt_i32 s0, 6
	s_cbranch_scc1 .LBB70_620
; %bb.618:
	s_cmp_gt_i32 s0, 6
	s_cbranch_scc0 .LBB70_621
; %bb.619:
	s_wait_loadcnt 0x0
	global_load_b64 v[2:3], v[0:1], off
	s_mov_b32 s1, 0
	s_branch .LBB70_622
.LBB70_620:
	s_mov_b32 s1, -1
                                        ; implicit-def: $vgpr2_vgpr3
	s_branch .LBB70_625
.LBB70_621:
	s_mov_b32 s1, -1
                                        ; implicit-def: $vgpr2_vgpr3
.LBB70_622:
	s_delay_alu instid0(SALU_CYCLE_1)
	s_and_not1_b32 vcc_lo, exec_lo, s1
	s_cbranch_vccnz .LBB70_624
; %bb.623:
	s_wait_loadcnt 0x0
	global_load_b32 v2, v[0:1], off
	s_wait_loadcnt 0x0
	v_cvt_f64_f32_e32 v[2:3], v2
.LBB70_624:
	s_mov_b32 s1, 0
.LBB70_625:
	s_delay_alu instid0(SALU_CYCLE_1)
	s_and_not1_b32 vcc_lo, exec_lo, s1
	s_cbranch_vccnz .LBB70_627
; %bb.626:
	s_wait_loadcnt 0x0
	global_load_u16 v2, v[0:1], off
	s_wait_loadcnt 0x0
	v_cvt_f32_f16_e32 v2, v2
	s_delay_alu instid0(VALU_DEP_1)
	v_cvt_f64_f32_e32 v[2:3], v2
.LBB70_627:
	s_mov_b32 s1, 0
.LBB70_628:
	s_delay_alu instid0(SALU_CYCLE_1)
	s_and_not1_b32 vcc_lo, exec_lo, s1
	s_cbranch_vccnz .LBB70_648
; %bb.629:
	s_cmp_lt_i32 s0, 2
	s_cbranch_scc1 .LBB70_633
; %bb.630:
	s_cmp_lt_i32 s0, 3
	s_cbranch_scc1 .LBB70_634
; %bb.631:
	s_cmp_gt_i32 s0, 3
	s_cbranch_scc0 .LBB70_635
; %bb.632:
	s_wait_loadcnt 0x0
	global_load_b64 v[2:3], v[0:1], off
	s_mov_b32 s1, 0
	s_wait_loadcnt 0x0
	v_cvt_f64_i32_e32 v[4:5], v3
	v_cvt_f64_u32_e32 v[2:3], v2
	s_delay_alu instid0(VALU_DEP_2) | instskip(NEXT) | instid1(VALU_DEP_1)
	v_ldexp_f64 v[4:5], v[4:5], 32
	v_add_f64_e32 v[2:3], v[4:5], v[2:3]
	s_branch .LBB70_636
.LBB70_633:
	s_mov_b32 s1, -1
                                        ; implicit-def: $vgpr2_vgpr3
	s_branch .LBB70_642
.LBB70_634:
	s_mov_b32 s1, -1
                                        ; implicit-def: $vgpr2_vgpr3
	s_branch .LBB70_639
.LBB70_635:
	s_mov_b32 s1, -1
                                        ; implicit-def: $vgpr2_vgpr3
.LBB70_636:
	s_delay_alu instid0(SALU_CYCLE_1)
	s_and_not1_b32 vcc_lo, exec_lo, s1
	s_cbranch_vccnz .LBB70_638
; %bb.637:
	s_wait_loadcnt 0x0
	global_load_b32 v2, v[0:1], off
	s_wait_loadcnt 0x0
	v_cvt_f64_i32_e32 v[2:3], v2
.LBB70_638:
	s_mov_b32 s1, 0
.LBB70_639:
	s_delay_alu instid0(SALU_CYCLE_1)
	s_and_not1_b32 vcc_lo, exec_lo, s1
	s_cbranch_vccnz .LBB70_641
; %bb.640:
	s_wait_loadcnt 0x0
	global_load_i16 v2, v[0:1], off
	s_wait_loadcnt 0x0
	v_cvt_f64_i32_e32 v[2:3], v2
.LBB70_641:
	s_mov_b32 s1, 0
.LBB70_642:
	s_delay_alu instid0(SALU_CYCLE_1)
	s_and_not1_b32 vcc_lo, exec_lo, s1
	s_cbranch_vccnz .LBB70_648
; %bb.643:
	s_cmp_gt_i32 s0, 0
	s_mov_b32 s0, 0
	s_cbranch_scc0 .LBB70_645
; %bb.644:
	s_wait_loadcnt 0x0
	global_load_i8 v2, v[0:1], off
	s_wait_loadcnt 0x0
	v_cvt_f64_i32_e32 v[2:3], v2
	s_branch .LBB70_646
.LBB70_645:
	s_mov_b32 s0, -1
                                        ; implicit-def: $vgpr2_vgpr3
.LBB70_646:
	s_delay_alu instid0(SALU_CYCLE_1)
	s_and_not1_b32 vcc_lo, exec_lo, s0
	s_cbranch_vccnz .LBB70_648
; %bb.647:
	global_load_u8 v0, v[0:1], off
	s_wait_loadcnt 0x0
	v_cvt_f64_u32_e32 v[2:3], v0
.LBB70_648:
	s_mov_b32 s1, -1
.LBB70_649:
	s_delay_alu instid0(SALU_CYCLE_1)
	s_and_not1_b32 vcc_lo, exec_lo, s1
	s_cbranch_vccnz .LBB70_657
; %bb.650:
	s_wait_loadcnt 0x0
	s_delay_alu instid0(VALU_DEP_1) | instskip(SKIP_3) | instid1(SALU_CYCLE_1)
	v_cmp_eq_f64_e64 s0, 0xfff00000, v[2:3]
	s_wait_xcnt 0x0
	v_mul_lo_u32 v0, v10, s2
	s_and_b32 s21, s8, 0xff
	s_cmp_lt_i32 s21, 11
	s_delay_alu instid0(VALU_DEP_1) | instskip(NEXT) | instid1(VALU_DEP_1)
	v_ashrrev_i32_e32 v1, 31, v0
	v_add_nc_u64_e32 v[0:1], s[4:5], v[0:1]
	s_cbranch_scc1 .LBB70_658
; %bb.651:
	s_and_b32 s22, 0xffff, s21
	s_delay_alu instid0(SALU_CYCLE_1)
	s_cmp_gt_i32 s22, 25
	s_cbranch_scc0 .LBB70_659
; %bb.652:
	s_cmp_gt_i32 s22, 28
	s_cbranch_scc0 .LBB70_660
; %bb.653:
	;; [unrolled: 3-line block ×4, first 2 shown]
	s_mov_b32 s24, 0
	s_mov_b32 s1, -1
	s_cmp_eq_u32 s22, 46
	s_mov_b32 s23, 0
	s_cbranch_scc0 .LBB70_663
; %bb.656:
	v_cndmask_b32_e64 v2, 0, 1.0, s0
	s_mov_b32 s23, -1
	s_mov_b32 s1, 0
	s_delay_alu instid0(VALU_DEP_1) | instskip(NEXT) | instid1(VALU_DEP_1)
	v_bfe_u32 v3, v2, 16, 1
	v_add3_u32 v2, v2, v3, 0x7fff
	s_delay_alu instid0(VALU_DEP_1)
	v_lshrrev_b32_e32 v2, 16, v2
	global_store_b32 v[0:1], v2, off
	s_branch .LBB70_663
.LBB70_657:
	s_mov_b32 s21, 0
	s_mov_b32 s1, s17
	s_branch .LBB70_774
.LBB70_658:
	s_mov_b32 s22, -1
	s_mov_b32 s23, 0
	s_mov_b32 s1, s17
	s_branch .LBB70_732
.LBB70_659:
	s_mov_b32 s24, -1
	s_mov_b32 s23, 0
	s_mov_b32 s1, s17
	s_branch .LBB70_690
.LBB70_660:
	s_mov_b32 s24, -1
	s_mov_b32 s23, 0
	s_mov_b32 s1, s17
	s_branch .LBB70_673
.LBB70_661:
	s_mov_b32 s24, -1
	s_mov_b32 s23, 0
	s_mov_b32 s1, s17
	s_branch .LBB70_669
.LBB70_662:
	s_mov_b32 s24, -1
	s_mov_b32 s23, 0
	s_mov_b32 s1, s17
.LBB70_663:
	s_and_b32 vcc_lo, exec_lo, s24
	s_cbranch_vccz .LBB70_668
; %bb.664:
	s_cmp_eq_u32 s22, 44
	s_mov_b32 s1, -1
	s_cbranch_scc0 .LBB70_668
; %bb.665:
	v_cndmask_b32_e64 v4, 0, 1.0, s0
	s_mov_b32 s23, exec_lo
	s_wait_xcnt 0x0
	s_delay_alu instid0(VALU_DEP_1) | instskip(NEXT) | instid1(VALU_DEP_1)
	v_dual_mov_b32 v3, 0xff :: v_dual_lshrrev_b32 v2, 23, v4
	v_cmpx_ne_u32_e32 0xff, v2
; %bb.666:
	v_and_b32_e32 v3, 0x400000, v4
	v_and_or_b32 v4, 0x3fffff, v4, v2
	s_delay_alu instid0(VALU_DEP_2) | instskip(NEXT) | instid1(VALU_DEP_2)
	v_cmp_ne_u32_e32 vcc_lo, 0, v3
	v_cmp_ne_u32_e64 s1, 0, v4
	s_and_b32 s1, vcc_lo, s1
	s_delay_alu instid0(SALU_CYCLE_1) | instskip(NEXT) | instid1(VALU_DEP_1)
	v_cndmask_b32_e64 v3, 0, 1, s1
	v_add_nc_u32_e32 v3, v2, v3
; %bb.667:
	s_or_b32 exec_lo, exec_lo, s23
	s_mov_b32 s23, -1
	s_mov_b32 s1, 0
	global_store_b8 v[0:1], v3, off
.LBB70_668:
	s_mov_b32 s24, 0
.LBB70_669:
	s_delay_alu instid0(SALU_CYCLE_1)
	s_and_b32 vcc_lo, exec_lo, s24
	s_cbranch_vccz .LBB70_672
; %bb.670:
	s_cmp_eq_u32 s22, 29
	s_mov_b32 s1, -1
	s_cbranch_scc0 .LBB70_672
; %bb.671:
	s_mov_b32 s1, 0
	s_wait_xcnt 0x0
	v_cndmask_b32_e64 v2, 0, 1, s0
	v_mov_b32_e32 v3, s1
	s_mov_b32 s23, -1
	s_mov_b32 s24, 0
	global_store_b64 v[0:1], v[2:3], off
	s_branch .LBB70_673
.LBB70_672:
	s_mov_b32 s24, 0
.LBB70_673:
	s_delay_alu instid0(SALU_CYCLE_1)
	s_and_b32 vcc_lo, exec_lo, s24
	s_cbranch_vccz .LBB70_689
; %bb.674:
	s_cmp_lt_i32 s22, 27
	s_mov_b32 s23, -1
	s_cbranch_scc1 .LBB70_680
; %bb.675:
	s_cmp_gt_i32 s22, 27
	s_cbranch_scc0 .LBB70_677
; %bb.676:
	s_wait_xcnt 0x0
	v_cndmask_b32_e64 v2, 0, 1, s0
	s_mov_b32 s23, 0
	global_store_b32 v[0:1], v2, off
.LBB70_677:
	s_and_not1_b32 vcc_lo, exec_lo, s23
	s_cbranch_vccnz .LBB70_679
; %bb.678:
	s_wait_xcnt 0x0
	v_cndmask_b32_e64 v2, 0, 1, s0
	global_store_b16 v[0:1], v2, off
.LBB70_679:
	s_mov_b32 s23, 0
.LBB70_680:
	s_delay_alu instid0(SALU_CYCLE_1)
	s_and_not1_b32 vcc_lo, exec_lo, s23
	s_cbranch_vccnz .LBB70_688
; %bb.681:
	s_wait_xcnt 0x0
	v_cndmask_b32_e64 v3, 0, 1.0, s0
	v_mov_b32_e32 v4, 0x80
	s_mov_b32 s23, exec_lo
	s_delay_alu instid0(VALU_DEP_2)
	v_cmpx_gt_u32_e32 0x43800000, v3
	s_cbranch_execz .LBB70_687
; %bb.682:
	s_mov_b32 s24, 0
	s_mov_b32 s25, exec_lo
                                        ; implicit-def: $vgpr2
	v_cmpx_lt_u32_e32 0x3bffffff, v3
	s_xor_b32 s25, exec_lo, s25
	s_cbranch_execz .LBB70_789
; %bb.683:
	v_bfe_u32 v2, v3, 20, 1
	s_mov_b32 s24, exec_lo
	s_delay_alu instid0(VALU_DEP_1) | instskip(NEXT) | instid1(VALU_DEP_1)
	v_add3_u32 v2, v3, v2, 0x487ffff
                                        ; implicit-def: $vgpr3
	v_lshrrev_b32_e32 v2, 20, v2
	s_and_not1_saveexec_b32 s25, s25
	s_cbranch_execnz .LBB70_790
.LBB70_684:
	s_or_b32 exec_lo, exec_lo, s25
	v_mov_b32_e32 v4, 0
	s_and_saveexec_b32 s25, s24
.LBB70_685:
	v_mov_b32_e32 v4, v2
.LBB70_686:
	s_or_b32 exec_lo, exec_lo, s25
.LBB70_687:
	s_delay_alu instid0(SALU_CYCLE_1)
	s_or_b32 exec_lo, exec_lo, s23
	global_store_b8 v[0:1], v4, off
.LBB70_688:
	s_mov_b32 s23, -1
.LBB70_689:
	s_mov_b32 s24, 0
.LBB70_690:
	s_delay_alu instid0(SALU_CYCLE_1)
	s_and_b32 vcc_lo, exec_lo, s24
	s_cbranch_vccz .LBB70_731
; %bb.691:
	s_cmp_gt_i32 s22, 22
	s_mov_b32 s24, -1
	s_cbranch_scc0 .LBB70_723
; %bb.692:
	s_cmp_lt_i32 s22, 24
	s_mov_b32 s23, -1
	s_cbranch_scc1 .LBB70_712
; %bb.693:
	s_cmp_gt_i32 s22, 24
	s_cbranch_scc0 .LBB70_701
; %bb.694:
	s_wait_xcnt 0x0
	v_cndmask_b32_e64 v3, 0, 1.0, s0
	v_mov_b32_e32 v4, 0x80
	s_mov_b32 s23, exec_lo
	s_delay_alu instid0(VALU_DEP_2)
	v_cmpx_gt_u32_e32 0x47800000, v3
	s_cbranch_execz .LBB70_700
; %bb.695:
	s_mov_b32 s24, 0
	s_mov_b32 s25, exec_lo
                                        ; implicit-def: $vgpr2
	v_cmpx_lt_u32_e32 0x37ffffff, v3
	s_xor_b32 s25, exec_lo, s25
	s_cbranch_execz .LBB70_792
; %bb.696:
	v_bfe_u32 v2, v3, 21, 1
	s_mov_b32 s24, exec_lo
	s_delay_alu instid0(VALU_DEP_1) | instskip(NEXT) | instid1(VALU_DEP_1)
	v_add3_u32 v2, v3, v2, 0x88fffff
                                        ; implicit-def: $vgpr3
	v_lshrrev_b32_e32 v2, 21, v2
	s_and_not1_saveexec_b32 s25, s25
	s_cbranch_execnz .LBB70_793
.LBB70_697:
	s_or_b32 exec_lo, exec_lo, s25
	v_mov_b32_e32 v4, 0
	s_and_saveexec_b32 s25, s24
.LBB70_698:
	v_mov_b32_e32 v4, v2
.LBB70_699:
	s_or_b32 exec_lo, exec_lo, s25
.LBB70_700:
	s_delay_alu instid0(SALU_CYCLE_1)
	s_or_b32 exec_lo, exec_lo, s23
	s_mov_b32 s23, 0
	global_store_b8 v[0:1], v4, off
.LBB70_701:
	s_and_b32 vcc_lo, exec_lo, s23
	s_cbranch_vccz .LBB70_711
; %bb.702:
	s_wait_xcnt 0x0
	v_cndmask_b32_e64 v3, 0, 1.0, s0
	s_mov_b32 s23, exec_lo
                                        ; implicit-def: $vgpr2
	s_delay_alu instid0(VALU_DEP_1)
	v_cmpx_gt_u32_e32 0x43f00000, v3
	s_xor_b32 s23, exec_lo, s23
	s_cbranch_execz .LBB70_708
; %bb.703:
	s_mov_b32 s24, exec_lo
                                        ; implicit-def: $vgpr2
	v_cmpx_lt_u32_e32 0x3c7fffff, v3
	s_xor_b32 s24, exec_lo, s24
; %bb.704:
	v_bfe_u32 v2, v3, 20, 1
	s_delay_alu instid0(VALU_DEP_1) | instskip(NEXT) | instid1(VALU_DEP_1)
	v_add3_u32 v2, v3, v2, 0x407ffff
	v_and_b32_e32 v3, 0xff00000, v2
	v_lshrrev_b32_e32 v2, 20, v2
	s_delay_alu instid0(VALU_DEP_2) | instskip(NEXT) | instid1(VALU_DEP_2)
	v_cmp_ne_u32_e32 vcc_lo, 0x7f00000, v3
                                        ; implicit-def: $vgpr3
	v_cndmask_b32_e32 v2, 0x7e, v2, vcc_lo
; %bb.705:
	s_and_not1_saveexec_b32 s24, s24
; %bb.706:
	v_add_f32_e32 v2, 0x46800000, v3
; %bb.707:
	s_or_b32 exec_lo, exec_lo, s24
                                        ; implicit-def: $vgpr3
.LBB70_708:
	s_and_not1_saveexec_b32 s23, s23
; %bb.709:
	v_mov_b32_e32 v2, 0x7f
	v_cmp_lt_u32_e32 vcc_lo, 0x7f800000, v3
	s_delay_alu instid0(VALU_DEP_2)
	v_cndmask_b32_e32 v2, 0x7e, v2, vcc_lo
; %bb.710:
	s_or_b32 exec_lo, exec_lo, s23
	global_store_b8 v[0:1], v2, off
.LBB70_711:
	s_mov_b32 s23, 0
.LBB70_712:
	s_delay_alu instid0(SALU_CYCLE_1)
	s_and_not1_b32 vcc_lo, exec_lo, s23
	s_cbranch_vccnz .LBB70_722
; %bb.713:
	s_wait_xcnt 0x0
	v_cndmask_b32_e64 v3, 0, 1.0, s0
	s_mov_b32 s23, exec_lo
                                        ; implicit-def: $vgpr2
	s_delay_alu instid0(VALU_DEP_1)
	v_cmpx_gt_u32_e32 0x47800000, v3
	s_xor_b32 s23, exec_lo, s23
	s_cbranch_execz .LBB70_719
; %bb.714:
	s_mov_b32 s24, exec_lo
                                        ; implicit-def: $vgpr2
	v_cmpx_lt_u32_e32 0x387fffff, v3
	s_xor_b32 s24, exec_lo, s24
; %bb.715:
	v_bfe_u32 v2, v3, 21, 1
	s_delay_alu instid0(VALU_DEP_1) | instskip(NEXT) | instid1(VALU_DEP_1)
	v_add3_u32 v2, v3, v2, 0x80fffff
                                        ; implicit-def: $vgpr3
	v_lshrrev_b32_e32 v2, 21, v2
; %bb.716:
	s_and_not1_saveexec_b32 s24, s24
; %bb.717:
	v_add_f32_e32 v2, 0x43000000, v3
; %bb.718:
	s_or_b32 exec_lo, exec_lo, s24
                                        ; implicit-def: $vgpr3
.LBB70_719:
	s_and_not1_saveexec_b32 s23, s23
; %bb.720:
	v_mov_b32_e32 v2, 0x7f
	v_cmp_lt_u32_e32 vcc_lo, 0x7f800000, v3
	s_delay_alu instid0(VALU_DEP_2)
	v_cndmask_b32_e32 v2, 0x7c, v2, vcc_lo
; %bb.721:
	s_or_b32 exec_lo, exec_lo, s23
	global_store_b8 v[0:1], v2, off
.LBB70_722:
	s_mov_b32 s24, 0
	s_mov_b32 s23, -1
.LBB70_723:
	s_and_not1_b32 vcc_lo, exec_lo, s24
	s_cbranch_vccnz .LBB70_731
; %bb.724:
	s_cmp_gt_i32 s22, 14
	s_mov_b32 s24, -1
	s_cbranch_scc0 .LBB70_728
; %bb.725:
	s_cmp_eq_u32 s22, 15
	s_mov_b32 s1, -1
	s_cbranch_scc0 .LBB70_727
; %bb.726:
	s_wait_xcnt 0x0
	v_cndmask_b32_e64 v2, 0, 1.0, s0
	s_mov_b32 s23, -1
	s_mov_b32 s1, 0
	s_delay_alu instid0(VALU_DEP_1) | instskip(NEXT) | instid1(VALU_DEP_1)
	v_bfe_u32 v3, v2, 16, 1
	v_add3_u32 v2, v2, v3, 0x7fff
	global_store_d16_hi_b16 v[0:1], v2, off
.LBB70_727:
	s_mov_b32 s24, 0
.LBB70_728:
	s_delay_alu instid0(SALU_CYCLE_1)
	s_and_b32 vcc_lo, exec_lo, s24
	s_cbranch_vccz .LBB70_731
; %bb.729:
	s_cmp_eq_u32 s22, 11
	s_mov_b32 s1, -1
	s_cbranch_scc0 .LBB70_731
; %bb.730:
	s_wait_xcnt 0x0
	v_cndmask_b32_e64 v2, 0, 1, s0
	s_mov_b32 s23, -1
	s_mov_b32 s1, 0
	global_store_b8 v[0:1], v2, off
.LBB70_731:
	s_mov_b32 s22, 0
.LBB70_732:
	s_delay_alu instid0(SALU_CYCLE_1)
	s_and_b32 vcc_lo, exec_lo, s22
	s_cbranch_vccz .LBB70_771
; %bb.733:
	s_and_b32 s21, 0xffff, s21
	s_mov_b32 s22, -1
	s_cmp_lt_i32 s21, 5
	s_cbranch_scc1 .LBB70_754
; %bb.734:
	s_cmp_lt_i32 s21, 8
	s_cbranch_scc1 .LBB70_744
; %bb.735:
	;; [unrolled: 3-line block ×3, first 2 shown]
	s_cmp_gt_i32 s21, 9
	s_cbranch_scc0 .LBB70_738
; %bb.737:
	s_wait_xcnt 0x0
	v_cndmask_b32_e64 v2, 0, 1, s0
	v_mov_b32_e32 v4, 0
	s_mov_b32 s22, 0
	s_delay_alu instid0(VALU_DEP_2) | instskip(NEXT) | instid1(VALU_DEP_2)
	v_cvt_f64_u32_e32 v[2:3], v2
	v_mov_b32_e32 v5, v4
	global_store_b128 v[0:1], v[2:5], off
.LBB70_738:
	s_and_not1_b32 vcc_lo, exec_lo, s22
	s_cbranch_vccnz .LBB70_740
; %bb.739:
	s_wait_xcnt 0x0
	v_cndmask_b32_e64 v2, 0, 1.0, s0
	v_mov_b32_e32 v3, 0
	global_store_b64 v[0:1], v[2:3], off
.LBB70_740:
	s_mov_b32 s22, 0
.LBB70_741:
	s_delay_alu instid0(SALU_CYCLE_1)
	s_and_not1_b32 vcc_lo, exec_lo, s22
	s_cbranch_vccnz .LBB70_743
; %bb.742:
	s_wait_xcnt 0x0
	v_cndmask_b32_e64 v2, 0, 1.0, s0
	s_delay_alu instid0(VALU_DEP_1) | instskip(NEXT) | instid1(VALU_DEP_1)
	v_cvt_f16_f32_e32 v2, v2
	v_and_b32_e32 v2, 0xffff, v2
	global_store_b32 v[0:1], v2, off
.LBB70_743:
	s_mov_b32 s22, 0
.LBB70_744:
	s_delay_alu instid0(SALU_CYCLE_1)
	s_and_not1_b32 vcc_lo, exec_lo, s22
	s_cbranch_vccnz .LBB70_753
; %bb.745:
	s_cmp_lt_i32 s21, 6
	s_mov_b32 s22, -1
	s_cbranch_scc1 .LBB70_751
; %bb.746:
	s_cmp_gt_i32 s21, 6
	s_cbranch_scc0 .LBB70_748
; %bb.747:
	s_wait_xcnt 0x0
	v_cndmask_b32_e64 v2, 0, 1, s0
	s_mov_b32 s22, 0
	s_delay_alu instid0(VALU_DEP_1)
	v_cvt_f64_u32_e32 v[2:3], v2
	global_store_b64 v[0:1], v[2:3], off
.LBB70_748:
	s_and_not1_b32 vcc_lo, exec_lo, s22
	s_cbranch_vccnz .LBB70_750
; %bb.749:
	s_wait_xcnt 0x0
	v_cndmask_b32_e64 v2, 0, 1.0, s0
	global_store_b32 v[0:1], v2, off
.LBB70_750:
	s_mov_b32 s22, 0
.LBB70_751:
	s_delay_alu instid0(SALU_CYCLE_1)
	s_and_not1_b32 vcc_lo, exec_lo, s22
	s_cbranch_vccnz .LBB70_753
; %bb.752:
	s_wait_xcnt 0x0
	v_cndmask_b32_e64 v2, 0, 1.0, s0
	s_delay_alu instid0(VALU_DEP_1)
	v_cvt_f16_f32_e32 v2, v2
	global_store_b16 v[0:1], v2, off
.LBB70_753:
	s_mov_b32 s22, 0
.LBB70_754:
	s_delay_alu instid0(SALU_CYCLE_1)
	s_and_not1_b32 vcc_lo, exec_lo, s22
	s_cbranch_vccnz .LBB70_770
; %bb.755:
	s_cmp_lt_i32 s21, 2
	s_mov_b32 s22, -1
	s_cbranch_scc1 .LBB70_765
; %bb.756:
	s_cmp_lt_i32 s21, 3
	s_cbranch_scc1 .LBB70_762
; %bb.757:
	s_cmp_gt_i32 s21, 3
	s_cbranch_scc0 .LBB70_759
; %bb.758:
	s_mov_b32 s22, 0
	s_wait_xcnt 0x0
	v_cndmask_b32_e64 v2, 0, 1, s0
	v_mov_b32_e32 v3, s22
	global_store_b64 v[0:1], v[2:3], off
.LBB70_759:
	s_and_not1_b32 vcc_lo, exec_lo, s22
	s_cbranch_vccnz .LBB70_761
; %bb.760:
	s_wait_xcnt 0x0
	v_cndmask_b32_e64 v2, 0, 1, s0
	global_store_b32 v[0:1], v2, off
.LBB70_761:
	s_mov_b32 s22, 0
.LBB70_762:
	s_delay_alu instid0(SALU_CYCLE_1)
	s_and_not1_b32 vcc_lo, exec_lo, s22
	s_cbranch_vccnz .LBB70_764
; %bb.763:
	s_wait_xcnt 0x0
	v_cndmask_b32_e64 v2, 0, 1, s0
	global_store_b16 v[0:1], v2, off
.LBB70_764:
	s_mov_b32 s22, 0
.LBB70_765:
	s_delay_alu instid0(SALU_CYCLE_1)
	s_and_not1_b32 vcc_lo, exec_lo, s22
	s_cbranch_vccnz .LBB70_770
; %bb.766:
	s_wait_xcnt 0x0
	v_cndmask_b32_e64 v2, 0, 1, s0
	s_cmp_gt_i32 s21, 0
	s_mov_b32 s0, -1
	s_cbranch_scc0 .LBB70_768
; %bb.767:
	s_mov_b32 s0, 0
	global_store_b8 v[0:1], v2, off
.LBB70_768:
	s_and_not1_b32 vcc_lo, exec_lo, s0
	s_cbranch_vccnz .LBB70_770
; %bb.769:
	global_store_b8 v[0:1], v2, off
.LBB70_770:
	s_mov_b32 s23, -1
.LBB70_771:
	s_delay_alu instid0(SALU_CYCLE_1)
	s_and_not1_b32 vcc_lo, exec_lo, s23
	s_cbranch_vccnz .LBB70_773
; %bb.772:
	v_add_nc_u32_e32 v10, 0x80, v10
	s_mov_b32 s21, -1
	s_branch .LBB70_775
.LBB70_773:
	s_mov_b32 s21, 0
.LBB70_774:
                                        ; implicit-def: $vgpr10
.LBB70_775:
	s_and_not1_b32 s0, s17, exec_lo
	s_and_b32 s1, s1, exec_lo
	s_and_not1_b32 s22, s16, exec_lo
	s_and_b32 s20, s20, exec_lo
	s_or_b32 s1, s0, s1
	s_or_b32 s0, s22, s20
	s_or_not1_b32 s20, s21, exec_lo
.LBB70_776:
	s_wait_xcnt 0x0
	s_or_b32 exec_lo, exec_lo, s19
	s_mov_b32 s21, 0
	s_mov_b32 s22, 0
	;; [unrolled: 1-line block ×3, first 2 shown]
                                        ; implicit-def: $vgpr0_vgpr1
                                        ; implicit-def: $vgpr2_vgpr3
	s_and_saveexec_b32 s19, s20
	s_cbranch_execz .LBB70_861
; %bb.777:
	v_cmp_gt_i32_e32 vcc_lo, s13, v10
	s_mov_b32 s20, 0
	s_mov_b32 s21, s0
	;; [unrolled: 1-line block ×3, first 2 shown]
                                        ; implicit-def: $vgpr0_vgpr1
                                        ; implicit-def: $vgpr2_vgpr3
	s_and_saveexec_b32 s13, vcc_lo
	s_cbranch_execz .LBB70_860
; %bb.778:
	v_mul_lo_u32 v0, v10, s3
	s_and_b32 s20, 0xffff, s10
	s_delay_alu instid0(SALU_CYCLE_1) | instskip(NEXT) | instid1(VALU_DEP_1)
	s_cmp_lt_i32 s20, 11
	v_ashrrev_i32_e32 v1, 31, v0
	s_delay_alu instid0(VALU_DEP_1)
	v_add_nc_u64_e32 v[0:1], s[6:7], v[0:1]
	s_cbranch_scc1 .LBB70_785
; %bb.779:
	s_cmp_gt_i32 s20, 25
	s_cbranch_scc0 .LBB70_786
; %bb.780:
	s_cmp_gt_i32 s20, 28
	s_cbranch_scc0 .LBB70_787
	;; [unrolled: 3-line block ×4, first 2 shown]
; %bb.783:
	s_cmp_eq_u32 s20, 46
	s_cbranch_scc0 .LBB70_794
; %bb.784:
	s_wait_loadcnt 0x0
	global_load_b32 v2, v[0:1], off
	s_mov_b32 s21, 0
	s_mov_b32 s23, -1
	s_wait_loadcnt 0x0
	v_lshlrev_b32_e32 v2, 16, v2
	s_delay_alu instid0(VALU_DEP_1)
	v_cvt_f64_f32_e32 v[2:3], v2
	s_branch .LBB70_796
.LBB70_785:
	s_mov_b32 s20, -1
	s_mov_b32 s21, s0
                                        ; implicit-def: $vgpr2_vgpr3
	s_branch .LBB70_859
.LBB70_786:
	s_mov_b32 s24, -1
	s_mov_b32 s21, s0
                                        ; implicit-def: $vgpr2_vgpr3
	s_branch .LBB70_825
.LBB70_787:
	s_mov_b32 s24, -1
	s_mov_b32 s21, s0
                                        ; implicit-def: $vgpr2_vgpr3
	s_branch .LBB70_806
.LBB70_788:
	s_mov_b32 s24, -1
	s_mov_b32 s21, s0
                                        ; implicit-def: $vgpr2_vgpr3
	s_branch .LBB70_801
.LBB70_789:
	s_and_not1_saveexec_b32 s25, s25
	s_cbranch_execz .LBB70_684
.LBB70_790:
	v_add_f32_e32 v2, 0x46000000, v3
	s_and_not1_b32 s24, s24, exec_lo
	s_delay_alu instid0(VALU_DEP_1) | instskip(NEXT) | instid1(VALU_DEP_1)
	v_and_b32_e32 v2, 0xff, v2
	v_cmp_ne_u32_e32 vcc_lo, 0, v2
	s_and_b32 s26, vcc_lo, exec_lo
	s_delay_alu instid0(SALU_CYCLE_1)
	s_or_b32 s24, s24, s26
	s_or_b32 exec_lo, exec_lo, s25
	v_mov_b32_e32 v4, 0
	s_and_saveexec_b32 s25, s24
	s_cbranch_execnz .LBB70_685
	s_branch .LBB70_686
.LBB70_791:
	s_mov_b32 s24, -1
	s_mov_b32 s21, s0
	s_branch .LBB70_795
.LBB70_792:
	s_and_not1_saveexec_b32 s25, s25
	s_cbranch_execz .LBB70_697
.LBB70_793:
	v_add_f32_e32 v2, 0x42800000, v3
	s_and_not1_b32 s24, s24, exec_lo
	s_delay_alu instid0(VALU_DEP_1) | instskip(NEXT) | instid1(VALU_DEP_1)
	v_and_b32_e32 v2, 0xff, v2
	v_cmp_ne_u32_e32 vcc_lo, 0, v2
	s_and_b32 s26, vcc_lo, exec_lo
	s_delay_alu instid0(SALU_CYCLE_1)
	s_or_b32 s24, s24, s26
	s_or_b32 exec_lo, exec_lo, s25
	v_mov_b32_e32 v4, 0
	s_and_saveexec_b32 s25, s24
	s_cbranch_execnz .LBB70_698
	s_branch .LBB70_699
.LBB70_794:
	s_mov_b32 s21, -1
.LBB70_795:
                                        ; implicit-def: $vgpr2_vgpr3
.LBB70_796:
	s_and_b32 vcc_lo, exec_lo, s24
	s_cbranch_vccz .LBB70_800
; %bb.797:
	s_cmp_eq_u32 s20, 44
	s_cbranch_scc0 .LBB70_799
; %bb.798:
	global_load_u8 v4, v[0:1], off
	s_mov_b32 s21, 0
	s_mov_b32 s23, -1
	s_wait_loadcnt 0x0
	v_cmp_ne_u32_e32 vcc_lo, 0xff, v4
	v_lshlrev_b32_e32 v2, 23, v4
	s_delay_alu instid0(VALU_DEP_1) | instskip(NEXT) | instid1(VALU_DEP_1)
	v_cvt_f64_f32_e32 v[2:3], v2
	v_cndmask_b32_e32 v2, 0x20000000, v2, vcc_lo
	s_delay_alu instid0(VALU_DEP_2) | instskip(SKIP_1) | instid1(VALU_DEP_2)
	v_cndmask_b32_e32 v3, 0x7ff80000, v3, vcc_lo
	v_cmp_ne_u32_e32 vcc_lo, 0, v4
	v_cndmask_b32_e32 v3, 0x38000000, v3, vcc_lo
	s_delay_alu instid0(VALU_DEP_4)
	v_cndmask_b32_e32 v2, 0, v2, vcc_lo
	s_branch .LBB70_800
.LBB70_799:
	s_mov_b32 s21, -1
                                        ; implicit-def: $vgpr2_vgpr3
.LBB70_800:
	s_mov_b32 s24, 0
.LBB70_801:
	s_delay_alu instid0(SALU_CYCLE_1)
	s_and_b32 vcc_lo, exec_lo, s24
	s_cbranch_vccz .LBB70_805
; %bb.802:
	s_cmp_eq_u32 s20, 29
	s_cbranch_scc0 .LBB70_804
; %bb.803:
	s_wait_loadcnt 0x0
	global_load_b64 v[2:3], v[0:1], off
	s_mov_b32 s21, 0
	s_mov_b32 s23, -1
	s_mov_b32 s24, 0
	s_wait_loadcnt 0x0
	v_cvt_f64_u32_e32 v[4:5], v3
	v_cvt_f64_u32_e32 v[2:3], v2
	s_delay_alu instid0(VALU_DEP_2) | instskip(NEXT) | instid1(VALU_DEP_1)
	v_ldexp_f64 v[4:5], v[4:5], 32
	v_add_f64_e32 v[2:3], v[4:5], v[2:3]
	s_branch .LBB70_806
.LBB70_804:
	s_mov_b32 s21, -1
                                        ; implicit-def: $vgpr2_vgpr3
.LBB70_805:
	s_mov_b32 s24, 0
.LBB70_806:
	s_delay_alu instid0(SALU_CYCLE_1)
	s_and_b32 vcc_lo, exec_lo, s24
	s_cbranch_vccz .LBB70_824
; %bb.807:
	s_cmp_lt_i32 s20, 27
	s_cbranch_scc1 .LBB70_810
; %bb.808:
	s_cmp_gt_i32 s20, 27
	s_cbranch_scc0 .LBB70_811
; %bb.809:
	s_wait_loadcnt 0x0
	global_load_b32 v2, v[0:1], off
	s_mov_b32 s23, 0
	s_wait_loadcnt 0x0
	v_cvt_f64_u32_e32 v[2:3], v2
	s_branch .LBB70_812
.LBB70_810:
	s_mov_b32 s23, -1
                                        ; implicit-def: $vgpr2_vgpr3
	s_branch .LBB70_815
.LBB70_811:
	s_mov_b32 s23, -1
                                        ; implicit-def: $vgpr2_vgpr3
.LBB70_812:
	s_delay_alu instid0(SALU_CYCLE_1)
	s_and_not1_b32 vcc_lo, exec_lo, s23
	s_cbranch_vccnz .LBB70_814
; %bb.813:
	s_wait_loadcnt 0x0
	global_load_u16 v2, v[0:1], off
	s_wait_loadcnt 0x0
	v_cvt_f64_u32_e32 v[2:3], v2
.LBB70_814:
	s_mov_b32 s23, 0
.LBB70_815:
	s_delay_alu instid0(SALU_CYCLE_1)
	s_and_not1_b32 vcc_lo, exec_lo, s23
	s_cbranch_vccnz .LBB70_823
; %bb.816:
	global_load_u8 v4, v[0:1], off
	s_mov_b32 s23, 0
	s_mov_b32 s24, exec_lo
	s_wait_loadcnt 0x0
	v_cmpx_lt_i16_e32 0x7f, v4
	s_xor_b32 s24, exec_lo, s24
	s_cbranch_execz .LBB70_837
; %bb.817:
	s_mov_b32 s23, -1
	s_mov_b32 s25, exec_lo
	v_cmpx_eq_u16_e32 0x80, v4
; %bb.818:
	s_xor_b32 s23, exec_lo, -1
; %bb.819:
	s_or_b32 exec_lo, exec_lo, s25
	s_delay_alu instid0(SALU_CYCLE_1)
	s_and_b32 s23, s23, exec_lo
	s_or_saveexec_b32 s24, s24
	v_mov_b64_e32 v[2:3], 0x7ff8000020000000
	s_xor_b32 exec_lo, exec_lo, s24
	s_cbranch_execnz .LBB70_838
.LBB70_820:
	s_or_b32 exec_lo, exec_lo, s24
	s_and_saveexec_b32 s24, s23
	s_cbranch_execz .LBB70_822
.LBB70_821:
	v_and_b32_e32 v2, 0xffff, v4
	s_delay_alu instid0(VALU_DEP_1) | instskip(SKIP_1) | instid1(VALU_DEP_2)
	v_and_b32_e32 v3, 7, v2
	v_bfe_u32 v7, v2, 3, 4
	v_clz_i32_u32_e32 v5, v3
	s_delay_alu instid0(VALU_DEP_2) | instskip(NEXT) | instid1(VALU_DEP_2)
	v_cmp_eq_u32_e32 vcc_lo, 0, v7
	v_min_u32_e32 v5, 32, v5
	s_delay_alu instid0(VALU_DEP_1) | instskip(NEXT) | instid1(VALU_DEP_1)
	v_subrev_nc_u32_e32 v6, 28, v5
	v_dual_lshlrev_b32 v2, v6, v2 :: v_dual_sub_nc_u32 v5, 29, v5
	s_delay_alu instid0(VALU_DEP_1) | instskip(NEXT) | instid1(VALU_DEP_2)
	v_dual_lshlrev_b32 v4, 24, v4 :: v_dual_bitop2_b32 v2, 7, v2 bitop3:0x40
	v_cndmask_b32_e32 v5, v7, v5, vcc_lo
	s_delay_alu instid0(VALU_DEP_2) | instskip(NEXT) | instid1(VALU_DEP_3)
	v_cndmask_b32_e32 v2, v3, v2, vcc_lo
	v_and_b32_e32 v3, 0x80000000, v4
	s_delay_alu instid0(VALU_DEP_3) | instskip(NEXT) | instid1(VALU_DEP_3)
	v_lshl_add_u32 v4, v5, 23, 0x3b800000
	v_lshlrev_b32_e32 v2, 20, v2
	s_delay_alu instid0(VALU_DEP_1) | instskip(NEXT) | instid1(VALU_DEP_1)
	v_or3_b32 v2, v3, v4, v2
	v_cvt_f64_f32_e32 v[2:3], v2
.LBB70_822:
	s_or_b32 exec_lo, exec_lo, s24
.LBB70_823:
	s_mov_b32 s23, -1
.LBB70_824:
	s_mov_b32 s24, 0
.LBB70_825:
	s_delay_alu instid0(SALU_CYCLE_1)
	s_and_b32 vcc_lo, exec_lo, s24
	s_cbranch_vccz .LBB70_858
; %bb.826:
	s_cmp_gt_i32 s20, 22
	s_cbranch_scc0 .LBB70_836
; %bb.827:
	s_cmp_lt_i32 s20, 24
	s_cbranch_scc1 .LBB70_839
; %bb.828:
	s_cmp_gt_i32 s20, 24
	s_cbranch_scc0 .LBB70_840
; %bb.829:
	global_load_u8 v4, v[0:1], off
	s_mov_b32 s23, exec_lo
	s_wait_loadcnt 0x0
	v_cmpx_lt_i16_e32 0x7f, v4
	s_xor_b32 s23, exec_lo, s23
	s_cbranch_execz .LBB70_852
; %bb.830:
	s_mov_b32 s22, -1
	s_mov_b32 s24, exec_lo
	v_cmpx_eq_u16_e32 0x80, v4
; %bb.831:
	s_xor_b32 s22, exec_lo, -1
; %bb.832:
	s_or_b32 exec_lo, exec_lo, s24
	s_delay_alu instid0(SALU_CYCLE_1)
	s_and_b32 s22, s22, exec_lo
	s_or_saveexec_b32 s23, s23
	v_mov_b64_e32 v[2:3], 0x7ff8000020000000
	s_xor_b32 exec_lo, exec_lo, s23
	s_cbranch_execnz .LBB70_853
.LBB70_833:
	s_or_b32 exec_lo, exec_lo, s23
	s_and_saveexec_b32 s23, s22
	s_cbranch_execz .LBB70_835
.LBB70_834:
	v_and_b32_e32 v2, 0xffff, v4
	s_delay_alu instid0(VALU_DEP_1) | instskip(SKIP_1) | instid1(VALU_DEP_2)
	v_and_b32_e32 v3, 3, v2
	v_bfe_u32 v7, v2, 2, 5
	v_clz_i32_u32_e32 v5, v3
	s_delay_alu instid0(VALU_DEP_2) | instskip(NEXT) | instid1(VALU_DEP_2)
	v_cmp_eq_u32_e32 vcc_lo, 0, v7
	v_min_u32_e32 v5, 32, v5
	s_delay_alu instid0(VALU_DEP_1) | instskip(NEXT) | instid1(VALU_DEP_1)
	v_subrev_nc_u32_e32 v6, 29, v5
	v_dual_lshlrev_b32 v2, v6, v2 :: v_dual_sub_nc_u32 v5, 30, v5
	s_delay_alu instid0(VALU_DEP_1) | instskip(NEXT) | instid1(VALU_DEP_2)
	v_dual_lshlrev_b32 v4, 24, v4 :: v_dual_bitop2_b32 v2, 3, v2 bitop3:0x40
	v_cndmask_b32_e32 v5, v7, v5, vcc_lo
	s_delay_alu instid0(VALU_DEP_2) | instskip(NEXT) | instid1(VALU_DEP_3)
	v_cndmask_b32_e32 v2, v3, v2, vcc_lo
	v_and_b32_e32 v3, 0x80000000, v4
	s_delay_alu instid0(VALU_DEP_3) | instskip(NEXT) | instid1(VALU_DEP_3)
	v_lshl_add_u32 v4, v5, 23, 0x37800000
	v_lshlrev_b32_e32 v2, 21, v2
	s_delay_alu instid0(VALU_DEP_1) | instskip(NEXT) | instid1(VALU_DEP_1)
	v_or3_b32 v2, v3, v4, v2
	v_cvt_f64_f32_e32 v[2:3], v2
.LBB70_835:
	s_or_b32 exec_lo, exec_lo, s23
	s_mov_b32 s22, 0
	s_branch .LBB70_841
.LBB70_836:
	s_mov_b32 s22, -1
                                        ; implicit-def: $vgpr2_vgpr3
	s_branch .LBB70_847
.LBB70_837:
	s_or_saveexec_b32 s24, s24
	v_mov_b64_e32 v[2:3], 0x7ff8000020000000
	s_xor_b32 exec_lo, exec_lo, s24
	s_cbranch_execz .LBB70_820
.LBB70_838:
	v_cmp_ne_u16_e32 vcc_lo, 0, v4
	v_mov_b64_e32 v[2:3], 0
	s_and_not1_b32 s23, s23, exec_lo
	s_and_b32 s25, vcc_lo, exec_lo
	s_delay_alu instid0(SALU_CYCLE_1)
	s_or_b32 s23, s23, s25
	s_or_b32 exec_lo, exec_lo, s24
	s_and_saveexec_b32 s24, s23
	s_cbranch_execnz .LBB70_821
	s_branch .LBB70_822
.LBB70_839:
	s_mov_b32 s22, -1
                                        ; implicit-def: $vgpr2_vgpr3
	s_branch .LBB70_844
.LBB70_840:
	s_mov_b32 s22, -1
                                        ; implicit-def: $vgpr2_vgpr3
.LBB70_841:
	s_delay_alu instid0(SALU_CYCLE_1)
	s_and_b32 vcc_lo, exec_lo, s22
	s_cbranch_vccz .LBB70_843
; %bb.842:
	s_wait_loadcnt 0x0
	global_load_u8 v2, v[0:1], off
	s_wait_loadcnt 0x0
	v_lshlrev_b32_e32 v2, 24, v2
	s_delay_alu instid0(VALU_DEP_1) | instskip(NEXT) | instid1(VALU_DEP_1)
	v_and_b32_e32 v3, 0x7f000000, v2
	v_clz_i32_u32_e32 v4, v3
	v_cmp_ne_u32_e32 vcc_lo, 0, v3
	v_add_nc_u32_e32 v6, 0x1000000, v3
	s_delay_alu instid0(VALU_DEP_3) | instskip(NEXT) | instid1(VALU_DEP_1)
	v_min_u32_e32 v4, 32, v4
	v_sub_nc_u32_e64 v4, v4, 4 clamp
	s_delay_alu instid0(VALU_DEP_1) | instskip(NEXT) | instid1(VALU_DEP_1)
	v_dual_lshlrev_b32 v5, v4, v3 :: v_dual_lshlrev_b32 v4, 23, v4
	v_lshrrev_b32_e32 v5, 4, v5
	s_delay_alu instid0(VALU_DEP_1) | instskip(NEXT) | instid1(VALU_DEP_1)
	v_dual_sub_nc_u32 v4, v5, v4 :: v_dual_ashrrev_i32 v5, 8, v6
	v_add_nc_u32_e32 v4, 0x3c000000, v4
	s_delay_alu instid0(VALU_DEP_1) | instskip(NEXT) | instid1(VALU_DEP_1)
	v_and_or_b32 v4, 0x7f800000, v5, v4
	v_cndmask_b32_e32 v3, 0, v4, vcc_lo
	s_delay_alu instid0(VALU_DEP_1) | instskip(NEXT) | instid1(VALU_DEP_1)
	v_and_or_b32 v2, 0x80000000, v2, v3
	v_cvt_f64_f32_e32 v[2:3], v2
.LBB70_843:
	s_mov_b32 s22, 0
.LBB70_844:
	s_delay_alu instid0(SALU_CYCLE_1)
	s_and_not1_b32 vcc_lo, exec_lo, s22
	s_cbranch_vccnz .LBB70_846
; %bb.845:
	s_wait_loadcnt 0x0
	global_load_u8 v2, v[0:1], off
	s_wait_loadcnt 0x0
	v_lshlrev_b32_e32 v3, 25, v2
	v_lshlrev_b16 v2, 8, v2
	s_delay_alu instid0(VALU_DEP_1) | instskip(SKIP_1) | instid1(VALU_DEP_2)
	v_and_or_b32 v5, 0x7f00, v2, 0.5
	v_bfe_i32 v2, v2, 0, 16
	v_dual_add_f32 v5, -0.5, v5 :: v_dual_lshrrev_b32 v4, 4, v3
	v_cmp_gt_u32_e32 vcc_lo, 0x8000000, v3
	s_delay_alu instid0(VALU_DEP_2) | instskip(NEXT) | instid1(VALU_DEP_1)
	v_or_b32_e32 v4, 0x70000000, v4
	v_mul_f32_e32 v4, 0x7800000, v4
	s_delay_alu instid0(VALU_DEP_1) | instskip(NEXT) | instid1(VALU_DEP_1)
	v_cndmask_b32_e32 v3, v4, v5, vcc_lo
	v_and_or_b32 v2, 0x80000000, v2, v3
	s_delay_alu instid0(VALU_DEP_1)
	v_cvt_f64_f32_e32 v[2:3], v2
.LBB70_846:
	s_mov_b32 s22, 0
	s_mov_b32 s23, -1
.LBB70_847:
	s_and_not1_b32 vcc_lo, exec_lo, s22
	s_mov_b32 s22, 0
	s_cbranch_vccnz .LBB70_858
; %bb.848:
	s_cmp_gt_i32 s20, 14
	s_cbranch_scc0 .LBB70_851
; %bb.849:
	s_cmp_eq_u32 s20, 15
	s_cbranch_scc0 .LBB70_854
; %bb.850:
	s_wait_loadcnt 0x0
	global_load_u16 v2, v[0:1], off
	s_mov_b32 s21, 0
	s_mov_b32 s23, -1
	s_wait_loadcnt 0x0
	v_lshlrev_b32_e32 v2, 16, v2
	s_delay_alu instid0(VALU_DEP_1)
	v_cvt_f64_f32_e32 v[2:3], v2
	s_branch .LBB70_856
.LBB70_851:
	s_mov_b32 s22, -1
	s_branch .LBB70_855
.LBB70_852:
	s_or_saveexec_b32 s23, s23
	v_mov_b64_e32 v[2:3], 0x7ff8000020000000
	s_xor_b32 exec_lo, exec_lo, s23
	s_cbranch_execz .LBB70_833
.LBB70_853:
	v_cmp_ne_u16_e32 vcc_lo, 0, v4
	v_mov_b64_e32 v[2:3], 0
	s_and_not1_b32 s22, s22, exec_lo
	s_and_b32 s24, vcc_lo, exec_lo
	s_delay_alu instid0(SALU_CYCLE_1)
	s_or_b32 s22, s22, s24
	s_or_b32 exec_lo, exec_lo, s23
	s_and_saveexec_b32 s23, s22
	s_cbranch_execnz .LBB70_834
	s_branch .LBB70_835
.LBB70_854:
	s_mov_b32 s21, -1
.LBB70_855:
                                        ; implicit-def: $vgpr2_vgpr3
.LBB70_856:
	s_and_b32 vcc_lo, exec_lo, s22
	s_mov_b32 s22, 0
	s_cbranch_vccz .LBB70_858
; %bb.857:
	s_cmp_lg_u32 s20, 11
	s_mov_b32 s22, -1
	s_cselect_b32 s20, -1, 0
	s_and_not1_b32 s21, s21, exec_lo
	s_and_b32 s20, s20, exec_lo
	s_delay_alu instid0(SALU_CYCLE_1)
	s_or_b32 s21, s21, s20
.LBB70_858:
	s_mov_b32 s20, 0
.LBB70_859:
	s_and_not1_b32 s25, s0, exec_lo
	s_and_b32 s21, s21, exec_lo
	s_and_b32 s23, s23, exec_lo
	;; [unrolled: 1-line block ×4, first 2 shown]
	s_or_b32 s21, s25, s21
.LBB70_860:
	s_wait_xcnt 0x0
	s_or_b32 exec_lo, exec_lo, s13
	s_delay_alu instid0(SALU_CYCLE_1)
	s_and_not1_b32 s0, s0, exec_lo
	s_and_b32 s13, s21, exec_lo
	s_and_b32 s23, s23, exec_lo
	;; [unrolled: 1-line block ×4, first 2 shown]
	s_or_b32 s0, s0, s13
.LBB70_861:
	s_or_b32 exec_lo, exec_lo, s19
	s_delay_alu instid0(SALU_CYCLE_1)
	s_and_not1_b32 s13, s17, exec_lo
	s_and_b32 s1, s1, exec_lo
	s_and_b32 s0, s0, exec_lo
	s_or_b32 s17, s13, s1
	s_and_not1_b32 s13, s16, exec_lo
	s_and_b32 s20, s23, exec_lo
	s_and_b32 s19, s22, exec_lo
	;; [unrolled: 1-line block ×3, first 2 shown]
	s_or_b32 s16, s13, s0
.LBB70_862:
	s_or_b32 exec_lo, exec_lo, s18
	s_delay_alu instid0(SALU_CYCLE_1)
	s_and_not1_b32 s0, s12, exec_lo
	s_and_b32 s12, s17, exec_lo
	s_and_not1_b32 s13, s14, exec_lo
	s_and_b32 s14, s16, exec_lo
	s_or_b32 s12, s0, s12
	s_and_b32 s0, s20, exec_lo
	s_and_b32 s17, s19, exec_lo
	s_and_b32 s16, s1, exec_lo
	s_or_b32 s14, s13, s14
	s_or_b32 exec_lo, exec_lo, s15
	s_mov_b32 s1, 0
	s_and_saveexec_b32 s13, s14
	s_cbranch_execz .LBB70_262
.LBB70_863:
	s_mov_b32 s1, exec_lo
	s_and_not1_b32 s16, s16, exec_lo
	s_trap 2
	s_or_b32 exec_lo, exec_lo, s13
	s_and_saveexec_b32 s13, s16
	s_delay_alu instid0(SALU_CYCLE_1)
	s_xor_b32 s13, exec_lo, s13
	s_cbranch_execnz .LBB70_263
.LBB70_864:
	s_or_b32 exec_lo, exec_lo, s13
	s_and_saveexec_b32 s13, s17
	s_cbranch_execz .LBB70_910
.LBB70_865:
	s_sext_i32_i16 s14, s10
	s_delay_alu instid0(SALU_CYCLE_1)
	s_cmp_lt_i32 s14, 5
	s_cbranch_scc1 .LBB70_870
; %bb.866:
	s_cmp_lt_i32 s14, 8
	s_cbranch_scc1 .LBB70_871
; %bb.867:
	;; [unrolled: 3-line block ×3, first 2 shown]
	s_cmp_gt_i32 s14, 9
	s_cbranch_scc0 .LBB70_873
; %bb.869:
	s_wait_loadcnt 0x0
	global_load_b64 v[2:3], v[0:1], off
	s_mov_b32 s14, 0
	s_branch .LBB70_874
.LBB70_870:
                                        ; implicit-def: $vgpr2_vgpr3
	s_branch .LBB70_891
.LBB70_871:
                                        ; implicit-def: $vgpr2_vgpr3
	s_branch .LBB70_880
.LBB70_872:
	s_mov_b32 s14, -1
                                        ; implicit-def: $vgpr2_vgpr3
	s_branch .LBB70_877
.LBB70_873:
	s_mov_b32 s14, -1
                                        ; implicit-def: $vgpr2_vgpr3
.LBB70_874:
	s_delay_alu instid0(SALU_CYCLE_1)
	s_and_not1_b32 vcc_lo, exec_lo, s14
	s_cbranch_vccnz .LBB70_876
; %bb.875:
	s_wait_loadcnt 0x0
	global_load_b32 v2, v[0:1], off
	s_wait_loadcnt 0x0
	v_cvt_f64_f32_e32 v[2:3], v2
.LBB70_876:
	s_mov_b32 s14, 0
.LBB70_877:
	s_delay_alu instid0(SALU_CYCLE_1)
	s_and_not1_b32 vcc_lo, exec_lo, s14
	s_cbranch_vccnz .LBB70_879
; %bb.878:
	s_wait_loadcnt 0x0
	global_load_b32 v2, v[0:1], off
	s_wait_loadcnt 0x0
	v_cvt_f32_f16_e32 v2, v2
	s_delay_alu instid0(VALU_DEP_1)
	v_cvt_f64_f32_e32 v[2:3], v2
.LBB70_879:
	s_cbranch_execnz .LBB70_890
.LBB70_880:
	s_sext_i32_i16 s14, s10
	s_delay_alu instid0(SALU_CYCLE_1)
	s_cmp_lt_i32 s14, 6
	s_cbranch_scc1 .LBB70_883
; %bb.881:
	s_cmp_gt_i32 s14, 6
	s_cbranch_scc0 .LBB70_884
; %bb.882:
	s_wait_loadcnt 0x0
	global_load_b64 v[2:3], v[0:1], off
	s_mov_b32 s14, 0
	s_branch .LBB70_885
.LBB70_883:
	s_mov_b32 s14, -1
                                        ; implicit-def: $vgpr2_vgpr3
	s_branch .LBB70_888
.LBB70_884:
	s_mov_b32 s14, -1
                                        ; implicit-def: $vgpr2_vgpr3
.LBB70_885:
	s_delay_alu instid0(SALU_CYCLE_1)
	s_and_not1_b32 vcc_lo, exec_lo, s14
	s_cbranch_vccnz .LBB70_887
; %bb.886:
	s_wait_loadcnt 0x0
	global_load_b32 v2, v[0:1], off
	s_wait_loadcnt 0x0
	v_cvt_f64_f32_e32 v[2:3], v2
.LBB70_887:
	s_mov_b32 s14, 0
.LBB70_888:
	s_delay_alu instid0(SALU_CYCLE_1)
	s_and_not1_b32 vcc_lo, exec_lo, s14
	s_cbranch_vccnz .LBB70_890
; %bb.889:
	s_wait_loadcnt 0x0
	global_load_u16 v2, v[0:1], off
	s_wait_loadcnt 0x0
	v_cvt_f32_f16_e32 v2, v2
	s_delay_alu instid0(VALU_DEP_1)
	v_cvt_f64_f32_e32 v[2:3], v2
.LBB70_890:
	s_cbranch_execnz .LBB70_909
.LBB70_891:
	s_sext_i32_i16 s14, s10
	s_delay_alu instid0(SALU_CYCLE_1)
	s_cmp_lt_i32 s14, 2
	s_cbranch_scc1 .LBB70_895
; %bb.892:
	s_cmp_lt_i32 s14, 3
	s_cbranch_scc1 .LBB70_896
; %bb.893:
	s_cmp_gt_i32 s14, 3
	s_cbranch_scc0 .LBB70_897
; %bb.894:
	s_wait_loadcnt 0x0
	global_load_b64 v[2:3], v[0:1], off
	s_mov_b32 s14, 0
	s_wait_loadcnt 0x0
	v_cvt_f64_i32_e32 v[4:5], v3
	v_cvt_f64_u32_e32 v[2:3], v2
	s_delay_alu instid0(VALU_DEP_2) | instskip(NEXT) | instid1(VALU_DEP_1)
	v_ldexp_f64 v[4:5], v[4:5], 32
	v_add_f64_e32 v[2:3], v[4:5], v[2:3]
	s_branch .LBB70_898
.LBB70_895:
                                        ; implicit-def: $vgpr2_vgpr3
	s_branch .LBB70_904
.LBB70_896:
	s_mov_b32 s14, -1
                                        ; implicit-def: $vgpr2_vgpr3
	s_branch .LBB70_901
.LBB70_897:
	s_mov_b32 s14, -1
                                        ; implicit-def: $vgpr2_vgpr3
.LBB70_898:
	s_delay_alu instid0(SALU_CYCLE_1)
	s_and_not1_b32 vcc_lo, exec_lo, s14
	s_cbranch_vccnz .LBB70_900
; %bb.899:
	s_wait_loadcnt 0x0
	global_load_b32 v2, v[0:1], off
	s_wait_loadcnt 0x0
	v_cvt_f64_i32_e32 v[2:3], v2
.LBB70_900:
	s_mov_b32 s14, 0
.LBB70_901:
	s_delay_alu instid0(SALU_CYCLE_1)
	s_and_not1_b32 vcc_lo, exec_lo, s14
	s_cbranch_vccnz .LBB70_903
; %bb.902:
	s_wait_loadcnt 0x0
	global_load_i16 v2, v[0:1], off
	s_wait_loadcnt 0x0
	v_cvt_f64_i32_e32 v[2:3], v2
.LBB70_903:
	s_cbranch_execnz .LBB70_909
.LBB70_904:
	s_sext_i32_i16 s14, s10
	s_delay_alu instid0(SALU_CYCLE_1)
	s_cmp_gt_i32 s14, 0
	s_mov_b32 s14, 0
	s_cbranch_scc0 .LBB70_906
; %bb.905:
	s_wait_loadcnt 0x0
	global_load_i8 v2, v[0:1], off
	s_wait_loadcnt 0x0
	v_cvt_f64_i32_e32 v[2:3], v2
	s_branch .LBB70_907
.LBB70_906:
	s_mov_b32 s14, -1
                                        ; implicit-def: $vgpr2_vgpr3
.LBB70_907:
	s_delay_alu instid0(SALU_CYCLE_1)
	s_and_not1_b32 vcc_lo, exec_lo, s14
	s_cbranch_vccnz .LBB70_909
; %bb.908:
	global_load_u8 v0, v[0:1], off
	s_wait_loadcnt 0x0
	v_cvt_f64_u32_e32 v[2:3], v0
.LBB70_909:
	s_or_b32 s0, s0, exec_lo
.LBB70_910:
	s_wait_xcnt 0x0
	s_or_b32 exec_lo, exec_lo, s13
	s_mov_b32 s17, 0
	s_mov_b32 s16, 0
                                        ; implicit-def: $sgpr13
                                        ; implicit-def: $sgpr14
                                        ; implicit-def: $vgpr0_vgpr1
	s_and_saveexec_b32 s15, s0
	s_cbranch_execz .LBB70_918
; %bb.911:
	s_wait_loadcnt 0x0
	s_delay_alu instid0(VALU_DEP_1) | instskip(SKIP_2) | instid1(SALU_CYCLE_1)
	v_cmp_eq_f64_e64 s13, 0xfff00000, v[2:3]
	v_mul_lo_u32 v0, v10, s2
	s_and_b32 s14, s8, 0xff
	s_cmp_lt_i32 s14, 11
	s_delay_alu instid0(VALU_DEP_1) | instskip(NEXT) | instid1(VALU_DEP_1)
	v_ashrrev_i32_e32 v1, 31, v0
	v_add_nc_u64_e32 v[0:1], s[4:5], v[0:1]
	s_cbranch_scc1 .LBB70_921
; %bb.912:
	s_and_b32 s16, 0xffff, s14
	s_mov_b32 s17, -1
	s_cmp_gt_i32 s16, 25
	s_mov_b32 s0, s12
	s_cbranch_scc0 .LBB70_949
; %bb.913:
	s_cmp_gt_i32 s16, 28
	s_mov_b32 s0, s12
	s_cbranch_scc0 .LBB70_933
; %bb.914:
	;; [unrolled: 4-line block ×4, first 2 shown]
	s_cmp_eq_u32 s16, 46
	s_mov_b32 s0, -1
	s_cbranch_scc0 .LBB70_922
; %bb.917:
	v_cndmask_b32_e64 v2, 0, 1.0, s13
	s_mov_b32 s0, 0
	s_mov_b32 s17, 0
	s_delay_alu instid0(VALU_DEP_1) | instskip(NEXT) | instid1(VALU_DEP_1)
	v_bfe_u32 v3, v2, 16, 1
	v_add3_u32 v2, v2, v3, 0x7fff
	s_delay_alu instid0(VALU_DEP_1)
	v_lshrrev_b32_e32 v2, 16, v2
	global_store_b32 v[0:1], v2, off
	s_branch .LBB70_923
.LBB70_918:
	s_or_b32 exec_lo, exec_lo, s15
	s_and_saveexec_b32 s0, s12
	s_cbranch_execnz .LBB70_991
.LBB70_919:
	s_or_b32 exec_lo, exec_lo, s0
	s_and_saveexec_b32 s0, s17
	s_delay_alu instid0(SALU_CYCLE_1)
	s_xor_b32 s0, exec_lo, s0
	s_cbranch_execz .LBB70_992
.LBB70_920:
	s_wait_loadcnt 0x0
	v_cndmask_b32_e64 v2, 0, 1, s13
	global_store_b8 v[0:1], v2, off
	s_wait_xcnt 0x0
	s_or_b32 exec_lo, exec_lo, s0
	s_and_saveexec_b32 s0, s16
	s_delay_alu instid0(SALU_CYCLE_1)
	s_xor_b32 s0, exec_lo, s0
	s_cbranch_execz .LBB70_1030
	s_branch .LBB70_993
.LBB70_921:
	s_mov_b32 s18, 0
	s_mov_b32 s17, -1
	s_mov_b32 s0, s12
	s_branch .LBB70_990
.LBB70_922:
	s_mov_b32 s17, 0
.LBB70_923:
	s_delay_alu instid0(SALU_CYCLE_1)
	s_and_b32 vcc_lo, exec_lo, s17
	s_cbranch_vccz .LBB70_928
; %bb.924:
	s_cmp_eq_u32 s16, 44
	s_mov_b32 s0, -1
	s_cbranch_scc0 .LBB70_928
; %bb.925:
	v_cndmask_b32_e64 v4, 0, 1.0, s13
	s_mov_b32 s17, exec_lo
	s_wait_xcnt 0x0
	s_delay_alu instid0(VALU_DEP_1) | instskip(NEXT) | instid1(VALU_DEP_1)
	v_dual_mov_b32 v3, 0xff :: v_dual_lshrrev_b32 v2, 23, v4
	v_cmpx_ne_u32_e32 0xff, v2
; %bb.926:
	v_and_b32_e32 v3, 0x400000, v4
	v_and_or_b32 v4, 0x3fffff, v4, v2
	s_delay_alu instid0(VALU_DEP_2) | instskip(NEXT) | instid1(VALU_DEP_2)
	v_cmp_ne_u32_e32 vcc_lo, 0, v3
	v_cmp_ne_u32_e64 s0, 0, v4
	s_and_b32 s0, vcc_lo, s0
	s_delay_alu instid0(SALU_CYCLE_1) | instskip(NEXT) | instid1(VALU_DEP_1)
	v_cndmask_b32_e64 v3, 0, 1, s0
	v_add_nc_u32_e32 v3, v2, v3
; %bb.927:
	s_or_b32 exec_lo, exec_lo, s17
	s_mov_b32 s0, 0
	global_store_b8 v[0:1], v3, off
.LBB70_928:
	s_mov_b32 s17, 0
.LBB70_929:
	s_delay_alu instid0(SALU_CYCLE_1)
	s_and_b32 vcc_lo, exec_lo, s17
	s_cbranch_vccz .LBB70_932
; %bb.930:
	s_cmp_eq_u32 s16, 29
	s_mov_b32 s0, -1
	s_cbranch_scc0 .LBB70_932
; %bb.931:
	s_mov_b32 s0, 0
	s_wait_xcnt 0x0
	v_cndmask_b32_e64 v2, 0, 1, s13
	v_mov_b32_e32 v3, s0
	s_mov_b32 s17, 0
	global_store_b64 v[0:1], v[2:3], off
	s_branch .LBB70_933
.LBB70_932:
	s_mov_b32 s17, 0
.LBB70_933:
	s_delay_alu instid0(SALU_CYCLE_1)
	s_and_b32 vcc_lo, exec_lo, s17
	s_cbranch_vccz .LBB70_948
; %bb.934:
	s_cmp_lt_i32 s16, 27
	s_mov_b32 s17, -1
	s_cbranch_scc1 .LBB70_940
; %bb.935:
	s_wait_xcnt 0x0
	v_cndmask_b32_e64 v2, 0, 1, s13
	s_cmp_gt_i32 s16, 27
	s_cbranch_scc0 .LBB70_937
; %bb.936:
	s_mov_b32 s17, 0
	global_store_b32 v[0:1], v2, off
.LBB70_937:
	s_and_not1_b32 vcc_lo, exec_lo, s17
	s_cbranch_vccnz .LBB70_939
; %bb.938:
	global_store_b16 v[0:1], v2, off
.LBB70_939:
	s_mov_b32 s17, 0
.LBB70_940:
	s_delay_alu instid0(SALU_CYCLE_1)
	s_and_not1_b32 vcc_lo, exec_lo, s17
	s_cbranch_vccnz .LBB70_948
; %bb.941:
	s_wait_xcnt 0x0
	v_cndmask_b32_e64 v3, 0, 1.0, s13
	v_mov_b32_e32 v4, 0x80
	s_mov_b32 s17, exec_lo
	s_delay_alu instid0(VALU_DEP_2)
	v_cmpx_gt_u32_e32 0x43800000, v3
	s_cbranch_execz .LBB70_947
; %bb.942:
	s_mov_b32 s18, 0
	s_mov_b32 s19, exec_lo
                                        ; implicit-def: $vgpr2
	v_cmpx_lt_u32_e32 0x3bffffff, v3
	s_xor_b32 s19, exec_lo, s19
	s_cbranch_execz .LBB70_1045
; %bb.943:
	v_bfe_u32 v2, v3, 20, 1
	s_mov_b32 s18, exec_lo
	s_delay_alu instid0(VALU_DEP_1) | instskip(NEXT) | instid1(VALU_DEP_1)
	v_add3_u32 v2, v3, v2, 0x487ffff
                                        ; implicit-def: $vgpr3
	v_lshrrev_b32_e32 v2, 20, v2
	s_and_not1_saveexec_b32 s19, s19
	s_cbranch_execnz .LBB70_1046
.LBB70_944:
	s_or_b32 exec_lo, exec_lo, s19
	v_mov_b32_e32 v4, 0
	s_and_saveexec_b32 s19, s18
.LBB70_945:
	v_mov_b32_e32 v4, v2
.LBB70_946:
	s_or_b32 exec_lo, exec_lo, s19
.LBB70_947:
	s_delay_alu instid0(SALU_CYCLE_1)
	s_or_b32 exec_lo, exec_lo, s17
	global_store_b8 v[0:1], v4, off
.LBB70_948:
	s_mov_b32 s17, 0
.LBB70_949:
	s_delay_alu instid0(SALU_CYCLE_1)
	s_and_b32 vcc_lo, exec_lo, s17
	s_mov_b32 s17, 0
	s_cbranch_vccz .LBB70_989
; %bb.950:
	s_cmp_gt_i32 s16, 22
	s_mov_b32 s18, -1
	s_cbranch_scc0 .LBB70_982
; %bb.951:
	s_cmp_lt_i32 s16, 24
	s_cbranch_scc1 .LBB70_971
; %bb.952:
	s_cmp_gt_i32 s16, 24
	s_cbranch_scc0 .LBB70_960
; %bb.953:
	s_wait_xcnt 0x0
	v_cndmask_b32_e64 v3, 0, 1.0, s13
	v_mov_b32_e32 v4, 0x80
	s_mov_b32 s18, exec_lo
	s_delay_alu instid0(VALU_DEP_2)
	v_cmpx_gt_u32_e32 0x47800000, v3
	s_cbranch_execz .LBB70_959
; %bb.954:
	s_mov_b32 s19, 0
	s_mov_b32 s20, exec_lo
                                        ; implicit-def: $vgpr2
	v_cmpx_lt_u32_e32 0x37ffffff, v3
	s_xor_b32 s20, exec_lo, s20
	s_cbranch_execz .LBB70_1171
; %bb.955:
	v_bfe_u32 v2, v3, 21, 1
	s_mov_b32 s19, exec_lo
	s_delay_alu instid0(VALU_DEP_1) | instskip(NEXT) | instid1(VALU_DEP_1)
	v_add3_u32 v2, v3, v2, 0x88fffff
                                        ; implicit-def: $vgpr3
	v_lshrrev_b32_e32 v2, 21, v2
	s_and_not1_saveexec_b32 s20, s20
	s_cbranch_execnz .LBB70_1172
.LBB70_956:
	s_or_b32 exec_lo, exec_lo, s20
	v_mov_b32_e32 v4, 0
	s_and_saveexec_b32 s20, s19
.LBB70_957:
	v_mov_b32_e32 v4, v2
.LBB70_958:
	s_or_b32 exec_lo, exec_lo, s20
.LBB70_959:
	s_delay_alu instid0(SALU_CYCLE_1)
	s_or_b32 exec_lo, exec_lo, s18
	s_mov_b32 s18, 0
	global_store_b8 v[0:1], v4, off
.LBB70_960:
	s_and_b32 vcc_lo, exec_lo, s18
	s_cbranch_vccz .LBB70_970
; %bb.961:
	s_wait_xcnt 0x0
	v_cndmask_b32_e64 v3, 0, 1.0, s13
	s_mov_b32 s18, exec_lo
                                        ; implicit-def: $vgpr2
	s_delay_alu instid0(VALU_DEP_1)
	v_cmpx_gt_u32_e32 0x43f00000, v3
	s_xor_b32 s18, exec_lo, s18
	s_cbranch_execz .LBB70_967
; %bb.962:
	s_mov_b32 s19, exec_lo
                                        ; implicit-def: $vgpr2
	v_cmpx_lt_u32_e32 0x3c7fffff, v3
	s_xor_b32 s19, exec_lo, s19
; %bb.963:
	v_bfe_u32 v2, v3, 20, 1
	s_delay_alu instid0(VALU_DEP_1) | instskip(NEXT) | instid1(VALU_DEP_1)
	v_add3_u32 v2, v3, v2, 0x407ffff
	v_and_b32_e32 v3, 0xff00000, v2
	v_lshrrev_b32_e32 v2, 20, v2
	s_delay_alu instid0(VALU_DEP_2) | instskip(NEXT) | instid1(VALU_DEP_2)
	v_cmp_ne_u32_e32 vcc_lo, 0x7f00000, v3
                                        ; implicit-def: $vgpr3
	v_cndmask_b32_e32 v2, 0x7e, v2, vcc_lo
; %bb.964:
	s_and_not1_saveexec_b32 s19, s19
; %bb.965:
	v_add_f32_e32 v2, 0x46800000, v3
; %bb.966:
	s_or_b32 exec_lo, exec_lo, s19
                                        ; implicit-def: $vgpr3
.LBB70_967:
	s_and_not1_saveexec_b32 s18, s18
; %bb.968:
	v_mov_b32_e32 v2, 0x7f
	v_cmp_lt_u32_e32 vcc_lo, 0x7f800000, v3
	s_delay_alu instid0(VALU_DEP_2)
	v_cndmask_b32_e32 v2, 0x7e, v2, vcc_lo
; %bb.969:
	s_or_b32 exec_lo, exec_lo, s18
	global_store_b8 v[0:1], v2, off
.LBB70_970:
	s_mov_b32 s18, 0
.LBB70_971:
	s_delay_alu instid0(SALU_CYCLE_1)
	s_and_not1_b32 vcc_lo, exec_lo, s18
	s_cbranch_vccnz .LBB70_981
; %bb.972:
	s_wait_xcnt 0x0
	v_cndmask_b32_e64 v3, 0, 1.0, s13
	s_mov_b32 s18, exec_lo
                                        ; implicit-def: $vgpr2
	s_delay_alu instid0(VALU_DEP_1)
	v_cmpx_gt_u32_e32 0x47800000, v3
	s_xor_b32 s18, exec_lo, s18
	s_cbranch_execz .LBB70_978
; %bb.973:
	s_mov_b32 s19, exec_lo
                                        ; implicit-def: $vgpr2
	v_cmpx_lt_u32_e32 0x387fffff, v3
	s_xor_b32 s19, exec_lo, s19
; %bb.974:
	v_bfe_u32 v2, v3, 21, 1
	s_delay_alu instid0(VALU_DEP_1) | instskip(NEXT) | instid1(VALU_DEP_1)
	v_add3_u32 v2, v3, v2, 0x80fffff
                                        ; implicit-def: $vgpr3
	v_lshrrev_b32_e32 v2, 21, v2
; %bb.975:
	s_and_not1_saveexec_b32 s19, s19
; %bb.976:
	v_add_f32_e32 v2, 0x43000000, v3
; %bb.977:
	s_or_b32 exec_lo, exec_lo, s19
                                        ; implicit-def: $vgpr3
.LBB70_978:
	s_and_not1_saveexec_b32 s18, s18
; %bb.979:
	v_mov_b32_e32 v2, 0x7f
	v_cmp_lt_u32_e32 vcc_lo, 0x7f800000, v3
	s_delay_alu instid0(VALU_DEP_2)
	v_cndmask_b32_e32 v2, 0x7c, v2, vcc_lo
; %bb.980:
	s_or_b32 exec_lo, exec_lo, s18
	global_store_b8 v[0:1], v2, off
.LBB70_981:
	s_mov_b32 s18, 0
.LBB70_982:
	s_delay_alu instid0(SALU_CYCLE_1)
	s_and_not1_b32 vcc_lo, exec_lo, s18
	s_mov_b32 s18, 0
	s_cbranch_vccnz .LBB70_990
; %bb.983:
	s_cmp_gt_i32 s16, 14
	s_mov_b32 s18, -1
	s_cbranch_scc0 .LBB70_987
; %bb.984:
	s_cmp_eq_u32 s16, 15
	s_mov_b32 s0, -1
	s_cbranch_scc0 .LBB70_986
; %bb.985:
	s_wait_xcnt 0x0
	v_cndmask_b32_e64 v2, 0, 1.0, s13
	s_mov_b32 s0, 0
	s_delay_alu instid0(VALU_DEP_1) | instskip(NEXT) | instid1(VALU_DEP_1)
	v_bfe_u32 v3, v2, 16, 1
	v_add3_u32 v2, v2, v3, 0x7fff
	global_store_d16_hi_b16 v[0:1], v2, off
.LBB70_986:
	s_mov_b32 s18, 0
.LBB70_987:
	s_delay_alu instid0(SALU_CYCLE_1)
	s_and_b32 vcc_lo, exec_lo, s18
	s_mov_b32 s18, 0
	s_cbranch_vccz .LBB70_990
; %bb.988:
	s_cmp_lg_u32 s16, 11
	s_mov_b32 s18, -1
	s_cselect_b32 s16, -1, 0
	s_and_not1_b32 s0, s0, exec_lo
	s_and_b32 s16, s16, exec_lo
	s_delay_alu instid0(SALU_CYCLE_1)
	s_or_b32 s0, s0, s16
	s_branch .LBB70_990
.LBB70_989:
	s_mov_b32 s18, 0
.LBB70_990:
	s_and_not1_b32 s12, s12, exec_lo
	s_and_b32 s0, s0, exec_lo
	s_and_b32 s16, s17, exec_lo
	s_and_b32 s17, s18, exec_lo
	s_or_b32 s12, s12, s0
	s_wait_xcnt 0x0
	s_or_b32 exec_lo, exec_lo, s15
	s_and_saveexec_b32 s0, s12
	s_cbranch_execz .LBB70_919
.LBB70_991:
	s_or_b32 s1, s1, exec_lo
	s_and_not1_b32 s17, s17, exec_lo
	s_trap 2
	s_or_b32 exec_lo, exec_lo, s0
	s_and_saveexec_b32 s0, s17
	s_delay_alu instid0(SALU_CYCLE_1)
	s_xor_b32 s0, exec_lo, s0
	s_cbranch_execnz .LBB70_920
.LBB70_992:
	s_or_b32 exec_lo, exec_lo, s0
	s_and_saveexec_b32 s0, s16
	s_delay_alu instid0(SALU_CYCLE_1)
	s_xor_b32 s0, exec_lo, s0
	s_cbranch_execz .LBB70_1030
.LBB70_993:
	s_sext_i32_i16 s15, s14
	s_mov_b32 s12, -1
	s_cmp_lt_i32 s15, 5
	s_cbranch_scc1 .LBB70_1014
; %bb.994:
	s_cmp_lt_i32 s15, 8
	s_cbranch_scc1 .LBB70_1004
; %bb.995:
	;; [unrolled: 3-line block ×3, first 2 shown]
	s_cmp_gt_i32 s15, 9
	s_cbranch_scc0 .LBB70_998
; %bb.997:
	s_wait_loadcnt 0x0
	v_cndmask_b32_e64 v2, 0, 1, s13
	v_mov_b32_e32 v4, 0
	s_mov_b32 s12, 0
	s_delay_alu instid0(VALU_DEP_2) | instskip(NEXT) | instid1(VALU_DEP_2)
	v_cvt_f64_u32_e32 v[2:3], v2
	v_mov_b32_e32 v5, v4
	global_store_b128 v[0:1], v[2:5], off
.LBB70_998:
	s_and_not1_b32 vcc_lo, exec_lo, s12
	s_cbranch_vccnz .LBB70_1000
; %bb.999:
	s_wait_loadcnt 0x0
	v_cndmask_b32_e64 v2, 0, 1.0, s13
	v_mov_b32_e32 v3, 0
	global_store_b64 v[0:1], v[2:3], off
.LBB70_1000:
	s_mov_b32 s12, 0
.LBB70_1001:
	s_delay_alu instid0(SALU_CYCLE_1)
	s_and_not1_b32 vcc_lo, exec_lo, s12
	s_cbranch_vccnz .LBB70_1003
; %bb.1002:
	s_wait_loadcnt 0x0
	v_cndmask_b32_e64 v2, 0, 1.0, s13
	s_delay_alu instid0(VALU_DEP_1) | instskip(NEXT) | instid1(VALU_DEP_1)
	v_cvt_f16_f32_e32 v2, v2
	v_and_b32_e32 v2, 0xffff, v2
	global_store_b32 v[0:1], v2, off
.LBB70_1003:
	s_mov_b32 s12, 0
.LBB70_1004:
	s_delay_alu instid0(SALU_CYCLE_1)
	s_and_not1_b32 vcc_lo, exec_lo, s12
	s_cbranch_vccnz .LBB70_1013
; %bb.1005:
	s_sext_i32_i16 s15, s14
	s_mov_b32 s12, -1
	s_cmp_lt_i32 s15, 6
	s_cbranch_scc1 .LBB70_1011
; %bb.1006:
	s_cmp_gt_i32 s15, 6
	s_cbranch_scc0 .LBB70_1008
; %bb.1007:
	s_wait_loadcnt 0x0
	v_cndmask_b32_e64 v2, 0, 1, s13
	s_mov_b32 s12, 0
	s_delay_alu instid0(VALU_DEP_1)
	v_cvt_f64_u32_e32 v[2:3], v2
	global_store_b64 v[0:1], v[2:3], off
.LBB70_1008:
	s_and_not1_b32 vcc_lo, exec_lo, s12
	s_cbranch_vccnz .LBB70_1010
; %bb.1009:
	s_wait_loadcnt 0x0
	v_cndmask_b32_e64 v2, 0, 1.0, s13
	global_store_b32 v[0:1], v2, off
.LBB70_1010:
	s_mov_b32 s12, 0
.LBB70_1011:
	s_delay_alu instid0(SALU_CYCLE_1)
	s_and_not1_b32 vcc_lo, exec_lo, s12
	s_cbranch_vccnz .LBB70_1013
; %bb.1012:
	s_wait_loadcnt 0x0
	v_cndmask_b32_e64 v2, 0, 1.0, s13
	s_delay_alu instid0(VALU_DEP_1)
	v_cvt_f16_f32_e32 v2, v2
	global_store_b16 v[0:1], v2, off
.LBB70_1013:
	s_mov_b32 s12, 0
.LBB70_1014:
	s_delay_alu instid0(SALU_CYCLE_1)
	s_and_not1_b32 vcc_lo, exec_lo, s12
	s_cbranch_vccnz .LBB70_1030
; %bb.1015:
	s_sext_i32_i16 s15, s14
	s_mov_b32 s12, -1
	s_cmp_lt_i32 s15, 2
	s_cbranch_scc1 .LBB70_1025
; %bb.1016:
	s_cmp_lt_i32 s15, 3
	s_cbranch_scc1 .LBB70_1022
; %bb.1017:
	s_cmp_gt_i32 s15, 3
	s_cbranch_scc0 .LBB70_1019
; %bb.1018:
	s_mov_b32 s12, 0
	s_wait_loadcnt 0x0
	v_cndmask_b32_e64 v2, 0, 1, s13
	v_mov_b32_e32 v3, s12
	global_store_b64 v[0:1], v[2:3], off
.LBB70_1019:
	s_and_not1_b32 vcc_lo, exec_lo, s12
	s_cbranch_vccnz .LBB70_1021
; %bb.1020:
	s_wait_loadcnt 0x0
	v_cndmask_b32_e64 v2, 0, 1, s13
	global_store_b32 v[0:1], v2, off
.LBB70_1021:
	s_mov_b32 s12, 0
.LBB70_1022:
	s_delay_alu instid0(SALU_CYCLE_1)
	s_and_not1_b32 vcc_lo, exec_lo, s12
	s_cbranch_vccnz .LBB70_1024
; %bb.1023:
	s_wait_loadcnt 0x0
	v_cndmask_b32_e64 v2, 0, 1, s13
	global_store_b16 v[0:1], v2, off
.LBB70_1024:
	s_mov_b32 s12, 0
.LBB70_1025:
	s_delay_alu instid0(SALU_CYCLE_1)
	s_and_not1_b32 vcc_lo, exec_lo, s12
	s_cbranch_vccnz .LBB70_1030
; %bb.1026:
	s_wait_loadcnt 0x0
	v_cndmask_b32_e64 v2, 0, 1, s13
	s_sext_i32_i16 s12, s14
	s_delay_alu instid0(SALU_CYCLE_1)
	s_cmp_gt_i32 s12, 0
	s_mov_b32 s12, -1
	s_cbranch_scc0 .LBB70_1028
; %bb.1027:
	s_mov_b32 s12, 0
	global_store_b8 v[0:1], v2, off
.LBB70_1028:
	s_and_not1_b32 vcc_lo, exec_lo, s12
	s_cbranch_vccnz .LBB70_1030
; %bb.1029:
	global_store_b8 v[0:1], v2, off
.LBB70_1030:
	s_wait_xcnt 0x0
	s_or_b32 exec_lo, exec_lo, s0
	s_delay_alu instid0(SALU_CYCLE_1)
	s_and_b32 s12, s1, exec_lo
                                        ; implicit-def: $vgpr10
.LBB70_1031:
	s_or_saveexec_b32 s11, s11
	s_mov_b32 s0, 0
                                        ; implicit-def: $sgpr1
                                        ; implicit-def: $sgpr13
                                        ; implicit-def: $vgpr0_vgpr1
	s_xor_b32 exec_lo, exec_lo, s11
	s_cbranch_execz .LBB70_1983
; %bb.1032:
	s_wait_loadcnt 0x0
	v_mul_lo_u32 v2, s3, v10
	s_and_b32 s0, 0xffff, s10
	s_delay_alu instid0(SALU_CYCLE_1) | instskip(NEXT) | instid1(VALU_DEP_1)
	s_cmp_lt_i32 s0, 11
	v_ashrrev_i32_e32 v3, 31, v2
	s_delay_alu instid0(VALU_DEP_1)
	v_add_nc_u64_e32 v[4:5], s[6:7], v[2:3]
	s_cbranch_scc1 .LBB70_1039
; %bb.1033:
	s_cmp_gt_i32 s0, 25
	s_mov_b32 s10, 0
	s_cbranch_scc0 .LBB70_1041
; %bb.1034:
	s_cmp_gt_i32 s0, 28
	s_cbranch_scc0 .LBB70_1042
; %bb.1035:
	s_cmp_gt_i32 s0, 43
	;; [unrolled: 3-line block ×3, first 2 shown]
	s_cbranch_scc0 .LBB70_1044
; %bb.1037:
	s_cmp_eq_u32 s0, 46
	s_cbranch_scc0 .LBB70_1047
; %bb.1038:
	global_load_b32 v0, v[4:5], off
	s_mov_b32 s1, 0
	s_mov_b32 s13, -1
	s_wait_loadcnt 0x0
	v_lshlrev_b32_e32 v0, 16, v0
	s_delay_alu instid0(VALU_DEP_1)
	v_cvt_f64_f32_e32 v[0:1], v0
	s_branch .LBB70_1049
.LBB70_1039:
	s_mov_b32 s13, 0
	s_mov_b32 s9, s12
                                        ; implicit-def: $vgpr0_vgpr1
	s_cbranch_execnz .LBB70_1112
.LBB70_1040:
	s_and_not1_b32 vcc_lo, exec_lo, s13
	s_cbranch_vccz .LBB70_1157
	s_branch .LBB70_1981
.LBB70_1041:
	s_mov_b32 s13, 0
	s_mov_b32 s1, 0
                                        ; implicit-def: $vgpr0_vgpr1
	s_cbranch_execnz .LBB70_1077
	s_branch .LBB70_1108
.LBB70_1042:
	s_mov_b32 s9, -1
	s_mov_b32 s13, 0
	s_mov_b32 s1, 0
                                        ; implicit-def: $vgpr0_vgpr1
	s_branch .LBB70_1058
.LBB70_1043:
	s_mov_b32 s13, 0
	s_mov_b32 s1, 0
                                        ; implicit-def: $vgpr0_vgpr1
	s_cbranch_execnz .LBB70_1054
	s_branch .LBB70_1057
.LBB70_1044:
	s_mov_b32 s9, -1
	s_mov_b32 s13, 0
	s_mov_b32 s1, 0
	s_branch .LBB70_1048
.LBB70_1045:
	s_and_not1_saveexec_b32 s19, s19
	s_cbranch_execz .LBB70_944
.LBB70_1046:
	v_add_f32_e32 v2, 0x46000000, v3
	s_and_not1_b32 s18, s18, exec_lo
	s_delay_alu instid0(VALU_DEP_1) | instskip(NEXT) | instid1(VALU_DEP_1)
	v_and_b32_e32 v2, 0xff, v2
	v_cmp_ne_u32_e32 vcc_lo, 0, v2
	s_and_b32 s20, vcc_lo, exec_lo
	s_delay_alu instid0(SALU_CYCLE_1)
	s_or_b32 s18, s18, s20
	s_or_b32 exec_lo, exec_lo, s19
	v_mov_b32_e32 v4, 0
	s_and_saveexec_b32 s19, s18
	s_cbranch_execnz .LBB70_945
	s_branch .LBB70_946
.LBB70_1047:
	s_mov_b32 s1, -1
	s_mov_b32 s13, 0
.LBB70_1048:
                                        ; implicit-def: $vgpr0_vgpr1
.LBB70_1049:
	s_and_b32 vcc_lo, exec_lo, s9
	s_cbranch_vccz .LBB70_1052
; %bb.1050:
	s_cmp_eq_u32 s0, 44
	s_cbranch_scc0 .LBB70_1053
; %bb.1051:
	global_load_u8 v3, v[4:5], off
	s_mov_b32 s1, 0
	s_mov_b32 s13, -1
	s_wait_loadcnt 0x0
	v_cmp_ne_u32_e32 vcc_lo, 0xff, v3
	v_lshlrev_b32_e32 v0, 23, v3
	s_delay_alu instid0(VALU_DEP_1) | instskip(NEXT) | instid1(VALU_DEP_1)
	v_cvt_f64_f32_e32 v[0:1], v0
	v_cndmask_b32_e32 v0, 0x20000000, v0, vcc_lo
	s_delay_alu instid0(VALU_DEP_2) | instskip(SKIP_1) | instid1(VALU_DEP_2)
	v_cndmask_b32_e32 v1, 0x7ff80000, v1, vcc_lo
	v_cmp_ne_u32_e32 vcc_lo, 0, v3
	v_cndmask_b32_e32 v1, 0x38000000, v1, vcc_lo
	s_delay_alu instid0(VALU_DEP_4)
	v_cndmask_b32_e32 v0, 0, v0, vcc_lo
.LBB70_1052:
	s_branch .LBB70_1057
.LBB70_1053:
	s_mov_b32 s1, -1
                                        ; implicit-def: $vgpr0_vgpr1
	s_branch .LBB70_1057
.LBB70_1054:
	s_cmp_eq_u32 s0, 29
	s_cbranch_scc0 .LBB70_1056
; %bb.1055:
	global_load_b64 v[0:1], v[4:5], off
	s_mov_b32 s1, 0
	s_mov_b32 s13, -1
	s_mov_b32 s9, 0
	s_wait_loadcnt 0x0
	v_cvt_f64_u32_e32 v[6:7], v1
	v_cvt_f64_u32_e32 v[0:1], v0
	s_delay_alu instid0(VALU_DEP_2) | instskip(NEXT) | instid1(VALU_DEP_1)
	v_ldexp_f64 v[6:7], v[6:7], 32
	v_add_f64_e32 v[0:1], v[6:7], v[0:1]
	s_branch .LBB70_1058
.LBB70_1056:
	s_mov_b32 s1, -1
                                        ; implicit-def: $vgpr0_vgpr1
.LBB70_1057:
	s_mov_b32 s9, 0
.LBB70_1058:
	s_delay_alu instid0(SALU_CYCLE_1)
	s_and_b32 vcc_lo, exec_lo, s9
	s_cbranch_vccz .LBB70_1076
; %bb.1059:
	s_cmp_lt_i32 s0, 27
	s_cbranch_scc1 .LBB70_1062
; %bb.1060:
	s_cmp_gt_i32 s0, 27
	s_cbranch_scc0 .LBB70_1063
; %bb.1061:
	global_load_b32 v0, v[4:5], off
	s_mov_b32 s9, 0
	s_wait_loadcnt 0x0
	v_cvt_f64_u32_e32 v[0:1], v0
	s_branch .LBB70_1064
.LBB70_1062:
	s_mov_b32 s9, -1
                                        ; implicit-def: $vgpr0_vgpr1
	s_branch .LBB70_1067
.LBB70_1063:
	s_mov_b32 s9, -1
                                        ; implicit-def: $vgpr0_vgpr1
.LBB70_1064:
	s_delay_alu instid0(SALU_CYCLE_1)
	s_and_not1_b32 vcc_lo, exec_lo, s9
	s_cbranch_vccnz .LBB70_1066
; %bb.1065:
	global_load_u16 v0, v[4:5], off
	s_wait_loadcnt 0x0
	v_cvt_f64_u32_e32 v[0:1], v0
.LBB70_1066:
	s_mov_b32 s9, 0
.LBB70_1067:
	s_delay_alu instid0(SALU_CYCLE_1)
	s_and_not1_b32 vcc_lo, exec_lo, s9
	s_cbranch_vccnz .LBB70_1075
; %bb.1068:
	global_load_u8 v3, v[4:5], off
	s_mov_b32 s9, 0
	s_mov_b32 s13, exec_lo
	s_wait_loadcnt 0x0
	v_cmpx_lt_i16_e32 0x7f, v3
	s_xor_b32 s13, exec_lo, s13
	s_cbranch_execz .LBB70_1088
; %bb.1069:
	s_mov_b32 s9, -1
	s_mov_b32 s14, exec_lo
	v_cmpx_eq_u16_e32 0x80, v3
; %bb.1070:
	s_xor_b32 s9, exec_lo, -1
; %bb.1071:
	s_or_b32 exec_lo, exec_lo, s14
	s_delay_alu instid0(SALU_CYCLE_1)
	s_and_b32 s9, s9, exec_lo
	s_or_saveexec_b32 s13, s13
	v_mov_b64_e32 v[0:1], 0x7ff8000020000000
	s_xor_b32 exec_lo, exec_lo, s13
	s_cbranch_execnz .LBB70_1089
.LBB70_1072:
	s_or_b32 exec_lo, exec_lo, s13
	s_and_saveexec_b32 s13, s9
	s_cbranch_execz .LBB70_1074
.LBB70_1073:
	v_and_b32_e32 v0, 0xffff, v3
	s_delay_alu instid0(VALU_DEP_1) | instskip(SKIP_1) | instid1(VALU_DEP_2)
	v_and_b32_e32 v1, 7, v0
	v_bfe_u32 v8, v0, 3, 4
	v_clz_i32_u32_e32 v6, v1
	s_delay_alu instid0(VALU_DEP_2) | instskip(NEXT) | instid1(VALU_DEP_2)
	v_cmp_eq_u32_e32 vcc_lo, 0, v8
	v_min_u32_e32 v6, 32, v6
	s_delay_alu instid0(VALU_DEP_1) | instskip(NEXT) | instid1(VALU_DEP_1)
	v_subrev_nc_u32_e32 v7, 28, v6
	v_dual_lshlrev_b32 v0, v7, v0 :: v_dual_sub_nc_u32 v6, 29, v6
	s_delay_alu instid0(VALU_DEP_1) | instskip(NEXT) | instid1(VALU_DEP_1)
	v_dual_lshlrev_b32 v3, 24, v3 :: v_dual_bitop2_b32 v0, 7, v0 bitop3:0x40
	v_dual_cndmask_b32 v6, v8, v6, vcc_lo :: v_dual_cndmask_b32 v0, v1, v0, vcc_lo
	s_delay_alu instid0(VALU_DEP_2) | instskip(NEXT) | instid1(VALU_DEP_2)
	v_and_b32_e32 v1, 0x80000000, v3
	v_lshl_add_u32 v3, v6, 23, 0x3b800000
	s_delay_alu instid0(VALU_DEP_3) | instskip(NEXT) | instid1(VALU_DEP_1)
	v_lshlrev_b32_e32 v0, 20, v0
	v_or3_b32 v0, v1, v3, v0
	s_delay_alu instid0(VALU_DEP_1)
	v_cvt_f64_f32_e32 v[0:1], v0
.LBB70_1074:
	s_or_b32 exec_lo, exec_lo, s13
.LBB70_1075:
	s_mov_b32 s13, -1
.LBB70_1076:
	s_branch .LBB70_1108
.LBB70_1077:
	s_cmp_gt_i32 s0, 22
	s_cbranch_scc0 .LBB70_1087
; %bb.1078:
	s_cmp_lt_i32 s0, 24
	s_cbranch_scc1 .LBB70_1090
; %bb.1079:
	s_cmp_gt_i32 s0, 24
	s_cbranch_scc0 .LBB70_1091
; %bb.1080:
	global_load_u8 v3, v[4:5], off
	s_mov_b32 s9, 0
	s_mov_b32 s10, exec_lo
	s_wait_loadcnt 0x0
	v_cmpx_lt_i16_e32 0x7f, v3
	s_xor_b32 s10, exec_lo, s10
	s_cbranch_execz .LBB70_1102
; %bb.1081:
	s_mov_b32 s9, -1
	s_mov_b32 s13, exec_lo
	v_cmpx_eq_u16_e32 0x80, v3
; %bb.1082:
	s_xor_b32 s9, exec_lo, -1
; %bb.1083:
	s_or_b32 exec_lo, exec_lo, s13
	s_delay_alu instid0(SALU_CYCLE_1)
	s_and_b32 s9, s9, exec_lo
	s_or_saveexec_b32 s10, s10
	v_mov_b64_e32 v[0:1], 0x7ff8000020000000
	s_xor_b32 exec_lo, exec_lo, s10
	s_cbranch_execnz .LBB70_1103
.LBB70_1084:
	s_or_b32 exec_lo, exec_lo, s10
	s_and_saveexec_b32 s10, s9
	s_cbranch_execz .LBB70_1086
.LBB70_1085:
	v_and_b32_e32 v0, 0xffff, v3
	s_delay_alu instid0(VALU_DEP_1) | instskip(SKIP_1) | instid1(VALU_DEP_2)
	v_and_b32_e32 v1, 3, v0
	v_bfe_u32 v8, v0, 2, 5
	v_clz_i32_u32_e32 v6, v1
	s_delay_alu instid0(VALU_DEP_2) | instskip(NEXT) | instid1(VALU_DEP_2)
	v_cmp_eq_u32_e32 vcc_lo, 0, v8
	v_min_u32_e32 v6, 32, v6
	s_delay_alu instid0(VALU_DEP_1) | instskip(NEXT) | instid1(VALU_DEP_1)
	v_subrev_nc_u32_e32 v7, 29, v6
	v_dual_lshlrev_b32 v0, v7, v0 :: v_dual_sub_nc_u32 v6, 30, v6
	s_delay_alu instid0(VALU_DEP_1) | instskip(NEXT) | instid1(VALU_DEP_1)
	v_dual_lshlrev_b32 v3, 24, v3 :: v_dual_bitop2_b32 v0, 3, v0 bitop3:0x40
	v_dual_cndmask_b32 v6, v8, v6, vcc_lo :: v_dual_cndmask_b32 v0, v1, v0, vcc_lo
	s_delay_alu instid0(VALU_DEP_2) | instskip(NEXT) | instid1(VALU_DEP_2)
	v_and_b32_e32 v1, 0x80000000, v3
	v_lshl_add_u32 v3, v6, 23, 0x37800000
	s_delay_alu instid0(VALU_DEP_3) | instskip(NEXT) | instid1(VALU_DEP_1)
	v_lshlrev_b32_e32 v0, 21, v0
	v_or3_b32 v0, v1, v3, v0
	s_delay_alu instid0(VALU_DEP_1)
	v_cvt_f64_f32_e32 v[0:1], v0
.LBB70_1086:
	s_or_b32 exec_lo, exec_lo, s10
	s_mov_b32 s9, 0
	s_branch .LBB70_1092
.LBB70_1087:
                                        ; implicit-def: $vgpr0_vgpr1
	s_mov_b32 s10, 0
	s_branch .LBB70_1098
.LBB70_1088:
	s_or_saveexec_b32 s13, s13
	v_mov_b64_e32 v[0:1], 0x7ff8000020000000
	s_xor_b32 exec_lo, exec_lo, s13
	s_cbranch_execz .LBB70_1072
.LBB70_1089:
	v_cmp_ne_u16_e32 vcc_lo, 0, v3
	v_mov_b64_e32 v[0:1], 0
	s_and_not1_b32 s9, s9, exec_lo
	s_and_b32 s14, vcc_lo, exec_lo
	s_delay_alu instid0(SALU_CYCLE_1)
	s_or_b32 s9, s9, s14
	s_or_b32 exec_lo, exec_lo, s13
	s_and_saveexec_b32 s13, s9
	s_cbranch_execnz .LBB70_1073
	s_branch .LBB70_1074
.LBB70_1090:
	s_mov_b32 s9, -1
                                        ; implicit-def: $vgpr0_vgpr1
	s_branch .LBB70_1095
.LBB70_1091:
	s_mov_b32 s9, -1
                                        ; implicit-def: $vgpr0_vgpr1
.LBB70_1092:
	s_delay_alu instid0(SALU_CYCLE_1)
	s_and_b32 vcc_lo, exec_lo, s9
	s_cbranch_vccz .LBB70_1094
; %bb.1093:
	global_load_u8 v0, v[4:5], off
	s_wait_loadcnt 0x0
	v_lshlrev_b32_e32 v0, 24, v0
	s_delay_alu instid0(VALU_DEP_1) | instskip(NEXT) | instid1(VALU_DEP_1)
	v_and_b32_e32 v1, 0x7f000000, v0
	v_clz_i32_u32_e32 v3, v1
	v_add_nc_u32_e32 v7, 0x1000000, v1
	v_cmp_ne_u32_e32 vcc_lo, 0, v1
	s_delay_alu instid0(VALU_DEP_3) | instskip(NEXT) | instid1(VALU_DEP_1)
	v_min_u32_e32 v3, 32, v3
	v_sub_nc_u32_e64 v3, v3, 4 clamp
	s_delay_alu instid0(VALU_DEP_1) | instskip(NEXT) | instid1(VALU_DEP_1)
	v_dual_lshlrev_b32 v6, v3, v1 :: v_dual_lshlrev_b32 v3, 23, v3
	v_lshrrev_b32_e32 v6, 4, v6
	s_delay_alu instid0(VALU_DEP_1) | instskip(SKIP_1) | instid1(VALU_DEP_2)
	v_sub_nc_u32_e32 v3, v6, v3
	v_ashrrev_i32_e32 v6, 8, v7
	v_add_nc_u32_e32 v3, 0x3c000000, v3
	s_delay_alu instid0(VALU_DEP_1) | instskip(NEXT) | instid1(VALU_DEP_1)
	v_and_or_b32 v3, 0x7f800000, v6, v3
	v_cndmask_b32_e32 v1, 0, v3, vcc_lo
	s_delay_alu instid0(VALU_DEP_1) | instskip(NEXT) | instid1(VALU_DEP_1)
	v_and_or_b32 v0, 0x80000000, v0, v1
	v_cvt_f64_f32_e32 v[0:1], v0
.LBB70_1094:
	s_mov_b32 s9, 0
.LBB70_1095:
	s_delay_alu instid0(SALU_CYCLE_1)
	s_and_not1_b32 vcc_lo, exec_lo, s9
	s_cbranch_vccnz .LBB70_1097
; %bb.1096:
	global_load_u8 v0, v[4:5], off
	s_wait_loadcnt 0x0
	v_lshlrev_b32_e32 v1, 25, v0
	v_lshlrev_b16 v0, 8, v0
	s_delay_alu instid0(VALU_DEP_1) | instskip(SKIP_1) | instid1(VALU_DEP_2)
	v_and_or_b32 v6, 0x7f00, v0, 0.5
	v_bfe_i32 v0, v0, 0, 16
	v_dual_add_f32 v6, -0.5, v6 :: v_dual_lshrrev_b32 v3, 4, v1
	v_cmp_gt_u32_e32 vcc_lo, 0x8000000, v1
	s_delay_alu instid0(VALU_DEP_2) | instskip(NEXT) | instid1(VALU_DEP_1)
	v_or_b32_e32 v3, 0x70000000, v3
	v_mul_f32_e32 v3, 0x7800000, v3
	s_delay_alu instid0(VALU_DEP_1) | instskip(NEXT) | instid1(VALU_DEP_1)
	v_cndmask_b32_e32 v1, v3, v6, vcc_lo
	v_and_or_b32 v0, 0x80000000, v0, v1
	s_delay_alu instid0(VALU_DEP_1)
	v_cvt_f64_f32_e32 v[0:1], v0
.LBB70_1097:
	s_mov_b32 s13, -1
	s_mov_b32 s10, 0
	s_cbranch_execnz .LBB70_1108
.LBB70_1098:
	s_cmp_gt_i32 s0, 14
	s_cbranch_scc0 .LBB70_1101
; %bb.1099:
	s_cmp_eq_u32 s0, 15
	s_cbranch_scc0 .LBB70_1104
; %bb.1100:
	global_load_u16 v0, v[4:5], off
	s_mov_b32 s1, 0
	s_mov_b32 s13, -1
	s_wait_loadcnt 0x0
	v_lshlrev_b32_e32 v0, 16, v0
	s_delay_alu instid0(VALU_DEP_1)
	v_cvt_f64_f32_e32 v[0:1], v0
	s_branch .LBB70_1105
.LBB70_1101:
	s_mov_b32 s9, -1
                                        ; implicit-def: $vgpr0_vgpr1
	s_branch .LBB70_1106
.LBB70_1102:
	s_or_saveexec_b32 s10, s10
	v_mov_b64_e32 v[0:1], 0x7ff8000020000000
	s_xor_b32 exec_lo, exec_lo, s10
	s_cbranch_execz .LBB70_1084
.LBB70_1103:
	v_cmp_ne_u16_e32 vcc_lo, 0, v3
	v_mov_b64_e32 v[0:1], 0
	s_and_not1_b32 s9, s9, exec_lo
	s_and_b32 s13, vcc_lo, exec_lo
	s_delay_alu instid0(SALU_CYCLE_1)
	s_or_b32 s9, s9, s13
	s_or_b32 exec_lo, exec_lo, s10
	s_and_saveexec_b32 s10, s9
	s_cbranch_execnz .LBB70_1085
	s_branch .LBB70_1086
.LBB70_1104:
	s_mov_b32 s1, -1
                                        ; implicit-def: $vgpr0_vgpr1
.LBB70_1105:
	s_mov_b32 s9, 0
.LBB70_1106:
	s_delay_alu instid0(SALU_CYCLE_1)
	s_and_b32 vcc_lo, exec_lo, s9
	s_cbranch_vccz .LBB70_1108
; %bb.1107:
	s_cmp_lg_u32 s0, 11
	s_mov_b32 s10, -1
	s_cselect_b32 s1, -1, 0
.LBB70_1108:
	s_delay_alu instid0(SALU_CYCLE_1)
	s_and_b32 vcc_lo, exec_lo, s1
	s_mov_b32 s9, s12
	s_cbranch_vccnz .LBB70_1169
; %bb.1109:
	s_and_not1_b32 vcc_lo, exec_lo, s10
	s_cbranch_vccnz .LBB70_1111
.LBB70_1110:
	global_load_u8 v0, v[4:5], off
	s_mov_b32 s13, -1
	s_wait_loadcnt 0x0
	v_cmp_ne_u16_e32 vcc_lo, 0, v0
	v_mov_b32_e32 v0, 0
	v_cndmask_b32_e64 v1, 0, 0x3ff00000, vcc_lo
.LBB70_1111:
	s_branch .LBB70_1040
.LBB70_1112:
	s_cmp_lt_i32 s0, 5
	s_cbranch_scc1 .LBB70_1117
; %bb.1113:
	s_cmp_lt_i32 s0, 8
	s_cbranch_scc1 .LBB70_1118
; %bb.1114:
	s_cmp_lt_i32 s0, 9
	s_cbranch_scc1 .LBB70_1119
; %bb.1115:
	s_cmp_gt_i32 s0, 9
	s_cbranch_scc0 .LBB70_1120
; %bb.1116:
	global_load_b64 v[0:1], v[4:5], off
	s_mov_b32 s1, 0
	s_branch .LBB70_1121
.LBB70_1117:
                                        ; implicit-def: $vgpr0_vgpr1
	s_branch .LBB70_1138
.LBB70_1118:
                                        ; implicit-def: $vgpr0_vgpr1
	s_branch .LBB70_1127
.LBB70_1119:
	s_mov_b32 s1, -1
                                        ; implicit-def: $vgpr0_vgpr1
	s_branch .LBB70_1124
.LBB70_1120:
	s_mov_b32 s1, -1
                                        ; implicit-def: $vgpr0_vgpr1
.LBB70_1121:
	s_delay_alu instid0(SALU_CYCLE_1)
	s_and_not1_b32 vcc_lo, exec_lo, s1
	s_cbranch_vccnz .LBB70_1123
; %bb.1122:
	s_wait_loadcnt 0x0
	global_load_b32 v0, v[4:5], off
	s_wait_loadcnt 0x0
	v_cvt_f64_f32_e32 v[0:1], v0
.LBB70_1123:
	s_mov_b32 s1, 0
.LBB70_1124:
	s_delay_alu instid0(SALU_CYCLE_1)
	s_and_not1_b32 vcc_lo, exec_lo, s1
	s_cbranch_vccnz .LBB70_1126
; %bb.1125:
	s_wait_loadcnt 0x0
	global_load_b32 v0, v[4:5], off
	s_wait_loadcnt 0x0
	v_cvt_f32_f16_e32 v0, v0
	s_delay_alu instid0(VALU_DEP_1)
	v_cvt_f64_f32_e32 v[0:1], v0
.LBB70_1126:
	s_cbranch_execnz .LBB70_1137
.LBB70_1127:
	s_cmp_lt_i32 s0, 6
	s_cbranch_scc1 .LBB70_1130
; %bb.1128:
	s_cmp_gt_i32 s0, 6
	s_cbranch_scc0 .LBB70_1131
; %bb.1129:
	s_wait_loadcnt 0x0
	global_load_b64 v[0:1], v[4:5], off
	s_mov_b32 s1, 0
	s_branch .LBB70_1132
.LBB70_1130:
	s_mov_b32 s1, -1
                                        ; implicit-def: $vgpr0_vgpr1
	s_branch .LBB70_1135
.LBB70_1131:
	s_mov_b32 s1, -1
                                        ; implicit-def: $vgpr0_vgpr1
.LBB70_1132:
	s_delay_alu instid0(SALU_CYCLE_1)
	s_and_not1_b32 vcc_lo, exec_lo, s1
	s_cbranch_vccnz .LBB70_1134
; %bb.1133:
	s_wait_loadcnt 0x0
	global_load_b32 v0, v[4:5], off
	s_wait_loadcnt 0x0
	v_cvt_f64_f32_e32 v[0:1], v0
.LBB70_1134:
	s_mov_b32 s1, 0
.LBB70_1135:
	s_delay_alu instid0(SALU_CYCLE_1)
	s_and_not1_b32 vcc_lo, exec_lo, s1
	s_cbranch_vccnz .LBB70_1137
; %bb.1136:
	s_wait_loadcnt 0x0
	global_load_u16 v0, v[4:5], off
	s_wait_loadcnt 0x0
	v_cvt_f32_f16_e32 v0, v0
	s_delay_alu instid0(VALU_DEP_1)
	v_cvt_f64_f32_e32 v[0:1], v0
.LBB70_1137:
	s_cbranch_execnz .LBB70_1156
.LBB70_1138:
	s_cmp_lt_i32 s0, 2
	s_cbranch_scc1 .LBB70_1142
; %bb.1139:
	s_cmp_lt_i32 s0, 3
	s_cbranch_scc1 .LBB70_1143
; %bb.1140:
	s_cmp_gt_i32 s0, 3
	s_cbranch_scc0 .LBB70_1144
; %bb.1141:
	s_wait_loadcnt 0x0
	global_load_b64 v[0:1], v[4:5], off
	s_mov_b32 s1, 0
	s_wait_loadcnt 0x0
	v_cvt_f64_i32_e32 v[6:7], v1
	v_cvt_f64_u32_e32 v[0:1], v0
	s_delay_alu instid0(VALU_DEP_2) | instskip(NEXT) | instid1(VALU_DEP_1)
	v_ldexp_f64 v[6:7], v[6:7], 32
	v_add_f64_e32 v[0:1], v[6:7], v[0:1]
	s_branch .LBB70_1145
.LBB70_1142:
                                        ; implicit-def: $vgpr0_vgpr1
	s_branch .LBB70_1151
.LBB70_1143:
	s_mov_b32 s1, -1
                                        ; implicit-def: $vgpr0_vgpr1
	s_branch .LBB70_1148
.LBB70_1144:
	s_mov_b32 s1, -1
                                        ; implicit-def: $vgpr0_vgpr1
.LBB70_1145:
	s_delay_alu instid0(SALU_CYCLE_1)
	s_and_not1_b32 vcc_lo, exec_lo, s1
	s_cbranch_vccnz .LBB70_1147
; %bb.1146:
	s_wait_loadcnt 0x0
	global_load_b32 v0, v[4:5], off
	s_wait_loadcnt 0x0
	v_cvt_f64_i32_e32 v[0:1], v0
.LBB70_1147:
	s_mov_b32 s1, 0
.LBB70_1148:
	s_delay_alu instid0(SALU_CYCLE_1)
	s_and_not1_b32 vcc_lo, exec_lo, s1
	s_cbranch_vccnz .LBB70_1150
; %bb.1149:
	s_wait_loadcnt 0x0
	global_load_i16 v0, v[4:5], off
	s_wait_loadcnt 0x0
	v_cvt_f64_i32_e32 v[0:1], v0
.LBB70_1150:
	s_cbranch_execnz .LBB70_1156
.LBB70_1151:
	s_cmp_gt_i32 s0, 0
	s_mov_b32 s1, 0
	s_cbranch_scc0 .LBB70_1153
; %bb.1152:
	s_wait_loadcnt 0x0
	global_load_i8 v0, v[4:5], off
	s_wait_loadcnt 0x0
	v_cvt_f64_i32_e32 v[0:1], v0
	s_branch .LBB70_1154
.LBB70_1153:
	s_mov_b32 s1, -1
                                        ; implicit-def: $vgpr0_vgpr1
.LBB70_1154:
	s_delay_alu instid0(SALU_CYCLE_1)
	s_and_not1_b32 vcc_lo, exec_lo, s1
	s_cbranch_vccnz .LBB70_1156
; %bb.1155:
	s_wait_loadcnt 0x0
	global_load_u8 v0, v[4:5], off
	s_wait_loadcnt 0x0
	v_cvt_f64_u32_e32 v[0:1], v0
.LBB70_1156:
.LBB70_1157:
	s_lshl_b32 s1, s3, 7
	s_cmp_lt_i32 s0, 11
	s_wait_xcnt 0x0
	v_add_nc_u32_e32 v4, s1, v2
	s_delay_alu instid0(VALU_DEP_1) | instskip(NEXT) | instid1(VALU_DEP_1)
	v_ashrrev_i32_e32 v5, 31, v4
	v_add_nc_u64_e32 v[6:7], s[6:7], v[4:5]
	s_cbranch_scc1 .LBB70_1164
; %bb.1158:
	s_cmp_gt_i32 s0, 25
	s_mov_b32 s10, 0
	s_cbranch_scc0 .LBB70_1166
; %bb.1159:
	s_cmp_gt_i32 s0, 28
	s_cbranch_scc0 .LBB70_1167
; %bb.1160:
	s_cmp_gt_i32 s0, 43
	;; [unrolled: 3-line block ×3, first 2 shown]
	s_cbranch_scc0 .LBB70_1170
; %bb.1162:
	s_cmp_eq_u32 s0, 46
	s_mov_b32 s14, 0
	s_cbranch_scc0 .LBB70_1173
; %bb.1163:
	global_load_b32 v2, v[6:7], off
	s_mov_b32 s3, 0
	s_mov_b32 s13, -1
	s_wait_loadcnt 0x0
	v_lshlrev_b32_e32 v2, 16, v2
	s_delay_alu instid0(VALU_DEP_1)
	v_cvt_f64_f32_e32 v[2:3], v2
	s_branch .LBB70_1175
.LBB70_1164:
	s_mov_b32 s13, 0
                                        ; implicit-def: $vgpr2_vgpr3
	s_cbranch_execnz .LBB70_1240
.LBB70_1165:
	s_and_not1_b32 vcc_lo, exec_lo, s13
	s_cbranch_vccnz .LBB70_1981
	s_branch .LBB70_1287
.LBB70_1166:
	s_mov_b32 s13, 0
	s_mov_b32 s3, 0
                                        ; implicit-def: $vgpr2_vgpr3
	s_cbranch_execnz .LBB70_1204
	s_branch .LBB70_1236
.LBB70_1167:
	s_mov_b32 s14, -1
	s_mov_b32 s13, 0
	s_mov_b32 s3, 0
                                        ; implicit-def: $vgpr2_vgpr3
	s_branch .LBB70_1185
.LBB70_1168:
	s_mov_b32 s14, -1
	s_mov_b32 s13, 0
	s_mov_b32 s3, 0
                                        ; implicit-def: $vgpr2_vgpr3
	s_branch .LBB70_1180
.LBB70_1169:
	s_or_b32 s9, s12, exec_lo
	s_trap 2
	s_cbranch_execz .LBB70_1110
	s_branch .LBB70_1111
.LBB70_1170:
	s_mov_b32 s14, -1
	s_mov_b32 s13, 0
	s_mov_b32 s3, 0
	s_branch .LBB70_1174
.LBB70_1171:
	s_and_not1_saveexec_b32 s20, s20
	s_cbranch_execz .LBB70_956
.LBB70_1172:
	v_add_f32_e32 v2, 0x42800000, v3
	s_and_not1_b32 s19, s19, exec_lo
	s_delay_alu instid0(VALU_DEP_1) | instskip(NEXT) | instid1(VALU_DEP_1)
	v_and_b32_e32 v2, 0xff, v2
	v_cmp_ne_u32_e32 vcc_lo, 0, v2
	s_and_b32 s21, vcc_lo, exec_lo
	s_delay_alu instid0(SALU_CYCLE_1)
	s_or_b32 s19, s19, s21
	s_or_b32 exec_lo, exec_lo, s20
	v_mov_b32_e32 v4, 0
	s_and_saveexec_b32 s20, s19
	s_cbranch_execnz .LBB70_957
	s_branch .LBB70_958
.LBB70_1173:
	s_mov_b32 s3, -1
	s_mov_b32 s13, 0
.LBB70_1174:
                                        ; implicit-def: $vgpr2_vgpr3
.LBB70_1175:
	s_and_b32 vcc_lo, exec_lo, s14
	s_cbranch_vccz .LBB70_1179
; %bb.1176:
	s_cmp_eq_u32 s0, 44
	s_cbranch_scc0 .LBB70_1178
; %bb.1177:
	global_load_u8 v5, v[6:7], off
	s_mov_b32 s3, 0
	s_mov_b32 s13, -1
	s_wait_loadcnt 0x0
	v_cmp_ne_u32_e32 vcc_lo, 0xff, v5
	v_lshlrev_b32_e32 v2, 23, v5
	s_delay_alu instid0(VALU_DEP_1) | instskip(NEXT) | instid1(VALU_DEP_1)
	v_cvt_f64_f32_e32 v[2:3], v2
	v_cndmask_b32_e32 v2, 0x20000000, v2, vcc_lo
	s_delay_alu instid0(VALU_DEP_2) | instskip(SKIP_1) | instid1(VALU_DEP_2)
	v_cndmask_b32_e32 v3, 0x7ff80000, v3, vcc_lo
	v_cmp_ne_u32_e32 vcc_lo, 0, v5
	v_cndmask_b32_e32 v3, 0x38000000, v3, vcc_lo
	s_delay_alu instid0(VALU_DEP_4)
	v_cndmask_b32_e32 v2, 0, v2, vcc_lo
	s_branch .LBB70_1179
.LBB70_1178:
	s_mov_b32 s3, -1
                                        ; implicit-def: $vgpr2_vgpr3
.LBB70_1179:
	s_mov_b32 s14, 0
.LBB70_1180:
	s_delay_alu instid0(SALU_CYCLE_1)
	s_and_b32 vcc_lo, exec_lo, s14
	s_cbranch_vccz .LBB70_1184
; %bb.1181:
	s_cmp_eq_u32 s0, 29
	s_cbranch_scc0 .LBB70_1183
; %bb.1182:
	global_load_b64 v[2:3], v[6:7], off
	s_mov_b32 s3, 0
	s_mov_b32 s13, -1
	s_mov_b32 s14, 0
	s_wait_loadcnt 0x0
	v_cvt_f64_u32_e32 v[8:9], v3
	v_cvt_f64_u32_e32 v[2:3], v2
	s_delay_alu instid0(VALU_DEP_2) | instskip(NEXT) | instid1(VALU_DEP_1)
	v_ldexp_f64 v[8:9], v[8:9], 32
	v_add_f64_e32 v[2:3], v[8:9], v[2:3]
	s_branch .LBB70_1185
.LBB70_1183:
	s_mov_b32 s3, -1
                                        ; implicit-def: $vgpr2_vgpr3
.LBB70_1184:
	s_mov_b32 s14, 0
.LBB70_1185:
	s_delay_alu instid0(SALU_CYCLE_1)
	s_and_b32 vcc_lo, exec_lo, s14
	s_cbranch_vccz .LBB70_1203
; %bb.1186:
	s_cmp_lt_i32 s0, 27
	s_cbranch_scc1 .LBB70_1189
; %bb.1187:
	s_cmp_gt_i32 s0, 27
	s_cbranch_scc0 .LBB70_1190
; %bb.1188:
	global_load_b32 v2, v[6:7], off
	s_mov_b32 s13, 0
	s_wait_loadcnt 0x0
	v_cvt_f64_u32_e32 v[2:3], v2
	s_branch .LBB70_1191
.LBB70_1189:
	s_mov_b32 s13, -1
                                        ; implicit-def: $vgpr2_vgpr3
	s_branch .LBB70_1194
.LBB70_1190:
	s_mov_b32 s13, -1
                                        ; implicit-def: $vgpr2_vgpr3
.LBB70_1191:
	s_delay_alu instid0(SALU_CYCLE_1)
	s_and_not1_b32 vcc_lo, exec_lo, s13
	s_cbranch_vccnz .LBB70_1193
; %bb.1192:
	global_load_u16 v2, v[6:7], off
	s_wait_loadcnt 0x0
	v_cvt_f64_u32_e32 v[2:3], v2
.LBB70_1193:
	s_mov_b32 s13, 0
.LBB70_1194:
	s_delay_alu instid0(SALU_CYCLE_1)
	s_and_not1_b32 vcc_lo, exec_lo, s13
	s_cbranch_vccnz .LBB70_1202
; %bb.1195:
	global_load_u8 v5, v[6:7], off
	s_mov_b32 s13, 0
	s_mov_b32 s14, exec_lo
	s_wait_loadcnt 0x0
	v_cmpx_lt_i16_e32 0x7f, v5
	s_xor_b32 s14, exec_lo, s14
	s_cbranch_execz .LBB70_1215
; %bb.1196:
	s_mov_b32 s13, -1
	s_mov_b32 s15, exec_lo
	v_cmpx_eq_u16_e32 0x80, v5
; %bb.1197:
	s_xor_b32 s13, exec_lo, -1
; %bb.1198:
	s_or_b32 exec_lo, exec_lo, s15
	s_delay_alu instid0(SALU_CYCLE_1)
	s_and_b32 s13, s13, exec_lo
	s_or_saveexec_b32 s14, s14
	v_mov_b64_e32 v[2:3], 0x7ff8000020000000
	s_xor_b32 exec_lo, exec_lo, s14
	s_cbranch_execnz .LBB70_1216
.LBB70_1199:
	s_or_b32 exec_lo, exec_lo, s14
	s_and_saveexec_b32 s14, s13
	s_cbranch_execz .LBB70_1201
.LBB70_1200:
	v_and_b32_e32 v2, 0xffff, v5
	s_delay_alu instid0(VALU_DEP_1) | instskip(SKIP_1) | instid1(VALU_DEP_2)
	v_and_b32_e32 v3, 7, v2
	v_bfe_u32 v11, v2, 3, 4
	v_clz_i32_u32_e32 v8, v3
	s_delay_alu instid0(VALU_DEP_2) | instskip(NEXT) | instid1(VALU_DEP_2)
	v_cmp_eq_u32_e32 vcc_lo, 0, v11
	v_min_u32_e32 v8, 32, v8
	s_delay_alu instid0(VALU_DEP_1) | instskip(NEXT) | instid1(VALU_DEP_1)
	v_subrev_nc_u32_e32 v9, 28, v8
	v_dual_lshlrev_b32 v2, v9, v2 :: v_dual_sub_nc_u32 v8, 29, v8
	s_delay_alu instid0(VALU_DEP_1) | instskip(NEXT) | instid1(VALU_DEP_2)
	v_dual_lshlrev_b32 v5, 24, v5 :: v_dual_bitop2_b32 v2, 7, v2 bitop3:0x40
	v_cndmask_b32_e32 v8, v11, v8, vcc_lo
	s_delay_alu instid0(VALU_DEP_2) | instskip(NEXT) | instid1(VALU_DEP_3)
	v_cndmask_b32_e32 v2, v3, v2, vcc_lo
	v_and_b32_e32 v3, 0x80000000, v5
	s_delay_alu instid0(VALU_DEP_3) | instskip(NEXT) | instid1(VALU_DEP_3)
	v_lshl_add_u32 v5, v8, 23, 0x3b800000
	v_lshlrev_b32_e32 v2, 20, v2
	s_delay_alu instid0(VALU_DEP_1) | instskip(NEXT) | instid1(VALU_DEP_1)
	v_or3_b32 v2, v3, v5, v2
	v_cvt_f64_f32_e32 v[2:3], v2
.LBB70_1201:
	s_or_b32 exec_lo, exec_lo, s14
.LBB70_1202:
	s_mov_b32 s13, -1
.LBB70_1203:
	s_branch .LBB70_1236
.LBB70_1204:
	s_cmp_gt_i32 s0, 22
	s_cbranch_scc0 .LBB70_1214
; %bb.1205:
	s_cmp_lt_i32 s0, 24
	s_cbranch_scc1 .LBB70_1217
; %bb.1206:
	s_cmp_gt_i32 s0, 24
	s_cbranch_scc0 .LBB70_1218
; %bb.1207:
	global_load_u8 v5, v[6:7], off
	s_mov_b32 s13, exec_lo
	s_wait_loadcnt 0x0
	v_cmpx_lt_i16_e32 0x7f, v5
	s_xor_b32 s13, exec_lo, s13
	s_cbranch_execz .LBB70_1230
; %bb.1208:
	s_mov_b32 s10, -1
	s_mov_b32 s14, exec_lo
	v_cmpx_eq_u16_e32 0x80, v5
; %bb.1209:
	s_xor_b32 s10, exec_lo, -1
; %bb.1210:
	s_or_b32 exec_lo, exec_lo, s14
	s_delay_alu instid0(SALU_CYCLE_1)
	s_and_b32 s10, s10, exec_lo
	s_or_saveexec_b32 s13, s13
	v_mov_b64_e32 v[2:3], 0x7ff8000020000000
	s_xor_b32 exec_lo, exec_lo, s13
	s_cbranch_execnz .LBB70_1231
.LBB70_1211:
	s_or_b32 exec_lo, exec_lo, s13
	s_and_saveexec_b32 s13, s10
	s_cbranch_execz .LBB70_1213
.LBB70_1212:
	v_and_b32_e32 v2, 0xffff, v5
	s_delay_alu instid0(VALU_DEP_1) | instskip(SKIP_1) | instid1(VALU_DEP_2)
	v_and_b32_e32 v3, 3, v2
	v_bfe_u32 v11, v2, 2, 5
	v_clz_i32_u32_e32 v8, v3
	s_delay_alu instid0(VALU_DEP_2) | instskip(NEXT) | instid1(VALU_DEP_2)
	v_cmp_eq_u32_e32 vcc_lo, 0, v11
	v_min_u32_e32 v8, 32, v8
	s_delay_alu instid0(VALU_DEP_1) | instskip(NEXT) | instid1(VALU_DEP_1)
	v_subrev_nc_u32_e32 v9, 29, v8
	v_dual_lshlrev_b32 v2, v9, v2 :: v_dual_sub_nc_u32 v8, 30, v8
	s_delay_alu instid0(VALU_DEP_1) | instskip(NEXT) | instid1(VALU_DEP_2)
	v_dual_lshlrev_b32 v5, 24, v5 :: v_dual_bitop2_b32 v2, 3, v2 bitop3:0x40
	v_cndmask_b32_e32 v8, v11, v8, vcc_lo
	s_delay_alu instid0(VALU_DEP_2) | instskip(NEXT) | instid1(VALU_DEP_3)
	v_cndmask_b32_e32 v2, v3, v2, vcc_lo
	v_and_b32_e32 v3, 0x80000000, v5
	s_delay_alu instid0(VALU_DEP_3) | instskip(NEXT) | instid1(VALU_DEP_3)
	v_lshl_add_u32 v5, v8, 23, 0x37800000
	v_lshlrev_b32_e32 v2, 21, v2
	s_delay_alu instid0(VALU_DEP_1) | instskip(NEXT) | instid1(VALU_DEP_1)
	v_or3_b32 v2, v3, v5, v2
	v_cvt_f64_f32_e32 v[2:3], v2
.LBB70_1213:
	s_or_b32 exec_lo, exec_lo, s13
	s_mov_b32 s10, 0
	s_branch .LBB70_1219
.LBB70_1214:
	s_mov_b32 s10, -1
                                        ; implicit-def: $vgpr2_vgpr3
	s_branch .LBB70_1225
.LBB70_1215:
	s_or_saveexec_b32 s14, s14
	v_mov_b64_e32 v[2:3], 0x7ff8000020000000
	s_xor_b32 exec_lo, exec_lo, s14
	s_cbranch_execz .LBB70_1199
.LBB70_1216:
	v_cmp_ne_u16_e32 vcc_lo, 0, v5
	v_mov_b64_e32 v[2:3], 0
	s_and_not1_b32 s13, s13, exec_lo
	s_and_b32 s15, vcc_lo, exec_lo
	s_delay_alu instid0(SALU_CYCLE_1)
	s_or_b32 s13, s13, s15
	s_or_b32 exec_lo, exec_lo, s14
	s_and_saveexec_b32 s14, s13
	s_cbranch_execnz .LBB70_1200
	s_branch .LBB70_1201
.LBB70_1217:
	s_mov_b32 s10, -1
                                        ; implicit-def: $vgpr2_vgpr3
	s_branch .LBB70_1222
.LBB70_1218:
	s_mov_b32 s10, -1
                                        ; implicit-def: $vgpr2_vgpr3
.LBB70_1219:
	s_delay_alu instid0(SALU_CYCLE_1)
	s_and_b32 vcc_lo, exec_lo, s10
	s_cbranch_vccz .LBB70_1221
; %bb.1220:
	global_load_u8 v2, v[6:7], off
	s_wait_loadcnt 0x0
	v_lshlrev_b32_e32 v2, 24, v2
	s_delay_alu instid0(VALU_DEP_1) | instskip(NEXT) | instid1(VALU_DEP_1)
	v_and_b32_e32 v3, 0x7f000000, v2
	v_clz_i32_u32_e32 v5, v3
	v_add_nc_u32_e32 v9, 0x1000000, v3
	v_cmp_ne_u32_e32 vcc_lo, 0, v3
	s_delay_alu instid0(VALU_DEP_3) | instskip(NEXT) | instid1(VALU_DEP_1)
	v_min_u32_e32 v5, 32, v5
	v_sub_nc_u32_e64 v5, v5, 4 clamp
	s_delay_alu instid0(VALU_DEP_1) | instskip(NEXT) | instid1(VALU_DEP_1)
	v_dual_lshlrev_b32 v8, v5, v3 :: v_dual_lshlrev_b32 v5, 23, v5
	v_lshrrev_b32_e32 v8, 4, v8
	s_delay_alu instid0(VALU_DEP_1) | instskip(SKIP_1) | instid1(VALU_DEP_2)
	v_sub_nc_u32_e32 v5, v8, v5
	v_ashrrev_i32_e32 v8, 8, v9
	v_add_nc_u32_e32 v5, 0x3c000000, v5
	s_delay_alu instid0(VALU_DEP_1) | instskip(NEXT) | instid1(VALU_DEP_1)
	v_and_or_b32 v5, 0x7f800000, v8, v5
	v_cndmask_b32_e32 v3, 0, v5, vcc_lo
	s_delay_alu instid0(VALU_DEP_1) | instskip(NEXT) | instid1(VALU_DEP_1)
	v_and_or_b32 v2, 0x80000000, v2, v3
	v_cvt_f64_f32_e32 v[2:3], v2
.LBB70_1221:
	s_mov_b32 s10, 0
.LBB70_1222:
	s_delay_alu instid0(SALU_CYCLE_1)
	s_and_not1_b32 vcc_lo, exec_lo, s10
	s_cbranch_vccnz .LBB70_1224
; %bb.1223:
	global_load_u8 v2, v[6:7], off
	s_wait_loadcnt 0x0
	v_lshlrev_b32_e32 v3, 25, v2
	v_lshlrev_b16 v2, 8, v2
	s_delay_alu instid0(VALU_DEP_1) | instskip(SKIP_1) | instid1(VALU_DEP_2)
	v_and_or_b32 v8, 0x7f00, v2, 0.5
	v_bfe_i32 v2, v2, 0, 16
	v_dual_add_f32 v8, -0.5, v8 :: v_dual_lshrrev_b32 v5, 4, v3
	v_cmp_gt_u32_e32 vcc_lo, 0x8000000, v3
	s_delay_alu instid0(VALU_DEP_2) | instskip(NEXT) | instid1(VALU_DEP_1)
	v_or_b32_e32 v5, 0x70000000, v5
	v_mul_f32_e32 v5, 0x7800000, v5
	s_delay_alu instid0(VALU_DEP_1) | instskip(NEXT) | instid1(VALU_DEP_1)
	v_cndmask_b32_e32 v3, v5, v8, vcc_lo
	v_and_or_b32 v2, 0x80000000, v2, v3
	s_delay_alu instid0(VALU_DEP_1)
	v_cvt_f64_f32_e32 v[2:3], v2
.LBB70_1224:
	s_mov_b32 s10, 0
	s_mov_b32 s13, -1
.LBB70_1225:
	s_and_not1_b32 vcc_lo, exec_lo, s10
	s_mov_b32 s10, 0
	s_cbranch_vccnz .LBB70_1236
; %bb.1226:
	s_cmp_gt_i32 s0, 14
	s_cbranch_scc0 .LBB70_1229
; %bb.1227:
	s_cmp_eq_u32 s0, 15
	s_cbranch_scc0 .LBB70_1232
; %bb.1228:
	global_load_u16 v2, v[6:7], off
	s_mov_b32 s3, 0
	s_mov_b32 s13, -1
	s_wait_loadcnt 0x0
	v_lshlrev_b32_e32 v2, 16, v2
	s_delay_alu instid0(VALU_DEP_1)
	v_cvt_f64_f32_e32 v[2:3], v2
	s_branch .LBB70_1234
.LBB70_1229:
	s_mov_b32 s10, -1
	s_branch .LBB70_1233
.LBB70_1230:
	s_or_saveexec_b32 s13, s13
	v_mov_b64_e32 v[2:3], 0x7ff8000020000000
	s_xor_b32 exec_lo, exec_lo, s13
	s_cbranch_execz .LBB70_1211
.LBB70_1231:
	v_cmp_ne_u16_e32 vcc_lo, 0, v5
	v_mov_b64_e32 v[2:3], 0
	s_and_not1_b32 s10, s10, exec_lo
	s_and_b32 s14, vcc_lo, exec_lo
	s_delay_alu instid0(SALU_CYCLE_1)
	s_or_b32 s10, s10, s14
	s_or_b32 exec_lo, exec_lo, s13
	s_and_saveexec_b32 s13, s10
	s_cbranch_execnz .LBB70_1212
	s_branch .LBB70_1213
.LBB70_1232:
	s_mov_b32 s3, -1
.LBB70_1233:
                                        ; implicit-def: $vgpr2_vgpr3
.LBB70_1234:
	s_and_b32 vcc_lo, exec_lo, s10
	s_mov_b32 s10, 0
	s_cbranch_vccz .LBB70_1236
; %bb.1235:
	s_cmp_lg_u32 s0, 11
	s_mov_b32 s10, -1
	s_cselect_b32 s3, -1, 0
.LBB70_1236:
	s_delay_alu instid0(SALU_CYCLE_1)
	s_and_b32 vcc_lo, exec_lo, s3
	s_cbranch_vccnz .LBB70_1299
; %bb.1237:
	s_and_not1_b32 vcc_lo, exec_lo, s10
	s_cbranch_vccnz .LBB70_1239
.LBB70_1238:
	global_load_u8 v2, v[6:7], off
	s_mov_b32 s13, -1
	s_wait_loadcnt 0x0
	v_cmp_ne_u16_e32 vcc_lo, 0, v2
	v_mov_b32_e32 v2, 0
	v_cndmask_b32_e64 v3, 0, 0x3ff00000, vcc_lo
.LBB70_1239:
	s_branch .LBB70_1165
.LBB70_1240:
	s_cmp_lt_i32 s0, 5
	s_cbranch_scc1 .LBB70_1245
; %bb.1241:
	s_cmp_lt_i32 s0, 8
	s_cbranch_scc1 .LBB70_1246
; %bb.1242:
	;; [unrolled: 3-line block ×3, first 2 shown]
	s_cmp_gt_i32 s0, 9
	s_cbranch_scc0 .LBB70_1248
; %bb.1244:
	global_load_b64 v[2:3], v[6:7], off
	s_mov_b32 s3, 0
	s_branch .LBB70_1249
.LBB70_1245:
                                        ; implicit-def: $vgpr2_vgpr3
	s_branch .LBB70_1267
.LBB70_1246:
	s_mov_b32 s3, -1
                                        ; implicit-def: $vgpr2_vgpr3
	s_branch .LBB70_1255
.LBB70_1247:
	s_mov_b32 s3, -1
                                        ; implicit-def: $vgpr2_vgpr3
	s_branch .LBB70_1252
.LBB70_1248:
	s_mov_b32 s3, -1
                                        ; implicit-def: $vgpr2_vgpr3
.LBB70_1249:
	s_delay_alu instid0(SALU_CYCLE_1)
	s_and_not1_b32 vcc_lo, exec_lo, s3
	s_cbranch_vccnz .LBB70_1251
; %bb.1250:
	s_wait_loadcnt 0x0
	global_load_b32 v2, v[6:7], off
	s_wait_loadcnt 0x0
	v_cvt_f64_f32_e32 v[2:3], v2
.LBB70_1251:
	s_mov_b32 s3, 0
.LBB70_1252:
	s_delay_alu instid0(SALU_CYCLE_1)
	s_and_not1_b32 vcc_lo, exec_lo, s3
	s_cbranch_vccnz .LBB70_1254
; %bb.1253:
	s_wait_loadcnt 0x0
	global_load_b32 v2, v[6:7], off
	s_wait_loadcnt 0x0
	v_cvt_f32_f16_e32 v2, v2
	s_delay_alu instid0(VALU_DEP_1)
	v_cvt_f64_f32_e32 v[2:3], v2
.LBB70_1254:
	s_mov_b32 s3, 0
.LBB70_1255:
	s_delay_alu instid0(SALU_CYCLE_1)
	s_and_not1_b32 vcc_lo, exec_lo, s3
	s_cbranch_vccnz .LBB70_1266
; %bb.1256:
	s_cmp_lt_i32 s0, 6
	s_cbranch_scc1 .LBB70_1259
; %bb.1257:
	s_cmp_gt_i32 s0, 6
	s_cbranch_scc0 .LBB70_1260
; %bb.1258:
	s_wait_loadcnt 0x0
	global_load_b64 v[2:3], v[6:7], off
	s_mov_b32 s3, 0
	s_branch .LBB70_1261
.LBB70_1259:
	s_mov_b32 s3, -1
                                        ; implicit-def: $vgpr2_vgpr3
	s_branch .LBB70_1264
.LBB70_1260:
	s_mov_b32 s3, -1
                                        ; implicit-def: $vgpr2_vgpr3
.LBB70_1261:
	s_delay_alu instid0(SALU_CYCLE_1)
	s_and_not1_b32 vcc_lo, exec_lo, s3
	s_cbranch_vccnz .LBB70_1263
; %bb.1262:
	s_wait_loadcnt 0x0
	global_load_b32 v2, v[6:7], off
	s_wait_loadcnt 0x0
	v_cvt_f64_f32_e32 v[2:3], v2
.LBB70_1263:
	s_mov_b32 s3, 0
.LBB70_1264:
	s_delay_alu instid0(SALU_CYCLE_1)
	s_and_not1_b32 vcc_lo, exec_lo, s3
	s_cbranch_vccnz .LBB70_1266
; %bb.1265:
	s_wait_loadcnt 0x0
	global_load_u16 v2, v[6:7], off
	s_wait_loadcnt 0x0
	v_cvt_f32_f16_e32 v2, v2
	s_delay_alu instid0(VALU_DEP_1)
	v_cvt_f64_f32_e32 v[2:3], v2
.LBB70_1266:
	s_cbranch_execnz .LBB70_1286
.LBB70_1267:
	s_cmp_lt_i32 s0, 2
	s_cbranch_scc1 .LBB70_1271
; %bb.1268:
	s_cmp_lt_i32 s0, 3
	s_cbranch_scc1 .LBB70_1272
; %bb.1269:
	s_cmp_gt_i32 s0, 3
	s_cbranch_scc0 .LBB70_1273
; %bb.1270:
	s_wait_loadcnt 0x0
	global_load_b64 v[2:3], v[6:7], off
	s_mov_b32 s3, 0
	s_wait_loadcnt 0x0
	v_cvt_f64_i32_e32 v[8:9], v3
	v_cvt_f64_u32_e32 v[2:3], v2
	s_delay_alu instid0(VALU_DEP_2) | instskip(NEXT) | instid1(VALU_DEP_1)
	v_ldexp_f64 v[8:9], v[8:9], 32
	v_add_f64_e32 v[2:3], v[8:9], v[2:3]
	s_branch .LBB70_1274
.LBB70_1271:
	s_mov_b32 s3, -1
                                        ; implicit-def: $vgpr2_vgpr3
	s_branch .LBB70_1280
.LBB70_1272:
	s_mov_b32 s3, -1
                                        ; implicit-def: $vgpr2_vgpr3
	s_branch .LBB70_1277
.LBB70_1273:
	s_mov_b32 s3, -1
                                        ; implicit-def: $vgpr2_vgpr3
.LBB70_1274:
	s_delay_alu instid0(SALU_CYCLE_1)
	s_and_not1_b32 vcc_lo, exec_lo, s3
	s_cbranch_vccnz .LBB70_1276
; %bb.1275:
	s_wait_loadcnt 0x0
	global_load_b32 v2, v[6:7], off
	s_wait_loadcnt 0x0
	v_cvt_f64_i32_e32 v[2:3], v2
.LBB70_1276:
	s_mov_b32 s3, 0
.LBB70_1277:
	s_delay_alu instid0(SALU_CYCLE_1)
	s_and_not1_b32 vcc_lo, exec_lo, s3
	s_cbranch_vccnz .LBB70_1279
; %bb.1278:
	s_wait_loadcnt 0x0
	global_load_i16 v2, v[6:7], off
	s_wait_loadcnt 0x0
	v_cvt_f64_i32_e32 v[2:3], v2
.LBB70_1279:
	s_mov_b32 s3, 0
.LBB70_1280:
	s_delay_alu instid0(SALU_CYCLE_1)
	s_and_not1_b32 vcc_lo, exec_lo, s3
	s_cbranch_vccnz .LBB70_1286
; %bb.1281:
	s_cmp_gt_i32 s0, 0
	s_mov_b32 s3, 0
	s_cbranch_scc0 .LBB70_1283
; %bb.1282:
	s_wait_loadcnt 0x0
	global_load_i8 v2, v[6:7], off
	s_wait_loadcnt 0x0
	v_cvt_f64_i32_e32 v[2:3], v2
	s_branch .LBB70_1284
.LBB70_1283:
	s_mov_b32 s3, -1
                                        ; implicit-def: $vgpr2_vgpr3
.LBB70_1284:
	s_delay_alu instid0(SALU_CYCLE_1)
	s_and_not1_b32 vcc_lo, exec_lo, s3
	s_cbranch_vccnz .LBB70_1286
; %bb.1285:
	s_wait_loadcnt 0x0
	global_load_u8 v2, v[6:7], off
	s_wait_loadcnt 0x0
	v_cvt_f64_u32_e32 v[2:3], v2
.LBB70_1286:
.LBB70_1287:
	s_wait_xcnt 0x0
	v_add_nc_u32_e32 v6, s1, v4
	s_cmp_lt_i32 s0, 11
	s_delay_alu instid0(VALU_DEP_1) | instskip(NEXT) | instid1(VALU_DEP_1)
	v_ashrrev_i32_e32 v7, 31, v6
	v_add_nc_u64_e32 v[8:9], s[6:7], v[6:7]
	s_cbranch_scc1 .LBB70_1294
; %bb.1288:
	s_cmp_gt_i32 s0, 25
	s_mov_b32 s10, 0
	s_cbranch_scc0 .LBB70_1296
; %bb.1289:
	s_cmp_gt_i32 s0, 28
	s_cbranch_scc0 .LBB70_1297
; %bb.1290:
	s_cmp_gt_i32 s0, 43
	;; [unrolled: 3-line block ×3, first 2 shown]
	s_cbranch_scc0 .LBB70_1300
; %bb.1292:
	s_cmp_eq_u32 s0, 46
	s_mov_b32 s14, 0
	s_cbranch_scc0 .LBB70_1301
; %bb.1293:
	global_load_b32 v4, v[8:9], off
	s_mov_b32 s3, 0
	s_mov_b32 s13, -1
	s_wait_loadcnt 0x0
	v_lshlrev_b32_e32 v4, 16, v4
	s_delay_alu instid0(VALU_DEP_1)
	v_cvt_f64_f32_e32 v[4:5], v4
	s_branch .LBB70_1303
.LBB70_1294:
	s_mov_b32 s13, 0
                                        ; implicit-def: $vgpr4_vgpr5
	s_cbranch_execnz .LBB70_1369
.LBB70_1295:
	s_and_not1_b32 vcc_lo, exec_lo, s13
	s_cbranch_vccnz .LBB70_1981
	s_branch .LBB70_1417
.LBB70_1296:
	s_mov_b32 s14, -1
	s_mov_b32 s13, 0
	s_mov_b32 s3, 0
                                        ; implicit-def: $vgpr4_vgpr5
	s_branch .LBB70_1332
.LBB70_1297:
	s_mov_b32 s14, -1
	s_mov_b32 s13, 0
	s_mov_b32 s3, 0
                                        ; implicit-def: $vgpr4_vgpr5
	s_branch .LBB70_1313
.LBB70_1298:
	s_mov_b32 s14, -1
	s_mov_b32 s13, 0
	s_mov_b32 s3, 0
                                        ; implicit-def: $vgpr4_vgpr5
	s_branch .LBB70_1308
.LBB70_1299:
	s_or_b32 s9, s9, exec_lo
	s_trap 2
	s_cbranch_execz .LBB70_1238
	s_branch .LBB70_1239
.LBB70_1300:
	s_mov_b32 s14, -1
	s_mov_b32 s13, 0
	s_mov_b32 s3, 0
	s_branch .LBB70_1302
.LBB70_1301:
	s_mov_b32 s3, -1
	s_mov_b32 s13, 0
.LBB70_1302:
                                        ; implicit-def: $vgpr4_vgpr5
.LBB70_1303:
	s_and_b32 vcc_lo, exec_lo, s14
	s_cbranch_vccz .LBB70_1307
; %bb.1304:
	s_cmp_eq_u32 s0, 44
	s_cbranch_scc0 .LBB70_1306
; %bb.1305:
	global_load_u8 v7, v[8:9], off
	s_mov_b32 s3, 0
	s_mov_b32 s13, -1
	s_wait_loadcnt 0x0
	v_cmp_ne_u32_e32 vcc_lo, 0xff, v7
	v_lshlrev_b32_e32 v4, 23, v7
	s_delay_alu instid0(VALU_DEP_1) | instskip(NEXT) | instid1(VALU_DEP_1)
	v_cvt_f64_f32_e32 v[4:5], v4
	v_cndmask_b32_e32 v4, 0x20000000, v4, vcc_lo
	s_delay_alu instid0(VALU_DEP_2) | instskip(SKIP_1) | instid1(VALU_DEP_2)
	v_cndmask_b32_e32 v5, 0x7ff80000, v5, vcc_lo
	v_cmp_ne_u32_e32 vcc_lo, 0, v7
	v_cndmask_b32_e32 v5, 0x38000000, v5, vcc_lo
	s_delay_alu instid0(VALU_DEP_4)
	v_cndmask_b32_e32 v4, 0, v4, vcc_lo
	s_branch .LBB70_1307
.LBB70_1306:
	s_mov_b32 s3, -1
                                        ; implicit-def: $vgpr4_vgpr5
.LBB70_1307:
	s_mov_b32 s14, 0
.LBB70_1308:
	s_delay_alu instid0(SALU_CYCLE_1)
	s_and_b32 vcc_lo, exec_lo, s14
	s_cbranch_vccz .LBB70_1312
; %bb.1309:
	s_cmp_eq_u32 s0, 29
	s_cbranch_scc0 .LBB70_1311
; %bb.1310:
	global_load_b64 v[4:5], v[8:9], off
	s_mov_b32 s3, 0
	s_mov_b32 s13, -1
	s_mov_b32 s14, 0
	s_wait_loadcnt 0x0
	v_cvt_f64_u32_e32 v[12:13], v5
	v_cvt_f64_u32_e32 v[4:5], v4
	s_delay_alu instid0(VALU_DEP_2) | instskip(NEXT) | instid1(VALU_DEP_1)
	v_ldexp_f64 v[12:13], v[12:13], 32
	v_add_f64_e32 v[4:5], v[12:13], v[4:5]
	s_branch .LBB70_1313
.LBB70_1311:
	s_mov_b32 s3, -1
                                        ; implicit-def: $vgpr4_vgpr5
.LBB70_1312:
	s_mov_b32 s14, 0
.LBB70_1313:
	s_delay_alu instid0(SALU_CYCLE_1)
	s_and_b32 vcc_lo, exec_lo, s14
	s_cbranch_vccz .LBB70_1331
; %bb.1314:
	s_cmp_lt_i32 s0, 27
	s_cbranch_scc1 .LBB70_1317
; %bb.1315:
	s_cmp_gt_i32 s0, 27
	s_cbranch_scc0 .LBB70_1318
; %bb.1316:
	global_load_b32 v4, v[8:9], off
	s_mov_b32 s13, 0
	s_wait_loadcnt 0x0
	v_cvt_f64_u32_e32 v[4:5], v4
	s_branch .LBB70_1319
.LBB70_1317:
	s_mov_b32 s13, -1
                                        ; implicit-def: $vgpr4_vgpr5
	s_branch .LBB70_1322
.LBB70_1318:
	s_mov_b32 s13, -1
                                        ; implicit-def: $vgpr4_vgpr5
.LBB70_1319:
	s_delay_alu instid0(SALU_CYCLE_1)
	s_and_not1_b32 vcc_lo, exec_lo, s13
	s_cbranch_vccnz .LBB70_1321
; %bb.1320:
	global_load_u16 v4, v[8:9], off
	s_wait_loadcnt 0x0
	v_cvt_f64_u32_e32 v[4:5], v4
.LBB70_1321:
	s_mov_b32 s13, 0
.LBB70_1322:
	s_delay_alu instid0(SALU_CYCLE_1)
	s_and_not1_b32 vcc_lo, exec_lo, s13
	s_cbranch_vccnz .LBB70_1330
; %bb.1323:
	global_load_u8 v7, v[8:9], off
	s_mov_b32 s13, 0
	s_mov_b32 s14, exec_lo
	s_wait_loadcnt 0x0
	v_cmpx_lt_i16_e32 0x7f, v7
	s_xor_b32 s14, exec_lo, s14
	s_cbranch_execz .LBB70_1344
; %bb.1324:
	s_mov_b32 s13, -1
	s_mov_b32 s15, exec_lo
	v_cmpx_eq_u16_e32 0x80, v7
; %bb.1325:
	s_xor_b32 s13, exec_lo, -1
; %bb.1326:
	s_or_b32 exec_lo, exec_lo, s15
	s_delay_alu instid0(SALU_CYCLE_1)
	s_and_b32 s13, s13, exec_lo
	s_or_saveexec_b32 s14, s14
	v_mov_b64_e32 v[4:5], 0x7ff8000020000000
	s_xor_b32 exec_lo, exec_lo, s14
	s_cbranch_execnz .LBB70_1345
.LBB70_1327:
	s_or_b32 exec_lo, exec_lo, s14
	s_and_saveexec_b32 s14, s13
	s_cbranch_execz .LBB70_1329
.LBB70_1328:
	v_and_b32_e32 v4, 0xffff, v7
	s_delay_alu instid0(VALU_DEP_1) | instskip(SKIP_1) | instid1(VALU_DEP_2)
	v_and_b32_e32 v5, 7, v4
	v_bfe_u32 v13, v4, 3, 4
	v_clz_i32_u32_e32 v11, v5
	s_delay_alu instid0(VALU_DEP_2) | instskip(NEXT) | instid1(VALU_DEP_2)
	v_cmp_eq_u32_e32 vcc_lo, 0, v13
	v_min_u32_e32 v11, 32, v11
	s_delay_alu instid0(VALU_DEP_1) | instskip(NEXT) | instid1(VALU_DEP_1)
	v_subrev_nc_u32_e32 v12, 28, v11
	v_dual_lshlrev_b32 v4, v12, v4 :: v_dual_sub_nc_u32 v11, 29, v11
	s_delay_alu instid0(VALU_DEP_1) | instskip(NEXT) | instid1(VALU_DEP_1)
	v_dual_lshlrev_b32 v7, 24, v7 :: v_dual_bitop2_b32 v4, 7, v4 bitop3:0x40
	v_cndmask_b32_e32 v4, v5, v4, vcc_lo
	s_delay_alu instid0(VALU_DEP_3) | instskip(NEXT) | instid1(VALU_DEP_3)
	v_cndmask_b32_e32 v11, v13, v11, vcc_lo
	v_and_b32_e32 v5, 0x80000000, v7
	s_delay_alu instid0(VALU_DEP_3) | instskip(NEXT) | instid1(VALU_DEP_3)
	v_lshlrev_b32_e32 v4, 20, v4
	v_lshl_add_u32 v7, v11, 23, 0x3b800000
	s_delay_alu instid0(VALU_DEP_1) | instskip(NEXT) | instid1(VALU_DEP_1)
	v_or3_b32 v4, v5, v7, v4
	v_cvt_f64_f32_e32 v[4:5], v4
.LBB70_1329:
	s_or_b32 exec_lo, exec_lo, s14
.LBB70_1330:
	s_mov_b32 s13, -1
.LBB70_1331:
	s_mov_b32 s14, 0
.LBB70_1332:
	s_delay_alu instid0(SALU_CYCLE_1)
	s_and_b32 vcc_lo, exec_lo, s14
	s_cbranch_vccz .LBB70_1365
; %bb.1333:
	s_cmp_gt_i32 s0, 22
	s_cbranch_scc0 .LBB70_1343
; %bb.1334:
	s_cmp_lt_i32 s0, 24
	s_cbranch_scc1 .LBB70_1346
; %bb.1335:
	s_cmp_gt_i32 s0, 24
	s_cbranch_scc0 .LBB70_1347
; %bb.1336:
	global_load_u8 v7, v[8:9], off
	s_mov_b32 s13, exec_lo
	s_wait_loadcnt 0x0
	v_cmpx_lt_i16_e32 0x7f, v7
	s_xor_b32 s13, exec_lo, s13
	s_cbranch_execz .LBB70_1359
; %bb.1337:
	s_mov_b32 s10, -1
	s_mov_b32 s14, exec_lo
	v_cmpx_eq_u16_e32 0x80, v7
; %bb.1338:
	s_xor_b32 s10, exec_lo, -1
; %bb.1339:
	s_or_b32 exec_lo, exec_lo, s14
	s_delay_alu instid0(SALU_CYCLE_1)
	s_and_b32 s10, s10, exec_lo
	s_or_saveexec_b32 s13, s13
	v_mov_b64_e32 v[4:5], 0x7ff8000020000000
	s_xor_b32 exec_lo, exec_lo, s13
	s_cbranch_execnz .LBB70_1360
.LBB70_1340:
	s_or_b32 exec_lo, exec_lo, s13
	s_and_saveexec_b32 s13, s10
	s_cbranch_execz .LBB70_1342
.LBB70_1341:
	v_and_b32_e32 v4, 0xffff, v7
	s_delay_alu instid0(VALU_DEP_1) | instskip(SKIP_1) | instid1(VALU_DEP_2)
	v_and_b32_e32 v5, 3, v4
	v_bfe_u32 v13, v4, 2, 5
	v_clz_i32_u32_e32 v11, v5
	s_delay_alu instid0(VALU_DEP_2) | instskip(NEXT) | instid1(VALU_DEP_2)
	v_cmp_eq_u32_e32 vcc_lo, 0, v13
	v_min_u32_e32 v11, 32, v11
	s_delay_alu instid0(VALU_DEP_1) | instskip(NEXT) | instid1(VALU_DEP_1)
	v_subrev_nc_u32_e32 v12, 29, v11
	v_dual_lshlrev_b32 v4, v12, v4 :: v_dual_sub_nc_u32 v11, 30, v11
	s_delay_alu instid0(VALU_DEP_1) | instskip(NEXT) | instid1(VALU_DEP_1)
	v_dual_lshlrev_b32 v7, 24, v7 :: v_dual_bitop2_b32 v4, 3, v4 bitop3:0x40
	v_cndmask_b32_e32 v4, v5, v4, vcc_lo
	s_delay_alu instid0(VALU_DEP_3) | instskip(NEXT) | instid1(VALU_DEP_3)
	v_cndmask_b32_e32 v11, v13, v11, vcc_lo
	v_and_b32_e32 v5, 0x80000000, v7
	s_delay_alu instid0(VALU_DEP_3) | instskip(NEXT) | instid1(VALU_DEP_3)
	v_lshlrev_b32_e32 v4, 21, v4
	v_lshl_add_u32 v7, v11, 23, 0x37800000
	s_delay_alu instid0(VALU_DEP_1) | instskip(NEXT) | instid1(VALU_DEP_1)
	v_or3_b32 v4, v5, v7, v4
	v_cvt_f64_f32_e32 v[4:5], v4
.LBB70_1342:
	s_or_b32 exec_lo, exec_lo, s13
	s_mov_b32 s10, 0
	s_branch .LBB70_1348
.LBB70_1343:
	s_mov_b32 s10, -1
                                        ; implicit-def: $vgpr4_vgpr5
	s_branch .LBB70_1354
.LBB70_1344:
	s_or_saveexec_b32 s14, s14
	v_mov_b64_e32 v[4:5], 0x7ff8000020000000
	s_xor_b32 exec_lo, exec_lo, s14
	s_cbranch_execz .LBB70_1327
.LBB70_1345:
	v_cmp_ne_u16_e32 vcc_lo, 0, v7
	v_mov_b64_e32 v[4:5], 0
	s_and_not1_b32 s13, s13, exec_lo
	s_and_b32 s15, vcc_lo, exec_lo
	s_delay_alu instid0(SALU_CYCLE_1)
	s_or_b32 s13, s13, s15
	s_or_b32 exec_lo, exec_lo, s14
	s_and_saveexec_b32 s14, s13
	s_cbranch_execnz .LBB70_1328
	s_branch .LBB70_1329
.LBB70_1346:
	s_mov_b32 s10, -1
                                        ; implicit-def: $vgpr4_vgpr5
	s_branch .LBB70_1351
.LBB70_1347:
	s_mov_b32 s10, -1
                                        ; implicit-def: $vgpr4_vgpr5
.LBB70_1348:
	s_delay_alu instid0(SALU_CYCLE_1)
	s_and_b32 vcc_lo, exec_lo, s10
	s_cbranch_vccz .LBB70_1350
; %bb.1349:
	global_load_u8 v4, v[8:9], off
	s_wait_loadcnt 0x0
	v_lshlrev_b32_e32 v4, 24, v4
	s_delay_alu instid0(VALU_DEP_1) | instskip(NEXT) | instid1(VALU_DEP_1)
	v_and_b32_e32 v5, 0x7f000000, v4
	v_clz_i32_u32_e32 v7, v5
	v_cmp_ne_u32_e32 vcc_lo, 0, v5
	v_add_nc_u32_e32 v12, 0x1000000, v5
	s_delay_alu instid0(VALU_DEP_3) | instskip(NEXT) | instid1(VALU_DEP_1)
	v_min_u32_e32 v7, 32, v7
	v_sub_nc_u32_e64 v7, v7, 4 clamp
	s_delay_alu instid0(VALU_DEP_1) | instskip(NEXT) | instid1(VALU_DEP_1)
	v_dual_lshlrev_b32 v11, v7, v5 :: v_dual_lshlrev_b32 v7, 23, v7
	v_lshrrev_b32_e32 v11, 4, v11
	s_delay_alu instid0(VALU_DEP_1) | instskip(NEXT) | instid1(VALU_DEP_1)
	v_dual_sub_nc_u32 v7, v11, v7 :: v_dual_ashrrev_i32 v11, 8, v12
	v_add_nc_u32_e32 v7, 0x3c000000, v7
	s_delay_alu instid0(VALU_DEP_1) | instskip(NEXT) | instid1(VALU_DEP_1)
	v_and_or_b32 v7, 0x7f800000, v11, v7
	v_cndmask_b32_e32 v5, 0, v7, vcc_lo
	s_delay_alu instid0(VALU_DEP_1) | instskip(NEXT) | instid1(VALU_DEP_1)
	v_and_or_b32 v4, 0x80000000, v4, v5
	v_cvt_f64_f32_e32 v[4:5], v4
.LBB70_1350:
	s_mov_b32 s10, 0
.LBB70_1351:
	s_delay_alu instid0(SALU_CYCLE_1)
	s_and_not1_b32 vcc_lo, exec_lo, s10
	s_cbranch_vccnz .LBB70_1353
; %bb.1352:
	global_load_u8 v4, v[8:9], off
	s_wait_loadcnt 0x0
	v_lshlrev_b32_e32 v5, 25, v4
	v_lshlrev_b16 v4, 8, v4
	s_delay_alu instid0(VALU_DEP_1) | instskip(SKIP_1) | instid1(VALU_DEP_2)
	v_and_or_b32 v11, 0x7f00, v4, 0.5
	v_bfe_i32 v4, v4, 0, 16
	v_dual_add_f32 v11, -0.5, v11 :: v_dual_lshrrev_b32 v7, 4, v5
	v_cmp_gt_u32_e32 vcc_lo, 0x8000000, v5
	s_delay_alu instid0(VALU_DEP_2) | instskip(NEXT) | instid1(VALU_DEP_1)
	v_or_b32_e32 v7, 0x70000000, v7
	v_mul_f32_e32 v7, 0x7800000, v7
	s_delay_alu instid0(VALU_DEP_1) | instskip(NEXT) | instid1(VALU_DEP_1)
	v_cndmask_b32_e32 v5, v7, v11, vcc_lo
	v_and_or_b32 v4, 0x80000000, v4, v5
	s_delay_alu instid0(VALU_DEP_1)
	v_cvt_f64_f32_e32 v[4:5], v4
.LBB70_1353:
	s_mov_b32 s10, 0
	s_mov_b32 s13, -1
.LBB70_1354:
	s_and_not1_b32 vcc_lo, exec_lo, s10
	s_mov_b32 s10, 0
	s_cbranch_vccnz .LBB70_1365
; %bb.1355:
	s_cmp_gt_i32 s0, 14
	s_cbranch_scc0 .LBB70_1358
; %bb.1356:
	s_cmp_eq_u32 s0, 15
	s_cbranch_scc0 .LBB70_1361
; %bb.1357:
	global_load_u16 v4, v[8:9], off
	s_mov_b32 s3, 0
	s_mov_b32 s13, -1
	s_wait_loadcnt 0x0
	v_lshlrev_b32_e32 v4, 16, v4
	s_delay_alu instid0(VALU_DEP_1)
	v_cvt_f64_f32_e32 v[4:5], v4
	s_branch .LBB70_1363
.LBB70_1358:
	s_mov_b32 s10, -1
	s_branch .LBB70_1362
.LBB70_1359:
	s_or_saveexec_b32 s13, s13
	v_mov_b64_e32 v[4:5], 0x7ff8000020000000
	s_xor_b32 exec_lo, exec_lo, s13
	s_cbranch_execz .LBB70_1340
.LBB70_1360:
	v_cmp_ne_u16_e32 vcc_lo, 0, v7
	v_mov_b64_e32 v[4:5], 0
	s_and_not1_b32 s10, s10, exec_lo
	s_and_b32 s14, vcc_lo, exec_lo
	s_delay_alu instid0(SALU_CYCLE_1)
	s_or_b32 s10, s10, s14
	s_or_b32 exec_lo, exec_lo, s13
	s_and_saveexec_b32 s13, s10
	s_cbranch_execnz .LBB70_1341
	s_branch .LBB70_1342
.LBB70_1361:
	s_mov_b32 s3, -1
.LBB70_1362:
                                        ; implicit-def: $vgpr4_vgpr5
.LBB70_1363:
	s_and_b32 vcc_lo, exec_lo, s10
	s_mov_b32 s10, 0
	s_cbranch_vccz .LBB70_1365
; %bb.1364:
	s_cmp_lg_u32 s0, 11
	s_mov_b32 s10, -1
	s_cselect_b32 s3, -1, 0
.LBB70_1365:
	s_delay_alu instid0(SALU_CYCLE_1)
	s_and_b32 vcc_lo, exec_lo, s3
	s_cbranch_vccnz .LBB70_1428
; %bb.1366:
	s_and_not1_b32 vcc_lo, exec_lo, s10
	s_cbranch_vccnz .LBB70_1368
.LBB70_1367:
	global_load_u8 v4, v[8:9], off
	s_mov_b32 s13, -1
	s_wait_loadcnt 0x0
	v_cmp_ne_u16_e32 vcc_lo, 0, v4
	v_mov_b32_e32 v4, 0
	v_cndmask_b32_e64 v5, 0, 0x3ff00000, vcc_lo
.LBB70_1368:
	s_branch .LBB70_1295
.LBB70_1369:
	s_cmp_lt_i32 s0, 5
	s_cbranch_scc1 .LBB70_1374
; %bb.1370:
	s_cmp_lt_i32 s0, 8
	s_cbranch_scc1 .LBB70_1375
; %bb.1371:
	;; [unrolled: 3-line block ×3, first 2 shown]
	s_cmp_gt_i32 s0, 9
	s_cbranch_scc0 .LBB70_1377
; %bb.1373:
	global_load_b64 v[4:5], v[8:9], off
	s_mov_b32 s3, 0
	s_branch .LBB70_1378
.LBB70_1374:
	s_mov_b32 s3, -1
                                        ; implicit-def: $vgpr4_vgpr5
	s_branch .LBB70_1396
.LBB70_1375:
	s_mov_b32 s3, -1
                                        ; implicit-def: $vgpr4_vgpr5
	s_branch .LBB70_1384
.LBB70_1376:
	s_mov_b32 s3, -1
                                        ; implicit-def: $vgpr4_vgpr5
	s_branch .LBB70_1381
.LBB70_1377:
	s_mov_b32 s3, -1
                                        ; implicit-def: $vgpr4_vgpr5
.LBB70_1378:
	s_delay_alu instid0(SALU_CYCLE_1)
	s_and_not1_b32 vcc_lo, exec_lo, s3
	s_cbranch_vccnz .LBB70_1380
; %bb.1379:
	s_wait_loadcnt 0x0
	global_load_b32 v4, v[8:9], off
	s_wait_loadcnt 0x0
	v_cvt_f64_f32_e32 v[4:5], v4
.LBB70_1380:
	s_mov_b32 s3, 0
.LBB70_1381:
	s_delay_alu instid0(SALU_CYCLE_1)
	s_and_not1_b32 vcc_lo, exec_lo, s3
	s_cbranch_vccnz .LBB70_1383
; %bb.1382:
	s_wait_loadcnt 0x0
	global_load_b32 v4, v[8:9], off
	s_wait_loadcnt 0x0
	v_cvt_f32_f16_e32 v4, v4
	s_delay_alu instid0(VALU_DEP_1)
	v_cvt_f64_f32_e32 v[4:5], v4
.LBB70_1383:
	s_mov_b32 s3, 0
.LBB70_1384:
	s_delay_alu instid0(SALU_CYCLE_1)
	s_and_not1_b32 vcc_lo, exec_lo, s3
	s_cbranch_vccnz .LBB70_1395
; %bb.1385:
	s_cmp_lt_i32 s0, 6
	s_cbranch_scc1 .LBB70_1388
; %bb.1386:
	s_cmp_gt_i32 s0, 6
	s_cbranch_scc0 .LBB70_1389
; %bb.1387:
	s_wait_loadcnt 0x0
	global_load_b64 v[4:5], v[8:9], off
	s_mov_b32 s3, 0
	s_branch .LBB70_1390
.LBB70_1388:
	s_mov_b32 s3, -1
                                        ; implicit-def: $vgpr4_vgpr5
	s_branch .LBB70_1393
.LBB70_1389:
	s_mov_b32 s3, -1
                                        ; implicit-def: $vgpr4_vgpr5
.LBB70_1390:
	s_delay_alu instid0(SALU_CYCLE_1)
	s_and_not1_b32 vcc_lo, exec_lo, s3
	s_cbranch_vccnz .LBB70_1392
; %bb.1391:
	s_wait_loadcnt 0x0
	global_load_b32 v4, v[8:9], off
	s_wait_loadcnt 0x0
	v_cvt_f64_f32_e32 v[4:5], v4
.LBB70_1392:
	s_mov_b32 s3, 0
.LBB70_1393:
	s_delay_alu instid0(SALU_CYCLE_1)
	s_and_not1_b32 vcc_lo, exec_lo, s3
	s_cbranch_vccnz .LBB70_1395
; %bb.1394:
	s_wait_loadcnt 0x0
	global_load_u16 v4, v[8:9], off
	s_wait_loadcnt 0x0
	v_cvt_f32_f16_e32 v4, v4
	s_delay_alu instid0(VALU_DEP_1)
	v_cvt_f64_f32_e32 v[4:5], v4
.LBB70_1395:
	s_mov_b32 s3, 0
.LBB70_1396:
	s_delay_alu instid0(SALU_CYCLE_1)
	s_and_not1_b32 vcc_lo, exec_lo, s3
	s_cbranch_vccnz .LBB70_1416
; %bb.1397:
	s_cmp_lt_i32 s0, 2
	s_cbranch_scc1 .LBB70_1401
; %bb.1398:
	s_cmp_lt_i32 s0, 3
	s_cbranch_scc1 .LBB70_1402
; %bb.1399:
	s_cmp_gt_i32 s0, 3
	s_cbranch_scc0 .LBB70_1403
; %bb.1400:
	s_wait_loadcnt 0x0
	global_load_b64 v[4:5], v[8:9], off
	s_mov_b32 s3, 0
	s_wait_loadcnt 0x0
	v_cvt_f64_i32_e32 v[12:13], v5
	v_cvt_f64_u32_e32 v[4:5], v4
	s_delay_alu instid0(VALU_DEP_2) | instskip(NEXT) | instid1(VALU_DEP_1)
	v_ldexp_f64 v[12:13], v[12:13], 32
	v_add_f64_e32 v[4:5], v[12:13], v[4:5]
	s_branch .LBB70_1404
.LBB70_1401:
	s_mov_b32 s3, -1
                                        ; implicit-def: $vgpr4_vgpr5
	s_branch .LBB70_1410
.LBB70_1402:
	s_mov_b32 s3, -1
                                        ; implicit-def: $vgpr4_vgpr5
	s_branch .LBB70_1407
.LBB70_1403:
	s_mov_b32 s3, -1
                                        ; implicit-def: $vgpr4_vgpr5
.LBB70_1404:
	s_delay_alu instid0(SALU_CYCLE_1)
	s_and_not1_b32 vcc_lo, exec_lo, s3
	s_cbranch_vccnz .LBB70_1406
; %bb.1405:
	s_wait_loadcnt 0x0
	global_load_b32 v4, v[8:9], off
	s_wait_loadcnt 0x0
	v_cvt_f64_i32_e32 v[4:5], v4
.LBB70_1406:
	s_mov_b32 s3, 0
.LBB70_1407:
	s_delay_alu instid0(SALU_CYCLE_1)
	s_and_not1_b32 vcc_lo, exec_lo, s3
	s_cbranch_vccnz .LBB70_1409
; %bb.1408:
	s_wait_loadcnt 0x0
	global_load_i16 v4, v[8:9], off
	s_wait_loadcnt 0x0
	v_cvt_f64_i32_e32 v[4:5], v4
.LBB70_1409:
	s_mov_b32 s3, 0
.LBB70_1410:
	s_delay_alu instid0(SALU_CYCLE_1)
	s_and_not1_b32 vcc_lo, exec_lo, s3
	s_cbranch_vccnz .LBB70_1416
; %bb.1411:
	s_cmp_gt_i32 s0, 0
	s_mov_b32 s3, 0
	s_cbranch_scc0 .LBB70_1413
; %bb.1412:
	s_wait_loadcnt 0x0
	global_load_i8 v4, v[8:9], off
	s_wait_loadcnt 0x0
	v_cvt_f64_i32_e32 v[4:5], v4
	s_branch .LBB70_1414
.LBB70_1413:
	s_mov_b32 s3, -1
                                        ; implicit-def: $vgpr4_vgpr5
.LBB70_1414:
	s_delay_alu instid0(SALU_CYCLE_1)
	s_and_not1_b32 vcc_lo, exec_lo, s3
	s_cbranch_vccnz .LBB70_1416
; %bb.1415:
	s_wait_loadcnt 0x0
	global_load_u8 v4, v[8:9], off
	s_wait_loadcnt 0x0
	v_cvt_f64_u32_e32 v[4:5], v4
.LBB70_1416:
.LBB70_1417:
	v_add_nc_u32_e32 v6, s1, v6
	s_cmp_lt_i32 s0, 11
	s_delay_alu instid0(VALU_DEP_1) | instskip(SKIP_1) | instid1(VALU_DEP_1)
	v_ashrrev_i32_e32 v7, 31, v6
	s_wait_xcnt 0x0
	v_add_nc_u64_e32 v[8:9], s[6:7], v[6:7]
	s_cbranch_scc1 .LBB70_1424
; %bb.1418:
	s_cmp_gt_i32 s0, 25
	s_mov_b32 s3, 0
	s_cbranch_scc0 .LBB70_1425
; %bb.1419:
	s_cmp_gt_i32 s0, 28
	s_cbranch_scc0 .LBB70_1426
; %bb.1420:
	s_cmp_gt_i32 s0, 43
	;; [unrolled: 3-line block ×3, first 2 shown]
	s_cbranch_scc0 .LBB70_1429
; %bb.1422:
	s_cmp_eq_u32 s0, 46
	s_mov_b32 s7, 0
	s_cbranch_scc0 .LBB70_1430
; %bb.1423:
	global_load_b32 v6, v[8:9], off
	s_mov_b32 s1, 0
	s_mov_b32 s6, -1
	s_wait_loadcnt 0x0
	v_lshlrev_b32_e32 v6, 16, v6
	s_delay_alu instid0(VALU_DEP_1)
	v_cvt_f64_f32_e32 v[6:7], v6
	s_branch .LBB70_1432
.LBB70_1424:
	s_mov_b32 s1, -1
	s_mov_b32 s6, 0
                                        ; implicit-def: $vgpr6_vgpr7
	s_branch .LBB70_1498
.LBB70_1425:
	s_mov_b32 s7, -1
	s_mov_b32 s6, 0
	s_mov_b32 s1, 0
                                        ; implicit-def: $vgpr6_vgpr7
	s_branch .LBB70_1461
.LBB70_1426:
	s_mov_b32 s7, -1
	s_mov_b32 s6, 0
	s_mov_b32 s1, 0
                                        ; implicit-def: $vgpr6_vgpr7
	s_branch .LBB70_1442
.LBB70_1427:
	s_mov_b32 s7, -1
	s_mov_b32 s6, 0
	s_mov_b32 s1, 0
                                        ; implicit-def: $vgpr6_vgpr7
	s_branch .LBB70_1437
.LBB70_1428:
	s_or_b32 s9, s9, exec_lo
	s_trap 2
	s_cbranch_execz .LBB70_1367
	s_branch .LBB70_1368
.LBB70_1429:
	s_mov_b32 s7, -1
	s_mov_b32 s6, 0
	s_mov_b32 s1, 0
	s_branch .LBB70_1431
.LBB70_1430:
	s_mov_b32 s1, -1
	s_mov_b32 s6, 0
.LBB70_1431:
                                        ; implicit-def: $vgpr6_vgpr7
.LBB70_1432:
	s_and_b32 vcc_lo, exec_lo, s7
	s_cbranch_vccz .LBB70_1436
; %bb.1433:
	s_cmp_eq_u32 s0, 44
	s_cbranch_scc0 .LBB70_1435
; %bb.1434:
	global_load_u8 v11, v[8:9], off
	s_mov_b32 s1, 0
	s_mov_b32 s6, -1
	s_wait_loadcnt 0x0
	v_lshlrev_b32_e32 v6, 23, v11
	v_cmp_ne_u32_e32 vcc_lo, 0xff, v11
	s_delay_alu instid0(VALU_DEP_2) | instskip(NEXT) | instid1(VALU_DEP_1)
	v_cvt_f64_f32_e32 v[6:7], v6
	v_cndmask_b32_e32 v6, 0x20000000, v6, vcc_lo
	s_delay_alu instid0(VALU_DEP_2) | instskip(SKIP_1) | instid1(VALU_DEP_2)
	v_cndmask_b32_e32 v7, 0x7ff80000, v7, vcc_lo
	v_cmp_ne_u32_e32 vcc_lo, 0, v11
	v_cndmask_b32_e32 v7, 0x38000000, v7, vcc_lo
	s_delay_alu instid0(VALU_DEP_4)
	v_cndmask_b32_e32 v6, 0, v6, vcc_lo
	s_branch .LBB70_1436
.LBB70_1435:
	s_mov_b32 s1, -1
                                        ; implicit-def: $vgpr6_vgpr7
.LBB70_1436:
	s_mov_b32 s7, 0
.LBB70_1437:
	s_delay_alu instid0(SALU_CYCLE_1)
	s_and_b32 vcc_lo, exec_lo, s7
	s_cbranch_vccz .LBB70_1441
; %bb.1438:
	s_cmp_eq_u32 s0, 29
	s_cbranch_scc0 .LBB70_1440
; %bb.1439:
	global_load_b64 v[6:7], v[8:9], off
	s_mov_b32 s1, 0
	s_mov_b32 s6, -1
	s_mov_b32 s7, 0
	s_wait_loadcnt 0x0
	v_cvt_f64_u32_e32 v[12:13], v7
	v_cvt_f64_u32_e32 v[6:7], v6
	s_delay_alu instid0(VALU_DEP_2) | instskip(NEXT) | instid1(VALU_DEP_1)
	v_ldexp_f64 v[12:13], v[12:13], 32
	v_add_f64_e32 v[6:7], v[12:13], v[6:7]
	s_branch .LBB70_1442
.LBB70_1440:
	s_mov_b32 s1, -1
                                        ; implicit-def: $vgpr6_vgpr7
.LBB70_1441:
	s_mov_b32 s7, 0
.LBB70_1442:
	s_delay_alu instid0(SALU_CYCLE_1)
	s_and_b32 vcc_lo, exec_lo, s7
	s_cbranch_vccz .LBB70_1460
; %bb.1443:
	s_cmp_lt_i32 s0, 27
	s_cbranch_scc1 .LBB70_1446
; %bb.1444:
	s_cmp_gt_i32 s0, 27
	s_cbranch_scc0 .LBB70_1447
; %bb.1445:
	global_load_b32 v6, v[8:9], off
	s_mov_b32 s6, 0
	s_wait_loadcnt 0x0
	v_cvt_f64_u32_e32 v[6:7], v6
	s_branch .LBB70_1448
.LBB70_1446:
	s_mov_b32 s6, -1
                                        ; implicit-def: $vgpr6_vgpr7
	s_branch .LBB70_1451
.LBB70_1447:
	s_mov_b32 s6, -1
                                        ; implicit-def: $vgpr6_vgpr7
.LBB70_1448:
	s_delay_alu instid0(SALU_CYCLE_1)
	s_and_not1_b32 vcc_lo, exec_lo, s6
	s_cbranch_vccnz .LBB70_1450
; %bb.1449:
	global_load_u16 v6, v[8:9], off
	s_wait_loadcnt 0x0
	v_cvt_f64_u32_e32 v[6:7], v6
.LBB70_1450:
	s_mov_b32 s6, 0
.LBB70_1451:
	s_delay_alu instid0(SALU_CYCLE_1)
	s_and_not1_b32 vcc_lo, exec_lo, s6
	s_cbranch_vccnz .LBB70_1459
; %bb.1452:
	global_load_u8 v11, v[8:9], off
	s_mov_b32 s6, 0
	s_mov_b32 s7, exec_lo
	s_wait_loadcnt 0x0
	v_cmpx_lt_i16_e32 0x7f, v11
	s_xor_b32 s7, exec_lo, s7
	s_cbranch_execz .LBB70_1473
; %bb.1453:
	s_mov_b32 s6, -1
	s_mov_b32 s10, exec_lo
	v_cmpx_eq_u16_e32 0x80, v11
; %bb.1454:
	s_xor_b32 s6, exec_lo, -1
; %bb.1455:
	s_or_b32 exec_lo, exec_lo, s10
	s_delay_alu instid0(SALU_CYCLE_1)
	s_and_b32 s6, s6, exec_lo
	s_or_saveexec_b32 s7, s7
	v_mov_b64_e32 v[6:7], 0x7ff8000020000000
	s_xor_b32 exec_lo, exec_lo, s7
	s_cbranch_execnz .LBB70_1474
.LBB70_1456:
	s_or_b32 exec_lo, exec_lo, s7
	s_and_saveexec_b32 s7, s6
	s_cbranch_execz .LBB70_1458
.LBB70_1457:
	v_and_b32_e32 v6, 0xffff, v11
	s_delay_alu instid0(VALU_DEP_1) | instskip(SKIP_1) | instid1(VALU_DEP_2)
	v_and_b32_e32 v7, 7, v6
	v_bfe_u32 v14, v6, 3, 4
	v_clz_i32_u32_e32 v12, v7
	s_delay_alu instid0(VALU_DEP_2) | instskip(NEXT) | instid1(VALU_DEP_2)
	v_cmp_eq_u32_e32 vcc_lo, 0, v14
	v_min_u32_e32 v12, 32, v12
	s_delay_alu instid0(VALU_DEP_1) | instskip(NEXT) | instid1(VALU_DEP_1)
	v_subrev_nc_u32_e32 v13, 28, v12
	v_dual_lshlrev_b32 v6, v13, v6 :: v_dual_sub_nc_u32 v12, 29, v12
	s_delay_alu instid0(VALU_DEP_1) | instskip(NEXT) | instid1(VALU_DEP_1)
	v_dual_lshlrev_b32 v11, 24, v11 :: v_dual_bitop2_b32 v6, 7, v6 bitop3:0x40
	v_dual_cndmask_b32 v12, v14, v12, vcc_lo :: v_dual_cndmask_b32 v6, v7, v6, vcc_lo
	s_delay_alu instid0(VALU_DEP_2) | instskip(NEXT) | instid1(VALU_DEP_2)
	v_and_b32_e32 v7, 0x80000000, v11
	v_lshl_add_u32 v11, v12, 23, 0x3b800000
	s_delay_alu instid0(VALU_DEP_3) | instskip(NEXT) | instid1(VALU_DEP_1)
	v_lshlrev_b32_e32 v6, 20, v6
	v_or3_b32 v6, v7, v11, v6
	s_delay_alu instid0(VALU_DEP_1)
	v_cvt_f64_f32_e32 v[6:7], v6
.LBB70_1458:
	s_or_b32 exec_lo, exec_lo, s7
.LBB70_1459:
	s_mov_b32 s6, -1
.LBB70_1460:
	s_mov_b32 s7, 0
.LBB70_1461:
	s_delay_alu instid0(SALU_CYCLE_1)
	s_and_b32 vcc_lo, exec_lo, s7
	s_cbranch_vccz .LBB70_1494
; %bb.1462:
	s_cmp_gt_i32 s0, 22
	s_cbranch_scc0 .LBB70_1472
; %bb.1463:
	s_cmp_lt_i32 s0, 24
	s_cbranch_scc1 .LBB70_1475
; %bb.1464:
	s_cmp_gt_i32 s0, 24
	s_cbranch_scc0 .LBB70_1476
; %bb.1465:
	global_load_u8 v11, v[8:9], off
	s_mov_b32 s6, exec_lo
	s_wait_loadcnt 0x0
	v_cmpx_lt_i16_e32 0x7f, v11
	s_xor_b32 s6, exec_lo, s6
	s_cbranch_execz .LBB70_1488
; %bb.1466:
	s_mov_b32 s3, -1
	s_mov_b32 s7, exec_lo
	v_cmpx_eq_u16_e32 0x80, v11
; %bb.1467:
	s_xor_b32 s3, exec_lo, -1
; %bb.1468:
	s_or_b32 exec_lo, exec_lo, s7
	s_delay_alu instid0(SALU_CYCLE_1)
	s_and_b32 s3, s3, exec_lo
	s_or_saveexec_b32 s6, s6
	v_mov_b64_e32 v[6:7], 0x7ff8000020000000
	s_xor_b32 exec_lo, exec_lo, s6
	s_cbranch_execnz .LBB70_1489
.LBB70_1469:
	s_or_b32 exec_lo, exec_lo, s6
	s_and_saveexec_b32 s6, s3
	s_cbranch_execz .LBB70_1471
.LBB70_1470:
	v_and_b32_e32 v6, 0xffff, v11
	s_delay_alu instid0(VALU_DEP_1) | instskip(SKIP_1) | instid1(VALU_DEP_2)
	v_and_b32_e32 v7, 3, v6
	v_bfe_u32 v14, v6, 2, 5
	v_clz_i32_u32_e32 v12, v7
	s_delay_alu instid0(VALU_DEP_2) | instskip(NEXT) | instid1(VALU_DEP_2)
	v_cmp_eq_u32_e32 vcc_lo, 0, v14
	v_min_u32_e32 v12, 32, v12
	s_delay_alu instid0(VALU_DEP_1) | instskip(NEXT) | instid1(VALU_DEP_1)
	v_subrev_nc_u32_e32 v13, 29, v12
	v_dual_lshlrev_b32 v6, v13, v6 :: v_dual_sub_nc_u32 v12, 30, v12
	s_delay_alu instid0(VALU_DEP_1) | instskip(NEXT) | instid1(VALU_DEP_1)
	v_dual_lshlrev_b32 v11, 24, v11 :: v_dual_bitop2_b32 v6, 3, v6 bitop3:0x40
	v_dual_cndmask_b32 v12, v14, v12, vcc_lo :: v_dual_cndmask_b32 v6, v7, v6, vcc_lo
	s_delay_alu instid0(VALU_DEP_2) | instskip(NEXT) | instid1(VALU_DEP_2)
	v_and_b32_e32 v7, 0x80000000, v11
	v_lshl_add_u32 v11, v12, 23, 0x37800000
	s_delay_alu instid0(VALU_DEP_3) | instskip(NEXT) | instid1(VALU_DEP_1)
	v_lshlrev_b32_e32 v6, 21, v6
	v_or3_b32 v6, v7, v11, v6
	s_delay_alu instid0(VALU_DEP_1)
	v_cvt_f64_f32_e32 v[6:7], v6
.LBB70_1471:
	s_or_b32 exec_lo, exec_lo, s6
	s_mov_b32 s3, 0
	s_branch .LBB70_1477
.LBB70_1472:
	s_mov_b32 s3, -1
                                        ; implicit-def: $vgpr6_vgpr7
	s_branch .LBB70_1483
.LBB70_1473:
	s_or_saveexec_b32 s7, s7
	v_mov_b64_e32 v[6:7], 0x7ff8000020000000
	s_xor_b32 exec_lo, exec_lo, s7
	s_cbranch_execz .LBB70_1456
.LBB70_1474:
	v_cmp_ne_u16_e32 vcc_lo, 0, v11
	v_mov_b64_e32 v[6:7], 0
	s_and_not1_b32 s6, s6, exec_lo
	s_and_b32 s10, vcc_lo, exec_lo
	s_delay_alu instid0(SALU_CYCLE_1)
	s_or_b32 s6, s6, s10
	s_or_b32 exec_lo, exec_lo, s7
	s_and_saveexec_b32 s7, s6
	s_cbranch_execnz .LBB70_1457
	s_branch .LBB70_1458
.LBB70_1475:
	s_mov_b32 s3, -1
                                        ; implicit-def: $vgpr6_vgpr7
	s_branch .LBB70_1480
.LBB70_1476:
	s_mov_b32 s3, -1
                                        ; implicit-def: $vgpr6_vgpr7
.LBB70_1477:
	s_delay_alu instid0(SALU_CYCLE_1)
	s_and_b32 vcc_lo, exec_lo, s3
	s_cbranch_vccz .LBB70_1479
; %bb.1478:
	global_load_u8 v6, v[8:9], off
	s_wait_loadcnt 0x0
	v_lshlrev_b32_e32 v6, 24, v6
	s_delay_alu instid0(VALU_DEP_1) | instskip(NEXT) | instid1(VALU_DEP_1)
	v_and_b32_e32 v7, 0x7f000000, v6
	v_clz_i32_u32_e32 v11, v7
	v_add_nc_u32_e32 v13, 0x1000000, v7
	v_cmp_ne_u32_e32 vcc_lo, 0, v7
	s_delay_alu instid0(VALU_DEP_3) | instskip(NEXT) | instid1(VALU_DEP_1)
	v_min_u32_e32 v11, 32, v11
	v_sub_nc_u32_e64 v11, v11, 4 clamp
	s_delay_alu instid0(VALU_DEP_1) | instskip(NEXT) | instid1(VALU_DEP_1)
	v_lshlrev_b32_e32 v12, v11, v7
	v_dual_lshlrev_b32 v11, 23, v11 :: v_dual_lshrrev_b32 v12, 4, v12
	s_delay_alu instid0(VALU_DEP_1) | instskip(NEXT) | instid1(VALU_DEP_1)
	v_dual_sub_nc_u32 v11, v12, v11 :: v_dual_ashrrev_i32 v12, 8, v13
	v_add_nc_u32_e32 v11, 0x3c000000, v11
	s_delay_alu instid0(VALU_DEP_1) | instskip(NEXT) | instid1(VALU_DEP_1)
	v_and_or_b32 v11, 0x7f800000, v12, v11
	v_cndmask_b32_e32 v7, 0, v11, vcc_lo
	s_delay_alu instid0(VALU_DEP_1) | instskip(NEXT) | instid1(VALU_DEP_1)
	v_and_or_b32 v6, 0x80000000, v6, v7
	v_cvt_f64_f32_e32 v[6:7], v6
.LBB70_1479:
	s_mov_b32 s3, 0
.LBB70_1480:
	s_delay_alu instid0(SALU_CYCLE_1)
	s_and_not1_b32 vcc_lo, exec_lo, s3
	s_cbranch_vccnz .LBB70_1482
; %bb.1481:
	global_load_u8 v6, v[8:9], off
	s_wait_loadcnt 0x0
	v_lshlrev_b32_e32 v7, 25, v6
	v_lshlrev_b16 v6, 8, v6
	s_delay_alu instid0(VALU_DEP_1) | instskip(SKIP_1) | instid1(VALU_DEP_2)
	v_and_or_b32 v12, 0x7f00, v6, 0.5
	v_bfe_i32 v6, v6, 0, 16
	v_dual_add_f32 v12, -0.5, v12 :: v_dual_lshrrev_b32 v11, 4, v7
	v_cmp_gt_u32_e32 vcc_lo, 0x8000000, v7
	s_delay_alu instid0(VALU_DEP_2) | instskip(NEXT) | instid1(VALU_DEP_1)
	v_or_b32_e32 v11, 0x70000000, v11
	v_mul_f32_e32 v11, 0x7800000, v11
	s_delay_alu instid0(VALU_DEP_1) | instskip(NEXT) | instid1(VALU_DEP_1)
	v_cndmask_b32_e32 v7, v11, v12, vcc_lo
	v_and_or_b32 v6, 0x80000000, v6, v7
	s_delay_alu instid0(VALU_DEP_1)
	v_cvt_f64_f32_e32 v[6:7], v6
.LBB70_1482:
	s_mov_b32 s3, 0
	s_mov_b32 s6, -1
.LBB70_1483:
	s_and_not1_b32 vcc_lo, exec_lo, s3
	s_mov_b32 s3, 0
	s_cbranch_vccnz .LBB70_1494
; %bb.1484:
	s_cmp_gt_i32 s0, 14
	s_cbranch_scc0 .LBB70_1487
; %bb.1485:
	s_cmp_eq_u32 s0, 15
	s_cbranch_scc0 .LBB70_1490
; %bb.1486:
	global_load_u16 v6, v[8:9], off
	s_mov_b32 s1, 0
	s_mov_b32 s6, -1
	s_wait_loadcnt 0x0
	v_lshlrev_b32_e32 v6, 16, v6
	s_delay_alu instid0(VALU_DEP_1)
	v_cvt_f64_f32_e32 v[6:7], v6
	s_branch .LBB70_1492
.LBB70_1487:
	s_mov_b32 s3, -1
	s_branch .LBB70_1491
.LBB70_1488:
	s_or_saveexec_b32 s6, s6
	v_mov_b64_e32 v[6:7], 0x7ff8000020000000
	s_xor_b32 exec_lo, exec_lo, s6
	s_cbranch_execz .LBB70_1469
.LBB70_1489:
	v_cmp_ne_u16_e32 vcc_lo, 0, v11
	v_mov_b64_e32 v[6:7], 0
	s_and_not1_b32 s3, s3, exec_lo
	s_and_b32 s7, vcc_lo, exec_lo
	s_delay_alu instid0(SALU_CYCLE_1)
	s_or_b32 s3, s3, s7
	s_or_b32 exec_lo, exec_lo, s6
	s_and_saveexec_b32 s6, s3
	s_cbranch_execnz .LBB70_1470
	s_branch .LBB70_1471
.LBB70_1490:
	s_mov_b32 s1, -1
.LBB70_1491:
                                        ; implicit-def: $vgpr6_vgpr7
.LBB70_1492:
	s_and_b32 vcc_lo, exec_lo, s3
	s_mov_b32 s3, 0
	s_cbranch_vccz .LBB70_1494
; %bb.1493:
	s_cmp_lg_u32 s0, 11
	s_mov_b32 s3, -1
	s_cselect_b32 s1, -1, 0
.LBB70_1494:
	s_delay_alu instid0(SALU_CYCLE_1)
	s_and_b32 vcc_lo, exec_lo, s1
	s_cbranch_vccnz .LBB70_2027
; %bb.1495:
	s_and_not1_b32 vcc_lo, exec_lo, s3
	s_cbranch_vccnz .LBB70_1497
.LBB70_1496:
	global_load_u8 v6, v[8:9], off
	s_mov_b32 s6, -1
	s_wait_loadcnt 0x0
	v_cmp_ne_u16_e32 vcc_lo, 0, v6
	v_mov_b32_e32 v6, 0
	v_cndmask_b32_e64 v7, 0, 0x3ff00000, vcc_lo
.LBB70_1497:
	s_mov_b32 s1, 0
.LBB70_1498:
	s_delay_alu instid0(SALU_CYCLE_1)
	s_and_b32 vcc_lo, exec_lo, s1
	s_cbranch_vccz .LBB70_1547
; %bb.1499:
	s_cmp_lt_i32 s0, 5
	s_cbranch_scc1 .LBB70_1504
; %bb.1500:
	s_cmp_lt_i32 s0, 8
	s_cbranch_scc1 .LBB70_1505
	;; [unrolled: 3-line block ×3, first 2 shown]
; %bb.1502:
	s_cmp_gt_i32 s0, 9
	s_cbranch_scc0 .LBB70_1507
; %bb.1503:
	global_load_b64 v[6:7], v[8:9], off
	s_mov_b32 s1, 0
	s_branch .LBB70_1508
.LBB70_1504:
	s_mov_b32 s1, -1
                                        ; implicit-def: $vgpr6_vgpr7
	s_branch .LBB70_1526
.LBB70_1505:
	s_mov_b32 s1, -1
                                        ; implicit-def: $vgpr6_vgpr7
	s_branch .LBB70_1514
.LBB70_1506:
	s_mov_b32 s1, -1
                                        ; implicit-def: $vgpr6_vgpr7
	s_branch .LBB70_1511
.LBB70_1507:
	s_mov_b32 s1, -1
                                        ; implicit-def: $vgpr6_vgpr7
.LBB70_1508:
	s_delay_alu instid0(SALU_CYCLE_1)
	s_and_not1_b32 vcc_lo, exec_lo, s1
	s_cbranch_vccnz .LBB70_1510
; %bb.1509:
	s_wait_loadcnt 0x0
	global_load_b32 v6, v[8:9], off
	s_wait_loadcnt 0x0
	v_cvt_f64_f32_e32 v[6:7], v6
.LBB70_1510:
	s_mov_b32 s1, 0
.LBB70_1511:
	s_delay_alu instid0(SALU_CYCLE_1)
	s_and_not1_b32 vcc_lo, exec_lo, s1
	s_cbranch_vccnz .LBB70_1513
; %bb.1512:
	s_wait_loadcnt 0x0
	global_load_b32 v6, v[8:9], off
	s_wait_loadcnt 0x0
	v_cvt_f32_f16_e32 v6, v6
	s_delay_alu instid0(VALU_DEP_1)
	v_cvt_f64_f32_e32 v[6:7], v6
.LBB70_1513:
	s_mov_b32 s1, 0
.LBB70_1514:
	s_delay_alu instid0(SALU_CYCLE_1)
	s_and_not1_b32 vcc_lo, exec_lo, s1
	s_cbranch_vccnz .LBB70_1525
; %bb.1515:
	s_cmp_lt_i32 s0, 6
	s_cbranch_scc1 .LBB70_1518
; %bb.1516:
	s_cmp_gt_i32 s0, 6
	s_cbranch_scc0 .LBB70_1519
; %bb.1517:
	s_wait_loadcnt 0x0
	global_load_b64 v[6:7], v[8:9], off
	s_mov_b32 s1, 0
	s_branch .LBB70_1520
.LBB70_1518:
	s_mov_b32 s1, -1
                                        ; implicit-def: $vgpr6_vgpr7
	s_branch .LBB70_1523
.LBB70_1519:
	s_mov_b32 s1, -1
                                        ; implicit-def: $vgpr6_vgpr7
.LBB70_1520:
	s_delay_alu instid0(SALU_CYCLE_1)
	s_and_not1_b32 vcc_lo, exec_lo, s1
	s_cbranch_vccnz .LBB70_1522
; %bb.1521:
	s_wait_loadcnt 0x0
	global_load_b32 v6, v[8:9], off
	s_wait_loadcnt 0x0
	v_cvt_f64_f32_e32 v[6:7], v6
.LBB70_1522:
	s_mov_b32 s1, 0
.LBB70_1523:
	s_delay_alu instid0(SALU_CYCLE_1)
	s_and_not1_b32 vcc_lo, exec_lo, s1
	s_cbranch_vccnz .LBB70_1525
; %bb.1524:
	s_wait_loadcnt 0x0
	global_load_u16 v6, v[8:9], off
	s_wait_loadcnt 0x0
	v_cvt_f32_f16_e32 v6, v6
	s_delay_alu instid0(VALU_DEP_1)
	v_cvt_f64_f32_e32 v[6:7], v6
.LBB70_1525:
	s_mov_b32 s1, 0
.LBB70_1526:
	s_delay_alu instid0(SALU_CYCLE_1)
	s_and_not1_b32 vcc_lo, exec_lo, s1
	s_cbranch_vccnz .LBB70_1546
; %bb.1527:
	s_cmp_lt_i32 s0, 2
	s_cbranch_scc1 .LBB70_1531
; %bb.1528:
	s_cmp_lt_i32 s0, 3
	s_cbranch_scc1 .LBB70_1532
; %bb.1529:
	s_cmp_gt_i32 s0, 3
	s_cbranch_scc0 .LBB70_1533
; %bb.1530:
	s_wait_loadcnt 0x0
	global_load_b64 v[6:7], v[8:9], off
	s_mov_b32 s1, 0
	s_wait_loadcnt 0x0
	v_cvt_f64_i32_e32 v[12:13], v7
	v_cvt_f64_u32_e32 v[6:7], v6
	s_delay_alu instid0(VALU_DEP_2) | instskip(NEXT) | instid1(VALU_DEP_1)
	v_ldexp_f64 v[12:13], v[12:13], 32
	v_add_f64_e32 v[6:7], v[12:13], v[6:7]
	s_branch .LBB70_1534
.LBB70_1531:
	s_mov_b32 s1, -1
                                        ; implicit-def: $vgpr6_vgpr7
	s_branch .LBB70_1540
.LBB70_1532:
	s_mov_b32 s1, -1
                                        ; implicit-def: $vgpr6_vgpr7
	s_branch .LBB70_1537
.LBB70_1533:
	s_mov_b32 s1, -1
                                        ; implicit-def: $vgpr6_vgpr7
.LBB70_1534:
	s_delay_alu instid0(SALU_CYCLE_1)
	s_and_not1_b32 vcc_lo, exec_lo, s1
	s_cbranch_vccnz .LBB70_1536
; %bb.1535:
	s_wait_loadcnt 0x0
	global_load_b32 v6, v[8:9], off
	s_wait_loadcnt 0x0
	v_cvt_f64_i32_e32 v[6:7], v6
.LBB70_1536:
	s_mov_b32 s1, 0
.LBB70_1537:
	s_delay_alu instid0(SALU_CYCLE_1)
	s_and_not1_b32 vcc_lo, exec_lo, s1
	s_cbranch_vccnz .LBB70_1539
; %bb.1538:
	s_wait_loadcnt 0x0
	global_load_i16 v6, v[8:9], off
	s_wait_loadcnt 0x0
	v_cvt_f64_i32_e32 v[6:7], v6
.LBB70_1539:
	s_mov_b32 s1, 0
.LBB70_1540:
	s_delay_alu instid0(SALU_CYCLE_1)
	s_and_not1_b32 vcc_lo, exec_lo, s1
	s_cbranch_vccnz .LBB70_1546
; %bb.1541:
	s_cmp_gt_i32 s0, 0
	s_mov_b32 s0, 0
	s_cbranch_scc0 .LBB70_1543
; %bb.1542:
	s_wait_loadcnt 0x0
	global_load_i8 v6, v[8:9], off
	s_wait_loadcnt 0x0
	v_cvt_f64_i32_e32 v[6:7], v6
	s_branch .LBB70_1544
.LBB70_1543:
	s_mov_b32 s0, -1
                                        ; implicit-def: $vgpr6_vgpr7
.LBB70_1544:
	s_delay_alu instid0(SALU_CYCLE_1)
	s_and_not1_b32 vcc_lo, exec_lo, s0
	s_cbranch_vccnz .LBB70_1546
; %bb.1545:
	s_wait_loadcnt 0x0
	global_load_u8 v6, v[8:9], off
	s_wait_loadcnt 0x0
	v_cvt_f64_u32_e32 v[6:7], v6
.LBB70_1546:
	s_mov_b32 s6, -1
.LBB70_1547:
	s_delay_alu instid0(SALU_CYCLE_1)
	s_and_not1_b32 vcc_lo, exec_lo, s6
	s_cbranch_vccnz .LBB70_1981
; %bb.1548:
	s_wait_loadcnt 0x0
	v_cmp_eq_f64_e64 s0, 0xfff00000, v[0:1]
	v_mul_lo_u32 v0, s2, v10
	s_and_b32 s13, s8, 0xff
	s_delay_alu instid0(SALU_CYCLE_1) | instskip(NEXT) | instid1(VALU_DEP_1)
	s_cmp_lt_i32 s13, 11
	v_ashrrev_i32_e32 v1, 31, v0
	s_wait_xcnt 0x0
	s_delay_alu instid0(VALU_DEP_1)
	v_add_nc_u64_e32 v[8:9], s[4:5], v[0:1]
	s_cbranch_scc1 .LBB70_1626
; %bb.1549:
	s_and_b32 s3, 0xffff, s13
	s_mov_b32 s8, -1
	s_mov_b32 s6, 0
	s_cmp_gt_i32 s3, 25
	s_mov_b32 s7, 0
	s_mov_b32 s1, 0
	s_cbranch_scc0 .LBB70_1582
; %bb.1550:
	s_cmp_gt_i32 s3, 28
	s_cbranch_scc0 .LBB70_1565
; %bb.1551:
	s_cmp_gt_i32 s3, 43
	;; [unrolled: 3-line block ×3, first 2 shown]
	s_cbranch_scc0 .LBB70_1555
; %bb.1553:
	s_mov_b32 s1, -1
	s_mov_b32 s8, 0
	s_cmp_eq_u32 s3, 46
	s_cbranch_scc0 .LBB70_1555
; %bb.1554:
	v_cndmask_b32_e64 v1, 0, 1.0, s0
	s_mov_b32 s1, 0
	s_mov_b32 s7, -1
	s_delay_alu instid0(VALU_DEP_1) | instskip(NEXT) | instid1(VALU_DEP_1)
	v_bfe_u32 v10, v1, 16, 1
	v_add3_u32 v1, v1, v10, 0x7fff
	s_delay_alu instid0(VALU_DEP_1)
	v_lshrrev_b32_e32 v1, 16, v1
	global_store_b32 v[8:9], v1, off
.LBB70_1555:
	s_and_b32 vcc_lo, exec_lo, s8
	s_cbranch_vccz .LBB70_1560
; %bb.1556:
	s_cmp_eq_u32 s3, 44
	s_mov_b32 s1, -1
	s_cbranch_scc0 .LBB70_1560
; %bb.1557:
	v_cndmask_b32_e64 v11, 0, 1.0, s0
	s_mov_b32 s7, exec_lo
	s_wait_xcnt 0x0
	s_delay_alu instid0(VALU_DEP_1) | instskip(NEXT) | instid1(VALU_DEP_1)
	v_dual_mov_b32 v10, 0xff :: v_dual_lshrrev_b32 v1, 23, v11
	v_cmpx_ne_u32_e32 0xff, v1
; %bb.1558:
	v_and_b32_e32 v10, 0x400000, v11
	v_and_or_b32 v11, 0x3fffff, v11, v1
	s_delay_alu instid0(VALU_DEP_2) | instskip(NEXT) | instid1(VALU_DEP_2)
	v_cmp_ne_u32_e32 vcc_lo, 0, v10
	v_cmp_ne_u32_e64 s1, 0, v11
	s_and_b32 s1, vcc_lo, s1
	s_delay_alu instid0(SALU_CYCLE_1) | instskip(NEXT) | instid1(VALU_DEP_1)
	v_cndmask_b32_e64 v10, 0, 1, s1
	v_add_nc_u32_e32 v10, v1, v10
; %bb.1559:
	s_or_b32 exec_lo, exec_lo, s7
	s_mov_b32 s1, 0
	s_mov_b32 s7, -1
	global_store_b8 v[8:9], v10, off
.LBB70_1560:
	s_mov_b32 s8, 0
.LBB70_1561:
	s_delay_alu instid0(SALU_CYCLE_1)
	s_and_b32 vcc_lo, exec_lo, s8
	s_cbranch_vccz .LBB70_1564
; %bb.1562:
	s_cmp_eq_u32 s3, 29
	s_mov_b32 s1, -1
	s_cbranch_scc0 .LBB70_1564
; %bb.1563:
	s_mov_b32 s1, 0
	s_wait_xcnt 0x0
	v_cndmask_b32_e64 v10, 0, 1, s0
	v_mov_b32_e32 v11, s1
	s_mov_b32 s7, -1
	global_store_b64 v[8:9], v[10:11], off
.LBB70_1564:
	s_mov_b32 s8, 0
.LBB70_1565:
	s_delay_alu instid0(SALU_CYCLE_1)
	s_and_b32 vcc_lo, exec_lo, s8
	s_cbranch_vccz .LBB70_1581
; %bb.1566:
	s_cmp_lt_i32 s3, 27
	s_mov_b32 s7, -1
	s_cbranch_scc1 .LBB70_1572
; %bb.1567:
	s_cmp_gt_i32 s3, 27
	s_cbranch_scc0 .LBB70_1569
; %bb.1568:
	s_wait_xcnt 0x0
	v_cndmask_b32_e64 v1, 0, 1, s0
	s_mov_b32 s7, 0
	global_store_b32 v[8:9], v1, off
.LBB70_1569:
	s_and_not1_b32 vcc_lo, exec_lo, s7
	s_cbranch_vccnz .LBB70_1571
; %bb.1570:
	s_wait_xcnt 0x0
	v_cndmask_b32_e64 v1, 0, 1, s0
	global_store_b16 v[8:9], v1, off
.LBB70_1571:
	s_mov_b32 s7, 0
.LBB70_1572:
	s_delay_alu instid0(SALU_CYCLE_1)
	s_and_not1_b32 vcc_lo, exec_lo, s7
	s_cbranch_vccnz .LBB70_1580
; %bb.1573:
	s_wait_xcnt 0x0
	v_cndmask_b32_e64 v10, 0, 1.0, s0
	v_mov_b32_e32 v11, 0x80
	s_mov_b32 s7, exec_lo
	s_delay_alu instid0(VALU_DEP_2)
	v_cmpx_gt_u32_e32 0x43800000, v10
	s_cbranch_execz .LBB70_1579
; %bb.1574:
	s_mov_b32 s8, 0
	s_mov_b32 s10, exec_lo
                                        ; implicit-def: $vgpr1
	v_cmpx_lt_u32_e32 0x3bffffff, v10
	s_xor_b32 s10, exec_lo, s10
	s_cbranch_execz .LBB70_2028
; %bb.1575:
	v_bfe_u32 v1, v10, 20, 1
	s_mov_b32 s8, exec_lo
	s_delay_alu instid0(VALU_DEP_1) | instskip(NEXT) | instid1(VALU_DEP_1)
	v_add3_u32 v1, v10, v1, 0x487ffff
                                        ; implicit-def: $vgpr10
	v_lshrrev_b32_e32 v1, 20, v1
	s_and_not1_saveexec_b32 s10, s10
	s_cbranch_execnz .LBB70_2029
.LBB70_1576:
	s_or_b32 exec_lo, exec_lo, s10
	v_mov_b32_e32 v11, 0
	s_and_saveexec_b32 s10, s8
.LBB70_1577:
	v_mov_b32_e32 v11, v1
.LBB70_1578:
	s_or_b32 exec_lo, exec_lo, s10
.LBB70_1579:
	s_delay_alu instid0(SALU_CYCLE_1)
	s_or_b32 exec_lo, exec_lo, s7
	global_store_b8 v[8:9], v11, off
.LBB70_1580:
	s_mov_b32 s7, -1
.LBB70_1581:
	s_mov_b32 s8, 0
.LBB70_1582:
	s_delay_alu instid0(SALU_CYCLE_1)
	s_and_b32 vcc_lo, exec_lo, s8
	s_cbranch_vccz .LBB70_1622
; %bb.1583:
	s_cmp_gt_i32 s3, 22
	s_mov_b32 s6, -1
	s_cbranch_scc0 .LBB70_1615
; %bb.1584:
	s_cmp_lt_i32 s3, 24
	s_cbranch_scc1 .LBB70_1604
; %bb.1585:
	s_cmp_gt_i32 s3, 24
	s_cbranch_scc0 .LBB70_1593
; %bb.1586:
	s_wait_xcnt 0x0
	v_cndmask_b32_e64 v10, 0, 1.0, s0
	v_mov_b32_e32 v11, 0x80
	s_mov_b32 s6, exec_lo
	s_delay_alu instid0(VALU_DEP_2)
	v_cmpx_gt_u32_e32 0x47800000, v10
	s_cbranch_execz .LBB70_1592
; %bb.1587:
	s_mov_b32 s7, 0
	s_mov_b32 s8, exec_lo
                                        ; implicit-def: $vgpr1
	v_cmpx_lt_u32_e32 0x37ffffff, v10
	s_xor_b32 s8, exec_lo, s8
	s_cbranch_execz .LBB70_2031
; %bb.1588:
	v_bfe_u32 v1, v10, 21, 1
	s_mov_b32 s7, exec_lo
	s_delay_alu instid0(VALU_DEP_1) | instskip(NEXT) | instid1(VALU_DEP_1)
	v_add3_u32 v1, v10, v1, 0x88fffff
                                        ; implicit-def: $vgpr10
	v_lshrrev_b32_e32 v1, 21, v1
	s_and_not1_saveexec_b32 s8, s8
	s_cbranch_execnz .LBB70_2032
.LBB70_1589:
	s_or_b32 exec_lo, exec_lo, s8
	v_mov_b32_e32 v11, 0
	s_and_saveexec_b32 s8, s7
.LBB70_1590:
	v_mov_b32_e32 v11, v1
.LBB70_1591:
	s_or_b32 exec_lo, exec_lo, s8
.LBB70_1592:
	s_delay_alu instid0(SALU_CYCLE_1)
	s_or_b32 exec_lo, exec_lo, s6
	s_mov_b32 s6, 0
	global_store_b8 v[8:9], v11, off
.LBB70_1593:
	s_and_b32 vcc_lo, exec_lo, s6
	s_cbranch_vccz .LBB70_1603
; %bb.1594:
	s_wait_xcnt 0x0
	v_cndmask_b32_e64 v10, 0, 1.0, s0
	s_mov_b32 s6, exec_lo
                                        ; implicit-def: $vgpr1
	s_delay_alu instid0(VALU_DEP_1)
	v_cmpx_gt_u32_e32 0x43f00000, v10
	s_xor_b32 s6, exec_lo, s6
	s_cbranch_execz .LBB70_1600
; %bb.1595:
	s_mov_b32 s7, exec_lo
                                        ; implicit-def: $vgpr1
	v_cmpx_lt_u32_e32 0x3c7fffff, v10
	s_xor_b32 s7, exec_lo, s7
; %bb.1596:
	v_bfe_u32 v1, v10, 20, 1
	s_delay_alu instid0(VALU_DEP_1) | instskip(NEXT) | instid1(VALU_DEP_1)
	v_add3_u32 v1, v10, v1, 0x407ffff
	v_and_b32_e32 v10, 0xff00000, v1
	v_lshrrev_b32_e32 v1, 20, v1
	s_delay_alu instid0(VALU_DEP_2) | instskip(NEXT) | instid1(VALU_DEP_2)
	v_cmp_ne_u32_e32 vcc_lo, 0x7f00000, v10
                                        ; implicit-def: $vgpr10
	v_cndmask_b32_e32 v1, 0x7e, v1, vcc_lo
; %bb.1597:
	s_and_not1_saveexec_b32 s7, s7
; %bb.1598:
	v_add_f32_e32 v1, 0x46800000, v10
; %bb.1599:
	s_or_b32 exec_lo, exec_lo, s7
                                        ; implicit-def: $vgpr10
.LBB70_1600:
	s_and_not1_saveexec_b32 s6, s6
; %bb.1601:
	v_mov_b32_e32 v1, 0x7f
	v_cmp_lt_u32_e32 vcc_lo, 0x7f800000, v10
	s_delay_alu instid0(VALU_DEP_2)
	v_cndmask_b32_e32 v1, 0x7e, v1, vcc_lo
; %bb.1602:
	s_or_b32 exec_lo, exec_lo, s6
	global_store_b8 v[8:9], v1, off
.LBB70_1603:
	s_mov_b32 s6, 0
.LBB70_1604:
	s_delay_alu instid0(SALU_CYCLE_1)
	s_and_not1_b32 vcc_lo, exec_lo, s6
	s_cbranch_vccnz .LBB70_1614
; %bb.1605:
	s_wait_xcnt 0x0
	v_cndmask_b32_e64 v10, 0, 1.0, s0
	s_mov_b32 s6, exec_lo
                                        ; implicit-def: $vgpr1
	s_delay_alu instid0(VALU_DEP_1)
	v_cmpx_gt_u32_e32 0x47800000, v10
	s_xor_b32 s6, exec_lo, s6
	s_cbranch_execz .LBB70_1611
; %bb.1606:
	s_mov_b32 s7, exec_lo
                                        ; implicit-def: $vgpr1
	v_cmpx_lt_u32_e32 0x387fffff, v10
	s_xor_b32 s7, exec_lo, s7
; %bb.1607:
	v_bfe_u32 v1, v10, 21, 1
	s_delay_alu instid0(VALU_DEP_1) | instskip(NEXT) | instid1(VALU_DEP_1)
	v_add3_u32 v1, v10, v1, 0x80fffff
                                        ; implicit-def: $vgpr10
	v_lshrrev_b32_e32 v1, 21, v1
; %bb.1608:
	s_and_not1_saveexec_b32 s7, s7
; %bb.1609:
	v_add_f32_e32 v1, 0x43000000, v10
; %bb.1610:
	s_or_b32 exec_lo, exec_lo, s7
                                        ; implicit-def: $vgpr10
.LBB70_1611:
	s_and_not1_saveexec_b32 s6, s6
; %bb.1612:
	v_mov_b32_e32 v1, 0x7f
	v_cmp_lt_u32_e32 vcc_lo, 0x7f800000, v10
	s_delay_alu instid0(VALU_DEP_2)
	v_cndmask_b32_e32 v1, 0x7c, v1, vcc_lo
; %bb.1613:
	s_or_b32 exec_lo, exec_lo, s6
	global_store_b8 v[8:9], v1, off
.LBB70_1614:
	s_mov_b32 s6, 0
	s_mov_b32 s7, -1
.LBB70_1615:
	s_and_not1_b32 vcc_lo, exec_lo, s6
	s_mov_b32 s6, 0
	s_cbranch_vccnz .LBB70_1622
; %bb.1616:
	s_cmp_gt_i32 s3, 14
	s_mov_b32 s6, -1
	s_cbranch_scc0 .LBB70_1620
; %bb.1617:
	s_cmp_eq_u32 s3, 15
	s_mov_b32 s1, -1
	s_cbranch_scc0 .LBB70_1619
; %bb.1618:
	s_wait_xcnt 0x0
	v_cndmask_b32_e64 v1, 0, 1.0, s0
	s_mov_b32 s1, 0
	s_mov_b32 s7, -1
	s_delay_alu instid0(VALU_DEP_1) | instskip(NEXT) | instid1(VALU_DEP_1)
	v_bfe_u32 v10, v1, 16, 1
	v_add3_u32 v1, v1, v10, 0x7fff
	global_store_d16_hi_b16 v[8:9], v1, off
.LBB70_1619:
	s_mov_b32 s6, 0
.LBB70_1620:
	s_delay_alu instid0(SALU_CYCLE_1)
	s_and_b32 vcc_lo, exec_lo, s6
	s_mov_b32 s6, 0
	s_cbranch_vccz .LBB70_1622
; %bb.1621:
	s_cmp_lg_u32 s3, 11
	s_mov_b32 s6, -1
	s_cselect_b32 s1, -1, 0
.LBB70_1622:
	s_delay_alu instid0(SALU_CYCLE_1)
	s_and_b32 vcc_lo, exec_lo, s1
	s_cbranch_vccnz .LBB70_2030
; %bb.1623:
	s_and_not1_b32 vcc_lo, exec_lo, s6
	s_cbranch_vccnz .LBB70_1625
.LBB70_1624:
	s_wait_xcnt 0x0
	v_cndmask_b32_e64 v1, 0, 1, s0
	s_mov_b32 s7, -1
	global_store_b8 v[8:9], v1, off
.LBB70_1625:
	s_mov_b32 s1, 0
	s_branch .LBB70_1627
.LBB70_1626:
	s_mov_b32 s1, -1
	s_mov_b32 s7, 0
.LBB70_1627:
	s_and_b32 vcc_lo, exec_lo, s1
	s_cbranch_vccz .LBB70_1666
; %bb.1628:
	s_and_b32 s1, 0xffff, s13
	s_mov_b32 s3, -1
	s_cmp_lt_i32 s1, 5
	s_cbranch_scc1 .LBB70_1649
; %bb.1629:
	s_cmp_lt_i32 s1, 8
	s_cbranch_scc1 .LBB70_1639
; %bb.1630:
	s_cmp_lt_i32 s1, 9
	s_cbranch_scc1 .LBB70_1636
; %bb.1631:
	s_cmp_gt_i32 s1, 9
	s_cbranch_scc0 .LBB70_1633
; %bb.1632:
	s_wait_xcnt 0x0
	v_cndmask_b32_e64 v1, 0, 1, s0
	v_mov_b32_e32 v12, 0
	s_mov_b32 s3, 0
	s_delay_alu instid0(VALU_DEP_2) | instskip(NEXT) | instid1(VALU_DEP_2)
	v_cvt_f64_u32_e32 v[10:11], v1
	v_mov_b32_e32 v13, v12
	global_store_b128 v[8:9], v[10:13], off
.LBB70_1633:
	s_and_not1_b32 vcc_lo, exec_lo, s3
	s_cbranch_vccnz .LBB70_1635
; %bb.1634:
	s_wait_xcnt 0x0
	v_cndmask_b32_e64 v10, 0, 1.0, s0
	v_mov_b32_e32 v11, 0
	global_store_b64 v[8:9], v[10:11], off
.LBB70_1635:
	s_mov_b32 s3, 0
.LBB70_1636:
	s_delay_alu instid0(SALU_CYCLE_1)
	s_and_not1_b32 vcc_lo, exec_lo, s3
	s_cbranch_vccnz .LBB70_1638
; %bb.1637:
	s_wait_xcnt 0x0
	v_cndmask_b32_e64 v1, 0, 1.0, s0
	s_delay_alu instid0(VALU_DEP_1) | instskip(NEXT) | instid1(VALU_DEP_1)
	v_cvt_f16_f32_e32 v1, v1
	v_and_b32_e32 v1, 0xffff, v1
	global_store_b32 v[8:9], v1, off
.LBB70_1638:
	s_mov_b32 s3, 0
.LBB70_1639:
	s_delay_alu instid0(SALU_CYCLE_1)
	s_and_not1_b32 vcc_lo, exec_lo, s3
	s_cbranch_vccnz .LBB70_1648
; %bb.1640:
	s_cmp_lt_i32 s1, 6
	s_mov_b32 s3, -1
	s_cbranch_scc1 .LBB70_1646
; %bb.1641:
	s_cmp_gt_i32 s1, 6
	s_cbranch_scc0 .LBB70_1643
; %bb.1642:
	s_wait_xcnt 0x0
	v_cndmask_b32_e64 v1, 0, 1, s0
	s_mov_b32 s3, 0
	s_delay_alu instid0(VALU_DEP_1)
	v_cvt_f64_u32_e32 v[10:11], v1
	global_store_b64 v[8:9], v[10:11], off
.LBB70_1643:
	s_and_not1_b32 vcc_lo, exec_lo, s3
	s_cbranch_vccnz .LBB70_1645
; %bb.1644:
	s_wait_xcnt 0x0
	v_cndmask_b32_e64 v1, 0, 1.0, s0
	global_store_b32 v[8:9], v1, off
.LBB70_1645:
	s_mov_b32 s3, 0
.LBB70_1646:
	s_delay_alu instid0(SALU_CYCLE_1)
	s_and_not1_b32 vcc_lo, exec_lo, s3
	s_cbranch_vccnz .LBB70_1648
; %bb.1647:
	s_wait_xcnt 0x0
	v_cndmask_b32_e64 v1, 0, 1.0, s0
	s_delay_alu instid0(VALU_DEP_1)
	v_cvt_f16_f32_e32 v1, v1
	global_store_b16 v[8:9], v1, off
.LBB70_1648:
	s_mov_b32 s3, 0
.LBB70_1649:
	s_delay_alu instid0(SALU_CYCLE_1)
	s_and_not1_b32 vcc_lo, exec_lo, s3
	s_cbranch_vccnz .LBB70_1665
; %bb.1650:
	s_cmp_lt_i32 s1, 2
	s_mov_b32 s3, -1
	s_cbranch_scc1 .LBB70_1660
; %bb.1651:
	s_cmp_lt_i32 s1, 3
	s_cbranch_scc1 .LBB70_1657
; %bb.1652:
	s_cmp_gt_i32 s1, 3
	s_cbranch_scc0 .LBB70_1654
; %bb.1653:
	s_mov_b32 s3, 0
	s_wait_xcnt 0x0
	v_cndmask_b32_e64 v10, 0, 1, s0
	v_mov_b32_e32 v11, s3
	global_store_b64 v[8:9], v[10:11], off
.LBB70_1654:
	s_and_not1_b32 vcc_lo, exec_lo, s3
	s_cbranch_vccnz .LBB70_1656
; %bb.1655:
	s_wait_xcnt 0x0
	v_cndmask_b32_e64 v1, 0, 1, s0
	global_store_b32 v[8:9], v1, off
.LBB70_1656:
	s_mov_b32 s3, 0
.LBB70_1657:
	s_delay_alu instid0(SALU_CYCLE_1)
	s_and_not1_b32 vcc_lo, exec_lo, s3
	s_cbranch_vccnz .LBB70_1659
; %bb.1658:
	s_wait_xcnt 0x0
	v_cndmask_b32_e64 v1, 0, 1, s0
	global_store_b16 v[8:9], v1, off
.LBB70_1659:
	s_mov_b32 s3, 0
.LBB70_1660:
	s_delay_alu instid0(SALU_CYCLE_1)
	s_and_not1_b32 vcc_lo, exec_lo, s3
	s_cbranch_vccnz .LBB70_1665
; %bb.1661:
	s_wait_xcnt 0x0
	v_cndmask_b32_e64 v1, 0, 1, s0
	s_cmp_gt_i32 s1, 0
	s_mov_b32 s0, -1
	s_cbranch_scc0 .LBB70_1663
; %bb.1662:
	s_mov_b32 s0, 0
	global_store_b8 v[8:9], v1, off
.LBB70_1663:
	s_and_not1_b32 vcc_lo, exec_lo, s0
	s_cbranch_vccnz .LBB70_1665
; %bb.1664:
	global_store_b8 v[8:9], v1, off
.LBB70_1665:
	s_mov_b32 s7, -1
.LBB70_1666:
	s_delay_alu instid0(SALU_CYCLE_1)
	s_and_not1_b32 vcc_lo, exec_lo, s7
	s_cbranch_vccnz .LBB70_1981
; %bb.1667:
	v_cmp_eq_f64_e64 s0, 0xfff00000, v[2:3]
	s_lshl_b32 s2, s2, 7
	s_cmp_lt_i32 s13, 11
	v_add_nc_u32_e32 v0, s2, v0
	s_wait_xcnt 0x0
	s_delay_alu instid0(VALU_DEP_1) | instskip(NEXT) | instid1(VALU_DEP_1)
	v_ashrrev_i32_e32 v1, 31, v0
	v_add_nc_u64_e32 v[2:3], s[4:5], v[0:1]
	s_cbranch_scc1 .LBB70_1745
; %bb.1668:
	s_and_b32 s3, 0xffff, s13
	s_mov_b32 s8, -1
	s_mov_b32 s6, 0
	s_cmp_gt_i32 s3, 25
	s_mov_b32 s7, 0
	s_mov_b32 s1, 0
	s_cbranch_scc0 .LBB70_1701
; %bb.1669:
	s_cmp_gt_i32 s3, 28
	s_cbranch_scc0 .LBB70_1684
; %bb.1670:
	s_cmp_gt_i32 s3, 43
	;; [unrolled: 3-line block ×3, first 2 shown]
	s_cbranch_scc0 .LBB70_1674
; %bb.1672:
	s_mov_b32 s1, -1
	s_mov_b32 s8, 0
	s_cmp_eq_u32 s3, 46
	s_cbranch_scc0 .LBB70_1674
; %bb.1673:
	v_cndmask_b32_e64 v1, 0, 1.0, s0
	s_mov_b32 s1, 0
	s_mov_b32 s7, -1
	s_delay_alu instid0(VALU_DEP_1) | instskip(NEXT) | instid1(VALU_DEP_1)
	v_bfe_u32 v8, v1, 16, 1
	v_add3_u32 v1, v1, v8, 0x7fff
	s_delay_alu instid0(VALU_DEP_1)
	v_lshrrev_b32_e32 v1, 16, v1
	global_store_b32 v[2:3], v1, off
.LBB70_1674:
	s_and_b32 vcc_lo, exec_lo, s8
	s_cbranch_vccz .LBB70_1679
; %bb.1675:
	s_cmp_eq_u32 s3, 44
	s_mov_b32 s1, -1
	s_cbranch_scc0 .LBB70_1679
; %bb.1676:
	v_cndmask_b32_e64 v9, 0, 1.0, s0
	s_mov_b32 s7, exec_lo
	s_wait_xcnt 0x0
	s_delay_alu instid0(VALU_DEP_1) | instskip(NEXT) | instid1(VALU_DEP_1)
	v_dual_mov_b32 v8, 0xff :: v_dual_lshrrev_b32 v1, 23, v9
	v_cmpx_ne_u32_e32 0xff, v1
; %bb.1677:
	v_and_b32_e32 v8, 0x400000, v9
	v_and_or_b32 v9, 0x3fffff, v9, v1
	s_delay_alu instid0(VALU_DEP_2) | instskip(NEXT) | instid1(VALU_DEP_2)
	v_cmp_ne_u32_e32 vcc_lo, 0, v8
	v_cmp_ne_u32_e64 s1, 0, v9
	s_and_b32 s1, vcc_lo, s1
	s_delay_alu instid0(SALU_CYCLE_1) | instskip(NEXT) | instid1(VALU_DEP_1)
	v_cndmask_b32_e64 v8, 0, 1, s1
	v_add_nc_u32_e32 v8, v1, v8
; %bb.1678:
	s_or_b32 exec_lo, exec_lo, s7
	s_mov_b32 s1, 0
	s_mov_b32 s7, -1
	global_store_b8 v[2:3], v8, off
.LBB70_1679:
	s_mov_b32 s8, 0
.LBB70_1680:
	s_delay_alu instid0(SALU_CYCLE_1)
	s_and_b32 vcc_lo, exec_lo, s8
	s_cbranch_vccz .LBB70_1683
; %bb.1681:
	s_cmp_eq_u32 s3, 29
	s_mov_b32 s1, -1
	s_cbranch_scc0 .LBB70_1683
; %bb.1682:
	s_mov_b32 s1, 0
	s_wait_xcnt 0x0
	v_cndmask_b32_e64 v8, 0, 1, s0
	v_mov_b32_e32 v9, s1
	s_mov_b32 s7, -1
	global_store_b64 v[2:3], v[8:9], off
.LBB70_1683:
	s_mov_b32 s8, 0
.LBB70_1684:
	s_delay_alu instid0(SALU_CYCLE_1)
	s_and_b32 vcc_lo, exec_lo, s8
	s_cbranch_vccz .LBB70_1700
; %bb.1685:
	s_cmp_lt_i32 s3, 27
	s_mov_b32 s7, -1
	s_cbranch_scc1 .LBB70_1691
; %bb.1686:
	s_cmp_gt_i32 s3, 27
	s_cbranch_scc0 .LBB70_1688
; %bb.1687:
	s_wait_xcnt 0x0
	v_cndmask_b32_e64 v1, 0, 1, s0
	s_mov_b32 s7, 0
	global_store_b32 v[2:3], v1, off
.LBB70_1688:
	s_and_not1_b32 vcc_lo, exec_lo, s7
	s_cbranch_vccnz .LBB70_1690
; %bb.1689:
	s_wait_xcnt 0x0
	v_cndmask_b32_e64 v1, 0, 1, s0
	global_store_b16 v[2:3], v1, off
.LBB70_1690:
	s_mov_b32 s7, 0
.LBB70_1691:
	s_delay_alu instid0(SALU_CYCLE_1)
	s_and_not1_b32 vcc_lo, exec_lo, s7
	s_cbranch_vccnz .LBB70_1699
; %bb.1692:
	s_wait_xcnt 0x0
	v_cndmask_b32_e64 v8, 0, 1.0, s0
	v_mov_b32_e32 v9, 0x80
	s_mov_b32 s7, exec_lo
	s_delay_alu instid0(VALU_DEP_2)
	v_cmpx_gt_u32_e32 0x43800000, v8
	s_cbranch_execz .LBB70_1698
; %bb.1693:
	s_mov_b32 s8, 0
	s_mov_b32 s10, exec_lo
                                        ; implicit-def: $vgpr1
	v_cmpx_lt_u32_e32 0x3bffffff, v8
	s_xor_b32 s10, exec_lo, s10
	s_cbranch_execz .LBB70_2033
; %bb.1694:
	v_bfe_u32 v1, v8, 20, 1
	s_mov_b32 s8, exec_lo
	s_delay_alu instid0(VALU_DEP_1) | instskip(NEXT) | instid1(VALU_DEP_1)
	v_add3_u32 v1, v8, v1, 0x487ffff
                                        ; implicit-def: $vgpr8
	v_lshrrev_b32_e32 v1, 20, v1
	s_and_not1_saveexec_b32 s10, s10
	s_cbranch_execnz .LBB70_2034
.LBB70_1695:
	s_or_b32 exec_lo, exec_lo, s10
	v_mov_b32_e32 v9, 0
	s_and_saveexec_b32 s10, s8
.LBB70_1696:
	v_mov_b32_e32 v9, v1
.LBB70_1697:
	s_or_b32 exec_lo, exec_lo, s10
.LBB70_1698:
	s_delay_alu instid0(SALU_CYCLE_1)
	s_or_b32 exec_lo, exec_lo, s7
	global_store_b8 v[2:3], v9, off
.LBB70_1699:
	s_mov_b32 s7, -1
.LBB70_1700:
	s_mov_b32 s8, 0
.LBB70_1701:
	s_delay_alu instid0(SALU_CYCLE_1)
	s_and_b32 vcc_lo, exec_lo, s8
	s_cbranch_vccz .LBB70_1741
; %bb.1702:
	s_cmp_gt_i32 s3, 22
	s_mov_b32 s6, -1
	s_cbranch_scc0 .LBB70_1734
; %bb.1703:
	s_cmp_lt_i32 s3, 24
	s_cbranch_scc1 .LBB70_1723
; %bb.1704:
	s_cmp_gt_i32 s3, 24
	s_cbranch_scc0 .LBB70_1712
; %bb.1705:
	s_wait_xcnt 0x0
	v_cndmask_b32_e64 v8, 0, 1.0, s0
	v_mov_b32_e32 v9, 0x80
	s_mov_b32 s6, exec_lo
	s_delay_alu instid0(VALU_DEP_2)
	v_cmpx_gt_u32_e32 0x47800000, v8
	s_cbranch_execz .LBB70_1711
; %bb.1706:
	s_mov_b32 s7, 0
	s_mov_b32 s8, exec_lo
                                        ; implicit-def: $vgpr1
	v_cmpx_lt_u32_e32 0x37ffffff, v8
	s_xor_b32 s8, exec_lo, s8
	s_cbranch_execz .LBB70_2036
; %bb.1707:
	v_bfe_u32 v1, v8, 21, 1
	s_mov_b32 s7, exec_lo
	s_delay_alu instid0(VALU_DEP_1) | instskip(NEXT) | instid1(VALU_DEP_1)
	v_add3_u32 v1, v8, v1, 0x88fffff
                                        ; implicit-def: $vgpr8
	v_lshrrev_b32_e32 v1, 21, v1
	s_and_not1_saveexec_b32 s8, s8
	s_cbranch_execnz .LBB70_2037
.LBB70_1708:
	s_or_b32 exec_lo, exec_lo, s8
	v_mov_b32_e32 v9, 0
	s_and_saveexec_b32 s8, s7
.LBB70_1709:
	v_mov_b32_e32 v9, v1
.LBB70_1710:
	s_or_b32 exec_lo, exec_lo, s8
.LBB70_1711:
	s_delay_alu instid0(SALU_CYCLE_1)
	s_or_b32 exec_lo, exec_lo, s6
	s_mov_b32 s6, 0
	global_store_b8 v[2:3], v9, off
.LBB70_1712:
	s_and_b32 vcc_lo, exec_lo, s6
	s_cbranch_vccz .LBB70_1722
; %bb.1713:
	s_wait_xcnt 0x0
	v_cndmask_b32_e64 v8, 0, 1.0, s0
	s_mov_b32 s6, exec_lo
                                        ; implicit-def: $vgpr1
	s_delay_alu instid0(VALU_DEP_1)
	v_cmpx_gt_u32_e32 0x43f00000, v8
	s_xor_b32 s6, exec_lo, s6
	s_cbranch_execz .LBB70_1719
; %bb.1714:
	s_mov_b32 s7, exec_lo
                                        ; implicit-def: $vgpr1
	v_cmpx_lt_u32_e32 0x3c7fffff, v8
	s_xor_b32 s7, exec_lo, s7
; %bb.1715:
	v_bfe_u32 v1, v8, 20, 1
	s_delay_alu instid0(VALU_DEP_1) | instskip(NEXT) | instid1(VALU_DEP_1)
	v_add3_u32 v1, v8, v1, 0x407ffff
	v_and_b32_e32 v8, 0xff00000, v1
	v_lshrrev_b32_e32 v1, 20, v1
	s_delay_alu instid0(VALU_DEP_2) | instskip(NEXT) | instid1(VALU_DEP_2)
	v_cmp_ne_u32_e32 vcc_lo, 0x7f00000, v8
                                        ; implicit-def: $vgpr8
	v_cndmask_b32_e32 v1, 0x7e, v1, vcc_lo
; %bb.1716:
	s_and_not1_saveexec_b32 s7, s7
; %bb.1717:
	v_add_f32_e32 v1, 0x46800000, v8
; %bb.1718:
	s_or_b32 exec_lo, exec_lo, s7
                                        ; implicit-def: $vgpr8
.LBB70_1719:
	s_and_not1_saveexec_b32 s6, s6
; %bb.1720:
	v_mov_b32_e32 v1, 0x7f
	v_cmp_lt_u32_e32 vcc_lo, 0x7f800000, v8
	s_delay_alu instid0(VALU_DEP_2)
	v_cndmask_b32_e32 v1, 0x7e, v1, vcc_lo
; %bb.1721:
	s_or_b32 exec_lo, exec_lo, s6
	global_store_b8 v[2:3], v1, off
.LBB70_1722:
	s_mov_b32 s6, 0
.LBB70_1723:
	s_delay_alu instid0(SALU_CYCLE_1)
	s_and_not1_b32 vcc_lo, exec_lo, s6
	s_cbranch_vccnz .LBB70_1733
; %bb.1724:
	s_wait_xcnt 0x0
	v_cndmask_b32_e64 v8, 0, 1.0, s0
	s_mov_b32 s6, exec_lo
                                        ; implicit-def: $vgpr1
	s_delay_alu instid0(VALU_DEP_1)
	v_cmpx_gt_u32_e32 0x47800000, v8
	s_xor_b32 s6, exec_lo, s6
	s_cbranch_execz .LBB70_1730
; %bb.1725:
	s_mov_b32 s7, exec_lo
                                        ; implicit-def: $vgpr1
	v_cmpx_lt_u32_e32 0x387fffff, v8
	s_xor_b32 s7, exec_lo, s7
; %bb.1726:
	v_bfe_u32 v1, v8, 21, 1
	s_delay_alu instid0(VALU_DEP_1) | instskip(NEXT) | instid1(VALU_DEP_1)
	v_add3_u32 v1, v8, v1, 0x80fffff
                                        ; implicit-def: $vgpr8
	v_lshrrev_b32_e32 v1, 21, v1
; %bb.1727:
	s_and_not1_saveexec_b32 s7, s7
; %bb.1728:
	v_add_f32_e32 v1, 0x43000000, v8
; %bb.1729:
	s_or_b32 exec_lo, exec_lo, s7
                                        ; implicit-def: $vgpr8
.LBB70_1730:
	s_and_not1_saveexec_b32 s6, s6
; %bb.1731:
	v_mov_b32_e32 v1, 0x7f
	v_cmp_lt_u32_e32 vcc_lo, 0x7f800000, v8
	s_delay_alu instid0(VALU_DEP_2)
	v_cndmask_b32_e32 v1, 0x7c, v1, vcc_lo
; %bb.1732:
	s_or_b32 exec_lo, exec_lo, s6
	global_store_b8 v[2:3], v1, off
.LBB70_1733:
	s_mov_b32 s6, 0
	s_mov_b32 s7, -1
.LBB70_1734:
	s_and_not1_b32 vcc_lo, exec_lo, s6
	s_mov_b32 s6, 0
	s_cbranch_vccnz .LBB70_1741
; %bb.1735:
	s_cmp_gt_i32 s3, 14
	s_mov_b32 s6, -1
	s_cbranch_scc0 .LBB70_1739
; %bb.1736:
	s_cmp_eq_u32 s3, 15
	s_mov_b32 s1, -1
	s_cbranch_scc0 .LBB70_1738
; %bb.1737:
	s_wait_xcnt 0x0
	v_cndmask_b32_e64 v1, 0, 1.0, s0
	s_mov_b32 s1, 0
	s_mov_b32 s7, -1
	s_delay_alu instid0(VALU_DEP_1) | instskip(NEXT) | instid1(VALU_DEP_1)
	v_bfe_u32 v8, v1, 16, 1
	v_add3_u32 v1, v1, v8, 0x7fff
	global_store_d16_hi_b16 v[2:3], v1, off
.LBB70_1738:
	s_mov_b32 s6, 0
.LBB70_1739:
	s_delay_alu instid0(SALU_CYCLE_1)
	s_and_b32 vcc_lo, exec_lo, s6
	s_mov_b32 s6, 0
	s_cbranch_vccz .LBB70_1741
; %bb.1740:
	s_cmp_lg_u32 s3, 11
	s_mov_b32 s6, -1
	s_cselect_b32 s1, -1, 0
.LBB70_1741:
	s_delay_alu instid0(SALU_CYCLE_1)
	s_and_b32 vcc_lo, exec_lo, s1
	s_cbranch_vccnz .LBB70_2035
; %bb.1742:
	s_and_not1_b32 vcc_lo, exec_lo, s6
	s_cbranch_vccnz .LBB70_1744
.LBB70_1743:
	s_wait_xcnt 0x0
	v_cndmask_b32_e64 v1, 0, 1, s0
	s_mov_b32 s7, -1
	global_store_b8 v[2:3], v1, off
.LBB70_1744:
	s_mov_b32 s1, 0
	s_branch .LBB70_1746
.LBB70_1745:
	s_mov_b32 s1, -1
	s_mov_b32 s7, 0
.LBB70_1746:
	s_and_b32 vcc_lo, exec_lo, s1
	s_cbranch_vccz .LBB70_1785
; %bb.1747:
	s_and_b32 s1, 0xffff, s13
	s_mov_b32 s3, -1
	s_cmp_lt_i32 s1, 5
	s_cbranch_scc1 .LBB70_1768
; %bb.1748:
	s_cmp_lt_i32 s1, 8
	s_cbranch_scc1 .LBB70_1758
; %bb.1749:
	;; [unrolled: 3-line block ×3, first 2 shown]
	s_cmp_gt_i32 s1, 9
	s_cbranch_scc0 .LBB70_1752
; %bb.1751:
	s_wait_xcnt 0x0
	v_cndmask_b32_e64 v1, 0, 1, s0
	v_mov_b32_e32 v10, 0
	s_mov_b32 s3, 0
	s_delay_alu instid0(VALU_DEP_2) | instskip(NEXT) | instid1(VALU_DEP_2)
	v_cvt_f64_u32_e32 v[8:9], v1
	v_mov_b32_e32 v11, v10
	global_store_b128 v[2:3], v[8:11], off
.LBB70_1752:
	s_and_not1_b32 vcc_lo, exec_lo, s3
	s_cbranch_vccnz .LBB70_1754
; %bb.1753:
	s_wait_xcnt 0x0
	v_cndmask_b32_e64 v8, 0, 1.0, s0
	v_mov_b32_e32 v9, 0
	global_store_b64 v[2:3], v[8:9], off
.LBB70_1754:
	s_mov_b32 s3, 0
.LBB70_1755:
	s_delay_alu instid0(SALU_CYCLE_1)
	s_and_not1_b32 vcc_lo, exec_lo, s3
	s_cbranch_vccnz .LBB70_1757
; %bb.1756:
	s_wait_xcnt 0x0
	v_cndmask_b32_e64 v1, 0, 1.0, s0
	s_delay_alu instid0(VALU_DEP_1) | instskip(NEXT) | instid1(VALU_DEP_1)
	v_cvt_f16_f32_e32 v1, v1
	v_and_b32_e32 v1, 0xffff, v1
	global_store_b32 v[2:3], v1, off
.LBB70_1757:
	s_mov_b32 s3, 0
.LBB70_1758:
	s_delay_alu instid0(SALU_CYCLE_1)
	s_and_not1_b32 vcc_lo, exec_lo, s3
	s_cbranch_vccnz .LBB70_1767
; %bb.1759:
	s_cmp_lt_i32 s1, 6
	s_mov_b32 s3, -1
	s_cbranch_scc1 .LBB70_1765
; %bb.1760:
	s_cmp_gt_i32 s1, 6
	s_cbranch_scc0 .LBB70_1762
; %bb.1761:
	s_wait_xcnt 0x0
	v_cndmask_b32_e64 v1, 0, 1, s0
	s_mov_b32 s3, 0
	s_delay_alu instid0(VALU_DEP_1)
	v_cvt_f64_u32_e32 v[8:9], v1
	global_store_b64 v[2:3], v[8:9], off
.LBB70_1762:
	s_and_not1_b32 vcc_lo, exec_lo, s3
	s_cbranch_vccnz .LBB70_1764
; %bb.1763:
	s_wait_xcnt 0x0
	v_cndmask_b32_e64 v1, 0, 1.0, s0
	global_store_b32 v[2:3], v1, off
.LBB70_1764:
	s_mov_b32 s3, 0
.LBB70_1765:
	s_delay_alu instid0(SALU_CYCLE_1)
	s_and_not1_b32 vcc_lo, exec_lo, s3
	s_cbranch_vccnz .LBB70_1767
; %bb.1766:
	s_wait_xcnt 0x0
	v_cndmask_b32_e64 v1, 0, 1.0, s0
	s_delay_alu instid0(VALU_DEP_1)
	v_cvt_f16_f32_e32 v1, v1
	global_store_b16 v[2:3], v1, off
.LBB70_1767:
	s_mov_b32 s3, 0
.LBB70_1768:
	s_delay_alu instid0(SALU_CYCLE_1)
	s_and_not1_b32 vcc_lo, exec_lo, s3
	s_cbranch_vccnz .LBB70_1784
; %bb.1769:
	s_cmp_lt_i32 s1, 2
	s_mov_b32 s3, -1
	s_cbranch_scc1 .LBB70_1779
; %bb.1770:
	s_cmp_lt_i32 s1, 3
	s_cbranch_scc1 .LBB70_1776
; %bb.1771:
	s_cmp_gt_i32 s1, 3
	s_cbranch_scc0 .LBB70_1773
; %bb.1772:
	s_mov_b32 s3, 0
	s_wait_xcnt 0x0
	v_cndmask_b32_e64 v8, 0, 1, s0
	v_mov_b32_e32 v9, s3
	global_store_b64 v[2:3], v[8:9], off
.LBB70_1773:
	s_and_not1_b32 vcc_lo, exec_lo, s3
	s_cbranch_vccnz .LBB70_1775
; %bb.1774:
	s_wait_xcnt 0x0
	v_cndmask_b32_e64 v1, 0, 1, s0
	global_store_b32 v[2:3], v1, off
.LBB70_1775:
	s_mov_b32 s3, 0
.LBB70_1776:
	s_delay_alu instid0(SALU_CYCLE_1)
	s_and_not1_b32 vcc_lo, exec_lo, s3
	s_cbranch_vccnz .LBB70_1778
; %bb.1777:
	s_wait_xcnt 0x0
	v_cndmask_b32_e64 v1, 0, 1, s0
	global_store_b16 v[2:3], v1, off
.LBB70_1778:
	s_mov_b32 s3, 0
.LBB70_1779:
	s_delay_alu instid0(SALU_CYCLE_1)
	s_and_not1_b32 vcc_lo, exec_lo, s3
	s_cbranch_vccnz .LBB70_1784
; %bb.1780:
	s_wait_xcnt 0x0
	v_cndmask_b32_e64 v1, 0, 1, s0
	s_cmp_gt_i32 s1, 0
	s_mov_b32 s0, -1
	s_cbranch_scc0 .LBB70_1782
; %bb.1781:
	s_mov_b32 s0, 0
	global_store_b8 v[2:3], v1, off
.LBB70_1782:
	s_and_not1_b32 vcc_lo, exec_lo, s0
	s_cbranch_vccnz .LBB70_1784
; %bb.1783:
	global_store_b8 v[2:3], v1, off
.LBB70_1784:
	s_mov_b32 s7, -1
.LBB70_1785:
	s_delay_alu instid0(SALU_CYCLE_1)
	s_and_not1_b32 vcc_lo, exec_lo, s7
	s_cbranch_vccnz .LBB70_1981
; %bb.1786:
	v_cmp_eq_f64_e64 s0, 0xfff00000, v[4:5]
	v_add_nc_u32_e32 v0, s2, v0
	s_cmp_lt_i32 s13, 11
	s_wait_xcnt 0x0
	s_delay_alu instid0(VALU_DEP_1) | instskip(NEXT) | instid1(VALU_DEP_1)
	v_ashrrev_i32_e32 v1, 31, v0
	v_add_nc_u64_e32 v[2:3], s[4:5], v[0:1]
	s_cbranch_scc1 .LBB70_1864
; %bb.1787:
	s_and_b32 s3, 0xffff, s13
	s_mov_b32 s8, -1
	s_mov_b32 s6, 0
	s_cmp_gt_i32 s3, 25
	s_mov_b32 s7, 0
	s_mov_b32 s1, 0
	s_cbranch_scc0 .LBB70_1820
; %bb.1788:
	s_cmp_gt_i32 s3, 28
	s_cbranch_scc0 .LBB70_1803
; %bb.1789:
	s_cmp_gt_i32 s3, 43
	;; [unrolled: 3-line block ×3, first 2 shown]
	s_cbranch_scc0 .LBB70_1793
; %bb.1791:
	s_mov_b32 s1, -1
	s_mov_b32 s8, 0
	s_cmp_eq_u32 s3, 46
	s_cbranch_scc0 .LBB70_1793
; %bb.1792:
	v_cndmask_b32_e64 v1, 0, 1.0, s0
	s_mov_b32 s1, 0
	s_mov_b32 s7, -1
	s_delay_alu instid0(VALU_DEP_1) | instskip(NEXT) | instid1(VALU_DEP_1)
	v_bfe_u32 v4, v1, 16, 1
	v_add3_u32 v1, v1, v4, 0x7fff
	s_delay_alu instid0(VALU_DEP_1)
	v_lshrrev_b32_e32 v1, 16, v1
	global_store_b32 v[2:3], v1, off
.LBB70_1793:
	s_and_b32 vcc_lo, exec_lo, s8
	s_cbranch_vccz .LBB70_1798
; %bb.1794:
	s_cmp_eq_u32 s3, 44
	s_mov_b32 s1, -1
	s_cbranch_scc0 .LBB70_1798
; %bb.1795:
	v_cndmask_b32_e64 v5, 0, 1.0, s0
	s_mov_b32 s7, exec_lo
	s_wait_xcnt 0x0
	s_delay_alu instid0(VALU_DEP_1) | instskip(NEXT) | instid1(VALU_DEP_1)
	v_dual_mov_b32 v4, 0xff :: v_dual_lshrrev_b32 v1, 23, v5
	v_cmpx_ne_u32_e32 0xff, v1
; %bb.1796:
	v_and_b32_e32 v4, 0x400000, v5
	v_and_or_b32 v5, 0x3fffff, v5, v1
	s_delay_alu instid0(VALU_DEP_2) | instskip(NEXT) | instid1(VALU_DEP_2)
	v_cmp_ne_u32_e32 vcc_lo, 0, v4
	v_cmp_ne_u32_e64 s1, 0, v5
	s_and_b32 s1, vcc_lo, s1
	s_delay_alu instid0(SALU_CYCLE_1) | instskip(NEXT) | instid1(VALU_DEP_1)
	v_cndmask_b32_e64 v4, 0, 1, s1
	v_add_nc_u32_e32 v4, v1, v4
; %bb.1797:
	s_or_b32 exec_lo, exec_lo, s7
	s_mov_b32 s1, 0
	s_mov_b32 s7, -1
	global_store_b8 v[2:3], v4, off
.LBB70_1798:
	s_mov_b32 s8, 0
.LBB70_1799:
	s_delay_alu instid0(SALU_CYCLE_1)
	s_and_b32 vcc_lo, exec_lo, s8
	s_cbranch_vccz .LBB70_1802
; %bb.1800:
	s_cmp_eq_u32 s3, 29
	s_mov_b32 s1, -1
	s_cbranch_scc0 .LBB70_1802
; %bb.1801:
	s_mov_b32 s1, 0
	s_wait_xcnt 0x0
	v_cndmask_b32_e64 v4, 0, 1, s0
	v_mov_b32_e32 v5, s1
	s_mov_b32 s7, -1
	global_store_b64 v[2:3], v[4:5], off
.LBB70_1802:
	s_mov_b32 s8, 0
.LBB70_1803:
	s_delay_alu instid0(SALU_CYCLE_1)
	s_and_b32 vcc_lo, exec_lo, s8
	s_cbranch_vccz .LBB70_1819
; %bb.1804:
	s_cmp_lt_i32 s3, 27
	s_mov_b32 s7, -1
	s_cbranch_scc1 .LBB70_1810
; %bb.1805:
	s_cmp_gt_i32 s3, 27
	s_cbranch_scc0 .LBB70_1807
; %bb.1806:
	s_wait_xcnt 0x0
	v_cndmask_b32_e64 v1, 0, 1, s0
	s_mov_b32 s7, 0
	global_store_b32 v[2:3], v1, off
.LBB70_1807:
	s_and_not1_b32 vcc_lo, exec_lo, s7
	s_cbranch_vccnz .LBB70_1809
; %bb.1808:
	s_wait_xcnt 0x0
	v_cndmask_b32_e64 v1, 0, 1, s0
	global_store_b16 v[2:3], v1, off
.LBB70_1809:
	s_mov_b32 s7, 0
.LBB70_1810:
	s_delay_alu instid0(SALU_CYCLE_1)
	s_and_not1_b32 vcc_lo, exec_lo, s7
	s_cbranch_vccnz .LBB70_1818
; %bb.1811:
	s_wait_xcnt 0x0
	v_cndmask_b32_e64 v4, 0, 1.0, s0
	v_mov_b32_e32 v5, 0x80
	s_mov_b32 s7, exec_lo
	s_delay_alu instid0(VALU_DEP_2)
	v_cmpx_gt_u32_e32 0x43800000, v4
	s_cbranch_execz .LBB70_1817
; %bb.1812:
	s_mov_b32 s8, 0
	s_mov_b32 s10, exec_lo
                                        ; implicit-def: $vgpr1
	v_cmpx_lt_u32_e32 0x3bffffff, v4
	s_xor_b32 s10, exec_lo, s10
	s_cbranch_execz .LBB70_2038
; %bb.1813:
	v_bfe_u32 v1, v4, 20, 1
	s_mov_b32 s8, exec_lo
	s_delay_alu instid0(VALU_DEP_1) | instskip(NEXT) | instid1(VALU_DEP_1)
	v_add3_u32 v1, v4, v1, 0x487ffff
                                        ; implicit-def: $vgpr4
	v_lshrrev_b32_e32 v1, 20, v1
	s_and_not1_saveexec_b32 s10, s10
	s_cbranch_execnz .LBB70_2039
.LBB70_1814:
	s_or_b32 exec_lo, exec_lo, s10
	v_mov_b32_e32 v5, 0
	s_and_saveexec_b32 s10, s8
.LBB70_1815:
	v_mov_b32_e32 v5, v1
.LBB70_1816:
	s_or_b32 exec_lo, exec_lo, s10
.LBB70_1817:
	s_delay_alu instid0(SALU_CYCLE_1)
	s_or_b32 exec_lo, exec_lo, s7
	global_store_b8 v[2:3], v5, off
.LBB70_1818:
	s_mov_b32 s7, -1
.LBB70_1819:
	s_mov_b32 s8, 0
.LBB70_1820:
	s_delay_alu instid0(SALU_CYCLE_1)
	s_and_b32 vcc_lo, exec_lo, s8
	s_cbranch_vccz .LBB70_1860
; %bb.1821:
	s_cmp_gt_i32 s3, 22
	s_mov_b32 s6, -1
	s_cbranch_scc0 .LBB70_1853
; %bb.1822:
	s_cmp_lt_i32 s3, 24
	s_cbranch_scc1 .LBB70_1842
; %bb.1823:
	s_cmp_gt_i32 s3, 24
	s_cbranch_scc0 .LBB70_1831
; %bb.1824:
	s_wait_xcnt 0x0
	v_cndmask_b32_e64 v4, 0, 1.0, s0
	v_mov_b32_e32 v5, 0x80
	s_mov_b32 s6, exec_lo
	s_delay_alu instid0(VALU_DEP_2)
	v_cmpx_gt_u32_e32 0x47800000, v4
	s_cbranch_execz .LBB70_1830
; %bb.1825:
	s_mov_b32 s7, 0
	s_mov_b32 s8, exec_lo
                                        ; implicit-def: $vgpr1
	v_cmpx_lt_u32_e32 0x37ffffff, v4
	s_xor_b32 s8, exec_lo, s8
	s_cbranch_execz .LBB70_2041
; %bb.1826:
	v_bfe_u32 v1, v4, 21, 1
	s_mov_b32 s7, exec_lo
	s_delay_alu instid0(VALU_DEP_1) | instskip(NEXT) | instid1(VALU_DEP_1)
	v_add3_u32 v1, v4, v1, 0x88fffff
                                        ; implicit-def: $vgpr4
	v_lshrrev_b32_e32 v1, 21, v1
	s_and_not1_saveexec_b32 s8, s8
	s_cbranch_execnz .LBB70_2042
.LBB70_1827:
	s_or_b32 exec_lo, exec_lo, s8
	v_mov_b32_e32 v5, 0
	s_and_saveexec_b32 s8, s7
.LBB70_1828:
	v_mov_b32_e32 v5, v1
.LBB70_1829:
	s_or_b32 exec_lo, exec_lo, s8
.LBB70_1830:
	s_delay_alu instid0(SALU_CYCLE_1)
	s_or_b32 exec_lo, exec_lo, s6
	s_mov_b32 s6, 0
	global_store_b8 v[2:3], v5, off
.LBB70_1831:
	s_and_b32 vcc_lo, exec_lo, s6
	s_cbranch_vccz .LBB70_1841
; %bb.1832:
	s_wait_xcnt 0x0
	v_cndmask_b32_e64 v4, 0, 1.0, s0
	s_mov_b32 s6, exec_lo
                                        ; implicit-def: $vgpr1
	s_delay_alu instid0(VALU_DEP_1)
	v_cmpx_gt_u32_e32 0x43f00000, v4
	s_xor_b32 s6, exec_lo, s6
	s_cbranch_execz .LBB70_1838
; %bb.1833:
	s_mov_b32 s7, exec_lo
                                        ; implicit-def: $vgpr1
	v_cmpx_lt_u32_e32 0x3c7fffff, v4
	s_xor_b32 s7, exec_lo, s7
; %bb.1834:
	v_bfe_u32 v1, v4, 20, 1
	s_delay_alu instid0(VALU_DEP_1) | instskip(NEXT) | instid1(VALU_DEP_1)
	v_add3_u32 v1, v4, v1, 0x407ffff
	v_and_b32_e32 v4, 0xff00000, v1
	v_lshrrev_b32_e32 v1, 20, v1
	s_delay_alu instid0(VALU_DEP_2) | instskip(NEXT) | instid1(VALU_DEP_2)
	v_cmp_ne_u32_e32 vcc_lo, 0x7f00000, v4
                                        ; implicit-def: $vgpr4
	v_cndmask_b32_e32 v1, 0x7e, v1, vcc_lo
; %bb.1835:
	s_and_not1_saveexec_b32 s7, s7
; %bb.1836:
	v_add_f32_e32 v1, 0x46800000, v4
; %bb.1837:
	s_or_b32 exec_lo, exec_lo, s7
                                        ; implicit-def: $vgpr4
.LBB70_1838:
	s_and_not1_saveexec_b32 s6, s6
; %bb.1839:
	v_mov_b32_e32 v1, 0x7f
	v_cmp_lt_u32_e32 vcc_lo, 0x7f800000, v4
	s_delay_alu instid0(VALU_DEP_2)
	v_cndmask_b32_e32 v1, 0x7e, v1, vcc_lo
; %bb.1840:
	s_or_b32 exec_lo, exec_lo, s6
	global_store_b8 v[2:3], v1, off
.LBB70_1841:
	s_mov_b32 s6, 0
.LBB70_1842:
	s_delay_alu instid0(SALU_CYCLE_1)
	s_and_not1_b32 vcc_lo, exec_lo, s6
	s_cbranch_vccnz .LBB70_1852
; %bb.1843:
	s_wait_xcnt 0x0
	v_cndmask_b32_e64 v4, 0, 1.0, s0
	s_mov_b32 s6, exec_lo
                                        ; implicit-def: $vgpr1
	s_delay_alu instid0(VALU_DEP_1)
	v_cmpx_gt_u32_e32 0x47800000, v4
	s_xor_b32 s6, exec_lo, s6
	s_cbranch_execz .LBB70_1849
; %bb.1844:
	s_mov_b32 s7, exec_lo
                                        ; implicit-def: $vgpr1
	v_cmpx_lt_u32_e32 0x387fffff, v4
	s_xor_b32 s7, exec_lo, s7
; %bb.1845:
	v_bfe_u32 v1, v4, 21, 1
	s_delay_alu instid0(VALU_DEP_1) | instskip(NEXT) | instid1(VALU_DEP_1)
	v_add3_u32 v1, v4, v1, 0x80fffff
                                        ; implicit-def: $vgpr4
	v_lshrrev_b32_e32 v1, 21, v1
; %bb.1846:
	s_and_not1_saveexec_b32 s7, s7
; %bb.1847:
	v_add_f32_e32 v1, 0x43000000, v4
; %bb.1848:
	s_or_b32 exec_lo, exec_lo, s7
                                        ; implicit-def: $vgpr4
.LBB70_1849:
	s_and_not1_saveexec_b32 s6, s6
; %bb.1850:
	v_mov_b32_e32 v1, 0x7f
	v_cmp_lt_u32_e32 vcc_lo, 0x7f800000, v4
	s_delay_alu instid0(VALU_DEP_2)
	v_cndmask_b32_e32 v1, 0x7c, v1, vcc_lo
; %bb.1851:
	s_or_b32 exec_lo, exec_lo, s6
	global_store_b8 v[2:3], v1, off
.LBB70_1852:
	s_mov_b32 s6, 0
	s_mov_b32 s7, -1
.LBB70_1853:
	s_and_not1_b32 vcc_lo, exec_lo, s6
	s_mov_b32 s6, 0
	s_cbranch_vccnz .LBB70_1860
; %bb.1854:
	s_cmp_gt_i32 s3, 14
	s_mov_b32 s6, -1
	s_cbranch_scc0 .LBB70_1858
; %bb.1855:
	s_cmp_eq_u32 s3, 15
	s_mov_b32 s1, -1
	s_cbranch_scc0 .LBB70_1857
; %bb.1856:
	s_wait_xcnt 0x0
	v_cndmask_b32_e64 v1, 0, 1.0, s0
	s_mov_b32 s1, 0
	s_mov_b32 s7, -1
	s_delay_alu instid0(VALU_DEP_1) | instskip(NEXT) | instid1(VALU_DEP_1)
	v_bfe_u32 v4, v1, 16, 1
	v_add3_u32 v1, v1, v4, 0x7fff
	global_store_d16_hi_b16 v[2:3], v1, off
.LBB70_1857:
	s_mov_b32 s6, 0
.LBB70_1858:
	s_delay_alu instid0(SALU_CYCLE_1)
	s_and_b32 vcc_lo, exec_lo, s6
	s_mov_b32 s6, 0
	s_cbranch_vccz .LBB70_1860
; %bb.1859:
	s_cmp_lg_u32 s3, 11
	s_mov_b32 s6, -1
	s_cselect_b32 s1, -1, 0
.LBB70_1860:
	s_delay_alu instid0(SALU_CYCLE_1)
	s_and_b32 vcc_lo, exec_lo, s1
	s_cbranch_vccnz .LBB70_2040
; %bb.1861:
	s_and_not1_b32 vcc_lo, exec_lo, s6
	s_cbranch_vccnz .LBB70_1863
.LBB70_1862:
	s_wait_xcnt 0x0
	v_cndmask_b32_e64 v1, 0, 1, s0
	s_mov_b32 s7, -1
	global_store_b8 v[2:3], v1, off
.LBB70_1863:
	s_mov_b32 s1, 0
	s_branch .LBB70_1865
.LBB70_1864:
	s_mov_b32 s1, -1
	s_mov_b32 s7, 0
.LBB70_1865:
	s_and_b32 vcc_lo, exec_lo, s1
	s_cbranch_vccz .LBB70_1904
; %bb.1866:
	s_and_b32 s1, 0xffff, s13
	s_mov_b32 s3, -1
	s_cmp_lt_i32 s1, 5
	s_cbranch_scc1 .LBB70_1887
; %bb.1867:
	s_cmp_lt_i32 s1, 8
	s_cbranch_scc1 .LBB70_1877
; %bb.1868:
	;; [unrolled: 3-line block ×3, first 2 shown]
	s_cmp_gt_i32 s1, 9
	s_cbranch_scc0 .LBB70_1871
; %bb.1870:
	s_wait_xcnt 0x0
	v_cndmask_b32_e64 v1, 0, 1, s0
	v_mov_b32_e32 v10, 0
	s_mov_b32 s3, 0
	s_delay_alu instid0(VALU_DEP_2) | instskip(NEXT) | instid1(VALU_DEP_2)
	v_cvt_f64_u32_e32 v[8:9], v1
	v_mov_b32_e32 v11, v10
	global_store_b128 v[2:3], v[8:11], off
.LBB70_1871:
	s_and_not1_b32 vcc_lo, exec_lo, s3
	s_cbranch_vccnz .LBB70_1873
; %bb.1872:
	s_wait_xcnt 0x0
	v_cndmask_b32_e64 v4, 0, 1.0, s0
	v_mov_b32_e32 v5, 0
	global_store_b64 v[2:3], v[4:5], off
.LBB70_1873:
	s_mov_b32 s3, 0
.LBB70_1874:
	s_delay_alu instid0(SALU_CYCLE_1)
	s_and_not1_b32 vcc_lo, exec_lo, s3
	s_cbranch_vccnz .LBB70_1876
; %bb.1875:
	s_wait_xcnt 0x0
	v_cndmask_b32_e64 v1, 0, 1.0, s0
	s_delay_alu instid0(VALU_DEP_1) | instskip(NEXT) | instid1(VALU_DEP_1)
	v_cvt_f16_f32_e32 v1, v1
	v_and_b32_e32 v1, 0xffff, v1
	global_store_b32 v[2:3], v1, off
.LBB70_1876:
	s_mov_b32 s3, 0
.LBB70_1877:
	s_delay_alu instid0(SALU_CYCLE_1)
	s_and_not1_b32 vcc_lo, exec_lo, s3
	s_cbranch_vccnz .LBB70_1886
; %bb.1878:
	s_cmp_lt_i32 s1, 6
	s_mov_b32 s3, -1
	s_cbranch_scc1 .LBB70_1884
; %bb.1879:
	s_cmp_gt_i32 s1, 6
	s_cbranch_scc0 .LBB70_1881
; %bb.1880:
	s_wait_xcnt 0x0
	v_cndmask_b32_e64 v1, 0, 1, s0
	s_mov_b32 s3, 0
	s_delay_alu instid0(VALU_DEP_1)
	v_cvt_f64_u32_e32 v[4:5], v1
	global_store_b64 v[2:3], v[4:5], off
.LBB70_1881:
	s_and_not1_b32 vcc_lo, exec_lo, s3
	s_cbranch_vccnz .LBB70_1883
; %bb.1882:
	s_wait_xcnt 0x0
	v_cndmask_b32_e64 v1, 0, 1.0, s0
	global_store_b32 v[2:3], v1, off
.LBB70_1883:
	s_mov_b32 s3, 0
.LBB70_1884:
	s_delay_alu instid0(SALU_CYCLE_1)
	s_and_not1_b32 vcc_lo, exec_lo, s3
	s_cbranch_vccnz .LBB70_1886
; %bb.1885:
	s_wait_xcnt 0x0
	v_cndmask_b32_e64 v1, 0, 1.0, s0
	s_delay_alu instid0(VALU_DEP_1)
	v_cvt_f16_f32_e32 v1, v1
	global_store_b16 v[2:3], v1, off
.LBB70_1886:
	s_mov_b32 s3, 0
.LBB70_1887:
	s_delay_alu instid0(SALU_CYCLE_1)
	s_and_not1_b32 vcc_lo, exec_lo, s3
	s_cbranch_vccnz .LBB70_1903
; %bb.1888:
	s_cmp_lt_i32 s1, 2
	s_mov_b32 s3, -1
	s_cbranch_scc1 .LBB70_1898
; %bb.1889:
	s_cmp_lt_i32 s1, 3
	s_cbranch_scc1 .LBB70_1895
; %bb.1890:
	s_cmp_gt_i32 s1, 3
	s_cbranch_scc0 .LBB70_1892
; %bb.1891:
	s_mov_b32 s3, 0
	s_wait_xcnt 0x0
	v_cndmask_b32_e64 v4, 0, 1, s0
	v_mov_b32_e32 v5, s3
	global_store_b64 v[2:3], v[4:5], off
.LBB70_1892:
	s_and_not1_b32 vcc_lo, exec_lo, s3
	s_cbranch_vccnz .LBB70_1894
; %bb.1893:
	s_wait_xcnt 0x0
	v_cndmask_b32_e64 v1, 0, 1, s0
	global_store_b32 v[2:3], v1, off
.LBB70_1894:
	s_mov_b32 s3, 0
.LBB70_1895:
	s_delay_alu instid0(SALU_CYCLE_1)
	s_and_not1_b32 vcc_lo, exec_lo, s3
	s_cbranch_vccnz .LBB70_1897
; %bb.1896:
	s_wait_xcnt 0x0
	v_cndmask_b32_e64 v1, 0, 1, s0
	global_store_b16 v[2:3], v1, off
.LBB70_1897:
	s_mov_b32 s3, 0
.LBB70_1898:
	s_delay_alu instid0(SALU_CYCLE_1)
	s_and_not1_b32 vcc_lo, exec_lo, s3
	s_cbranch_vccnz .LBB70_1903
; %bb.1899:
	s_wait_xcnt 0x0
	v_cndmask_b32_e64 v1, 0, 1, s0
	s_cmp_gt_i32 s1, 0
	s_mov_b32 s0, -1
	s_cbranch_scc0 .LBB70_1901
; %bb.1900:
	s_mov_b32 s0, 0
	global_store_b8 v[2:3], v1, off
.LBB70_1901:
	s_and_not1_b32 vcc_lo, exec_lo, s0
	s_cbranch_vccnz .LBB70_1903
; %bb.1902:
	global_store_b8 v[2:3], v1, off
.LBB70_1903:
	s_mov_b32 s7, -1
.LBB70_1904:
	s_delay_alu instid0(SALU_CYCLE_1)
	s_and_not1_b32 vcc_lo, exec_lo, s7
	s_cbranch_vccnz .LBB70_1981
; %bb.1905:
	v_cmp_eq_f64_e64 s1, 0xfff00000, v[6:7]
	v_add_nc_u32_e32 v0, s2, v0
	s_cmp_lt_i32 s13, 11
	s_wait_xcnt 0x0
	s_delay_alu instid0(VALU_DEP_1) | instskip(NEXT) | instid1(VALU_DEP_1)
	v_ashrrev_i32_e32 v1, 31, v0
	v_add_nc_u64_e32 v[0:1], s[4:5], v[0:1]
	s_cbranch_scc1 .LBB70_2026
; %bb.1906:
	s_and_b32 s2, 0xffff, s13
	s_mov_b32 s4, -1
	s_mov_b32 s3, 0
	s_cmp_gt_i32 s2, 25
	s_mov_b32 s0, 0
	s_cbranch_scc0 .LBB70_1939
; %bb.1907:
	s_cmp_gt_i32 s2, 28
	s_cbranch_scc0 .LBB70_1923
; %bb.1908:
	s_cmp_gt_i32 s2, 43
	;; [unrolled: 3-line block ×3, first 2 shown]
	s_cbranch_scc0 .LBB70_1913
; %bb.1910:
	s_cmp_eq_u32 s2, 46
	s_mov_b32 s0, -1
	s_cbranch_scc0 .LBB70_1912
; %bb.1911:
	v_cndmask_b32_e64 v2, 0, 1.0, s1
	s_mov_b32 s0, 0
	s_delay_alu instid0(VALU_DEP_1) | instskip(NEXT) | instid1(VALU_DEP_1)
	v_bfe_u32 v3, v2, 16, 1
	v_add3_u32 v2, v2, v3, 0x7fff
	s_delay_alu instid0(VALU_DEP_1)
	v_lshrrev_b32_e32 v2, 16, v2
	global_store_b32 v[0:1], v2, off
.LBB70_1912:
	s_mov_b32 s4, 0
.LBB70_1913:
	s_delay_alu instid0(SALU_CYCLE_1)
	s_and_b32 vcc_lo, exec_lo, s4
	s_cbranch_vccz .LBB70_1918
; %bb.1914:
	s_cmp_eq_u32 s2, 44
	s_mov_b32 s0, -1
	s_cbranch_scc0 .LBB70_1918
; %bb.1915:
	v_cndmask_b32_e64 v4, 0, 1.0, s1
	s_mov_b32 s4, exec_lo
	s_wait_xcnt 0x0
	s_delay_alu instid0(VALU_DEP_1) | instskip(NEXT) | instid1(VALU_DEP_1)
	v_dual_mov_b32 v3, 0xff :: v_dual_lshrrev_b32 v2, 23, v4
	v_cmpx_ne_u32_e32 0xff, v2
; %bb.1916:
	v_and_b32_e32 v3, 0x400000, v4
	v_and_or_b32 v4, 0x3fffff, v4, v2
	s_delay_alu instid0(VALU_DEP_2) | instskip(NEXT) | instid1(VALU_DEP_2)
	v_cmp_ne_u32_e32 vcc_lo, 0, v3
	v_cmp_ne_u32_e64 s0, 0, v4
	s_and_b32 s0, vcc_lo, s0
	s_delay_alu instid0(SALU_CYCLE_1) | instskip(NEXT) | instid1(VALU_DEP_1)
	v_cndmask_b32_e64 v3, 0, 1, s0
	v_add_nc_u32_e32 v3, v2, v3
; %bb.1917:
	s_or_b32 exec_lo, exec_lo, s4
	s_mov_b32 s0, 0
	global_store_b8 v[0:1], v3, off
.LBB70_1918:
	s_mov_b32 s4, 0
.LBB70_1919:
	s_delay_alu instid0(SALU_CYCLE_1)
	s_and_b32 vcc_lo, exec_lo, s4
	s_cbranch_vccz .LBB70_1922
; %bb.1920:
	s_cmp_eq_u32 s2, 29
	s_mov_b32 s0, -1
	s_cbranch_scc0 .LBB70_1922
; %bb.1921:
	s_mov_b32 s0, 0
	s_wait_xcnt 0x0
	v_cndmask_b32_e64 v2, 0, 1, s1
	v_mov_b32_e32 v3, s0
	global_store_b64 v[0:1], v[2:3], off
.LBB70_1922:
	s_mov_b32 s4, 0
.LBB70_1923:
	s_delay_alu instid0(SALU_CYCLE_1)
	s_and_b32 vcc_lo, exec_lo, s4
	s_cbranch_vccz .LBB70_1938
; %bb.1924:
	s_cmp_lt_i32 s2, 27
	s_mov_b32 s4, -1
	s_cbranch_scc1 .LBB70_1930
; %bb.1925:
	s_wait_xcnt 0x0
	v_cndmask_b32_e64 v2, 0, 1, s1
	s_cmp_gt_i32 s2, 27
	s_cbranch_scc0 .LBB70_1927
; %bb.1926:
	s_mov_b32 s4, 0
	global_store_b32 v[0:1], v2, off
.LBB70_1927:
	s_and_not1_b32 vcc_lo, exec_lo, s4
	s_cbranch_vccnz .LBB70_1929
; %bb.1928:
	global_store_b16 v[0:1], v2, off
.LBB70_1929:
	s_mov_b32 s4, 0
.LBB70_1930:
	s_delay_alu instid0(SALU_CYCLE_1)
	s_and_not1_b32 vcc_lo, exec_lo, s4
	s_cbranch_vccnz .LBB70_1938
; %bb.1931:
	s_wait_xcnt 0x0
	v_cndmask_b32_e64 v3, 0, 1.0, s1
	v_mov_b32_e32 v4, 0x80
	s_mov_b32 s4, exec_lo
	s_delay_alu instid0(VALU_DEP_2)
	v_cmpx_gt_u32_e32 0x43800000, v3
	s_cbranch_execz .LBB70_1937
; %bb.1932:
	s_mov_b32 s5, 0
	s_mov_b32 s6, exec_lo
                                        ; implicit-def: $vgpr2
	v_cmpx_lt_u32_e32 0x3bffffff, v3
	s_xor_b32 s6, exec_lo, s6
	s_cbranch_execz .LBB70_2043
; %bb.1933:
	v_bfe_u32 v2, v3, 20, 1
	s_mov_b32 s5, exec_lo
	s_delay_alu instid0(VALU_DEP_1) | instskip(NEXT) | instid1(VALU_DEP_1)
	v_add3_u32 v2, v3, v2, 0x487ffff
                                        ; implicit-def: $vgpr3
	v_lshrrev_b32_e32 v2, 20, v2
	s_and_not1_saveexec_b32 s6, s6
	s_cbranch_execnz .LBB70_2044
.LBB70_1934:
	s_or_b32 exec_lo, exec_lo, s6
	v_mov_b32_e32 v4, 0
	s_and_saveexec_b32 s6, s5
.LBB70_1935:
	v_mov_b32_e32 v4, v2
.LBB70_1936:
	s_or_b32 exec_lo, exec_lo, s6
.LBB70_1937:
	s_delay_alu instid0(SALU_CYCLE_1)
	s_or_b32 exec_lo, exec_lo, s4
	global_store_b8 v[0:1], v4, off
.LBB70_1938:
	s_mov_b32 s4, 0
.LBB70_1939:
	s_delay_alu instid0(SALU_CYCLE_1)
	s_and_b32 vcc_lo, exec_lo, s4
	s_cbranch_vccz .LBB70_1979
; %bb.1940:
	s_cmp_gt_i32 s2, 22
	s_mov_b32 s3, -1
	s_cbranch_scc0 .LBB70_1972
; %bb.1941:
	s_cmp_lt_i32 s2, 24
	s_cbranch_scc1 .LBB70_1961
; %bb.1942:
	s_cmp_gt_i32 s2, 24
	s_cbranch_scc0 .LBB70_1950
; %bb.1943:
	s_wait_xcnt 0x0
	v_cndmask_b32_e64 v3, 0, 1.0, s1
	v_mov_b32_e32 v4, 0x80
	s_mov_b32 s3, exec_lo
	s_delay_alu instid0(VALU_DEP_2)
	v_cmpx_gt_u32_e32 0x47800000, v3
	s_cbranch_execz .LBB70_1949
; %bb.1944:
	s_mov_b32 s4, 0
	s_mov_b32 s5, exec_lo
                                        ; implicit-def: $vgpr2
	v_cmpx_lt_u32_e32 0x37ffffff, v3
	s_xor_b32 s5, exec_lo, s5
	s_cbranch_execz .LBB70_2046
; %bb.1945:
	v_bfe_u32 v2, v3, 21, 1
	s_mov_b32 s4, exec_lo
	s_delay_alu instid0(VALU_DEP_1) | instskip(NEXT) | instid1(VALU_DEP_1)
	v_add3_u32 v2, v3, v2, 0x88fffff
                                        ; implicit-def: $vgpr3
	v_lshrrev_b32_e32 v2, 21, v2
	s_and_not1_saveexec_b32 s5, s5
	s_cbranch_execnz .LBB70_2047
.LBB70_1946:
	s_or_b32 exec_lo, exec_lo, s5
	v_mov_b32_e32 v4, 0
	s_and_saveexec_b32 s5, s4
.LBB70_1947:
	v_mov_b32_e32 v4, v2
.LBB70_1948:
	s_or_b32 exec_lo, exec_lo, s5
.LBB70_1949:
	s_delay_alu instid0(SALU_CYCLE_1)
	s_or_b32 exec_lo, exec_lo, s3
	s_mov_b32 s3, 0
	global_store_b8 v[0:1], v4, off
.LBB70_1950:
	s_and_b32 vcc_lo, exec_lo, s3
	s_cbranch_vccz .LBB70_1960
; %bb.1951:
	s_wait_xcnt 0x0
	v_cndmask_b32_e64 v3, 0, 1.0, s1
	s_mov_b32 s3, exec_lo
                                        ; implicit-def: $vgpr2
	s_delay_alu instid0(VALU_DEP_1)
	v_cmpx_gt_u32_e32 0x43f00000, v3
	s_xor_b32 s3, exec_lo, s3
	s_cbranch_execz .LBB70_1957
; %bb.1952:
	s_mov_b32 s4, exec_lo
                                        ; implicit-def: $vgpr2
	v_cmpx_lt_u32_e32 0x3c7fffff, v3
	s_xor_b32 s4, exec_lo, s4
; %bb.1953:
	v_bfe_u32 v2, v3, 20, 1
	s_delay_alu instid0(VALU_DEP_1) | instskip(NEXT) | instid1(VALU_DEP_1)
	v_add3_u32 v2, v3, v2, 0x407ffff
	v_and_b32_e32 v3, 0xff00000, v2
	v_lshrrev_b32_e32 v2, 20, v2
	s_delay_alu instid0(VALU_DEP_2) | instskip(NEXT) | instid1(VALU_DEP_2)
	v_cmp_ne_u32_e32 vcc_lo, 0x7f00000, v3
                                        ; implicit-def: $vgpr3
	v_cndmask_b32_e32 v2, 0x7e, v2, vcc_lo
; %bb.1954:
	s_and_not1_saveexec_b32 s4, s4
; %bb.1955:
	v_add_f32_e32 v2, 0x46800000, v3
; %bb.1956:
	s_or_b32 exec_lo, exec_lo, s4
                                        ; implicit-def: $vgpr3
.LBB70_1957:
	s_and_not1_saveexec_b32 s3, s3
; %bb.1958:
	v_mov_b32_e32 v2, 0x7f
	v_cmp_lt_u32_e32 vcc_lo, 0x7f800000, v3
	s_delay_alu instid0(VALU_DEP_2)
	v_cndmask_b32_e32 v2, 0x7e, v2, vcc_lo
; %bb.1959:
	s_or_b32 exec_lo, exec_lo, s3
	global_store_b8 v[0:1], v2, off
.LBB70_1960:
	s_mov_b32 s3, 0
.LBB70_1961:
	s_delay_alu instid0(SALU_CYCLE_1)
	s_and_not1_b32 vcc_lo, exec_lo, s3
	s_cbranch_vccnz .LBB70_1971
; %bb.1962:
	s_wait_xcnt 0x0
	v_cndmask_b32_e64 v3, 0, 1.0, s1
	s_mov_b32 s3, exec_lo
                                        ; implicit-def: $vgpr2
	s_delay_alu instid0(VALU_DEP_1)
	v_cmpx_gt_u32_e32 0x47800000, v3
	s_xor_b32 s3, exec_lo, s3
	s_cbranch_execz .LBB70_1968
; %bb.1963:
	s_mov_b32 s4, exec_lo
                                        ; implicit-def: $vgpr2
	v_cmpx_lt_u32_e32 0x387fffff, v3
	s_xor_b32 s4, exec_lo, s4
; %bb.1964:
	v_bfe_u32 v2, v3, 21, 1
	s_delay_alu instid0(VALU_DEP_1) | instskip(NEXT) | instid1(VALU_DEP_1)
	v_add3_u32 v2, v3, v2, 0x80fffff
                                        ; implicit-def: $vgpr3
	v_lshrrev_b32_e32 v2, 21, v2
; %bb.1965:
	s_and_not1_saveexec_b32 s4, s4
; %bb.1966:
	v_add_f32_e32 v2, 0x43000000, v3
; %bb.1967:
	s_or_b32 exec_lo, exec_lo, s4
                                        ; implicit-def: $vgpr3
.LBB70_1968:
	s_and_not1_saveexec_b32 s3, s3
; %bb.1969:
	v_mov_b32_e32 v2, 0x7f
	v_cmp_lt_u32_e32 vcc_lo, 0x7f800000, v3
	s_delay_alu instid0(VALU_DEP_2)
	v_cndmask_b32_e32 v2, 0x7c, v2, vcc_lo
; %bb.1970:
	s_or_b32 exec_lo, exec_lo, s3
	global_store_b8 v[0:1], v2, off
.LBB70_1971:
	s_mov_b32 s3, 0
.LBB70_1972:
	s_delay_alu instid0(SALU_CYCLE_1)
	s_and_not1_b32 vcc_lo, exec_lo, s3
	s_mov_b32 s3, 0
	s_cbranch_vccnz .LBB70_1979
; %bb.1973:
	s_cmp_gt_i32 s2, 14
	s_mov_b32 s3, -1
	s_cbranch_scc0 .LBB70_1977
; %bb.1974:
	s_cmp_eq_u32 s2, 15
	s_mov_b32 s0, -1
	s_cbranch_scc0 .LBB70_1976
; %bb.1975:
	s_wait_xcnt 0x0
	v_cndmask_b32_e64 v2, 0, 1.0, s1
	s_mov_b32 s0, 0
	s_delay_alu instid0(VALU_DEP_1) | instskip(NEXT) | instid1(VALU_DEP_1)
	v_bfe_u32 v3, v2, 16, 1
	v_add3_u32 v2, v2, v3, 0x7fff
	global_store_d16_hi_b16 v[0:1], v2, off
.LBB70_1976:
	s_mov_b32 s3, 0
.LBB70_1977:
	s_delay_alu instid0(SALU_CYCLE_1)
	s_and_b32 vcc_lo, exec_lo, s3
	s_mov_b32 s3, 0
	s_cbranch_vccz .LBB70_1979
; %bb.1978:
	s_cmp_lg_u32 s2, 11
	s_mov_b32 s3, -1
	s_cselect_b32 s0, -1, 0
.LBB70_1979:
	s_delay_alu instid0(SALU_CYCLE_1)
	s_and_b32 vcc_lo, exec_lo, s0
	s_cbranch_vccnz .LBB70_2045
.LBB70_1980:
	s_mov_b32 s0, 0
	s_branch .LBB70_1982
.LBB70_1981:
	s_mov_b32 s0, 0
	s_mov_b32 s3, 0
                                        ; implicit-def: $sgpr1
                                        ; implicit-def: $sgpr13
                                        ; implicit-def: $vgpr0_vgpr1
.LBB70_1982:
	s_and_not1_b32 s2, s12, exec_lo
	s_and_b32 s4, s9, exec_lo
	s_and_b32 s0, s0, exec_lo
	;; [unrolled: 1-line block ×3, first 2 shown]
	s_or_b32 s12, s2, s4
.LBB70_1983:
	s_wait_xcnt 0x0
	s_or_b32 exec_lo, exec_lo, s11
	s_and_saveexec_b32 s2, s12
	s_cbranch_execz .LBB70_1986
; %bb.1984:
	; divergent unreachable
	s_or_b32 exec_lo, exec_lo, s2
	s_and_saveexec_b32 s2, s9
	s_delay_alu instid0(SALU_CYCLE_1)
	s_xor_b32 s2, exec_lo, s2
	s_cbranch_execnz .LBB70_1987
.LBB70_1985:
	s_or_b32 exec_lo, exec_lo, s2
	s_and_saveexec_b32 s2, s0
	s_cbranch_execnz .LBB70_1988
	s_branch .LBB70_2025
.LBB70_1986:
	s_or_b32 exec_lo, exec_lo, s2
	s_and_saveexec_b32 s2, s9
	s_delay_alu instid0(SALU_CYCLE_1)
	s_xor_b32 s2, exec_lo, s2
	s_cbranch_execz .LBB70_1985
.LBB70_1987:
	s_wait_loadcnt 0x0
	v_cndmask_b32_e64 v2, 0, 1, s1
	global_store_b8 v[0:1], v2, off
	s_wait_xcnt 0x0
	s_or_b32 exec_lo, exec_lo, s2
	s_and_saveexec_b32 s2, s0
	s_cbranch_execz .LBB70_2025
.LBB70_1988:
	s_sext_i32_i16 s2, s13
	s_mov_b32 s0, -1
	s_cmp_lt_i32 s2, 5
	s_cbranch_scc1 .LBB70_2009
; %bb.1989:
	s_cmp_lt_i32 s2, 8
	s_cbranch_scc1 .LBB70_1999
; %bb.1990:
	;; [unrolled: 3-line block ×3, first 2 shown]
	s_cmp_gt_i32 s2, 9
	s_cbranch_scc0 .LBB70_1993
; %bb.1992:
	s_wait_loadcnt 0x0
	v_cndmask_b32_e64 v2, 0, 1, s1
	v_mov_b32_e32 v4, 0
	s_mov_b32 s0, 0
	s_delay_alu instid0(VALU_DEP_2) | instskip(NEXT) | instid1(VALU_DEP_2)
	v_cvt_f64_u32_e32 v[2:3], v2
	v_mov_b32_e32 v5, v4
	global_store_b128 v[0:1], v[2:5], off
.LBB70_1993:
	s_and_not1_b32 vcc_lo, exec_lo, s0
	s_cbranch_vccnz .LBB70_1995
; %bb.1994:
	s_wait_loadcnt 0x0
	v_cndmask_b32_e64 v2, 0, 1.0, s1
	v_mov_b32_e32 v3, 0
	global_store_b64 v[0:1], v[2:3], off
.LBB70_1995:
	s_mov_b32 s0, 0
.LBB70_1996:
	s_delay_alu instid0(SALU_CYCLE_1)
	s_and_not1_b32 vcc_lo, exec_lo, s0
	s_cbranch_vccnz .LBB70_1998
; %bb.1997:
	s_wait_loadcnt 0x0
	v_cndmask_b32_e64 v2, 0, 1.0, s1
	s_delay_alu instid0(VALU_DEP_1) | instskip(NEXT) | instid1(VALU_DEP_1)
	v_cvt_f16_f32_e32 v2, v2
	v_and_b32_e32 v2, 0xffff, v2
	global_store_b32 v[0:1], v2, off
.LBB70_1998:
	s_mov_b32 s0, 0
.LBB70_1999:
	s_delay_alu instid0(SALU_CYCLE_1)
	s_and_not1_b32 vcc_lo, exec_lo, s0
	s_cbranch_vccnz .LBB70_2008
; %bb.2000:
	s_sext_i32_i16 s2, s13
	s_mov_b32 s0, -1
	s_cmp_lt_i32 s2, 6
	s_cbranch_scc1 .LBB70_2006
; %bb.2001:
	s_cmp_gt_i32 s2, 6
	s_cbranch_scc0 .LBB70_2003
; %bb.2002:
	s_wait_loadcnt 0x0
	v_cndmask_b32_e64 v2, 0, 1, s1
	s_mov_b32 s0, 0
	s_delay_alu instid0(VALU_DEP_1)
	v_cvt_f64_u32_e32 v[2:3], v2
	global_store_b64 v[0:1], v[2:3], off
.LBB70_2003:
	s_and_not1_b32 vcc_lo, exec_lo, s0
	s_cbranch_vccnz .LBB70_2005
; %bb.2004:
	s_wait_loadcnt 0x0
	v_cndmask_b32_e64 v2, 0, 1.0, s1
	global_store_b32 v[0:1], v2, off
.LBB70_2005:
	s_mov_b32 s0, 0
.LBB70_2006:
	s_delay_alu instid0(SALU_CYCLE_1)
	s_and_not1_b32 vcc_lo, exec_lo, s0
	s_cbranch_vccnz .LBB70_2008
; %bb.2007:
	s_wait_loadcnt 0x0
	v_cndmask_b32_e64 v2, 0, 1.0, s1
	s_delay_alu instid0(VALU_DEP_1)
	v_cvt_f16_f32_e32 v2, v2
	global_store_b16 v[0:1], v2, off
.LBB70_2008:
	s_mov_b32 s0, 0
.LBB70_2009:
	s_delay_alu instid0(SALU_CYCLE_1)
	s_and_not1_b32 vcc_lo, exec_lo, s0
	s_cbranch_vccnz .LBB70_2025
; %bb.2010:
	s_sext_i32_i16 s2, s13
	s_mov_b32 s0, -1
	s_cmp_lt_i32 s2, 2
	s_cbranch_scc1 .LBB70_2020
; %bb.2011:
	s_cmp_lt_i32 s2, 3
	s_cbranch_scc1 .LBB70_2017
; %bb.2012:
	s_cmp_gt_i32 s2, 3
	s_cbranch_scc0 .LBB70_2014
; %bb.2013:
	s_mov_b32 s0, 0
	s_wait_loadcnt 0x0
	v_cndmask_b32_e64 v2, 0, 1, s1
	v_mov_b32_e32 v3, s0
	global_store_b64 v[0:1], v[2:3], off
.LBB70_2014:
	s_and_not1_b32 vcc_lo, exec_lo, s0
	s_cbranch_vccnz .LBB70_2016
; %bb.2015:
	s_wait_loadcnt 0x0
	v_cndmask_b32_e64 v2, 0, 1, s1
	global_store_b32 v[0:1], v2, off
.LBB70_2016:
	s_mov_b32 s0, 0
.LBB70_2017:
	s_delay_alu instid0(SALU_CYCLE_1)
	s_and_not1_b32 vcc_lo, exec_lo, s0
	s_cbranch_vccnz .LBB70_2019
; %bb.2018:
	s_wait_loadcnt 0x0
	v_cndmask_b32_e64 v2, 0, 1, s1
	global_store_b16 v[0:1], v2, off
.LBB70_2019:
	s_mov_b32 s0, 0
.LBB70_2020:
	s_delay_alu instid0(SALU_CYCLE_1)
	s_and_not1_b32 vcc_lo, exec_lo, s0
	s_cbranch_vccnz .LBB70_2025
; %bb.2021:
	s_wait_loadcnt 0x0
	v_cndmask_b32_e64 v2, 0, 1, s1
	s_sext_i32_i16 s0, s13
	s_delay_alu instid0(SALU_CYCLE_1)
	s_cmp_gt_i32 s0, 0
	s_mov_b32 s0, -1
	s_cbranch_scc0 .LBB70_2023
; %bb.2022:
	s_mov_b32 s0, 0
	global_store_b8 v[0:1], v2, off
.LBB70_2023:
	s_and_not1_b32 vcc_lo, exec_lo, s0
	s_cbranch_vccnz .LBB70_2025
; %bb.2024:
	global_store_b8 v[0:1], v2, off
	s_endpgm
.LBB70_2025:
	s_endpgm
.LBB70_2026:
	s_mov_b32 s3, 0
	s_mov_b32 s0, -1
	s_branch .LBB70_1982
.LBB70_2027:
	s_or_b32 s9, s9, exec_lo
	s_trap 2
	s_cbranch_execz .LBB70_1496
	s_branch .LBB70_1497
.LBB70_2028:
	s_and_not1_saveexec_b32 s10, s10
	s_cbranch_execz .LBB70_1576
.LBB70_2029:
	v_add_f32_e32 v1, 0x46000000, v10
	s_and_not1_b32 s8, s8, exec_lo
	s_delay_alu instid0(VALU_DEP_1) | instskip(NEXT) | instid1(VALU_DEP_1)
	v_and_b32_e32 v1, 0xff, v1
	v_cmp_ne_u32_e32 vcc_lo, 0, v1
	s_and_b32 s14, vcc_lo, exec_lo
	s_delay_alu instid0(SALU_CYCLE_1)
	s_or_b32 s8, s8, s14
	s_or_b32 exec_lo, exec_lo, s10
	v_mov_b32_e32 v11, 0
	s_and_saveexec_b32 s10, s8
	s_cbranch_execnz .LBB70_1577
	s_branch .LBB70_1578
.LBB70_2030:
	s_or_b32 s9, s9, exec_lo
	s_trap 2
	s_cbranch_execz .LBB70_1624
	s_branch .LBB70_1625
.LBB70_2031:
	s_and_not1_saveexec_b32 s8, s8
	s_cbranch_execz .LBB70_1589
.LBB70_2032:
	v_add_f32_e32 v1, 0x42800000, v10
	s_and_not1_b32 s7, s7, exec_lo
	s_delay_alu instid0(VALU_DEP_1) | instskip(NEXT) | instid1(VALU_DEP_1)
	v_and_b32_e32 v1, 0xff, v1
	v_cmp_ne_u32_e32 vcc_lo, 0, v1
	s_and_b32 s10, vcc_lo, exec_lo
	s_delay_alu instid0(SALU_CYCLE_1)
	s_or_b32 s7, s7, s10
	s_or_b32 exec_lo, exec_lo, s8
	v_mov_b32_e32 v11, 0
	s_and_saveexec_b32 s8, s7
	s_cbranch_execnz .LBB70_1590
	s_branch .LBB70_1591
.LBB70_2033:
	s_and_not1_saveexec_b32 s10, s10
	s_cbranch_execz .LBB70_1695
.LBB70_2034:
	v_add_f32_e32 v1, 0x46000000, v8
	s_and_not1_b32 s8, s8, exec_lo
	s_delay_alu instid0(VALU_DEP_1) | instskip(NEXT) | instid1(VALU_DEP_1)
	v_and_b32_e32 v1, 0xff, v1
	v_cmp_ne_u32_e32 vcc_lo, 0, v1
	s_and_b32 s14, vcc_lo, exec_lo
	s_delay_alu instid0(SALU_CYCLE_1)
	s_or_b32 s8, s8, s14
	s_or_b32 exec_lo, exec_lo, s10
	v_mov_b32_e32 v9, 0
	s_and_saveexec_b32 s10, s8
	s_cbranch_execnz .LBB70_1696
	s_branch .LBB70_1697
.LBB70_2035:
	s_or_b32 s9, s9, exec_lo
	s_trap 2
	s_cbranch_execz .LBB70_1743
	s_branch .LBB70_1744
.LBB70_2036:
	s_and_not1_saveexec_b32 s8, s8
	s_cbranch_execz .LBB70_1708
.LBB70_2037:
	v_add_f32_e32 v1, 0x42800000, v8
	s_and_not1_b32 s7, s7, exec_lo
	s_delay_alu instid0(VALU_DEP_1) | instskip(NEXT) | instid1(VALU_DEP_1)
	v_and_b32_e32 v1, 0xff, v1
	v_cmp_ne_u32_e32 vcc_lo, 0, v1
	s_and_b32 s10, vcc_lo, exec_lo
	s_delay_alu instid0(SALU_CYCLE_1)
	s_or_b32 s7, s7, s10
	s_or_b32 exec_lo, exec_lo, s8
	v_mov_b32_e32 v9, 0
	s_and_saveexec_b32 s8, s7
	s_cbranch_execnz .LBB70_1709
	s_branch .LBB70_1710
.LBB70_2038:
	s_and_not1_saveexec_b32 s10, s10
	s_cbranch_execz .LBB70_1814
.LBB70_2039:
	v_add_f32_e32 v1, 0x46000000, v4
	s_and_not1_b32 s8, s8, exec_lo
	s_delay_alu instid0(VALU_DEP_1) | instskip(NEXT) | instid1(VALU_DEP_1)
	v_and_b32_e32 v1, 0xff, v1
	v_cmp_ne_u32_e32 vcc_lo, 0, v1
	s_and_b32 s14, vcc_lo, exec_lo
	s_delay_alu instid0(SALU_CYCLE_1)
	s_or_b32 s8, s8, s14
	s_or_b32 exec_lo, exec_lo, s10
	v_mov_b32_e32 v5, 0
	s_and_saveexec_b32 s10, s8
	s_cbranch_execnz .LBB70_1815
	s_branch .LBB70_1816
.LBB70_2040:
	s_or_b32 s9, s9, exec_lo
	s_trap 2
	s_cbranch_execz .LBB70_1862
	s_branch .LBB70_1863
.LBB70_2041:
	s_and_not1_saveexec_b32 s8, s8
	s_cbranch_execz .LBB70_1827
.LBB70_2042:
	v_add_f32_e32 v1, 0x42800000, v4
	s_and_not1_b32 s7, s7, exec_lo
	s_delay_alu instid0(VALU_DEP_1) | instskip(NEXT) | instid1(VALU_DEP_1)
	v_and_b32_e32 v1, 0xff, v1
	v_cmp_ne_u32_e32 vcc_lo, 0, v1
	s_and_b32 s10, vcc_lo, exec_lo
	s_delay_alu instid0(SALU_CYCLE_1)
	s_or_b32 s7, s7, s10
	s_or_b32 exec_lo, exec_lo, s8
	v_mov_b32_e32 v5, 0
	s_and_saveexec_b32 s8, s7
	s_cbranch_execnz .LBB70_1828
	s_branch .LBB70_1829
.LBB70_2043:
	s_and_not1_saveexec_b32 s6, s6
	s_cbranch_execz .LBB70_1934
.LBB70_2044:
	v_add_f32_e32 v2, 0x46000000, v3
	s_and_not1_b32 s5, s5, exec_lo
	s_delay_alu instid0(VALU_DEP_1) | instskip(NEXT) | instid1(VALU_DEP_1)
	v_and_b32_e32 v2, 0xff, v2
	v_cmp_ne_u32_e32 vcc_lo, 0, v2
	s_and_b32 s7, vcc_lo, exec_lo
	s_delay_alu instid0(SALU_CYCLE_1)
	s_or_b32 s5, s5, s7
	s_or_b32 exec_lo, exec_lo, s6
	v_mov_b32_e32 v4, 0
	s_and_saveexec_b32 s6, s5
	s_cbranch_execnz .LBB70_1935
	s_branch .LBB70_1936
.LBB70_2045:
	s_mov_b32 s3, 0
	s_or_b32 s9, s9, exec_lo
	s_trap 2
	s_branch .LBB70_1980
.LBB70_2046:
	s_and_not1_saveexec_b32 s5, s5
	s_cbranch_execz .LBB70_1946
.LBB70_2047:
	v_add_f32_e32 v2, 0x42800000, v3
	s_and_not1_b32 s4, s4, exec_lo
	s_delay_alu instid0(VALU_DEP_1) | instskip(NEXT) | instid1(VALU_DEP_1)
	v_and_b32_e32 v2, 0xff, v2
	v_cmp_ne_u32_e32 vcc_lo, 0, v2
	s_and_b32 s6, vcc_lo, exec_lo
	s_delay_alu instid0(SALU_CYCLE_1)
	s_or_b32 s4, s4, s6
	s_or_b32 exec_lo, exec_lo, s5
	v_mov_b32_e32 v4, 0
	s_and_saveexec_b32 s5, s4
	s_cbranch_execnz .LBB70_1947
	s_branch .LBB70_1948
	.section	.rodata,"a",@progbits
	.p2align	6, 0x0
	.amdhsa_kernel _ZN2at6native32elementwise_kernel_manual_unrollILi128ELi4EZNS0_15gpu_kernel_implIZZZNS0_12_GLOBAL__N_120isneginf_kernel_implERNS_18TensorIteratorBaseEENKUlvE_clEvENKUlvE_clEvEUldE_EEvS5_RKT_EUlibE_EEviT1_
		.amdhsa_group_segment_fixed_size 0
		.amdhsa_private_segment_fixed_size 0
		.amdhsa_kernarg_size 40
		.amdhsa_user_sgpr_count 2
		.amdhsa_user_sgpr_dispatch_ptr 0
		.amdhsa_user_sgpr_queue_ptr 0
		.amdhsa_user_sgpr_kernarg_segment_ptr 1
		.amdhsa_user_sgpr_dispatch_id 0
		.amdhsa_user_sgpr_kernarg_preload_length 0
		.amdhsa_user_sgpr_kernarg_preload_offset 0
		.amdhsa_user_sgpr_private_segment_size 0
		.amdhsa_wavefront_size32 1
		.amdhsa_uses_dynamic_stack 0
		.amdhsa_enable_private_segment 0
		.amdhsa_system_sgpr_workgroup_id_x 1
		.amdhsa_system_sgpr_workgroup_id_y 0
		.amdhsa_system_sgpr_workgroup_id_z 0
		.amdhsa_system_sgpr_workgroup_info 0
		.amdhsa_system_vgpr_workitem_id 0
		.amdhsa_next_free_vgpr 15
		.amdhsa_next_free_sgpr 27
		.amdhsa_named_barrier_count 0
		.amdhsa_reserve_vcc 1
		.amdhsa_float_round_mode_32 0
		.amdhsa_float_round_mode_16_64 0
		.amdhsa_float_denorm_mode_32 3
		.amdhsa_float_denorm_mode_16_64 3
		.amdhsa_fp16_overflow 0
		.amdhsa_memory_ordered 1
		.amdhsa_forward_progress 1
		.amdhsa_inst_pref_size 255
		.amdhsa_round_robin_scheduling 0
		.amdhsa_exception_fp_ieee_invalid_op 0
		.amdhsa_exception_fp_denorm_src 0
		.amdhsa_exception_fp_ieee_div_zero 0
		.amdhsa_exception_fp_ieee_overflow 0
		.amdhsa_exception_fp_ieee_underflow 0
		.amdhsa_exception_fp_ieee_inexact 0
		.amdhsa_exception_int_div_zero 0
	.end_amdhsa_kernel
	.section	.text._ZN2at6native32elementwise_kernel_manual_unrollILi128ELi4EZNS0_15gpu_kernel_implIZZZNS0_12_GLOBAL__N_120isneginf_kernel_implERNS_18TensorIteratorBaseEENKUlvE_clEvENKUlvE_clEvEUldE_EEvS5_RKT_EUlibE_EEviT1_,"axG",@progbits,_ZN2at6native32elementwise_kernel_manual_unrollILi128ELi4EZNS0_15gpu_kernel_implIZZZNS0_12_GLOBAL__N_120isneginf_kernel_implERNS_18TensorIteratorBaseEENKUlvE_clEvENKUlvE_clEvEUldE_EEvS5_RKT_EUlibE_EEviT1_,comdat
.Lfunc_end70:
	.size	_ZN2at6native32elementwise_kernel_manual_unrollILi128ELi4EZNS0_15gpu_kernel_implIZZZNS0_12_GLOBAL__N_120isneginf_kernel_implERNS_18TensorIteratorBaseEENKUlvE_clEvENKUlvE_clEvEUldE_EEvS5_RKT_EUlibE_EEviT1_, .Lfunc_end70-_ZN2at6native32elementwise_kernel_manual_unrollILi128ELi4EZNS0_15gpu_kernel_implIZZZNS0_12_GLOBAL__N_120isneginf_kernel_implERNS_18TensorIteratorBaseEENKUlvE_clEvENKUlvE_clEvEUldE_EEvS5_RKT_EUlibE_EEviT1_
                                        ; -- End function
	.set _ZN2at6native32elementwise_kernel_manual_unrollILi128ELi4EZNS0_15gpu_kernel_implIZZZNS0_12_GLOBAL__N_120isneginf_kernel_implERNS_18TensorIteratorBaseEENKUlvE_clEvENKUlvE_clEvEUldE_EEvS5_RKT_EUlibE_EEviT1_.num_vgpr, 15
	.set _ZN2at6native32elementwise_kernel_manual_unrollILi128ELi4EZNS0_15gpu_kernel_implIZZZNS0_12_GLOBAL__N_120isneginf_kernel_implERNS_18TensorIteratorBaseEENKUlvE_clEvENKUlvE_clEvEUldE_EEvS5_RKT_EUlibE_EEviT1_.num_agpr, 0
	.set _ZN2at6native32elementwise_kernel_manual_unrollILi128ELi4EZNS0_15gpu_kernel_implIZZZNS0_12_GLOBAL__N_120isneginf_kernel_implERNS_18TensorIteratorBaseEENKUlvE_clEvENKUlvE_clEvEUldE_EEvS5_RKT_EUlibE_EEviT1_.numbered_sgpr, 27
	.set _ZN2at6native32elementwise_kernel_manual_unrollILi128ELi4EZNS0_15gpu_kernel_implIZZZNS0_12_GLOBAL__N_120isneginf_kernel_implERNS_18TensorIteratorBaseEENKUlvE_clEvENKUlvE_clEvEUldE_EEvS5_RKT_EUlibE_EEviT1_.num_named_barrier, 0
	.set _ZN2at6native32elementwise_kernel_manual_unrollILi128ELi4EZNS0_15gpu_kernel_implIZZZNS0_12_GLOBAL__N_120isneginf_kernel_implERNS_18TensorIteratorBaseEENKUlvE_clEvENKUlvE_clEvEUldE_EEvS5_RKT_EUlibE_EEviT1_.private_seg_size, 0
	.set _ZN2at6native32elementwise_kernel_manual_unrollILi128ELi4EZNS0_15gpu_kernel_implIZZZNS0_12_GLOBAL__N_120isneginf_kernel_implERNS_18TensorIteratorBaseEENKUlvE_clEvENKUlvE_clEvEUldE_EEvS5_RKT_EUlibE_EEviT1_.uses_vcc, 1
	.set _ZN2at6native32elementwise_kernel_manual_unrollILi128ELi4EZNS0_15gpu_kernel_implIZZZNS0_12_GLOBAL__N_120isneginf_kernel_implERNS_18TensorIteratorBaseEENKUlvE_clEvENKUlvE_clEvEUldE_EEvS5_RKT_EUlibE_EEviT1_.uses_flat_scratch, 0
	.set _ZN2at6native32elementwise_kernel_manual_unrollILi128ELi4EZNS0_15gpu_kernel_implIZZZNS0_12_GLOBAL__N_120isneginf_kernel_implERNS_18TensorIteratorBaseEENKUlvE_clEvENKUlvE_clEvEUldE_EEvS5_RKT_EUlibE_EEviT1_.has_dyn_sized_stack, 0
	.set _ZN2at6native32elementwise_kernel_manual_unrollILi128ELi4EZNS0_15gpu_kernel_implIZZZNS0_12_GLOBAL__N_120isneginf_kernel_implERNS_18TensorIteratorBaseEENKUlvE_clEvENKUlvE_clEvEUldE_EEvS5_RKT_EUlibE_EEviT1_.has_recursion, 0
	.set _ZN2at6native32elementwise_kernel_manual_unrollILi128ELi4EZNS0_15gpu_kernel_implIZZZNS0_12_GLOBAL__N_120isneginf_kernel_implERNS_18TensorIteratorBaseEENKUlvE_clEvENKUlvE_clEvEUldE_EEvS5_RKT_EUlibE_EEviT1_.has_indirect_call, 0
	.section	.AMDGPU.csdata,"",@progbits
; Kernel info:
; codeLenInByte = 36176
; TotalNumSgprs: 29
; NumVgprs: 15
; ScratchSize: 0
; MemoryBound: 1
; FloatMode: 240
; IeeeMode: 1
; LDSByteSize: 0 bytes/workgroup (compile time only)
; SGPRBlocks: 0
; VGPRBlocks: 0
; NumSGPRsForWavesPerEU: 29
; NumVGPRsForWavesPerEU: 15
; NamedBarCnt: 0
; Occupancy: 16
; WaveLimiterHint : 0
; COMPUTE_PGM_RSRC2:SCRATCH_EN: 0
; COMPUTE_PGM_RSRC2:USER_SGPR: 2
; COMPUTE_PGM_RSRC2:TRAP_HANDLER: 0
; COMPUTE_PGM_RSRC2:TGID_X_EN: 1
; COMPUTE_PGM_RSRC2:TGID_Y_EN: 0
; COMPUTE_PGM_RSRC2:TGID_Z_EN: 0
; COMPUTE_PGM_RSRC2:TIDIG_COMP_CNT: 0
	.section	.text._ZN2at6native32elementwise_kernel_manual_unrollILi128ELi4EZNS0_15gpu_kernel_implIZZZNS0_12_GLOBAL__N_120isneginf_kernel_implERNS_18TensorIteratorBaseEENKUlvE_clEvENKUlvE_clEvEUldE_EEvS5_RKT_EUlibE0_EEviT1_,"axG",@progbits,_ZN2at6native32elementwise_kernel_manual_unrollILi128ELi4EZNS0_15gpu_kernel_implIZZZNS0_12_GLOBAL__N_120isneginf_kernel_implERNS_18TensorIteratorBaseEENKUlvE_clEvENKUlvE_clEvEUldE_EEvS5_RKT_EUlibE0_EEviT1_,comdat
	.globl	_ZN2at6native32elementwise_kernel_manual_unrollILi128ELi4EZNS0_15gpu_kernel_implIZZZNS0_12_GLOBAL__N_120isneginf_kernel_implERNS_18TensorIteratorBaseEENKUlvE_clEvENKUlvE_clEvEUldE_EEvS5_RKT_EUlibE0_EEviT1_ ; -- Begin function _ZN2at6native32elementwise_kernel_manual_unrollILi128ELi4EZNS0_15gpu_kernel_implIZZZNS0_12_GLOBAL__N_120isneginf_kernel_implERNS_18TensorIteratorBaseEENKUlvE_clEvENKUlvE_clEvEUldE_EEvS5_RKT_EUlibE0_EEviT1_
	.p2align	8
	.type	_ZN2at6native32elementwise_kernel_manual_unrollILi128ELi4EZNS0_15gpu_kernel_implIZZZNS0_12_GLOBAL__N_120isneginf_kernel_implERNS_18TensorIteratorBaseEENKUlvE_clEvENKUlvE_clEvEUldE_EEvS5_RKT_EUlibE0_EEviT1_,@function
_ZN2at6native32elementwise_kernel_manual_unrollILi128ELi4EZNS0_15gpu_kernel_implIZZZNS0_12_GLOBAL__N_120isneginf_kernel_implERNS_18TensorIteratorBaseEENKUlvE_clEvENKUlvE_clEvEUldE_EEvS5_RKT_EUlibE0_EEviT1_: ; @_ZN2at6native32elementwise_kernel_manual_unrollILi128ELi4EZNS0_15gpu_kernel_implIZZZNS0_12_GLOBAL__N_120isneginf_kernel_implERNS_18TensorIteratorBaseEENKUlvE_clEvENKUlvE_clEvEUldE_EEvS5_RKT_EUlibE0_EEviT1_
; %bb.0:
	s_clause 0x1
	s_load_b32 s28, s[0:1], 0x8
	s_load_b32 s36, s[0:1], 0x0
	s_bfe_u32 s2, ttmp6, 0x4000c
	s_and_b32 s3, ttmp6, 15
	s_add_co_i32 s2, s2, 1
	s_getreg_b32 s4, hwreg(HW_REG_IB_STS2, 6, 4)
	s_mul_i32 s2, ttmp9, s2
	s_mov_b32 s30, 0
	s_add_co_i32 s3, s3, s2
	s_cmp_eq_u32 s4, 0
	s_mov_b32 s25, -1
	s_cselect_b32 s2, ttmp9, s3
	s_mov_b32 s8, 0
	v_lshl_or_b32 v0, s2, 9, v0
	s_add_nc_u64 s[2:3], s[0:1], 8
	s_wait_xcnt 0x0
	s_mov_b32 s0, exec_lo
	s_delay_alu instid0(VALU_DEP_1) | instskip(SKIP_2) | instid1(SALU_CYCLE_1)
	v_or_b32_e32 v9, 0x180, v0
	s_wait_kmcnt 0x0
	s_add_co_i32 s29, s28, -1
	s_cmp_gt_u32 s29, 1
	s_cselect_b32 s31, -1, 0
	v_cmpx_le_i32_e64 s36, v9
	s_xor_b32 s33, exec_lo, s0
	s_cbranch_execz .LBB71_1096
; %bb.1:
	v_mov_b32_e32 v1, 0
	s_clause 0x3
	s_load_b128 s[12:15], s[2:3], 0x4
	s_load_b64 s[18:19], s[2:3], 0x14
	s_load_b128 s[8:11], s[2:3], 0xc4
	s_load_b128 s[4:7], s[2:3], 0x148
	s_cmp_lg_u32 s28, 0
	s_mov_b32 s17, 0
	s_cselect_b32 s38, -1, 0
	global_load_u16 v1, v1, s[2:3] offset:345
	s_min_u32 s37, s29, 15
	s_cmp_gt_u32 s28, 1
	s_add_nc_u64 s[22:23], s[2:3], 0xc4
	s_cselect_b32 s35, -1, 0
	s_mov_b32 s21, s17
	s_mov_b32 s39, s17
	s_mov_b32 s40, exec_lo
	s_wait_kmcnt 0x0
	s_mov_b32 s16, s13
	s_mov_b32 s20, s18
	;; [unrolled: 1-line block ×3, first 2 shown]
	s_wait_loadcnt 0x0
	v_readfirstlane_b32 s34, v1
	s_and_b32 s0, 0xffff, s34
	s_delay_alu instid0(SALU_CYCLE_1)
	s_lshr_b32 s13, s0, 8
	v_cmpx_gt_i32_e64 s36, v0
	s_cbranch_execz .LBB71_267
; %bb.2:
	s_and_not1_b32 vcc_lo, exec_lo, s31
	s_cbranch_vccnz .LBB71_8
; %bb.3:
	s_and_not1_b32 vcc_lo, exec_lo, s38
	s_cbranch_vccnz .LBB71_9
; %bb.4:
	s_add_co_i32 s1, s37, 1
	s_cmp_eq_u32 s29, 2
	s_cbranch_scc1 .LBB71_10
; %bb.5:
	v_dual_mov_b32 v2, 0 :: v_dual_mov_b32 v4, 0
	v_mov_b32_e32 v1, v0
	s_and_b32 s0, s1, 28
	s_mov_b32 s18, 0
	s_mov_b64 s[24:25], s[2:3]
	s_mov_b64 s[26:27], s[22:23]
.LBB71_6:                               ; =>This Inner Loop Header: Depth=1
	s_clause 0x1
	s_load_b256 s[44:51], s[24:25], 0x4
	s_load_b128 s[60:63], s[24:25], 0x24
	s_load_b256 s[52:59], s[26:27], 0x0
	s_add_co_i32 s18, s18, 4
	s_wait_xcnt 0x0
	s_add_nc_u64 s[24:25], s[24:25], 48
	s_cmp_lg_u32 s0, s18
	s_add_nc_u64 s[26:27], s[26:27], 32
	s_wait_kmcnt 0x0
	v_mul_hi_u32 v3, s45, v1
	s_delay_alu instid0(VALU_DEP_1) | instskip(NEXT) | instid1(VALU_DEP_1)
	v_add_nc_u32_e32 v3, v1, v3
	v_lshrrev_b32_e32 v3, s46, v3
	s_delay_alu instid0(VALU_DEP_1) | instskip(NEXT) | instid1(VALU_DEP_1)
	v_mul_hi_u32 v5, s48, v3
	v_add_nc_u32_e32 v5, v3, v5
	s_delay_alu instid0(VALU_DEP_1) | instskip(NEXT) | instid1(VALU_DEP_1)
	v_lshrrev_b32_e32 v5, s49, v5
	v_mul_hi_u32 v6, s51, v5
	s_delay_alu instid0(VALU_DEP_1) | instskip(SKIP_1) | instid1(VALU_DEP_1)
	v_add_nc_u32_e32 v6, v5, v6
	v_mul_lo_u32 v7, v3, s44
	v_sub_nc_u32_e32 v1, v1, v7
	v_mul_lo_u32 v7, v5, s47
	s_delay_alu instid0(VALU_DEP_4) | instskip(NEXT) | instid1(VALU_DEP_3)
	v_lshrrev_b32_e32 v6, s60, v6
	v_mad_u32 v4, v1, s53, v4
	v_mad_u32 v1, v1, s52, v2
	s_delay_alu instid0(VALU_DEP_4) | instskip(NEXT) | instid1(VALU_DEP_4)
	v_sub_nc_u32_e32 v2, v3, v7
	v_mul_hi_u32 v8, s62, v6
	v_mul_lo_u32 v3, v6, s50
	s_delay_alu instid0(VALU_DEP_3) | instskip(SKIP_1) | instid1(VALU_DEP_3)
	v_mad_u32 v4, v2, s55, v4
	v_mad_u32 v2, v2, s54, v1
	v_dual_add_nc_u32 v7, v6, v8 :: v_dual_sub_nc_u32 v3, v5, v3
	s_delay_alu instid0(VALU_DEP_1) | instskip(NEXT) | instid1(VALU_DEP_2)
	v_lshrrev_b32_e32 v1, s63, v7
	v_mad_u32 v4, v3, s57, v4
	s_delay_alu instid0(VALU_DEP_4) | instskip(NEXT) | instid1(VALU_DEP_3)
	v_mad_u32 v2, v3, s56, v2
	v_mul_lo_u32 v5, v1, s61
	s_delay_alu instid0(VALU_DEP_1) | instskip(NEXT) | instid1(VALU_DEP_1)
	v_sub_nc_u32_e32 v3, v6, v5
	v_mad_u32 v4, v3, s59, v4
	s_delay_alu instid0(VALU_DEP_4)
	v_mad_u32 v2, v3, s58, v2
	s_cbranch_scc1 .LBB71_6
; %bb.7:
	s_delay_alu instid0(VALU_DEP_2)
	v_mov_b32_e32 v3, v4
	s_and_b32 s18, s1, 3
	s_mov_b32 s1, 0
	s_cmp_eq_u32 s18, 0
	s_cbranch_scc0 .LBB71_11
	s_branch .LBB71_14
.LBB71_8:
                                        ; implicit-def: $vgpr4
                                        ; implicit-def: $vgpr2
	s_branch .LBB71_15
.LBB71_9:
	v_dual_mov_b32 v4, 0 :: v_dual_mov_b32 v2, 0
	s_branch .LBB71_14
.LBB71_10:
	v_mov_b64_e32 v[2:3], 0
	v_mov_b32_e32 v1, v0
	s_mov_b32 s0, 0
                                        ; implicit-def: $vgpr4
	s_and_b32 s18, s1, 3
	s_mov_b32 s1, 0
	s_cmp_eq_u32 s18, 0
	s_cbranch_scc1 .LBB71_14
.LBB71_11:
	s_lshl_b32 s24, s0, 3
	s_mov_b32 s25, s1
	s_mul_u64 s[26:27], s[0:1], 12
	s_add_nc_u64 s[24:25], s[2:3], s[24:25]
	s_delay_alu instid0(SALU_CYCLE_1)
	s_add_nc_u64 s[0:1], s[24:25], 0xc4
	s_add_nc_u64 s[24:25], s[2:3], s[26:27]
.LBB71_12:                              ; =>This Inner Loop Header: Depth=1
	s_load_b96 s[44:46], s[24:25], 0x4
	s_load_b64 s[26:27], s[0:1], 0x0
	s_add_co_i32 s18, s18, -1
	s_wait_xcnt 0x0
	s_add_nc_u64 s[24:25], s[24:25], 12
	s_cmp_lg_u32 s18, 0
	s_add_nc_u64 s[0:1], s[0:1], 8
	s_wait_kmcnt 0x0
	v_mul_hi_u32 v4, s45, v1
	s_delay_alu instid0(VALU_DEP_1) | instskip(NEXT) | instid1(VALU_DEP_1)
	v_add_nc_u32_e32 v4, v1, v4
	v_lshrrev_b32_e32 v4, s46, v4
	s_delay_alu instid0(VALU_DEP_1) | instskip(NEXT) | instid1(VALU_DEP_1)
	v_mul_lo_u32 v5, v4, s44
	v_sub_nc_u32_e32 v1, v1, v5
	s_delay_alu instid0(VALU_DEP_1)
	v_mad_u32 v3, v1, s27, v3
	v_mad_u32 v2, v1, s26, v2
	v_mov_b32_e32 v1, v4
	s_cbranch_scc1 .LBB71_12
; %bb.13:
	s_delay_alu instid0(VALU_DEP_3)
	v_mov_b32_e32 v4, v3
.LBB71_14:
	s_cbranch_execnz .LBB71_17
.LBB71_15:
	v_mov_b32_e32 v1, 0
	s_and_not1_b32 vcc_lo, exec_lo, s35
	s_delay_alu instid0(VALU_DEP_1) | instskip(NEXT) | instid1(VALU_DEP_1)
	v_mul_u64_e32 v[2:3], s[16:17], v[0:1]
	v_add_nc_u32_e32 v2, v0, v3
	s_delay_alu instid0(VALU_DEP_1) | instskip(NEXT) | instid1(VALU_DEP_1)
	v_lshrrev_b32_e32 v6, s14, v2
	v_mul_lo_u32 v2, v6, s12
	s_delay_alu instid0(VALU_DEP_1) | instskip(NEXT) | instid1(VALU_DEP_1)
	v_sub_nc_u32_e32 v2, v0, v2
	v_mul_lo_u32 v4, v2, s9
	v_mul_lo_u32 v2, v2, s8
	s_cbranch_vccnz .LBB71_17
; %bb.16:
	v_mov_b32_e32 v7, v1
	s_delay_alu instid0(VALU_DEP_1) | instskip(NEXT) | instid1(VALU_DEP_1)
	v_mul_u64_e32 v[8:9], s[20:21], v[6:7]
	v_add_nc_u32_e32 v1, v6, v9
	s_delay_alu instid0(VALU_DEP_1) | instskip(NEXT) | instid1(VALU_DEP_1)
	v_lshrrev_b32_e32 v1, s19, v1
	v_mul_lo_u32 v1, v1, s15
	s_delay_alu instid0(VALU_DEP_1) | instskip(NEXT) | instid1(VALU_DEP_1)
	v_sub_nc_u32_e32 v1, v6, v1
	v_mad_u32 v2, v1, s10, v2
	v_mad_u32 v4, v1, s11, v4
.LBB71_17:
	v_mov_b32_e32 v5, 0
	s_and_b32 s0, 0xffff, s13
	s_delay_alu instid0(SALU_CYCLE_1) | instskip(NEXT) | instid1(VALU_DEP_1)
	s_cmp_lt_i32 s0, 11
	v_add_nc_u64_e32 v[4:5], s[6:7], v[4:5]
	s_cbranch_scc1 .LBB71_24
; %bb.18:
	s_cmp_gt_i32 s0, 25
	s_cbranch_scc0 .LBB71_33
; %bb.19:
	s_cmp_gt_i32 s0, 28
	s_cbranch_scc0 .LBB71_36
	;; [unrolled: 3-line block ×4, first 2 shown]
; %bb.22:
	s_cmp_eq_u32 s0, 46
	s_mov_b32 s18, 0
	s_cbranch_scc0 .LBB71_42
; %bb.23:
	global_load_b32 v1, v[4:5], off
	s_mov_b32 s1, -1
	s_mov_b32 s24, 0
	s_wait_loadcnt 0x0
	v_lshlrev_b32_e32 v1, 16, v1
	s_delay_alu instid0(VALU_DEP_1)
	v_cvt_f64_f32_e32 v[6:7], v1
	s_branch .LBB71_44
.LBB71_24:
	s_mov_b32 s24, 0
	s_mov_b32 s1, 0
                                        ; implicit-def: $vgpr6_vgpr7
	s_cbranch_execnz .LBB71_217
.LBB71_25:
	s_and_not1_b32 vcc_lo, exec_lo, s1
	s_cbranch_vccnz .LBB71_264
.LBB71_26:
	s_wait_loadcnt 0x0
	s_delay_alu instid0(VALU_DEP_1) | instskip(SKIP_2) | instid1(SALU_CYCLE_1)
	v_cmp_eq_f64_e64 s0, 0xfff00000, v[6:7]
	v_mov_b32_e32 v3, 0
	s_and_b32 s18, s34, 0xff
	s_cmp_lt_i32 s18, 11
	s_delay_alu instid0(VALU_DEP_1)
	v_add_nc_u64_e32 v[2:3], s[4:5], v[2:3]
	s_cbranch_scc1 .LBB71_34
; %bb.27:
	s_and_b32 s25, 0xffff, s18
	s_delay_alu instid0(SALU_CYCLE_1)
	s_cmp_gt_i32 s25, 25
	s_cbranch_scc0 .LBB71_37
; %bb.28:
	s_cmp_gt_i32 s25, 28
	s_cbranch_scc0 .LBB71_39
; %bb.29:
	;; [unrolled: 3-line block ×4, first 2 shown]
	s_mov_b32 s27, 0
	s_mov_b32 s1, -1
	s_cmp_eq_u32 s25, 46
	s_mov_b32 s26, 0
	s_cbranch_scc0 .LBB71_48
; %bb.32:
	v_cndmask_b32_e64 v1, 0, 1.0, s0
	s_mov_b32 s26, -1
	s_mov_b32 s1, 0
	s_delay_alu instid0(VALU_DEP_1) | instskip(NEXT) | instid1(VALU_DEP_1)
	v_bfe_u32 v4, v1, 16, 1
	v_add3_u32 v1, v1, v4, 0x7fff
	s_delay_alu instid0(VALU_DEP_1)
	v_lshrrev_b32_e32 v1, 16, v1
	global_store_b32 v[2:3], v1, off
	s_branch .LBB71_48
.LBB71_33:
	s_mov_b32 s24, 0
	s_mov_b32 s1, 0
                                        ; implicit-def: $vgpr6_vgpr7
	s_cbranch_execnz .LBB71_182
	s_branch .LBB71_216
.LBB71_34:
	s_mov_b32 s1, 0
	s_mov_b32 s26, 0
	s_cbranch_execnz .LBB71_117
.LBB71_35:
	s_and_not1_b32 vcc_lo, exec_lo, s26
	s_cbranch_vccz .LBB71_155
	s_branch .LBB71_265
.LBB71_36:
	s_mov_b32 s18, -1
	s_mov_b32 s24, 0
	s_mov_b32 s1, 0
                                        ; implicit-def: $vgpr6_vgpr7
	s_branch .LBB71_163
.LBB71_37:
	s_mov_b32 s27, -1
	s_mov_b32 s1, 0
	s_mov_b32 s26, 0
	s_branch .LBB71_75
.LBB71_38:
	s_mov_b32 s18, -1
	s_mov_b32 s24, 0
	s_mov_b32 s1, 0
                                        ; implicit-def: $vgpr6_vgpr7
	s_branch .LBB71_158
.LBB71_39:
	s_mov_b32 s27, -1
	s_mov_b32 s1, 0
	s_mov_b32 s26, 0
	s_branch .LBB71_58
.LBB71_40:
	s_mov_b32 s18, -1
	s_mov_b32 s24, 0
	s_branch .LBB71_43
.LBB71_41:
	s_mov_b32 s27, -1
	s_mov_b32 s1, 0
	s_mov_b32 s26, 0
	s_branch .LBB71_54
.LBB71_42:
	s_mov_b32 s24, -1
.LBB71_43:
	s_mov_b32 s1, 0
                                        ; implicit-def: $vgpr6_vgpr7
.LBB71_44:
	s_and_b32 vcc_lo, exec_lo, s18
	s_cbranch_vccz .LBB71_157
; %bb.45:
	s_cmp_eq_u32 s0, 44
	s_cbranch_scc0 .LBB71_156
; %bb.46:
	global_load_u8 v1, v[4:5], off
	s_mov_b32 s24, 0
	s_mov_b32 s1, -1
	s_wait_loadcnt 0x0
	v_cmp_ne_u32_e32 vcc_lo, 0xff, v1
	v_lshlrev_b32_e32 v3, 23, v1
	s_delay_alu instid0(VALU_DEP_1) | instskip(NEXT) | instid1(VALU_DEP_1)
	v_cvt_f64_f32_e32 v[6:7], v3
	v_cndmask_b32_e32 v3, 0x20000000, v6, vcc_lo
	s_delay_alu instid0(VALU_DEP_2) | instskip(SKIP_1) | instid1(VALU_DEP_2)
	v_cndmask_b32_e32 v6, 0x7ff80000, v7, vcc_lo
	v_cmp_ne_u32_e32 vcc_lo, 0, v1
	v_cndmask_b32_e32 v7, 0x38000000, v6, vcc_lo
	s_delay_alu instid0(VALU_DEP_4)
	v_cndmask_b32_e32 v6, 0, v3, vcc_lo
	s_branch .LBB71_157
.LBB71_47:
	s_mov_b32 s27, -1
	s_mov_b32 s1, 0
	s_mov_b32 s26, 0
.LBB71_48:
	s_and_b32 vcc_lo, exec_lo, s27
	s_cbranch_vccz .LBB71_53
; %bb.49:
	s_cmp_eq_u32 s25, 44
	s_mov_b32 s1, -1
	s_cbranch_scc0 .LBB71_53
; %bb.50:
	v_cndmask_b32_e64 v5, 0, 1.0, s0
	s_mov_b32 s26, exec_lo
	s_wait_xcnt 0x0
	s_delay_alu instid0(VALU_DEP_1) | instskip(NEXT) | instid1(VALU_DEP_1)
	v_dual_mov_b32 v4, 0xff :: v_dual_lshrrev_b32 v1, 23, v5
	v_cmpx_ne_u32_e32 0xff, v1
; %bb.51:
	v_and_b32_e32 v4, 0x400000, v5
	v_and_or_b32 v5, 0x3fffff, v5, v1
	s_delay_alu instid0(VALU_DEP_2) | instskip(NEXT) | instid1(VALU_DEP_2)
	v_cmp_ne_u32_e32 vcc_lo, 0, v4
	v_cmp_ne_u32_e64 s1, 0, v5
	s_and_b32 s1, vcc_lo, s1
	s_delay_alu instid0(SALU_CYCLE_1) | instskip(NEXT) | instid1(VALU_DEP_1)
	v_cndmask_b32_e64 v4, 0, 1, s1
	v_add_nc_u32_e32 v4, v1, v4
; %bb.52:
	s_or_b32 exec_lo, exec_lo, s26
	s_mov_b32 s26, -1
	s_mov_b32 s1, 0
	global_store_b8 v[2:3], v4, off
.LBB71_53:
	s_mov_b32 s27, 0
.LBB71_54:
	s_delay_alu instid0(SALU_CYCLE_1)
	s_and_b32 vcc_lo, exec_lo, s27
	s_cbranch_vccz .LBB71_57
; %bb.55:
	s_cmp_eq_u32 s25, 29
	s_mov_b32 s1, -1
	s_cbranch_scc0 .LBB71_57
; %bb.56:
	s_mov_b32 s1, 0
	s_wait_xcnt 0x0
	v_cndmask_b32_e64 v4, 0, 1, s0
	v_mov_b32_e32 v5, s1
	s_mov_b32 s26, -1
	s_mov_b32 s27, 0
	global_store_b64 v[2:3], v[4:5], off
	s_branch .LBB71_58
.LBB71_57:
	s_mov_b32 s27, 0
.LBB71_58:
	s_delay_alu instid0(SALU_CYCLE_1)
	s_and_b32 vcc_lo, exec_lo, s27
	s_cbranch_vccz .LBB71_74
; %bb.59:
	s_cmp_lt_i32 s25, 27
	s_mov_b32 s26, -1
	s_cbranch_scc1 .LBB71_65
; %bb.60:
	s_cmp_gt_i32 s25, 27
	s_cbranch_scc0 .LBB71_62
; %bb.61:
	s_wait_xcnt 0x0
	v_cndmask_b32_e64 v1, 0, 1, s0
	s_mov_b32 s26, 0
	global_store_b32 v[2:3], v1, off
.LBB71_62:
	s_and_not1_b32 vcc_lo, exec_lo, s26
	s_cbranch_vccnz .LBB71_64
; %bb.63:
	s_wait_xcnt 0x0
	v_cndmask_b32_e64 v1, 0, 1, s0
	global_store_b16 v[2:3], v1, off
.LBB71_64:
	s_mov_b32 s26, 0
.LBB71_65:
	s_delay_alu instid0(SALU_CYCLE_1)
	s_and_not1_b32 vcc_lo, exec_lo, s26
	s_cbranch_vccnz .LBB71_73
; %bb.66:
	s_wait_xcnt 0x0
	v_cndmask_b32_e64 v4, 0, 1.0, s0
	v_mov_b32_e32 v5, 0x80
	s_mov_b32 s26, exec_lo
	s_delay_alu instid0(VALU_DEP_2)
	v_cmpx_gt_u32_e32 0x43800000, v4
	s_cbranch_execz .LBB71_72
; %bb.67:
	s_mov_b32 s27, 0
	s_mov_b32 s39, exec_lo
                                        ; implicit-def: $vgpr1
	v_cmpx_lt_u32_e32 0x3bffffff, v4
	s_xor_b32 s39, exec_lo, s39
	s_cbranch_execz .LBB71_310
; %bb.68:
	v_bfe_u32 v1, v4, 20, 1
	s_mov_b32 s27, exec_lo
	s_delay_alu instid0(VALU_DEP_1) | instskip(NEXT) | instid1(VALU_DEP_1)
	v_add3_u32 v1, v4, v1, 0x487ffff
                                        ; implicit-def: $vgpr4
	v_lshrrev_b32_e32 v1, 20, v1
	s_and_not1_saveexec_b32 s39, s39
	s_cbranch_execnz .LBB71_311
.LBB71_69:
	s_or_b32 exec_lo, exec_lo, s39
	v_mov_b32_e32 v5, 0
	s_and_saveexec_b32 s39, s27
.LBB71_70:
	v_mov_b32_e32 v5, v1
.LBB71_71:
	s_or_b32 exec_lo, exec_lo, s39
.LBB71_72:
	s_delay_alu instid0(SALU_CYCLE_1)
	s_or_b32 exec_lo, exec_lo, s26
	global_store_b8 v[2:3], v5, off
.LBB71_73:
	s_mov_b32 s26, -1
.LBB71_74:
	s_mov_b32 s27, 0
.LBB71_75:
	s_delay_alu instid0(SALU_CYCLE_1)
	s_and_b32 vcc_lo, exec_lo, s27
	s_cbranch_vccz .LBB71_116
; %bb.76:
	s_cmp_gt_i32 s25, 22
	s_mov_b32 s27, -1
	s_cbranch_scc0 .LBB71_108
; %bb.77:
	s_cmp_lt_i32 s25, 24
	s_mov_b32 s26, -1
	s_cbranch_scc1 .LBB71_97
; %bb.78:
	s_cmp_gt_i32 s25, 24
	s_cbranch_scc0 .LBB71_86
; %bb.79:
	s_wait_xcnt 0x0
	v_cndmask_b32_e64 v4, 0, 1.0, s0
	v_mov_b32_e32 v5, 0x80
	s_mov_b32 s26, exec_lo
	s_delay_alu instid0(VALU_DEP_2)
	v_cmpx_gt_u32_e32 0x47800000, v4
	s_cbranch_execz .LBB71_85
; %bb.80:
	s_mov_b32 s27, 0
	s_mov_b32 s39, exec_lo
                                        ; implicit-def: $vgpr1
	v_cmpx_lt_u32_e32 0x37ffffff, v4
	s_xor_b32 s39, exec_lo, s39
	s_cbranch_execz .LBB71_314
; %bb.81:
	v_bfe_u32 v1, v4, 21, 1
	s_mov_b32 s27, exec_lo
	s_delay_alu instid0(VALU_DEP_1) | instskip(NEXT) | instid1(VALU_DEP_1)
	v_add3_u32 v1, v4, v1, 0x88fffff
                                        ; implicit-def: $vgpr4
	v_lshrrev_b32_e32 v1, 21, v1
	s_and_not1_saveexec_b32 s39, s39
	s_cbranch_execnz .LBB71_315
.LBB71_82:
	s_or_b32 exec_lo, exec_lo, s39
	v_mov_b32_e32 v5, 0
	s_and_saveexec_b32 s39, s27
.LBB71_83:
	v_mov_b32_e32 v5, v1
.LBB71_84:
	s_or_b32 exec_lo, exec_lo, s39
.LBB71_85:
	s_delay_alu instid0(SALU_CYCLE_1)
	s_or_b32 exec_lo, exec_lo, s26
	s_mov_b32 s26, 0
	global_store_b8 v[2:3], v5, off
.LBB71_86:
	s_and_b32 vcc_lo, exec_lo, s26
	s_cbranch_vccz .LBB71_96
; %bb.87:
	s_wait_xcnt 0x0
	v_cndmask_b32_e64 v4, 0, 1.0, s0
	s_mov_b32 s26, exec_lo
                                        ; implicit-def: $vgpr1
	s_delay_alu instid0(VALU_DEP_1)
	v_cmpx_gt_u32_e32 0x43f00000, v4
	s_xor_b32 s26, exec_lo, s26
	s_cbranch_execz .LBB71_93
; %bb.88:
	s_mov_b32 s27, exec_lo
                                        ; implicit-def: $vgpr1
	v_cmpx_lt_u32_e32 0x3c7fffff, v4
	s_xor_b32 s27, exec_lo, s27
; %bb.89:
	v_bfe_u32 v1, v4, 20, 1
	s_delay_alu instid0(VALU_DEP_1) | instskip(NEXT) | instid1(VALU_DEP_1)
	v_add3_u32 v1, v4, v1, 0x407ffff
	v_and_b32_e32 v4, 0xff00000, v1
	v_lshrrev_b32_e32 v1, 20, v1
	s_delay_alu instid0(VALU_DEP_2) | instskip(NEXT) | instid1(VALU_DEP_2)
	v_cmp_ne_u32_e32 vcc_lo, 0x7f00000, v4
                                        ; implicit-def: $vgpr4
	v_cndmask_b32_e32 v1, 0x7e, v1, vcc_lo
; %bb.90:
	s_and_not1_saveexec_b32 s27, s27
; %bb.91:
	v_add_f32_e32 v1, 0x46800000, v4
; %bb.92:
	s_or_b32 exec_lo, exec_lo, s27
                                        ; implicit-def: $vgpr4
.LBB71_93:
	s_and_not1_saveexec_b32 s26, s26
; %bb.94:
	v_mov_b32_e32 v1, 0x7f
	v_cmp_lt_u32_e32 vcc_lo, 0x7f800000, v4
	s_delay_alu instid0(VALU_DEP_2)
	v_cndmask_b32_e32 v1, 0x7e, v1, vcc_lo
; %bb.95:
	s_or_b32 exec_lo, exec_lo, s26
	global_store_b8 v[2:3], v1, off
.LBB71_96:
	s_mov_b32 s26, 0
.LBB71_97:
	s_delay_alu instid0(SALU_CYCLE_1)
	s_and_not1_b32 vcc_lo, exec_lo, s26
	s_cbranch_vccnz .LBB71_107
; %bb.98:
	s_wait_xcnt 0x0
	v_cndmask_b32_e64 v4, 0, 1.0, s0
	s_mov_b32 s26, exec_lo
                                        ; implicit-def: $vgpr1
	s_delay_alu instid0(VALU_DEP_1)
	v_cmpx_gt_u32_e32 0x47800000, v4
	s_xor_b32 s26, exec_lo, s26
	s_cbranch_execz .LBB71_104
; %bb.99:
	s_mov_b32 s27, exec_lo
                                        ; implicit-def: $vgpr1
	v_cmpx_lt_u32_e32 0x387fffff, v4
	s_xor_b32 s27, exec_lo, s27
; %bb.100:
	v_bfe_u32 v1, v4, 21, 1
	s_delay_alu instid0(VALU_DEP_1) | instskip(NEXT) | instid1(VALU_DEP_1)
	v_add3_u32 v1, v4, v1, 0x80fffff
                                        ; implicit-def: $vgpr4
	v_lshrrev_b32_e32 v1, 21, v1
; %bb.101:
	s_and_not1_saveexec_b32 s27, s27
; %bb.102:
	v_add_f32_e32 v1, 0x43000000, v4
; %bb.103:
	s_or_b32 exec_lo, exec_lo, s27
                                        ; implicit-def: $vgpr4
.LBB71_104:
	s_and_not1_saveexec_b32 s26, s26
; %bb.105:
	v_mov_b32_e32 v1, 0x7f
	v_cmp_lt_u32_e32 vcc_lo, 0x7f800000, v4
	s_delay_alu instid0(VALU_DEP_2)
	v_cndmask_b32_e32 v1, 0x7c, v1, vcc_lo
; %bb.106:
	s_or_b32 exec_lo, exec_lo, s26
	global_store_b8 v[2:3], v1, off
.LBB71_107:
	s_mov_b32 s27, 0
	s_mov_b32 s26, -1
.LBB71_108:
	s_and_not1_b32 vcc_lo, exec_lo, s27
	s_cbranch_vccnz .LBB71_116
; %bb.109:
	s_cmp_gt_i32 s25, 14
	s_mov_b32 s27, -1
	s_cbranch_scc0 .LBB71_113
; %bb.110:
	s_cmp_eq_u32 s25, 15
	s_mov_b32 s1, -1
	s_cbranch_scc0 .LBB71_112
; %bb.111:
	s_wait_xcnt 0x0
	v_cndmask_b32_e64 v1, 0, 1.0, s0
	s_mov_b32 s26, -1
	s_mov_b32 s1, 0
	s_delay_alu instid0(VALU_DEP_1) | instskip(NEXT) | instid1(VALU_DEP_1)
	v_bfe_u32 v4, v1, 16, 1
	v_add3_u32 v1, v1, v4, 0x7fff
	global_store_d16_hi_b16 v[2:3], v1, off
.LBB71_112:
	s_mov_b32 s27, 0
.LBB71_113:
	s_delay_alu instid0(SALU_CYCLE_1)
	s_and_b32 vcc_lo, exec_lo, s27
	s_cbranch_vccz .LBB71_116
; %bb.114:
	s_cmp_eq_u32 s25, 11
	s_mov_b32 s1, -1
	s_cbranch_scc0 .LBB71_116
; %bb.115:
	s_wait_xcnt 0x0
	v_cndmask_b32_e64 v1, 0, 1, s0
	s_mov_b32 s26, -1
	s_mov_b32 s1, 0
	global_store_b8 v[2:3], v1, off
.LBB71_116:
	s_branch .LBB71_35
.LBB71_117:
	s_and_b32 s18, 0xffff, s18
	s_mov_b32 s25, -1
	s_cmp_lt_i32 s18, 5
	s_cbranch_scc1 .LBB71_138
; %bb.118:
	s_cmp_lt_i32 s18, 8
	s_cbranch_scc1 .LBB71_128
; %bb.119:
	;; [unrolled: 3-line block ×3, first 2 shown]
	s_cmp_gt_i32 s18, 9
	s_cbranch_scc0 .LBB71_122
; %bb.121:
	s_wait_xcnt 0x0
	v_cndmask_b32_e64 v1, 0, 1, s0
	v_mov_b32_e32 v6, 0
	s_mov_b32 s25, 0
	s_delay_alu instid0(VALU_DEP_2) | instskip(NEXT) | instid1(VALU_DEP_2)
	v_cvt_f64_u32_e32 v[4:5], v1
	v_mov_b32_e32 v7, v6
	global_store_b128 v[2:3], v[4:7], off
.LBB71_122:
	s_and_not1_b32 vcc_lo, exec_lo, s25
	s_cbranch_vccnz .LBB71_124
; %bb.123:
	s_wait_xcnt 0x0
	v_cndmask_b32_e64 v4, 0, 1.0, s0
	v_mov_b32_e32 v5, 0
	global_store_b64 v[2:3], v[4:5], off
.LBB71_124:
	s_mov_b32 s25, 0
.LBB71_125:
	s_delay_alu instid0(SALU_CYCLE_1)
	s_and_not1_b32 vcc_lo, exec_lo, s25
	s_cbranch_vccnz .LBB71_127
; %bb.126:
	s_wait_xcnt 0x0
	v_cndmask_b32_e64 v1, 0, 1.0, s0
	s_delay_alu instid0(VALU_DEP_1) | instskip(NEXT) | instid1(VALU_DEP_1)
	v_cvt_f16_f32_e32 v1, v1
	v_and_b32_e32 v1, 0xffff, v1
	global_store_b32 v[2:3], v1, off
.LBB71_127:
	s_mov_b32 s25, 0
.LBB71_128:
	s_delay_alu instid0(SALU_CYCLE_1)
	s_and_not1_b32 vcc_lo, exec_lo, s25
	s_cbranch_vccnz .LBB71_137
; %bb.129:
	s_cmp_lt_i32 s18, 6
	s_mov_b32 s25, -1
	s_cbranch_scc1 .LBB71_135
; %bb.130:
	s_cmp_gt_i32 s18, 6
	s_cbranch_scc0 .LBB71_132
; %bb.131:
	s_wait_xcnt 0x0
	v_cndmask_b32_e64 v1, 0, 1, s0
	s_mov_b32 s25, 0
	s_delay_alu instid0(VALU_DEP_1)
	v_cvt_f64_u32_e32 v[4:5], v1
	global_store_b64 v[2:3], v[4:5], off
.LBB71_132:
	s_and_not1_b32 vcc_lo, exec_lo, s25
	s_cbranch_vccnz .LBB71_134
; %bb.133:
	s_wait_xcnt 0x0
	v_cndmask_b32_e64 v1, 0, 1.0, s0
	global_store_b32 v[2:3], v1, off
.LBB71_134:
	s_mov_b32 s25, 0
.LBB71_135:
	s_delay_alu instid0(SALU_CYCLE_1)
	s_and_not1_b32 vcc_lo, exec_lo, s25
	s_cbranch_vccnz .LBB71_137
; %bb.136:
	s_wait_xcnt 0x0
	v_cndmask_b32_e64 v1, 0, 1.0, s0
	s_delay_alu instid0(VALU_DEP_1)
	v_cvt_f16_f32_e32 v1, v1
	global_store_b16 v[2:3], v1, off
.LBB71_137:
	s_mov_b32 s25, 0
.LBB71_138:
	s_delay_alu instid0(SALU_CYCLE_1)
	s_and_not1_b32 vcc_lo, exec_lo, s25
	s_cbranch_vccnz .LBB71_154
; %bb.139:
	s_cmp_lt_i32 s18, 2
	s_mov_b32 s25, -1
	s_cbranch_scc1 .LBB71_149
; %bb.140:
	s_cmp_lt_i32 s18, 3
	s_cbranch_scc1 .LBB71_146
; %bb.141:
	s_cmp_gt_i32 s18, 3
	s_cbranch_scc0 .LBB71_143
; %bb.142:
	s_mov_b32 s25, 0
	s_wait_xcnt 0x0
	v_cndmask_b32_e64 v4, 0, 1, s0
	v_mov_b32_e32 v5, s25
	global_store_b64 v[2:3], v[4:5], off
.LBB71_143:
	s_and_not1_b32 vcc_lo, exec_lo, s25
	s_cbranch_vccnz .LBB71_145
; %bb.144:
	s_wait_xcnt 0x0
	v_cndmask_b32_e64 v1, 0, 1, s0
	global_store_b32 v[2:3], v1, off
.LBB71_145:
	s_mov_b32 s25, 0
.LBB71_146:
	s_delay_alu instid0(SALU_CYCLE_1)
	s_and_not1_b32 vcc_lo, exec_lo, s25
	s_cbranch_vccnz .LBB71_148
; %bb.147:
	s_wait_xcnt 0x0
	v_cndmask_b32_e64 v1, 0, 1, s0
	global_store_b16 v[2:3], v1, off
.LBB71_148:
	s_mov_b32 s25, 0
.LBB71_149:
	s_delay_alu instid0(SALU_CYCLE_1)
	s_and_not1_b32 vcc_lo, exec_lo, s25
	s_cbranch_vccnz .LBB71_154
; %bb.150:
	s_cmp_gt_i32 s18, 0
	s_mov_b32 s18, -1
	s_cbranch_scc0 .LBB71_152
; %bb.151:
	s_wait_xcnt 0x0
	v_cndmask_b32_e64 v1, 0, 1, s0
	s_mov_b32 s18, 0
	global_store_b8 v[2:3], v1, off
.LBB71_152:
	s_and_not1_b32 vcc_lo, exec_lo, s18
	s_cbranch_vccnz .LBB71_154
; %bb.153:
	s_wait_xcnt 0x0
	v_cndmask_b32_e64 v1, 0, 1, s0
	global_store_b8 v[2:3], v1, off
.LBB71_154:
.LBB71_155:
	v_add_nc_u32_e32 v0, 0x80, v0
	s_mov_b32 s0, -1
	s_branch .LBB71_266
.LBB71_156:
	s_mov_b32 s24, -1
                                        ; implicit-def: $vgpr6_vgpr7
.LBB71_157:
	s_mov_b32 s18, 0
.LBB71_158:
	s_delay_alu instid0(SALU_CYCLE_1)
	s_and_b32 vcc_lo, exec_lo, s18
	s_cbranch_vccz .LBB71_162
; %bb.159:
	s_cmp_eq_u32 s0, 29
	s_cbranch_scc0 .LBB71_161
; %bb.160:
	global_load_b64 v[6:7], v[4:5], off
	s_mov_b32 s1, -1
	s_mov_b32 s24, 0
	s_mov_b32 s18, 0
	s_wait_loadcnt 0x0
	v_cvt_f64_u32_e32 v[8:9], v7
	v_cvt_f64_u32_e32 v[6:7], v6
	s_delay_alu instid0(VALU_DEP_2) | instskip(NEXT) | instid1(VALU_DEP_1)
	v_ldexp_f64 v[8:9], v[8:9], 32
	v_add_f64_e32 v[6:7], v[8:9], v[6:7]
	s_branch .LBB71_163
.LBB71_161:
	s_mov_b32 s24, -1
                                        ; implicit-def: $vgpr6_vgpr7
.LBB71_162:
	s_mov_b32 s18, 0
.LBB71_163:
	s_delay_alu instid0(SALU_CYCLE_1)
	s_and_b32 vcc_lo, exec_lo, s18
	s_cbranch_vccz .LBB71_181
; %bb.164:
	s_cmp_lt_i32 s0, 27
	s_cbranch_scc1 .LBB71_167
; %bb.165:
	s_cmp_gt_i32 s0, 27
	s_cbranch_scc0 .LBB71_168
; %bb.166:
	global_load_b32 v1, v[4:5], off
	s_mov_b32 s1, 0
	s_wait_loadcnt 0x0
	v_cvt_f64_u32_e32 v[6:7], v1
	s_branch .LBB71_169
.LBB71_167:
	s_mov_b32 s1, -1
                                        ; implicit-def: $vgpr6_vgpr7
	s_branch .LBB71_172
.LBB71_168:
	s_mov_b32 s1, -1
                                        ; implicit-def: $vgpr6_vgpr7
.LBB71_169:
	s_delay_alu instid0(SALU_CYCLE_1)
	s_and_not1_b32 vcc_lo, exec_lo, s1
	s_cbranch_vccnz .LBB71_171
; %bb.170:
	global_load_u16 v1, v[4:5], off
	s_wait_loadcnt 0x0
	v_cvt_f64_u32_e32 v[6:7], v1
.LBB71_171:
	s_mov_b32 s1, 0
.LBB71_172:
	s_delay_alu instid0(SALU_CYCLE_1)
	s_and_not1_b32 vcc_lo, exec_lo, s1
	s_cbranch_vccnz .LBB71_180
; %bb.173:
	global_load_u8 v1, v[4:5], off
	s_mov_b32 s1, 0
	s_mov_b32 s18, exec_lo
	s_wait_loadcnt 0x0
	v_cmpx_lt_i16_e32 0x7f, v1
	s_xor_b32 s18, exec_lo, s18
	s_cbranch_execz .LBB71_193
; %bb.174:
	s_mov_b32 s1, -1
	s_mov_b32 s25, exec_lo
	v_cmpx_eq_u16_e32 0x80, v1
; %bb.175:
	s_xor_b32 s1, exec_lo, -1
; %bb.176:
	s_or_b32 exec_lo, exec_lo, s25
	s_delay_alu instid0(SALU_CYCLE_1)
	s_and_b32 s1, s1, exec_lo
	s_or_saveexec_b32 s18, s18
	v_mov_b64_e32 v[6:7], 0x7ff8000020000000
	s_xor_b32 exec_lo, exec_lo, s18
	s_cbranch_execnz .LBB71_194
.LBB71_177:
	s_or_b32 exec_lo, exec_lo, s18
	s_and_saveexec_b32 s18, s1
	s_cbranch_execz .LBB71_179
.LBB71_178:
	v_and_b32_e32 v3, 0xffff, v1
	s_delay_alu instid0(VALU_DEP_1) | instskip(SKIP_1) | instid1(VALU_DEP_2)
	v_dual_lshlrev_b32 v1, 24, v1 :: v_dual_bitop2_b32 v6, 7, v3 bitop3:0x40
	v_bfe_u32 v9, v3, 3, 4
	v_and_b32_e32 v1, 0x80000000, v1
	s_delay_alu instid0(VALU_DEP_3) | instskip(NEXT) | instid1(VALU_DEP_3)
	v_clz_i32_u32_e32 v7, v6
	v_cmp_eq_u32_e32 vcc_lo, 0, v9
	s_delay_alu instid0(VALU_DEP_2) | instskip(NEXT) | instid1(VALU_DEP_1)
	v_min_u32_e32 v7, 32, v7
	v_subrev_nc_u32_e32 v8, 28, v7
	v_sub_nc_u32_e32 v7, 29, v7
	s_delay_alu instid0(VALU_DEP_2) | instskip(NEXT) | instid1(VALU_DEP_2)
	v_lshlrev_b32_e32 v3, v8, v3
	v_cndmask_b32_e32 v7, v9, v7, vcc_lo
	s_delay_alu instid0(VALU_DEP_2) | instskip(NEXT) | instid1(VALU_DEP_1)
	v_and_b32_e32 v3, 7, v3
	v_cndmask_b32_e32 v3, v6, v3, vcc_lo
	s_delay_alu instid0(VALU_DEP_3) | instskip(NEXT) | instid1(VALU_DEP_2)
	v_lshl_add_u32 v6, v7, 23, 0x3b800000
	v_lshlrev_b32_e32 v3, 20, v3
	s_delay_alu instid0(VALU_DEP_1) | instskip(NEXT) | instid1(VALU_DEP_1)
	v_or3_b32 v1, v1, v6, v3
	v_cvt_f64_f32_e32 v[6:7], v1
.LBB71_179:
	s_or_b32 exec_lo, exec_lo, s18
.LBB71_180:
	s_mov_b32 s1, -1
.LBB71_181:
	s_branch .LBB71_216
.LBB71_182:
	s_cmp_gt_i32 s0, 22
	s_cbranch_scc0 .LBB71_192
; %bb.183:
	s_cmp_lt_i32 s0, 24
	s_cbranch_scc1 .LBB71_195
; %bb.184:
	s_cmp_gt_i32 s0, 24
	s_cbranch_scc0 .LBB71_196
; %bb.185:
	global_load_u8 v1, v[4:5], off
	s_mov_b32 s1, 0
	s_mov_b32 s18, exec_lo
	s_wait_loadcnt 0x0
	v_cmpx_lt_i16_e32 0x7f, v1
	s_xor_b32 s18, exec_lo, s18
	s_cbranch_execz .LBB71_208
; %bb.186:
	s_mov_b32 s1, -1
	s_mov_b32 s25, exec_lo
	v_cmpx_eq_u16_e32 0x80, v1
; %bb.187:
	s_xor_b32 s1, exec_lo, -1
; %bb.188:
	s_or_b32 exec_lo, exec_lo, s25
	s_delay_alu instid0(SALU_CYCLE_1)
	s_and_b32 s1, s1, exec_lo
	s_or_saveexec_b32 s18, s18
	v_mov_b64_e32 v[6:7], 0x7ff8000020000000
	s_xor_b32 exec_lo, exec_lo, s18
	s_cbranch_execnz .LBB71_209
.LBB71_189:
	s_or_b32 exec_lo, exec_lo, s18
	s_and_saveexec_b32 s18, s1
	s_cbranch_execz .LBB71_191
.LBB71_190:
	v_and_b32_e32 v3, 0xffff, v1
	s_delay_alu instid0(VALU_DEP_1) | instskip(SKIP_1) | instid1(VALU_DEP_2)
	v_dual_lshlrev_b32 v1, 24, v1 :: v_dual_bitop2_b32 v6, 3, v3 bitop3:0x40
	v_bfe_u32 v9, v3, 2, 5
	v_and_b32_e32 v1, 0x80000000, v1
	s_delay_alu instid0(VALU_DEP_3) | instskip(NEXT) | instid1(VALU_DEP_3)
	v_clz_i32_u32_e32 v7, v6
	v_cmp_eq_u32_e32 vcc_lo, 0, v9
	s_delay_alu instid0(VALU_DEP_2) | instskip(NEXT) | instid1(VALU_DEP_1)
	v_min_u32_e32 v7, 32, v7
	v_subrev_nc_u32_e32 v8, 29, v7
	v_sub_nc_u32_e32 v7, 30, v7
	s_delay_alu instid0(VALU_DEP_2) | instskip(NEXT) | instid1(VALU_DEP_2)
	v_lshlrev_b32_e32 v3, v8, v3
	v_cndmask_b32_e32 v7, v9, v7, vcc_lo
	s_delay_alu instid0(VALU_DEP_2) | instskip(NEXT) | instid1(VALU_DEP_1)
	v_and_b32_e32 v3, 3, v3
	v_cndmask_b32_e32 v3, v6, v3, vcc_lo
	s_delay_alu instid0(VALU_DEP_3) | instskip(NEXT) | instid1(VALU_DEP_2)
	v_lshl_add_u32 v6, v7, 23, 0x37800000
	v_lshlrev_b32_e32 v3, 21, v3
	s_delay_alu instid0(VALU_DEP_1) | instskip(NEXT) | instid1(VALU_DEP_1)
	v_or3_b32 v1, v1, v6, v3
	v_cvt_f64_f32_e32 v[6:7], v1
.LBB71_191:
	s_or_b32 exec_lo, exec_lo, s18
	s_mov_b32 s1, 0
	s_branch .LBB71_197
.LBB71_192:
	s_mov_b32 s18, -1
                                        ; implicit-def: $vgpr6_vgpr7
	s_branch .LBB71_203
.LBB71_193:
	s_or_saveexec_b32 s18, s18
	v_mov_b64_e32 v[6:7], 0x7ff8000020000000
	s_xor_b32 exec_lo, exec_lo, s18
	s_cbranch_execz .LBB71_177
.LBB71_194:
	v_cmp_ne_u16_e32 vcc_lo, 0, v1
	v_mov_b64_e32 v[6:7], 0
	s_and_not1_b32 s1, s1, exec_lo
	s_and_b32 s25, vcc_lo, exec_lo
	s_delay_alu instid0(SALU_CYCLE_1)
	s_or_b32 s1, s1, s25
	s_or_b32 exec_lo, exec_lo, s18
	s_and_saveexec_b32 s18, s1
	s_cbranch_execnz .LBB71_178
	s_branch .LBB71_179
.LBB71_195:
	s_mov_b32 s1, -1
                                        ; implicit-def: $vgpr6_vgpr7
	s_branch .LBB71_200
.LBB71_196:
	s_mov_b32 s1, -1
                                        ; implicit-def: $vgpr6_vgpr7
.LBB71_197:
	s_delay_alu instid0(SALU_CYCLE_1)
	s_and_b32 vcc_lo, exec_lo, s1
	s_cbranch_vccz .LBB71_199
; %bb.198:
	global_load_u8 v1, v[4:5], off
	s_wait_loadcnt 0x0
	v_lshlrev_b32_e32 v1, 24, v1
	s_delay_alu instid0(VALU_DEP_1) | instskip(NEXT) | instid1(VALU_DEP_1)
	v_and_b32_e32 v3, 0x7f000000, v1
	v_clz_i32_u32_e32 v6, v3
	v_cmp_ne_u32_e32 vcc_lo, 0, v3
	v_add_nc_u32_e32 v8, 0x1000000, v3
	s_delay_alu instid0(VALU_DEP_3) | instskip(NEXT) | instid1(VALU_DEP_1)
	v_min_u32_e32 v6, 32, v6
	v_sub_nc_u32_e64 v6, v6, 4 clamp
	s_delay_alu instid0(VALU_DEP_1) | instskip(NEXT) | instid1(VALU_DEP_1)
	v_dual_lshlrev_b32 v7, v6, v3 :: v_dual_lshlrev_b32 v6, 23, v6
	v_lshrrev_b32_e32 v7, 4, v7
	s_delay_alu instid0(VALU_DEP_1) | instskip(NEXT) | instid1(VALU_DEP_1)
	v_dual_sub_nc_u32 v6, v7, v6 :: v_dual_ashrrev_i32 v7, 8, v8
	v_add_nc_u32_e32 v6, 0x3c000000, v6
	s_delay_alu instid0(VALU_DEP_1) | instskip(NEXT) | instid1(VALU_DEP_1)
	v_and_or_b32 v6, 0x7f800000, v7, v6
	v_cndmask_b32_e32 v3, 0, v6, vcc_lo
	s_delay_alu instid0(VALU_DEP_1) | instskip(NEXT) | instid1(VALU_DEP_1)
	v_and_or_b32 v1, 0x80000000, v1, v3
	v_cvt_f64_f32_e32 v[6:7], v1
.LBB71_199:
	s_mov_b32 s1, 0
.LBB71_200:
	s_delay_alu instid0(SALU_CYCLE_1)
	s_and_not1_b32 vcc_lo, exec_lo, s1
	s_cbranch_vccnz .LBB71_202
; %bb.201:
	global_load_u8 v1, v[4:5], off
	s_wait_loadcnt 0x0
	v_lshlrev_b32_e32 v3, 25, v1
	v_lshlrev_b16 v1, 8, v1
	s_delay_alu instid0(VALU_DEP_1) | instskip(SKIP_1) | instid1(VALU_DEP_2)
	v_and_or_b32 v7, 0x7f00, v1, 0.5
	v_bfe_i32 v1, v1, 0, 16
	v_add_f32_e32 v7, -0.5, v7
	v_lshrrev_b32_e32 v6, 4, v3
	v_cmp_gt_u32_e32 vcc_lo, 0x8000000, v3
	s_delay_alu instid0(VALU_DEP_2) | instskip(NEXT) | instid1(VALU_DEP_1)
	v_or_b32_e32 v6, 0x70000000, v6
	v_mul_f32_e32 v6, 0x7800000, v6
	s_delay_alu instid0(VALU_DEP_1) | instskip(NEXT) | instid1(VALU_DEP_1)
	v_cndmask_b32_e32 v3, v6, v7, vcc_lo
	v_and_or_b32 v1, 0x80000000, v1, v3
	s_delay_alu instid0(VALU_DEP_1)
	v_cvt_f64_f32_e32 v[6:7], v1
.LBB71_202:
	s_mov_b32 s18, 0
	s_mov_b32 s1, -1
.LBB71_203:
	s_and_not1_b32 vcc_lo, exec_lo, s18
	s_cbranch_vccnz .LBB71_216
; %bb.204:
	s_cmp_gt_i32 s0, 14
	s_cbranch_scc0 .LBB71_207
; %bb.205:
	s_cmp_eq_u32 s0, 15
	s_cbranch_scc0 .LBB71_210
; %bb.206:
	global_load_u16 v1, v[4:5], off
	s_mov_b32 s1, -1
	s_mov_b32 s24, 0
	s_wait_loadcnt 0x0
	v_lshlrev_b32_e32 v1, 16, v1
	s_delay_alu instid0(VALU_DEP_1)
	v_cvt_f64_f32_e32 v[6:7], v1
	s_branch .LBB71_211
.LBB71_207:
	s_mov_b32 s18, -1
                                        ; implicit-def: $vgpr6_vgpr7
	s_branch .LBB71_212
.LBB71_208:
	s_or_saveexec_b32 s18, s18
	v_mov_b64_e32 v[6:7], 0x7ff8000020000000
	s_xor_b32 exec_lo, exec_lo, s18
	s_cbranch_execz .LBB71_189
.LBB71_209:
	v_cmp_ne_u16_e32 vcc_lo, 0, v1
	v_mov_b64_e32 v[6:7], 0
	s_and_not1_b32 s1, s1, exec_lo
	s_and_b32 s25, vcc_lo, exec_lo
	s_delay_alu instid0(SALU_CYCLE_1)
	s_or_b32 s1, s1, s25
	s_or_b32 exec_lo, exec_lo, s18
	s_and_saveexec_b32 s18, s1
	s_cbranch_execnz .LBB71_190
	s_branch .LBB71_191
.LBB71_210:
	s_mov_b32 s24, -1
                                        ; implicit-def: $vgpr6_vgpr7
.LBB71_211:
	s_mov_b32 s18, 0
.LBB71_212:
	s_delay_alu instid0(SALU_CYCLE_1)
	s_and_b32 vcc_lo, exec_lo, s18
	s_cbranch_vccz .LBB71_216
; %bb.213:
	s_cmp_eq_u32 s0, 11
	s_cbranch_scc0 .LBB71_215
; %bb.214:
	global_load_u8 v1, v[4:5], off
	v_mov_b32_e32 v6, 0
	s_mov_b32 s24, 0
	s_mov_b32 s1, -1
	s_wait_loadcnt 0x0
	v_cmp_ne_u16_e32 vcc_lo, 0, v1
	v_cndmask_b32_e64 v7, 0, 0x3ff00000, vcc_lo
	s_branch .LBB71_216
.LBB71_215:
	s_mov_b32 s24, -1
                                        ; implicit-def: $vgpr6_vgpr7
.LBB71_216:
	s_branch .LBB71_25
.LBB71_217:
	s_cmp_lt_i32 s0, 5
	s_cbranch_scc1 .LBB71_222
; %bb.218:
	s_cmp_lt_i32 s0, 8
	s_cbranch_scc1 .LBB71_223
; %bb.219:
	;; [unrolled: 3-line block ×3, first 2 shown]
	s_cmp_gt_i32 s0, 9
	s_cbranch_scc0 .LBB71_225
; %bb.221:
	global_load_b64 v[6:7], v[4:5], off
	s_mov_b32 s1, 0
	s_branch .LBB71_226
.LBB71_222:
                                        ; implicit-def: $vgpr6_vgpr7
	s_branch .LBB71_244
.LBB71_223:
	s_mov_b32 s1, -1
                                        ; implicit-def: $vgpr6_vgpr7
	s_branch .LBB71_232
.LBB71_224:
	s_mov_b32 s1, -1
                                        ; implicit-def: $vgpr6_vgpr7
	s_branch .LBB71_229
.LBB71_225:
	s_mov_b32 s1, -1
                                        ; implicit-def: $vgpr6_vgpr7
.LBB71_226:
	s_delay_alu instid0(SALU_CYCLE_1)
	s_and_not1_b32 vcc_lo, exec_lo, s1
	s_cbranch_vccnz .LBB71_228
; %bb.227:
	global_load_b32 v1, v[4:5], off
	s_wait_loadcnt 0x0
	v_cvt_f64_f32_e32 v[6:7], v1
.LBB71_228:
	s_mov_b32 s1, 0
.LBB71_229:
	s_delay_alu instid0(SALU_CYCLE_1)
	s_and_not1_b32 vcc_lo, exec_lo, s1
	s_cbranch_vccnz .LBB71_231
; %bb.230:
	global_load_b32 v1, v[4:5], off
	s_wait_loadcnt 0x0
	v_cvt_f32_f16_e32 v1, v1
	s_delay_alu instid0(VALU_DEP_1)
	v_cvt_f64_f32_e32 v[6:7], v1
.LBB71_231:
	s_mov_b32 s1, 0
.LBB71_232:
	s_delay_alu instid0(SALU_CYCLE_1)
	s_and_not1_b32 vcc_lo, exec_lo, s1
	s_cbranch_vccnz .LBB71_243
; %bb.233:
	s_cmp_lt_i32 s0, 6
	s_cbranch_scc1 .LBB71_236
; %bb.234:
	s_cmp_gt_i32 s0, 6
	s_cbranch_scc0 .LBB71_237
; %bb.235:
	s_wait_loadcnt 0x0
	global_load_b64 v[6:7], v[4:5], off
	s_mov_b32 s1, 0
	s_branch .LBB71_238
.LBB71_236:
	s_mov_b32 s1, -1
                                        ; implicit-def: $vgpr6_vgpr7
	s_branch .LBB71_241
.LBB71_237:
	s_mov_b32 s1, -1
                                        ; implicit-def: $vgpr6_vgpr7
.LBB71_238:
	s_delay_alu instid0(SALU_CYCLE_1)
	s_and_not1_b32 vcc_lo, exec_lo, s1
	s_cbranch_vccnz .LBB71_240
; %bb.239:
	global_load_b32 v1, v[4:5], off
	s_wait_loadcnt 0x0
	v_cvt_f64_f32_e32 v[6:7], v1
.LBB71_240:
	s_mov_b32 s1, 0
.LBB71_241:
	s_delay_alu instid0(SALU_CYCLE_1)
	s_and_not1_b32 vcc_lo, exec_lo, s1
	s_cbranch_vccnz .LBB71_243
; %bb.242:
	global_load_u16 v1, v[4:5], off
	s_wait_loadcnt 0x0
	v_cvt_f32_f16_e32 v1, v1
	s_delay_alu instid0(VALU_DEP_1)
	v_cvt_f64_f32_e32 v[6:7], v1
.LBB71_243:
	s_cbranch_execnz .LBB71_263
.LBB71_244:
	s_cmp_lt_i32 s0, 2
	s_cbranch_scc1 .LBB71_248
; %bb.245:
	s_cmp_lt_i32 s0, 3
	s_cbranch_scc1 .LBB71_249
; %bb.246:
	s_cmp_gt_i32 s0, 3
	s_cbranch_scc0 .LBB71_250
; %bb.247:
	s_wait_loadcnt 0x0
	global_load_b64 v[6:7], v[4:5], off
	s_mov_b32 s1, 0
	s_wait_loadcnt 0x0
	v_cvt_f64_i32_e32 v[8:9], v7
	v_cvt_f64_u32_e32 v[6:7], v6
	s_delay_alu instid0(VALU_DEP_2) | instskip(NEXT) | instid1(VALU_DEP_1)
	v_ldexp_f64 v[8:9], v[8:9], 32
	v_add_f64_e32 v[6:7], v[8:9], v[6:7]
	s_branch .LBB71_251
.LBB71_248:
	s_mov_b32 s1, -1
                                        ; implicit-def: $vgpr6_vgpr7
	s_branch .LBB71_257
.LBB71_249:
	s_mov_b32 s1, -1
                                        ; implicit-def: $vgpr6_vgpr7
	s_branch .LBB71_254
.LBB71_250:
	s_mov_b32 s1, -1
                                        ; implicit-def: $vgpr6_vgpr7
.LBB71_251:
	s_delay_alu instid0(SALU_CYCLE_1)
	s_and_not1_b32 vcc_lo, exec_lo, s1
	s_cbranch_vccnz .LBB71_253
; %bb.252:
	global_load_b32 v1, v[4:5], off
	s_wait_loadcnt 0x0
	v_cvt_f64_i32_e32 v[6:7], v1
.LBB71_253:
	s_mov_b32 s1, 0
.LBB71_254:
	s_delay_alu instid0(SALU_CYCLE_1)
	s_and_not1_b32 vcc_lo, exec_lo, s1
	s_cbranch_vccnz .LBB71_256
; %bb.255:
	global_load_i16 v1, v[4:5], off
	s_wait_loadcnt 0x0
	v_cvt_f64_i32_e32 v[6:7], v1
.LBB71_256:
	s_mov_b32 s1, 0
.LBB71_257:
	s_delay_alu instid0(SALU_CYCLE_1)
	s_and_not1_b32 vcc_lo, exec_lo, s1
	s_cbranch_vccnz .LBB71_263
; %bb.258:
	s_cmp_gt_i32 s0, 0
	s_mov_b32 s0, 0
	s_cbranch_scc0 .LBB71_260
; %bb.259:
	global_load_i8 v1, v[4:5], off
	s_wait_loadcnt 0x0
	v_cvt_f64_i32_e32 v[6:7], v1
	s_branch .LBB71_261
.LBB71_260:
	s_mov_b32 s0, -1
                                        ; implicit-def: $vgpr6_vgpr7
.LBB71_261:
	s_delay_alu instid0(SALU_CYCLE_1)
	s_and_not1_b32 vcc_lo, exec_lo, s0
	s_cbranch_vccnz .LBB71_263
; %bb.262:
	global_load_u8 v1, v[4:5], off
	s_wait_loadcnt 0x0
	v_cvt_f64_u32_e32 v[6:7], v1
.LBB71_263:
	s_branch .LBB71_26
.LBB71_264:
	s_mov_b32 s1, 0
.LBB71_265:
	s_mov_b32 s0, 0
                                        ; implicit-def: $vgpr0
.LBB71_266:
	s_and_b32 s18, s1, exec_lo
	s_and_b32 s39, s24, exec_lo
	s_or_not1_b32 s25, s0, exec_lo
.LBB71_267:
	s_wait_xcnt 0x0
	s_or_b32 exec_lo, exec_lo, s40
	s_mov_b32 s24, 0
	s_mov_b32 s0, 0
                                        ; implicit-def: $vgpr4_vgpr5
                                        ; implicit-def: $vgpr2
                                        ; implicit-def: $vgpr6_vgpr7
	s_and_saveexec_b32 s40, s25
	s_cbranch_execz .LBB71_275
; %bb.268:
	s_mov_b32 s0, -1
	s_mov_b32 s41, s39
	s_mov_b32 s42, s18
	s_mov_b32 s43, exec_lo
	v_cmpx_gt_i32_e64 s36, v0
	s_cbranch_execz .LBB71_546
; %bb.269:
	s_and_not1_b32 vcc_lo, exec_lo, s31
	s_cbranch_vccnz .LBB71_278
; %bb.270:
	s_and_not1_b32 vcc_lo, exec_lo, s38
	s_cbranch_vccnz .LBB71_279
; %bb.271:
	s_add_co_i32 s1, s37, 1
	s_cmp_eq_u32 s29, 2
	s_cbranch_scc1 .LBB71_280
; %bb.272:
	v_dual_mov_b32 v2, 0 :: v_dual_mov_b32 v4, 0
	v_mov_b32_e32 v1, v0
	s_and_b32 s0, s1, 28
	s_mov_b32 s41, 0
	s_mov_b64 s[24:25], s[2:3]
	s_mov_b64 s[26:27], s[22:23]
.LBB71_273:                             ; =>This Inner Loop Header: Depth=1
	s_clause 0x1
	s_load_b256 s[44:51], s[24:25], 0x4
	s_load_b128 s[60:63], s[24:25], 0x24
	s_load_b256 s[52:59], s[26:27], 0x0
	s_add_co_i32 s41, s41, 4
	s_wait_xcnt 0x0
	s_add_nc_u64 s[24:25], s[24:25], 48
	s_cmp_eq_u32 s0, s41
	s_add_nc_u64 s[26:27], s[26:27], 32
	s_wait_kmcnt 0x0
	v_mul_hi_u32 v3, s45, v1
	s_delay_alu instid0(VALU_DEP_1) | instskip(NEXT) | instid1(VALU_DEP_1)
	v_add_nc_u32_e32 v3, v1, v3
	v_lshrrev_b32_e32 v3, s46, v3
	s_delay_alu instid0(VALU_DEP_1) | instskip(NEXT) | instid1(VALU_DEP_1)
	v_mul_hi_u32 v5, s48, v3
	v_add_nc_u32_e32 v5, v3, v5
	s_delay_alu instid0(VALU_DEP_1) | instskip(SKIP_1) | instid1(VALU_DEP_1)
	v_lshrrev_b32_e32 v5, s49, v5
	s_wait_loadcnt 0x0
	v_mul_hi_u32 v6, s51, v5
	s_delay_alu instid0(VALU_DEP_1) | instskip(SKIP_1) | instid1(VALU_DEP_1)
	v_add_nc_u32_e32 v6, v5, v6
	v_mul_lo_u32 v7, v3, s44
	v_sub_nc_u32_e32 v1, v1, v7
	v_mul_lo_u32 v7, v5, s47
	s_delay_alu instid0(VALU_DEP_4) | instskip(NEXT) | instid1(VALU_DEP_3)
	v_lshrrev_b32_e32 v6, s60, v6
	v_mad_u32 v4, v1, s53, v4
	v_mad_u32 v1, v1, s52, v2
	s_delay_alu instid0(VALU_DEP_4) | instskip(NEXT) | instid1(VALU_DEP_4)
	v_sub_nc_u32_e32 v2, v3, v7
	v_mul_hi_u32 v8, s62, v6
	v_mul_lo_u32 v3, v6, s50
	s_delay_alu instid0(VALU_DEP_3) | instskip(SKIP_1) | instid1(VALU_DEP_3)
	v_mad_u32 v4, v2, s55, v4
	v_mad_u32 v2, v2, s54, v1
	v_dual_add_nc_u32 v7, v6, v8 :: v_dual_sub_nc_u32 v3, v5, v3
	s_delay_alu instid0(VALU_DEP_1) | instskip(NEXT) | instid1(VALU_DEP_2)
	v_lshrrev_b32_e32 v1, s63, v7
	v_mad_u32 v4, v3, s57, v4
	s_delay_alu instid0(VALU_DEP_4) | instskip(NEXT) | instid1(VALU_DEP_3)
	v_mad_u32 v2, v3, s56, v2
	v_mul_lo_u32 v5, v1, s61
	s_delay_alu instid0(VALU_DEP_1) | instskip(NEXT) | instid1(VALU_DEP_1)
	v_sub_nc_u32_e32 v3, v6, v5
	v_mad_u32 v4, v3, s59, v4
	s_delay_alu instid0(VALU_DEP_4)
	v_mad_u32 v2, v3, s58, v2
	s_cbranch_scc0 .LBB71_273
; %bb.274:
	s_delay_alu instid0(VALU_DEP_2)
	v_mov_b32_e32 v3, v4
	s_branch .LBB71_281
.LBB71_275:
	s_or_b32 exec_lo, exec_lo, s40
	s_mov_b32 s1, 0
	s_and_saveexec_b32 s6, s39
	s_cbranch_execnz .LBB71_928
.LBB71_276:
	s_or_b32 exec_lo, exec_lo, s6
	s_and_saveexec_b32 s6, s17
	s_delay_alu instid0(SALU_CYCLE_1)
	s_xor_b32 s6, exec_lo, s6
	s_cbranch_execz .LBB71_929
.LBB71_277:
	global_load_u8 v0, v[4:5], off
	s_wait_loadcnt 0x1
	v_mov_b32_e32 v6, 0
	s_or_b32 s0, s0, exec_lo
	s_wait_loadcnt 0x0
	v_cmp_ne_u16_e32 vcc_lo, 0, v0
	v_cndmask_b32_e64 v7, 0, 0x3ff00000, vcc_lo
	s_wait_xcnt 0x0
	s_or_b32 exec_lo, exec_lo, s6
	s_and_saveexec_b32 s6, s24
	s_cbranch_execz .LBB71_975
	s_branch .LBB71_930
.LBB71_278:
                                        ; implicit-def: $vgpr4
                                        ; implicit-def: $vgpr2
	s_and_not1_b32 vcc_lo, exec_lo, s0
	s_cbranch_vccnz .LBB71_288
	s_branch .LBB71_286
.LBB71_279:
	v_dual_mov_b32 v4, 0 :: v_dual_mov_b32 v2, 0
	s_branch .LBB71_285
.LBB71_280:
	v_mov_b64_e32 v[2:3], 0
	v_mov_b32_e32 v1, v0
	s_mov_b32 s0, 0
                                        ; implicit-def: $vgpr4
.LBB71_281:
	s_and_b32 s26, s1, 3
	s_mov_b32 s1, 0
	s_cmp_eq_u32 s26, 0
	s_cbranch_scc1 .LBB71_285
; %bb.282:
	s_lshl_b32 s24, s0, 3
	s_mov_b32 s25, s1
	s_mul_u64 s[44:45], s[0:1], 12
	s_add_nc_u64 s[24:25], s[2:3], s[24:25]
	s_delay_alu instid0(SALU_CYCLE_1)
	s_add_nc_u64 s[0:1], s[24:25], 0xc4
	s_add_nc_u64 s[24:25], s[2:3], s[44:45]
.LBB71_283:                             ; =>This Inner Loop Header: Depth=1
	s_load_b96 s[44:46], s[24:25], 0x4
	s_add_co_i32 s26, s26, -1
	s_wait_xcnt 0x0
	s_add_nc_u64 s[24:25], s[24:25], 12
	s_cmp_lg_u32 s26, 0
	s_wait_kmcnt 0x0
	v_mul_hi_u32 v4, s45, v1
	s_delay_alu instid0(VALU_DEP_1) | instskip(NEXT) | instid1(VALU_DEP_1)
	v_add_nc_u32_e32 v4, v1, v4
	v_lshrrev_b32_e32 v4, s46, v4
	s_load_b64 s[46:47], s[0:1], 0x0
	s_wait_xcnt 0x0
	s_add_nc_u64 s[0:1], s[0:1], 8
	s_delay_alu instid0(VALU_DEP_1) | instskip(NEXT) | instid1(VALU_DEP_1)
	v_mul_lo_u32 v5, v4, s44
	v_sub_nc_u32_e32 v1, v1, v5
	s_wait_kmcnt 0x0
	s_delay_alu instid0(VALU_DEP_1)
	v_mad_u32 v3, v1, s47, v3
	v_mad_u32 v2, v1, s46, v2
	v_mov_b32_e32 v1, v4
	s_cbranch_scc1 .LBB71_283
; %bb.284:
	s_delay_alu instid0(VALU_DEP_3)
	v_mov_b32_e32 v4, v3
.LBB71_285:
	s_cbranch_execnz .LBB71_288
.LBB71_286:
	v_mov_b32_e32 v1, 0
	s_and_not1_b32 vcc_lo, exec_lo, s35
	s_delay_alu instid0(VALU_DEP_1) | instskip(NEXT) | instid1(VALU_DEP_1)
	v_mul_u64_e32 v[2:3], s[16:17], v[0:1]
	v_add_nc_u32_e32 v2, v0, v3
	s_wait_loadcnt 0x0
	s_delay_alu instid0(VALU_DEP_1) | instskip(NEXT) | instid1(VALU_DEP_1)
	v_lshrrev_b32_e32 v6, s14, v2
	v_mul_lo_u32 v2, v6, s12
	s_delay_alu instid0(VALU_DEP_1) | instskip(NEXT) | instid1(VALU_DEP_1)
	v_sub_nc_u32_e32 v2, v0, v2
	v_mul_lo_u32 v4, v2, s9
	v_mul_lo_u32 v2, v2, s8
	s_cbranch_vccnz .LBB71_288
; %bb.287:
	v_mov_b32_e32 v7, v1
	s_delay_alu instid0(VALU_DEP_1) | instskip(NEXT) | instid1(VALU_DEP_1)
	v_mul_u64_e32 v[8:9], s[20:21], v[6:7]
	v_add_nc_u32_e32 v1, v6, v9
	s_delay_alu instid0(VALU_DEP_1) | instskip(NEXT) | instid1(VALU_DEP_1)
	v_lshrrev_b32_e32 v1, s19, v1
	v_mul_lo_u32 v1, v1, s15
	s_delay_alu instid0(VALU_DEP_1) | instskip(NEXT) | instid1(VALU_DEP_1)
	v_sub_nc_u32_e32 v1, v6, v1
	v_mad_u32 v2, v1, s10, v2
	v_mad_u32 v4, v1, s11, v4
.LBB71_288:
	v_mov_b32_e32 v5, 0
	s_and_b32 s0, 0xffff, s13
	s_delay_alu instid0(SALU_CYCLE_1) | instskip(NEXT) | instid1(VALU_DEP_1)
	s_cmp_lt_i32 s0, 11
	v_add_nc_u64_e32 v[4:5], s[6:7], v[4:5]
	s_cbranch_scc1 .LBB71_295
; %bb.289:
	s_cmp_gt_i32 s0, 25
	s_cbranch_scc0 .LBB71_304
; %bb.290:
	s_cmp_gt_i32 s0, 28
	s_cbranch_scc0 .LBB71_306
	;; [unrolled: 3-line block ×4, first 2 shown]
; %bb.293:
	s_cmp_eq_u32 s0, 46
	s_mov_b32 s25, 0
	s_cbranch_scc0 .LBB71_316
; %bb.294:
	global_load_b32 v1, v[4:5], off
	s_mov_b32 s1, -1
	s_mov_b32 s24, 0
	s_wait_loadcnt 0x0
	v_lshlrev_b32_e32 v1, 16, v1
	s_delay_alu instid0(VALU_DEP_1)
	v_cvt_f64_f32_e32 v[6:7], v1
	s_branch .LBB71_318
.LBB71_295:
	s_mov_b32 s1, 0
	s_mov_b32 s24, s39
                                        ; implicit-def: $vgpr6_vgpr7
	s_cbranch_execnz .LBB71_495
.LBB71_296:
	s_and_not1_b32 vcc_lo, exec_lo, s1
	s_cbranch_vccnz .LBB71_543
.LBB71_297:
	s_wait_loadcnt 0x0
	s_delay_alu instid0(VALU_DEP_1) | instskip(SKIP_2) | instid1(SALU_CYCLE_1)
	v_cmp_eq_f64_e64 s0, 0xfff00000, v[6:7]
	v_mov_b32_e32 v3, 0
	s_and_b32 s25, s34, 0xff
	s_cmp_lt_i32 s25, 11
	s_delay_alu instid0(VALU_DEP_1)
	v_add_nc_u64_e32 v[2:3], s[4:5], v[2:3]
	s_cbranch_scc1 .LBB71_305
; %bb.298:
	s_and_b32 s26, 0xffff, s25
	s_delay_alu instid0(SALU_CYCLE_1)
	s_cmp_gt_i32 s26, 25
	s_cbranch_scc0 .LBB71_307
; %bb.299:
	s_cmp_gt_i32 s26, 28
	s_cbranch_scc0 .LBB71_309
; %bb.300:
	;; [unrolled: 3-line block ×4, first 2 shown]
	s_mov_b32 s41, 0
	s_mov_b32 s1, -1
	s_cmp_eq_u32 s26, 46
	s_mov_b32 s27, 0
	s_cbranch_scc0 .LBB71_322
; %bb.303:
	v_cndmask_b32_e64 v1, 0, 1.0, s0
	s_mov_b32 s27, -1
	s_mov_b32 s1, 0
	s_wait_xcnt 0x0
	s_delay_alu instid0(VALU_DEP_1) | instskip(NEXT) | instid1(VALU_DEP_1)
	v_bfe_u32 v4, v1, 16, 1
	v_add3_u32 v1, v1, v4, 0x7fff
	s_delay_alu instid0(VALU_DEP_1)
	v_lshrrev_b32_e32 v1, 16, v1
	global_store_b32 v[2:3], v1, off
	s_branch .LBB71_322
.LBB71_304:
	s_mov_b32 s25, -1
	s_mov_b32 s1, 0
	s_mov_b32 s24, s39
                                        ; implicit-def: $vgpr6_vgpr7
	s_branch .LBB71_459
.LBB71_305:
	s_mov_b32 s26, -1
	s_mov_b32 s27, 0
	s_mov_b32 s1, s18
	s_branch .LBB71_391
.LBB71_306:
	s_mov_b32 s25, -1
	s_mov_b32 s1, 0
	s_mov_b32 s24, s39
                                        ; implicit-def: $vgpr6_vgpr7
	s_branch .LBB71_440
.LBB71_307:
	s_mov_b32 s41, -1
	s_mov_b32 s27, 0
	s_mov_b32 s1, s18
	s_branch .LBB71_349
.LBB71_308:
	s_mov_b32 s25, -1
	s_mov_b32 s1, 0
	s_mov_b32 s24, s39
                                        ; implicit-def: $vgpr6_vgpr7
	s_branch .LBB71_435
.LBB71_309:
	s_mov_b32 s41, -1
	s_mov_b32 s27, 0
	s_mov_b32 s1, s18
	s_branch .LBB71_332
.LBB71_310:
	s_and_not1_saveexec_b32 s39, s39
	s_cbranch_execz .LBB71_69
.LBB71_311:
	v_add_f32_e32 v1, 0x46000000, v4
	s_and_not1_b32 s27, s27, exec_lo
	s_delay_alu instid0(VALU_DEP_1) | instskip(NEXT) | instid1(VALU_DEP_1)
	v_and_b32_e32 v1, 0xff, v1
	v_cmp_ne_u32_e32 vcc_lo, 0, v1
	s_and_b32 s41, vcc_lo, exec_lo
	s_delay_alu instid0(SALU_CYCLE_1)
	s_or_b32 s27, s27, s41
	s_or_b32 exec_lo, exec_lo, s39
	v_mov_b32_e32 v5, 0
	s_and_saveexec_b32 s39, s27
	s_cbranch_execnz .LBB71_70
	s_branch .LBB71_71
.LBB71_312:
	s_mov_b32 s25, -1
	s_mov_b32 s1, 0
	s_mov_b32 s24, s39
	s_branch .LBB71_317
.LBB71_313:
	s_mov_b32 s41, -1
	s_mov_b32 s27, 0
	s_mov_b32 s1, s18
	s_branch .LBB71_328
.LBB71_314:
	s_and_not1_saveexec_b32 s39, s39
	s_cbranch_execz .LBB71_82
.LBB71_315:
	v_add_f32_e32 v1, 0x42800000, v4
	s_and_not1_b32 s27, s27, exec_lo
	s_delay_alu instid0(VALU_DEP_1) | instskip(NEXT) | instid1(VALU_DEP_1)
	v_and_b32_e32 v1, 0xff, v1
	v_cmp_ne_u32_e32 vcc_lo, 0, v1
	s_and_b32 s41, vcc_lo, exec_lo
	s_delay_alu instid0(SALU_CYCLE_1)
	s_or_b32 s27, s27, s41
	s_or_b32 exec_lo, exec_lo, s39
	v_mov_b32_e32 v5, 0
	s_and_saveexec_b32 s39, s27
	s_cbranch_execnz .LBB71_83
	s_branch .LBB71_84
.LBB71_316:
	s_mov_b32 s24, -1
	s_mov_b32 s1, 0
.LBB71_317:
                                        ; implicit-def: $vgpr6_vgpr7
.LBB71_318:
	s_and_b32 vcc_lo, exec_lo, s25
	s_cbranch_vccz .LBB71_434
; %bb.319:
	s_cmp_eq_u32 s0, 44
	s_cbranch_scc0 .LBB71_433
; %bb.320:
	global_load_u8 v1, v[4:5], off
	s_mov_b32 s24, 0
	s_mov_b32 s1, -1
	s_wait_loadcnt 0x0
	v_cmp_ne_u32_e32 vcc_lo, 0xff, v1
	v_lshlrev_b32_e32 v3, 23, v1
	s_delay_alu instid0(VALU_DEP_1) | instskip(NEXT) | instid1(VALU_DEP_1)
	v_cvt_f64_f32_e32 v[6:7], v3
	v_cndmask_b32_e32 v3, 0x20000000, v6, vcc_lo
	s_delay_alu instid0(VALU_DEP_2) | instskip(SKIP_1) | instid1(VALU_DEP_2)
	v_cndmask_b32_e32 v6, 0x7ff80000, v7, vcc_lo
	v_cmp_ne_u32_e32 vcc_lo, 0, v1
	v_cndmask_b32_e32 v7, 0x38000000, v6, vcc_lo
	s_delay_alu instid0(VALU_DEP_4)
	v_cndmask_b32_e32 v6, 0, v3, vcc_lo
	s_branch .LBB71_434
.LBB71_321:
	s_mov_b32 s41, -1
	s_mov_b32 s27, 0
	s_mov_b32 s1, s18
.LBB71_322:
	s_and_b32 vcc_lo, exec_lo, s41
	s_cbranch_vccz .LBB71_327
; %bb.323:
	s_cmp_eq_u32 s26, 44
	s_mov_b32 s1, -1
	s_cbranch_scc0 .LBB71_327
; %bb.324:
	s_wait_xcnt 0x0
	v_cndmask_b32_e64 v5, 0, 1.0, s0
	s_mov_b32 s27, exec_lo
	s_delay_alu instid0(VALU_DEP_1) | instskip(NEXT) | instid1(VALU_DEP_1)
	v_dual_mov_b32 v4, 0xff :: v_dual_lshrrev_b32 v1, 23, v5
	v_cmpx_ne_u32_e32 0xff, v1
; %bb.325:
	v_and_b32_e32 v4, 0x400000, v5
	v_and_or_b32 v5, 0x3fffff, v5, v1
	s_delay_alu instid0(VALU_DEP_2) | instskip(NEXT) | instid1(VALU_DEP_2)
	v_cmp_ne_u32_e32 vcc_lo, 0, v4
	v_cmp_ne_u32_e64 s1, 0, v5
	s_and_b32 s1, vcc_lo, s1
	s_delay_alu instid0(SALU_CYCLE_1) | instskip(NEXT) | instid1(VALU_DEP_1)
	v_cndmask_b32_e64 v4, 0, 1, s1
	v_add_nc_u32_e32 v4, v1, v4
; %bb.326:
	s_or_b32 exec_lo, exec_lo, s27
	s_mov_b32 s27, -1
	s_mov_b32 s1, 0
	global_store_b8 v[2:3], v4, off
.LBB71_327:
	s_mov_b32 s41, 0
.LBB71_328:
	s_delay_alu instid0(SALU_CYCLE_1)
	s_and_b32 vcc_lo, exec_lo, s41
	s_cbranch_vccz .LBB71_331
; %bb.329:
	s_cmp_eq_u32 s26, 29
	s_mov_b32 s1, -1
	s_cbranch_scc0 .LBB71_331
; %bb.330:
	s_mov_b32 s1, 0
	s_wait_xcnt 0x0
	v_cndmask_b32_e64 v4, 0, 1, s0
	v_mov_b32_e32 v5, s1
	s_mov_b32 s27, -1
	s_mov_b32 s41, 0
	global_store_b64 v[2:3], v[4:5], off
	s_branch .LBB71_332
.LBB71_331:
	s_mov_b32 s41, 0
.LBB71_332:
	s_delay_alu instid0(SALU_CYCLE_1)
	s_and_b32 vcc_lo, exec_lo, s41
	s_cbranch_vccz .LBB71_348
; %bb.333:
	s_cmp_lt_i32 s26, 27
	s_mov_b32 s27, -1
	s_cbranch_scc1 .LBB71_339
; %bb.334:
	s_cmp_gt_i32 s26, 27
	s_cbranch_scc0 .LBB71_336
; %bb.335:
	s_wait_xcnt 0x0
	v_cndmask_b32_e64 v1, 0, 1, s0
	s_mov_b32 s27, 0
	global_store_b32 v[2:3], v1, off
.LBB71_336:
	s_and_not1_b32 vcc_lo, exec_lo, s27
	s_cbranch_vccnz .LBB71_338
; %bb.337:
	s_wait_xcnt 0x0
	v_cndmask_b32_e64 v1, 0, 1, s0
	global_store_b16 v[2:3], v1, off
.LBB71_338:
	s_mov_b32 s27, 0
.LBB71_339:
	s_delay_alu instid0(SALU_CYCLE_1)
	s_and_not1_b32 vcc_lo, exec_lo, s27
	s_cbranch_vccnz .LBB71_347
; %bb.340:
	s_wait_xcnt 0x0
	v_cndmask_b32_e64 v4, 0, 1.0, s0
	v_mov_b32_e32 v5, 0x80
	s_mov_b32 s27, exec_lo
	s_delay_alu instid0(VALU_DEP_2)
	v_cmpx_gt_u32_e32 0x43800000, v4
	s_cbranch_execz .LBB71_346
; %bb.341:
	s_mov_b32 s41, 0
	s_mov_b32 s42, exec_lo
                                        ; implicit-def: $vgpr1
	v_cmpx_lt_u32_e32 0x3bffffff, v4
	s_xor_b32 s42, exec_lo, s42
	s_cbranch_execz .LBB71_576
; %bb.342:
	v_bfe_u32 v1, v4, 20, 1
	s_mov_b32 s41, exec_lo
	s_delay_alu instid0(VALU_DEP_1) | instskip(NEXT) | instid1(VALU_DEP_1)
	v_add3_u32 v1, v4, v1, 0x487ffff
                                        ; implicit-def: $vgpr4
	v_lshrrev_b32_e32 v1, 20, v1
	s_and_not1_saveexec_b32 s42, s42
	s_cbranch_execnz .LBB71_577
.LBB71_343:
	s_or_b32 exec_lo, exec_lo, s42
	v_mov_b32_e32 v5, 0
	s_and_saveexec_b32 s42, s41
.LBB71_344:
	v_mov_b32_e32 v5, v1
.LBB71_345:
	s_or_b32 exec_lo, exec_lo, s42
.LBB71_346:
	s_delay_alu instid0(SALU_CYCLE_1)
	s_or_b32 exec_lo, exec_lo, s27
	global_store_b8 v[2:3], v5, off
.LBB71_347:
	s_mov_b32 s27, -1
.LBB71_348:
	s_mov_b32 s41, 0
.LBB71_349:
	s_delay_alu instid0(SALU_CYCLE_1)
	s_and_b32 vcc_lo, exec_lo, s41
	s_cbranch_vccz .LBB71_390
; %bb.350:
	s_cmp_gt_i32 s26, 22
	s_mov_b32 s41, -1
	s_cbranch_scc0 .LBB71_382
; %bb.351:
	s_cmp_lt_i32 s26, 24
	s_mov_b32 s27, -1
	s_cbranch_scc1 .LBB71_371
; %bb.352:
	s_cmp_gt_i32 s26, 24
	s_cbranch_scc0 .LBB71_360
; %bb.353:
	s_wait_xcnt 0x0
	v_cndmask_b32_e64 v4, 0, 1.0, s0
	v_mov_b32_e32 v5, 0x80
	s_mov_b32 s27, exec_lo
	s_delay_alu instid0(VALU_DEP_2)
	v_cmpx_gt_u32_e32 0x47800000, v4
	s_cbranch_execz .LBB71_359
; %bb.354:
	s_mov_b32 s41, 0
	s_mov_b32 s42, exec_lo
                                        ; implicit-def: $vgpr1
	v_cmpx_lt_u32_e32 0x37ffffff, v4
	s_xor_b32 s42, exec_lo, s42
	s_cbranch_execz .LBB71_579
; %bb.355:
	v_bfe_u32 v1, v4, 21, 1
	s_mov_b32 s41, exec_lo
	s_delay_alu instid0(VALU_DEP_1) | instskip(NEXT) | instid1(VALU_DEP_1)
	v_add3_u32 v1, v4, v1, 0x88fffff
                                        ; implicit-def: $vgpr4
	v_lshrrev_b32_e32 v1, 21, v1
	s_and_not1_saveexec_b32 s42, s42
	s_cbranch_execnz .LBB71_580
.LBB71_356:
	s_or_b32 exec_lo, exec_lo, s42
	v_mov_b32_e32 v5, 0
	s_and_saveexec_b32 s42, s41
.LBB71_357:
	v_mov_b32_e32 v5, v1
.LBB71_358:
	s_or_b32 exec_lo, exec_lo, s42
.LBB71_359:
	s_delay_alu instid0(SALU_CYCLE_1)
	s_or_b32 exec_lo, exec_lo, s27
	s_mov_b32 s27, 0
	global_store_b8 v[2:3], v5, off
.LBB71_360:
	s_and_b32 vcc_lo, exec_lo, s27
	s_cbranch_vccz .LBB71_370
; %bb.361:
	s_wait_xcnt 0x0
	v_cndmask_b32_e64 v4, 0, 1.0, s0
	s_mov_b32 s27, exec_lo
                                        ; implicit-def: $vgpr1
	s_delay_alu instid0(VALU_DEP_1)
	v_cmpx_gt_u32_e32 0x43f00000, v4
	s_xor_b32 s27, exec_lo, s27
	s_cbranch_execz .LBB71_367
; %bb.362:
	s_mov_b32 s41, exec_lo
                                        ; implicit-def: $vgpr1
	v_cmpx_lt_u32_e32 0x3c7fffff, v4
	s_xor_b32 s41, exec_lo, s41
; %bb.363:
	v_bfe_u32 v1, v4, 20, 1
	s_delay_alu instid0(VALU_DEP_1) | instskip(NEXT) | instid1(VALU_DEP_1)
	v_add3_u32 v1, v4, v1, 0x407ffff
	v_and_b32_e32 v4, 0xff00000, v1
	v_lshrrev_b32_e32 v1, 20, v1
	s_delay_alu instid0(VALU_DEP_2) | instskip(NEXT) | instid1(VALU_DEP_2)
	v_cmp_ne_u32_e32 vcc_lo, 0x7f00000, v4
                                        ; implicit-def: $vgpr4
	v_cndmask_b32_e32 v1, 0x7e, v1, vcc_lo
; %bb.364:
	s_and_not1_saveexec_b32 s41, s41
; %bb.365:
	v_add_f32_e32 v1, 0x46800000, v4
; %bb.366:
	s_or_b32 exec_lo, exec_lo, s41
                                        ; implicit-def: $vgpr4
.LBB71_367:
	s_and_not1_saveexec_b32 s27, s27
; %bb.368:
	v_mov_b32_e32 v1, 0x7f
	v_cmp_lt_u32_e32 vcc_lo, 0x7f800000, v4
	s_delay_alu instid0(VALU_DEP_2)
	v_cndmask_b32_e32 v1, 0x7e, v1, vcc_lo
; %bb.369:
	s_or_b32 exec_lo, exec_lo, s27
	global_store_b8 v[2:3], v1, off
.LBB71_370:
	s_mov_b32 s27, 0
.LBB71_371:
	s_delay_alu instid0(SALU_CYCLE_1)
	s_and_not1_b32 vcc_lo, exec_lo, s27
	s_cbranch_vccnz .LBB71_381
; %bb.372:
	s_wait_xcnt 0x0
	v_cndmask_b32_e64 v4, 0, 1.0, s0
	s_mov_b32 s27, exec_lo
                                        ; implicit-def: $vgpr1
	s_delay_alu instid0(VALU_DEP_1)
	v_cmpx_gt_u32_e32 0x47800000, v4
	s_xor_b32 s27, exec_lo, s27
	s_cbranch_execz .LBB71_378
; %bb.373:
	s_mov_b32 s41, exec_lo
                                        ; implicit-def: $vgpr1
	v_cmpx_lt_u32_e32 0x387fffff, v4
	s_xor_b32 s41, exec_lo, s41
; %bb.374:
	v_bfe_u32 v1, v4, 21, 1
	s_delay_alu instid0(VALU_DEP_1) | instskip(NEXT) | instid1(VALU_DEP_1)
	v_add3_u32 v1, v4, v1, 0x80fffff
                                        ; implicit-def: $vgpr4
	v_lshrrev_b32_e32 v1, 21, v1
; %bb.375:
	s_and_not1_saveexec_b32 s41, s41
; %bb.376:
	v_add_f32_e32 v1, 0x43000000, v4
; %bb.377:
	s_or_b32 exec_lo, exec_lo, s41
                                        ; implicit-def: $vgpr4
.LBB71_378:
	s_and_not1_saveexec_b32 s27, s27
; %bb.379:
	v_mov_b32_e32 v1, 0x7f
	v_cmp_lt_u32_e32 vcc_lo, 0x7f800000, v4
	s_delay_alu instid0(VALU_DEP_2)
	v_cndmask_b32_e32 v1, 0x7c, v1, vcc_lo
; %bb.380:
	s_or_b32 exec_lo, exec_lo, s27
	global_store_b8 v[2:3], v1, off
.LBB71_381:
	s_mov_b32 s41, 0
	s_mov_b32 s27, -1
.LBB71_382:
	s_and_not1_b32 vcc_lo, exec_lo, s41
	s_cbranch_vccnz .LBB71_390
; %bb.383:
	s_cmp_gt_i32 s26, 14
	s_mov_b32 s41, -1
	s_cbranch_scc0 .LBB71_387
; %bb.384:
	s_cmp_eq_u32 s26, 15
	s_mov_b32 s1, -1
	s_cbranch_scc0 .LBB71_386
; %bb.385:
	s_wait_xcnt 0x0
	v_cndmask_b32_e64 v1, 0, 1.0, s0
	s_mov_b32 s27, -1
	s_mov_b32 s1, 0
	s_delay_alu instid0(VALU_DEP_1) | instskip(NEXT) | instid1(VALU_DEP_1)
	v_bfe_u32 v4, v1, 16, 1
	v_add3_u32 v1, v1, v4, 0x7fff
	global_store_d16_hi_b16 v[2:3], v1, off
.LBB71_386:
	s_mov_b32 s41, 0
.LBB71_387:
	s_delay_alu instid0(SALU_CYCLE_1)
	s_and_b32 vcc_lo, exec_lo, s41
	s_cbranch_vccz .LBB71_390
; %bb.388:
	s_cmp_eq_u32 s26, 11
	s_mov_b32 s1, -1
	s_cbranch_scc0 .LBB71_390
; %bb.389:
	s_wait_xcnt 0x0
	v_cndmask_b32_e64 v1, 0, 1, s0
	s_mov_b32 s27, -1
	s_mov_b32 s1, 0
	global_store_b8 v[2:3], v1, off
.LBB71_390:
	s_mov_b32 s26, 0
.LBB71_391:
	s_delay_alu instid0(SALU_CYCLE_1)
	s_and_b32 vcc_lo, exec_lo, s26
	s_cbranch_vccz .LBB71_430
; %bb.392:
	s_and_b32 s25, 0xffff, s25
	s_mov_b32 s26, -1
	s_cmp_lt_i32 s25, 5
	s_cbranch_scc1 .LBB71_413
; %bb.393:
	s_cmp_lt_i32 s25, 8
	s_cbranch_scc1 .LBB71_403
; %bb.394:
	;; [unrolled: 3-line block ×3, first 2 shown]
	s_cmp_gt_i32 s25, 9
	s_cbranch_scc0 .LBB71_397
; %bb.396:
	s_wait_xcnt 0x0
	v_cndmask_b32_e64 v1, 0, 1, s0
	v_mov_b32_e32 v6, 0
	s_mov_b32 s26, 0
	s_delay_alu instid0(VALU_DEP_2) | instskip(NEXT) | instid1(VALU_DEP_2)
	v_cvt_f64_u32_e32 v[4:5], v1
	v_mov_b32_e32 v7, v6
	global_store_b128 v[2:3], v[4:7], off
.LBB71_397:
	s_and_not1_b32 vcc_lo, exec_lo, s26
	s_cbranch_vccnz .LBB71_399
; %bb.398:
	s_wait_xcnt 0x0
	v_cndmask_b32_e64 v4, 0, 1.0, s0
	v_mov_b32_e32 v5, 0
	global_store_b64 v[2:3], v[4:5], off
.LBB71_399:
	s_mov_b32 s26, 0
.LBB71_400:
	s_delay_alu instid0(SALU_CYCLE_1)
	s_and_not1_b32 vcc_lo, exec_lo, s26
	s_cbranch_vccnz .LBB71_402
; %bb.401:
	s_wait_xcnt 0x0
	v_cndmask_b32_e64 v1, 0, 1.0, s0
	s_delay_alu instid0(VALU_DEP_1) | instskip(NEXT) | instid1(VALU_DEP_1)
	v_cvt_f16_f32_e32 v1, v1
	v_and_b32_e32 v1, 0xffff, v1
	global_store_b32 v[2:3], v1, off
.LBB71_402:
	s_mov_b32 s26, 0
.LBB71_403:
	s_delay_alu instid0(SALU_CYCLE_1)
	s_and_not1_b32 vcc_lo, exec_lo, s26
	s_cbranch_vccnz .LBB71_412
; %bb.404:
	s_cmp_lt_i32 s25, 6
	s_mov_b32 s26, -1
	s_cbranch_scc1 .LBB71_410
; %bb.405:
	s_cmp_gt_i32 s25, 6
	s_cbranch_scc0 .LBB71_407
; %bb.406:
	s_wait_xcnt 0x0
	v_cndmask_b32_e64 v1, 0, 1, s0
	s_mov_b32 s26, 0
	s_delay_alu instid0(VALU_DEP_1)
	v_cvt_f64_u32_e32 v[4:5], v1
	global_store_b64 v[2:3], v[4:5], off
.LBB71_407:
	s_and_not1_b32 vcc_lo, exec_lo, s26
	s_cbranch_vccnz .LBB71_409
; %bb.408:
	s_wait_xcnt 0x0
	v_cndmask_b32_e64 v1, 0, 1.0, s0
	global_store_b32 v[2:3], v1, off
.LBB71_409:
	s_mov_b32 s26, 0
.LBB71_410:
	s_delay_alu instid0(SALU_CYCLE_1)
	s_and_not1_b32 vcc_lo, exec_lo, s26
	s_cbranch_vccnz .LBB71_412
; %bb.411:
	s_wait_xcnt 0x0
	v_cndmask_b32_e64 v1, 0, 1.0, s0
	s_delay_alu instid0(VALU_DEP_1)
	v_cvt_f16_f32_e32 v1, v1
	global_store_b16 v[2:3], v1, off
.LBB71_412:
	s_mov_b32 s26, 0
.LBB71_413:
	s_delay_alu instid0(SALU_CYCLE_1)
	s_and_not1_b32 vcc_lo, exec_lo, s26
	s_cbranch_vccnz .LBB71_429
; %bb.414:
	s_cmp_lt_i32 s25, 2
	s_mov_b32 s26, -1
	s_cbranch_scc1 .LBB71_424
; %bb.415:
	s_cmp_lt_i32 s25, 3
	s_cbranch_scc1 .LBB71_421
; %bb.416:
	s_cmp_gt_i32 s25, 3
	s_cbranch_scc0 .LBB71_418
; %bb.417:
	s_mov_b32 s26, 0
	s_wait_xcnt 0x0
	v_cndmask_b32_e64 v4, 0, 1, s0
	v_mov_b32_e32 v5, s26
	global_store_b64 v[2:3], v[4:5], off
.LBB71_418:
	s_and_not1_b32 vcc_lo, exec_lo, s26
	s_cbranch_vccnz .LBB71_420
; %bb.419:
	s_wait_xcnt 0x0
	v_cndmask_b32_e64 v1, 0, 1, s0
	global_store_b32 v[2:3], v1, off
.LBB71_420:
	s_mov_b32 s26, 0
.LBB71_421:
	s_delay_alu instid0(SALU_CYCLE_1)
	s_and_not1_b32 vcc_lo, exec_lo, s26
	s_cbranch_vccnz .LBB71_423
; %bb.422:
	s_wait_xcnt 0x0
	v_cndmask_b32_e64 v1, 0, 1, s0
	global_store_b16 v[2:3], v1, off
.LBB71_423:
	s_mov_b32 s26, 0
.LBB71_424:
	s_delay_alu instid0(SALU_CYCLE_1)
	s_and_not1_b32 vcc_lo, exec_lo, s26
	s_cbranch_vccnz .LBB71_429
; %bb.425:
	s_wait_xcnt 0x0
	v_cndmask_b32_e64 v1, 0, 1, s0
	s_cmp_gt_i32 s25, 0
	s_mov_b32 s0, -1
	s_cbranch_scc0 .LBB71_427
; %bb.426:
	s_mov_b32 s0, 0
	global_store_b8 v[2:3], v1, off
.LBB71_427:
	s_and_not1_b32 vcc_lo, exec_lo, s0
	s_cbranch_vccnz .LBB71_429
; %bb.428:
	global_store_b8 v[2:3], v1, off
.LBB71_429:
	s_mov_b32 s27, -1
.LBB71_430:
	s_delay_alu instid0(SALU_CYCLE_1)
	s_and_not1_b32 vcc_lo, exec_lo, s27
	s_cbranch_vccnz .LBB71_432
; %bb.431:
	v_add_nc_u32_e32 v0, 0x80, v0
	s_mov_b32 s0, -1
	s_branch .LBB71_545
.LBB71_432:
	s_mov_b32 s0, 0
	s_branch .LBB71_544
.LBB71_433:
	s_mov_b32 s24, -1
                                        ; implicit-def: $vgpr6_vgpr7
.LBB71_434:
	s_mov_b32 s25, 0
.LBB71_435:
	s_delay_alu instid0(SALU_CYCLE_1)
	s_and_b32 vcc_lo, exec_lo, s25
	s_cbranch_vccz .LBB71_439
; %bb.436:
	s_cmp_eq_u32 s0, 29
	s_cbranch_scc0 .LBB71_438
; %bb.437:
	s_wait_loadcnt 0x0
	global_load_b64 v[6:7], v[4:5], off
	s_mov_b32 s1, -1
	s_mov_b32 s24, 0
	s_mov_b32 s25, 0
	s_wait_loadcnt 0x0
	v_cvt_f64_u32_e32 v[8:9], v7
	v_cvt_f64_u32_e32 v[6:7], v6
	s_delay_alu instid0(VALU_DEP_2) | instskip(NEXT) | instid1(VALU_DEP_1)
	v_ldexp_f64 v[8:9], v[8:9], 32
	v_add_f64_e32 v[6:7], v[8:9], v[6:7]
	s_branch .LBB71_440
.LBB71_438:
	s_mov_b32 s24, -1
                                        ; implicit-def: $vgpr6_vgpr7
.LBB71_439:
	s_mov_b32 s25, 0
.LBB71_440:
	s_delay_alu instid0(SALU_CYCLE_1)
	s_and_b32 vcc_lo, exec_lo, s25
	s_cbranch_vccz .LBB71_458
; %bb.441:
	s_cmp_lt_i32 s0, 27
	s_cbranch_scc1 .LBB71_444
; %bb.442:
	s_cmp_gt_i32 s0, 27
	s_cbranch_scc0 .LBB71_445
; %bb.443:
	global_load_b32 v1, v[4:5], off
	s_mov_b32 s1, 0
	s_wait_loadcnt 0x0
	v_cvt_f64_u32_e32 v[6:7], v1
	s_branch .LBB71_446
.LBB71_444:
	s_mov_b32 s1, -1
                                        ; implicit-def: $vgpr6_vgpr7
	s_branch .LBB71_449
.LBB71_445:
	s_mov_b32 s1, -1
                                        ; implicit-def: $vgpr6_vgpr7
.LBB71_446:
	s_delay_alu instid0(SALU_CYCLE_1)
	s_and_not1_b32 vcc_lo, exec_lo, s1
	s_cbranch_vccnz .LBB71_448
; %bb.447:
	global_load_u16 v1, v[4:5], off
	s_wait_loadcnt 0x0
	v_cvt_f64_u32_e32 v[6:7], v1
.LBB71_448:
	s_mov_b32 s1, 0
.LBB71_449:
	s_delay_alu instid0(SALU_CYCLE_1)
	s_and_not1_b32 vcc_lo, exec_lo, s1
	s_cbranch_vccnz .LBB71_457
; %bb.450:
	global_load_u8 v1, v[4:5], off
	s_mov_b32 s1, 0
	s_mov_b32 s25, exec_lo
	s_wait_loadcnt 0x0
	v_cmpx_lt_i16_e32 0x7f, v1
	s_xor_b32 s25, exec_lo, s25
	s_cbranch_execz .LBB71_471
; %bb.451:
	s_mov_b32 s1, -1
	s_mov_b32 s26, exec_lo
	v_cmpx_eq_u16_e32 0x80, v1
; %bb.452:
	s_xor_b32 s1, exec_lo, -1
; %bb.453:
	s_or_b32 exec_lo, exec_lo, s26
	s_delay_alu instid0(SALU_CYCLE_1)
	s_and_b32 s1, s1, exec_lo
	s_or_saveexec_b32 s25, s25
	v_mov_b64_e32 v[6:7], 0x7ff8000020000000
	s_xor_b32 exec_lo, exec_lo, s25
	s_cbranch_execnz .LBB71_472
.LBB71_454:
	s_or_b32 exec_lo, exec_lo, s25
	s_and_saveexec_b32 s25, s1
	s_cbranch_execz .LBB71_456
.LBB71_455:
	v_and_b32_e32 v3, 0xffff, v1
	s_delay_alu instid0(VALU_DEP_1) | instskip(SKIP_1) | instid1(VALU_DEP_2)
	v_dual_lshlrev_b32 v1, 24, v1 :: v_dual_bitop2_b32 v6, 7, v3 bitop3:0x40
	v_bfe_u32 v9, v3, 3, 4
	v_and_b32_e32 v1, 0x80000000, v1
	s_delay_alu instid0(VALU_DEP_3) | instskip(NEXT) | instid1(VALU_DEP_3)
	v_clz_i32_u32_e32 v7, v6
	v_cmp_eq_u32_e32 vcc_lo, 0, v9
	s_delay_alu instid0(VALU_DEP_2) | instskip(NEXT) | instid1(VALU_DEP_1)
	v_min_u32_e32 v7, 32, v7
	v_subrev_nc_u32_e32 v8, 28, v7
	v_sub_nc_u32_e32 v7, 29, v7
	s_delay_alu instid0(VALU_DEP_2) | instskip(NEXT) | instid1(VALU_DEP_2)
	v_lshlrev_b32_e32 v3, v8, v3
	v_cndmask_b32_e32 v7, v9, v7, vcc_lo
	s_delay_alu instid0(VALU_DEP_2) | instskip(NEXT) | instid1(VALU_DEP_1)
	v_and_b32_e32 v3, 7, v3
	v_cndmask_b32_e32 v3, v6, v3, vcc_lo
	s_delay_alu instid0(VALU_DEP_3) | instskip(NEXT) | instid1(VALU_DEP_2)
	v_lshl_add_u32 v6, v7, 23, 0x3b800000
	v_lshlrev_b32_e32 v3, 20, v3
	s_delay_alu instid0(VALU_DEP_1) | instskip(NEXT) | instid1(VALU_DEP_1)
	v_or3_b32 v1, v1, v6, v3
	v_cvt_f64_f32_e32 v[6:7], v1
.LBB71_456:
	s_or_b32 exec_lo, exec_lo, s25
.LBB71_457:
	s_mov_b32 s1, -1
.LBB71_458:
	s_mov_b32 s25, 0
.LBB71_459:
	s_delay_alu instid0(SALU_CYCLE_1)
	s_and_b32 vcc_lo, exec_lo, s25
	s_cbranch_vccz .LBB71_494
; %bb.460:
	s_cmp_gt_i32 s0, 22
	s_cbranch_scc0 .LBB71_470
; %bb.461:
	s_cmp_lt_i32 s0, 24
	s_cbranch_scc1 .LBB71_473
; %bb.462:
	s_cmp_gt_i32 s0, 24
	s_cbranch_scc0 .LBB71_474
; %bb.463:
	global_load_u8 v1, v[4:5], off
	s_mov_b32 s1, 0
	s_mov_b32 s25, exec_lo
	s_wait_loadcnt 0x0
	v_cmpx_lt_i16_e32 0x7f, v1
	s_xor_b32 s25, exec_lo, s25
	s_cbranch_execz .LBB71_486
; %bb.464:
	s_mov_b32 s1, -1
	s_mov_b32 s26, exec_lo
	v_cmpx_eq_u16_e32 0x80, v1
; %bb.465:
	s_xor_b32 s1, exec_lo, -1
; %bb.466:
	s_or_b32 exec_lo, exec_lo, s26
	s_delay_alu instid0(SALU_CYCLE_1)
	s_and_b32 s1, s1, exec_lo
	s_or_saveexec_b32 s25, s25
	v_mov_b64_e32 v[6:7], 0x7ff8000020000000
	s_xor_b32 exec_lo, exec_lo, s25
	s_cbranch_execnz .LBB71_487
.LBB71_467:
	s_or_b32 exec_lo, exec_lo, s25
	s_and_saveexec_b32 s25, s1
	s_cbranch_execz .LBB71_469
.LBB71_468:
	v_and_b32_e32 v3, 0xffff, v1
	s_delay_alu instid0(VALU_DEP_1) | instskip(SKIP_1) | instid1(VALU_DEP_2)
	v_dual_lshlrev_b32 v1, 24, v1 :: v_dual_bitop2_b32 v6, 3, v3 bitop3:0x40
	v_bfe_u32 v9, v3, 2, 5
	v_and_b32_e32 v1, 0x80000000, v1
	s_delay_alu instid0(VALU_DEP_3) | instskip(NEXT) | instid1(VALU_DEP_3)
	v_clz_i32_u32_e32 v7, v6
	v_cmp_eq_u32_e32 vcc_lo, 0, v9
	s_delay_alu instid0(VALU_DEP_2) | instskip(NEXT) | instid1(VALU_DEP_1)
	v_min_u32_e32 v7, 32, v7
	v_subrev_nc_u32_e32 v8, 29, v7
	v_sub_nc_u32_e32 v7, 30, v7
	s_delay_alu instid0(VALU_DEP_2) | instskip(NEXT) | instid1(VALU_DEP_2)
	v_lshlrev_b32_e32 v3, v8, v3
	v_cndmask_b32_e32 v7, v9, v7, vcc_lo
	s_delay_alu instid0(VALU_DEP_2) | instskip(NEXT) | instid1(VALU_DEP_1)
	v_and_b32_e32 v3, 3, v3
	v_cndmask_b32_e32 v3, v6, v3, vcc_lo
	s_delay_alu instid0(VALU_DEP_3) | instskip(NEXT) | instid1(VALU_DEP_2)
	v_lshl_add_u32 v6, v7, 23, 0x37800000
	v_lshlrev_b32_e32 v3, 21, v3
	s_delay_alu instid0(VALU_DEP_1) | instskip(NEXT) | instid1(VALU_DEP_1)
	v_or3_b32 v1, v1, v6, v3
	v_cvt_f64_f32_e32 v[6:7], v1
.LBB71_469:
	s_or_b32 exec_lo, exec_lo, s25
	s_mov_b32 s1, 0
	s_branch .LBB71_475
.LBB71_470:
	s_mov_b32 s25, -1
                                        ; implicit-def: $vgpr6_vgpr7
	s_branch .LBB71_481
.LBB71_471:
	s_or_saveexec_b32 s25, s25
	v_mov_b64_e32 v[6:7], 0x7ff8000020000000
	s_xor_b32 exec_lo, exec_lo, s25
	s_cbranch_execz .LBB71_454
.LBB71_472:
	v_cmp_ne_u16_e32 vcc_lo, 0, v1
	v_mov_b64_e32 v[6:7], 0
	s_and_not1_b32 s1, s1, exec_lo
	s_and_b32 s26, vcc_lo, exec_lo
	s_delay_alu instid0(SALU_CYCLE_1)
	s_or_b32 s1, s1, s26
	s_or_b32 exec_lo, exec_lo, s25
	s_and_saveexec_b32 s25, s1
	s_cbranch_execnz .LBB71_455
	s_branch .LBB71_456
.LBB71_473:
	s_mov_b32 s1, -1
                                        ; implicit-def: $vgpr6_vgpr7
	s_branch .LBB71_478
.LBB71_474:
	s_mov_b32 s1, -1
                                        ; implicit-def: $vgpr6_vgpr7
.LBB71_475:
	s_delay_alu instid0(SALU_CYCLE_1)
	s_and_b32 vcc_lo, exec_lo, s1
	s_cbranch_vccz .LBB71_477
; %bb.476:
	global_load_u8 v1, v[4:5], off
	s_wait_loadcnt 0x0
	v_lshlrev_b32_e32 v1, 24, v1
	s_delay_alu instid0(VALU_DEP_1) | instskip(NEXT) | instid1(VALU_DEP_1)
	v_and_b32_e32 v3, 0x7f000000, v1
	v_clz_i32_u32_e32 v6, v3
	v_cmp_ne_u32_e32 vcc_lo, 0, v3
	v_add_nc_u32_e32 v8, 0x1000000, v3
	s_delay_alu instid0(VALU_DEP_3) | instskip(NEXT) | instid1(VALU_DEP_1)
	v_min_u32_e32 v6, 32, v6
	v_sub_nc_u32_e64 v6, v6, 4 clamp
	s_delay_alu instid0(VALU_DEP_1) | instskip(NEXT) | instid1(VALU_DEP_1)
	v_dual_lshlrev_b32 v7, v6, v3 :: v_dual_lshlrev_b32 v6, 23, v6
	v_lshrrev_b32_e32 v7, 4, v7
	s_delay_alu instid0(VALU_DEP_1) | instskip(NEXT) | instid1(VALU_DEP_1)
	v_dual_sub_nc_u32 v6, v7, v6 :: v_dual_ashrrev_i32 v7, 8, v8
	v_add_nc_u32_e32 v6, 0x3c000000, v6
	s_delay_alu instid0(VALU_DEP_1) | instskip(NEXT) | instid1(VALU_DEP_1)
	v_and_or_b32 v6, 0x7f800000, v7, v6
	v_cndmask_b32_e32 v3, 0, v6, vcc_lo
	s_delay_alu instid0(VALU_DEP_1) | instskip(NEXT) | instid1(VALU_DEP_1)
	v_and_or_b32 v1, 0x80000000, v1, v3
	v_cvt_f64_f32_e32 v[6:7], v1
.LBB71_477:
	s_mov_b32 s1, 0
.LBB71_478:
	s_delay_alu instid0(SALU_CYCLE_1)
	s_and_not1_b32 vcc_lo, exec_lo, s1
	s_cbranch_vccnz .LBB71_480
; %bb.479:
	global_load_u8 v1, v[4:5], off
	s_wait_loadcnt 0x0
	v_lshlrev_b32_e32 v3, 25, v1
	v_lshlrev_b16 v1, 8, v1
	s_delay_alu instid0(VALU_DEP_1) | instskip(SKIP_1) | instid1(VALU_DEP_2)
	v_and_or_b32 v7, 0x7f00, v1, 0.5
	v_bfe_i32 v1, v1, 0, 16
	v_add_f32_e32 v7, -0.5, v7
	v_lshrrev_b32_e32 v6, 4, v3
	v_cmp_gt_u32_e32 vcc_lo, 0x8000000, v3
	s_delay_alu instid0(VALU_DEP_2) | instskip(NEXT) | instid1(VALU_DEP_1)
	v_or_b32_e32 v6, 0x70000000, v6
	v_mul_f32_e32 v6, 0x7800000, v6
	s_delay_alu instid0(VALU_DEP_1) | instskip(NEXT) | instid1(VALU_DEP_1)
	v_cndmask_b32_e32 v3, v6, v7, vcc_lo
	v_and_or_b32 v1, 0x80000000, v1, v3
	s_delay_alu instid0(VALU_DEP_1)
	v_cvt_f64_f32_e32 v[6:7], v1
.LBB71_480:
	s_mov_b32 s25, 0
	s_mov_b32 s1, -1
.LBB71_481:
	s_and_not1_b32 vcc_lo, exec_lo, s25
	s_cbranch_vccnz .LBB71_494
; %bb.482:
	s_cmp_gt_i32 s0, 14
	s_cbranch_scc0 .LBB71_485
; %bb.483:
	s_cmp_eq_u32 s0, 15
	s_cbranch_scc0 .LBB71_488
; %bb.484:
	global_load_u16 v1, v[4:5], off
	s_mov_b32 s1, -1
	s_mov_b32 s24, 0
	s_wait_loadcnt 0x0
	v_lshlrev_b32_e32 v1, 16, v1
	s_delay_alu instid0(VALU_DEP_1)
	v_cvt_f64_f32_e32 v[6:7], v1
	s_branch .LBB71_489
.LBB71_485:
	s_mov_b32 s25, -1
                                        ; implicit-def: $vgpr6_vgpr7
	s_branch .LBB71_490
.LBB71_486:
	s_or_saveexec_b32 s25, s25
	v_mov_b64_e32 v[6:7], 0x7ff8000020000000
	s_xor_b32 exec_lo, exec_lo, s25
	s_cbranch_execz .LBB71_467
.LBB71_487:
	v_cmp_ne_u16_e32 vcc_lo, 0, v1
	v_mov_b64_e32 v[6:7], 0
	s_and_not1_b32 s1, s1, exec_lo
	s_and_b32 s26, vcc_lo, exec_lo
	s_delay_alu instid0(SALU_CYCLE_1)
	s_or_b32 s1, s1, s26
	s_or_b32 exec_lo, exec_lo, s25
	s_and_saveexec_b32 s25, s1
	s_cbranch_execnz .LBB71_468
	s_branch .LBB71_469
.LBB71_488:
	s_mov_b32 s24, -1
                                        ; implicit-def: $vgpr6_vgpr7
.LBB71_489:
	s_mov_b32 s25, 0
.LBB71_490:
	s_delay_alu instid0(SALU_CYCLE_1)
	s_and_b32 vcc_lo, exec_lo, s25
	s_cbranch_vccz .LBB71_494
; %bb.491:
	s_cmp_eq_u32 s0, 11
	s_cbranch_scc0 .LBB71_493
; %bb.492:
	global_load_u8 v1, v[4:5], off
	s_wait_loadcnt 0x1
	v_mov_b32_e32 v6, 0
	s_mov_b32 s24, 0
	s_mov_b32 s1, -1
	s_wait_loadcnt 0x0
	v_cmp_ne_u16_e32 vcc_lo, 0, v1
	v_cndmask_b32_e64 v7, 0, 0x3ff00000, vcc_lo
	s_branch .LBB71_494
.LBB71_493:
	s_mov_b32 s24, -1
                                        ; implicit-def: $vgpr6_vgpr7
.LBB71_494:
	s_branch .LBB71_296
.LBB71_495:
	s_cmp_lt_i32 s0, 5
	s_cbranch_scc1 .LBB71_500
; %bb.496:
	s_cmp_lt_i32 s0, 8
	s_cbranch_scc1 .LBB71_501
; %bb.497:
	;; [unrolled: 3-line block ×3, first 2 shown]
	s_cmp_gt_i32 s0, 9
	s_cbranch_scc0 .LBB71_503
; %bb.499:
	s_wait_loadcnt 0x0
	global_load_b64 v[6:7], v[4:5], off
	s_mov_b32 s1, 0
	s_branch .LBB71_504
.LBB71_500:
	s_mov_b32 s1, -1
                                        ; implicit-def: $vgpr6_vgpr7
	s_branch .LBB71_522
.LBB71_501:
	s_mov_b32 s1, -1
                                        ; implicit-def: $vgpr6_vgpr7
	s_branch .LBB71_510
.LBB71_502:
	s_mov_b32 s1, -1
                                        ; implicit-def: $vgpr6_vgpr7
	s_branch .LBB71_507
.LBB71_503:
	s_mov_b32 s1, -1
                                        ; implicit-def: $vgpr6_vgpr7
.LBB71_504:
	s_delay_alu instid0(SALU_CYCLE_1)
	s_and_not1_b32 vcc_lo, exec_lo, s1
	s_cbranch_vccnz .LBB71_506
; %bb.505:
	global_load_b32 v1, v[4:5], off
	s_wait_loadcnt 0x0
	v_cvt_f64_f32_e32 v[6:7], v1
.LBB71_506:
	s_mov_b32 s1, 0
.LBB71_507:
	s_delay_alu instid0(SALU_CYCLE_1)
	s_and_not1_b32 vcc_lo, exec_lo, s1
	s_cbranch_vccnz .LBB71_509
; %bb.508:
	global_load_b32 v1, v[4:5], off
	s_wait_loadcnt 0x0
	v_cvt_f32_f16_e32 v1, v1
	s_delay_alu instid0(VALU_DEP_1)
	v_cvt_f64_f32_e32 v[6:7], v1
.LBB71_509:
	s_mov_b32 s1, 0
.LBB71_510:
	s_delay_alu instid0(SALU_CYCLE_1)
	s_and_not1_b32 vcc_lo, exec_lo, s1
	s_cbranch_vccnz .LBB71_521
; %bb.511:
	s_cmp_lt_i32 s0, 6
	s_cbranch_scc1 .LBB71_514
; %bb.512:
	s_cmp_gt_i32 s0, 6
	s_cbranch_scc0 .LBB71_515
; %bb.513:
	s_wait_loadcnt 0x0
	global_load_b64 v[6:7], v[4:5], off
	s_mov_b32 s1, 0
	s_branch .LBB71_516
.LBB71_514:
	s_mov_b32 s1, -1
                                        ; implicit-def: $vgpr6_vgpr7
	s_branch .LBB71_519
.LBB71_515:
	s_mov_b32 s1, -1
                                        ; implicit-def: $vgpr6_vgpr7
.LBB71_516:
	s_delay_alu instid0(SALU_CYCLE_1)
	s_and_not1_b32 vcc_lo, exec_lo, s1
	s_cbranch_vccnz .LBB71_518
; %bb.517:
	global_load_b32 v1, v[4:5], off
	s_wait_loadcnt 0x0
	v_cvt_f64_f32_e32 v[6:7], v1
.LBB71_518:
	s_mov_b32 s1, 0
.LBB71_519:
	s_delay_alu instid0(SALU_CYCLE_1)
	s_and_not1_b32 vcc_lo, exec_lo, s1
	s_cbranch_vccnz .LBB71_521
; %bb.520:
	global_load_u16 v1, v[4:5], off
	s_wait_loadcnt 0x0
	v_cvt_f32_f16_e32 v1, v1
	s_delay_alu instid0(VALU_DEP_1)
	v_cvt_f64_f32_e32 v[6:7], v1
.LBB71_521:
	s_mov_b32 s1, 0
.LBB71_522:
	s_delay_alu instid0(SALU_CYCLE_1)
	s_and_not1_b32 vcc_lo, exec_lo, s1
	s_cbranch_vccnz .LBB71_542
; %bb.523:
	s_cmp_lt_i32 s0, 2
	s_cbranch_scc1 .LBB71_527
; %bb.524:
	s_cmp_lt_i32 s0, 3
	s_cbranch_scc1 .LBB71_528
; %bb.525:
	s_cmp_gt_i32 s0, 3
	s_cbranch_scc0 .LBB71_529
; %bb.526:
	s_wait_loadcnt 0x0
	global_load_b64 v[6:7], v[4:5], off
	s_mov_b32 s1, 0
	s_wait_loadcnt 0x0
	v_cvt_f64_i32_e32 v[8:9], v7
	v_cvt_f64_u32_e32 v[6:7], v6
	s_delay_alu instid0(VALU_DEP_2) | instskip(NEXT) | instid1(VALU_DEP_1)
	v_ldexp_f64 v[8:9], v[8:9], 32
	v_add_f64_e32 v[6:7], v[8:9], v[6:7]
	s_branch .LBB71_530
.LBB71_527:
	s_mov_b32 s1, -1
                                        ; implicit-def: $vgpr6_vgpr7
	s_branch .LBB71_536
.LBB71_528:
	s_mov_b32 s1, -1
                                        ; implicit-def: $vgpr6_vgpr7
	s_branch .LBB71_533
.LBB71_529:
	s_mov_b32 s1, -1
                                        ; implicit-def: $vgpr6_vgpr7
.LBB71_530:
	s_delay_alu instid0(SALU_CYCLE_1)
	s_and_not1_b32 vcc_lo, exec_lo, s1
	s_cbranch_vccnz .LBB71_532
; %bb.531:
	global_load_b32 v1, v[4:5], off
	s_wait_loadcnt 0x0
	v_cvt_f64_i32_e32 v[6:7], v1
.LBB71_532:
	s_mov_b32 s1, 0
.LBB71_533:
	s_delay_alu instid0(SALU_CYCLE_1)
	s_and_not1_b32 vcc_lo, exec_lo, s1
	s_cbranch_vccnz .LBB71_535
; %bb.534:
	global_load_i16 v1, v[4:5], off
	s_wait_loadcnt 0x0
	v_cvt_f64_i32_e32 v[6:7], v1
.LBB71_535:
	s_mov_b32 s1, 0
.LBB71_536:
	s_delay_alu instid0(SALU_CYCLE_1)
	s_and_not1_b32 vcc_lo, exec_lo, s1
	s_cbranch_vccnz .LBB71_542
; %bb.537:
	s_cmp_gt_i32 s0, 0
	s_mov_b32 s0, 0
	s_cbranch_scc0 .LBB71_539
; %bb.538:
	global_load_i8 v1, v[4:5], off
	s_wait_loadcnt 0x0
	v_cvt_f64_i32_e32 v[6:7], v1
	s_branch .LBB71_540
.LBB71_539:
	s_mov_b32 s0, -1
                                        ; implicit-def: $vgpr6_vgpr7
.LBB71_540:
	s_delay_alu instid0(SALU_CYCLE_1)
	s_and_not1_b32 vcc_lo, exec_lo, s0
	s_cbranch_vccnz .LBB71_542
; %bb.541:
	global_load_u8 v1, v[4:5], off
	s_wait_loadcnt 0x0
	v_cvt_f64_u32_e32 v[6:7], v1
.LBB71_542:
	s_branch .LBB71_297
.LBB71_543:
	s_mov_b32 s0, 0
	s_mov_b32 s1, s18
.LBB71_544:
                                        ; implicit-def: $vgpr0
.LBB71_545:
	s_and_not1_b32 s25, s18, exec_lo
	s_and_b32 s1, s1, exec_lo
	s_and_not1_b32 s26, s39, exec_lo
	s_and_b32 s24, s24, exec_lo
	s_or_b32 s42, s25, s1
	s_or_b32 s41, s26, s24
	s_or_not1_b32 s0, s0, exec_lo
.LBB71_546:
	s_wait_xcnt 0x0
	s_or_b32 exec_lo, exec_lo, s43
	s_mov_b32 s1, 0
	s_mov_b32 s24, 0
	;; [unrolled: 1-line block ×3, first 2 shown]
                                        ; implicit-def: $vgpr4_vgpr5
                                        ; implicit-def: $vgpr2
                                        ; implicit-def: $vgpr6_vgpr7
	s_and_saveexec_b32 s43, s0
	s_cbranch_execz .LBB71_927
; %bb.547:
	s_mov_b32 s25, -1
	s_mov_b32 s26, s41
	s_mov_b32 s27, s42
	s_mov_b32 s44, exec_lo
	v_cmpx_gt_i32_e64 s36, v0
	s_cbranch_execz .LBB71_824
; %bb.548:
	s_and_not1_b32 vcc_lo, exec_lo, s31
	s_cbranch_vccnz .LBB71_554
; %bb.549:
	s_and_not1_b32 vcc_lo, exec_lo, s38
	s_cbranch_vccnz .LBB71_555
; %bb.550:
	s_add_co_i32 s1, s37, 1
	s_cmp_eq_u32 s29, 2
	s_cbranch_scc1 .LBB71_556
; %bb.551:
	v_dual_mov_b32 v2, 0 :: v_dual_mov_b32 v4, 0
	v_mov_b32_e32 v1, v0
	s_and_b32 s0, s1, 28
	s_mov_b32 s45, 0
	s_mov_b64 s[24:25], s[2:3]
	s_mov_b64 s[26:27], s[22:23]
.LBB71_552:                             ; =>This Inner Loop Header: Depth=1
	s_clause 0x1
	s_load_b256 s[48:55], s[24:25], 0x4
	s_load_b128 s[64:67], s[24:25], 0x24
	s_load_b256 s[56:63], s[26:27], 0x0
	s_add_co_i32 s45, s45, 4
	s_wait_xcnt 0x0
	s_add_nc_u64 s[24:25], s[24:25], 48
	s_cmp_eq_u32 s0, s45
	s_add_nc_u64 s[26:27], s[26:27], 32
	s_wait_kmcnt 0x0
	v_mul_hi_u32 v3, s49, v1
	s_delay_alu instid0(VALU_DEP_1) | instskip(NEXT) | instid1(VALU_DEP_1)
	v_add_nc_u32_e32 v3, v1, v3
	v_lshrrev_b32_e32 v3, s50, v3
	s_delay_alu instid0(VALU_DEP_1) | instskip(NEXT) | instid1(VALU_DEP_1)
	v_mul_hi_u32 v5, s52, v3
	v_add_nc_u32_e32 v5, v3, v5
	s_delay_alu instid0(VALU_DEP_1) | instskip(SKIP_1) | instid1(VALU_DEP_1)
	v_lshrrev_b32_e32 v5, s53, v5
	s_wait_loadcnt 0x0
	v_mul_hi_u32 v6, s55, v5
	s_delay_alu instid0(VALU_DEP_1) | instskip(SKIP_1) | instid1(VALU_DEP_1)
	v_add_nc_u32_e32 v6, v5, v6
	v_mul_lo_u32 v7, v3, s48
	v_sub_nc_u32_e32 v1, v1, v7
	v_mul_lo_u32 v7, v5, s51
	s_delay_alu instid0(VALU_DEP_4) | instskip(NEXT) | instid1(VALU_DEP_3)
	v_lshrrev_b32_e32 v6, s64, v6
	v_mad_u32 v4, v1, s57, v4
	v_mad_u32 v1, v1, s56, v2
	s_delay_alu instid0(VALU_DEP_4) | instskip(NEXT) | instid1(VALU_DEP_4)
	v_sub_nc_u32_e32 v2, v3, v7
	v_mul_hi_u32 v8, s66, v6
	v_mul_lo_u32 v3, v6, s54
	s_delay_alu instid0(VALU_DEP_3) | instskip(SKIP_1) | instid1(VALU_DEP_3)
	v_mad_u32 v4, v2, s59, v4
	v_mad_u32 v2, v2, s58, v1
	v_dual_add_nc_u32 v7, v6, v8 :: v_dual_sub_nc_u32 v3, v5, v3
	s_delay_alu instid0(VALU_DEP_1) | instskip(NEXT) | instid1(VALU_DEP_2)
	v_lshrrev_b32_e32 v1, s67, v7
	v_mad_u32 v4, v3, s61, v4
	s_delay_alu instid0(VALU_DEP_4) | instskip(NEXT) | instid1(VALU_DEP_3)
	v_mad_u32 v2, v3, s60, v2
	v_mul_lo_u32 v5, v1, s65
	s_delay_alu instid0(VALU_DEP_1) | instskip(NEXT) | instid1(VALU_DEP_1)
	v_sub_nc_u32_e32 v3, v6, v5
	v_mad_u32 v4, v3, s63, v4
	s_delay_alu instid0(VALU_DEP_4)
	v_mad_u32 v2, v3, s62, v2
	s_cbranch_scc0 .LBB71_552
; %bb.553:
	s_delay_alu instid0(VALU_DEP_2)
	v_mov_b32_e32 v3, v4
	s_branch .LBB71_557
.LBB71_554:
	s_mov_b32 s0, -1
                                        ; implicit-def: $vgpr4
                                        ; implicit-def: $vgpr2
	s_branch .LBB71_562
.LBB71_555:
	v_dual_mov_b32 v4, 0 :: v_dual_mov_b32 v2, 0
	s_branch .LBB71_561
.LBB71_556:
	v_mov_b64_e32 v[2:3], 0
	v_mov_b32_e32 v1, v0
	s_mov_b32 s0, 0
                                        ; implicit-def: $vgpr4
.LBB71_557:
	s_and_b32 s26, s1, 3
	s_mov_b32 s1, 0
	s_cmp_eq_u32 s26, 0
	s_cbranch_scc1 .LBB71_561
; %bb.558:
	s_lshl_b32 s24, s0, 3
	s_mov_b32 s25, s1
	s_mul_u64 s[46:47], s[0:1], 12
	s_add_nc_u64 s[24:25], s[2:3], s[24:25]
	s_delay_alu instid0(SALU_CYCLE_1)
	s_add_nc_u64 s[0:1], s[24:25], 0xc4
	s_add_nc_u64 s[24:25], s[2:3], s[46:47]
.LBB71_559:                             ; =>This Inner Loop Header: Depth=1
	s_load_b96 s[48:50], s[24:25], 0x4
	s_load_b64 s[46:47], s[0:1], 0x0
	s_add_co_i32 s26, s26, -1
	s_wait_xcnt 0x0
	s_add_nc_u64 s[24:25], s[24:25], 12
	s_cmp_lg_u32 s26, 0
	s_add_nc_u64 s[0:1], s[0:1], 8
	s_wait_kmcnt 0x0
	v_mul_hi_u32 v4, s49, v1
	s_delay_alu instid0(VALU_DEP_1) | instskip(NEXT) | instid1(VALU_DEP_1)
	v_add_nc_u32_e32 v4, v1, v4
	v_lshrrev_b32_e32 v4, s50, v4
	s_delay_alu instid0(VALU_DEP_1) | instskip(NEXT) | instid1(VALU_DEP_1)
	v_mul_lo_u32 v5, v4, s48
	v_sub_nc_u32_e32 v1, v1, v5
	s_delay_alu instid0(VALU_DEP_1)
	v_mad_u32 v3, v1, s47, v3
	v_mad_u32 v2, v1, s46, v2
	v_mov_b32_e32 v1, v4
	s_cbranch_scc1 .LBB71_559
; %bb.560:
	s_delay_alu instid0(VALU_DEP_3)
	v_mov_b32_e32 v4, v3
.LBB71_561:
	s_mov_b32 s0, 0
.LBB71_562:
	s_delay_alu instid0(SALU_CYCLE_1)
	s_and_not1_b32 vcc_lo, exec_lo, s0
	s_cbranch_vccnz .LBB71_565
; %bb.563:
	v_mov_b32_e32 v1, 0
	s_and_not1_b32 vcc_lo, exec_lo, s35
	s_delay_alu instid0(VALU_DEP_1) | instskip(NEXT) | instid1(VALU_DEP_1)
	v_mul_u64_e32 v[2:3], s[16:17], v[0:1]
	v_add_nc_u32_e32 v2, v0, v3
	s_wait_loadcnt 0x0
	s_delay_alu instid0(VALU_DEP_1) | instskip(NEXT) | instid1(VALU_DEP_1)
	v_lshrrev_b32_e32 v6, s14, v2
	v_mul_lo_u32 v2, v6, s12
	s_delay_alu instid0(VALU_DEP_1) | instskip(NEXT) | instid1(VALU_DEP_1)
	v_sub_nc_u32_e32 v2, v0, v2
	v_mul_lo_u32 v4, v2, s9
	v_mul_lo_u32 v2, v2, s8
	s_cbranch_vccnz .LBB71_565
; %bb.564:
	v_mov_b32_e32 v7, v1
	s_delay_alu instid0(VALU_DEP_1) | instskip(NEXT) | instid1(VALU_DEP_1)
	v_mul_u64_e32 v[8:9], s[20:21], v[6:7]
	v_add_nc_u32_e32 v1, v6, v9
	s_delay_alu instid0(VALU_DEP_1) | instskip(NEXT) | instid1(VALU_DEP_1)
	v_lshrrev_b32_e32 v1, s19, v1
	v_mul_lo_u32 v1, v1, s15
	s_delay_alu instid0(VALU_DEP_1) | instskip(NEXT) | instid1(VALU_DEP_1)
	v_sub_nc_u32_e32 v1, v6, v1
	v_mad_u32 v2, v1, s10, v2
	v_mad_u32 v4, v1, s11, v4
.LBB71_565:
	v_mov_b32_e32 v5, 0
	s_and_b32 s0, 0xffff, s13
	s_delay_alu instid0(SALU_CYCLE_1) | instskip(NEXT) | instid1(VALU_DEP_1)
	s_cmp_lt_i32 s0, 11
	v_add_nc_u64_e32 v[4:5], s[6:7], v[4:5]
	s_cbranch_scc1 .LBB71_572
; %bb.566:
	s_cmp_gt_i32 s0, 25
	s_cbranch_scc0 .LBB71_573
; %bb.567:
	s_cmp_gt_i32 s0, 28
	s_cbranch_scc0 .LBB71_574
	;; [unrolled: 3-line block ×4, first 2 shown]
; %bb.570:
	s_cmp_eq_u32 s0, 46
	s_mov_b32 s25, 0
	s_cbranch_scc0 .LBB71_581
; %bb.571:
	global_load_b32 v1, v[4:5], off
	s_mov_b32 s1, -1
	s_mov_b32 s24, 0
	s_wait_loadcnt 0x0
	v_lshlrev_b32_e32 v1, 16, v1
	s_delay_alu instid0(VALU_DEP_1)
	v_cvt_f64_f32_e32 v[6:7], v1
	s_branch .LBB71_583
.LBB71_572:
	s_mov_b32 s25, -1
	s_mov_b32 s1, 0
	s_mov_b32 s24, s41
                                        ; implicit-def: $vgpr6_vgpr7
	s_branch .LBB71_648
.LBB71_573:
	s_mov_b32 s25, -1
	s_mov_b32 s1, 0
	s_mov_b32 s24, s41
                                        ; implicit-def: $vgpr6_vgpr7
	s_branch .LBB71_612
.LBB71_574:
	s_mov_b32 s25, -1
	s_mov_b32 s1, 0
	s_mov_b32 s24, s41
                                        ; implicit-def: $vgpr6_vgpr7
	s_branch .LBB71_593
.LBB71_575:
	s_mov_b32 s25, -1
	s_mov_b32 s1, 0
	s_mov_b32 s24, s41
                                        ; implicit-def: $vgpr6_vgpr7
	s_branch .LBB71_588
.LBB71_576:
	s_and_not1_saveexec_b32 s42, s42
	s_cbranch_execz .LBB71_343
.LBB71_577:
	v_add_f32_e32 v1, 0x46000000, v4
	s_and_not1_b32 s41, s41, exec_lo
	s_delay_alu instid0(VALU_DEP_1) | instskip(NEXT) | instid1(VALU_DEP_1)
	v_and_b32_e32 v1, 0xff, v1
	v_cmp_ne_u32_e32 vcc_lo, 0, v1
	s_and_b32 s44, vcc_lo, exec_lo
	s_delay_alu instid0(SALU_CYCLE_1)
	s_or_b32 s41, s41, s44
	s_or_b32 exec_lo, exec_lo, s42
	v_mov_b32_e32 v5, 0
	s_and_saveexec_b32 s42, s41
	s_cbranch_execnz .LBB71_344
	s_branch .LBB71_345
.LBB71_578:
	s_mov_b32 s25, -1
	s_mov_b32 s1, 0
	s_mov_b32 s24, s41
	s_branch .LBB71_582
.LBB71_579:
	s_and_not1_saveexec_b32 s42, s42
	s_cbranch_execz .LBB71_356
.LBB71_580:
	v_add_f32_e32 v1, 0x42800000, v4
	s_and_not1_b32 s41, s41, exec_lo
	s_delay_alu instid0(VALU_DEP_1) | instskip(NEXT) | instid1(VALU_DEP_1)
	v_and_b32_e32 v1, 0xff, v1
	v_cmp_ne_u32_e32 vcc_lo, 0, v1
	s_and_b32 s44, vcc_lo, exec_lo
	s_delay_alu instid0(SALU_CYCLE_1)
	s_or_b32 s41, s41, s44
	s_or_b32 exec_lo, exec_lo, s42
	v_mov_b32_e32 v5, 0
	s_and_saveexec_b32 s42, s41
	s_cbranch_execnz .LBB71_357
	s_branch .LBB71_358
.LBB71_581:
	s_mov_b32 s24, -1
	s_mov_b32 s1, 0
.LBB71_582:
                                        ; implicit-def: $vgpr6_vgpr7
.LBB71_583:
	s_and_b32 vcc_lo, exec_lo, s25
	s_cbranch_vccz .LBB71_587
; %bb.584:
	s_cmp_eq_u32 s0, 44
	s_cbranch_scc0 .LBB71_586
; %bb.585:
	global_load_u8 v1, v[4:5], off
	s_mov_b32 s24, 0
	s_mov_b32 s1, -1
	s_wait_loadcnt 0x0
	v_cmp_ne_u32_e32 vcc_lo, 0xff, v1
	v_lshlrev_b32_e32 v3, 23, v1
	s_delay_alu instid0(VALU_DEP_1) | instskip(NEXT) | instid1(VALU_DEP_1)
	v_cvt_f64_f32_e32 v[6:7], v3
	v_cndmask_b32_e32 v3, 0x20000000, v6, vcc_lo
	s_delay_alu instid0(VALU_DEP_2) | instskip(SKIP_1) | instid1(VALU_DEP_2)
	v_cndmask_b32_e32 v6, 0x7ff80000, v7, vcc_lo
	v_cmp_ne_u32_e32 vcc_lo, 0, v1
	v_cndmask_b32_e32 v7, 0x38000000, v6, vcc_lo
	s_delay_alu instid0(VALU_DEP_4)
	v_cndmask_b32_e32 v6, 0, v3, vcc_lo
	s_branch .LBB71_587
.LBB71_586:
	s_mov_b32 s24, -1
                                        ; implicit-def: $vgpr6_vgpr7
.LBB71_587:
	s_mov_b32 s25, 0
.LBB71_588:
	s_delay_alu instid0(SALU_CYCLE_1)
	s_and_b32 vcc_lo, exec_lo, s25
	s_cbranch_vccz .LBB71_592
; %bb.589:
	s_cmp_eq_u32 s0, 29
	s_cbranch_scc0 .LBB71_591
; %bb.590:
	s_wait_loadcnt 0x0
	global_load_b64 v[6:7], v[4:5], off
	s_mov_b32 s1, -1
	s_mov_b32 s24, 0
	s_mov_b32 s25, 0
	s_wait_loadcnt 0x0
	v_cvt_f64_u32_e32 v[8:9], v7
	v_cvt_f64_u32_e32 v[6:7], v6
	s_delay_alu instid0(VALU_DEP_2) | instskip(NEXT) | instid1(VALU_DEP_1)
	v_ldexp_f64 v[8:9], v[8:9], 32
	v_add_f64_e32 v[6:7], v[8:9], v[6:7]
	s_branch .LBB71_593
.LBB71_591:
	s_mov_b32 s24, -1
                                        ; implicit-def: $vgpr6_vgpr7
.LBB71_592:
	s_mov_b32 s25, 0
.LBB71_593:
	s_delay_alu instid0(SALU_CYCLE_1)
	s_and_b32 vcc_lo, exec_lo, s25
	s_cbranch_vccz .LBB71_611
; %bb.594:
	s_cmp_lt_i32 s0, 27
	s_cbranch_scc1 .LBB71_597
; %bb.595:
	s_cmp_gt_i32 s0, 27
	s_cbranch_scc0 .LBB71_598
; %bb.596:
	global_load_b32 v1, v[4:5], off
	s_mov_b32 s1, 0
	s_wait_loadcnt 0x0
	v_cvt_f64_u32_e32 v[6:7], v1
	s_branch .LBB71_599
.LBB71_597:
	s_mov_b32 s1, -1
                                        ; implicit-def: $vgpr6_vgpr7
	s_branch .LBB71_602
.LBB71_598:
	s_mov_b32 s1, -1
                                        ; implicit-def: $vgpr6_vgpr7
.LBB71_599:
	s_delay_alu instid0(SALU_CYCLE_1)
	s_and_not1_b32 vcc_lo, exec_lo, s1
	s_cbranch_vccnz .LBB71_601
; %bb.600:
	global_load_u16 v1, v[4:5], off
	s_wait_loadcnt 0x0
	v_cvt_f64_u32_e32 v[6:7], v1
.LBB71_601:
	s_mov_b32 s1, 0
.LBB71_602:
	s_delay_alu instid0(SALU_CYCLE_1)
	s_and_not1_b32 vcc_lo, exec_lo, s1
	s_cbranch_vccnz .LBB71_610
; %bb.603:
	global_load_u8 v1, v[4:5], off
	s_mov_b32 s1, 0
	s_mov_b32 s25, exec_lo
	s_wait_loadcnt 0x0
	v_cmpx_lt_i16_e32 0x7f, v1
	s_xor_b32 s25, exec_lo, s25
	s_cbranch_execz .LBB71_624
; %bb.604:
	s_mov_b32 s1, -1
	s_mov_b32 s26, exec_lo
	v_cmpx_eq_u16_e32 0x80, v1
; %bb.605:
	s_xor_b32 s1, exec_lo, -1
; %bb.606:
	s_or_b32 exec_lo, exec_lo, s26
	s_delay_alu instid0(SALU_CYCLE_1)
	s_and_b32 s1, s1, exec_lo
	s_or_saveexec_b32 s25, s25
	v_mov_b64_e32 v[6:7], 0x7ff8000020000000
	s_xor_b32 exec_lo, exec_lo, s25
	s_cbranch_execnz .LBB71_625
.LBB71_607:
	s_or_b32 exec_lo, exec_lo, s25
	s_and_saveexec_b32 s25, s1
	s_cbranch_execz .LBB71_609
.LBB71_608:
	v_and_b32_e32 v3, 0xffff, v1
	s_delay_alu instid0(VALU_DEP_1) | instskip(SKIP_1) | instid1(VALU_DEP_2)
	v_dual_lshlrev_b32 v1, 24, v1 :: v_dual_bitop2_b32 v6, 7, v3 bitop3:0x40
	v_bfe_u32 v9, v3, 3, 4
	v_and_b32_e32 v1, 0x80000000, v1
	s_delay_alu instid0(VALU_DEP_3) | instskip(NEXT) | instid1(VALU_DEP_3)
	v_clz_i32_u32_e32 v7, v6
	v_cmp_eq_u32_e32 vcc_lo, 0, v9
	s_delay_alu instid0(VALU_DEP_2) | instskip(NEXT) | instid1(VALU_DEP_1)
	v_min_u32_e32 v7, 32, v7
	v_subrev_nc_u32_e32 v8, 28, v7
	v_sub_nc_u32_e32 v7, 29, v7
	s_delay_alu instid0(VALU_DEP_2) | instskip(NEXT) | instid1(VALU_DEP_2)
	v_lshlrev_b32_e32 v3, v8, v3
	v_cndmask_b32_e32 v7, v9, v7, vcc_lo
	s_delay_alu instid0(VALU_DEP_2) | instskip(NEXT) | instid1(VALU_DEP_1)
	v_and_b32_e32 v3, 7, v3
	v_cndmask_b32_e32 v3, v6, v3, vcc_lo
	s_delay_alu instid0(VALU_DEP_3) | instskip(NEXT) | instid1(VALU_DEP_2)
	v_lshl_add_u32 v6, v7, 23, 0x3b800000
	v_lshlrev_b32_e32 v3, 20, v3
	s_delay_alu instid0(VALU_DEP_1) | instskip(NEXT) | instid1(VALU_DEP_1)
	v_or3_b32 v1, v1, v6, v3
	v_cvt_f64_f32_e32 v[6:7], v1
.LBB71_609:
	s_or_b32 exec_lo, exec_lo, s25
.LBB71_610:
	s_mov_b32 s1, -1
.LBB71_611:
	s_mov_b32 s25, 0
.LBB71_612:
	s_delay_alu instid0(SALU_CYCLE_1)
	s_and_b32 vcc_lo, exec_lo, s25
	s_cbranch_vccz .LBB71_647
; %bb.613:
	s_cmp_gt_i32 s0, 22
	s_cbranch_scc0 .LBB71_623
; %bb.614:
	s_cmp_lt_i32 s0, 24
	s_cbranch_scc1 .LBB71_626
; %bb.615:
	s_cmp_gt_i32 s0, 24
	s_cbranch_scc0 .LBB71_627
; %bb.616:
	global_load_u8 v1, v[4:5], off
	s_mov_b32 s1, 0
	s_mov_b32 s25, exec_lo
	s_wait_loadcnt 0x0
	v_cmpx_lt_i16_e32 0x7f, v1
	s_xor_b32 s25, exec_lo, s25
	s_cbranch_execz .LBB71_639
; %bb.617:
	s_mov_b32 s1, -1
	s_mov_b32 s26, exec_lo
	v_cmpx_eq_u16_e32 0x80, v1
; %bb.618:
	s_xor_b32 s1, exec_lo, -1
; %bb.619:
	s_or_b32 exec_lo, exec_lo, s26
	s_delay_alu instid0(SALU_CYCLE_1)
	s_and_b32 s1, s1, exec_lo
	s_or_saveexec_b32 s25, s25
	v_mov_b64_e32 v[6:7], 0x7ff8000020000000
	s_xor_b32 exec_lo, exec_lo, s25
	s_cbranch_execnz .LBB71_640
.LBB71_620:
	s_or_b32 exec_lo, exec_lo, s25
	s_and_saveexec_b32 s25, s1
	s_cbranch_execz .LBB71_622
.LBB71_621:
	v_and_b32_e32 v3, 0xffff, v1
	s_delay_alu instid0(VALU_DEP_1) | instskip(SKIP_1) | instid1(VALU_DEP_2)
	v_dual_lshlrev_b32 v1, 24, v1 :: v_dual_bitop2_b32 v6, 3, v3 bitop3:0x40
	v_bfe_u32 v9, v3, 2, 5
	v_and_b32_e32 v1, 0x80000000, v1
	s_delay_alu instid0(VALU_DEP_3) | instskip(NEXT) | instid1(VALU_DEP_3)
	v_clz_i32_u32_e32 v7, v6
	v_cmp_eq_u32_e32 vcc_lo, 0, v9
	s_delay_alu instid0(VALU_DEP_2) | instskip(NEXT) | instid1(VALU_DEP_1)
	v_min_u32_e32 v7, 32, v7
	v_subrev_nc_u32_e32 v8, 29, v7
	v_sub_nc_u32_e32 v7, 30, v7
	s_delay_alu instid0(VALU_DEP_2) | instskip(NEXT) | instid1(VALU_DEP_2)
	v_lshlrev_b32_e32 v3, v8, v3
	v_cndmask_b32_e32 v7, v9, v7, vcc_lo
	s_delay_alu instid0(VALU_DEP_2) | instskip(NEXT) | instid1(VALU_DEP_1)
	v_and_b32_e32 v3, 3, v3
	v_cndmask_b32_e32 v3, v6, v3, vcc_lo
	s_delay_alu instid0(VALU_DEP_3) | instskip(NEXT) | instid1(VALU_DEP_2)
	v_lshl_add_u32 v6, v7, 23, 0x37800000
	v_lshlrev_b32_e32 v3, 21, v3
	s_delay_alu instid0(VALU_DEP_1) | instskip(NEXT) | instid1(VALU_DEP_1)
	v_or3_b32 v1, v1, v6, v3
	v_cvt_f64_f32_e32 v[6:7], v1
.LBB71_622:
	s_or_b32 exec_lo, exec_lo, s25
	s_mov_b32 s1, 0
	s_branch .LBB71_628
.LBB71_623:
	s_mov_b32 s25, -1
                                        ; implicit-def: $vgpr6_vgpr7
	s_branch .LBB71_634
.LBB71_624:
	s_or_saveexec_b32 s25, s25
	v_mov_b64_e32 v[6:7], 0x7ff8000020000000
	s_xor_b32 exec_lo, exec_lo, s25
	s_cbranch_execz .LBB71_607
.LBB71_625:
	v_cmp_ne_u16_e32 vcc_lo, 0, v1
	v_mov_b64_e32 v[6:7], 0
	s_and_not1_b32 s1, s1, exec_lo
	s_and_b32 s26, vcc_lo, exec_lo
	s_delay_alu instid0(SALU_CYCLE_1)
	s_or_b32 s1, s1, s26
	s_or_b32 exec_lo, exec_lo, s25
	s_and_saveexec_b32 s25, s1
	s_cbranch_execnz .LBB71_608
	s_branch .LBB71_609
.LBB71_626:
	s_mov_b32 s1, -1
                                        ; implicit-def: $vgpr6_vgpr7
	s_branch .LBB71_631
.LBB71_627:
	s_mov_b32 s1, -1
                                        ; implicit-def: $vgpr6_vgpr7
.LBB71_628:
	s_delay_alu instid0(SALU_CYCLE_1)
	s_and_b32 vcc_lo, exec_lo, s1
	s_cbranch_vccz .LBB71_630
; %bb.629:
	global_load_u8 v1, v[4:5], off
	s_wait_loadcnt 0x0
	v_lshlrev_b32_e32 v1, 24, v1
	s_delay_alu instid0(VALU_DEP_1) | instskip(NEXT) | instid1(VALU_DEP_1)
	v_and_b32_e32 v3, 0x7f000000, v1
	v_clz_i32_u32_e32 v6, v3
	v_cmp_ne_u32_e32 vcc_lo, 0, v3
	v_add_nc_u32_e32 v8, 0x1000000, v3
	s_delay_alu instid0(VALU_DEP_3) | instskip(NEXT) | instid1(VALU_DEP_1)
	v_min_u32_e32 v6, 32, v6
	v_sub_nc_u32_e64 v6, v6, 4 clamp
	s_delay_alu instid0(VALU_DEP_1) | instskip(NEXT) | instid1(VALU_DEP_1)
	v_dual_lshlrev_b32 v7, v6, v3 :: v_dual_lshlrev_b32 v6, 23, v6
	v_lshrrev_b32_e32 v7, 4, v7
	s_delay_alu instid0(VALU_DEP_1) | instskip(NEXT) | instid1(VALU_DEP_1)
	v_dual_sub_nc_u32 v6, v7, v6 :: v_dual_ashrrev_i32 v7, 8, v8
	v_add_nc_u32_e32 v6, 0x3c000000, v6
	s_delay_alu instid0(VALU_DEP_1) | instskip(NEXT) | instid1(VALU_DEP_1)
	v_and_or_b32 v6, 0x7f800000, v7, v6
	v_cndmask_b32_e32 v3, 0, v6, vcc_lo
	s_delay_alu instid0(VALU_DEP_1) | instskip(NEXT) | instid1(VALU_DEP_1)
	v_and_or_b32 v1, 0x80000000, v1, v3
	v_cvt_f64_f32_e32 v[6:7], v1
.LBB71_630:
	s_mov_b32 s1, 0
.LBB71_631:
	s_delay_alu instid0(SALU_CYCLE_1)
	s_and_not1_b32 vcc_lo, exec_lo, s1
	s_cbranch_vccnz .LBB71_633
; %bb.632:
	global_load_u8 v1, v[4:5], off
	s_wait_loadcnt 0x0
	v_lshlrev_b32_e32 v3, 25, v1
	v_lshlrev_b16 v1, 8, v1
	s_delay_alu instid0(VALU_DEP_1) | instskip(SKIP_1) | instid1(VALU_DEP_2)
	v_and_or_b32 v7, 0x7f00, v1, 0.5
	v_bfe_i32 v1, v1, 0, 16
	v_add_f32_e32 v7, -0.5, v7
	v_lshrrev_b32_e32 v6, 4, v3
	v_cmp_gt_u32_e32 vcc_lo, 0x8000000, v3
	s_delay_alu instid0(VALU_DEP_2) | instskip(NEXT) | instid1(VALU_DEP_1)
	v_or_b32_e32 v6, 0x70000000, v6
	v_mul_f32_e32 v6, 0x7800000, v6
	s_delay_alu instid0(VALU_DEP_1) | instskip(NEXT) | instid1(VALU_DEP_1)
	v_cndmask_b32_e32 v3, v6, v7, vcc_lo
	v_and_or_b32 v1, 0x80000000, v1, v3
	s_delay_alu instid0(VALU_DEP_1)
	v_cvt_f64_f32_e32 v[6:7], v1
.LBB71_633:
	s_mov_b32 s25, 0
	s_mov_b32 s1, -1
.LBB71_634:
	s_and_not1_b32 vcc_lo, exec_lo, s25
	s_cbranch_vccnz .LBB71_647
; %bb.635:
	s_cmp_gt_i32 s0, 14
	s_cbranch_scc0 .LBB71_638
; %bb.636:
	s_cmp_eq_u32 s0, 15
	s_cbranch_scc0 .LBB71_641
; %bb.637:
	global_load_u16 v1, v[4:5], off
	s_mov_b32 s1, -1
	s_mov_b32 s24, 0
	s_wait_loadcnt 0x0
	v_lshlrev_b32_e32 v1, 16, v1
	s_delay_alu instid0(VALU_DEP_1)
	v_cvt_f64_f32_e32 v[6:7], v1
	s_branch .LBB71_642
.LBB71_638:
	s_mov_b32 s25, -1
                                        ; implicit-def: $vgpr6_vgpr7
	s_branch .LBB71_643
.LBB71_639:
	s_or_saveexec_b32 s25, s25
	v_mov_b64_e32 v[6:7], 0x7ff8000020000000
	s_xor_b32 exec_lo, exec_lo, s25
	s_cbranch_execz .LBB71_620
.LBB71_640:
	v_cmp_ne_u16_e32 vcc_lo, 0, v1
	v_mov_b64_e32 v[6:7], 0
	s_and_not1_b32 s1, s1, exec_lo
	s_and_b32 s26, vcc_lo, exec_lo
	s_delay_alu instid0(SALU_CYCLE_1)
	s_or_b32 s1, s1, s26
	s_or_b32 exec_lo, exec_lo, s25
	s_and_saveexec_b32 s25, s1
	s_cbranch_execnz .LBB71_621
	s_branch .LBB71_622
.LBB71_641:
	s_mov_b32 s24, -1
                                        ; implicit-def: $vgpr6_vgpr7
.LBB71_642:
	s_mov_b32 s25, 0
.LBB71_643:
	s_delay_alu instid0(SALU_CYCLE_1)
	s_and_b32 vcc_lo, exec_lo, s25
	s_cbranch_vccz .LBB71_647
; %bb.644:
	s_cmp_eq_u32 s0, 11
	s_cbranch_scc0 .LBB71_646
; %bb.645:
	global_load_u8 v1, v[4:5], off
	s_wait_loadcnt 0x1
	v_mov_b32_e32 v6, 0
	s_mov_b32 s24, 0
	s_mov_b32 s1, -1
	s_wait_loadcnt 0x0
	v_cmp_ne_u16_e32 vcc_lo, 0, v1
	v_cndmask_b32_e64 v7, 0, 0x3ff00000, vcc_lo
	s_branch .LBB71_647
.LBB71_646:
	s_mov_b32 s24, -1
                                        ; implicit-def: $vgpr6_vgpr7
.LBB71_647:
	s_mov_b32 s25, 0
.LBB71_648:
	s_delay_alu instid0(SALU_CYCLE_1)
	s_and_b32 vcc_lo, exec_lo, s25
	s_cbranch_vccz .LBB71_697
; %bb.649:
	s_cmp_lt_i32 s0, 5
	s_cbranch_scc1 .LBB71_654
; %bb.650:
	s_cmp_lt_i32 s0, 8
	s_cbranch_scc1 .LBB71_655
	;; [unrolled: 3-line block ×3, first 2 shown]
; %bb.652:
	s_cmp_gt_i32 s0, 9
	s_cbranch_scc0 .LBB71_657
; %bb.653:
	s_wait_loadcnt 0x0
	global_load_b64 v[6:7], v[4:5], off
	s_mov_b32 s1, 0
	s_branch .LBB71_658
.LBB71_654:
	s_mov_b32 s1, -1
                                        ; implicit-def: $vgpr6_vgpr7
	s_branch .LBB71_676
.LBB71_655:
	s_mov_b32 s1, -1
                                        ; implicit-def: $vgpr6_vgpr7
	s_branch .LBB71_664
.LBB71_656:
	s_mov_b32 s1, -1
                                        ; implicit-def: $vgpr6_vgpr7
	s_branch .LBB71_661
.LBB71_657:
	s_mov_b32 s1, -1
                                        ; implicit-def: $vgpr6_vgpr7
.LBB71_658:
	s_delay_alu instid0(SALU_CYCLE_1)
	s_and_not1_b32 vcc_lo, exec_lo, s1
	s_cbranch_vccnz .LBB71_660
; %bb.659:
	global_load_b32 v1, v[4:5], off
	s_wait_loadcnt 0x0
	v_cvt_f64_f32_e32 v[6:7], v1
.LBB71_660:
	s_mov_b32 s1, 0
.LBB71_661:
	s_delay_alu instid0(SALU_CYCLE_1)
	s_and_not1_b32 vcc_lo, exec_lo, s1
	s_cbranch_vccnz .LBB71_663
; %bb.662:
	global_load_b32 v1, v[4:5], off
	s_wait_loadcnt 0x0
	v_cvt_f32_f16_e32 v1, v1
	s_delay_alu instid0(VALU_DEP_1)
	v_cvt_f64_f32_e32 v[6:7], v1
.LBB71_663:
	s_mov_b32 s1, 0
.LBB71_664:
	s_delay_alu instid0(SALU_CYCLE_1)
	s_and_not1_b32 vcc_lo, exec_lo, s1
	s_cbranch_vccnz .LBB71_675
; %bb.665:
	s_cmp_lt_i32 s0, 6
	s_cbranch_scc1 .LBB71_668
; %bb.666:
	s_cmp_gt_i32 s0, 6
	s_cbranch_scc0 .LBB71_669
; %bb.667:
	s_wait_loadcnt 0x0
	global_load_b64 v[6:7], v[4:5], off
	s_mov_b32 s1, 0
	s_branch .LBB71_670
.LBB71_668:
	s_mov_b32 s1, -1
                                        ; implicit-def: $vgpr6_vgpr7
	s_branch .LBB71_673
.LBB71_669:
	s_mov_b32 s1, -1
                                        ; implicit-def: $vgpr6_vgpr7
.LBB71_670:
	s_delay_alu instid0(SALU_CYCLE_1)
	s_and_not1_b32 vcc_lo, exec_lo, s1
	s_cbranch_vccnz .LBB71_672
; %bb.671:
	global_load_b32 v1, v[4:5], off
	s_wait_loadcnt 0x0
	v_cvt_f64_f32_e32 v[6:7], v1
.LBB71_672:
	s_mov_b32 s1, 0
.LBB71_673:
	s_delay_alu instid0(SALU_CYCLE_1)
	s_and_not1_b32 vcc_lo, exec_lo, s1
	s_cbranch_vccnz .LBB71_675
; %bb.674:
	global_load_u16 v1, v[4:5], off
	s_wait_loadcnt 0x0
	v_cvt_f32_f16_e32 v1, v1
	s_delay_alu instid0(VALU_DEP_1)
	v_cvt_f64_f32_e32 v[6:7], v1
.LBB71_675:
	s_mov_b32 s1, 0
.LBB71_676:
	s_delay_alu instid0(SALU_CYCLE_1)
	s_and_not1_b32 vcc_lo, exec_lo, s1
	s_cbranch_vccnz .LBB71_696
; %bb.677:
	s_cmp_lt_i32 s0, 2
	s_cbranch_scc1 .LBB71_681
; %bb.678:
	s_cmp_lt_i32 s0, 3
	s_cbranch_scc1 .LBB71_682
; %bb.679:
	s_cmp_gt_i32 s0, 3
	s_cbranch_scc0 .LBB71_683
; %bb.680:
	s_wait_loadcnt 0x0
	global_load_b64 v[6:7], v[4:5], off
	s_mov_b32 s1, 0
	s_wait_loadcnt 0x0
	v_cvt_f64_i32_e32 v[8:9], v7
	v_cvt_f64_u32_e32 v[6:7], v6
	s_delay_alu instid0(VALU_DEP_2) | instskip(NEXT) | instid1(VALU_DEP_1)
	v_ldexp_f64 v[8:9], v[8:9], 32
	v_add_f64_e32 v[6:7], v[8:9], v[6:7]
	s_branch .LBB71_684
.LBB71_681:
	s_mov_b32 s1, -1
                                        ; implicit-def: $vgpr6_vgpr7
	s_branch .LBB71_690
.LBB71_682:
	s_mov_b32 s1, -1
                                        ; implicit-def: $vgpr6_vgpr7
	s_branch .LBB71_687
.LBB71_683:
	s_mov_b32 s1, -1
                                        ; implicit-def: $vgpr6_vgpr7
.LBB71_684:
	s_delay_alu instid0(SALU_CYCLE_1)
	s_and_not1_b32 vcc_lo, exec_lo, s1
	s_cbranch_vccnz .LBB71_686
; %bb.685:
	global_load_b32 v1, v[4:5], off
	s_wait_loadcnt 0x0
	v_cvt_f64_i32_e32 v[6:7], v1
.LBB71_686:
	s_mov_b32 s1, 0
.LBB71_687:
	s_delay_alu instid0(SALU_CYCLE_1)
	s_and_not1_b32 vcc_lo, exec_lo, s1
	s_cbranch_vccnz .LBB71_689
; %bb.688:
	global_load_i16 v1, v[4:5], off
	s_wait_loadcnt 0x0
	v_cvt_f64_i32_e32 v[6:7], v1
.LBB71_689:
	s_mov_b32 s1, 0
.LBB71_690:
	s_delay_alu instid0(SALU_CYCLE_1)
	s_and_not1_b32 vcc_lo, exec_lo, s1
	s_cbranch_vccnz .LBB71_696
; %bb.691:
	s_cmp_gt_i32 s0, 0
	s_mov_b32 s0, 0
	s_cbranch_scc0 .LBB71_693
; %bb.692:
	global_load_i8 v1, v[4:5], off
	s_wait_loadcnt 0x0
	v_cvt_f64_i32_e32 v[6:7], v1
	s_branch .LBB71_694
.LBB71_693:
	s_mov_b32 s0, -1
                                        ; implicit-def: $vgpr6_vgpr7
.LBB71_694:
	s_delay_alu instid0(SALU_CYCLE_1)
	s_and_not1_b32 vcc_lo, exec_lo, s0
	s_cbranch_vccnz .LBB71_696
; %bb.695:
	global_load_u8 v1, v[4:5], off
	s_wait_loadcnt 0x0
	v_cvt_f64_u32_e32 v[6:7], v1
.LBB71_696:
	s_mov_b32 s1, -1
.LBB71_697:
	s_delay_alu instid0(SALU_CYCLE_1)
	s_and_not1_b32 vcc_lo, exec_lo, s1
	s_cbranch_vccnz .LBB71_705
; %bb.698:
	s_wait_loadcnt 0x0
	s_delay_alu instid0(VALU_DEP_1) | instskip(SKIP_2) | instid1(SALU_CYCLE_1)
	v_cmp_eq_f64_e64 s0, 0xfff00000, v[6:7]
	v_mov_b32_e32 v3, 0
	s_and_b32 s25, s34, 0xff
	s_cmp_lt_i32 s25, 11
	s_delay_alu instid0(VALU_DEP_1)
	v_add_nc_u64_e32 v[2:3], s[4:5], v[2:3]
	s_cbranch_scc1 .LBB71_706
; %bb.699:
	s_and_b32 s26, 0xffff, s25
	s_delay_alu instid0(SALU_CYCLE_1)
	s_cmp_gt_i32 s26, 25
	s_cbranch_scc0 .LBB71_707
; %bb.700:
	s_cmp_gt_i32 s26, 28
	s_cbranch_scc0 .LBB71_708
; %bb.701:
	;; [unrolled: 3-line block ×4, first 2 shown]
	s_mov_b32 s45, 0
	s_mov_b32 s1, -1
	s_cmp_eq_u32 s26, 46
	s_mov_b32 s27, 0
	s_cbranch_scc0 .LBB71_711
; %bb.704:
	v_cndmask_b32_e64 v1, 0, 1.0, s0
	s_mov_b32 s27, -1
	s_mov_b32 s1, 0
	s_wait_xcnt 0x0
	s_delay_alu instid0(VALU_DEP_1) | instskip(NEXT) | instid1(VALU_DEP_1)
	v_bfe_u32 v4, v1, 16, 1
	v_add3_u32 v1, v1, v4, 0x7fff
	s_delay_alu instid0(VALU_DEP_1)
	v_lshrrev_b32_e32 v1, 16, v1
	global_store_b32 v[2:3], v1, off
	s_branch .LBB71_711
.LBB71_705:
	s_mov_b32 s0, 0
	s_mov_b32 s1, s42
	s_branch .LBB71_822
.LBB71_706:
	s_mov_b32 s26, -1
	s_mov_b32 s27, 0
	s_mov_b32 s1, s42
	s_branch .LBB71_780
.LBB71_707:
	s_mov_b32 s45, -1
	s_mov_b32 s27, 0
	s_mov_b32 s1, s42
	s_branch .LBB71_738
.LBB71_708:
	s_mov_b32 s45, -1
	s_mov_b32 s27, 0
	s_mov_b32 s1, s42
	s_branch .LBB71_721
.LBB71_709:
	s_mov_b32 s45, -1
	s_mov_b32 s27, 0
	s_mov_b32 s1, s42
	s_branch .LBB71_717
.LBB71_710:
	s_mov_b32 s45, -1
	s_mov_b32 s27, 0
	s_mov_b32 s1, s42
.LBB71_711:
	s_and_b32 vcc_lo, exec_lo, s45
	s_cbranch_vccz .LBB71_716
; %bb.712:
	s_cmp_eq_u32 s26, 44
	s_mov_b32 s1, -1
	s_cbranch_scc0 .LBB71_716
; %bb.713:
	s_wait_xcnt 0x0
	v_cndmask_b32_e64 v5, 0, 1.0, s0
	s_mov_b32 s27, exec_lo
	s_delay_alu instid0(VALU_DEP_1) | instskip(NEXT) | instid1(VALU_DEP_1)
	v_dual_mov_b32 v4, 0xff :: v_dual_lshrrev_b32 v1, 23, v5
	v_cmpx_ne_u32_e32 0xff, v1
; %bb.714:
	v_and_b32_e32 v4, 0x400000, v5
	v_and_or_b32 v5, 0x3fffff, v5, v1
	s_delay_alu instid0(VALU_DEP_2) | instskip(NEXT) | instid1(VALU_DEP_2)
	v_cmp_ne_u32_e32 vcc_lo, 0, v4
	v_cmp_ne_u32_e64 s1, 0, v5
	s_and_b32 s1, vcc_lo, s1
	s_delay_alu instid0(SALU_CYCLE_1) | instskip(NEXT) | instid1(VALU_DEP_1)
	v_cndmask_b32_e64 v4, 0, 1, s1
	v_add_nc_u32_e32 v4, v1, v4
; %bb.715:
	s_or_b32 exec_lo, exec_lo, s27
	s_mov_b32 s27, -1
	s_mov_b32 s1, 0
	global_store_b8 v[2:3], v4, off
.LBB71_716:
	s_mov_b32 s45, 0
.LBB71_717:
	s_delay_alu instid0(SALU_CYCLE_1)
	s_and_b32 vcc_lo, exec_lo, s45
	s_cbranch_vccz .LBB71_720
; %bb.718:
	s_cmp_eq_u32 s26, 29
	s_mov_b32 s1, -1
	s_cbranch_scc0 .LBB71_720
; %bb.719:
	s_mov_b32 s1, 0
	s_wait_xcnt 0x0
	v_cndmask_b32_e64 v4, 0, 1, s0
	v_mov_b32_e32 v5, s1
	s_mov_b32 s27, -1
	s_mov_b32 s45, 0
	global_store_b64 v[2:3], v[4:5], off
	s_branch .LBB71_721
.LBB71_720:
	s_mov_b32 s45, 0
.LBB71_721:
	s_delay_alu instid0(SALU_CYCLE_1)
	s_and_b32 vcc_lo, exec_lo, s45
	s_cbranch_vccz .LBB71_737
; %bb.722:
	s_cmp_lt_i32 s26, 27
	s_mov_b32 s27, -1
	s_cbranch_scc1 .LBB71_728
; %bb.723:
	s_cmp_gt_i32 s26, 27
	s_cbranch_scc0 .LBB71_725
; %bb.724:
	s_wait_xcnt 0x0
	v_cndmask_b32_e64 v1, 0, 1, s0
	s_mov_b32 s27, 0
	global_store_b32 v[2:3], v1, off
.LBB71_725:
	s_and_not1_b32 vcc_lo, exec_lo, s27
	s_cbranch_vccnz .LBB71_727
; %bb.726:
	s_wait_xcnt 0x0
	v_cndmask_b32_e64 v1, 0, 1, s0
	global_store_b16 v[2:3], v1, off
.LBB71_727:
	s_mov_b32 s27, 0
.LBB71_728:
	s_delay_alu instid0(SALU_CYCLE_1)
	s_and_not1_b32 vcc_lo, exec_lo, s27
	s_cbranch_vccnz .LBB71_736
; %bb.729:
	s_wait_xcnt 0x0
	v_cndmask_b32_e64 v4, 0, 1.0, s0
	v_mov_b32_e32 v5, 0x80
	s_mov_b32 s27, exec_lo
	s_delay_alu instid0(VALU_DEP_2)
	v_cmpx_gt_u32_e32 0x43800000, v4
	s_cbranch_execz .LBB71_735
; %bb.730:
	s_mov_b32 s45, 0
	s_mov_b32 s46, exec_lo
                                        ; implicit-def: $vgpr1
	v_cmpx_lt_u32_e32 0x3bffffff, v4
	s_xor_b32 s46, exec_lo, s46
	s_cbranch_execz .LBB71_854
; %bb.731:
	v_bfe_u32 v1, v4, 20, 1
	s_mov_b32 s45, exec_lo
	s_delay_alu instid0(VALU_DEP_1) | instskip(NEXT) | instid1(VALU_DEP_1)
	v_add3_u32 v1, v4, v1, 0x487ffff
                                        ; implicit-def: $vgpr4
	v_lshrrev_b32_e32 v1, 20, v1
	s_and_not1_saveexec_b32 s46, s46
	s_cbranch_execnz .LBB71_855
.LBB71_732:
	s_or_b32 exec_lo, exec_lo, s46
	v_mov_b32_e32 v5, 0
	s_and_saveexec_b32 s46, s45
.LBB71_733:
	v_mov_b32_e32 v5, v1
.LBB71_734:
	s_or_b32 exec_lo, exec_lo, s46
.LBB71_735:
	s_delay_alu instid0(SALU_CYCLE_1)
	s_or_b32 exec_lo, exec_lo, s27
	global_store_b8 v[2:3], v5, off
.LBB71_736:
	s_mov_b32 s27, -1
.LBB71_737:
	s_mov_b32 s45, 0
.LBB71_738:
	s_delay_alu instid0(SALU_CYCLE_1)
	s_and_b32 vcc_lo, exec_lo, s45
	s_cbranch_vccz .LBB71_779
; %bb.739:
	s_cmp_gt_i32 s26, 22
	s_mov_b32 s45, -1
	s_cbranch_scc0 .LBB71_771
; %bb.740:
	s_cmp_lt_i32 s26, 24
	s_mov_b32 s27, -1
	s_cbranch_scc1 .LBB71_760
; %bb.741:
	s_cmp_gt_i32 s26, 24
	s_cbranch_scc0 .LBB71_749
; %bb.742:
	s_wait_xcnt 0x0
	v_cndmask_b32_e64 v4, 0, 1.0, s0
	v_mov_b32_e32 v5, 0x80
	s_mov_b32 s27, exec_lo
	s_delay_alu instid0(VALU_DEP_2)
	v_cmpx_gt_u32_e32 0x47800000, v4
	s_cbranch_execz .LBB71_748
; %bb.743:
	s_mov_b32 s45, 0
	s_mov_b32 s46, exec_lo
                                        ; implicit-def: $vgpr1
	v_cmpx_lt_u32_e32 0x37ffffff, v4
	s_xor_b32 s46, exec_lo, s46
	s_cbranch_execz .LBB71_857
; %bb.744:
	v_bfe_u32 v1, v4, 21, 1
	s_mov_b32 s45, exec_lo
	s_delay_alu instid0(VALU_DEP_1) | instskip(NEXT) | instid1(VALU_DEP_1)
	v_add3_u32 v1, v4, v1, 0x88fffff
                                        ; implicit-def: $vgpr4
	v_lshrrev_b32_e32 v1, 21, v1
	s_and_not1_saveexec_b32 s46, s46
	s_cbranch_execnz .LBB71_858
.LBB71_745:
	s_or_b32 exec_lo, exec_lo, s46
	v_mov_b32_e32 v5, 0
	s_and_saveexec_b32 s46, s45
.LBB71_746:
	v_mov_b32_e32 v5, v1
.LBB71_747:
	s_or_b32 exec_lo, exec_lo, s46
.LBB71_748:
	s_delay_alu instid0(SALU_CYCLE_1)
	s_or_b32 exec_lo, exec_lo, s27
	s_mov_b32 s27, 0
	global_store_b8 v[2:3], v5, off
.LBB71_749:
	s_and_b32 vcc_lo, exec_lo, s27
	s_cbranch_vccz .LBB71_759
; %bb.750:
	s_wait_xcnt 0x0
	v_cndmask_b32_e64 v4, 0, 1.0, s0
	s_mov_b32 s27, exec_lo
                                        ; implicit-def: $vgpr1
	s_delay_alu instid0(VALU_DEP_1)
	v_cmpx_gt_u32_e32 0x43f00000, v4
	s_xor_b32 s27, exec_lo, s27
	s_cbranch_execz .LBB71_756
; %bb.751:
	s_mov_b32 s45, exec_lo
                                        ; implicit-def: $vgpr1
	v_cmpx_lt_u32_e32 0x3c7fffff, v4
	s_xor_b32 s45, exec_lo, s45
; %bb.752:
	v_bfe_u32 v1, v4, 20, 1
	s_delay_alu instid0(VALU_DEP_1) | instskip(NEXT) | instid1(VALU_DEP_1)
	v_add3_u32 v1, v4, v1, 0x407ffff
	v_and_b32_e32 v4, 0xff00000, v1
	v_lshrrev_b32_e32 v1, 20, v1
	s_delay_alu instid0(VALU_DEP_2) | instskip(NEXT) | instid1(VALU_DEP_2)
	v_cmp_ne_u32_e32 vcc_lo, 0x7f00000, v4
                                        ; implicit-def: $vgpr4
	v_cndmask_b32_e32 v1, 0x7e, v1, vcc_lo
; %bb.753:
	s_and_not1_saveexec_b32 s45, s45
; %bb.754:
	v_add_f32_e32 v1, 0x46800000, v4
; %bb.755:
	s_or_b32 exec_lo, exec_lo, s45
                                        ; implicit-def: $vgpr4
.LBB71_756:
	s_and_not1_saveexec_b32 s27, s27
; %bb.757:
	v_mov_b32_e32 v1, 0x7f
	v_cmp_lt_u32_e32 vcc_lo, 0x7f800000, v4
	s_delay_alu instid0(VALU_DEP_2)
	v_cndmask_b32_e32 v1, 0x7e, v1, vcc_lo
; %bb.758:
	s_or_b32 exec_lo, exec_lo, s27
	global_store_b8 v[2:3], v1, off
.LBB71_759:
	s_mov_b32 s27, 0
.LBB71_760:
	s_delay_alu instid0(SALU_CYCLE_1)
	s_and_not1_b32 vcc_lo, exec_lo, s27
	s_cbranch_vccnz .LBB71_770
; %bb.761:
	s_wait_xcnt 0x0
	v_cndmask_b32_e64 v4, 0, 1.0, s0
	s_mov_b32 s27, exec_lo
                                        ; implicit-def: $vgpr1
	s_delay_alu instid0(VALU_DEP_1)
	v_cmpx_gt_u32_e32 0x47800000, v4
	s_xor_b32 s27, exec_lo, s27
	s_cbranch_execz .LBB71_767
; %bb.762:
	s_mov_b32 s45, exec_lo
                                        ; implicit-def: $vgpr1
	v_cmpx_lt_u32_e32 0x387fffff, v4
	s_xor_b32 s45, exec_lo, s45
; %bb.763:
	v_bfe_u32 v1, v4, 21, 1
	s_delay_alu instid0(VALU_DEP_1) | instskip(NEXT) | instid1(VALU_DEP_1)
	v_add3_u32 v1, v4, v1, 0x80fffff
                                        ; implicit-def: $vgpr4
	v_lshrrev_b32_e32 v1, 21, v1
; %bb.764:
	s_and_not1_saveexec_b32 s45, s45
; %bb.765:
	v_add_f32_e32 v1, 0x43000000, v4
; %bb.766:
	s_or_b32 exec_lo, exec_lo, s45
                                        ; implicit-def: $vgpr4
.LBB71_767:
	s_and_not1_saveexec_b32 s27, s27
; %bb.768:
	v_mov_b32_e32 v1, 0x7f
	v_cmp_lt_u32_e32 vcc_lo, 0x7f800000, v4
	s_delay_alu instid0(VALU_DEP_2)
	v_cndmask_b32_e32 v1, 0x7c, v1, vcc_lo
; %bb.769:
	s_or_b32 exec_lo, exec_lo, s27
	global_store_b8 v[2:3], v1, off
.LBB71_770:
	s_mov_b32 s45, 0
	s_mov_b32 s27, -1
.LBB71_771:
	s_and_not1_b32 vcc_lo, exec_lo, s45
	s_cbranch_vccnz .LBB71_779
; %bb.772:
	s_cmp_gt_i32 s26, 14
	s_mov_b32 s45, -1
	s_cbranch_scc0 .LBB71_776
; %bb.773:
	s_cmp_eq_u32 s26, 15
	s_mov_b32 s1, -1
	s_cbranch_scc0 .LBB71_775
; %bb.774:
	s_wait_xcnt 0x0
	v_cndmask_b32_e64 v1, 0, 1.0, s0
	s_mov_b32 s27, -1
	s_mov_b32 s1, 0
	s_delay_alu instid0(VALU_DEP_1) | instskip(NEXT) | instid1(VALU_DEP_1)
	v_bfe_u32 v4, v1, 16, 1
	v_add3_u32 v1, v1, v4, 0x7fff
	global_store_d16_hi_b16 v[2:3], v1, off
.LBB71_775:
	s_mov_b32 s45, 0
.LBB71_776:
	s_delay_alu instid0(SALU_CYCLE_1)
	s_and_b32 vcc_lo, exec_lo, s45
	s_cbranch_vccz .LBB71_779
; %bb.777:
	s_cmp_eq_u32 s26, 11
	s_mov_b32 s1, -1
	s_cbranch_scc0 .LBB71_779
; %bb.778:
	s_wait_xcnt 0x0
	v_cndmask_b32_e64 v1, 0, 1, s0
	s_mov_b32 s27, -1
	s_mov_b32 s1, 0
	global_store_b8 v[2:3], v1, off
.LBB71_779:
	s_mov_b32 s26, 0
.LBB71_780:
	s_delay_alu instid0(SALU_CYCLE_1)
	s_and_b32 vcc_lo, exec_lo, s26
	s_cbranch_vccz .LBB71_819
; %bb.781:
	s_and_b32 s25, 0xffff, s25
	s_mov_b32 s26, -1
	s_cmp_lt_i32 s25, 5
	s_cbranch_scc1 .LBB71_802
; %bb.782:
	s_cmp_lt_i32 s25, 8
	s_cbranch_scc1 .LBB71_792
; %bb.783:
	;; [unrolled: 3-line block ×3, first 2 shown]
	s_cmp_gt_i32 s25, 9
	s_cbranch_scc0 .LBB71_786
; %bb.785:
	s_wait_xcnt 0x0
	v_cndmask_b32_e64 v1, 0, 1, s0
	v_mov_b32_e32 v6, 0
	s_mov_b32 s26, 0
	s_delay_alu instid0(VALU_DEP_2) | instskip(NEXT) | instid1(VALU_DEP_2)
	v_cvt_f64_u32_e32 v[4:5], v1
	v_mov_b32_e32 v7, v6
	global_store_b128 v[2:3], v[4:7], off
.LBB71_786:
	s_and_not1_b32 vcc_lo, exec_lo, s26
	s_cbranch_vccnz .LBB71_788
; %bb.787:
	s_wait_xcnt 0x0
	v_cndmask_b32_e64 v4, 0, 1.0, s0
	v_mov_b32_e32 v5, 0
	global_store_b64 v[2:3], v[4:5], off
.LBB71_788:
	s_mov_b32 s26, 0
.LBB71_789:
	s_delay_alu instid0(SALU_CYCLE_1)
	s_and_not1_b32 vcc_lo, exec_lo, s26
	s_cbranch_vccnz .LBB71_791
; %bb.790:
	s_wait_xcnt 0x0
	v_cndmask_b32_e64 v1, 0, 1.0, s0
	s_delay_alu instid0(VALU_DEP_1) | instskip(NEXT) | instid1(VALU_DEP_1)
	v_cvt_f16_f32_e32 v1, v1
	v_and_b32_e32 v1, 0xffff, v1
	global_store_b32 v[2:3], v1, off
.LBB71_791:
	s_mov_b32 s26, 0
.LBB71_792:
	s_delay_alu instid0(SALU_CYCLE_1)
	s_and_not1_b32 vcc_lo, exec_lo, s26
	s_cbranch_vccnz .LBB71_801
; %bb.793:
	s_cmp_lt_i32 s25, 6
	s_mov_b32 s26, -1
	s_cbranch_scc1 .LBB71_799
; %bb.794:
	s_cmp_gt_i32 s25, 6
	s_cbranch_scc0 .LBB71_796
; %bb.795:
	s_wait_xcnt 0x0
	v_cndmask_b32_e64 v1, 0, 1, s0
	s_mov_b32 s26, 0
	s_delay_alu instid0(VALU_DEP_1)
	v_cvt_f64_u32_e32 v[4:5], v1
	global_store_b64 v[2:3], v[4:5], off
.LBB71_796:
	s_and_not1_b32 vcc_lo, exec_lo, s26
	s_cbranch_vccnz .LBB71_798
; %bb.797:
	s_wait_xcnt 0x0
	v_cndmask_b32_e64 v1, 0, 1.0, s0
	global_store_b32 v[2:3], v1, off
.LBB71_798:
	s_mov_b32 s26, 0
.LBB71_799:
	s_delay_alu instid0(SALU_CYCLE_1)
	s_and_not1_b32 vcc_lo, exec_lo, s26
	s_cbranch_vccnz .LBB71_801
; %bb.800:
	s_wait_xcnt 0x0
	v_cndmask_b32_e64 v1, 0, 1.0, s0
	s_delay_alu instid0(VALU_DEP_1)
	v_cvt_f16_f32_e32 v1, v1
	global_store_b16 v[2:3], v1, off
.LBB71_801:
	s_mov_b32 s26, 0
.LBB71_802:
	s_delay_alu instid0(SALU_CYCLE_1)
	s_and_not1_b32 vcc_lo, exec_lo, s26
	s_cbranch_vccnz .LBB71_818
; %bb.803:
	s_cmp_lt_i32 s25, 2
	s_mov_b32 s26, -1
	s_cbranch_scc1 .LBB71_813
; %bb.804:
	s_cmp_lt_i32 s25, 3
	s_cbranch_scc1 .LBB71_810
; %bb.805:
	s_cmp_gt_i32 s25, 3
	s_cbranch_scc0 .LBB71_807
; %bb.806:
	s_mov_b32 s26, 0
	s_wait_xcnt 0x0
	v_cndmask_b32_e64 v4, 0, 1, s0
	v_mov_b32_e32 v5, s26
	global_store_b64 v[2:3], v[4:5], off
.LBB71_807:
	s_and_not1_b32 vcc_lo, exec_lo, s26
	s_cbranch_vccnz .LBB71_809
; %bb.808:
	s_wait_xcnt 0x0
	v_cndmask_b32_e64 v1, 0, 1, s0
	global_store_b32 v[2:3], v1, off
.LBB71_809:
	s_mov_b32 s26, 0
.LBB71_810:
	s_delay_alu instid0(SALU_CYCLE_1)
	s_and_not1_b32 vcc_lo, exec_lo, s26
	s_cbranch_vccnz .LBB71_812
; %bb.811:
	s_wait_xcnt 0x0
	v_cndmask_b32_e64 v1, 0, 1, s0
	global_store_b16 v[2:3], v1, off
.LBB71_812:
	s_mov_b32 s26, 0
.LBB71_813:
	s_delay_alu instid0(SALU_CYCLE_1)
	s_and_not1_b32 vcc_lo, exec_lo, s26
	s_cbranch_vccnz .LBB71_818
; %bb.814:
	s_wait_xcnt 0x0
	v_cndmask_b32_e64 v1, 0, 1, s0
	s_cmp_gt_i32 s25, 0
	s_mov_b32 s0, -1
	s_cbranch_scc0 .LBB71_816
; %bb.815:
	s_mov_b32 s0, 0
	global_store_b8 v[2:3], v1, off
.LBB71_816:
	s_and_not1_b32 vcc_lo, exec_lo, s0
	s_cbranch_vccnz .LBB71_818
; %bb.817:
	global_store_b8 v[2:3], v1, off
.LBB71_818:
	s_mov_b32 s27, -1
.LBB71_819:
	s_delay_alu instid0(SALU_CYCLE_1)
	s_and_not1_b32 vcc_lo, exec_lo, s27
	s_cbranch_vccnz .LBB71_821
; %bb.820:
	v_add_nc_u32_e32 v0, 0x80, v0
	s_mov_b32 s0, -1
	s_branch .LBB71_823
.LBB71_821:
	s_mov_b32 s0, 0
.LBB71_822:
                                        ; implicit-def: $vgpr0
.LBB71_823:
	s_and_not1_b32 s25, s42, exec_lo
	s_and_b32 s1, s1, exec_lo
	s_and_not1_b32 s26, s41, exec_lo
	s_and_b32 s24, s24, exec_lo
	s_or_b32 s27, s25, s1
	s_or_b32 s26, s26, s24
	s_or_not1_b32 s25, s0, exec_lo
.LBB71_824:
	s_wait_xcnt 0x0
	s_or_b32 exec_lo, exec_lo, s44
	s_mov_b32 s0, 0
	s_mov_b32 s1, 0
	;; [unrolled: 1-line block ×3, first 2 shown]
                                        ; implicit-def: $vgpr4_vgpr5
                                        ; implicit-def: $vgpr2
                                        ; implicit-def: $vgpr6_vgpr7
	s_and_saveexec_b32 s44, s25
	s_cbranch_execz .LBB71_926
; %bb.825:
	v_cmp_gt_i32_e32 vcc_lo, s36, v0
	s_mov_b32 s45, s26
	s_mov_b32 s25, 0
                                        ; implicit-def: $vgpr4_vgpr5
                                        ; implicit-def: $vgpr2
                                        ; implicit-def: $vgpr6_vgpr7
	s_and_saveexec_b32 s36, vcc_lo
	s_cbranch_execz .LBB71_925
; %bb.826:
	s_and_not1_b32 vcc_lo, exec_lo, s31
	s_cbranch_vccnz .LBB71_832
; %bb.827:
	s_and_not1_b32 vcc_lo, exec_lo, s38
	s_cbranch_vccnz .LBB71_833
; %bb.828:
	s_add_co_i32 s37, s37, 1
	s_cmp_eq_u32 s29, 2
	s_cbranch_scc1 .LBB71_834
; %bb.829:
	v_dual_mov_b32 v2, 0 :: v_dual_mov_b32 v4, 0
	v_mov_b32_e32 v1, v0
	s_and_b32 s0, s37, 28
	s_mov_b64 s[24:25], s[2:3]
.LBB71_830:                             ; =>This Inner Loop Header: Depth=1
	s_clause 0x1
	s_load_b256 s[48:55], s[24:25], 0x4
	s_load_b128 s[64:67], s[24:25], 0x24
	s_load_b256 s[56:63], s[22:23], 0x0
	s_add_co_i32 s1, s1, 4
	s_wait_xcnt 0x0
	s_add_nc_u64 s[24:25], s[24:25], 48
	s_cmp_eq_u32 s0, s1
	s_add_nc_u64 s[22:23], s[22:23], 32
	s_wait_kmcnt 0x0
	v_mul_hi_u32 v3, s49, v1
	s_delay_alu instid0(VALU_DEP_1) | instskip(NEXT) | instid1(VALU_DEP_1)
	v_add_nc_u32_e32 v3, v1, v3
	v_lshrrev_b32_e32 v3, s50, v3
	s_delay_alu instid0(VALU_DEP_1) | instskip(NEXT) | instid1(VALU_DEP_1)
	v_mul_hi_u32 v5, s52, v3
	v_add_nc_u32_e32 v5, v3, v5
	s_delay_alu instid0(VALU_DEP_1) | instskip(SKIP_1) | instid1(VALU_DEP_1)
	v_lshrrev_b32_e32 v5, s53, v5
	s_wait_loadcnt 0x0
	v_mul_hi_u32 v6, s55, v5
	s_delay_alu instid0(VALU_DEP_1) | instskip(SKIP_1) | instid1(VALU_DEP_1)
	v_add_nc_u32_e32 v6, v5, v6
	v_mul_lo_u32 v7, v3, s48
	v_sub_nc_u32_e32 v1, v1, v7
	v_mul_lo_u32 v7, v5, s51
	s_delay_alu instid0(VALU_DEP_4) | instskip(NEXT) | instid1(VALU_DEP_3)
	v_lshrrev_b32_e32 v6, s64, v6
	v_mad_u32 v4, v1, s57, v4
	v_mad_u32 v1, v1, s56, v2
	s_delay_alu instid0(VALU_DEP_4) | instskip(NEXT) | instid1(VALU_DEP_4)
	v_sub_nc_u32_e32 v2, v3, v7
	v_mul_hi_u32 v8, s66, v6
	v_mul_lo_u32 v3, v6, s54
	s_delay_alu instid0(VALU_DEP_3) | instskip(SKIP_1) | instid1(VALU_DEP_3)
	v_mad_u32 v4, v2, s59, v4
	v_mad_u32 v2, v2, s58, v1
	v_dual_add_nc_u32 v7, v6, v8 :: v_dual_sub_nc_u32 v3, v5, v3
	s_delay_alu instid0(VALU_DEP_1) | instskip(NEXT) | instid1(VALU_DEP_2)
	v_lshrrev_b32_e32 v1, s67, v7
	v_mad_u32 v4, v3, s61, v4
	s_delay_alu instid0(VALU_DEP_4) | instskip(NEXT) | instid1(VALU_DEP_3)
	v_mad_u32 v2, v3, s60, v2
	v_mul_lo_u32 v5, v1, s65
	s_delay_alu instid0(VALU_DEP_1) | instskip(NEXT) | instid1(VALU_DEP_1)
	v_sub_nc_u32_e32 v3, v6, v5
	v_mad_u32 v4, v3, s63, v4
	s_delay_alu instid0(VALU_DEP_4)
	v_mad_u32 v2, v3, s62, v2
	s_cbranch_scc0 .LBB71_830
; %bb.831:
	s_delay_alu instid0(VALU_DEP_2)
	v_mov_b32_e32 v3, v4
	s_branch .LBB71_835
.LBB71_832:
	s_mov_b32 s0, -1
                                        ; implicit-def: $vgpr4
                                        ; implicit-def: $vgpr2
	s_branch .LBB71_840
.LBB71_833:
	v_dual_mov_b32 v4, 0 :: v_dual_mov_b32 v2, 0
	s_branch .LBB71_839
.LBB71_834:
	v_mov_b64_e32 v[2:3], 0
	v_mov_b32_e32 v1, v0
                                        ; implicit-def: $vgpr4
.LBB71_835:
	s_and_b32 s24, s37, 3
	s_mov_b32 s1, 0
	s_cmp_eq_u32 s24, 0
	s_cbranch_scc1 .LBB71_839
; %bb.836:
	s_lshl_b32 s22, s0, 3
	s_mov_b32 s23, s1
	s_mul_u64 s[46:47], s[0:1], 12
	s_add_nc_u64 s[22:23], s[2:3], s[22:23]
	s_delay_alu instid0(SALU_CYCLE_1)
	s_add_nc_u64 s[0:1], s[22:23], 0xc4
	s_add_nc_u64 s[22:23], s[2:3], s[46:47]
.LBB71_837:                             ; =>This Inner Loop Header: Depth=1
	s_load_b96 s[48:50], s[22:23], 0x4
	s_load_b64 s[46:47], s[0:1], 0x0
	s_add_co_i32 s24, s24, -1
	s_wait_xcnt 0x0
	s_add_nc_u64 s[22:23], s[22:23], 12
	s_cmp_lg_u32 s24, 0
	s_add_nc_u64 s[0:1], s[0:1], 8
	s_wait_kmcnt 0x0
	v_mul_hi_u32 v4, s49, v1
	s_delay_alu instid0(VALU_DEP_1) | instskip(NEXT) | instid1(VALU_DEP_1)
	v_add_nc_u32_e32 v4, v1, v4
	v_lshrrev_b32_e32 v4, s50, v4
	s_delay_alu instid0(VALU_DEP_1) | instskip(NEXT) | instid1(VALU_DEP_1)
	v_mul_lo_u32 v5, v4, s48
	v_sub_nc_u32_e32 v1, v1, v5
	s_delay_alu instid0(VALU_DEP_1)
	v_mad_u32 v3, v1, s47, v3
	v_mad_u32 v2, v1, s46, v2
	v_mov_b32_e32 v1, v4
	s_cbranch_scc1 .LBB71_837
; %bb.838:
	s_delay_alu instid0(VALU_DEP_3)
	v_mov_b32_e32 v4, v3
.LBB71_839:
	s_mov_b32 s0, 0
.LBB71_840:
	s_delay_alu instid0(SALU_CYCLE_1)
	s_and_not1_b32 vcc_lo, exec_lo, s0
	s_cbranch_vccnz .LBB71_843
; %bb.841:
	v_mov_b32_e32 v1, 0
	s_and_not1_b32 vcc_lo, exec_lo, s35
	s_delay_alu instid0(VALU_DEP_1) | instskip(NEXT) | instid1(VALU_DEP_1)
	v_mul_u64_e32 v[2:3], s[16:17], v[0:1]
	v_add_nc_u32_e32 v2, v0, v3
	s_wait_loadcnt 0x0
	s_delay_alu instid0(VALU_DEP_1) | instskip(NEXT) | instid1(VALU_DEP_1)
	v_lshrrev_b32_e32 v6, s14, v2
	v_mul_lo_u32 v2, v6, s12
	s_delay_alu instid0(VALU_DEP_1) | instskip(NEXT) | instid1(VALU_DEP_1)
	v_sub_nc_u32_e32 v0, v0, v2
	v_mul_lo_u32 v4, v0, s9
	v_mul_lo_u32 v2, v0, s8
	s_cbranch_vccnz .LBB71_843
; %bb.842:
	v_mov_b32_e32 v7, v1
	s_delay_alu instid0(VALU_DEP_1) | instskip(NEXT) | instid1(VALU_DEP_1)
	v_mul_u64_e32 v[0:1], s[20:21], v[6:7]
	v_add_nc_u32_e32 v0, v6, v1
	s_delay_alu instid0(VALU_DEP_1) | instskip(NEXT) | instid1(VALU_DEP_1)
	v_lshrrev_b32_e32 v0, s19, v0
	v_mul_lo_u32 v0, v0, s15
	s_delay_alu instid0(VALU_DEP_1) | instskip(NEXT) | instid1(VALU_DEP_1)
	v_sub_nc_u32_e32 v0, v6, v0
	v_mad_u32 v2, v0, s10, v2
	v_mad_u32 v4, v0, s11, v4
.LBB71_843:
	v_mov_b32_e32 v5, 0
	s_and_b32 s0, 0xffff, s13
	s_delay_alu instid0(SALU_CYCLE_1) | instskip(NEXT) | instid1(VALU_DEP_1)
	s_cmp_lt_i32 s0, 11
	v_add_nc_u64_e32 v[4:5], s[6:7], v[4:5]
	s_cbranch_scc1 .LBB71_850
; %bb.844:
	s_cmp_gt_i32 s0, 25
	s_mov_b32 s6, 0
	s_cbranch_scc0 .LBB71_851
; %bb.845:
	s_cmp_gt_i32 s0, 28
	s_cbranch_scc0 .LBB71_852
; %bb.846:
	s_cmp_gt_i32 s0, 43
	;; [unrolled: 3-line block ×3, first 2 shown]
	s_cbranch_scc0 .LBB71_856
; %bb.848:
	s_cmp_eq_u32 s0, 46
	s_mov_b32 s8, 0
	s_cbranch_scc0 .LBB71_859
; %bb.849:
	global_load_b32 v0, v[4:5], off
	s_mov_b32 s1, 0
	s_mov_b32 s7, -1
	s_wait_loadcnt 0x0
	v_lshlrev_b32_e32 v0, 16, v0
	s_delay_alu instid0(VALU_DEP_1)
	v_cvt_f64_f32_e32 v[6:7], v0
	s_branch .LBB71_861
.LBB71_850:
	s_mov_b32 s0, -1
	s_mov_b32 s7, 0
	s_mov_b32 s6, 0
	;; [unrolled: 1-line block ×3, first 2 shown]
                                        ; implicit-def: $vgpr6_vgpr7
	s_branch .LBB71_924
.LBB71_851:
	s_mov_b32 s8, -1
	s_mov_b32 s7, 0
	s_mov_b32 s1, s26
                                        ; implicit-def: $vgpr6_vgpr7
	s_branch .LBB71_890
.LBB71_852:
	s_mov_b32 s8, -1
	s_mov_b32 s7, 0
	s_mov_b32 s1, s26
                                        ; implicit-def: $vgpr6_vgpr7
	s_branch .LBB71_871
.LBB71_853:
	s_mov_b32 s8, -1
	s_mov_b32 s7, 0
	s_mov_b32 s1, s26
                                        ; implicit-def: $vgpr6_vgpr7
	s_branch .LBB71_866
.LBB71_854:
	s_and_not1_saveexec_b32 s46, s46
	s_cbranch_execz .LBB71_732
.LBB71_855:
	v_add_f32_e32 v1, 0x46000000, v4
	s_and_not1_b32 s45, s45, exec_lo
	s_delay_alu instid0(VALU_DEP_1) | instskip(NEXT) | instid1(VALU_DEP_1)
	v_and_b32_e32 v1, 0xff, v1
	v_cmp_ne_u32_e32 vcc_lo, 0, v1
	s_and_b32 s47, vcc_lo, exec_lo
	s_delay_alu instid0(SALU_CYCLE_1)
	s_or_b32 s45, s45, s47
	s_or_b32 exec_lo, exec_lo, s46
	v_mov_b32_e32 v5, 0
	s_and_saveexec_b32 s46, s45
	s_cbranch_execnz .LBB71_733
	s_branch .LBB71_734
.LBB71_856:
	s_mov_b32 s8, -1
	s_mov_b32 s7, 0
	s_mov_b32 s1, s26
	s_branch .LBB71_860
.LBB71_857:
	s_and_not1_saveexec_b32 s46, s46
	s_cbranch_execz .LBB71_745
.LBB71_858:
	v_add_f32_e32 v1, 0x42800000, v4
	s_and_not1_b32 s45, s45, exec_lo
	s_delay_alu instid0(VALU_DEP_1) | instskip(NEXT) | instid1(VALU_DEP_1)
	v_and_b32_e32 v1, 0xff, v1
	v_cmp_ne_u32_e32 vcc_lo, 0, v1
	s_and_b32 s47, vcc_lo, exec_lo
	s_delay_alu instid0(SALU_CYCLE_1)
	s_or_b32 s45, s45, s47
	s_or_b32 exec_lo, exec_lo, s46
	v_mov_b32_e32 v5, 0
	s_and_saveexec_b32 s46, s45
	s_cbranch_execnz .LBB71_746
	s_branch .LBB71_747
.LBB71_859:
	s_mov_b32 s1, -1
	s_mov_b32 s7, 0
.LBB71_860:
                                        ; implicit-def: $vgpr6_vgpr7
.LBB71_861:
	s_and_b32 vcc_lo, exec_lo, s8
	s_cbranch_vccz .LBB71_865
; %bb.862:
	s_cmp_eq_u32 s0, 44
	s_cbranch_scc0 .LBB71_864
; %bb.863:
	global_load_u8 v3, v[4:5], off
	s_mov_b32 s1, 0
	s_mov_b32 s7, -1
	s_wait_loadcnt 0x0
	v_cmp_ne_u32_e32 vcc_lo, 0xff, v3
	v_lshlrev_b32_e32 v0, 23, v3
	s_delay_alu instid0(VALU_DEP_1) | instskip(NEXT) | instid1(VALU_DEP_1)
	v_cvt_f64_f32_e32 v[0:1], v0
	v_cndmask_b32_e32 v0, 0x20000000, v0, vcc_lo
	s_delay_alu instid0(VALU_DEP_2) | instskip(SKIP_1) | instid1(VALU_DEP_2)
	v_cndmask_b32_e32 v1, 0x7ff80000, v1, vcc_lo
	v_cmp_ne_u32_e32 vcc_lo, 0, v3
	v_cndmask_b32_e32 v7, 0x38000000, v1, vcc_lo
	s_delay_alu instid0(VALU_DEP_4)
	v_cndmask_b32_e32 v6, 0, v0, vcc_lo
	s_branch .LBB71_865
.LBB71_864:
	s_mov_b32 s1, -1
                                        ; implicit-def: $vgpr6_vgpr7
.LBB71_865:
	s_mov_b32 s8, 0
.LBB71_866:
	s_delay_alu instid0(SALU_CYCLE_1)
	s_and_b32 vcc_lo, exec_lo, s8
	s_cbranch_vccz .LBB71_870
; %bb.867:
	s_cmp_eq_u32 s0, 29
	s_cbranch_scc0 .LBB71_869
; %bb.868:
	global_load_b64 v[0:1], v[4:5], off
	s_mov_b32 s1, 0
	s_mov_b32 s7, -1
	s_mov_b32 s8, 0
	s_wait_loadcnt 0x0
	v_cvt_f64_u32_e32 v[6:7], v1
	v_cvt_f64_u32_e32 v[0:1], v0
	s_delay_alu instid0(VALU_DEP_2) | instskip(NEXT) | instid1(VALU_DEP_1)
	v_ldexp_f64 v[6:7], v[6:7], 32
	v_add_f64_e32 v[6:7], v[6:7], v[0:1]
	s_branch .LBB71_871
.LBB71_869:
	s_mov_b32 s1, -1
                                        ; implicit-def: $vgpr6_vgpr7
.LBB71_870:
	s_mov_b32 s8, 0
.LBB71_871:
	s_delay_alu instid0(SALU_CYCLE_1)
	s_and_b32 vcc_lo, exec_lo, s8
	s_cbranch_vccz .LBB71_889
; %bb.872:
	s_cmp_lt_i32 s0, 27
	s_cbranch_scc1 .LBB71_875
; %bb.873:
	s_cmp_gt_i32 s0, 27
	s_cbranch_scc0 .LBB71_876
; %bb.874:
	global_load_b32 v0, v[4:5], off
	s_mov_b32 s7, 0
	s_wait_loadcnt 0x0
	v_cvt_f64_u32_e32 v[6:7], v0
	s_branch .LBB71_877
.LBB71_875:
	s_mov_b32 s7, -1
                                        ; implicit-def: $vgpr6_vgpr7
	s_branch .LBB71_880
.LBB71_876:
	s_mov_b32 s7, -1
                                        ; implicit-def: $vgpr6_vgpr7
.LBB71_877:
	s_delay_alu instid0(SALU_CYCLE_1)
	s_and_not1_b32 vcc_lo, exec_lo, s7
	s_cbranch_vccnz .LBB71_879
; %bb.878:
	global_load_u16 v0, v[4:5], off
	s_wait_loadcnt 0x0
	v_cvt_f64_u32_e32 v[6:7], v0
.LBB71_879:
	s_mov_b32 s7, 0
.LBB71_880:
	s_delay_alu instid0(SALU_CYCLE_1)
	s_and_not1_b32 vcc_lo, exec_lo, s7
	s_cbranch_vccnz .LBB71_888
; %bb.881:
	global_load_u8 v0, v[4:5], off
	s_mov_b32 s7, 0
	s_mov_b32 s8, exec_lo
	s_wait_loadcnt 0x0
	v_cmpx_lt_i16_e32 0x7f, v0
	s_xor_b32 s8, exec_lo, s8
	s_cbranch_execz .LBB71_902
; %bb.882:
	s_mov_b32 s7, -1
	s_mov_b32 s9, exec_lo
	v_cmpx_eq_u16_e32 0x80, v0
; %bb.883:
	s_xor_b32 s7, exec_lo, -1
; %bb.884:
	s_or_b32 exec_lo, exec_lo, s9
	s_delay_alu instid0(SALU_CYCLE_1)
	s_and_b32 s7, s7, exec_lo
	s_or_saveexec_b32 s8, s8
	v_mov_b64_e32 v[6:7], 0x7ff8000020000000
	s_xor_b32 exec_lo, exec_lo, s8
	s_cbranch_execnz .LBB71_903
.LBB71_885:
	s_or_b32 exec_lo, exec_lo, s8
	s_and_saveexec_b32 s8, s7
	s_cbranch_execz .LBB71_887
.LBB71_886:
	v_and_b32_e32 v1, 0xffff, v0
	s_delay_alu instid0(VALU_DEP_1) | instskip(SKIP_1) | instid1(VALU_DEP_2)
	v_and_b32_e32 v3, 7, v1
	v_bfe_u32 v8, v1, 3, 4
	v_clz_i32_u32_e32 v6, v3
	s_delay_alu instid0(VALU_DEP_2) | instskip(NEXT) | instid1(VALU_DEP_2)
	v_cmp_eq_u32_e32 vcc_lo, 0, v8
	v_min_u32_e32 v6, 32, v6
	s_delay_alu instid0(VALU_DEP_1) | instskip(NEXT) | instid1(VALU_DEP_1)
	v_subrev_nc_u32_e32 v7, 28, v6
	v_dual_lshlrev_b32 v1, v7, v1 :: v_dual_sub_nc_u32 v6, 29, v6
	s_delay_alu instid0(VALU_DEP_1) | instskip(NEXT) | instid1(VALU_DEP_1)
	v_dual_lshlrev_b32 v0, 24, v0 :: v_dual_bitop2_b32 v1, 7, v1 bitop3:0x40
	v_dual_cndmask_b32 v6, v8, v6 :: v_dual_cndmask_b32 v1, v3, v1
	s_delay_alu instid0(VALU_DEP_2) | instskip(NEXT) | instid1(VALU_DEP_2)
	v_and_b32_e32 v0, 0x80000000, v0
	v_lshl_add_u32 v3, v6, 23, 0x3b800000
	s_delay_alu instid0(VALU_DEP_3) | instskip(NEXT) | instid1(VALU_DEP_1)
	v_lshlrev_b32_e32 v1, 20, v1
	v_or3_b32 v0, v0, v3, v1
	s_delay_alu instid0(VALU_DEP_1)
	v_cvt_f64_f32_e32 v[6:7], v0
.LBB71_887:
	s_or_b32 exec_lo, exec_lo, s8
.LBB71_888:
	s_mov_b32 s7, -1
.LBB71_889:
	s_mov_b32 s8, 0
.LBB71_890:
	s_delay_alu instid0(SALU_CYCLE_1)
	s_and_b32 vcc_lo, exec_lo, s8
	s_cbranch_vccz .LBB71_923
; %bb.891:
	s_cmp_gt_i32 s0, 22
	s_cbranch_scc0 .LBB71_901
; %bb.892:
	s_cmp_lt_i32 s0, 24
	s_cbranch_scc1 .LBB71_904
; %bb.893:
	s_cmp_gt_i32 s0, 24
	s_cbranch_scc0 .LBB71_905
; %bb.894:
	global_load_u8 v0, v[4:5], off
	s_mov_b32 s7, exec_lo
	s_wait_loadcnt 0x0
	v_cmpx_lt_i16_e32 0x7f, v0
	s_xor_b32 s7, exec_lo, s7
	s_cbranch_execz .LBB71_917
; %bb.895:
	s_mov_b32 s6, -1
	s_mov_b32 s8, exec_lo
	v_cmpx_eq_u16_e32 0x80, v0
; %bb.896:
	s_xor_b32 s6, exec_lo, -1
; %bb.897:
	s_or_b32 exec_lo, exec_lo, s8
	s_delay_alu instid0(SALU_CYCLE_1)
	s_and_b32 s6, s6, exec_lo
	s_or_saveexec_b32 s7, s7
	v_mov_b64_e32 v[6:7], 0x7ff8000020000000
	s_xor_b32 exec_lo, exec_lo, s7
	s_cbranch_execnz .LBB71_918
.LBB71_898:
	s_or_b32 exec_lo, exec_lo, s7
	s_and_saveexec_b32 s7, s6
	s_cbranch_execz .LBB71_900
.LBB71_899:
	v_and_b32_e32 v1, 0xffff, v0
	s_delay_alu instid0(VALU_DEP_1) | instskip(SKIP_1) | instid1(VALU_DEP_2)
	v_and_b32_e32 v3, 3, v1
	v_bfe_u32 v8, v1, 2, 5
	v_clz_i32_u32_e32 v6, v3
	s_delay_alu instid0(VALU_DEP_2) | instskip(NEXT) | instid1(VALU_DEP_2)
	v_cmp_eq_u32_e32 vcc_lo, 0, v8
	v_min_u32_e32 v6, 32, v6
	s_delay_alu instid0(VALU_DEP_1) | instskip(NEXT) | instid1(VALU_DEP_1)
	v_subrev_nc_u32_e32 v7, 29, v6
	v_dual_lshlrev_b32 v1, v7, v1 :: v_dual_sub_nc_u32 v6, 30, v6
	s_delay_alu instid0(VALU_DEP_1) | instskip(NEXT) | instid1(VALU_DEP_1)
	v_dual_lshlrev_b32 v0, 24, v0 :: v_dual_bitop2_b32 v1, 3, v1 bitop3:0x40
	v_dual_cndmask_b32 v6, v8, v6 :: v_dual_cndmask_b32 v1, v3, v1
	s_delay_alu instid0(VALU_DEP_2) | instskip(NEXT) | instid1(VALU_DEP_2)
	v_and_b32_e32 v0, 0x80000000, v0
	v_lshl_add_u32 v3, v6, 23, 0x37800000
	s_delay_alu instid0(VALU_DEP_3) | instskip(NEXT) | instid1(VALU_DEP_1)
	v_lshlrev_b32_e32 v1, 21, v1
	v_or3_b32 v0, v0, v3, v1
	s_delay_alu instid0(VALU_DEP_1)
	v_cvt_f64_f32_e32 v[6:7], v0
.LBB71_900:
	s_or_b32 exec_lo, exec_lo, s7
	s_mov_b32 s6, 0
	s_branch .LBB71_906
.LBB71_901:
	s_mov_b32 s6, -1
                                        ; implicit-def: $vgpr6_vgpr7
	s_branch .LBB71_912
.LBB71_902:
	s_or_saveexec_b32 s8, s8
	v_mov_b64_e32 v[6:7], 0x7ff8000020000000
	s_xor_b32 exec_lo, exec_lo, s8
	s_cbranch_execz .LBB71_885
.LBB71_903:
	v_cmp_ne_u16_e32 vcc_lo, 0, v0
	v_mov_b64_e32 v[6:7], 0
	s_and_not1_b32 s7, s7, exec_lo
	s_and_b32 s9, vcc_lo, exec_lo
	s_delay_alu instid0(SALU_CYCLE_1)
	s_or_b32 s7, s7, s9
	s_or_b32 exec_lo, exec_lo, s8
	s_and_saveexec_b32 s8, s7
	s_cbranch_execnz .LBB71_886
	s_branch .LBB71_887
.LBB71_904:
	s_mov_b32 s6, -1
                                        ; implicit-def: $vgpr6_vgpr7
	s_branch .LBB71_909
.LBB71_905:
	s_mov_b32 s6, -1
                                        ; implicit-def: $vgpr6_vgpr7
.LBB71_906:
	s_delay_alu instid0(SALU_CYCLE_1)
	s_and_b32 vcc_lo, exec_lo, s6
	s_cbranch_vccz .LBB71_908
; %bb.907:
	global_load_u8 v0, v[4:5], off
	s_wait_loadcnt 0x0
	v_lshlrev_b32_e32 v0, 24, v0
	s_delay_alu instid0(VALU_DEP_1) | instskip(NEXT) | instid1(VALU_DEP_1)
	v_and_b32_e32 v1, 0x7f000000, v0
	v_clz_i32_u32_e32 v3, v1
	v_add_nc_u32_e32 v7, 0x1000000, v1
	v_cmp_ne_u32_e32 vcc_lo, 0, v1
	s_delay_alu instid0(VALU_DEP_3) | instskip(NEXT) | instid1(VALU_DEP_1)
	v_min_u32_e32 v3, 32, v3
	v_sub_nc_u32_e64 v3, v3, 4 clamp
	s_delay_alu instid0(VALU_DEP_1) | instskip(NEXT) | instid1(VALU_DEP_1)
	v_dual_lshlrev_b32 v6, v3, v1 :: v_dual_lshlrev_b32 v3, 23, v3
	v_lshrrev_b32_e32 v6, 4, v6
	s_delay_alu instid0(VALU_DEP_1) | instskip(SKIP_1) | instid1(VALU_DEP_2)
	v_sub_nc_u32_e32 v3, v6, v3
	v_ashrrev_i32_e32 v6, 8, v7
	v_add_nc_u32_e32 v3, 0x3c000000, v3
	s_delay_alu instid0(VALU_DEP_1) | instskip(NEXT) | instid1(VALU_DEP_1)
	v_and_or_b32 v3, 0x7f800000, v6, v3
	v_cndmask_b32_e32 v1, 0, v3, vcc_lo
	s_delay_alu instid0(VALU_DEP_1) | instskip(NEXT) | instid1(VALU_DEP_1)
	v_and_or_b32 v0, 0x80000000, v0, v1
	v_cvt_f64_f32_e32 v[6:7], v0
.LBB71_908:
	s_mov_b32 s6, 0
.LBB71_909:
	s_delay_alu instid0(SALU_CYCLE_1)
	s_and_not1_b32 vcc_lo, exec_lo, s6
	s_cbranch_vccnz .LBB71_911
; %bb.910:
	global_load_u8 v0, v[4:5], off
	s_wait_loadcnt 0x0
	v_lshlrev_b32_e32 v1, 25, v0
	v_lshlrev_b16 v0, 8, v0
	s_delay_alu instid0(VALU_DEP_1) | instskip(SKIP_1) | instid1(VALU_DEP_2)
	v_and_or_b32 v6, 0x7f00, v0, 0.5
	v_bfe_i32 v0, v0, 0, 16
	v_dual_add_f32 v6, -0.5, v6 :: v_dual_lshrrev_b32 v3, 4, v1
	v_cmp_gt_u32_e32 vcc_lo, 0x8000000, v1
	s_delay_alu instid0(VALU_DEP_2) | instskip(NEXT) | instid1(VALU_DEP_1)
	v_or_b32_e32 v3, 0x70000000, v3
	v_mul_f32_e32 v3, 0x7800000, v3
	s_delay_alu instid0(VALU_DEP_1) | instskip(NEXT) | instid1(VALU_DEP_1)
	v_cndmask_b32_e32 v1, v3, v6, vcc_lo
	v_and_or_b32 v0, 0x80000000, v0, v1
	s_delay_alu instid0(VALU_DEP_1)
	v_cvt_f64_f32_e32 v[6:7], v0
.LBB71_911:
	s_mov_b32 s6, 0
	s_mov_b32 s7, -1
.LBB71_912:
	s_and_not1_b32 vcc_lo, exec_lo, s6
	s_mov_b32 s6, 0
	s_cbranch_vccnz .LBB71_923
; %bb.913:
	s_cmp_gt_i32 s0, 14
	s_cbranch_scc0 .LBB71_916
; %bb.914:
	s_cmp_eq_u32 s0, 15
	s_cbranch_scc0 .LBB71_919
; %bb.915:
	global_load_u16 v0, v[4:5], off
	s_mov_b32 s1, 0
	s_mov_b32 s7, -1
	s_wait_loadcnt 0x0
	v_lshlrev_b32_e32 v0, 16, v0
	s_delay_alu instid0(VALU_DEP_1)
	v_cvt_f64_f32_e32 v[6:7], v0
	s_branch .LBB71_921
.LBB71_916:
	s_mov_b32 s6, -1
	s_branch .LBB71_920
.LBB71_917:
	s_or_saveexec_b32 s7, s7
	v_mov_b64_e32 v[6:7], 0x7ff8000020000000
	s_xor_b32 exec_lo, exec_lo, s7
	s_cbranch_execz .LBB71_898
.LBB71_918:
	v_cmp_ne_u16_e32 vcc_lo, 0, v0
	v_mov_b64_e32 v[6:7], 0
	s_and_not1_b32 s6, s6, exec_lo
	s_and_b32 s8, vcc_lo, exec_lo
	s_delay_alu instid0(SALU_CYCLE_1)
	s_or_b32 s6, s6, s8
	s_or_b32 exec_lo, exec_lo, s7
	s_and_saveexec_b32 s7, s6
	s_cbranch_execnz .LBB71_899
	s_branch .LBB71_900
.LBB71_919:
	s_mov_b32 s1, -1
.LBB71_920:
                                        ; implicit-def: $vgpr6_vgpr7
.LBB71_921:
	s_and_b32 vcc_lo, exec_lo, s6
	s_mov_b32 s6, 0
	s_cbranch_vccz .LBB71_923
; %bb.922:
	s_cmp_lg_u32 s0, 11
	s_mov_b32 s6, -1
	s_cselect_b32 s0, -1, 0
	s_and_not1_b32 s1, s1, exec_lo
	s_and_b32 s0, s0, exec_lo
	s_delay_alu instid0(SALU_CYCLE_1)
	s_or_b32 s1, s1, s0
.LBB71_923:
	s_mov_b32 s0, 0
.LBB71_924:
	s_and_b32 s24, s7, exec_lo
	s_and_not1_b32 s7, s26, exec_lo
	s_and_b32 s1, s1, exec_lo
	s_and_b32 s25, s0, exec_lo
	;; [unrolled: 1-line block ×3, first 2 shown]
	s_or_b32 s45, s7, s1
.LBB71_925:
	s_wait_xcnt 0x0
	s_or_b32 exec_lo, exec_lo, s36
	s_delay_alu instid0(SALU_CYCLE_1)
	s_and_not1_b32 s6, s26, exec_lo
	s_and_b32 s7, s45, exec_lo
	s_and_b32 s24, s24, exec_lo
	;; [unrolled: 1-line block ×4, first 2 shown]
	s_or_b32 s26, s6, s7
.LBB71_926:
	s_or_b32 exec_lo, exec_lo, s44
	s_delay_alu instid0(SALU_CYCLE_1)
	s_and_not1_b32 s6, s42, exec_lo
	s_and_b32 s7, s27, exec_lo
	s_and_b32 s25, s24, exec_lo
	s_or_b32 s42, s6, s7
	s_and_not1_b32 s6, s41, exec_lo
	s_and_b32 s7, s26, exec_lo
	s_and_b32 s24, s1, exec_lo
	;; [unrolled: 1-line block ×3, first 2 shown]
	s_or_b32 s41, s6, s7
.LBB71_927:
	s_or_b32 exec_lo, exec_lo, s43
	s_delay_alu instid0(SALU_CYCLE_1)
	s_and_not1_b32 s0, s18, exec_lo
	s_and_b32 s6, s42, exec_lo
	s_and_b32 s7, s41, exec_lo
	s_or_b32 s18, s0, s6
	s_and_not1_b32 s6, s39, exec_lo
	s_and_b32 s0, s25, exec_lo
	s_and_b32 s24, s24, exec_lo
	;; [unrolled: 1-line block ×3, first 2 shown]
	s_or_b32 s39, s6, s7
	s_or_b32 exec_lo, exec_lo, s40
	s_mov_b32 s1, 0
	s_and_saveexec_b32 s6, s39
	s_cbranch_execz .LBB71_276
.LBB71_928:
	s_mov_b32 s1, exec_lo
	s_and_not1_b32 s17, s17, exec_lo
	s_trap 2
	s_or_b32 exec_lo, exec_lo, s6
	s_and_saveexec_b32 s6, s17
	s_delay_alu instid0(SALU_CYCLE_1)
	s_xor_b32 s6, exec_lo, s6
	s_cbranch_execnz .LBB71_277
.LBB71_929:
	s_or_b32 exec_lo, exec_lo, s6
	s_and_saveexec_b32 s6, s24
	s_cbranch_execz .LBB71_975
.LBB71_930:
	s_sext_i32_i16 s7, s13
	s_delay_alu instid0(SALU_CYCLE_1)
	s_cmp_lt_i32 s7, 5
	s_cbranch_scc1 .LBB71_935
; %bb.931:
	s_cmp_lt_i32 s7, 8
	s_cbranch_scc1 .LBB71_936
; %bb.932:
	;; [unrolled: 3-line block ×3, first 2 shown]
	s_cmp_gt_i32 s7, 9
	s_cbranch_scc0 .LBB71_938
; %bb.934:
	s_wait_loadcnt 0x0
	global_load_b64 v[6:7], v[4:5], off
	s_mov_b32 s7, 0
	s_branch .LBB71_939
.LBB71_935:
                                        ; implicit-def: $vgpr6_vgpr7
	s_branch .LBB71_956
.LBB71_936:
                                        ; implicit-def: $vgpr6_vgpr7
	s_branch .LBB71_945
.LBB71_937:
	s_mov_b32 s7, -1
                                        ; implicit-def: $vgpr6_vgpr7
	s_branch .LBB71_942
.LBB71_938:
	s_mov_b32 s7, -1
                                        ; implicit-def: $vgpr6_vgpr7
.LBB71_939:
	s_delay_alu instid0(SALU_CYCLE_1)
	s_and_not1_b32 vcc_lo, exec_lo, s7
	s_cbranch_vccnz .LBB71_941
; %bb.940:
	global_load_b32 v0, v[4:5], off
	s_wait_loadcnt 0x0
	v_cvt_f64_f32_e32 v[6:7], v0
.LBB71_941:
	s_mov_b32 s7, 0
.LBB71_942:
	s_delay_alu instid0(SALU_CYCLE_1)
	s_and_not1_b32 vcc_lo, exec_lo, s7
	s_cbranch_vccnz .LBB71_944
; %bb.943:
	global_load_b32 v0, v[4:5], off
	s_wait_loadcnt 0x0
	v_cvt_f32_f16_e32 v0, v0
	s_delay_alu instid0(VALU_DEP_1)
	v_cvt_f64_f32_e32 v[6:7], v0
.LBB71_944:
	s_cbranch_execnz .LBB71_955
.LBB71_945:
	s_sext_i32_i16 s7, s13
	s_delay_alu instid0(SALU_CYCLE_1)
	s_cmp_lt_i32 s7, 6
	s_cbranch_scc1 .LBB71_948
; %bb.946:
	s_cmp_gt_i32 s7, 6
	s_cbranch_scc0 .LBB71_949
; %bb.947:
	s_wait_loadcnt 0x0
	global_load_b64 v[6:7], v[4:5], off
	s_mov_b32 s7, 0
	s_branch .LBB71_950
.LBB71_948:
	s_mov_b32 s7, -1
                                        ; implicit-def: $vgpr6_vgpr7
	s_branch .LBB71_953
.LBB71_949:
	s_mov_b32 s7, -1
                                        ; implicit-def: $vgpr6_vgpr7
.LBB71_950:
	s_delay_alu instid0(SALU_CYCLE_1)
	s_and_not1_b32 vcc_lo, exec_lo, s7
	s_cbranch_vccnz .LBB71_952
; %bb.951:
	global_load_b32 v0, v[4:5], off
	s_wait_loadcnt 0x0
	v_cvt_f64_f32_e32 v[6:7], v0
.LBB71_952:
	s_mov_b32 s7, 0
.LBB71_953:
	s_delay_alu instid0(SALU_CYCLE_1)
	s_and_not1_b32 vcc_lo, exec_lo, s7
	s_cbranch_vccnz .LBB71_955
; %bb.954:
	global_load_u16 v0, v[4:5], off
	s_wait_loadcnt 0x0
	v_cvt_f32_f16_e32 v0, v0
	s_delay_alu instid0(VALU_DEP_1)
	v_cvt_f64_f32_e32 v[6:7], v0
.LBB71_955:
	s_cbranch_execnz .LBB71_974
.LBB71_956:
	s_sext_i32_i16 s7, s13
	s_delay_alu instid0(SALU_CYCLE_1)
	s_cmp_lt_i32 s7, 2
	s_cbranch_scc1 .LBB71_960
; %bb.957:
	s_cmp_lt_i32 s7, 3
	s_cbranch_scc1 .LBB71_961
; %bb.958:
	s_cmp_gt_i32 s7, 3
	s_cbranch_scc0 .LBB71_962
; %bb.959:
	global_load_b64 v[0:1], v[4:5], off
	s_mov_b32 s7, 0
	s_wait_loadcnt 0x0
	v_cvt_f64_i32_e32 v[6:7], v1
	v_cvt_f64_u32_e32 v[0:1], v0
	s_delay_alu instid0(VALU_DEP_2) | instskip(NEXT) | instid1(VALU_DEP_1)
	v_ldexp_f64 v[6:7], v[6:7], 32
	v_add_f64_e32 v[6:7], v[6:7], v[0:1]
	s_branch .LBB71_963
.LBB71_960:
                                        ; implicit-def: $vgpr6_vgpr7
	s_branch .LBB71_969
.LBB71_961:
	s_mov_b32 s7, -1
                                        ; implicit-def: $vgpr6_vgpr7
	s_branch .LBB71_966
.LBB71_962:
	s_mov_b32 s7, -1
                                        ; implicit-def: $vgpr6_vgpr7
.LBB71_963:
	s_delay_alu instid0(SALU_CYCLE_1)
	s_and_not1_b32 vcc_lo, exec_lo, s7
	s_cbranch_vccnz .LBB71_965
; %bb.964:
	global_load_b32 v0, v[4:5], off
	s_wait_loadcnt 0x0
	v_cvt_f64_i32_e32 v[6:7], v0
.LBB71_965:
	s_mov_b32 s7, 0
.LBB71_966:
	s_delay_alu instid0(SALU_CYCLE_1)
	s_and_not1_b32 vcc_lo, exec_lo, s7
	s_cbranch_vccnz .LBB71_968
; %bb.967:
	global_load_i16 v0, v[4:5], off
	s_wait_loadcnt 0x0
	v_cvt_f64_i32_e32 v[6:7], v0
.LBB71_968:
	s_cbranch_execnz .LBB71_974
.LBB71_969:
	s_sext_i32_i16 s7, s13
	s_delay_alu instid0(SALU_CYCLE_1)
	s_cmp_gt_i32 s7, 0
	s_mov_b32 s7, 0
	s_cbranch_scc0 .LBB71_971
; %bb.970:
	global_load_i8 v0, v[4:5], off
	s_wait_loadcnt 0x0
	v_cvt_f64_i32_e32 v[6:7], v0
	s_branch .LBB71_972
.LBB71_971:
	s_mov_b32 s7, -1
                                        ; implicit-def: $vgpr6_vgpr7
.LBB71_972:
	s_delay_alu instid0(SALU_CYCLE_1)
	s_and_not1_b32 vcc_lo, exec_lo, s7
	s_cbranch_vccnz .LBB71_974
; %bb.973:
	global_load_u8 v0, v[4:5], off
	s_wait_loadcnt 0x0
	v_cvt_f64_u32_e32 v[6:7], v0
.LBB71_974:
	s_or_b32 s0, s0, exec_lo
.LBB71_975:
	s_wait_xcnt 0x0
	s_or_b32 exec_lo, exec_lo, s6
	s_mov_b32 s10, 0
	s_mov_b32 s9, 0
                                        ; implicit-def: $sgpr6
                                        ; implicit-def: $sgpr7
                                        ; implicit-def: $vgpr0_vgpr1
	s_and_saveexec_b32 s8, s0
	s_cbranch_execz .LBB71_983
; %bb.976:
	s_wait_loadcnt 0x0
	s_delay_alu instid0(VALU_DEP_1) | instskip(SKIP_2) | instid1(SALU_CYCLE_1)
	v_cmp_eq_f64_e64 s6, 0xfff00000, v[6:7]
	v_mov_b32_e32 v3, 0
	s_and_b32 s7, s34, 0xff
	s_cmp_lt_i32 s7, 11
	s_delay_alu instid0(VALU_DEP_1)
	v_add_nc_u64_e32 v[0:1], s[4:5], v[2:3]
	s_cbranch_scc1 .LBB71_986
; %bb.977:
	s_and_b32 s4, 0xffff, s7
	s_mov_b32 s5, -1
	s_cmp_gt_i32 s4, 25
	s_mov_b32 s0, s18
	s_cbranch_scc0 .LBB71_1014
; %bb.978:
	s_cmp_gt_i32 s4, 28
	s_mov_b32 s0, s18
	s_cbranch_scc0 .LBB71_998
; %bb.979:
	;; [unrolled: 4-line block ×4, first 2 shown]
	s_cmp_eq_u32 s4, 46
	s_mov_b32 s0, -1
	s_cbranch_scc0 .LBB71_987
; %bb.982:
	v_cndmask_b32_e64 v2, 0, 1.0, s6
	s_mov_b32 s0, 0
	s_mov_b32 s5, 0
	s_delay_alu instid0(VALU_DEP_1) | instskip(NEXT) | instid1(VALU_DEP_1)
	v_bfe_u32 v3, v2, 16, 1
	v_add3_u32 v2, v2, v3, 0x7fff
	s_delay_alu instid0(VALU_DEP_1)
	v_lshrrev_b32_e32 v2, 16, v2
	global_store_b32 v[0:1], v2, off
	s_branch .LBB71_988
.LBB71_983:
	s_or_b32 exec_lo, exec_lo, s8
	s_and_saveexec_b32 s0, s18
	s_cbranch_execnz .LBB71_1056
.LBB71_984:
	s_or_b32 exec_lo, exec_lo, s0
	s_and_saveexec_b32 s0, s10
	s_delay_alu instid0(SALU_CYCLE_1)
	s_xor_b32 s0, exec_lo, s0
	s_cbranch_execz .LBB71_1057
.LBB71_985:
	v_cndmask_b32_e64 v2, 0, 1, s6
	global_store_b8 v[0:1], v2, off
	s_wait_xcnt 0x0
	s_or_b32 exec_lo, exec_lo, s0
	s_and_saveexec_b32 s0, s9
	s_delay_alu instid0(SALU_CYCLE_1)
	s_xor_b32 s0, exec_lo, s0
	s_cbranch_execz .LBB71_1095
	s_branch .LBB71_1058
.LBB71_986:
	s_mov_b32 s5, -1
	s_mov_b32 s0, s18
	s_branch .LBB71_1055
.LBB71_987:
	s_mov_b32 s5, 0
.LBB71_988:
	s_delay_alu instid0(SALU_CYCLE_1)
	s_and_b32 vcc_lo, exec_lo, s5
	s_cbranch_vccz .LBB71_993
; %bb.989:
	s_cmp_eq_u32 s4, 44
	s_mov_b32 s0, -1
	s_cbranch_scc0 .LBB71_993
; %bb.990:
	v_cndmask_b32_e64 v4, 0, 1.0, s6
	s_mov_b32 s5, exec_lo
	s_wait_xcnt 0x0
	s_delay_alu instid0(VALU_DEP_1) | instskip(NEXT) | instid1(VALU_DEP_1)
	v_dual_mov_b32 v3, 0xff :: v_dual_lshrrev_b32 v2, 23, v4
	v_cmpx_ne_u32_e32 0xff, v2
; %bb.991:
	v_and_b32_e32 v3, 0x400000, v4
	v_and_or_b32 v4, 0x3fffff, v4, v2
	s_delay_alu instid0(VALU_DEP_2) | instskip(NEXT) | instid1(VALU_DEP_2)
	v_cmp_ne_u32_e32 vcc_lo, 0, v3
	v_cmp_ne_u32_e64 s0, 0, v4
	s_and_b32 s0, vcc_lo, s0
	s_delay_alu instid0(SALU_CYCLE_1) | instskip(NEXT) | instid1(VALU_DEP_1)
	v_cndmask_b32_e64 v3, 0, 1, s0
	v_add_nc_u32_e32 v3, v2, v3
; %bb.992:
	s_or_b32 exec_lo, exec_lo, s5
	s_mov_b32 s0, 0
	global_store_b8 v[0:1], v3, off
.LBB71_993:
	s_mov_b32 s5, 0
.LBB71_994:
	s_delay_alu instid0(SALU_CYCLE_1)
	s_and_b32 vcc_lo, exec_lo, s5
	s_cbranch_vccz .LBB71_997
; %bb.995:
	s_cmp_eq_u32 s4, 29
	s_mov_b32 s0, -1
	s_cbranch_scc0 .LBB71_997
; %bb.996:
	s_mov_b32 s0, 0
	s_wait_xcnt 0x0
	v_cndmask_b32_e64 v2, 0, 1, s6
	v_mov_b32_e32 v3, s0
	s_mov_b32 s5, 0
	global_store_b64 v[0:1], v[2:3], off
	s_branch .LBB71_998
.LBB71_997:
	s_mov_b32 s5, 0
.LBB71_998:
	s_delay_alu instid0(SALU_CYCLE_1)
	s_and_b32 vcc_lo, exec_lo, s5
	s_cbranch_vccz .LBB71_1013
; %bb.999:
	s_cmp_lt_i32 s4, 27
	s_mov_b32 s5, -1
	s_cbranch_scc1 .LBB71_1005
; %bb.1000:
	s_cmp_gt_i32 s4, 27
	s_cbranch_scc0 .LBB71_1002
; %bb.1001:
	s_wait_xcnt 0x0
	v_cndmask_b32_e64 v2, 0, 1, s6
	s_mov_b32 s5, 0
	global_store_b32 v[0:1], v2, off
.LBB71_1002:
	s_and_not1_b32 vcc_lo, exec_lo, s5
	s_cbranch_vccnz .LBB71_1004
; %bb.1003:
	s_wait_xcnt 0x0
	v_cndmask_b32_e64 v2, 0, 1, s6
	global_store_b16 v[0:1], v2, off
.LBB71_1004:
	s_mov_b32 s5, 0
.LBB71_1005:
	s_delay_alu instid0(SALU_CYCLE_1)
	s_and_not1_b32 vcc_lo, exec_lo, s5
	s_cbranch_vccnz .LBB71_1013
; %bb.1006:
	s_wait_xcnt 0x0
	v_cndmask_b32_e64 v3, 0, 1.0, s6
	v_mov_b32_e32 v4, 0x80
	s_mov_b32 s5, exec_lo
	s_delay_alu instid0(VALU_DEP_2)
	v_cmpx_gt_u32_e32 0x43800000, v3
	s_cbranch_execz .LBB71_1012
; %bb.1007:
	s_mov_b32 s10, exec_lo
                                        ; implicit-def: $vgpr2
	v_cmpx_lt_u32_e32 0x3bffffff, v3
	s_xor_b32 s10, exec_lo, s10
	s_cbranch_execz .LBB71_1170
; %bb.1008:
	v_bfe_u32 v2, v3, 20, 1
	s_mov_b32 s9, exec_lo
	s_delay_alu instid0(VALU_DEP_1) | instskip(NEXT) | instid1(VALU_DEP_1)
	v_add3_u32 v2, v3, v2, 0x487ffff
                                        ; implicit-def: $vgpr3
	v_lshrrev_b32_e32 v2, 20, v2
	s_and_not1_saveexec_b32 s10, s10
	s_cbranch_execnz .LBB71_1171
.LBB71_1009:
	s_or_b32 exec_lo, exec_lo, s10
	v_mov_b32_e32 v4, 0
	s_and_saveexec_b32 s10, s9
.LBB71_1010:
	v_mov_b32_e32 v4, v2
.LBB71_1011:
	s_or_b32 exec_lo, exec_lo, s10
.LBB71_1012:
	s_delay_alu instid0(SALU_CYCLE_1)
	s_or_b32 exec_lo, exec_lo, s5
	global_store_b8 v[0:1], v4, off
.LBB71_1013:
	s_mov_b32 s5, 0
.LBB71_1014:
	s_delay_alu instid0(SALU_CYCLE_1)
	s_and_b32 vcc_lo, exec_lo, s5
	s_mov_b32 s5, 0
	s_cbranch_vccz .LBB71_1054
; %bb.1015:
	s_cmp_gt_i32 s4, 22
	s_mov_b32 s9, -1
	s_cbranch_scc0 .LBB71_1047
; %bb.1016:
	s_cmp_lt_i32 s4, 24
	s_cbranch_scc1 .LBB71_1036
; %bb.1017:
	s_cmp_gt_i32 s4, 24
	s_cbranch_scc0 .LBB71_1025
; %bb.1018:
	s_wait_xcnt 0x0
	v_cndmask_b32_e64 v3, 0, 1.0, s6
	v_mov_b32_e32 v4, 0x80
	s_mov_b32 s9, exec_lo
	s_delay_alu instid0(VALU_DEP_2)
	v_cmpx_gt_u32_e32 0x47800000, v3
	s_cbranch_execz .LBB71_1024
; %bb.1019:
	s_mov_b32 s10, 0
	s_mov_b32 s11, exec_lo
                                        ; implicit-def: $vgpr2
	v_cmpx_lt_u32_e32 0x37ffffff, v3
	s_xor_b32 s11, exec_lo, s11
	s_cbranch_execz .LBB71_1296
; %bb.1020:
	v_bfe_u32 v2, v3, 21, 1
	s_mov_b32 s10, exec_lo
	s_delay_alu instid0(VALU_DEP_1) | instskip(NEXT) | instid1(VALU_DEP_1)
	v_add3_u32 v2, v3, v2, 0x88fffff
                                        ; implicit-def: $vgpr3
	v_lshrrev_b32_e32 v2, 21, v2
	s_and_not1_saveexec_b32 s11, s11
	s_cbranch_execnz .LBB71_1297
.LBB71_1021:
	s_or_b32 exec_lo, exec_lo, s11
	v_mov_b32_e32 v4, 0
	s_and_saveexec_b32 s11, s10
.LBB71_1022:
	v_mov_b32_e32 v4, v2
.LBB71_1023:
	s_or_b32 exec_lo, exec_lo, s11
.LBB71_1024:
	s_delay_alu instid0(SALU_CYCLE_1)
	s_or_b32 exec_lo, exec_lo, s9
	s_mov_b32 s9, 0
	global_store_b8 v[0:1], v4, off
.LBB71_1025:
	s_and_b32 vcc_lo, exec_lo, s9
	s_cbranch_vccz .LBB71_1035
; %bb.1026:
	s_wait_xcnt 0x0
	v_cndmask_b32_e64 v3, 0, 1.0, s6
	s_mov_b32 s9, exec_lo
                                        ; implicit-def: $vgpr2
	s_delay_alu instid0(VALU_DEP_1)
	v_cmpx_gt_u32_e32 0x43f00000, v3
	s_xor_b32 s9, exec_lo, s9
	s_cbranch_execz .LBB71_1032
; %bb.1027:
	s_mov_b32 s10, exec_lo
                                        ; implicit-def: $vgpr2
	v_cmpx_lt_u32_e32 0x3c7fffff, v3
	s_xor_b32 s10, exec_lo, s10
; %bb.1028:
	v_bfe_u32 v2, v3, 20, 1
	s_delay_alu instid0(VALU_DEP_1) | instskip(NEXT) | instid1(VALU_DEP_1)
	v_add3_u32 v2, v3, v2, 0x407ffff
	v_and_b32_e32 v3, 0xff00000, v2
	v_lshrrev_b32_e32 v2, 20, v2
	s_delay_alu instid0(VALU_DEP_2) | instskip(NEXT) | instid1(VALU_DEP_2)
	v_cmp_ne_u32_e32 vcc_lo, 0x7f00000, v3
                                        ; implicit-def: $vgpr3
	v_cndmask_b32_e32 v2, 0x7e, v2, vcc_lo
; %bb.1029:
	s_and_not1_saveexec_b32 s10, s10
; %bb.1030:
	v_add_f32_e32 v2, 0x46800000, v3
; %bb.1031:
	s_or_b32 exec_lo, exec_lo, s10
                                        ; implicit-def: $vgpr3
.LBB71_1032:
	s_and_not1_saveexec_b32 s9, s9
; %bb.1033:
	v_mov_b32_e32 v2, 0x7f
	v_cmp_lt_u32_e32 vcc_lo, 0x7f800000, v3
	s_delay_alu instid0(VALU_DEP_2)
	v_cndmask_b32_e32 v2, 0x7e, v2, vcc_lo
; %bb.1034:
	s_or_b32 exec_lo, exec_lo, s9
	global_store_b8 v[0:1], v2, off
.LBB71_1035:
	s_mov_b32 s9, 0
.LBB71_1036:
	s_delay_alu instid0(SALU_CYCLE_1)
	s_and_not1_b32 vcc_lo, exec_lo, s9
	s_cbranch_vccnz .LBB71_1046
; %bb.1037:
	s_wait_xcnt 0x0
	v_cndmask_b32_e64 v3, 0, 1.0, s6
	s_mov_b32 s9, exec_lo
                                        ; implicit-def: $vgpr2
	s_delay_alu instid0(VALU_DEP_1)
	v_cmpx_gt_u32_e32 0x47800000, v3
	s_xor_b32 s9, exec_lo, s9
	s_cbranch_execz .LBB71_1043
; %bb.1038:
	s_mov_b32 s10, exec_lo
                                        ; implicit-def: $vgpr2
	v_cmpx_lt_u32_e32 0x387fffff, v3
	s_xor_b32 s10, exec_lo, s10
; %bb.1039:
	v_bfe_u32 v2, v3, 21, 1
	s_delay_alu instid0(VALU_DEP_1) | instskip(NEXT) | instid1(VALU_DEP_1)
	v_add3_u32 v2, v3, v2, 0x80fffff
                                        ; implicit-def: $vgpr3
	v_lshrrev_b32_e32 v2, 21, v2
; %bb.1040:
	s_and_not1_saveexec_b32 s10, s10
; %bb.1041:
	v_add_f32_e32 v2, 0x43000000, v3
; %bb.1042:
	s_or_b32 exec_lo, exec_lo, s10
                                        ; implicit-def: $vgpr3
.LBB71_1043:
	s_and_not1_saveexec_b32 s9, s9
; %bb.1044:
	v_mov_b32_e32 v2, 0x7f
	v_cmp_lt_u32_e32 vcc_lo, 0x7f800000, v3
	s_delay_alu instid0(VALU_DEP_2)
	v_cndmask_b32_e32 v2, 0x7c, v2, vcc_lo
; %bb.1045:
	s_or_b32 exec_lo, exec_lo, s9
	global_store_b8 v[0:1], v2, off
.LBB71_1046:
	s_mov_b32 s9, 0
.LBB71_1047:
	s_delay_alu instid0(SALU_CYCLE_1)
	s_and_not1_b32 vcc_lo, exec_lo, s9
	s_mov_b32 s10, 0
	s_cbranch_vccnz .LBB71_1055
; %bb.1048:
	s_cmp_gt_i32 s4, 14
	s_mov_b32 s9, -1
	s_cbranch_scc0 .LBB71_1052
; %bb.1049:
	s_cmp_eq_u32 s4, 15
	s_mov_b32 s0, -1
	s_cbranch_scc0 .LBB71_1051
; %bb.1050:
	s_wait_xcnt 0x0
	v_cndmask_b32_e64 v2, 0, 1.0, s6
	s_mov_b32 s0, 0
	s_delay_alu instid0(VALU_DEP_1) | instskip(NEXT) | instid1(VALU_DEP_1)
	v_bfe_u32 v3, v2, 16, 1
	v_add3_u32 v2, v2, v3, 0x7fff
	global_store_d16_hi_b16 v[0:1], v2, off
.LBB71_1051:
	s_mov_b32 s9, 0
.LBB71_1052:
	s_delay_alu instid0(SALU_CYCLE_1)
	s_and_b32 vcc_lo, exec_lo, s9
	s_cbranch_vccz .LBB71_1055
; %bb.1053:
	s_cmp_lg_u32 s4, 11
	s_mov_b32 s10, -1
	s_cselect_b32 s4, -1, 0
	s_and_not1_b32 s0, s0, exec_lo
	s_and_b32 s4, s4, exec_lo
	s_delay_alu instid0(SALU_CYCLE_1)
	s_or_b32 s0, s0, s4
	s_branch .LBB71_1055
.LBB71_1054:
	s_mov_b32 s10, 0
.LBB71_1055:
	s_and_not1_b32 s4, s18, exec_lo
	s_and_b32 s0, s0, exec_lo
	s_and_b32 s9, s5, exec_lo
	;; [unrolled: 1-line block ×3, first 2 shown]
	s_or_b32 s18, s4, s0
	s_wait_xcnt 0x0
	s_or_b32 exec_lo, exec_lo, s8
	s_and_saveexec_b32 s0, s18
	s_cbranch_execz .LBB71_984
.LBB71_1056:
	s_or_b32 s1, s1, exec_lo
	s_and_not1_b32 s10, s10, exec_lo
	s_trap 2
	s_or_b32 exec_lo, exec_lo, s0
	s_and_saveexec_b32 s0, s10
	s_delay_alu instid0(SALU_CYCLE_1)
	s_xor_b32 s0, exec_lo, s0
	s_cbranch_execnz .LBB71_985
.LBB71_1057:
	s_or_b32 exec_lo, exec_lo, s0
	s_and_saveexec_b32 s0, s9
	s_delay_alu instid0(SALU_CYCLE_1)
	s_xor_b32 s0, exec_lo, s0
	s_cbranch_execz .LBB71_1095
.LBB71_1058:
	s_sext_i32_i16 s5, s7
	s_mov_b32 s4, -1
	s_cmp_lt_i32 s5, 5
	s_cbranch_scc1 .LBB71_1079
; %bb.1059:
	s_cmp_lt_i32 s5, 8
	s_cbranch_scc1 .LBB71_1069
; %bb.1060:
	;; [unrolled: 3-line block ×3, first 2 shown]
	s_cmp_gt_i32 s5, 9
	s_cbranch_scc0 .LBB71_1063
; %bb.1062:
	v_cndmask_b32_e64 v2, 0, 1, s6
	v_mov_b32_e32 v4, 0
	s_mov_b32 s4, 0
	s_delay_alu instid0(VALU_DEP_2) | instskip(NEXT) | instid1(VALU_DEP_2)
	v_cvt_f64_u32_e32 v[2:3], v2
	v_mov_b32_e32 v5, v4
	global_store_b128 v[0:1], v[2:5], off
.LBB71_1063:
	s_and_not1_b32 vcc_lo, exec_lo, s4
	s_cbranch_vccnz .LBB71_1065
; %bb.1064:
	s_wait_xcnt 0x0
	v_cndmask_b32_e64 v2, 0, 1.0, s6
	v_mov_b32_e32 v3, 0
	global_store_b64 v[0:1], v[2:3], off
.LBB71_1065:
	s_mov_b32 s4, 0
.LBB71_1066:
	s_delay_alu instid0(SALU_CYCLE_1)
	s_and_not1_b32 vcc_lo, exec_lo, s4
	s_cbranch_vccnz .LBB71_1068
; %bb.1067:
	s_wait_xcnt 0x0
	v_cndmask_b32_e64 v2, 0, 1.0, s6
	s_delay_alu instid0(VALU_DEP_1) | instskip(NEXT) | instid1(VALU_DEP_1)
	v_cvt_f16_f32_e32 v2, v2
	v_and_b32_e32 v2, 0xffff, v2
	global_store_b32 v[0:1], v2, off
.LBB71_1068:
	s_mov_b32 s4, 0
.LBB71_1069:
	s_delay_alu instid0(SALU_CYCLE_1)
	s_and_not1_b32 vcc_lo, exec_lo, s4
	s_cbranch_vccnz .LBB71_1078
; %bb.1070:
	s_sext_i32_i16 s5, s7
	s_mov_b32 s4, -1
	s_cmp_lt_i32 s5, 6
	s_cbranch_scc1 .LBB71_1076
; %bb.1071:
	s_cmp_gt_i32 s5, 6
	s_cbranch_scc0 .LBB71_1073
; %bb.1072:
	s_wait_xcnt 0x0
	v_cndmask_b32_e64 v2, 0, 1, s6
	s_mov_b32 s4, 0
	s_delay_alu instid0(VALU_DEP_1)
	v_cvt_f64_u32_e32 v[2:3], v2
	global_store_b64 v[0:1], v[2:3], off
.LBB71_1073:
	s_and_not1_b32 vcc_lo, exec_lo, s4
	s_cbranch_vccnz .LBB71_1075
; %bb.1074:
	s_wait_xcnt 0x0
	v_cndmask_b32_e64 v2, 0, 1.0, s6
	global_store_b32 v[0:1], v2, off
.LBB71_1075:
	s_mov_b32 s4, 0
.LBB71_1076:
	s_delay_alu instid0(SALU_CYCLE_1)
	s_and_not1_b32 vcc_lo, exec_lo, s4
	s_cbranch_vccnz .LBB71_1078
; %bb.1077:
	s_wait_xcnt 0x0
	v_cndmask_b32_e64 v2, 0, 1.0, s6
	s_delay_alu instid0(VALU_DEP_1)
	v_cvt_f16_f32_e32 v2, v2
	global_store_b16 v[0:1], v2, off
.LBB71_1078:
	s_mov_b32 s4, 0
.LBB71_1079:
	s_delay_alu instid0(SALU_CYCLE_1)
	s_and_not1_b32 vcc_lo, exec_lo, s4
	s_cbranch_vccnz .LBB71_1095
; %bb.1080:
	s_sext_i32_i16 s5, s7
	s_mov_b32 s4, -1
	s_cmp_lt_i32 s5, 2
	s_cbranch_scc1 .LBB71_1090
; %bb.1081:
	s_cmp_lt_i32 s5, 3
	s_cbranch_scc1 .LBB71_1087
; %bb.1082:
	s_cmp_gt_i32 s5, 3
	s_cbranch_scc0 .LBB71_1084
; %bb.1083:
	s_mov_b32 s4, 0
	s_wait_xcnt 0x0
	v_cndmask_b32_e64 v2, 0, 1, s6
	v_mov_b32_e32 v3, s4
	global_store_b64 v[0:1], v[2:3], off
.LBB71_1084:
	s_and_not1_b32 vcc_lo, exec_lo, s4
	s_cbranch_vccnz .LBB71_1086
; %bb.1085:
	s_wait_xcnt 0x0
	v_cndmask_b32_e64 v2, 0, 1, s6
	global_store_b32 v[0:1], v2, off
.LBB71_1086:
	s_mov_b32 s4, 0
.LBB71_1087:
	s_delay_alu instid0(SALU_CYCLE_1)
	s_and_not1_b32 vcc_lo, exec_lo, s4
	s_cbranch_vccnz .LBB71_1089
; %bb.1088:
	s_wait_xcnt 0x0
	v_cndmask_b32_e64 v2, 0, 1, s6
	global_store_b16 v[0:1], v2, off
.LBB71_1089:
	s_mov_b32 s4, 0
.LBB71_1090:
	s_delay_alu instid0(SALU_CYCLE_1)
	s_and_not1_b32 vcc_lo, exec_lo, s4
	s_cbranch_vccnz .LBB71_1095
; %bb.1091:
	s_sext_i32_i16 s4, s7
	s_delay_alu instid0(SALU_CYCLE_1)
	s_cmp_gt_i32 s4, 0
	s_mov_b32 s4, -1
	s_cbranch_scc0 .LBB71_1093
; %bb.1092:
	s_wait_xcnt 0x0
	v_cndmask_b32_e64 v2, 0, 1, s6
	s_mov_b32 s4, 0
	global_store_b8 v[0:1], v2, off
.LBB71_1093:
	s_and_not1_b32 vcc_lo, exec_lo, s4
	s_cbranch_vccnz .LBB71_1095
; %bb.1094:
	s_wait_xcnt 0x0
	v_cndmask_b32_e64 v2, 0, 1, s6
	global_store_b8 v[0:1], v2, off
.LBB71_1095:
	s_wait_xcnt 0x0
	s_or_b32 exec_lo, exec_lo, s0
	s_delay_alu instid0(SALU_CYCLE_1)
	s_and_b32 s8, s1, exec_lo
                                        ; implicit-def: $vgpr9
                                        ; implicit-def: $vgpr0
.LBB71_1096:
	s_or_saveexec_b32 s9, s33
	s_mov_b32 s0, 0
                                        ; implicit-def: $sgpr1
                                        ; implicit-def: $vgpr2_vgpr3
                                        ; implicit-def: $sgpr6
	s_xor_b32 exec_lo, exec_lo, s9
	s_cbranch_execz .LBB71_2108
; %bb.1097:
	v_cndmask_b32_e64 v1, 0, 1, s31
	s_and_not1_b32 vcc_lo, exec_lo, s31
	s_cbranch_vccnz .LBB71_1103
; %bb.1098:
	s_cmp_lg_u32 s28, 0
	s_mov_b32 s10, 0
	s_cbranch_scc0 .LBB71_1104
; %bb.1099:
	s_min_u32 s1, s29, 15
	s_delay_alu instid0(SALU_CYCLE_1)
	s_add_co_i32 s1, s1, 1
	s_cmp_eq_u32 s29, 2
	s_cbranch_scc1 .LBB71_1105
; %bb.1100:
	s_wait_loadcnt 0x0
	v_dual_mov_b32 v6, 0 :: v_dual_mov_b32 v8, 0
	v_mov_b32_e32 v2, v0
	s_and_b32 s0, s1, 28
	s_add_nc_u64 s[4:5], s[2:3], 0xc4
	s_mov_b32 s11, 0
	s_mov_b64 s[6:7], s[2:3]
.LBB71_1101:                            ; =>This Inner Loop Header: Depth=1
	s_clause 0x1
	s_load_b256 s[12:19], s[6:7], 0x4
	s_load_b128 s[36:39], s[6:7], 0x24
	s_load_b256 s[20:27], s[4:5], 0x0
	s_add_co_i32 s11, s11, 4
	s_wait_xcnt 0x0
	s_add_nc_u64 s[6:7], s[6:7], 48
	s_cmp_lg_u32 s0, s11
	s_add_nc_u64 s[4:5], s[4:5], 32
	s_wait_kmcnt 0x0
	v_mul_hi_u32 v3, s13, v2
	s_delay_alu instid0(VALU_DEP_1) | instskip(NEXT) | instid1(VALU_DEP_1)
	v_add_nc_u32_e32 v3, v2, v3
	v_lshrrev_b32_e32 v3, s14, v3
	s_delay_alu instid0(VALU_DEP_1) | instskip(NEXT) | instid1(VALU_DEP_1)
	v_mul_hi_u32 v4, s16, v3
	v_add_nc_u32_e32 v4, v3, v4
	s_delay_alu instid0(VALU_DEP_1) | instskip(NEXT) | instid1(VALU_DEP_1)
	v_lshrrev_b32_e32 v4, s17, v4
	v_mul_hi_u32 v5, s19, v4
	s_delay_alu instid0(VALU_DEP_1) | instskip(SKIP_1) | instid1(VALU_DEP_1)
	v_add_nc_u32_e32 v5, v4, v5
	v_mul_lo_u32 v7, v3, s12
	v_sub_nc_u32_e32 v2, v2, v7
	v_mul_lo_u32 v7, v4, s15
	s_delay_alu instid0(VALU_DEP_4) | instskip(NEXT) | instid1(VALU_DEP_3)
	v_lshrrev_b32_e32 v5, s36, v5
	v_mad_u32 v8, v2, s21, v8
	v_mad_u32 v2, v2, s20, v6
	s_delay_alu instid0(VALU_DEP_4) | instskip(NEXT) | instid1(VALU_DEP_4)
	v_sub_nc_u32_e32 v3, v3, v7
	v_mul_hi_u32 v10, s38, v5
	v_mul_lo_u32 v6, v5, s18
	s_delay_alu instid0(VALU_DEP_3) | instskip(SKIP_1) | instid1(VALU_DEP_4)
	v_mad_u32 v8, v3, s23, v8
	v_mad_u32 v3, v3, s22, v2
	v_add_nc_u32_e32 v7, v5, v10
	s_delay_alu instid0(VALU_DEP_1) | instskip(NEXT) | instid1(VALU_DEP_1)
	v_dual_sub_nc_u32 v4, v4, v6 :: v_dual_lshrrev_b32 v2, s39, v7
	v_mad_u32 v7, v4, s25, v8
	s_delay_alu instid0(VALU_DEP_4) | instskip(NEXT) | instid1(VALU_DEP_3)
	v_mad_u32 v3, v4, s24, v3
	v_mul_lo_u32 v6, v2, s37
	s_delay_alu instid0(VALU_DEP_1) | instskip(NEXT) | instid1(VALU_DEP_1)
	v_sub_nc_u32_e32 v4, v5, v6
	v_mad_u32 v8, v4, s27, v7
	s_delay_alu instid0(VALU_DEP_4)
	v_mad_u32 v6, v4, s26, v3
	s_cbranch_scc1 .LBB71_1101
; %bb.1102:
	s_delay_alu instid0(VALU_DEP_2)
	v_mov_b32_e32 v7, v8
	s_and_b32 s6, s1, 3
	s_mov_b32 s1, 0
	s_cmp_eq_u32 s6, 0
	s_cbranch_scc0 .LBB71_1106
	s_branch .LBB71_1109
.LBB71_1103:
	s_mov_b32 s10, -1
                                        ; implicit-def: $vgpr8
                                        ; implicit-def: $vgpr6
	s_branch .LBB71_1109
.LBB71_1104:
	s_wait_loadcnt 0x0
	v_dual_mov_b32 v8, 0 :: v_dual_mov_b32 v6, 0
	s_branch .LBB71_1109
.LBB71_1105:
	s_wait_loadcnt 0x0
	v_mov_b64_e32 v[6:7], 0
	v_mov_b32_e32 v2, v0
                                        ; implicit-def: $vgpr8
	s_and_b32 s6, s1, 3
	s_mov_b32 s1, 0
	s_cmp_eq_u32 s6, 0
	s_cbranch_scc1 .LBB71_1109
.LBB71_1106:
	s_lshl_b32 s4, s0, 3
	s_mov_b32 s5, s1
	s_mul_u64 s[12:13], s[0:1], 12
	s_add_nc_u64 s[4:5], s[2:3], s[4:5]
	s_delay_alu instid0(SALU_CYCLE_1)
	s_add_nc_u64 s[0:1], s[4:5], 0xc4
	s_add_nc_u64 s[4:5], s[2:3], s[12:13]
.LBB71_1107:                            ; =>This Inner Loop Header: Depth=1
	s_load_b96 s[12:14], s[4:5], 0x4
	s_add_co_i32 s6, s6, -1
	s_wait_xcnt 0x0
	s_add_nc_u64 s[4:5], s[4:5], 12
	s_cmp_lg_u32 s6, 0
	s_wait_kmcnt 0x0
	v_mul_hi_u32 v3, s13, v2
	s_delay_alu instid0(VALU_DEP_1) | instskip(NEXT) | instid1(VALU_DEP_1)
	v_add_nc_u32_e32 v3, v2, v3
	v_lshrrev_b32_e32 v3, s14, v3
	s_load_b64 s[14:15], s[0:1], 0x0
	s_wait_xcnt 0x0
	s_add_nc_u64 s[0:1], s[0:1], 8
	s_delay_alu instid0(VALU_DEP_1) | instskip(NEXT) | instid1(VALU_DEP_1)
	v_mul_lo_u32 v4, v3, s12
	v_sub_nc_u32_e32 v2, v2, v4
	s_wait_kmcnt 0x0
	s_delay_alu instid0(VALU_DEP_1)
	v_mad_u32 v7, v2, s15, v7
	v_mad_u32 v6, v2, s14, v6
	v_mov_b32_e32 v2, v3
	s_cbranch_scc1 .LBB71_1107
; %bb.1108:
	s_delay_alu instid0(VALU_DEP_3)
	v_mov_b32_e32 v8, v7
.LBB71_1109:
	s_and_not1_b32 vcc_lo, exec_lo, s10
	s_cbranch_vccnz .LBB71_1112
; %bb.1110:
	s_clause 0x1
	s_load_b96 s[4:6], s[2:3], 0x4
	s_load_b64 s[0:1], s[2:3], 0xc4
	s_cmp_lt_u32 s28, 2
	s_wait_kmcnt 0x0
	v_mul_hi_u32 v2, s5, v0
	s_delay_alu instid0(VALU_DEP_1) | instskip(NEXT) | instid1(VALU_DEP_1)
	v_add_nc_u32_e32 v2, v0, v2
	v_lshrrev_b32_e32 v2, s6, v2
	s_delay_alu instid0(VALU_DEP_1) | instskip(NEXT) | instid1(VALU_DEP_1)
	v_mul_lo_u32 v3, v2, s4
	v_sub_nc_u32_e32 v3, v0, v3
	s_delay_alu instid0(VALU_DEP_1)
	v_mul_lo_u32 v8, v3, s1
	s_wait_loadcnt 0x0
	v_mul_lo_u32 v6, v3, s0
	s_cbranch_scc1 .LBB71_1112
; %bb.1111:
	s_clause 0x1
	s_load_b96 s[4:6], s[2:3], 0x10
	s_load_b64 s[0:1], s[2:3], 0xcc
	s_wait_kmcnt 0x0
	v_mul_hi_u32 v3, s5, v2
	s_delay_alu instid0(VALU_DEP_1) | instskip(NEXT) | instid1(VALU_DEP_1)
	v_add_nc_u32_e32 v3, v2, v3
	v_lshrrev_b32_e32 v3, s6, v3
	s_delay_alu instid0(VALU_DEP_1) | instskip(NEXT) | instid1(VALU_DEP_1)
	v_mul_lo_u32 v3, v3, s4
	v_sub_nc_u32_e32 v2, v2, v3
	s_delay_alu instid0(VALU_DEP_1)
	v_mad_u32 v6, v2, s0, v6
	v_mad_u32 v8, v2, s1, v8
.LBB71_1112:
	v_cmp_ne_u32_e32 vcc_lo, 1, v1
	v_add_nc_u32_e32 v2, 0x80, v0
	s_cbranch_vccnz .LBB71_1118
; %bb.1113:
	s_cmp_lg_u32 s28, 0
	s_mov_b32 s10, 0
	s_cbranch_scc0 .LBB71_1119
; %bb.1114:
	s_min_u32 s1, s29, 15
	s_delay_alu instid0(SALU_CYCLE_1)
	s_add_co_i32 s1, s1, 1
	s_cmp_eq_u32 s29, 2
	s_cbranch_scc1 .LBB71_1120
; %bb.1115:
	v_dual_mov_b32 v4, 0 :: v_dual_mov_b32 v10, 0
	v_mov_b32_e32 v3, v2
	s_and_b32 s0, s1, 28
	s_add_nc_u64 s[4:5], s[2:3], 0xc4
	s_mov_b32 s11, 0
	s_mov_b64 s[6:7], s[2:3]
.LBB71_1116:                            ; =>This Inner Loop Header: Depth=1
	s_clause 0x1
	s_load_b256 s[12:19], s[6:7], 0x4
	s_load_b128 s[36:39], s[6:7], 0x24
	s_load_b256 s[20:27], s[4:5], 0x0
	s_add_co_i32 s11, s11, 4
	s_wait_xcnt 0x0
	s_add_nc_u64 s[6:7], s[6:7], 48
	s_cmp_lg_u32 s0, s11
	s_add_nc_u64 s[4:5], s[4:5], 32
	s_wait_kmcnt 0x0
	v_mul_hi_u32 v5, s13, v3
	s_delay_alu instid0(VALU_DEP_1) | instskip(NEXT) | instid1(VALU_DEP_1)
	v_add_nc_u32_e32 v5, v3, v5
	v_lshrrev_b32_e32 v5, s14, v5
	s_wait_loadcnt 0x0
	s_delay_alu instid0(VALU_DEP_1) | instskip(NEXT) | instid1(VALU_DEP_1)
	v_mul_hi_u32 v7, s16, v5
	v_add_nc_u32_e32 v7, v5, v7
	s_delay_alu instid0(VALU_DEP_1) | instskip(NEXT) | instid1(VALU_DEP_1)
	v_lshrrev_b32_e32 v7, s17, v7
	v_mul_hi_u32 v11, s19, v7
	s_delay_alu instid0(VALU_DEP_1) | instskip(SKIP_1) | instid1(VALU_DEP_1)
	v_add_nc_u32_e32 v11, v7, v11
	v_mul_lo_u32 v12, v5, s12
	v_sub_nc_u32_e32 v3, v3, v12
	v_mul_lo_u32 v12, v7, s15
	s_delay_alu instid0(VALU_DEP_4) | instskip(NEXT) | instid1(VALU_DEP_3)
	v_lshrrev_b32_e32 v11, s36, v11
	v_mad_u32 v10, v3, s21, v10
	v_mad_u32 v3, v3, s20, v4
	s_delay_alu instid0(VALU_DEP_4) | instskip(NEXT) | instid1(VALU_DEP_4)
	v_sub_nc_u32_e32 v4, v5, v12
	v_mul_hi_u32 v13, s38, v11
	v_mul_lo_u32 v5, v11, s18
	s_delay_alu instid0(VALU_DEP_3) | instskip(SKIP_1) | instid1(VALU_DEP_4)
	v_mad_u32 v10, v4, s23, v10
	v_mad_u32 v4, v4, s22, v3
	v_add_nc_u32_e32 v12, v11, v13
	s_delay_alu instid0(VALU_DEP_1) | instskip(NEXT) | instid1(VALU_DEP_1)
	v_dual_sub_nc_u32 v5, v7, v5 :: v_dual_lshrrev_b32 v3, s39, v12
	v_mad_u32 v10, v5, s25, v10
	s_delay_alu instid0(VALU_DEP_4) | instskip(NEXT) | instid1(VALU_DEP_3)
	v_mad_u32 v4, v5, s24, v4
	v_mul_lo_u32 v7, v3, s37
	s_delay_alu instid0(VALU_DEP_1) | instskip(NEXT) | instid1(VALU_DEP_1)
	v_sub_nc_u32_e32 v5, v11, v7
	v_mad_u32 v10, v5, s27, v10
	s_delay_alu instid0(VALU_DEP_4)
	v_mad_u32 v4, v5, s26, v4
	s_cbranch_scc1 .LBB71_1116
; %bb.1117:
	s_delay_alu instid0(VALU_DEP_2)
	v_mov_b32_e32 v5, v10
	s_and_b32 s6, s1, 3
	s_mov_b32 s1, 0
	s_cmp_eq_u32 s6, 0
	s_cbranch_scc0 .LBB71_1121
	s_branch .LBB71_1124
.LBB71_1118:
	s_mov_b32 s10, -1
                                        ; implicit-def: $vgpr10
                                        ; implicit-def: $vgpr4
	s_branch .LBB71_1124
.LBB71_1119:
	v_dual_mov_b32 v10, 0 :: v_dual_mov_b32 v4, 0
	s_branch .LBB71_1124
.LBB71_1120:
	v_mov_b64_e32 v[4:5], 0
	v_mov_b32_e32 v3, v2
	s_mov_b32 s0, 0
                                        ; implicit-def: $vgpr10
	s_and_b32 s6, s1, 3
	s_mov_b32 s1, 0
	s_cmp_eq_u32 s6, 0
	s_cbranch_scc1 .LBB71_1124
.LBB71_1121:
	s_lshl_b32 s4, s0, 3
	s_mov_b32 s5, s1
	s_mul_u64 s[12:13], s[0:1], 12
	s_add_nc_u64 s[4:5], s[2:3], s[4:5]
	s_delay_alu instid0(SALU_CYCLE_1)
	s_add_nc_u64 s[0:1], s[4:5], 0xc4
	s_add_nc_u64 s[4:5], s[2:3], s[12:13]
.LBB71_1122:                            ; =>This Inner Loop Header: Depth=1
	s_load_b96 s[12:14], s[4:5], 0x4
	s_add_co_i32 s6, s6, -1
	s_wait_xcnt 0x0
	s_add_nc_u64 s[4:5], s[4:5], 12
	s_cmp_lg_u32 s6, 0
	s_wait_loadcnt 0x0
	s_wait_kmcnt 0x0
	v_mul_hi_u32 v7, s13, v3
	s_delay_alu instid0(VALU_DEP_1) | instskip(NEXT) | instid1(VALU_DEP_1)
	v_add_nc_u32_e32 v7, v3, v7
	v_lshrrev_b32_e32 v7, s14, v7
	s_load_b64 s[14:15], s[0:1], 0x0
	s_wait_xcnt 0x0
	s_add_nc_u64 s[0:1], s[0:1], 8
	s_delay_alu instid0(VALU_DEP_1) | instskip(NEXT) | instid1(VALU_DEP_1)
	v_mul_lo_u32 v10, v7, s12
	v_sub_nc_u32_e32 v3, v3, v10
	s_wait_kmcnt 0x0
	s_delay_alu instid0(VALU_DEP_1)
	v_mad_u32 v5, v3, s15, v5
	v_mad_u32 v4, v3, s14, v4
	v_mov_b32_e32 v3, v7
	s_cbranch_scc1 .LBB71_1122
; %bb.1123:
	s_delay_alu instid0(VALU_DEP_3)
	v_mov_b32_e32 v10, v5
.LBB71_1124:
	s_and_not1_b32 vcc_lo, exec_lo, s10
	s_cbranch_vccnz .LBB71_1127
; %bb.1125:
	s_clause 0x1
	s_load_b96 s[4:6], s[2:3], 0x4
	s_load_b64 s[0:1], s[2:3], 0xc4
	s_cmp_lt_u32 s28, 2
	s_wait_kmcnt 0x0
	v_mul_hi_u32 v3, s5, v2
	s_delay_alu instid0(VALU_DEP_1) | instskip(NEXT) | instid1(VALU_DEP_1)
	v_add_nc_u32_e32 v3, v2, v3
	v_lshrrev_b32_e32 v3, s6, v3
	s_delay_alu instid0(VALU_DEP_1) | instskip(NEXT) | instid1(VALU_DEP_1)
	v_mul_lo_u32 v4, v3, s4
	v_sub_nc_u32_e32 v2, v2, v4
	s_delay_alu instid0(VALU_DEP_1)
	v_mul_lo_u32 v10, v2, s1
	v_mul_lo_u32 v4, v2, s0
	s_cbranch_scc1 .LBB71_1127
; %bb.1126:
	s_clause 0x1
	s_load_b96 s[4:6], s[2:3], 0x10
	s_load_b64 s[0:1], s[2:3], 0xcc
	s_wait_kmcnt 0x0
	v_mul_hi_u32 v2, s5, v3
	s_delay_alu instid0(VALU_DEP_1) | instskip(NEXT) | instid1(VALU_DEP_1)
	v_add_nc_u32_e32 v2, v3, v2
	v_lshrrev_b32_e32 v2, s6, v2
	s_delay_alu instid0(VALU_DEP_1) | instskip(NEXT) | instid1(VALU_DEP_1)
	v_mul_lo_u32 v2, v2, s4
	v_sub_nc_u32_e32 v2, v3, v2
	s_delay_alu instid0(VALU_DEP_1)
	v_mad_u32 v4, v2, s0, v4
	v_mad_u32 v10, v2, s1, v10
.LBB71_1127:
	v_cmp_ne_u32_e32 vcc_lo, 1, v1
	v_add_nc_u32_e32 v0, 0x100, v0
	s_cbranch_vccnz .LBB71_1133
; %bb.1128:
	s_cmp_lg_u32 s28, 0
	s_mov_b32 s10, 0
	s_cbranch_scc0 .LBB71_1134
; %bb.1129:
	s_min_u32 s1, s29, 15
	s_delay_alu instid0(SALU_CYCLE_1)
	s_add_co_i32 s1, s1, 1
	s_cmp_eq_u32 s29, 2
	s_cbranch_scc1 .LBB71_1135
; %bb.1130:
	v_dual_mov_b32 v2, 0 :: v_dual_mov_b32 v12, 0
	v_mov_b32_e32 v5, v0
	s_and_b32 s0, s1, 28
	s_add_nc_u64 s[4:5], s[2:3], 0xc4
	s_mov_b32 s11, 0
	s_mov_b64 s[6:7], s[2:3]
.LBB71_1131:                            ; =>This Inner Loop Header: Depth=1
	s_clause 0x1
	s_load_b256 s[12:19], s[6:7], 0x4
	s_load_b128 s[36:39], s[6:7], 0x24
	s_load_b256 s[20:27], s[4:5], 0x0
	s_add_co_i32 s11, s11, 4
	s_wait_xcnt 0x0
	s_add_nc_u64 s[6:7], s[6:7], 48
	s_cmp_lg_u32 s0, s11
	s_add_nc_u64 s[4:5], s[4:5], 32
	s_wait_kmcnt 0x0
	v_mul_hi_u32 v3, s13, v5
	s_delay_alu instid0(VALU_DEP_1) | instskip(NEXT) | instid1(VALU_DEP_1)
	v_add_nc_u32_e32 v3, v5, v3
	v_lshrrev_b32_e32 v3, s14, v3
	s_wait_loadcnt 0x0
	s_delay_alu instid0(VALU_DEP_1) | instskip(SKIP_1) | instid1(VALU_DEP_1)
	v_mul_hi_u32 v7, s16, v3
	v_mul_lo_u32 v13, v3, s12
	v_dual_add_nc_u32 v7, v3, v7 :: v_dual_sub_nc_u32 v5, v5, v13
	s_delay_alu instid0(VALU_DEP_1) | instskip(NEXT) | instid1(VALU_DEP_2)
	v_lshrrev_b32_e32 v7, s17, v7
	v_mad_u32 v12, v5, s21, v12
	v_mad_u32 v2, v5, s20, v2
	s_delay_alu instid0(VALU_DEP_3) | instskip(NEXT) | instid1(VALU_DEP_1)
	v_mul_hi_u32 v11, s19, v7
	v_add_nc_u32_e32 v11, v7, v11
	s_delay_alu instid0(VALU_DEP_1) | instskip(NEXT) | instid1(VALU_DEP_1)
	v_lshrrev_b32_e32 v11, s36, v11
	v_mul_hi_u32 v14, s38, v11
	s_delay_alu instid0(VALU_DEP_1) | instskip(NEXT) | instid1(VALU_DEP_1)
	v_add_nc_u32_e32 v5, v11, v14
	v_lshrrev_b32_e32 v5, s39, v5
	v_mul_lo_u32 v13, v7, s15
	s_delay_alu instid0(VALU_DEP_1) | instskip(SKIP_1) | instid1(VALU_DEP_2)
	v_sub_nc_u32_e32 v3, v3, v13
	v_mul_lo_u32 v13, v11, s18
	v_mad_u32 v12, v3, s23, v12
	v_mad_u32 v2, v3, s22, v2
	s_delay_alu instid0(VALU_DEP_3) | instskip(SKIP_1) | instid1(VALU_DEP_2)
	v_sub_nc_u32_e32 v3, v7, v13
	v_mul_lo_u32 v7, v5, s37
	v_mad_u32 v12, v3, s25, v12
	s_delay_alu instid0(VALU_DEP_4) | instskip(NEXT) | instid1(VALU_DEP_3)
	v_mad_u32 v2, v3, s24, v2
	v_sub_nc_u32_e32 v3, v11, v7
	s_delay_alu instid0(VALU_DEP_1) | instskip(NEXT) | instid1(VALU_DEP_3)
	v_mad_u32 v12, v3, s27, v12
	v_mad_u32 v2, v3, s26, v2
	s_cbranch_scc1 .LBB71_1131
; %bb.1132:
	s_delay_alu instid0(VALU_DEP_2)
	v_mov_b32_e32 v3, v12
	s_and_b32 s6, s1, 3
	s_mov_b32 s1, 0
	s_cmp_eq_u32 s6, 0
	s_cbranch_scc0 .LBB71_1136
	s_branch .LBB71_1139
.LBB71_1133:
	s_mov_b32 s10, -1
                                        ; implicit-def: $vgpr12
                                        ; implicit-def: $vgpr2
	s_branch .LBB71_1139
.LBB71_1134:
	v_dual_mov_b32 v12, 0 :: v_dual_mov_b32 v2, 0
	s_branch .LBB71_1139
.LBB71_1135:
	v_mov_b64_e32 v[2:3], 0
	v_mov_b32_e32 v5, v0
	s_mov_b32 s0, 0
                                        ; implicit-def: $vgpr12
	s_and_b32 s6, s1, 3
	s_mov_b32 s1, 0
	s_cmp_eq_u32 s6, 0
	s_cbranch_scc1 .LBB71_1139
.LBB71_1136:
	s_lshl_b32 s4, s0, 3
	s_mov_b32 s5, s1
	s_mul_u64 s[12:13], s[0:1], 12
	s_add_nc_u64 s[4:5], s[2:3], s[4:5]
	s_delay_alu instid0(SALU_CYCLE_1)
	s_add_nc_u64 s[0:1], s[4:5], 0xc4
	s_add_nc_u64 s[4:5], s[2:3], s[12:13]
.LBB71_1137:                            ; =>This Inner Loop Header: Depth=1
	s_load_b96 s[12:14], s[4:5], 0x4
	s_add_co_i32 s6, s6, -1
	s_wait_xcnt 0x0
	s_add_nc_u64 s[4:5], s[4:5], 12
	s_cmp_lg_u32 s6, 0
	s_wait_loadcnt 0x0
	s_wait_kmcnt 0x0
	v_mul_hi_u32 v7, s13, v5
	s_delay_alu instid0(VALU_DEP_1) | instskip(NEXT) | instid1(VALU_DEP_1)
	v_add_nc_u32_e32 v7, v5, v7
	v_lshrrev_b32_e32 v7, s14, v7
	s_load_b64 s[14:15], s[0:1], 0x0
	s_wait_xcnt 0x0
	s_add_nc_u64 s[0:1], s[0:1], 8
	s_delay_alu instid0(VALU_DEP_1) | instskip(NEXT) | instid1(VALU_DEP_1)
	v_mul_lo_u32 v11, v7, s12
	v_sub_nc_u32_e32 v5, v5, v11
	s_wait_kmcnt 0x0
	s_delay_alu instid0(VALU_DEP_1)
	v_mad_u32 v3, v5, s15, v3
	v_mad_u32 v2, v5, s14, v2
	v_mov_b32_e32 v5, v7
	s_cbranch_scc1 .LBB71_1137
; %bb.1138:
	s_delay_alu instid0(VALU_DEP_3)
	v_mov_b32_e32 v12, v3
.LBB71_1139:
	s_and_not1_b32 vcc_lo, exec_lo, s10
	s_cbranch_vccnz .LBB71_1142
; %bb.1140:
	s_clause 0x1
	s_load_b96 s[4:6], s[2:3], 0x4
	s_load_b64 s[0:1], s[2:3], 0xc4
	s_cmp_lt_u32 s28, 2
	s_wait_kmcnt 0x0
	v_mul_hi_u32 v2, s5, v0
	s_delay_alu instid0(VALU_DEP_1) | instskip(NEXT) | instid1(VALU_DEP_1)
	v_add_nc_u32_e32 v2, v0, v2
	v_lshrrev_b32_e32 v3, s6, v2
	s_delay_alu instid0(VALU_DEP_1) | instskip(NEXT) | instid1(VALU_DEP_1)
	v_mul_lo_u32 v2, v3, s4
	v_sub_nc_u32_e32 v0, v0, v2
	s_delay_alu instid0(VALU_DEP_1)
	v_mul_lo_u32 v12, v0, s1
	v_mul_lo_u32 v2, v0, s0
	s_cbranch_scc1 .LBB71_1142
; %bb.1141:
	s_clause 0x1
	s_load_b96 s[4:6], s[2:3], 0x10
	s_load_b64 s[0:1], s[2:3], 0xcc
	s_wait_kmcnt 0x0
	v_mul_hi_u32 v0, s5, v3
	s_delay_alu instid0(VALU_DEP_1) | instskip(NEXT) | instid1(VALU_DEP_1)
	v_add_nc_u32_e32 v0, v3, v0
	v_lshrrev_b32_e32 v0, s6, v0
	s_delay_alu instid0(VALU_DEP_1) | instskip(NEXT) | instid1(VALU_DEP_1)
	v_mul_lo_u32 v0, v0, s4
	v_sub_nc_u32_e32 v0, v3, v0
	s_delay_alu instid0(VALU_DEP_1)
	v_mad_u32 v2, v0, s0, v2
	v_mad_u32 v12, v0, s1, v12
.LBB71_1142:
	v_cmp_ne_u32_e32 vcc_lo, 1, v1
	s_cbranch_vccnz .LBB71_1148
; %bb.1143:
	s_cmp_lg_u32 s28, 0
	s_mov_b32 s10, 0
	s_cbranch_scc0 .LBB71_1149
; %bb.1144:
	s_min_u32 s1, s29, 15
	s_delay_alu instid0(SALU_CYCLE_1)
	s_add_co_i32 s1, s1, 1
	s_cmp_eq_u32 s29, 2
	s_cbranch_scc1 .LBB71_1150
; %bb.1145:
	v_dual_mov_b32 v0, 0 :: v_dual_mov_b32 v14, 0
	v_mov_b32_e32 v3, v9
	s_and_b32 s0, s1, 28
	s_add_nc_u64 s[4:5], s[2:3], 0xc4
	s_mov_b32 s11, 0
	s_mov_b64 s[6:7], s[2:3]
.LBB71_1146:                            ; =>This Inner Loop Header: Depth=1
	s_clause 0x1
	s_load_b256 s[12:19], s[6:7], 0x4
	s_load_b128 s[36:39], s[6:7], 0x24
	s_load_b256 s[20:27], s[4:5], 0x0
	s_add_co_i32 s11, s11, 4
	s_wait_xcnt 0x0
	s_add_nc_u64 s[6:7], s[6:7], 48
	s_cmp_lg_u32 s0, s11
	s_add_nc_u64 s[4:5], s[4:5], 32
	s_wait_kmcnt 0x0
	v_mul_hi_u32 v1, s13, v3
	s_delay_alu instid0(VALU_DEP_1) | instskip(NEXT) | instid1(VALU_DEP_1)
	v_add_nc_u32_e32 v1, v3, v1
	v_lshrrev_b32_e32 v1, s14, v1
	s_delay_alu instid0(VALU_DEP_1) | instskip(NEXT) | instid1(VALU_DEP_1)
	v_mul_lo_u32 v11, v1, s12
	v_sub_nc_u32_e32 v3, v3, v11
	v_mul_hi_u32 v5, s16, v1
	s_delay_alu instid0(VALU_DEP_2) | instskip(SKIP_1) | instid1(VALU_DEP_3)
	v_mad_u32 v14, v3, s21, v14
	v_mad_u32 v0, v3, s20, v0
	v_add_nc_u32_e32 v5, v1, v5
	s_delay_alu instid0(VALU_DEP_1) | instskip(NEXT) | instid1(VALU_DEP_1)
	v_lshrrev_b32_e32 v5, s17, v5
	v_mul_lo_u32 v11, v5, s15
	s_delay_alu instid0(VALU_DEP_1) | instskip(SKIP_2) | instid1(VALU_DEP_2)
	v_sub_nc_u32_e32 v1, v1, v11
	s_wait_loadcnt 0x0
	v_mul_hi_u32 v7, s19, v5
	v_mad_u32 v0, v1, s22, v0
	s_delay_alu instid0(VALU_DEP_2) | instskip(NEXT) | instid1(VALU_DEP_1)
	v_add_nc_u32_e32 v7, v5, v7
	v_lshrrev_b32_e32 v7, s36, v7
	s_delay_alu instid0(VALU_DEP_1) | instskip(SKIP_1) | instid1(VALU_DEP_2)
	v_mul_hi_u32 v13, s38, v7
	v_mul_lo_u32 v11, v7, s18
	v_add_nc_u32_e32 v3, v7, v13
	v_mad_u32 v13, v1, s23, v14
	s_delay_alu instid0(VALU_DEP_3) | instskip(NEXT) | instid1(VALU_DEP_3)
	v_sub_nc_u32_e32 v1, v5, v11
	v_lshrrev_b32_e32 v3, s39, v3
	s_delay_alu instid0(VALU_DEP_2) | instskip(NEXT) | instid1(VALU_DEP_2)
	v_mad_u32 v0, v1, s24, v0
	v_mul_lo_u32 v5, v3, s37
	v_mad_u32 v11, v1, s25, v13
	s_delay_alu instid0(VALU_DEP_2) | instskip(NEXT) | instid1(VALU_DEP_1)
	v_sub_nc_u32_e32 v1, v7, v5
	v_mad_u32 v14, v1, s27, v11
	v_mad_u32 v0, v1, s26, v0
	s_cbranch_scc1 .LBB71_1146
; %bb.1147:
	s_delay_alu instid0(VALU_DEP_2)
	v_mov_b32_e32 v1, v14
	s_and_b32 s6, s1, 3
	s_mov_b32 s1, 0
	s_cmp_eq_u32 s6, 0
	s_cbranch_scc0 .LBB71_1151
	s_branch .LBB71_1154
.LBB71_1148:
	s_mov_b32 s10, -1
                                        ; implicit-def: $vgpr14
                                        ; implicit-def: $vgpr0
	s_branch .LBB71_1154
.LBB71_1149:
	v_dual_mov_b32 v14, 0 :: v_dual_mov_b32 v0, 0
	s_branch .LBB71_1154
.LBB71_1150:
	v_mov_b64_e32 v[0:1], 0
	v_mov_b32_e32 v3, v9
	s_mov_b32 s0, 0
                                        ; implicit-def: $vgpr14
	s_and_b32 s6, s1, 3
	s_mov_b32 s1, 0
	s_cmp_eq_u32 s6, 0
	s_cbranch_scc1 .LBB71_1154
.LBB71_1151:
	s_lshl_b32 s4, s0, 3
	s_mov_b32 s5, s1
	s_mul_u64 s[12:13], s[0:1], 12
	s_add_nc_u64 s[4:5], s[2:3], s[4:5]
	s_delay_alu instid0(SALU_CYCLE_1)
	s_add_nc_u64 s[0:1], s[4:5], 0xc4
	s_add_nc_u64 s[4:5], s[2:3], s[12:13]
.LBB71_1152:                            ; =>This Inner Loop Header: Depth=1
	s_load_b96 s[12:14], s[4:5], 0x4
	s_add_co_i32 s6, s6, -1
	s_wait_xcnt 0x0
	s_add_nc_u64 s[4:5], s[4:5], 12
	s_cmp_lg_u32 s6, 0
	s_wait_kmcnt 0x0
	v_mul_hi_u32 v5, s13, v3
	s_delay_alu instid0(VALU_DEP_1) | instskip(NEXT) | instid1(VALU_DEP_1)
	v_add_nc_u32_e32 v5, v3, v5
	v_lshrrev_b32_e32 v5, s14, v5
	s_load_b64 s[14:15], s[0:1], 0x0
	s_wait_xcnt 0x0
	s_add_nc_u64 s[0:1], s[0:1], 8
	s_wait_loadcnt 0x0
	v_mul_lo_u32 v7, v5, s12
	s_delay_alu instid0(VALU_DEP_1) | instskip(SKIP_1) | instid1(VALU_DEP_1)
	v_sub_nc_u32_e32 v3, v3, v7
	s_wait_kmcnt 0x0
	v_mad_u32 v1, v3, s15, v1
	v_mad_u32 v0, v3, s14, v0
	v_mov_b32_e32 v3, v5
	s_cbranch_scc1 .LBB71_1152
; %bb.1153:
	s_delay_alu instid0(VALU_DEP_3)
	v_mov_b32_e32 v14, v1
.LBB71_1154:
	s_and_not1_b32 vcc_lo, exec_lo, s10
	s_cbranch_vccnz .LBB71_1157
; %bb.1155:
	s_clause 0x1
	s_load_b96 s[4:6], s[2:3], 0x4
	s_load_b64 s[0:1], s[2:3], 0xc4
	s_cmp_lt_u32 s28, 2
	s_wait_kmcnt 0x0
	v_mul_hi_u32 v0, s5, v9
	s_delay_alu instid0(VALU_DEP_1) | instskip(NEXT) | instid1(VALU_DEP_1)
	v_add_nc_u32_e32 v0, v9, v0
	v_lshrrev_b32_e32 v1, s6, v0
	s_delay_alu instid0(VALU_DEP_1) | instskip(NEXT) | instid1(VALU_DEP_1)
	v_mul_lo_u32 v0, v1, s4
	v_sub_nc_u32_e32 v0, v9, v0
	s_delay_alu instid0(VALU_DEP_1)
	v_mul_lo_u32 v14, v0, s1
	v_mul_lo_u32 v0, v0, s0
	s_cbranch_scc1 .LBB71_1157
; %bb.1156:
	s_clause 0x1
	s_load_b96 s[4:6], s[2:3], 0x10
	s_load_b64 s[0:1], s[2:3], 0xcc
	s_wait_kmcnt 0x0
	v_mul_hi_u32 v3, s5, v1
	s_delay_alu instid0(VALU_DEP_1) | instskip(NEXT) | instid1(VALU_DEP_1)
	v_add_nc_u32_e32 v3, v1, v3
	v_lshrrev_b32_e32 v3, s6, v3
	s_delay_alu instid0(VALU_DEP_1) | instskip(NEXT) | instid1(VALU_DEP_1)
	v_mul_lo_u32 v3, v3, s4
	v_sub_nc_u32_e32 v1, v1, v3
	s_delay_alu instid0(VALU_DEP_1)
	v_mad_u32 v0, v1, s0, v0
	v_mad_u32 v14, v1, s1, v14
.LBB71_1157:
	v_mov_b32_e32 v9, 0
	s_load_b128 s[4:7], s[2:3], 0x148
	global_load_u8 v1, v9, s[2:3] offset:346
	s_wait_kmcnt 0x0
	v_add_nc_u64_e32 v[16:17], s[6:7], v[8:9]
	s_wait_loadcnt 0x0
	v_and_b32_e32 v3, 0xffff, v1
	v_readfirstlane_b32 s0, v1
	s_delay_alu instid0(VALU_DEP_2)
	v_cmp_gt_i32_e32 vcc_lo, 11, v3
	s_cbranch_vccnz .LBB71_1164
; %bb.1158:
	s_and_b32 s1, 0xffff, s0
	s_mov_b32 s11, 0
	s_cmp_gt_i32 s1, 25
	s_cbranch_scc0 .LBB71_1166
; %bb.1159:
	s_cmp_gt_i32 s1, 28
	s_cbranch_scc0 .LBB71_1167
; %bb.1160:
	;; [unrolled: 3-line block ×4, first 2 shown]
	s_cmp_eq_u32 s1, 46
	s_mov_b32 s13, 0
	s_cbranch_scc0 .LBB71_1172
; %bb.1163:
	global_load_b32 v1, v[16:17], off
	s_mov_b32 s10, 0
	s_mov_b32 s12, -1
	s_wait_loadcnt 0x0
	v_lshlrev_b32_e32 v1, 16, v1
	s_wait_xcnt 0x1
	s_delay_alu instid0(VALU_DEP_1)
	v_cvt_f64_f32_e32 v[8:9], v1
	s_branch .LBB71_1174
.LBB71_1164:
	s_mov_b32 s12, 0
	s_mov_b32 s10, s8
                                        ; implicit-def: $vgpr8_vgpr9
	s_cbranch_execnz .LBB71_1237
.LBB71_1165:
	s_and_not1_b32 vcc_lo, exec_lo, s12
	s_cbranch_vccz .LBB71_1282
	s_branch .LBB71_2106
.LBB71_1166:
	s_mov_b32 s12, 0
	s_mov_b32 s10, 0
                                        ; implicit-def: $vgpr8_vgpr9
	s_cbranch_execnz .LBB71_1202
	s_branch .LBB71_1233
.LBB71_1167:
	s_mov_b32 s13, -1
	s_mov_b32 s12, 0
	s_mov_b32 s10, 0
                                        ; implicit-def: $vgpr8_vgpr9
	s_branch .LBB71_1183
.LBB71_1168:
	s_mov_b32 s12, 0
	s_mov_b32 s10, 0
                                        ; implicit-def: $vgpr8_vgpr9
	s_cbranch_execnz .LBB71_1179
	s_branch .LBB71_1182
.LBB71_1169:
	s_mov_b32 s13, -1
	s_mov_b32 s12, 0
	s_mov_b32 s10, 0
	s_branch .LBB71_1173
.LBB71_1170:
	s_and_not1_saveexec_b32 s10, s10
	s_cbranch_execz .LBB71_1009
.LBB71_1171:
	v_add_f32_e32 v2, 0x46000000, v3
	s_and_not1_b32 s9, s9, exec_lo
	s_delay_alu instid0(VALU_DEP_1) | instskip(NEXT) | instid1(VALU_DEP_1)
	v_and_b32_e32 v2, 0xff, v2
	v_cmp_ne_u32_e32 vcc_lo, 0, v2
	s_and_b32 s11, vcc_lo, exec_lo
	s_delay_alu instid0(SALU_CYCLE_1)
	s_or_b32 s9, s9, s11
	s_or_b32 exec_lo, exec_lo, s10
	v_mov_b32_e32 v4, 0
	s_and_saveexec_b32 s10, s9
	s_cbranch_execnz .LBB71_1010
	s_branch .LBB71_1011
.LBB71_1172:
	s_mov_b32 s10, -1
	s_mov_b32 s12, 0
.LBB71_1173:
                                        ; implicit-def: $vgpr8_vgpr9
.LBB71_1174:
	s_and_b32 vcc_lo, exec_lo, s13
	s_cbranch_vccz .LBB71_1177
; %bb.1175:
	s_cmp_eq_u32 s1, 44
	s_cbranch_scc0 .LBB71_1178
; %bb.1176:
	global_load_u8 v1, v[16:17], off
	s_mov_b32 s10, 0
	s_mov_b32 s12, -1
	s_wait_loadcnt 0x0
	v_lshlrev_b32_e32 v3, 23, v1
	v_cmp_ne_u32_e32 vcc_lo, 0xff, v1
	s_wait_xcnt 0x1
	s_delay_alu instid0(VALU_DEP_2) | instskip(NEXT) | instid1(VALU_DEP_1)
	v_cvt_f64_f32_e32 v[8:9], v3
	v_cndmask_b32_e32 v3, 0x20000000, v8, vcc_lo
	s_delay_alu instid0(VALU_DEP_2) | instskip(SKIP_1) | instid1(VALU_DEP_2)
	v_cndmask_b32_e32 v5, 0x7ff80000, v9, vcc_lo
	v_cmp_ne_u32_e32 vcc_lo, 0, v1
	v_cndmask_b32_e32 v9, 0x38000000, v5, vcc_lo
	s_delay_alu instid0(VALU_DEP_4)
	v_cndmask_b32_e32 v8, 0, v3, vcc_lo
.LBB71_1177:
	s_branch .LBB71_1182
.LBB71_1178:
	s_mov_b32 s10, -1
                                        ; implicit-def: $vgpr8_vgpr9
	s_branch .LBB71_1182
.LBB71_1179:
	s_cmp_eq_u32 s1, 29
	s_cbranch_scc0 .LBB71_1181
; %bb.1180:
	global_load_b64 v[8:9], v[16:17], off
	s_mov_b32 s10, 0
	s_mov_b32 s12, -1
	s_mov_b32 s13, 0
	s_wait_loadcnt 0x0
	v_cvt_f64_u32_e32 v[18:19], v9
	v_cvt_f64_u32_e32 v[8:9], v8
	s_delay_alu instid0(VALU_DEP_2) | instskip(NEXT) | instid1(VALU_DEP_1)
	v_ldexp_f64 v[18:19], v[18:19], 32
	v_add_f64_e32 v[8:9], v[18:19], v[8:9]
	s_branch .LBB71_1183
.LBB71_1181:
	s_mov_b32 s10, -1
                                        ; implicit-def: $vgpr8_vgpr9
.LBB71_1182:
	s_mov_b32 s13, 0
.LBB71_1183:
	s_delay_alu instid0(SALU_CYCLE_1)
	s_and_b32 vcc_lo, exec_lo, s13
	s_cbranch_vccz .LBB71_1201
; %bb.1184:
	s_cmp_lt_i32 s1, 27
	s_cbranch_scc1 .LBB71_1187
; %bb.1185:
	s_cmp_gt_i32 s1, 27
	s_cbranch_scc0 .LBB71_1188
; %bb.1186:
	global_load_b32 v1, v[16:17], off
	s_mov_b32 s12, 0
	s_wait_loadcnt 0x0
	s_wait_xcnt 0x1
	v_cvt_f64_u32_e32 v[8:9], v1
	s_branch .LBB71_1189
.LBB71_1187:
	s_mov_b32 s12, -1
                                        ; implicit-def: $vgpr8_vgpr9
	s_branch .LBB71_1192
.LBB71_1188:
	s_mov_b32 s12, -1
                                        ; implicit-def: $vgpr8_vgpr9
.LBB71_1189:
	s_delay_alu instid0(SALU_CYCLE_1)
	s_and_not1_b32 vcc_lo, exec_lo, s12
	s_cbranch_vccnz .LBB71_1191
; %bb.1190:
	global_load_u16 v1, v[16:17], off
	s_wait_loadcnt 0x0
	s_wait_xcnt 0x1
	v_cvt_f64_u32_e32 v[8:9], v1
.LBB71_1191:
	s_mov_b32 s12, 0
.LBB71_1192:
	s_delay_alu instid0(SALU_CYCLE_1)
	s_and_not1_b32 vcc_lo, exec_lo, s12
	s_cbranch_vccnz .LBB71_1200
; %bb.1193:
	global_load_u8 v1, v[16:17], off
	s_mov_b32 s12, 0
	s_mov_b32 s13, exec_lo
	s_wait_loadcnt 0x0
	v_cmpx_lt_i16_e32 0x7f, v1
	s_xor_b32 s13, exec_lo, s13
	s_cbranch_execz .LBB71_1213
; %bb.1194:
	s_mov_b32 s12, -1
	s_mov_b32 s14, exec_lo
	v_cmpx_eq_u16_e32 0x80, v1
; %bb.1195:
	s_xor_b32 s12, exec_lo, -1
; %bb.1196:
	s_or_b32 exec_lo, exec_lo, s14
	s_delay_alu instid0(SALU_CYCLE_1)
	s_and_b32 s12, s12, exec_lo
	s_or_saveexec_b32 s13, s13
	v_mov_b64_e32 v[8:9], 0x7ff8000020000000
	s_xor_b32 exec_lo, exec_lo, s13
	s_cbranch_execnz .LBB71_1214
.LBB71_1197:
	s_or_b32 exec_lo, exec_lo, s13
	s_and_saveexec_b32 s13, s12
	s_cbranch_execz .LBB71_1199
.LBB71_1198:
	v_and_b32_e32 v3, 0xffff, v1
	s_delay_alu instid0(VALU_DEP_1) | instskip(SKIP_1) | instid1(VALU_DEP_2)
	v_dual_lshlrev_b32 v1, 24, v1 :: v_dual_bitop2_b32 v5, 7, v3 bitop3:0x40
	v_bfe_u32 v9, v3, 3, 4
	v_and_b32_e32 v1, 0x80000000, v1
	s_delay_alu instid0(VALU_DEP_3) | instskip(NEXT) | instid1(VALU_DEP_3)
	v_clz_i32_u32_e32 v7, v5
	v_cmp_eq_u32_e32 vcc_lo, 0, v9
	s_delay_alu instid0(VALU_DEP_2) | instskip(NEXT) | instid1(VALU_DEP_1)
	v_min_u32_e32 v7, 32, v7
	v_subrev_nc_u32_e32 v8, 28, v7
	v_sub_nc_u32_e32 v7, 29, v7
	s_delay_alu instid0(VALU_DEP_2) | instskip(NEXT) | instid1(VALU_DEP_2)
	v_lshlrev_b32_e32 v3, v8, v3
	v_cndmask_b32_e32 v7, v9, v7, vcc_lo
	s_delay_alu instid0(VALU_DEP_2) | instskip(NEXT) | instid1(VALU_DEP_1)
	v_and_b32_e32 v3, 7, v3
	v_cndmask_b32_e32 v3, v5, v3, vcc_lo
	s_delay_alu instid0(VALU_DEP_3) | instskip(NEXT) | instid1(VALU_DEP_2)
	v_lshl_add_u32 v5, v7, 23, 0x3b800000
	v_lshlrev_b32_e32 v3, 20, v3
	s_delay_alu instid0(VALU_DEP_1) | instskip(NEXT) | instid1(VALU_DEP_1)
	v_or3_b32 v1, v1, v5, v3
	v_cvt_f64_f32_e32 v[8:9], v1
.LBB71_1199:
	s_or_b32 exec_lo, exec_lo, s13
.LBB71_1200:
	s_mov_b32 s12, -1
.LBB71_1201:
	s_branch .LBB71_1233
.LBB71_1202:
	s_cmp_gt_i32 s1, 22
	s_cbranch_scc0 .LBB71_1212
; %bb.1203:
	s_cmp_lt_i32 s1, 24
	s_cbranch_scc1 .LBB71_1215
; %bb.1204:
	s_cmp_gt_i32 s1, 24
	s_cbranch_scc0 .LBB71_1216
; %bb.1205:
	global_load_u8 v1, v[16:17], off
	s_mov_b32 s12, exec_lo
	s_wait_loadcnt 0x0
	v_cmpx_lt_i16_e32 0x7f, v1
	s_xor_b32 s12, exec_lo, s12
	s_cbranch_execz .LBB71_1227
; %bb.1206:
	s_mov_b32 s11, -1
	s_mov_b32 s13, exec_lo
	v_cmpx_eq_u16_e32 0x80, v1
; %bb.1207:
	s_xor_b32 s11, exec_lo, -1
; %bb.1208:
	s_or_b32 exec_lo, exec_lo, s13
	s_delay_alu instid0(SALU_CYCLE_1)
	s_and_b32 s11, s11, exec_lo
	s_or_saveexec_b32 s12, s12
	v_mov_b64_e32 v[8:9], 0x7ff8000020000000
	s_xor_b32 exec_lo, exec_lo, s12
	s_cbranch_execnz .LBB71_1228
.LBB71_1209:
	s_or_b32 exec_lo, exec_lo, s12
	s_and_saveexec_b32 s12, s11
	s_cbranch_execz .LBB71_1211
.LBB71_1210:
	v_and_b32_e32 v3, 0xffff, v1
	s_delay_alu instid0(VALU_DEP_1) | instskip(SKIP_1) | instid1(VALU_DEP_2)
	v_dual_lshlrev_b32 v1, 24, v1 :: v_dual_bitop2_b32 v5, 3, v3 bitop3:0x40
	v_bfe_u32 v9, v3, 2, 5
	v_and_b32_e32 v1, 0x80000000, v1
	s_delay_alu instid0(VALU_DEP_3) | instskip(NEXT) | instid1(VALU_DEP_3)
	v_clz_i32_u32_e32 v7, v5
	v_cmp_eq_u32_e32 vcc_lo, 0, v9
	s_delay_alu instid0(VALU_DEP_2) | instskip(NEXT) | instid1(VALU_DEP_1)
	v_min_u32_e32 v7, 32, v7
	v_subrev_nc_u32_e32 v8, 29, v7
	v_sub_nc_u32_e32 v7, 30, v7
	s_delay_alu instid0(VALU_DEP_2) | instskip(NEXT) | instid1(VALU_DEP_2)
	v_lshlrev_b32_e32 v3, v8, v3
	v_cndmask_b32_e32 v7, v9, v7, vcc_lo
	s_delay_alu instid0(VALU_DEP_2) | instskip(NEXT) | instid1(VALU_DEP_1)
	v_and_b32_e32 v3, 3, v3
	v_cndmask_b32_e32 v3, v5, v3, vcc_lo
	s_delay_alu instid0(VALU_DEP_3) | instskip(NEXT) | instid1(VALU_DEP_2)
	v_lshl_add_u32 v5, v7, 23, 0x37800000
	v_lshlrev_b32_e32 v3, 21, v3
	s_delay_alu instid0(VALU_DEP_1) | instskip(NEXT) | instid1(VALU_DEP_1)
	v_or3_b32 v1, v1, v5, v3
	v_cvt_f64_f32_e32 v[8:9], v1
.LBB71_1211:
	s_or_b32 exec_lo, exec_lo, s12
	s_mov_b32 s11, 0
	s_branch .LBB71_1217
.LBB71_1212:
                                        ; implicit-def: $vgpr8_vgpr9
	s_mov_b32 s11, 0
	s_branch .LBB71_1223
.LBB71_1213:
	s_or_saveexec_b32 s13, s13
	v_mov_b64_e32 v[8:9], 0x7ff8000020000000
	s_xor_b32 exec_lo, exec_lo, s13
	s_cbranch_execz .LBB71_1197
.LBB71_1214:
	v_cmp_ne_u16_e32 vcc_lo, 0, v1
	v_mov_b64_e32 v[8:9], 0
	s_and_not1_b32 s12, s12, exec_lo
	s_and_b32 s14, vcc_lo, exec_lo
	s_delay_alu instid0(SALU_CYCLE_1)
	s_or_b32 s12, s12, s14
	s_or_b32 exec_lo, exec_lo, s13
	s_and_saveexec_b32 s13, s12
	s_cbranch_execnz .LBB71_1198
	s_branch .LBB71_1199
.LBB71_1215:
	s_mov_b32 s11, -1
                                        ; implicit-def: $vgpr8_vgpr9
	s_branch .LBB71_1220
.LBB71_1216:
	s_mov_b32 s11, -1
                                        ; implicit-def: $vgpr8_vgpr9
.LBB71_1217:
	s_delay_alu instid0(SALU_CYCLE_1)
	s_and_b32 vcc_lo, exec_lo, s11
	s_cbranch_vccz .LBB71_1219
; %bb.1218:
	global_load_u8 v1, v[16:17], off
	s_wait_loadcnt 0x0
	v_lshlrev_b32_e32 v1, 24, v1
	s_delay_alu instid0(VALU_DEP_1) | instskip(NEXT) | instid1(VALU_DEP_1)
	v_and_b32_e32 v3, 0x7f000000, v1
	v_clz_i32_u32_e32 v5, v3
	v_cmp_ne_u32_e32 vcc_lo, 0, v3
	v_add_nc_u32_e32 v8, 0x1000000, v3
	s_delay_alu instid0(VALU_DEP_3) | instskip(NEXT) | instid1(VALU_DEP_1)
	v_min_u32_e32 v5, 32, v5
	v_sub_nc_u32_e64 v5, v5, 4 clamp
	s_delay_alu instid0(VALU_DEP_1) | instskip(NEXT) | instid1(VALU_DEP_1)
	v_dual_lshlrev_b32 v7, v5, v3 :: v_dual_lshlrev_b32 v5, 23, v5
	v_lshrrev_b32_e32 v7, 4, v7
	s_delay_alu instid0(VALU_DEP_1) | instskip(NEXT) | instid1(VALU_DEP_1)
	v_dual_sub_nc_u32 v5, v7, v5 :: v_dual_ashrrev_i32 v7, 8, v8
	v_add_nc_u32_e32 v5, 0x3c000000, v5
	s_delay_alu instid0(VALU_DEP_1) | instskip(NEXT) | instid1(VALU_DEP_1)
	v_and_or_b32 v5, 0x7f800000, v7, v5
	v_cndmask_b32_e32 v3, 0, v5, vcc_lo
	s_delay_alu instid0(VALU_DEP_1) | instskip(SKIP_1) | instid1(VALU_DEP_1)
	v_and_or_b32 v1, 0x80000000, v1, v3
	s_wait_xcnt 0x1
	v_cvt_f64_f32_e32 v[8:9], v1
.LBB71_1219:
	s_mov_b32 s11, 0
.LBB71_1220:
	s_delay_alu instid0(SALU_CYCLE_1)
	s_and_not1_b32 vcc_lo, exec_lo, s11
	s_cbranch_vccnz .LBB71_1222
; %bb.1221:
	global_load_u8 v1, v[16:17], off
	s_wait_loadcnt 0x0
	v_lshlrev_b32_e32 v3, 25, v1
	v_lshlrev_b16 v1, 8, v1
	s_delay_alu instid0(VALU_DEP_1) | instskip(SKIP_1) | instid1(VALU_DEP_2)
	v_and_or_b32 v7, 0x7f00, v1, 0.5
	v_bfe_i32 v1, v1, 0, 16
	v_add_f32_e32 v7, -0.5, v7
	v_lshrrev_b32_e32 v5, 4, v3
	v_cmp_gt_u32_e32 vcc_lo, 0x8000000, v3
	s_delay_alu instid0(VALU_DEP_2) | instskip(NEXT) | instid1(VALU_DEP_1)
	v_or_b32_e32 v5, 0x70000000, v5
	v_mul_f32_e32 v5, 0x7800000, v5
	s_delay_alu instid0(VALU_DEP_1) | instskip(NEXT) | instid1(VALU_DEP_1)
	v_cndmask_b32_e32 v3, v5, v7, vcc_lo
	v_and_or_b32 v1, 0x80000000, v1, v3
	s_wait_xcnt 0x1
	s_delay_alu instid0(VALU_DEP_1)
	v_cvt_f64_f32_e32 v[8:9], v1
.LBB71_1222:
	s_mov_b32 s12, -1
	s_mov_b32 s11, 0
	s_cbranch_execnz .LBB71_1233
.LBB71_1223:
	s_cmp_gt_i32 s1, 14
	s_cbranch_scc0 .LBB71_1226
; %bb.1224:
	s_cmp_eq_u32 s1, 15
	s_cbranch_scc0 .LBB71_1229
; %bb.1225:
	global_load_u16 v1, v[16:17], off
	s_mov_b32 s10, 0
	s_mov_b32 s12, -1
	s_wait_loadcnt 0x0
	v_lshlrev_b32_e32 v1, 16, v1
	s_wait_xcnt 0x1
	s_delay_alu instid0(VALU_DEP_1)
	v_cvt_f64_f32_e32 v[8:9], v1
	s_branch .LBB71_1231
.LBB71_1226:
	s_mov_b32 s11, -1
	s_branch .LBB71_1230
.LBB71_1227:
	s_or_saveexec_b32 s12, s12
	v_mov_b64_e32 v[8:9], 0x7ff8000020000000
	s_xor_b32 exec_lo, exec_lo, s12
	s_cbranch_execz .LBB71_1209
.LBB71_1228:
	v_cmp_ne_u16_e32 vcc_lo, 0, v1
	v_mov_b64_e32 v[8:9], 0
	s_and_not1_b32 s11, s11, exec_lo
	s_and_b32 s13, vcc_lo, exec_lo
	s_delay_alu instid0(SALU_CYCLE_1)
	s_or_b32 s11, s11, s13
	s_or_b32 exec_lo, exec_lo, s12
	s_and_saveexec_b32 s12, s11
	s_cbranch_execnz .LBB71_1210
	s_branch .LBB71_1211
.LBB71_1229:
	s_mov_b32 s10, -1
.LBB71_1230:
                                        ; implicit-def: $vgpr8_vgpr9
.LBB71_1231:
	s_and_b32 vcc_lo, exec_lo, s11
	s_mov_b32 s11, 0
	s_cbranch_vccz .LBB71_1233
; %bb.1232:
	s_cmp_lg_u32 s1, 11
	s_mov_b32 s11, -1
	s_cselect_b32 s10, -1, 0
.LBB71_1233:
	s_delay_alu instid0(SALU_CYCLE_1)
	s_and_b32 vcc_lo, exec_lo, s10
	s_mov_b32 s10, s8
	s_cbranch_vccnz .LBB71_1294
; %bb.1234:
	s_and_not1_b32 vcc_lo, exec_lo, s11
	s_cbranch_vccnz .LBB71_1236
.LBB71_1235:
	global_load_u8 v1, v[16:17], off
	v_mov_b32_e32 v8, 0
	s_mov_b32 s12, -1
	s_wait_loadcnt 0x0
	v_cmp_ne_u16_e32 vcc_lo, 0, v1
	s_wait_xcnt 0x1
	v_cndmask_b32_e64 v9, 0, 0x3ff00000, vcc_lo
.LBB71_1236:
	s_branch .LBB71_1165
.LBB71_1237:
	s_and_b32 s1, 0xffff, s0
	s_delay_alu instid0(SALU_CYCLE_1)
	s_cmp_lt_i32 s1, 5
	s_cbranch_scc1 .LBB71_1242
; %bb.1238:
	s_cmp_lt_i32 s1, 8
	s_cbranch_scc1 .LBB71_1243
; %bb.1239:
	;; [unrolled: 3-line block ×3, first 2 shown]
	s_cmp_gt_i32 s1, 9
	s_cbranch_scc0 .LBB71_1245
; %bb.1241:
	global_load_b64 v[8:9], v[16:17], off
	s_mov_b32 s11, 0
	s_branch .LBB71_1246
.LBB71_1242:
                                        ; implicit-def: $vgpr8_vgpr9
	s_branch .LBB71_1263
.LBB71_1243:
                                        ; implicit-def: $vgpr8_vgpr9
	s_branch .LBB71_1252
.LBB71_1244:
	s_mov_b32 s11, -1
                                        ; implicit-def: $vgpr8_vgpr9
	s_branch .LBB71_1249
.LBB71_1245:
	s_mov_b32 s11, -1
                                        ; implicit-def: $vgpr8_vgpr9
.LBB71_1246:
	s_delay_alu instid0(SALU_CYCLE_1)
	s_and_not1_b32 vcc_lo, exec_lo, s11
	s_cbranch_vccnz .LBB71_1248
; %bb.1247:
	global_load_b32 v1, v[16:17], off
	s_wait_loadcnt 0x0
	s_wait_xcnt 0x1
	v_cvt_f64_f32_e32 v[8:9], v1
.LBB71_1248:
	s_mov_b32 s11, 0
.LBB71_1249:
	s_delay_alu instid0(SALU_CYCLE_1)
	s_and_not1_b32 vcc_lo, exec_lo, s11
	s_cbranch_vccnz .LBB71_1251
; %bb.1250:
	global_load_b32 v1, v[16:17], off
	s_wait_loadcnt 0x0
	v_cvt_f32_f16_e32 v1, v1
	s_wait_xcnt 0x1
	s_delay_alu instid0(VALU_DEP_1)
	v_cvt_f64_f32_e32 v[8:9], v1
.LBB71_1251:
	s_cbranch_execnz .LBB71_1262
.LBB71_1252:
	s_cmp_lt_i32 s1, 6
	s_cbranch_scc1 .LBB71_1255
; %bb.1253:
	s_cmp_gt_i32 s1, 6
	s_cbranch_scc0 .LBB71_1256
; %bb.1254:
	s_wait_loadcnt 0x0
	global_load_b64 v[8:9], v[16:17], off
	s_mov_b32 s11, 0
	s_branch .LBB71_1257
.LBB71_1255:
	s_mov_b32 s11, -1
                                        ; implicit-def: $vgpr8_vgpr9
	s_branch .LBB71_1260
.LBB71_1256:
	s_mov_b32 s11, -1
                                        ; implicit-def: $vgpr8_vgpr9
.LBB71_1257:
	s_delay_alu instid0(SALU_CYCLE_1)
	s_and_not1_b32 vcc_lo, exec_lo, s11
	s_cbranch_vccnz .LBB71_1259
; %bb.1258:
	global_load_b32 v1, v[16:17], off
	s_wait_loadcnt 0x0
	s_wait_xcnt 0x1
	v_cvt_f64_f32_e32 v[8:9], v1
.LBB71_1259:
	s_mov_b32 s11, 0
.LBB71_1260:
	s_delay_alu instid0(SALU_CYCLE_1)
	s_and_not1_b32 vcc_lo, exec_lo, s11
	s_cbranch_vccnz .LBB71_1262
; %bb.1261:
	global_load_u16 v1, v[16:17], off
	s_wait_loadcnt 0x0
	v_cvt_f32_f16_e32 v1, v1
	s_wait_xcnt 0x1
	s_delay_alu instid0(VALU_DEP_1)
	v_cvt_f64_f32_e32 v[8:9], v1
.LBB71_1262:
	s_cbranch_execnz .LBB71_1281
.LBB71_1263:
	s_cmp_lt_i32 s1, 2
	s_cbranch_scc1 .LBB71_1267
; %bb.1264:
	s_cmp_lt_i32 s1, 3
	s_cbranch_scc1 .LBB71_1268
; %bb.1265:
	s_cmp_gt_i32 s1, 3
	s_cbranch_scc0 .LBB71_1269
; %bb.1266:
	s_wait_loadcnt 0x0
	global_load_b64 v[8:9], v[16:17], off
	s_mov_b32 s11, 0
	s_wait_loadcnt 0x0
	v_cvt_f64_i32_e32 v[18:19], v9
	v_cvt_f64_u32_e32 v[8:9], v8
	s_delay_alu instid0(VALU_DEP_2) | instskip(NEXT) | instid1(VALU_DEP_1)
	v_ldexp_f64 v[18:19], v[18:19], 32
	v_add_f64_e32 v[8:9], v[18:19], v[8:9]
	s_branch .LBB71_1270
.LBB71_1267:
                                        ; implicit-def: $vgpr8_vgpr9
	s_branch .LBB71_1276
.LBB71_1268:
	s_mov_b32 s11, -1
                                        ; implicit-def: $vgpr8_vgpr9
	s_branch .LBB71_1273
.LBB71_1269:
	s_mov_b32 s11, -1
                                        ; implicit-def: $vgpr8_vgpr9
.LBB71_1270:
	s_delay_alu instid0(SALU_CYCLE_1)
	s_and_not1_b32 vcc_lo, exec_lo, s11
	s_cbranch_vccnz .LBB71_1272
; %bb.1271:
	global_load_b32 v1, v[16:17], off
	s_wait_loadcnt 0x0
	s_wait_xcnt 0x1
	v_cvt_f64_i32_e32 v[8:9], v1
.LBB71_1272:
	s_mov_b32 s11, 0
.LBB71_1273:
	s_delay_alu instid0(SALU_CYCLE_1)
	s_and_not1_b32 vcc_lo, exec_lo, s11
	s_cbranch_vccnz .LBB71_1275
; %bb.1274:
	global_load_i16 v1, v[16:17], off
	s_wait_loadcnt 0x0
	s_wait_xcnt 0x1
	v_cvt_f64_i32_e32 v[8:9], v1
.LBB71_1275:
	s_cbranch_execnz .LBB71_1281
.LBB71_1276:
	s_cmp_gt_i32 s1, 0
	s_mov_b32 s1, 0
	s_cbranch_scc0 .LBB71_1278
; %bb.1277:
	global_load_i8 v1, v[16:17], off
	s_wait_loadcnt 0x0
	s_wait_xcnt 0x1
	v_cvt_f64_i32_e32 v[8:9], v1
	s_branch .LBB71_1279
.LBB71_1278:
	s_mov_b32 s1, -1
                                        ; implicit-def: $vgpr8_vgpr9
.LBB71_1279:
	s_delay_alu instid0(SALU_CYCLE_1)
	s_and_not1_b32 vcc_lo, exec_lo, s1
	s_cbranch_vccnz .LBB71_1281
; %bb.1280:
	global_load_u8 v1, v[16:17], off
	s_wait_loadcnt 0x0
	s_wait_xcnt 0x1
	v_cvt_f64_u32_e32 v[8:9], v1
.LBB71_1281:
.LBB71_1282:
	v_mov_b32_e32 v11, 0
	s_and_b32 s0, 0xffff, s0
	s_delay_alu instid0(SALU_CYCLE_1) | instskip(SKIP_1) | instid1(VALU_DEP_1)
	s_cmp_lt_i32 s0, 11
	s_wait_xcnt 0x0
	v_add_nc_u64_e32 v[16:17], s[6:7], v[10:11]
	s_cbranch_scc1 .LBB71_1289
; %bb.1283:
	s_cmp_gt_i32 s0, 25
	s_mov_b32 s11, 0
	s_cbranch_scc0 .LBB71_1291
; %bb.1284:
	s_cmp_gt_i32 s0, 28
	s_cbranch_scc0 .LBB71_1292
; %bb.1285:
	s_cmp_gt_i32 s0, 43
	s_cbranch_scc0 .LBB71_1293
; %bb.1286:
	s_cmp_gt_i32 s0, 45
	s_cbranch_scc0 .LBB71_1295
; %bb.1287:
	s_cmp_eq_u32 s0, 46
	s_mov_b32 s13, 0
	s_cbranch_scc0 .LBB71_1298
; %bb.1288:
	global_load_b32 v1, v[16:17], off
	s_mov_b32 s1, 0
	s_mov_b32 s12, -1
	s_wait_loadcnt 0x0
	v_lshlrev_b32_e32 v1, 16, v1
	s_delay_alu instid0(VALU_DEP_1)
	v_cvt_f64_f32_e32 v[10:11], v1
	s_branch .LBB71_1300
.LBB71_1289:
	s_mov_b32 s12, 0
                                        ; implicit-def: $vgpr10_vgpr11
	s_cbranch_execnz .LBB71_1365
.LBB71_1290:
	s_and_not1_b32 vcc_lo, exec_lo, s12
	s_cbranch_vccnz .LBB71_2106
	s_branch .LBB71_1412
.LBB71_1291:
	s_mov_b32 s12, 0
	s_mov_b32 s1, 0
                                        ; implicit-def: $vgpr10_vgpr11
	s_cbranch_execnz .LBB71_1329
	s_branch .LBB71_1361
.LBB71_1292:
	s_mov_b32 s13, -1
	s_mov_b32 s12, 0
	s_mov_b32 s1, 0
                                        ; implicit-def: $vgpr10_vgpr11
	s_branch .LBB71_1310
.LBB71_1293:
	s_mov_b32 s13, -1
	s_mov_b32 s12, 0
	s_mov_b32 s1, 0
                                        ; implicit-def: $vgpr10_vgpr11
	s_branch .LBB71_1305
.LBB71_1294:
	s_or_b32 s10, s8, exec_lo
	s_trap 2
	s_cbranch_execz .LBB71_1235
	s_branch .LBB71_1236
.LBB71_1295:
	s_mov_b32 s13, -1
	s_mov_b32 s12, 0
	s_mov_b32 s1, 0
	s_branch .LBB71_1299
.LBB71_1296:
	s_and_not1_saveexec_b32 s11, s11
	s_cbranch_execz .LBB71_1021
.LBB71_1297:
	v_add_f32_e32 v2, 0x42800000, v3
	s_and_not1_b32 s10, s10, exec_lo
	s_delay_alu instid0(VALU_DEP_1) | instskip(NEXT) | instid1(VALU_DEP_1)
	v_and_b32_e32 v2, 0xff, v2
	v_cmp_ne_u32_e32 vcc_lo, 0, v2
	s_and_b32 s12, vcc_lo, exec_lo
	s_delay_alu instid0(SALU_CYCLE_1)
	s_or_b32 s10, s10, s12
	s_or_b32 exec_lo, exec_lo, s11
	v_mov_b32_e32 v4, 0
	s_and_saveexec_b32 s11, s10
	s_cbranch_execnz .LBB71_1022
	s_branch .LBB71_1023
.LBB71_1298:
	s_mov_b32 s1, -1
	s_mov_b32 s12, 0
.LBB71_1299:
                                        ; implicit-def: $vgpr10_vgpr11
.LBB71_1300:
	s_and_b32 vcc_lo, exec_lo, s13
	s_cbranch_vccz .LBB71_1304
; %bb.1301:
	s_cmp_eq_u32 s0, 44
	s_cbranch_scc0 .LBB71_1303
; %bb.1302:
	global_load_u8 v1, v[16:17], off
	s_mov_b32 s1, 0
	s_mov_b32 s12, -1
	s_wait_loadcnt 0x0
	v_lshlrev_b32_e32 v3, 23, v1
	v_cmp_ne_u32_e32 vcc_lo, 0xff, v1
	s_delay_alu instid0(VALU_DEP_2) | instskip(NEXT) | instid1(VALU_DEP_1)
	v_cvt_f64_f32_e32 v[10:11], v3
	v_cndmask_b32_e32 v3, 0x20000000, v10, vcc_lo
	s_delay_alu instid0(VALU_DEP_2) | instskip(SKIP_1) | instid1(VALU_DEP_2)
	v_cndmask_b32_e32 v5, 0x7ff80000, v11, vcc_lo
	v_cmp_ne_u32_e32 vcc_lo, 0, v1
	v_cndmask_b32_e32 v11, 0x38000000, v5, vcc_lo
	s_delay_alu instid0(VALU_DEP_4)
	v_cndmask_b32_e32 v10, 0, v3, vcc_lo
	s_branch .LBB71_1304
.LBB71_1303:
	s_mov_b32 s1, -1
                                        ; implicit-def: $vgpr10_vgpr11
.LBB71_1304:
	s_mov_b32 s13, 0
.LBB71_1305:
	s_delay_alu instid0(SALU_CYCLE_1)
	s_and_b32 vcc_lo, exec_lo, s13
	s_cbranch_vccz .LBB71_1309
; %bb.1306:
	s_cmp_eq_u32 s0, 29
	s_cbranch_scc0 .LBB71_1308
; %bb.1307:
	global_load_b64 v[10:11], v[16:17], off
	s_mov_b32 s1, 0
	s_mov_b32 s12, -1
	s_mov_b32 s13, 0
	s_wait_loadcnt 0x0
	v_cvt_f64_u32_e32 v[18:19], v11
	v_cvt_f64_u32_e32 v[10:11], v10
	s_delay_alu instid0(VALU_DEP_2) | instskip(NEXT) | instid1(VALU_DEP_1)
	v_ldexp_f64 v[18:19], v[18:19], 32
	v_add_f64_e32 v[10:11], v[18:19], v[10:11]
	s_branch .LBB71_1310
.LBB71_1308:
	s_mov_b32 s1, -1
                                        ; implicit-def: $vgpr10_vgpr11
.LBB71_1309:
	s_mov_b32 s13, 0
.LBB71_1310:
	s_delay_alu instid0(SALU_CYCLE_1)
	s_and_b32 vcc_lo, exec_lo, s13
	s_cbranch_vccz .LBB71_1328
; %bb.1311:
	s_cmp_lt_i32 s0, 27
	s_cbranch_scc1 .LBB71_1314
; %bb.1312:
	s_cmp_gt_i32 s0, 27
	s_cbranch_scc0 .LBB71_1315
; %bb.1313:
	global_load_b32 v1, v[16:17], off
	s_mov_b32 s12, 0
	s_wait_loadcnt 0x0
	v_cvt_f64_u32_e32 v[10:11], v1
	s_branch .LBB71_1316
.LBB71_1314:
	s_mov_b32 s12, -1
                                        ; implicit-def: $vgpr10_vgpr11
	s_branch .LBB71_1319
.LBB71_1315:
	s_mov_b32 s12, -1
                                        ; implicit-def: $vgpr10_vgpr11
.LBB71_1316:
	s_delay_alu instid0(SALU_CYCLE_1)
	s_and_not1_b32 vcc_lo, exec_lo, s12
	s_cbranch_vccnz .LBB71_1318
; %bb.1317:
	global_load_u16 v1, v[16:17], off
	s_wait_loadcnt 0x0
	v_cvt_f64_u32_e32 v[10:11], v1
.LBB71_1318:
	s_mov_b32 s12, 0
.LBB71_1319:
	s_delay_alu instid0(SALU_CYCLE_1)
	s_and_not1_b32 vcc_lo, exec_lo, s12
	s_cbranch_vccnz .LBB71_1327
; %bb.1320:
	global_load_u8 v1, v[16:17], off
	s_mov_b32 s12, 0
	s_mov_b32 s13, exec_lo
	s_wait_loadcnt 0x0
	v_cmpx_lt_i16_e32 0x7f, v1
	s_xor_b32 s13, exec_lo, s13
	s_cbranch_execz .LBB71_1340
; %bb.1321:
	s_mov_b32 s12, -1
	s_mov_b32 s14, exec_lo
	v_cmpx_eq_u16_e32 0x80, v1
; %bb.1322:
	s_xor_b32 s12, exec_lo, -1
; %bb.1323:
	s_or_b32 exec_lo, exec_lo, s14
	s_delay_alu instid0(SALU_CYCLE_1)
	s_and_b32 s12, s12, exec_lo
	s_or_saveexec_b32 s13, s13
	v_mov_b64_e32 v[10:11], 0x7ff8000020000000
	s_xor_b32 exec_lo, exec_lo, s13
	s_cbranch_execnz .LBB71_1341
.LBB71_1324:
	s_or_b32 exec_lo, exec_lo, s13
	s_and_saveexec_b32 s13, s12
	s_cbranch_execz .LBB71_1326
.LBB71_1325:
	v_and_b32_e32 v3, 0xffff, v1
	s_delay_alu instid0(VALU_DEP_1) | instskip(SKIP_1) | instid1(VALU_DEP_2)
	v_dual_lshlrev_b32 v1, 24, v1 :: v_dual_bitop2_b32 v5, 7, v3 bitop3:0x40
	v_bfe_u32 v11, v3, 3, 4
	v_and_b32_e32 v1, 0x80000000, v1
	s_delay_alu instid0(VALU_DEP_3) | instskip(NEXT) | instid1(VALU_DEP_3)
	v_clz_i32_u32_e32 v7, v5
	v_cmp_eq_u32_e32 vcc_lo, 0, v11
	s_delay_alu instid0(VALU_DEP_2) | instskip(NEXT) | instid1(VALU_DEP_1)
	v_min_u32_e32 v7, 32, v7
	v_subrev_nc_u32_e32 v10, 28, v7
	v_sub_nc_u32_e32 v7, 29, v7
	s_delay_alu instid0(VALU_DEP_2) | instskip(NEXT) | instid1(VALU_DEP_2)
	v_lshlrev_b32_e32 v3, v10, v3
	v_cndmask_b32_e32 v7, v11, v7, vcc_lo
	s_delay_alu instid0(VALU_DEP_2) | instskip(NEXT) | instid1(VALU_DEP_1)
	v_and_b32_e32 v3, 7, v3
	v_cndmask_b32_e32 v3, v5, v3, vcc_lo
	s_delay_alu instid0(VALU_DEP_3) | instskip(NEXT) | instid1(VALU_DEP_2)
	v_lshl_add_u32 v5, v7, 23, 0x3b800000
	v_lshlrev_b32_e32 v3, 20, v3
	s_delay_alu instid0(VALU_DEP_1) | instskip(NEXT) | instid1(VALU_DEP_1)
	v_or3_b32 v1, v1, v5, v3
	v_cvt_f64_f32_e32 v[10:11], v1
.LBB71_1326:
	s_or_b32 exec_lo, exec_lo, s13
.LBB71_1327:
	s_mov_b32 s12, -1
.LBB71_1328:
	s_branch .LBB71_1361
.LBB71_1329:
	s_cmp_gt_i32 s0, 22
	s_cbranch_scc0 .LBB71_1339
; %bb.1330:
	s_cmp_lt_i32 s0, 24
	s_cbranch_scc1 .LBB71_1342
; %bb.1331:
	s_cmp_gt_i32 s0, 24
	s_cbranch_scc0 .LBB71_1343
; %bb.1332:
	global_load_u8 v1, v[16:17], off
	s_mov_b32 s12, exec_lo
	s_wait_loadcnt 0x0
	v_cmpx_lt_i16_e32 0x7f, v1
	s_xor_b32 s12, exec_lo, s12
	s_cbranch_execz .LBB71_1355
; %bb.1333:
	s_mov_b32 s11, -1
	s_mov_b32 s13, exec_lo
	v_cmpx_eq_u16_e32 0x80, v1
; %bb.1334:
	s_xor_b32 s11, exec_lo, -1
; %bb.1335:
	s_or_b32 exec_lo, exec_lo, s13
	s_delay_alu instid0(SALU_CYCLE_1)
	s_and_b32 s11, s11, exec_lo
	s_or_saveexec_b32 s12, s12
	v_mov_b64_e32 v[10:11], 0x7ff8000020000000
	s_xor_b32 exec_lo, exec_lo, s12
	s_cbranch_execnz .LBB71_1356
.LBB71_1336:
	s_or_b32 exec_lo, exec_lo, s12
	s_and_saveexec_b32 s12, s11
	s_cbranch_execz .LBB71_1338
.LBB71_1337:
	v_and_b32_e32 v3, 0xffff, v1
	s_delay_alu instid0(VALU_DEP_1) | instskip(SKIP_1) | instid1(VALU_DEP_2)
	v_dual_lshlrev_b32 v1, 24, v1 :: v_dual_bitop2_b32 v5, 3, v3 bitop3:0x40
	v_bfe_u32 v11, v3, 2, 5
	v_and_b32_e32 v1, 0x80000000, v1
	s_delay_alu instid0(VALU_DEP_3) | instskip(NEXT) | instid1(VALU_DEP_3)
	v_clz_i32_u32_e32 v7, v5
	v_cmp_eq_u32_e32 vcc_lo, 0, v11
	s_delay_alu instid0(VALU_DEP_2) | instskip(NEXT) | instid1(VALU_DEP_1)
	v_min_u32_e32 v7, 32, v7
	v_subrev_nc_u32_e32 v10, 29, v7
	v_sub_nc_u32_e32 v7, 30, v7
	s_delay_alu instid0(VALU_DEP_2) | instskip(NEXT) | instid1(VALU_DEP_2)
	v_lshlrev_b32_e32 v3, v10, v3
	v_cndmask_b32_e32 v7, v11, v7, vcc_lo
	s_delay_alu instid0(VALU_DEP_2) | instskip(NEXT) | instid1(VALU_DEP_1)
	v_and_b32_e32 v3, 3, v3
	v_cndmask_b32_e32 v3, v5, v3, vcc_lo
	s_delay_alu instid0(VALU_DEP_3) | instskip(NEXT) | instid1(VALU_DEP_2)
	v_lshl_add_u32 v5, v7, 23, 0x37800000
	v_lshlrev_b32_e32 v3, 21, v3
	s_delay_alu instid0(VALU_DEP_1) | instskip(NEXT) | instid1(VALU_DEP_1)
	v_or3_b32 v1, v1, v5, v3
	v_cvt_f64_f32_e32 v[10:11], v1
.LBB71_1338:
	s_or_b32 exec_lo, exec_lo, s12
	s_mov_b32 s11, 0
	s_branch .LBB71_1344
.LBB71_1339:
	s_mov_b32 s11, -1
                                        ; implicit-def: $vgpr10_vgpr11
	s_branch .LBB71_1350
.LBB71_1340:
	s_or_saveexec_b32 s13, s13
	v_mov_b64_e32 v[10:11], 0x7ff8000020000000
	s_xor_b32 exec_lo, exec_lo, s13
	s_cbranch_execz .LBB71_1324
.LBB71_1341:
	v_cmp_ne_u16_e32 vcc_lo, 0, v1
	v_mov_b64_e32 v[10:11], 0
	s_and_not1_b32 s12, s12, exec_lo
	s_and_b32 s14, vcc_lo, exec_lo
	s_delay_alu instid0(SALU_CYCLE_1)
	s_or_b32 s12, s12, s14
	s_or_b32 exec_lo, exec_lo, s13
	s_and_saveexec_b32 s13, s12
	s_cbranch_execnz .LBB71_1325
	s_branch .LBB71_1326
.LBB71_1342:
	s_mov_b32 s11, -1
                                        ; implicit-def: $vgpr10_vgpr11
	s_branch .LBB71_1347
.LBB71_1343:
	s_mov_b32 s11, -1
                                        ; implicit-def: $vgpr10_vgpr11
.LBB71_1344:
	s_delay_alu instid0(SALU_CYCLE_1)
	s_and_b32 vcc_lo, exec_lo, s11
	s_cbranch_vccz .LBB71_1346
; %bb.1345:
	global_load_u8 v1, v[16:17], off
	s_wait_loadcnt 0x0
	v_lshlrev_b32_e32 v1, 24, v1
	s_delay_alu instid0(VALU_DEP_1) | instskip(NEXT) | instid1(VALU_DEP_1)
	v_and_b32_e32 v3, 0x7f000000, v1
	v_clz_i32_u32_e32 v5, v3
	v_cmp_ne_u32_e32 vcc_lo, 0, v3
	v_add_nc_u32_e32 v10, 0x1000000, v3
	s_delay_alu instid0(VALU_DEP_3) | instskip(NEXT) | instid1(VALU_DEP_1)
	v_min_u32_e32 v5, 32, v5
	v_sub_nc_u32_e64 v5, v5, 4 clamp
	s_delay_alu instid0(VALU_DEP_1) | instskip(NEXT) | instid1(VALU_DEP_1)
	v_dual_lshlrev_b32 v7, v5, v3 :: v_dual_lshlrev_b32 v5, 23, v5
	v_lshrrev_b32_e32 v7, 4, v7
	s_delay_alu instid0(VALU_DEP_1) | instskip(NEXT) | instid1(VALU_DEP_1)
	v_dual_sub_nc_u32 v5, v7, v5 :: v_dual_ashrrev_i32 v7, 8, v10
	v_add_nc_u32_e32 v5, 0x3c000000, v5
	s_delay_alu instid0(VALU_DEP_1) | instskip(NEXT) | instid1(VALU_DEP_1)
	v_and_or_b32 v5, 0x7f800000, v7, v5
	v_cndmask_b32_e32 v3, 0, v5, vcc_lo
	s_delay_alu instid0(VALU_DEP_1) | instskip(NEXT) | instid1(VALU_DEP_1)
	v_and_or_b32 v1, 0x80000000, v1, v3
	v_cvt_f64_f32_e32 v[10:11], v1
.LBB71_1346:
	s_mov_b32 s11, 0
.LBB71_1347:
	s_delay_alu instid0(SALU_CYCLE_1)
	s_and_not1_b32 vcc_lo, exec_lo, s11
	s_cbranch_vccnz .LBB71_1349
; %bb.1348:
	global_load_u8 v1, v[16:17], off
	s_wait_loadcnt 0x0
	v_lshlrev_b32_e32 v3, 25, v1
	v_lshlrev_b16 v1, 8, v1
	s_delay_alu instid0(VALU_DEP_1) | instskip(SKIP_1) | instid1(VALU_DEP_2)
	v_and_or_b32 v7, 0x7f00, v1, 0.5
	v_bfe_i32 v1, v1, 0, 16
	v_add_f32_e32 v7, -0.5, v7
	v_lshrrev_b32_e32 v5, 4, v3
	v_cmp_gt_u32_e32 vcc_lo, 0x8000000, v3
	s_delay_alu instid0(VALU_DEP_2) | instskip(NEXT) | instid1(VALU_DEP_1)
	v_or_b32_e32 v5, 0x70000000, v5
	v_mul_f32_e32 v5, 0x7800000, v5
	s_delay_alu instid0(VALU_DEP_1) | instskip(NEXT) | instid1(VALU_DEP_1)
	v_cndmask_b32_e32 v3, v5, v7, vcc_lo
	v_and_or_b32 v1, 0x80000000, v1, v3
	s_delay_alu instid0(VALU_DEP_1)
	v_cvt_f64_f32_e32 v[10:11], v1
.LBB71_1349:
	s_mov_b32 s11, 0
	s_mov_b32 s12, -1
.LBB71_1350:
	s_and_not1_b32 vcc_lo, exec_lo, s11
	s_mov_b32 s11, 0
	s_cbranch_vccnz .LBB71_1361
; %bb.1351:
	s_cmp_gt_i32 s0, 14
	s_cbranch_scc0 .LBB71_1354
; %bb.1352:
	s_cmp_eq_u32 s0, 15
	s_cbranch_scc0 .LBB71_1357
; %bb.1353:
	global_load_u16 v1, v[16:17], off
	s_mov_b32 s1, 0
	s_mov_b32 s12, -1
	s_wait_loadcnt 0x0
	v_lshlrev_b32_e32 v1, 16, v1
	s_delay_alu instid0(VALU_DEP_1)
	v_cvt_f64_f32_e32 v[10:11], v1
	s_branch .LBB71_1359
.LBB71_1354:
	s_mov_b32 s11, -1
	s_branch .LBB71_1358
.LBB71_1355:
	s_or_saveexec_b32 s12, s12
	v_mov_b64_e32 v[10:11], 0x7ff8000020000000
	s_xor_b32 exec_lo, exec_lo, s12
	s_cbranch_execz .LBB71_1336
.LBB71_1356:
	v_cmp_ne_u16_e32 vcc_lo, 0, v1
	v_mov_b64_e32 v[10:11], 0
	s_and_not1_b32 s11, s11, exec_lo
	s_and_b32 s13, vcc_lo, exec_lo
	s_delay_alu instid0(SALU_CYCLE_1)
	s_or_b32 s11, s11, s13
	s_or_b32 exec_lo, exec_lo, s12
	s_and_saveexec_b32 s12, s11
	s_cbranch_execnz .LBB71_1337
	s_branch .LBB71_1338
.LBB71_1357:
	s_mov_b32 s1, -1
.LBB71_1358:
                                        ; implicit-def: $vgpr10_vgpr11
.LBB71_1359:
	s_and_b32 vcc_lo, exec_lo, s11
	s_mov_b32 s11, 0
	s_cbranch_vccz .LBB71_1361
; %bb.1360:
	s_cmp_lg_u32 s0, 11
	s_mov_b32 s11, -1
	s_cselect_b32 s1, -1, 0
.LBB71_1361:
	s_delay_alu instid0(SALU_CYCLE_1)
	s_and_b32 vcc_lo, exec_lo, s1
	s_cbranch_vccnz .LBB71_1424
; %bb.1362:
	s_and_not1_b32 vcc_lo, exec_lo, s11
	s_cbranch_vccnz .LBB71_1364
.LBB71_1363:
	global_load_u8 v1, v[16:17], off
	v_mov_b32_e32 v10, 0
	s_mov_b32 s12, -1
	s_wait_loadcnt 0x0
	v_cmp_ne_u16_e32 vcc_lo, 0, v1
	v_cndmask_b32_e64 v11, 0, 0x3ff00000, vcc_lo
.LBB71_1364:
	s_branch .LBB71_1290
.LBB71_1365:
	s_cmp_lt_i32 s0, 5
	s_cbranch_scc1 .LBB71_1370
; %bb.1366:
	s_cmp_lt_i32 s0, 8
	s_cbranch_scc1 .LBB71_1371
; %bb.1367:
	;; [unrolled: 3-line block ×3, first 2 shown]
	s_cmp_gt_i32 s0, 9
	s_cbranch_scc0 .LBB71_1373
; %bb.1369:
	global_load_b64 v[10:11], v[16:17], off
	s_mov_b32 s1, 0
	s_branch .LBB71_1374
.LBB71_1370:
                                        ; implicit-def: $vgpr10_vgpr11
	s_branch .LBB71_1392
.LBB71_1371:
	s_mov_b32 s1, -1
                                        ; implicit-def: $vgpr10_vgpr11
	s_branch .LBB71_1380
.LBB71_1372:
	s_mov_b32 s1, -1
                                        ; implicit-def: $vgpr10_vgpr11
	s_branch .LBB71_1377
.LBB71_1373:
	s_mov_b32 s1, -1
                                        ; implicit-def: $vgpr10_vgpr11
.LBB71_1374:
	s_delay_alu instid0(SALU_CYCLE_1)
	s_and_not1_b32 vcc_lo, exec_lo, s1
	s_cbranch_vccnz .LBB71_1376
; %bb.1375:
	global_load_b32 v1, v[16:17], off
	s_wait_loadcnt 0x0
	v_cvt_f64_f32_e32 v[10:11], v1
.LBB71_1376:
	s_mov_b32 s1, 0
.LBB71_1377:
	s_delay_alu instid0(SALU_CYCLE_1)
	s_and_not1_b32 vcc_lo, exec_lo, s1
	s_cbranch_vccnz .LBB71_1379
; %bb.1378:
	global_load_b32 v1, v[16:17], off
	s_wait_loadcnt 0x0
	v_cvt_f32_f16_e32 v1, v1
	s_delay_alu instid0(VALU_DEP_1)
	v_cvt_f64_f32_e32 v[10:11], v1
.LBB71_1379:
	s_mov_b32 s1, 0
.LBB71_1380:
	s_delay_alu instid0(SALU_CYCLE_1)
	s_and_not1_b32 vcc_lo, exec_lo, s1
	s_cbranch_vccnz .LBB71_1391
; %bb.1381:
	s_cmp_lt_i32 s0, 6
	s_cbranch_scc1 .LBB71_1384
; %bb.1382:
	s_cmp_gt_i32 s0, 6
	s_cbranch_scc0 .LBB71_1385
; %bb.1383:
	s_wait_loadcnt 0x0
	global_load_b64 v[10:11], v[16:17], off
	s_mov_b32 s1, 0
	s_branch .LBB71_1386
.LBB71_1384:
	s_mov_b32 s1, -1
                                        ; implicit-def: $vgpr10_vgpr11
	s_branch .LBB71_1389
.LBB71_1385:
	s_mov_b32 s1, -1
                                        ; implicit-def: $vgpr10_vgpr11
.LBB71_1386:
	s_delay_alu instid0(SALU_CYCLE_1)
	s_and_not1_b32 vcc_lo, exec_lo, s1
	s_cbranch_vccnz .LBB71_1388
; %bb.1387:
	global_load_b32 v1, v[16:17], off
	s_wait_loadcnt 0x0
	v_cvt_f64_f32_e32 v[10:11], v1
.LBB71_1388:
	s_mov_b32 s1, 0
.LBB71_1389:
	s_delay_alu instid0(SALU_CYCLE_1)
	s_and_not1_b32 vcc_lo, exec_lo, s1
	s_cbranch_vccnz .LBB71_1391
; %bb.1390:
	global_load_u16 v1, v[16:17], off
	s_wait_loadcnt 0x0
	v_cvt_f32_f16_e32 v1, v1
	s_delay_alu instid0(VALU_DEP_1)
	v_cvt_f64_f32_e32 v[10:11], v1
.LBB71_1391:
	s_cbranch_execnz .LBB71_1411
.LBB71_1392:
	s_cmp_lt_i32 s0, 2
	s_cbranch_scc1 .LBB71_1396
; %bb.1393:
	s_cmp_lt_i32 s0, 3
	s_cbranch_scc1 .LBB71_1397
; %bb.1394:
	s_cmp_gt_i32 s0, 3
	s_cbranch_scc0 .LBB71_1398
; %bb.1395:
	s_wait_loadcnt 0x0
	global_load_b64 v[10:11], v[16:17], off
	s_mov_b32 s1, 0
	s_wait_loadcnt 0x0
	v_cvt_f64_i32_e32 v[18:19], v11
	v_cvt_f64_u32_e32 v[10:11], v10
	s_delay_alu instid0(VALU_DEP_2) | instskip(NEXT) | instid1(VALU_DEP_1)
	v_ldexp_f64 v[18:19], v[18:19], 32
	v_add_f64_e32 v[10:11], v[18:19], v[10:11]
	s_branch .LBB71_1399
.LBB71_1396:
	s_mov_b32 s1, -1
                                        ; implicit-def: $vgpr10_vgpr11
	s_branch .LBB71_1405
.LBB71_1397:
	s_mov_b32 s1, -1
                                        ; implicit-def: $vgpr10_vgpr11
	s_branch .LBB71_1402
.LBB71_1398:
	s_mov_b32 s1, -1
                                        ; implicit-def: $vgpr10_vgpr11
.LBB71_1399:
	s_delay_alu instid0(SALU_CYCLE_1)
	s_and_not1_b32 vcc_lo, exec_lo, s1
	s_cbranch_vccnz .LBB71_1401
; %bb.1400:
	global_load_b32 v1, v[16:17], off
	s_wait_loadcnt 0x0
	v_cvt_f64_i32_e32 v[10:11], v1
.LBB71_1401:
	s_mov_b32 s1, 0
.LBB71_1402:
	s_delay_alu instid0(SALU_CYCLE_1)
	s_and_not1_b32 vcc_lo, exec_lo, s1
	s_cbranch_vccnz .LBB71_1404
; %bb.1403:
	global_load_i16 v1, v[16:17], off
	s_wait_loadcnt 0x0
	v_cvt_f64_i32_e32 v[10:11], v1
.LBB71_1404:
	s_mov_b32 s1, 0
.LBB71_1405:
	s_delay_alu instid0(SALU_CYCLE_1)
	s_and_not1_b32 vcc_lo, exec_lo, s1
	s_cbranch_vccnz .LBB71_1411
; %bb.1406:
	s_cmp_gt_i32 s0, 0
	s_mov_b32 s1, 0
	s_cbranch_scc0 .LBB71_1408
; %bb.1407:
	global_load_i8 v1, v[16:17], off
	s_wait_loadcnt 0x0
	v_cvt_f64_i32_e32 v[10:11], v1
	s_branch .LBB71_1409
.LBB71_1408:
	s_mov_b32 s1, -1
                                        ; implicit-def: $vgpr10_vgpr11
.LBB71_1409:
	s_delay_alu instid0(SALU_CYCLE_1)
	s_and_not1_b32 vcc_lo, exec_lo, s1
	s_cbranch_vccnz .LBB71_1411
; %bb.1410:
	global_load_u8 v1, v[16:17], off
	s_wait_loadcnt 0x0
	v_cvt_f64_u32_e32 v[10:11], v1
.LBB71_1411:
.LBB71_1412:
	v_mov_b32_e32 v13, 0
	s_cmp_lt_i32 s0, 11
	s_wait_xcnt 0x0
	s_delay_alu instid0(VALU_DEP_1)
	v_add_nc_u64_e32 v[16:17], s[6:7], v[12:13]
	s_cbranch_scc1 .LBB71_1419
; %bb.1413:
	s_cmp_gt_i32 s0, 25
	s_mov_b32 s11, 0
	s_cbranch_scc0 .LBB71_1421
; %bb.1414:
	s_cmp_gt_i32 s0, 28
	s_cbranch_scc0 .LBB71_1422
; %bb.1415:
	s_cmp_gt_i32 s0, 43
	;; [unrolled: 3-line block ×3, first 2 shown]
	s_cbranch_scc0 .LBB71_1425
; %bb.1417:
	s_cmp_eq_u32 s0, 46
	s_mov_b32 s13, 0
	s_cbranch_scc0 .LBB71_1426
; %bb.1418:
	global_load_b32 v1, v[16:17], off
	s_mov_b32 s1, 0
	s_mov_b32 s12, -1
	s_wait_loadcnt 0x0
	v_lshlrev_b32_e32 v1, 16, v1
	s_delay_alu instid0(VALU_DEP_1)
	v_cvt_f64_f32_e32 v[12:13], v1
	s_branch .LBB71_1428
.LBB71_1419:
	s_mov_b32 s12, 0
                                        ; implicit-def: $vgpr12_vgpr13
	s_cbranch_execnz .LBB71_1494
.LBB71_1420:
	s_and_not1_b32 vcc_lo, exec_lo, s12
	s_cbranch_vccnz .LBB71_2106
	s_branch .LBB71_1542
.LBB71_1421:
	s_mov_b32 s13, -1
	s_mov_b32 s12, 0
	s_mov_b32 s1, 0
                                        ; implicit-def: $vgpr12_vgpr13
	s_branch .LBB71_1457
.LBB71_1422:
	s_mov_b32 s13, -1
	s_mov_b32 s12, 0
	s_mov_b32 s1, 0
                                        ; implicit-def: $vgpr12_vgpr13
	s_branch .LBB71_1438
.LBB71_1423:
	s_mov_b32 s13, -1
	s_mov_b32 s12, 0
	s_mov_b32 s1, 0
                                        ; implicit-def: $vgpr12_vgpr13
	s_branch .LBB71_1433
.LBB71_1424:
	s_or_b32 s10, s10, exec_lo
	s_trap 2
	s_cbranch_execz .LBB71_1363
	s_branch .LBB71_1364
.LBB71_1425:
	s_mov_b32 s13, -1
	s_mov_b32 s12, 0
	s_mov_b32 s1, 0
	s_branch .LBB71_1427
.LBB71_1426:
	s_mov_b32 s1, -1
	s_mov_b32 s12, 0
.LBB71_1427:
                                        ; implicit-def: $vgpr12_vgpr13
.LBB71_1428:
	s_and_b32 vcc_lo, exec_lo, s13
	s_cbranch_vccz .LBB71_1432
; %bb.1429:
	s_cmp_eq_u32 s0, 44
	s_cbranch_scc0 .LBB71_1431
; %bb.1430:
	global_load_u8 v1, v[16:17], off
	s_mov_b32 s1, 0
	s_mov_b32 s12, -1
	s_wait_loadcnt 0x0
	v_lshlrev_b32_e32 v3, 23, v1
	v_cmp_ne_u32_e32 vcc_lo, 0xff, v1
	s_delay_alu instid0(VALU_DEP_2) | instskip(NEXT) | instid1(VALU_DEP_1)
	v_cvt_f64_f32_e32 v[12:13], v3
	v_cndmask_b32_e32 v3, 0x20000000, v12, vcc_lo
	s_delay_alu instid0(VALU_DEP_2) | instskip(SKIP_1) | instid1(VALU_DEP_2)
	v_cndmask_b32_e32 v5, 0x7ff80000, v13, vcc_lo
	v_cmp_ne_u32_e32 vcc_lo, 0, v1
	v_cndmask_b32_e32 v13, 0x38000000, v5, vcc_lo
	s_delay_alu instid0(VALU_DEP_4)
	v_cndmask_b32_e32 v12, 0, v3, vcc_lo
	s_branch .LBB71_1432
.LBB71_1431:
	s_mov_b32 s1, -1
                                        ; implicit-def: $vgpr12_vgpr13
.LBB71_1432:
	s_mov_b32 s13, 0
.LBB71_1433:
	s_delay_alu instid0(SALU_CYCLE_1)
	s_and_b32 vcc_lo, exec_lo, s13
	s_cbranch_vccz .LBB71_1437
; %bb.1434:
	s_cmp_eq_u32 s0, 29
	s_cbranch_scc0 .LBB71_1436
; %bb.1435:
	global_load_b64 v[12:13], v[16:17], off
	s_mov_b32 s1, 0
	s_mov_b32 s12, -1
	s_mov_b32 s13, 0
	s_wait_loadcnt 0x0
	v_cvt_f64_u32_e32 v[18:19], v13
	v_cvt_f64_u32_e32 v[12:13], v12
	s_delay_alu instid0(VALU_DEP_2) | instskip(NEXT) | instid1(VALU_DEP_1)
	v_ldexp_f64 v[18:19], v[18:19], 32
	v_add_f64_e32 v[12:13], v[18:19], v[12:13]
	s_branch .LBB71_1438
.LBB71_1436:
	s_mov_b32 s1, -1
                                        ; implicit-def: $vgpr12_vgpr13
.LBB71_1437:
	s_mov_b32 s13, 0
.LBB71_1438:
	s_delay_alu instid0(SALU_CYCLE_1)
	s_and_b32 vcc_lo, exec_lo, s13
	s_cbranch_vccz .LBB71_1456
; %bb.1439:
	s_cmp_lt_i32 s0, 27
	s_cbranch_scc1 .LBB71_1442
; %bb.1440:
	s_cmp_gt_i32 s0, 27
	s_cbranch_scc0 .LBB71_1443
; %bb.1441:
	global_load_b32 v1, v[16:17], off
	s_mov_b32 s12, 0
	s_wait_loadcnt 0x0
	v_cvt_f64_u32_e32 v[12:13], v1
	s_branch .LBB71_1444
.LBB71_1442:
	s_mov_b32 s12, -1
                                        ; implicit-def: $vgpr12_vgpr13
	s_branch .LBB71_1447
.LBB71_1443:
	s_mov_b32 s12, -1
                                        ; implicit-def: $vgpr12_vgpr13
.LBB71_1444:
	s_delay_alu instid0(SALU_CYCLE_1)
	s_and_not1_b32 vcc_lo, exec_lo, s12
	s_cbranch_vccnz .LBB71_1446
; %bb.1445:
	global_load_u16 v1, v[16:17], off
	s_wait_loadcnt 0x0
	v_cvt_f64_u32_e32 v[12:13], v1
.LBB71_1446:
	s_mov_b32 s12, 0
.LBB71_1447:
	s_delay_alu instid0(SALU_CYCLE_1)
	s_and_not1_b32 vcc_lo, exec_lo, s12
	s_cbranch_vccnz .LBB71_1455
; %bb.1448:
	global_load_u8 v1, v[16:17], off
	s_mov_b32 s12, 0
	s_mov_b32 s13, exec_lo
	s_wait_loadcnt 0x0
	v_cmpx_lt_i16_e32 0x7f, v1
	s_xor_b32 s13, exec_lo, s13
	s_cbranch_execz .LBB71_1469
; %bb.1449:
	s_mov_b32 s12, -1
	s_mov_b32 s14, exec_lo
	v_cmpx_eq_u16_e32 0x80, v1
; %bb.1450:
	s_xor_b32 s12, exec_lo, -1
; %bb.1451:
	s_or_b32 exec_lo, exec_lo, s14
	s_delay_alu instid0(SALU_CYCLE_1)
	s_and_b32 s12, s12, exec_lo
	s_or_saveexec_b32 s13, s13
	v_mov_b64_e32 v[12:13], 0x7ff8000020000000
	s_xor_b32 exec_lo, exec_lo, s13
	s_cbranch_execnz .LBB71_1470
.LBB71_1452:
	s_or_b32 exec_lo, exec_lo, s13
	s_and_saveexec_b32 s13, s12
	s_cbranch_execz .LBB71_1454
.LBB71_1453:
	v_and_b32_e32 v3, 0xffff, v1
	s_delay_alu instid0(VALU_DEP_1) | instskip(SKIP_1) | instid1(VALU_DEP_2)
	v_dual_lshlrev_b32 v1, 24, v1 :: v_dual_bitop2_b32 v5, 7, v3 bitop3:0x40
	v_bfe_u32 v13, v3, 3, 4
	v_and_b32_e32 v1, 0x80000000, v1
	s_delay_alu instid0(VALU_DEP_3) | instskip(NEXT) | instid1(VALU_DEP_3)
	v_clz_i32_u32_e32 v7, v5
	v_cmp_eq_u32_e32 vcc_lo, 0, v13
	s_delay_alu instid0(VALU_DEP_2) | instskip(NEXT) | instid1(VALU_DEP_1)
	v_min_u32_e32 v7, 32, v7
	v_subrev_nc_u32_e32 v12, 28, v7
	v_sub_nc_u32_e32 v7, 29, v7
	s_delay_alu instid0(VALU_DEP_2) | instskip(NEXT) | instid1(VALU_DEP_2)
	v_lshlrev_b32_e32 v3, v12, v3
	v_cndmask_b32_e32 v7, v13, v7, vcc_lo
	s_delay_alu instid0(VALU_DEP_2) | instskip(NEXT) | instid1(VALU_DEP_1)
	v_and_b32_e32 v3, 7, v3
	v_cndmask_b32_e32 v3, v5, v3, vcc_lo
	s_delay_alu instid0(VALU_DEP_3) | instskip(NEXT) | instid1(VALU_DEP_2)
	v_lshl_add_u32 v5, v7, 23, 0x3b800000
	v_lshlrev_b32_e32 v3, 20, v3
	s_delay_alu instid0(VALU_DEP_1) | instskip(NEXT) | instid1(VALU_DEP_1)
	v_or3_b32 v1, v1, v5, v3
	v_cvt_f64_f32_e32 v[12:13], v1
.LBB71_1454:
	s_or_b32 exec_lo, exec_lo, s13
.LBB71_1455:
	s_mov_b32 s12, -1
.LBB71_1456:
	s_mov_b32 s13, 0
.LBB71_1457:
	s_delay_alu instid0(SALU_CYCLE_1)
	s_and_b32 vcc_lo, exec_lo, s13
	s_cbranch_vccz .LBB71_1490
; %bb.1458:
	s_cmp_gt_i32 s0, 22
	s_cbranch_scc0 .LBB71_1468
; %bb.1459:
	s_cmp_lt_i32 s0, 24
	s_cbranch_scc1 .LBB71_1471
; %bb.1460:
	s_cmp_gt_i32 s0, 24
	s_cbranch_scc0 .LBB71_1472
; %bb.1461:
	global_load_u8 v1, v[16:17], off
	s_mov_b32 s12, exec_lo
	s_wait_loadcnt 0x0
	v_cmpx_lt_i16_e32 0x7f, v1
	s_xor_b32 s12, exec_lo, s12
	s_cbranch_execz .LBB71_1484
; %bb.1462:
	s_mov_b32 s11, -1
	s_mov_b32 s13, exec_lo
	v_cmpx_eq_u16_e32 0x80, v1
; %bb.1463:
	s_xor_b32 s11, exec_lo, -1
; %bb.1464:
	s_or_b32 exec_lo, exec_lo, s13
	s_delay_alu instid0(SALU_CYCLE_1)
	s_and_b32 s11, s11, exec_lo
	s_or_saveexec_b32 s12, s12
	v_mov_b64_e32 v[12:13], 0x7ff8000020000000
	s_xor_b32 exec_lo, exec_lo, s12
	s_cbranch_execnz .LBB71_1485
.LBB71_1465:
	s_or_b32 exec_lo, exec_lo, s12
	s_and_saveexec_b32 s12, s11
	s_cbranch_execz .LBB71_1467
.LBB71_1466:
	v_and_b32_e32 v3, 0xffff, v1
	s_delay_alu instid0(VALU_DEP_1) | instskip(SKIP_1) | instid1(VALU_DEP_2)
	v_dual_lshlrev_b32 v1, 24, v1 :: v_dual_bitop2_b32 v5, 3, v3 bitop3:0x40
	v_bfe_u32 v13, v3, 2, 5
	v_and_b32_e32 v1, 0x80000000, v1
	s_delay_alu instid0(VALU_DEP_3) | instskip(NEXT) | instid1(VALU_DEP_3)
	v_clz_i32_u32_e32 v7, v5
	v_cmp_eq_u32_e32 vcc_lo, 0, v13
	s_delay_alu instid0(VALU_DEP_2) | instskip(NEXT) | instid1(VALU_DEP_1)
	v_min_u32_e32 v7, 32, v7
	v_subrev_nc_u32_e32 v12, 29, v7
	v_sub_nc_u32_e32 v7, 30, v7
	s_delay_alu instid0(VALU_DEP_2) | instskip(NEXT) | instid1(VALU_DEP_2)
	v_lshlrev_b32_e32 v3, v12, v3
	v_cndmask_b32_e32 v7, v13, v7, vcc_lo
	s_delay_alu instid0(VALU_DEP_2) | instskip(NEXT) | instid1(VALU_DEP_1)
	v_and_b32_e32 v3, 3, v3
	v_cndmask_b32_e32 v3, v5, v3, vcc_lo
	s_delay_alu instid0(VALU_DEP_3) | instskip(NEXT) | instid1(VALU_DEP_2)
	v_lshl_add_u32 v5, v7, 23, 0x37800000
	v_lshlrev_b32_e32 v3, 21, v3
	s_delay_alu instid0(VALU_DEP_1) | instskip(NEXT) | instid1(VALU_DEP_1)
	v_or3_b32 v1, v1, v5, v3
	v_cvt_f64_f32_e32 v[12:13], v1
.LBB71_1467:
	s_or_b32 exec_lo, exec_lo, s12
	s_mov_b32 s11, 0
	s_branch .LBB71_1473
.LBB71_1468:
	s_mov_b32 s11, -1
                                        ; implicit-def: $vgpr12_vgpr13
	s_branch .LBB71_1479
.LBB71_1469:
	s_or_saveexec_b32 s13, s13
	v_mov_b64_e32 v[12:13], 0x7ff8000020000000
	s_xor_b32 exec_lo, exec_lo, s13
	s_cbranch_execz .LBB71_1452
.LBB71_1470:
	v_cmp_ne_u16_e32 vcc_lo, 0, v1
	v_mov_b64_e32 v[12:13], 0
	s_and_not1_b32 s12, s12, exec_lo
	s_and_b32 s14, vcc_lo, exec_lo
	s_delay_alu instid0(SALU_CYCLE_1)
	s_or_b32 s12, s12, s14
	s_or_b32 exec_lo, exec_lo, s13
	s_and_saveexec_b32 s13, s12
	s_cbranch_execnz .LBB71_1453
	s_branch .LBB71_1454
.LBB71_1471:
	s_mov_b32 s11, -1
                                        ; implicit-def: $vgpr12_vgpr13
	s_branch .LBB71_1476
.LBB71_1472:
	s_mov_b32 s11, -1
                                        ; implicit-def: $vgpr12_vgpr13
.LBB71_1473:
	s_delay_alu instid0(SALU_CYCLE_1)
	s_and_b32 vcc_lo, exec_lo, s11
	s_cbranch_vccz .LBB71_1475
; %bb.1474:
	global_load_u8 v1, v[16:17], off
	s_wait_loadcnt 0x0
	v_lshlrev_b32_e32 v1, 24, v1
	s_delay_alu instid0(VALU_DEP_1) | instskip(NEXT) | instid1(VALU_DEP_1)
	v_and_b32_e32 v3, 0x7f000000, v1
	v_clz_i32_u32_e32 v5, v3
	v_cmp_ne_u32_e32 vcc_lo, 0, v3
	v_add_nc_u32_e32 v12, 0x1000000, v3
	s_delay_alu instid0(VALU_DEP_3) | instskip(NEXT) | instid1(VALU_DEP_1)
	v_min_u32_e32 v5, 32, v5
	v_sub_nc_u32_e64 v5, v5, 4 clamp
	s_delay_alu instid0(VALU_DEP_1) | instskip(NEXT) | instid1(VALU_DEP_1)
	v_dual_lshlrev_b32 v7, v5, v3 :: v_dual_lshlrev_b32 v5, 23, v5
	v_lshrrev_b32_e32 v7, 4, v7
	s_delay_alu instid0(VALU_DEP_1) | instskip(NEXT) | instid1(VALU_DEP_1)
	v_dual_sub_nc_u32 v5, v7, v5 :: v_dual_ashrrev_i32 v7, 8, v12
	v_add_nc_u32_e32 v5, 0x3c000000, v5
	s_delay_alu instid0(VALU_DEP_1) | instskip(NEXT) | instid1(VALU_DEP_1)
	v_and_or_b32 v5, 0x7f800000, v7, v5
	v_cndmask_b32_e32 v3, 0, v5, vcc_lo
	s_delay_alu instid0(VALU_DEP_1) | instskip(NEXT) | instid1(VALU_DEP_1)
	v_and_or_b32 v1, 0x80000000, v1, v3
	v_cvt_f64_f32_e32 v[12:13], v1
.LBB71_1475:
	s_mov_b32 s11, 0
.LBB71_1476:
	s_delay_alu instid0(SALU_CYCLE_1)
	s_and_not1_b32 vcc_lo, exec_lo, s11
	s_cbranch_vccnz .LBB71_1478
; %bb.1477:
	global_load_u8 v1, v[16:17], off
	s_wait_loadcnt 0x0
	v_lshlrev_b32_e32 v3, 25, v1
	v_lshlrev_b16 v1, 8, v1
	s_delay_alu instid0(VALU_DEP_1) | instskip(SKIP_1) | instid1(VALU_DEP_2)
	v_and_or_b32 v7, 0x7f00, v1, 0.5
	v_bfe_i32 v1, v1, 0, 16
	v_add_f32_e32 v7, -0.5, v7
	v_lshrrev_b32_e32 v5, 4, v3
	v_cmp_gt_u32_e32 vcc_lo, 0x8000000, v3
	s_delay_alu instid0(VALU_DEP_2) | instskip(NEXT) | instid1(VALU_DEP_1)
	v_or_b32_e32 v5, 0x70000000, v5
	v_mul_f32_e32 v5, 0x7800000, v5
	s_delay_alu instid0(VALU_DEP_1) | instskip(NEXT) | instid1(VALU_DEP_1)
	v_cndmask_b32_e32 v3, v5, v7, vcc_lo
	v_and_or_b32 v1, 0x80000000, v1, v3
	s_delay_alu instid0(VALU_DEP_1)
	v_cvt_f64_f32_e32 v[12:13], v1
.LBB71_1478:
	s_mov_b32 s11, 0
	s_mov_b32 s12, -1
.LBB71_1479:
	s_and_not1_b32 vcc_lo, exec_lo, s11
	s_mov_b32 s11, 0
	s_cbranch_vccnz .LBB71_1490
; %bb.1480:
	s_cmp_gt_i32 s0, 14
	s_cbranch_scc0 .LBB71_1483
; %bb.1481:
	s_cmp_eq_u32 s0, 15
	s_cbranch_scc0 .LBB71_1486
; %bb.1482:
	global_load_u16 v1, v[16:17], off
	s_mov_b32 s1, 0
	s_mov_b32 s12, -1
	s_wait_loadcnt 0x0
	v_lshlrev_b32_e32 v1, 16, v1
	s_delay_alu instid0(VALU_DEP_1)
	v_cvt_f64_f32_e32 v[12:13], v1
	s_branch .LBB71_1488
.LBB71_1483:
	s_mov_b32 s11, -1
	s_branch .LBB71_1487
.LBB71_1484:
	s_or_saveexec_b32 s12, s12
	v_mov_b64_e32 v[12:13], 0x7ff8000020000000
	s_xor_b32 exec_lo, exec_lo, s12
	s_cbranch_execz .LBB71_1465
.LBB71_1485:
	v_cmp_ne_u16_e32 vcc_lo, 0, v1
	v_mov_b64_e32 v[12:13], 0
	s_and_not1_b32 s11, s11, exec_lo
	s_and_b32 s13, vcc_lo, exec_lo
	s_delay_alu instid0(SALU_CYCLE_1)
	s_or_b32 s11, s11, s13
	s_or_b32 exec_lo, exec_lo, s12
	s_and_saveexec_b32 s12, s11
	s_cbranch_execnz .LBB71_1466
	s_branch .LBB71_1467
.LBB71_1486:
	s_mov_b32 s1, -1
.LBB71_1487:
                                        ; implicit-def: $vgpr12_vgpr13
.LBB71_1488:
	s_and_b32 vcc_lo, exec_lo, s11
	s_mov_b32 s11, 0
	s_cbranch_vccz .LBB71_1490
; %bb.1489:
	s_cmp_lg_u32 s0, 11
	s_mov_b32 s11, -1
	s_cselect_b32 s1, -1, 0
.LBB71_1490:
	s_delay_alu instid0(SALU_CYCLE_1)
	s_and_b32 vcc_lo, exec_lo, s1
	s_cbranch_vccnz .LBB71_1553
; %bb.1491:
	s_and_not1_b32 vcc_lo, exec_lo, s11
	s_cbranch_vccnz .LBB71_1493
.LBB71_1492:
	global_load_u8 v1, v[16:17], off
	v_mov_b32_e32 v12, 0
	s_mov_b32 s12, -1
	s_wait_loadcnt 0x0
	v_cmp_ne_u16_e32 vcc_lo, 0, v1
	v_cndmask_b32_e64 v13, 0, 0x3ff00000, vcc_lo
.LBB71_1493:
	s_branch .LBB71_1420
.LBB71_1494:
	s_cmp_lt_i32 s0, 5
	s_cbranch_scc1 .LBB71_1499
; %bb.1495:
	s_cmp_lt_i32 s0, 8
	s_cbranch_scc1 .LBB71_1500
; %bb.1496:
	;; [unrolled: 3-line block ×3, first 2 shown]
	s_cmp_gt_i32 s0, 9
	s_cbranch_scc0 .LBB71_1502
; %bb.1498:
	global_load_b64 v[12:13], v[16:17], off
	s_mov_b32 s1, 0
	s_branch .LBB71_1503
.LBB71_1499:
	s_mov_b32 s1, -1
                                        ; implicit-def: $vgpr12_vgpr13
	s_branch .LBB71_1521
.LBB71_1500:
	s_mov_b32 s1, -1
                                        ; implicit-def: $vgpr12_vgpr13
	s_branch .LBB71_1509
.LBB71_1501:
	s_mov_b32 s1, -1
                                        ; implicit-def: $vgpr12_vgpr13
	s_branch .LBB71_1506
.LBB71_1502:
	s_mov_b32 s1, -1
                                        ; implicit-def: $vgpr12_vgpr13
.LBB71_1503:
	s_delay_alu instid0(SALU_CYCLE_1)
	s_and_not1_b32 vcc_lo, exec_lo, s1
	s_cbranch_vccnz .LBB71_1505
; %bb.1504:
	global_load_b32 v1, v[16:17], off
	s_wait_loadcnt 0x0
	v_cvt_f64_f32_e32 v[12:13], v1
.LBB71_1505:
	s_mov_b32 s1, 0
.LBB71_1506:
	s_delay_alu instid0(SALU_CYCLE_1)
	s_and_not1_b32 vcc_lo, exec_lo, s1
	s_cbranch_vccnz .LBB71_1508
; %bb.1507:
	global_load_b32 v1, v[16:17], off
	s_wait_loadcnt 0x0
	v_cvt_f32_f16_e32 v1, v1
	s_delay_alu instid0(VALU_DEP_1)
	v_cvt_f64_f32_e32 v[12:13], v1
.LBB71_1508:
	s_mov_b32 s1, 0
.LBB71_1509:
	s_delay_alu instid0(SALU_CYCLE_1)
	s_and_not1_b32 vcc_lo, exec_lo, s1
	s_cbranch_vccnz .LBB71_1520
; %bb.1510:
	s_cmp_lt_i32 s0, 6
	s_cbranch_scc1 .LBB71_1513
; %bb.1511:
	s_cmp_gt_i32 s0, 6
	s_cbranch_scc0 .LBB71_1514
; %bb.1512:
	s_wait_loadcnt 0x0
	global_load_b64 v[12:13], v[16:17], off
	s_mov_b32 s1, 0
	s_branch .LBB71_1515
.LBB71_1513:
	s_mov_b32 s1, -1
                                        ; implicit-def: $vgpr12_vgpr13
	s_branch .LBB71_1518
.LBB71_1514:
	s_mov_b32 s1, -1
                                        ; implicit-def: $vgpr12_vgpr13
.LBB71_1515:
	s_delay_alu instid0(SALU_CYCLE_1)
	s_and_not1_b32 vcc_lo, exec_lo, s1
	s_cbranch_vccnz .LBB71_1517
; %bb.1516:
	global_load_b32 v1, v[16:17], off
	s_wait_loadcnt 0x0
	v_cvt_f64_f32_e32 v[12:13], v1
.LBB71_1517:
	s_mov_b32 s1, 0
.LBB71_1518:
	s_delay_alu instid0(SALU_CYCLE_1)
	s_and_not1_b32 vcc_lo, exec_lo, s1
	s_cbranch_vccnz .LBB71_1520
; %bb.1519:
	global_load_u16 v1, v[16:17], off
	s_wait_loadcnt 0x0
	v_cvt_f32_f16_e32 v1, v1
	s_delay_alu instid0(VALU_DEP_1)
	v_cvt_f64_f32_e32 v[12:13], v1
.LBB71_1520:
	s_mov_b32 s1, 0
.LBB71_1521:
	s_delay_alu instid0(SALU_CYCLE_1)
	s_and_not1_b32 vcc_lo, exec_lo, s1
	s_cbranch_vccnz .LBB71_1541
; %bb.1522:
	s_cmp_lt_i32 s0, 2
	s_cbranch_scc1 .LBB71_1526
; %bb.1523:
	s_cmp_lt_i32 s0, 3
	s_cbranch_scc1 .LBB71_1527
; %bb.1524:
	s_cmp_gt_i32 s0, 3
	s_cbranch_scc0 .LBB71_1528
; %bb.1525:
	s_wait_loadcnt 0x0
	global_load_b64 v[12:13], v[16:17], off
	s_mov_b32 s1, 0
	s_wait_loadcnt 0x0
	v_cvt_f64_i32_e32 v[18:19], v13
	v_cvt_f64_u32_e32 v[12:13], v12
	s_delay_alu instid0(VALU_DEP_2) | instskip(NEXT) | instid1(VALU_DEP_1)
	v_ldexp_f64 v[18:19], v[18:19], 32
	v_add_f64_e32 v[12:13], v[18:19], v[12:13]
	s_branch .LBB71_1529
.LBB71_1526:
	s_mov_b32 s1, -1
                                        ; implicit-def: $vgpr12_vgpr13
	s_branch .LBB71_1535
.LBB71_1527:
	s_mov_b32 s1, -1
                                        ; implicit-def: $vgpr12_vgpr13
	s_branch .LBB71_1532
.LBB71_1528:
	s_mov_b32 s1, -1
                                        ; implicit-def: $vgpr12_vgpr13
.LBB71_1529:
	s_delay_alu instid0(SALU_CYCLE_1)
	s_and_not1_b32 vcc_lo, exec_lo, s1
	s_cbranch_vccnz .LBB71_1531
; %bb.1530:
	global_load_b32 v1, v[16:17], off
	s_wait_loadcnt 0x0
	v_cvt_f64_i32_e32 v[12:13], v1
.LBB71_1531:
	s_mov_b32 s1, 0
.LBB71_1532:
	s_delay_alu instid0(SALU_CYCLE_1)
	s_and_not1_b32 vcc_lo, exec_lo, s1
	s_cbranch_vccnz .LBB71_1534
; %bb.1533:
	global_load_i16 v1, v[16:17], off
	s_wait_loadcnt 0x0
	v_cvt_f64_i32_e32 v[12:13], v1
.LBB71_1534:
	s_mov_b32 s1, 0
.LBB71_1535:
	s_delay_alu instid0(SALU_CYCLE_1)
	s_and_not1_b32 vcc_lo, exec_lo, s1
	s_cbranch_vccnz .LBB71_1541
; %bb.1536:
	s_cmp_gt_i32 s0, 0
	s_mov_b32 s1, 0
	s_cbranch_scc0 .LBB71_1538
; %bb.1537:
	global_load_i8 v1, v[16:17], off
	s_wait_loadcnt 0x0
	v_cvt_f64_i32_e32 v[12:13], v1
	s_branch .LBB71_1539
.LBB71_1538:
	s_mov_b32 s1, -1
                                        ; implicit-def: $vgpr12_vgpr13
.LBB71_1539:
	s_delay_alu instid0(SALU_CYCLE_1)
	s_and_not1_b32 vcc_lo, exec_lo, s1
	s_cbranch_vccnz .LBB71_1541
; %bb.1540:
	global_load_u8 v1, v[16:17], off
	s_wait_loadcnt 0x0
	v_cvt_f64_u32_e32 v[12:13], v1
.LBB71_1541:
.LBB71_1542:
	v_mov_b32_e32 v15, 0
	s_cmp_lt_i32 s0, 11
	s_wait_xcnt 0x0
	s_delay_alu instid0(VALU_DEP_1)
	v_add_nc_u64_e32 v[16:17], s[6:7], v[14:15]
	s_cbranch_scc1 .LBB71_1549
; %bb.1543:
	s_cmp_gt_i32 s0, 25
	s_mov_b32 s6, 0
	s_cbranch_scc0 .LBB71_1550
; %bb.1544:
	s_cmp_gt_i32 s0, 28
	s_cbranch_scc0 .LBB71_1551
; %bb.1545:
	s_cmp_gt_i32 s0, 43
	;; [unrolled: 3-line block ×3, first 2 shown]
	s_cbranch_scc0 .LBB71_1554
; %bb.1547:
	s_cmp_eq_u32 s0, 46
	s_mov_b32 s11, 0
	s_cbranch_scc0 .LBB71_1555
; %bb.1548:
	global_load_b32 v1, v[16:17], off
	s_mov_b32 s1, 0
	s_mov_b32 s7, -1
	s_wait_loadcnt 0x0
	v_lshlrev_b32_e32 v1, 16, v1
	s_delay_alu instid0(VALU_DEP_1)
	v_cvt_f64_f32_e32 v[14:15], v1
	s_branch .LBB71_1557
.LBB71_1549:
	s_mov_b32 s1, -1
	s_mov_b32 s7, 0
                                        ; implicit-def: $vgpr14_vgpr15
	s_branch .LBB71_1623
.LBB71_1550:
	s_mov_b32 s11, -1
	s_mov_b32 s7, 0
	s_mov_b32 s1, 0
                                        ; implicit-def: $vgpr14_vgpr15
	s_branch .LBB71_1586
.LBB71_1551:
	s_mov_b32 s11, -1
	s_mov_b32 s7, 0
	s_mov_b32 s1, 0
                                        ; implicit-def: $vgpr14_vgpr15
	s_branch .LBB71_1567
.LBB71_1552:
	s_mov_b32 s11, -1
	s_mov_b32 s7, 0
	s_mov_b32 s1, 0
                                        ; implicit-def: $vgpr14_vgpr15
	s_branch .LBB71_1562
.LBB71_1553:
	s_or_b32 s10, s10, exec_lo
	s_trap 2
	s_cbranch_execz .LBB71_1492
	s_branch .LBB71_1493
.LBB71_1554:
	s_mov_b32 s11, -1
	s_mov_b32 s7, 0
	s_mov_b32 s1, 0
	s_branch .LBB71_1556
.LBB71_1555:
	s_mov_b32 s1, -1
	s_mov_b32 s7, 0
.LBB71_1556:
                                        ; implicit-def: $vgpr14_vgpr15
.LBB71_1557:
	s_and_b32 vcc_lo, exec_lo, s11
	s_cbranch_vccz .LBB71_1561
; %bb.1558:
	s_cmp_eq_u32 s0, 44
	s_cbranch_scc0 .LBB71_1560
; %bb.1559:
	global_load_u8 v1, v[16:17], off
	s_mov_b32 s1, 0
	s_mov_b32 s7, -1
	s_wait_loadcnt 0x0
	v_lshlrev_b32_e32 v3, 23, v1
	v_cmp_ne_u32_e32 vcc_lo, 0xff, v1
	s_delay_alu instid0(VALU_DEP_2) | instskip(NEXT) | instid1(VALU_DEP_1)
	v_cvt_f64_f32_e32 v[14:15], v3
	v_cndmask_b32_e32 v3, 0x20000000, v14, vcc_lo
	s_delay_alu instid0(VALU_DEP_2) | instskip(SKIP_1) | instid1(VALU_DEP_2)
	v_cndmask_b32_e32 v5, 0x7ff80000, v15, vcc_lo
	v_cmp_ne_u32_e32 vcc_lo, 0, v1
	v_cndmask_b32_e32 v15, 0x38000000, v5, vcc_lo
	s_delay_alu instid0(VALU_DEP_4)
	v_cndmask_b32_e32 v14, 0, v3, vcc_lo
	s_branch .LBB71_1561
.LBB71_1560:
	s_mov_b32 s1, -1
                                        ; implicit-def: $vgpr14_vgpr15
.LBB71_1561:
	s_mov_b32 s11, 0
.LBB71_1562:
	s_delay_alu instid0(SALU_CYCLE_1)
	s_and_b32 vcc_lo, exec_lo, s11
	s_cbranch_vccz .LBB71_1566
; %bb.1563:
	s_cmp_eq_u32 s0, 29
	s_cbranch_scc0 .LBB71_1565
; %bb.1564:
	global_load_b64 v[14:15], v[16:17], off
	s_mov_b32 s1, 0
	s_mov_b32 s7, -1
	s_mov_b32 s11, 0
	s_wait_loadcnt 0x0
	v_cvt_f64_u32_e32 v[18:19], v15
	v_cvt_f64_u32_e32 v[14:15], v14
	s_delay_alu instid0(VALU_DEP_2) | instskip(NEXT) | instid1(VALU_DEP_1)
	v_ldexp_f64 v[18:19], v[18:19], 32
	v_add_f64_e32 v[14:15], v[18:19], v[14:15]
	s_branch .LBB71_1567
.LBB71_1565:
	s_mov_b32 s1, -1
                                        ; implicit-def: $vgpr14_vgpr15
.LBB71_1566:
	s_mov_b32 s11, 0
.LBB71_1567:
	s_delay_alu instid0(SALU_CYCLE_1)
	s_and_b32 vcc_lo, exec_lo, s11
	s_cbranch_vccz .LBB71_1585
; %bb.1568:
	s_cmp_lt_i32 s0, 27
	s_cbranch_scc1 .LBB71_1571
; %bb.1569:
	s_cmp_gt_i32 s0, 27
	s_cbranch_scc0 .LBB71_1572
; %bb.1570:
	global_load_b32 v1, v[16:17], off
	s_mov_b32 s7, 0
	s_wait_loadcnt 0x0
	v_cvt_f64_u32_e32 v[14:15], v1
	s_branch .LBB71_1573
.LBB71_1571:
	s_mov_b32 s7, -1
                                        ; implicit-def: $vgpr14_vgpr15
	s_branch .LBB71_1576
.LBB71_1572:
	s_mov_b32 s7, -1
                                        ; implicit-def: $vgpr14_vgpr15
.LBB71_1573:
	s_delay_alu instid0(SALU_CYCLE_1)
	s_and_not1_b32 vcc_lo, exec_lo, s7
	s_cbranch_vccnz .LBB71_1575
; %bb.1574:
	global_load_u16 v1, v[16:17], off
	s_wait_loadcnt 0x0
	v_cvt_f64_u32_e32 v[14:15], v1
.LBB71_1575:
	s_mov_b32 s7, 0
.LBB71_1576:
	s_delay_alu instid0(SALU_CYCLE_1)
	s_and_not1_b32 vcc_lo, exec_lo, s7
	s_cbranch_vccnz .LBB71_1584
; %bb.1577:
	global_load_u8 v1, v[16:17], off
	s_mov_b32 s7, 0
	s_mov_b32 s11, exec_lo
	s_wait_loadcnt 0x0
	v_cmpx_lt_i16_e32 0x7f, v1
	s_xor_b32 s11, exec_lo, s11
	s_cbranch_execz .LBB71_1598
; %bb.1578:
	s_mov_b32 s7, -1
	s_mov_b32 s12, exec_lo
	v_cmpx_eq_u16_e32 0x80, v1
; %bb.1579:
	s_xor_b32 s7, exec_lo, -1
; %bb.1580:
	s_or_b32 exec_lo, exec_lo, s12
	s_delay_alu instid0(SALU_CYCLE_1)
	s_and_b32 s7, s7, exec_lo
	s_or_saveexec_b32 s11, s11
	v_mov_b64_e32 v[14:15], 0x7ff8000020000000
	s_xor_b32 exec_lo, exec_lo, s11
	s_cbranch_execnz .LBB71_1599
.LBB71_1581:
	s_or_b32 exec_lo, exec_lo, s11
	s_and_saveexec_b32 s11, s7
	s_cbranch_execz .LBB71_1583
.LBB71_1582:
	v_and_b32_e32 v3, 0xffff, v1
	s_delay_alu instid0(VALU_DEP_1) | instskip(SKIP_1) | instid1(VALU_DEP_2)
	v_dual_lshlrev_b32 v1, 24, v1 :: v_dual_bitop2_b32 v5, 7, v3 bitop3:0x40
	v_bfe_u32 v15, v3, 3, 4
	v_and_b32_e32 v1, 0x80000000, v1
	s_delay_alu instid0(VALU_DEP_3) | instskip(NEXT) | instid1(VALU_DEP_3)
	v_clz_i32_u32_e32 v7, v5
	v_cmp_eq_u32_e32 vcc_lo, 0, v15
	s_delay_alu instid0(VALU_DEP_2) | instskip(NEXT) | instid1(VALU_DEP_1)
	v_min_u32_e32 v7, 32, v7
	v_subrev_nc_u32_e32 v14, 28, v7
	v_sub_nc_u32_e32 v7, 29, v7
	s_delay_alu instid0(VALU_DEP_2) | instskip(NEXT) | instid1(VALU_DEP_2)
	v_lshlrev_b32_e32 v3, v14, v3
	v_cndmask_b32_e32 v7, v15, v7, vcc_lo
	s_delay_alu instid0(VALU_DEP_2) | instskip(NEXT) | instid1(VALU_DEP_1)
	v_and_b32_e32 v3, 7, v3
	v_cndmask_b32_e32 v3, v5, v3, vcc_lo
	s_delay_alu instid0(VALU_DEP_3) | instskip(NEXT) | instid1(VALU_DEP_2)
	v_lshl_add_u32 v5, v7, 23, 0x3b800000
	v_lshlrev_b32_e32 v3, 20, v3
	s_delay_alu instid0(VALU_DEP_1) | instskip(NEXT) | instid1(VALU_DEP_1)
	v_or3_b32 v1, v1, v5, v3
	v_cvt_f64_f32_e32 v[14:15], v1
.LBB71_1583:
	s_or_b32 exec_lo, exec_lo, s11
.LBB71_1584:
	s_mov_b32 s7, -1
.LBB71_1585:
	s_mov_b32 s11, 0
.LBB71_1586:
	s_delay_alu instid0(SALU_CYCLE_1)
	s_and_b32 vcc_lo, exec_lo, s11
	s_cbranch_vccz .LBB71_1619
; %bb.1587:
	s_cmp_gt_i32 s0, 22
	s_cbranch_scc0 .LBB71_1597
; %bb.1588:
	s_cmp_lt_i32 s0, 24
	s_cbranch_scc1 .LBB71_1600
; %bb.1589:
	s_cmp_gt_i32 s0, 24
	s_cbranch_scc0 .LBB71_1601
; %bb.1590:
	global_load_u8 v1, v[16:17], off
	s_mov_b32 s7, exec_lo
	s_wait_loadcnt 0x0
	v_cmpx_lt_i16_e32 0x7f, v1
	s_xor_b32 s7, exec_lo, s7
	s_cbranch_execz .LBB71_1613
; %bb.1591:
	s_mov_b32 s6, -1
	s_mov_b32 s11, exec_lo
	v_cmpx_eq_u16_e32 0x80, v1
; %bb.1592:
	s_xor_b32 s6, exec_lo, -1
; %bb.1593:
	s_or_b32 exec_lo, exec_lo, s11
	s_delay_alu instid0(SALU_CYCLE_1)
	s_and_b32 s6, s6, exec_lo
	s_or_saveexec_b32 s7, s7
	v_mov_b64_e32 v[14:15], 0x7ff8000020000000
	s_xor_b32 exec_lo, exec_lo, s7
	s_cbranch_execnz .LBB71_1614
.LBB71_1594:
	s_or_b32 exec_lo, exec_lo, s7
	s_and_saveexec_b32 s7, s6
	s_cbranch_execz .LBB71_1596
.LBB71_1595:
	v_and_b32_e32 v3, 0xffff, v1
	s_delay_alu instid0(VALU_DEP_1) | instskip(SKIP_1) | instid1(VALU_DEP_2)
	v_dual_lshlrev_b32 v1, 24, v1 :: v_dual_bitop2_b32 v5, 3, v3 bitop3:0x40
	v_bfe_u32 v15, v3, 2, 5
	v_and_b32_e32 v1, 0x80000000, v1
	s_delay_alu instid0(VALU_DEP_3) | instskip(NEXT) | instid1(VALU_DEP_3)
	v_clz_i32_u32_e32 v7, v5
	v_cmp_eq_u32_e32 vcc_lo, 0, v15
	s_delay_alu instid0(VALU_DEP_2) | instskip(NEXT) | instid1(VALU_DEP_1)
	v_min_u32_e32 v7, 32, v7
	v_subrev_nc_u32_e32 v14, 29, v7
	v_sub_nc_u32_e32 v7, 30, v7
	s_delay_alu instid0(VALU_DEP_2) | instskip(NEXT) | instid1(VALU_DEP_2)
	v_lshlrev_b32_e32 v3, v14, v3
	v_cndmask_b32_e32 v7, v15, v7, vcc_lo
	s_delay_alu instid0(VALU_DEP_2) | instskip(NEXT) | instid1(VALU_DEP_1)
	v_and_b32_e32 v3, 3, v3
	v_cndmask_b32_e32 v3, v5, v3, vcc_lo
	s_delay_alu instid0(VALU_DEP_3) | instskip(NEXT) | instid1(VALU_DEP_2)
	v_lshl_add_u32 v5, v7, 23, 0x37800000
	v_lshlrev_b32_e32 v3, 21, v3
	s_delay_alu instid0(VALU_DEP_1) | instskip(NEXT) | instid1(VALU_DEP_1)
	v_or3_b32 v1, v1, v5, v3
	v_cvt_f64_f32_e32 v[14:15], v1
.LBB71_1596:
	s_or_b32 exec_lo, exec_lo, s7
	s_mov_b32 s6, 0
	s_branch .LBB71_1602
.LBB71_1597:
	s_mov_b32 s6, -1
                                        ; implicit-def: $vgpr14_vgpr15
	s_branch .LBB71_1608
.LBB71_1598:
	s_or_saveexec_b32 s11, s11
	v_mov_b64_e32 v[14:15], 0x7ff8000020000000
	s_xor_b32 exec_lo, exec_lo, s11
	s_cbranch_execz .LBB71_1581
.LBB71_1599:
	v_cmp_ne_u16_e32 vcc_lo, 0, v1
	v_mov_b64_e32 v[14:15], 0
	s_and_not1_b32 s7, s7, exec_lo
	s_and_b32 s12, vcc_lo, exec_lo
	s_delay_alu instid0(SALU_CYCLE_1)
	s_or_b32 s7, s7, s12
	s_or_b32 exec_lo, exec_lo, s11
	s_and_saveexec_b32 s11, s7
	s_cbranch_execnz .LBB71_1582
	s_branch .LBB71_1583
.LBB71_1600:
	s_mov_b32 s6, -1
                                        ; implicit-def: $vgpr14_vgpr15
	s_branch .LBB71_1605
.LBB71_1601:
	s_mov_b32 s6, -1
                                        ; implicit-def: $vgpr14_vgpr15
.LBB71_1602:
	s_delay_alu instid0(SALU_CYCLE_1)
	s_and_b32 vcc_lo, exec_lo, s6
	s_cbranch_vccz .LBB71_1604
; %bb.1603:
	global_load_u8 v1, v[16:17], off
	s_wait_loadcnt 0x0
	v_lshlrev_b32_e32 v1, 24, v1
	s_delay_alu instid0(VALU_DEP_1) | instskip(NEXT) | instid1(VALU_DEP_1)
	v_and_b32_e32 v3, 0x7f000000, v1
	v_clz_i32_u32_e32 v5, v3
	v_cmp_ne_u32_e32 vcc_lo, 0, v3
	v_add_nc_u32_e32 v14, 0x1000000, v3
	s_delay_alu instid0(VALU_DEP_3) | instskip(NEXT) | instid1(VALU_DEP_1)
	v_min_u32_e32 v5, 32, v5
	v_sub_nc_u32_e64 v5, v5, 4 clamp
	s_delay_alu instid0(VALU_DEP_1) | instskip(NEXT) | instid1(VALU_DEP_1)
	v_dual_lshlrev_b32 v7, v5, v3 :: v_dual_lshlrev_b32 v5, 23, v5
	v_lshrrev_b32_e32 v7, 4, v7
	s_delay_alu instid0(VALU_DEP_1) | instskip(NEXT) | instid1(VALU_DEP_1)
	v_dual_sub_nc_u32 v5, v7, v5 :: v_dual_ashrrev_i32 v7, 8, v14
	v_add_nc_u32_e32 v5, 0x3c000000, v5
	s_delay_alu instid0(VALU_DEP_1) | instskip(NEXT) | instid1(VALU_DEP_1)
	v_and_or_b32 v5, 0x7f800000, v7, v5
	v_cndmask_b32_e32 v3, 0, v5, vcc_lo
	s_delay_alu instid0(VALU_DEP_1) | instskip(NEXT) | instid1(VALU_DEP_1)
	v_and_or_b32 v1, 0x80000000, v1, v3
	v_cvt_f64_f32_e32 v[14:15], v1
.LBB71_1604:
	s_mov_b32 s6, 0
.LBB71_1605:
	s_delay_alu instid0(SALU_CYCLE_1)
	s_and_not1_b32 vcc_lo, exec_lo, s6
	s_cbranch_vccnz .LBB71_1607
; %bb.1606:
	global_load_u8 v1, v[16:17], off
	s_wait_loadcnt 0x0
	v_lshlrev_b32_e32 v3, 25, v1
	v_lshlrev_b16 v1, 8, v1
	s_delay_alu instid0(VALU_DEP_1) | instskip(SKIP_1) | instid1(VALU_DEP_2)
	v_and_or_b32 v7, 0x7f00, v1, 0.5
	v_bfe_i32 v1, v1, 0, 16
	v_add_f32_e32 v7, -0.5, v7
	v_lshrrev_b32_e32 v5, 4, v3
	v_cmp_gt_u32_e32 vcc_lo, 0x8000000, v3
	s_delay_alu instid0(VALU_DEP_2) | instskip(NEXT) | instid1(VALU_DEP_1)
	v_or_b32_e32 v5, 0x70000000, v5
	v_mul_f32_e32 v5, 0x7800000, v5
	s_delay_alu instid0(VALU_DEP_1) | instskip(NEXT) | instid1(VALU_DEP_1)
	v_cndmask_b32_e32 v3, v5, v7, vcc_lo
	v_and_or_b32 v1, 0x80000000, v1, v3
	s_delay_alu instid0(VALU_DEP_1)
	v_cvt_f64_f32_e32 v[14:15], v1
.LBB71_1607:
	s_mov_b32 s6, 0
	s_mov_b32 s7, -1
.LBB71_1608:
	s_and_not1_b32 vcc_lo, exec_lo, s6
	s_mov_b32 s6, 0
	s_cbranch_vccnz .LBB71_1619
; %bb.1609:
	s_cmp_gt_i32 s0, 14
	s_cbranch_scc0 .LBB71_1612
; %bb.1610:
	s_cmp_eq_u32 s0, 15
	s_cbranch_scc0 .LBB71_1615
; %bb.1611:
	global_load_u16 v1, v[16:17], off
	s_mov_b32 s1, 0
	s_mov_b32 s7, -1
	s_wait_loadcnt 0x0
	v_lshlrev_b32_e32 v1, 16, v1
	s_delay_alu instid0(VALU_DEP_1)
	v_cvt_f64_f32_e32 v[14:15], v1
	s_branch .LBB71_1617
.LBB71_1612:
	s_mov_b32 s6, -1
	s_branch .LBB71_1616
.LBB71_1613:
	s_or_saveexec_b32 s7, s7
	v_mov_b64_e32 v[14:15], 0x7ff8000020000000
	s_xor_b32 exec_lo, exec_lo, s7
	s_cbranch_execz .LBB71_1594
.LBB71_1614:
	v_cmp_ne_u16_e32 vcc_lo, 0, v1
	v_mov_b64_e32 v[14:15], 0
	s_and_not1_b32 s6, s6, exec_lo
	s_and_b32 s11, vcc_lo, exec_lo
	s_delay_alu instid0(SALU_CYCLE_1)
	s_or_b32 s6, s6, s11
	s_or_b32 exec_lo, exec_lo, s7
	s_and_saveexec_b32 s7, s6
	s_cbranch_execnz .LBB71_1595
	s_branch .LBB71_1596
.LBB71_1615:
	s_mov_b32 s1, -1
.LBB71_1616:
                                        ; implicit-def: $vgpr14_vgpr15
.LBB71_1617:
	s_and_b32 vcc_lo, exec_lo, s6
	s_mov_b32 s6, 0
	s_cbranch_vccz .LBB71_1619
; %bb.1618:
	s_cmp_lg_u32 s0, 11
	s_mov_b32 s6, -1
	s_cselect_b32 s1, -1, 0
.LBB71_1619:
	s_delay_alu instid0(SALU_CYCLE_1)
	s_and_b32 vcc_lo, exec_lo, s1
	s_cbranch_vccnz .LBB71_2152
; %bb.1620:
	s_and_not1_b32 vcc_lo, exec_lo, s6
	s_cbranch_vccnz .LBB71_1622
.LBB71_1621:
	global_load_u8 v1, v[16:17], off
	v_mov_b32_e32 v14, 0
	s_mov_b32 s7, -1
	s_wait_loadcnt 0x0
	v_cmp_ne_u16_e32 vcc_lo, 0, v1
	v_cndmask_b32_e64 v15, 0, 0x3ff00000, vcc_lo
.LBB71_1622:
	s_mov_b32 s1, 0
.LBB71_1623:
	s_delay_alu instid0(SALU_CYCLE_1)
	s_and_b32 vcc_lo, exec_lo, s1
	s_cbranch_vccz .LBB71_1672
; %bb.1624:
	s_cmp_lt_i32 s0, 5
	s_cbranch_scc1 .LBB71_1629
; %bb.1625:
	s_cmp_lt_i32 s0, 8
	s_cbranch_scc1 .LBB71_1630
	;; [unrolled: 3-line block ×3, first 2 shown]
; %bb.1627:
	s_cmp_gt_i32 s0, 9
	s_cbranch_scc0 .LBB71_1632
; %bb.1628:
	global_load_b64 v[14:15], v[16:17], off
	s_mov_b32 s1, 0
	s_branch .LBB71_1633
.LBB71_1629:
	s_mov_b32 s1, -1
                                        ; implicit-def: $vgpr14_vgpr15
	s_branch .LBB71_1651
.LBB71_1630:
	s_mov_b32 s1, -1
                                        ; implicit-def: $vgpr14_vgpr15
	s_branch .LBB71_1639
.LBB71_1631:
	s_mov_b32 s1, -1
                                        ; implicit-def: $vgpr14_vgpr15
	s_branch .LBB71_1636
.LBB71_1632:
	s_mov_b32 s1, -1
                                        ; implicit-def: $vgpr14_vgpr15
.LBB71_1633:
	s_delay_alu instid0(SALU_CYCLE_1)
	s_and_not1_b32 vcc_lo, exec_lo, s1
	s_cbranch_vccnz .LBB71_1635
; %bb.1634:
	global_load_b32 v1, v[16:17], off
	s_wait_loadcnt 0x0
	v_cvt_f64_f32_e32 v[14:15], v1
.LBB71_1635:
	s_mov_b32 s1, 0
.LBB71_1636:
	s_delay_alu instid0(SALU_CYCLE_1)
	s_and_not1_b32 vcc_lo, exec_lo, s1
	s_cbranch_vccnz .LBB71_1638
; %bb.1637:
	global_load_b32 v1, v[16:17], off
	s_wait_loadcnt 0x0
	v_cvt_f32_f16_e32 v1, v1
	s_delay_alu instid0(VALU_DEP_1)
	v_cvt_f64_f32_e32 v[14:15], v1
.LBB71_1638:
	s_mov_b32 s1, 0
.LBB71_1639:
	s_delay_alu instid0(SALU_CYCLE_1)
	s_and_not1_b32 vcc_lo, exec_lo, s1
	s_cbranch_vccnz .LBB71_1650
; %bb.1640:
	s_cmp_lt_i32 s0, 6
	s_cbranch_scc1 .LBB71_1643
; %bb.1641:
	s_cmp_gt_i32 s0, 6
	s_cbranch_scc0 .LBB71_1644
; %bb.1642:
	s_wait_loadcnt 0x0
	global_load_b64 v[14:15], v[16:17], off
	s_mov_b32 s1, 0
	s_branch .LBB71_1645
.LBB71_1643:
	s_mov_b32 s1, -1
                                        ; implicit-def: $vgpr14_vgpr15
	s_branch .LBB71_1648
.LBB71_1644:
	s_mov_b32 s1, -1
                                        ; implicit-def: $vgpr14_vgpr15
.LBB71_1645:
	s_delay_alu instid0(SALU_CYCLE_1)
	s_and_not1_b32 vcc_lo, exec_lo, s1
	s_cbranch_vccnz .LBB71_1647
; %bb.1646:
	global_load_b32 v1, v[16:17], off
	s_wait_loadcnt 0x0
	v_cvt_f64_f32_e32 v[14:15], v1
.LBB71_1647:
	s_mov_b32 s1, 0
.LBB71_1648:
	s_delay_alu instid0(SALU_CYCLE_1)
	s_and_not1_b32 vcc_lo, exec_lo, s1
	s_cbranch_vccnz .LBB71_1650
; %bb.1649:
	global_load_u16 v1, v[16:17], off
	s_wait_loadcnt 0x0
	v_cvt_f32_f16_e32 v1, v1
	s_delay_alu instid0(VALU_DEP_1)
	v_cvt_f64_f32_e32 v[14:15], v1
.LBB71_1650:
	s_mov_b32 s1, 0
.LBB71_1651:
	s_delay_alu instid0(SALU_CYCLE_1)
	s_and_not1_b32 vcc_lo, exec_lo, s1
	s_cbranch_vccnz .LBB71_1671
; %bb.1652:
	s_cmp_lt_i32 s0, 2
	s_cbranch_scc1 .LBB71_1656
; %bb.1653:
	s_cmp_lt_i32 s0, 3
	s_cbranch_scc1 .LBB71_1657
; %bb.1654:
	s_cmp_gt_i32 s0, 3
	s_cbranch_scc0 .LBB71_1658
; %bb.1655:
	s_wait_loadcnt 0x0
	global_load_b64 v[14:15], v[16:17], off
	s_mov_b32 s1, 0
	s_wait_loadcnt 0x0
	v_cvt_f64_i32_e32 v[18:19], v15
	v_cvt_f64_u32_e32 v[14:15], v14
	s_delay_alu instid0(VALU_DEP_2) | instskip(NEXT) | instid1(VALU_DEP_1)
	v_ldexp_f64 v[18:19], v[18:19], 32
	v_add_f64_e32 v[14:15], v[18:19], v[14:15]
	s_branch .LBB71_1659
.LBB71_1656:
	s_mov_b32 s1, -1
                                        ; implicit-def: $vgpr14_vgpr15
	s_branch .LBB71_1665
.LBB71_1657:
	s_mov_b32 s1, -1
                                        ; implicit-def: $vgpr14_vgpr15
	s_branch .LBB71_1662
.LBB71_1658:
	s_mov_b32 s1, -1
                                        ; implicit-def: $vgpr14_vgpr15
.LBB71_1659:
	s_delay_alu instid0(SALU_CYCLE_1)
	s_and_not1_b32 vcc_lo, exec_lo, s1
	s_cbranch_vccnz .LBB71_1661
; %bb.1660:
	global_load_b32 v1, v[16:17], off
	s_wait_loadcnt 0x0
	v_cvt_f64_i32_e32 v[14:15], v1
.LBB71_1661:
	s_mov_b32 s1, 0
.LBB71_1662:
	s_delay_alu instid0(SALU_CYCLE_1)
	s_and_not1_b32 vcc_lo, exec_lo, s1
	s_cbranch_vccnz .LBB71_1664
; %bb.1663:
	global_load_i16 v1, v[16:17], off
	s_wait_loadcnt 0x0
	v_cvt_f64_i32_e32 v[14:15], v1
.LBB71_1664:
	s_mov_b32 s1, 0
.LBB71_1665:
	s_delay_alu instid0(SALU_CYCLE_1)
	s_and_not1_b32 vcc_lo, exec_lo, s1
	s_cbranch_vccnz .LBB71_1671
; %bb.1666:
	s_cmp_gt_i32 s0, 0
	s_mov_b32 s0, 0
	s_cbranch_scc0 .LBB71_1668
; %bb.1667:
	global_load_i8 v1, v[16:17], off
	s_wait_loadcnt 0x0
	v_cvt_f64_i32_e32 v[14:15], v1
	s_branch .LBB71_1669
.LBB71_1668:
	s_mov_b32 s0, -1
                                        ; implicit-def: $vgpr14_vgpr15
.LBB71_1669:
	s_delay_alu instid0(SALU_CYCLE_1)
	s_and_not1_b32 vcc_lo, exec_lo, s0
	s_cbranch_vccnz .LBB71_1671
; %bb.1670:
	global_load_u8 v1, v[16:17], off
	s_wait_loadcnt 0x0
	v_cvt_f64_u32_e32 v[14:15], v1
.LBB71_1671:
	s_mov_b32 s7, -1
.LBB71_1672:
	s_delay_alu instid0(SALU_CYCLE_1)
	s_and_not1_b32 vcc_lo, exec_lo, s7
	s_cbranch_vccnz .LBB71_2106
; %bb.1673:
	v_mov_b32_e32 v7, 0
	s_wait_loadcnt 0x0
	v_cmp_eq_f64_e64 s0, 0xfff00000, v[8:9]
	global_load_u8 v1, v7, s[2:3] offset:345
	s_wait_xcnt 0x0
	v_add_nc_u64_e32 v[6:7], s[4:5], v[6:7]
	s_wait_loadcnt 0x0
	v_and_b32_e32 v3, 0xffff, v1
	v_readfirstlane_b32 s6, v1
	s_delay_alu instid0(VALU_DEP_2)
	v_cmp_gt_i32_e32 vcc_lo, 11, v3
	s_cbranch_vccnz .LBB71_1751
; %bb.1674:
	s_and_b32 s2, 0xffff, s6
	s_mov_b32 s11, -1
	s_mov_b32 s3, 0
	s_cmp_gt_i32 s2, 25
	s_mov_b32 s7, 0
	s_mov_b32 s1, 0
	s_cbranch_scc0 .LBB71_1707
; %bb.1675:
	s_cmp_gt_i32 s2, 28
	s_cbranch_scc0 .LBB71_1690
; %bb.1676:
	s_cmp_gt_i32 s2, 43
	;; [unrolled: 3-line block ×3, first 2 shown]
	s_cbranch_scc0 .LBB71_1680
; %bb.1678:
	s_mov_b32 s1, -1
	s_mov_b32 s11, 0
	s_cmp_eq_u32 s2, 46
	s_cbranch_scc0 .LBB71_1680
; %bb.1679:
	v_cndmask_b32_e64 v1, 0, 1.0, s0
	s_mov_b32 s1, 0
	s_mov_b32 s7, -1
	s_delay_alu instid0(VALU_DEP_1) | instskip(NEXT) | instid1(VALU_DEP_1)
	v_bfe_u32 v3, v1, 16, 1
	v_add3_u32 v1, v1, v3, 0x7fff
	s_delay_alu instid0(VALU_DEP_1)
	v_lshrrev_b32_e32 v1, 16, v1
	global_store_b32 v[6:7], v1, off
.LBB71_1680:
	s_and_b32 vcc_lo, exec_lo, s11
	s_cbranch_vccz .LBB71_1685
; %bb.1681:
	s_cmp_eq_u32 s2, 44
	s_mov_b32 s1, -1
	s_cbranch_scc0 .LBB71_1685
; %bb.1682:
	v_cndmask_b32_e64 v5, 0, 1.0, s0
	v_mov_b32_e32 v3, 0xff
	s_mov_b32 s7, exec_lo
	s_wait_xcnt 0x0
	s_delay_alu instid0(VALU_DEP_2) | instskip(NEXT) | instid1(VALU_DEP_1)
	v_lshrrev_b32_e32 v1, 23, v5
	v_cmpx_ne_u32_e32 0xff, v1
; %bb.1683:
	v_and_b32_e32 v3, 0x400000, v5
	v_and_or_b32 v5, 0x3fffff, v5, v1
	s_delay_alu instid0(VALU_DEP_2) | instskip(NEXT) | instid1(VALU_DEP_2)
	v_cmp_ne_u32_e32 vcc_lo, 0, v3
	v_cmp_ne_u32_e64 s1, 0, v5
	s_and_b32 s1, vcc_lo, s1
	s_delay_alu instid0(SALU_CYCLE_1) | instskip(NEXT) | instid1(VALU_DEP_1)
	v_cndmask_b32_e64 v3, 0, 1, s1
	v_add_nc_u32_e32 v3, v1, v3
; %bb.1684:
	s_or_b32 exec_lo, exec_lo, s7
	s_mov_b32 s1, 0
	s_mov_b32 s7, -1
	global_store_b8 v[6:7], v3, off
.LBB71_1685:
	s_mov_b32 s11, 0
.LBB71_1686:
	s_delay_alu instid0(SALU_CYCLE_1)
	s_and_b32 vcc_lo, exec_lo, s11
	s_cbranch_vccz .LBB71_1689
; %bb.1687:
	s_cmp_eq_u32 s2, 29
	s_mov_b32 s1, -1
	s_cbranch_scc0 .LBB71_1689
; %bb.1688:
	s_mov_b32 s1, 0
	v_cndmask_b32_e64 v8, 0, 1, s0
	v_mov_b32_e32 v9, s1
	s_mov_b32 s7, -1
	global_store_b64 v[6:7], v[8:9], off
.LBB71_1689:
	s_mov_b32 s11, 0
.LBB71_1690:
	s_delay_alu instid0(SALU_CYCLE_1)
	s_and_b32 vcc_lo, exec_lo, s11
	s_cbranch_vccz .LBB71_1706
; %bb.1691:
	s_cmp_lt_i32 s2, 27
	s_mov_b32 s7, -1
	s_cbranch_scc1 .LBB71_1697
; %bb.1692:
	s_cmp_gt_i32 s2, 27
	s_cbranch_scc0 .LBB71_1694
; %bb.1693:
	s_wait_xcnt 0x0
	v_cndmask_b32_e64 v1, 0, 1, s0
	s_mov_b32 s7, 0
	global_store_b32 v[6:7], v1, off
.LBB71_1694:
	s_and_not1_b32 vcc_lo, exec_lo, s7
	s_cbranch_vccnz .LBB71_1696
; %bb.1695:
	s_wait_xcnt 0x0
	v_cndmask_b32_e64 v1, 0, 1, s0
	global_store_b16 v[6:7], v1, off
.LBB71_1696:
	s_mov_b32 s7, 0
.LBB71_1697:
	s_delay_alu instid0(SALU_CYCLE_1)
	s_and_not1_b32 vcc_lo, exec_lo, s7
	s_cbranch_vccnz .LBB71_1705
; %bb.1698:
	s_wait_xcnt 0x0
	v_cndmask_b32_e64 v3, 0, 1.0, s0
	v_mov_b32_e32 v5, 0x80
	s_mov_b32 s7, exec_lo
	s_delay_alu instid0(VALU_DEP_2)
	v_cmpx_gt_u32_e32 0x43800000, v3
	s_cbranch_execz .LBB71_1704
; %bb.1699:
	s_mov_b32 s11, 0
	s_mov_b32 s12, exec_lo
                                        ; implicit-def: $vgpr1
	v_cmpx_lt_u32_e32 0x3bffffff, v3
	s_xor_b32 s12, exec_lo, s12
	s_cbranch_execz .LBB71_2153
; %bb.1700:
	v_bfe_u32 v1, v3, 20, 1
	s_mov_b32 s11, exec_lo
	s_delay_alu instid0(VALU_DEP_1) | instskip(NEXT) | instid1(VALU_DEP_1)
	v_add3_u32 v1, v3, v1, 0x487ffff
                                        ; implicit-def: $vgpr3
	v_lshrrev_b32_e32 v1, 20, v1
	s_and_not1_saveexec_b32 s12, s12
	s_cbranch_execnz .LBB71_2154
.LBB71_1701:
	s_or_b32 exec_lo, exec_lo, s12
	v_mov_b32_e32 v5, 0
	s_and_saveexec_b32 s12, s11
.LBB71_1702:
	v_mov_b32_e32 v5, v1
.LBB71_1703:
	s_or_b32 exec_lo, exec_lo, s12
.LBB71_1704:
	s_delay_alu instid0(SALU_CYCLE_1)
	s_or_b32 exec_lo, exec_lo, s7
	global_store_b8 v[6:7], v5, off
.LBB71_1705:
	s_mov_b32 s7, -1
.LBB71_1706:
	s_mov_b32 s11, 0
.LBB71_1707:
	s_delay_alu instid0(SALU_CYCLE_1)
	s_and_b32 vcc_lo, exec_lo, s11
	s_cbranch_vccz .LBB71_1747
; %bb.1708:
	s_cmp_gt_i32 s2, 22
	s_mov_b32 s3, -1
	s_cbranch_scc0 .LBB71_1740
; %bb.1709:
	s_cmp_lt_i32 s2, 24
	s_cbranch_scc1 .LBB71_1729
; %bb.1710:
	s_cmp_gt_i32 s2, 24
	s_cbranch_scc0 .LBB71_1718
; %bb.1711:
	s_wait_xcnt 0x0
	v_cndmask_b32_e64 v3, 0, 1.0, s0
	v_mov_b32_e32 v5, 0x80
	s_mov_b32 s3, exec_lo
	s_delay_alu instid0(VALU_DEP_2)
	v_cmpx_gt_u32_e32 0x47800000, v3
	s_cbranch_execz .LBB71_1717
; %bb.1712:
	s_mov_b32 s7, 0
	s_mov_b32 s11, exec_lo
                                        ; implicit-def: $vgpr1
	v_cmpx_lt_u32_e32 0x37ffffff, v3
	s_xor_b32 s11, exec_lo, s11
	s_cbranch_execz .LBB71_2156
; %bb.1713:
	v_bfe_u32 v1, v3, 21, 1
	s_mov_b32 s7, exec_lo
	s_delay_alu instid0(VALU_DEP_1) | instskip(NEXT) | instid1(VALU_DEP_1)
	v_add3_u32 v1, v3, v1, 0x88fffff
                                        ; implicit-def: $vgpr3
	v_lshrrev_b32_e32 v1, 21, v1
	s_and_not1_saveexec_b32 s11, s11
	s_cbranch_execnz .LBB71_2157
.LBB71_1714:
	s_or_b32 exec_lo, exec_lo, s11
	v_mov_b32_e32 v5, 0
	s_and_saveexec_b32 s11, s7
.LBB71_1715:
	v_mov_b32_e32 v5, v1
.LBB71_1716:
	s_or_b32 exec_lo, exec_lo, s11
.LBB71_1717:
	s_delay_alu instid0(SALU_CYCLE_1)
	s_or_b32 exec_lo, exec_lo, s3
	s_mov_b32 s3, 0
	global_store_b8 v[6:7], v5, off
.LBB71_1718:
	s_and_b32 vcc_lo, exec_lo, s3
	s_cbranch_vccz .LBB71_1728
; %bb.1719:
	s_wait_xcnt 0x0
	v_cndmask_b32_e64 v3, 0, 1.0, s0
	s_mov_b32 s3, exec_lo
                                        ; implicit-def: $vgpr1
	s_delay_alu instid0(VALU_DEP_1)
	v_cmpx_gt_u32_e32 0x43f00000, v3
	s_xor_b32 s3, exec_lo, s3
	s_cbranch_execz .LBB71_1725
; %bb.1720:
	s_mov_b32 s7, exec_lo
                                        ; implicit-def: $vgpr1
	v_cmpx_lt_u32_e32 0x3c7fffff, v3
	s_xor_b32 s7, exec_lo, s7
; %bb.1721:
	v_bfe_u32 v1, v3, 20, 1
	s_delay_alu instid0(VALU_DEP_1) | instskip(NEXT) | instid1(VALU_DEP_1)
	v_add3_u32 v1, v3, v1, 0x407ffff
	v_and_b32_e32 v3, 0xff00000, v1
	v_lshrrev_b32_e32 v1, 20, v1
	s_delay_alu instid0(VALU_DEP_2) | instskip(NEXT) | instid1(VALU_DEP_2)
	v_cmp_ne_u32_e32 vcc_lo, 0x7f00000, v3
                                        ; implicit-def: $vgpr3
	v_cndmask_b32_e32 v1, 0x7e, v1, vcc_lo
; %bb.1722:
	s_and_not1_saveexec_b32 s7, s7
; %bb.1723:
	v_add_f32_e32 v1, 0x46800000, v3
; %bb.1724:
	s_or_b32 exec_lo, exec_lo, s7
                                        ; implicit-def: $vgpr3
.LBB71_1725:
	s_and_not1_saveexec_b32 s3, s3
; %bb.1726:
	v_mov_b32_e32 v1, 0x7f
	v_cmp_lt_u32_e32 vcc_lo, 0x7f800000, v3
	s_delay_alu instid0(VALU_DEP_2)
	v_cndmask_b32_e32 v1, 0x7e, v1, vcc_lo
; %bb.1727:
	s_or_b32 exec_lo, exec_lo, s3
	global_store_b8 v[6:7], v1, off
.LBB71_1728:
	s_mov_b32 s3, 0
.LBB71_1729:
	s_delay_alu instid0(SALU_CYCLE_1)
	s_and_not1_b32 vcc_lo, exec_lo, s3
	s_cbranch_vccnz .LBB71_1739
; %bb.1730:
	s_wait_xcnt 0x0
	v_cndmask_b32_e64 v3, 0, 1.0, s0
	s_mov_b32 s3, exec_lo
                                        ; implicit-def: $vgpr1
	s_delay_alu instid0(VALU_DEP_1)
	v_cmpx_gt_u32_e32 0x47800000, v3
	s_xor_b32 s3, exec_lo, s3
	s_cbranch_execz .LBB71_1736
; %bb.1731:
	s_mov_b32 s7, exec_lo
                                        ; implicit-def: $vgpr1
	v_cmpx_lt_u32_e32 0x387fffff, v3
	s_xor_b32 s7, exec_lo, s7
; %bb.1732:
	v_bfe_u32 v1, v3, 21, 1
	s_delay_alu instid0(VALU_DEP_1) | instskip(NEXT) | instid1(VALU_DEP_1)
	v_add3_u32 v1, v3, v1, 0x80fffff
                                        ; implicit-def: $vgpr3
	v_lshrrev_b32_e32 v1, 21, v1
; %bb.1733:
	s_and_not1_saveexec_b32 s7, s7
; %bb.1734:
	v_add_f32_e32 v1, 0x43000000, v3
; %bb.1735:
	s_or_b32 exec_lo, exec_lo, s7
                                        ; implicit-def: $vgpr3
.LBB71_1736:
	s_and_not1_saveexec_b32 s3, s3
; %bb.1737:
	v_mov_b32_e32 v1, 0x7f
	v_cmp_lt_u32_e32 vcc_lo, 0x7f800000, v3
	s_delay_alu instid0(VALU_DEP_2)
	v_cndmask_b32_e32 v1, 0x7c, v1, vcc_lo
; %bb.1738:
	s_or_b32 exec_lo, exec_lo, s3
	global_store_b8 v[6:7], v1, off
.LBB71_1739:
	s_mov_b32 s3, 0
	s_mov_b32 s7, -1
.LBB71_1740:
	s_and_not1_b32 vcc_lo, exec_lo, s3
	s_mov_b32 s3, 0
	s_cbranch_vccnz .LBB71_1747
; %bb.1741:
	s_cmp_gt_i32 s2, 14
	s_mov_b32 s3, -1
	s_cbranch_scc0 .LBB71_1745
; %bb.1742:
	s_cmp_eq_u32 s2, 15
	s_mov_b32 s1, -1
	s_cbranch_scc0 .LBB71_1744
; %bb.1743:
	s_wait_xcnt 0x0
	v_cndmask_b32_e64 v1, 0, 1.0, s0
	s_mov_b32 s1, 0
	s_mov_b32 s7, -1
	s_delay_alu instid0(VALU_DEP_1) | instskip(NEXT) | instid1(VALU_DEP_1)
	v_bfe_u32 v3, v1, 16, 1
	v_add3_u32 v1, v1, v3, 0x7fff
	global_store_d16_hi_b16 v[6:7], v1, off
.LBB71_1744:
	s_mov_b32 s3, 0
.LBB71_1745:
	s_delay_alu instid0(SALU_CYCLE_1)
	s_and_b32 vcc_lo, exec_lo, s3
	s_mov_b32 s3, 0
	s_cbranch_vccz .LBB71_1747
; %bb.1746:
	s_cmp_lg_u32 s2, 11
	s_mov_b32 s3, -1
	s_cselect_b32 s1, -1, 0
.LBB71_1747:
	s_delay_alu instid0(SALU_CYCLE_1)
	s_and_b32 vcc_lo, exec_lo, s1
	s_cbranch_vccnz .LBB71_2155
; %bb.1748:
	s_and_not1_b32 vcc_lo, exec_lo, s3
	s_cbranch_vccnz .LBB71_1750
.LBB71_1749:
	s_wait_xcnt 0x0
	v_cndmask_b32_e64 v1, 0, 1, s0
	s_mov_b32 s7, -1
	global_store_b8 v[6:7], v1, off
.LBB71_1750:
	s_mov_b32 s1, 0
	s_branch .LBB71_1752
.LBB71_1751:
	s_mov_b32 s1, -1
	s_mov_b32 s7, 0
.LBB71_1752:
	s_and_b32 vcc_lo, exec_lo, s1
	s_cbranch_vccz .LBB71_1791
; %bb.1753:
	s_and_b32 s1, 0xffff, s6
	s_mov_b32 s2, -1
	s_cmp_lt_i32 s1, 5
	s_cbranch_scc1 .LBB71_1774
; %bb.1754:
	s_cmp_lt_i32 s1, 8
	s_cbranch_scc1 .LBB71_1764
; %bb.1755:
	;; [unrolled: 3-line block ×3, first 2 shown]
	s_cmp_gt_i32 s1, 9
	s_cbranch_scc0 .LBB71_1758
; %bb.1757:
	s_wait_xcnt 0x0
	v_cndmask_b32_e64 v1, 0, 1, s0
	v_mov_b32_e32 v18, 0
	s_mov_b32 s2, 0
	s_delay_alu instid0(VALU_DEP_2) | instskip(NEXT) | instid1(VALU_DEP_2)
	v_cvt_f64_u32_e32 v[16:17], v1
	v_mov_b32_e32 v19, v18
	global_store_b128 v[6:7], v[16:19], off
.LBB71_1758:
	s_and_not1_b32 vcc_lo, exec_lo, s2
	s_cbranch_vccnz .LBB71_1760
; %bb.1759:
	s_wait_xcnt 0x0
	v_cndmask_b32_e64 v8, 0, 1.0, s0
	v_mov_b32_e32 v9, 0
	global_store_b64 v[6:7], v[8:9], off
.LBB71_1760:
	s_mov_b32 s2, 0
.LBB71_1761:
	s_delay_alu instid0(SALU_CYCLE_1)
	s_and_not1_b32 vcc_lo, exec_lo, s2
	s_cbranch_vccnz .LBB71_1763
; %bb.1762:
	s_wait_xcnt 0x0
	v_cndmask_b32_e64 v1, 0, 1.0, s0
	s_delay_alu instid0(VALU_DEP_1) | instskip(NEXT) | instid1(VALU_DEP_1)
	v_cvt_f16_f32_e32 v1, v1
	v_and_b32_e32 v1, 0xffff, v1
	global_store_b32 v[6:7], v1, off
.LBB71_1763:
	s_mov_b32 s2, 0
.LBB71_1764:
	s_delay_alu instid0(SALU_CYCLE_1)
	s_and_not1_b32 vcc_lo, exec_lo, s2
	s_cbranch_vccnz .LBB71_1773
; %bb.1765:
	s_cmp_lt_i32 s1, 6
	s_mov_b32 s2, -1
	s_cbranch_scc1 .LBB71_1771
; %bb.1766:
	s_cmp_gt_i32 s1, 6
	s_cbranch_scc0 .LBB71_1768
; %bb.1767:
	s_wait_xcnt 0x0
	v_cndmask_b32_e64 v1, 0, 1, s0
	s_mov_b32 s2, 0
	s_delay_alu instid0(VALU_DEP_1)
	v_cvt_f64_u32_e32 v[8:9], v1
	global_store_b64 v[6:7], v[8:9], off
.LBB71_1768:
	s_and_not1_b32 vcc_lo, exec_lo, s2
	s_cbranch_vccnz .LBB71_1770
; %bb.1769:
	s_wait_xcnt 0x0
	v_cndmask_b32_e64 v1, 0, 1.0, s0
	global_store_b32 v[6:7], v1, off
.LBB71_1770:
	s_mov_b32 s2, 0
.LBB71_1771:
	s_delay_alu instid0(SALU_CYCLE_1)
	s_and_not1_b32 vcc_lo, exec_lo, s2
	s_cbranch_vccnz .LBB71_1773
; %bb.1772:
	s_wait_xcnt 0x0
	v_cndmask_b32_e64 v1, 0, 1.0, s0
	s_delay_alu instid0(VALU_DEP_1)
	v_cvt_f16_f32_e32 v1, v1
	global_store_b16 v[6:7], v1, off
.LBB71_1773:
	s_mov_b32 s2, 0
.LBB71_1774:
	s_delay_alu instid0(SALU_CYCLE_1)
	s_and_not1_b32 vcc_lo, exec_lo, s2
	s_cbranch_vccnz .LBB71_1790
; %bb.1775:
	s_cmp_lt_i32 s1, 2
	s_mov_b32 s2, -1
	s_cbranch_scc1 .LBB71_1785
; %bb.1776:
	s_cmp_lt_i32 s1, 3
	s_cbranch_scc1 .LBB71_1782
; %bb.1777:
	s_cmp_gt_i32 s1, 3
	s_cbranch_scc0 .LBB71_1779
; %bb.1778:
	s_mov_b32 s2, 0
	s_wait_xcnt 0x0
	v_cndmask_b32_e64 v8, 0, 1, s0
	v_mov_b32_e32 v9, s2
	global_store_b64 v[6:7], v[8:9], off
.LBB71_1779:
	s_and_not1_b32 vcc_lo, exec_lo, s2
	s_cbranch_vccnz .LBB71_1781
; %bb.1780:
	s_wait_xcnt 0x0
	v_cndmask_b32_e64 v1, 0, 1, s0
	global_store_b32 v[6:7], v1, off
.LBB71_1781:
	s_mov_b32 s2, 0
.LBB71_1782:
	s_delay_alu instid0(SALU_CYCLE_1)
	s_and_not1_b32 vcc_lo, exec_lo, s2
	s_cbranch_vccnz .LBB71_1784
; %bb.1783:
	s_wait_xcnt 0x0
	v_cndmask_b32_e64 v1, 0, 1, s0
	global_store_b16 v[6:7], v1, off
.LBB71_1784:
	s_mov_b32 s2, 0
.LBB71_1785:
	s_delay_alu instid0(SALU_CYCLE_1)
	s_and_not1_b32 vcc_lo, exec_lo, s2
	s_cbranch_vccnz .LBB71_1790
; %bb.1786:
	s_wait_xcnt 0x0
	v_cndmask_b32_e64 v1, 0, 1, s0
	s_cmp_gt_i32 s1, 0
	s_mov_b32 s0, -1
	s_cbranch_scc0 .LBB71_1788
; %bb.1787:
	s_mov_b32 s0, 0
	global_store_b8 v[6:7], v1, off
.LBB71_1788:
	s_and_not1_b32 vcc_lo, exec_lo, s0
	s_cbranch_vccnz .LBB71_1790
; %bb.1789:
	global_store_b8 v[6:7], v1, off
.LBB71_1790:
	s_mov_b32 s7, -1
.LBB71_1791:
	s_delay_alu instid0(SALU_CYCLE_1)
	s_and_not1_b32 vcc_lo, exec_lo, s7
	s_cbranch_vccnz .LBB71_2106
; %bb.1792:
	v_cmp_eq_f64_e64 s0, 0xfff00000, v[10:11]
	s_wait_xcnt 0x0
	v_mov_b32_e32 v5, 0
	s_and_b32 s2, 0xffff, s6
	s_delay_alu instid0(SALU_CYCLE_1) | instskip(NEXT) | instid1(VALU_DEP_1)
	s_cmp_lt_i32 s2, 11
	v_add_nc_u64_e32 v[4:5], s[4:5], v[4:5]
	s_cbranch_scc1 .LBB71_1870
; %bb.1793:
	s_mov_b32 s11, -1
	s_mov_b32 s3, 0
	s_cmp_gt_i32 s2, 25
	s_mov_b32 s7, 0
	s_mov_b32 s1, 0
	s_cbranch_scc0 .LBB71_1826
; %bb.1794:
	s_cmp_gt_i32 s2, 28
	s_cbranch_scc0 .LBB71_1809
; %bb.1795:
	s_cmp_gt_i32 s2, 43
	;; [unrolled: 3-line block ×3, first 2 shown]
	s_cbranch_scc0 .LBB71_1799
; %bb.1797:
	s_mov_b32 s1, -1
	s_mov_b32 s11, 0
	s_cmp_eq_u32 s2, 46
	s_cbranch_scc0 .LBB71_1799
; %bb.1798:
	v_cndmask_b32_e64 v1, 0, 1.0, s0
	s_mov_b32 s1, 0
	s_mov_b32 s7, -1
	s_delay_alu instid0(VALU_DEP_1) | instskip(NEXT) | instid1(VALU_DEP_1)
	v_bfe_u32 v3, v1, 16, 1
	v_add3_u32 v1, v1, v3, 0x7fff
	s_delay_alu instid0(VALU_DEP_1)
	v_lshrrev_b32_e32 v1, 16, v1
	global_store_b32 v[4:5], v1, off
.LBB71_1799:
	s_and_b32 vcc_lo, exec_lo, s11
	s_cbranch_vccz .LBB71_1804
; %bb.1800:
	s_cmp_eq_u32 s2, 44
	s_mov_b32 s1, -1
	s_cbranch_scc0 .LBB71_1804
; %bb.1801:
	v_cndmask_b32_e64 v6, 0, 1.0, s0
	v_mov_b32_e32 v3, 0xff
	s_mov_b32 s7, exec_lo
	s_wait_xcnt 0x0
	s_delay_alu instid0(VALU_DEP_2) | instskip(NEXT) | instid1(VALU_DEP_1)
	v_lshrrev_b32_e32 v1, 23, v6
	v_cmpx_ne_u32_e32 0xff, v1
; %bb.1802:
	v_and_b32_e32 v3, 0x400000, v6
	v_and_or_b32 v6, 0x3fffff, v6, v1
	s_delay_alu instid0(VALU_DEP_2) | instskip(NEXT) | instid1(VALU_DEP_2)
	v_cmp_ne_u32_e32 vcc_lo, 0, v3
	v_cmp_ne_u32_e64 s1, 0, v6
	s_and_b32 s1, vcc_lo, s1
	s_delay_alu instid0(SALU_CYCLE_1) | instskip(NEXT) | instid1(VALU_DEP_1)
	v_cndmask_b32_e64 v3, 0, 1, s1
	v_add_nc_u32_e32 v3, v1, v3
; %bb.1803:
	s_or_b32 exec_lo, exec_lo, s7
	s_mov_b32 s1, 0
	s_mov_b32 s7, -1
	global_store_b8 v[4:5], v3, off
.LBB71_1804:
	s_mov_b32 s11, 0
.LBB71_1805:
	s_delay_alu instid0(SALU_CYCLE_1)
	s_and_b32 vcc_lo, exec_lo, s11
	s_cbranch_vccz .LBB71_1808
; %bb.1806:
	s_cmp_eq_u32 s2, 29
	s_mov_b32 s1, -1
	s_cbranch_scc0 .LBB71_1808
; %bb.1807:
	s_mov_b32 s1, 0
	v_cndmask_b32_e64 v6, 0, 1, s0
	v_mov_b32_e32 v7, s1
	s_mov_b32 s7, -1
	global_store_b64 v[4:5], v[6:7], off
.LBB71_1808:
	s_mov_b32 s11, 0
.LBB71_1809:
	s_delay_alu instid0(SALU_CYCLE_1)
	s_and_b32 vcc_lo, exec_lo, s11
	s_cbranch_vccz .LBB71_1825
; %bb.1810:
	s_cmp_lt_i32 s2, 27
	s_mov_b32 s7, -1
	s_cbranch_scc1 .LBB71_1816
; %bb.1811:
	s_cmp_gt_i32 s2, 27
	s_cbranch_scc0 .LBB71_1813
; %bb.1812:
	s_wait_xcnt 0x0
	v_cndmask_b32_e64 v1, 0, 1, s0
	s_mov_b32 s7, 0
	global_store_b32 v[4:5], v1, off
.LBB71_1813:
	s_and_not1_b32 vcc_lo, exec_lo, s7
	s_cbranch_vccnz .LBB71_1815
; %bb.1814:
	s_wait_xcnt 0x0
	v_cndmask_b32_e64 v1, 0, 1, s0
	global_store_b16 v[4:5], v1, off
.LBB71_1815:
	s_mov_b32 s7, 0
.LBB71_1816:
	s_delay_alu instid0(SALU_CYCLE_1)
	s_and_not1_b32 vcc_lo, exec_lo, s7
	s_cbranch_vccnz .LBB71_1824
; %bb.1817:
	s_wait_xcnt 0x0
	v_cndmask_b32_e64 v3, 0, 1.0, s0
	v_mov_b32_e32 v6, 0x80
	s_mov_b32 s7, exec_lo
	s_delay_alu instid0(VALU_DEP_2)
	v_cmpx_gt_u32_e32 0x43800000, v3
	s_cbranch_execz .LBB71_1823
; %bb.1818:
	s_mov_b32 s11, 0
	s_mov_b32 s12, exec_lo
                                        ; implicit-def: $vgpr1
	v_cmpx_lt_u32_e32 0x3bffffff, v3
	s_xor_b32 s12, exec_lo, s12
	s_cbranch_execz .LBB71_2158
; %bb.1819:
	v_bfe_u32 v1, v3, 20, 1
	s_mov_b32 s11, exec_lo
	s_delay_alu instid0(VALU_DEP_1) | instskip(NEXT) | instid1(VALU_DEP_1)
	v_add3_u32 v1, v3, v1, 0x487ffff
                                        ; implicit-def: $vgpr3
	v_lshrrev_b32_e32 v1, 20, v1
	s_and_not1_saveexec_b32 s12, s12
	s_cbranch_execnz .LBB71_2159
.LBB71_1820:
	s_or_b32 exec_lo, exec_lo, s12
	v_mov_b32_e32 v6, 0
	s_and_saveexec_b32 s12, s11
.LBB71_1821:
	v_mov_b32_e32 v6, v1
.LBB71_1822:
	s_or_b32 exec_lo, exec_lo, s12
.LBB71_1823:
	s_delay_alu instid0(SALU_CYCLE_1)
	s_or_b32 exec_lo, exec_lo, s7
	global_store_b8 v[4:5], v6, off
.LBB71_1824:
	s_mov_b32 s7, -1
.LBB71_1825:
	s_mov_b32 s11, 0
.LBB71_1826:
	s_delay_alu instid0(SALU_CYCLE_1)
	s_and_b32 vcc_lo, exec_lo, s11
	s_cbranch_vccz .LBB71_1866
; %bb.1827:
	s_cmp_gt_i32 s2, 22
	s_mov_b32 s3, -1
	s_cbranch_scc0 .LBB71_1859
; %bb.1828:
	s_cmp_lt_i32 s2, 24
	s_cbranch_scc1 .LBB71_1848
; %bb.1829:
	s_cmp_gt_i32 s2, 24
	s_cbranch_scc0 .LBB71_1837
; %bb.1830:
	s_wait_xcnt 0x0
	v_cndmask_b32_e64 v3, 0, 1.0, s0
	v_mov_b32_e32 v6, 0x80
	s_mov_b32 s3, exec_lo
	s_delay_alu instid0(VALU_DEP_2)
	v_cmpx_gt_u32_e32 0x47800000, v3
	s_cbranch_execz .LBB71_1836
; %bb.1831:
	s_mov_b32 s7, 0
	s_mov_b32 s11, exec_lo
                                        ; implicit-def: $vgpr1
	v_cmpx_lt_u32_e32 0x37ffffff, v3
	s_xor_b32 s11, exec_lo, s11
	s_cbranch_execz .LBB71_2161
; %bb.1832:
	v_bfe_u32 v1, v3, 21, 1
	s_mov_b32 s7, exec_lo
	s_delay_alu instid0(VALU_DEP_1) | instskip(NEXT) | instid1(VALU_DEP_1)
	v_add3_u32 v1, v3, v1, 0x88fffff
                                        ; implicit-def: $vgpr3
	v_lshrrev_b32_e32 v1, 21, v1
	s_and_not1_saveexec_b32 s11, s11
	s_cbranch_execnz .LBB71_2162
.LBB71_1833:
	s_or_b32 exec_lo, exec_lo, s11
	v_mov_b32_e32 v6, 0
	s_and_saveexec_b32 s11, s7
.LBB71_1834:
	v_mov_b32_e32 v6, v1
.LBB71_1835:
	s_or_b32 exec_lo, exec_lo, s11
.LBB71_1836:
	s_delay_alu instid0(SALU_CYCLE_1)
	s_or_b32 exec_lo, exec_lo, s3
	s_mov_b32 s3, 0
	global_store_b8 v[4:5], v6, off
.LBB71_1837:
	s_and_b32 vcc_lo, exec_lo, s3
	s_cbranch_vccz .LBB71_1847
; %bb.1838:
	s_wait_xcnt 0x0
	v_cndmask_b32_e64 v3, 0, 1.0, s0
	s_mov_b32 s3, exec_lo
                                        ; implicit-def: $vgpr1
	s_delay_alu instid0(VALU_DEP_1)
	v_cmpx_gt_u32_e32 0x43f00000, v3
	s_xor_b32 s3, exec_lo, s3
	s_cbranch_execz .LBB71_1844
; %bb.1839:
	s_mov_b32 s7, exec_lo
                                        ; implicit-def: $vgpr1
	v_cmpx_lt_u32_e32 0x3c7fffff, v3
	s_xor_b32 s7, exec_lo, s7
; %bb.1840:
	v_bfe_u32 v1, v3, 20, 1
	s_delay_alu instid0(VALU_DEP_1) | instskip(NEXT) | instid1(VALU_DEP_1)
	v_add3_u32 v1, v3, v1, 0x407ffff
	v_and_b32_e32 v3, 0xff00000, v1
	v_lshrrev_b32_e32 v1, 20, v1
	s_delay_alu instid0(VALU_DEP_2) | instskip(NEXT) | instid1(VALU_DEP_2)
	v_cmp_ne_u32_e32 vcc_lo, 0x7f00000, v3
                                        ; implicit-def: $vgpr3
	v_cndmask_b32_e32 v1, 0x7e, v1, vcc_lo
; %bb.1841:
	s_and_not1_saveexec_b32 s7, s7
; %bb.1842:
	v_add_f32_e32 v1, 0x46800000, v3
; %bb.1843:
	s_or_b32 exec_lo, exec_lo, s7
                                        ; implicit-def: $vgpr3
.LBB71_1844:
	s_and_not1_saveexec_b32 s3, s3
; %bb.1845:
	v_mov_b32_e32 v1, 0x7f
	v_cmp_lt_u32_e32 vcc_lo, 0x7f800000, v3
	s_delay_alu instid0(VALU_DEP_2)
	v_cndmask_b32_e32 v1, 0x7e, v1, vcc_lo
; %bb.1846:
	s_or_b32 exec_lo, exec_lo, s3
	global_store_b8 v[4:5], v1, off
.LBB71_1847:
	s_mov_b32 s3, 0
.LBB71_1848:
	s_delay_alu instid0(SALU_CYCLE_1)
	s_and_not1_b32 vcc_lo, exec_lo, s3
	s_cbranch_vccnz .LBB71_1858
; %bb.1849:
	s_wait_xcnt 0x0
	v_cndmask_b32_e64 v3, 0, 1.0, s0
	s_mov_b32 s3, exec_lo
                                        ; implicit-def: $vgpr1
	s_delay_alu instid0(VALU_DEP_1)
	v_cmpx_gt_u32_e32 0x47800000, v3
	s_xor_b32 s3, exec_lo, s3
	s_cbranch_execz .LBB71_1855
; %bb.1850:
	s_mov_b32 s7, exec_lo
                                        ; implicit-def: $vgpr1
	v_cmpx_lt_u32_e32 0x387fffff, v3
	s_xor_b32 s7, exec_lo, s7
; %bb.1851:
	v_bfe_u32 v1, v3, 21, 1
	s_delay_alu instid0(VALU_DEP_1) | instskip(NEXT) | instid1(VALU_DEP_1)
	v_add3_u32 v1, v3, v1, 0x80fffff
                                        ; implicit-def: $vgpr3
	v_lshrrev_b32_e32 v1, 21, v1
; %bb.1852:
	s_and_not1_saveexec_b32 s7, s7
; %bb.1853:
	v_add_f32_e32 v1, 0x43000000, v3
; %bb.1854:
	s_or_b32 exec_lo, exec_lo, s7
                                        ; implicit-def: $vgpr3
.LBB71_1855:
	s_and_not1_saveexec_b32 s3, s3
; %bb.1856:
	v_mov_b32_e32 v1, 0x7f
	v_cmp_lt_u32_e32 vcc_lo, 0x7f800000, v3
	s_delay_alu instid0(VALU_DEP_2)
	v_cndmask_b32_e32 v1, 0x7c, v1, vcc_lo
; %bb.1857:
	s_or_b32 exec_lo, exec_lo, s3
	global_store_b8 v[4:5], v1, off
.LBB71_1858:
	s_mov_b32 s3, 0
	s_mov_b32 s7, -1
.LBB71_1859:
	s_and_not1_b32 vcc_lo, exec_lo, s3
	s_mov_b32 s3, 0
	s_cbranch_vccnz .LBB71_1866
; %bb.1860:
	s_cmp_gt_i32 s2, 14
	s_mov_b32 s3, -1
	s_cbranch_scc0 .LBB71_1864
; %bb.1861:
	s_cmp_eq_u32 s2, 15
	s_mov_b32 s1, -1
	s_cbranch_scc0 .LBB71_1863
; %bb.1862:
	s_wait_xcnt 0x0
	v_cndmask_b32_e64 v1, 0, 1.0, s0
	s_mov_b32 s1, 0
	s_mov_b32 s7, -1
	s_delay_alu instid0(VALU_DEP_1) | instskip(NEXT) | instid1(VALU_DEP_1)
	v_bfe_u32 v3, v1, 16, 1
	v_add3_u32 v1, v1, v3, 0x7fff
	global_store_d16_hi_b16 v[4:5], v1, off
.LBB71_1863:
	s_mov_b32 s3, 0
.LBB71_1864:
	s_delay_alu instid0(SALU_CYCLE_1)
	s_and_b32 vcc_lo, exec_lo, s3
	s_mov_b32 s3, 0
	s_cbranch_vccz .LBB71_1866
; %bb.1865:
	s_cmp_lg_u32 s2, 11
	s_mov_b32 s3, -1
	s_cselect_b32 s1, -1, 0
.LBB71_1866:
	s_delay_alu instid0(SALU_CYCLE_1)
	s_and_b32 vcc_lo, exec_lo, s1
	s_cbranch_vccnz .LBB71_2160
; %bb.1867:
	s_and_not1_b32 vcc_lo, exec_lo, s3
	s_cbranch_vccnz .LBB71_1869
.LBB71_1868:
	s_wait_xcnt 0x0
	v_cndmask_b32_e64 v1, 0, 1, s0
	s_mov_b32 s7, -1
	global_store_b8 v[4:5], v1, off
.LBB71_1869:
	s_mov_b32 s1, 0
	s_branch .LBB71_1871
.LBB71_1870:
	s_mov_b32 s1, -1
	s_mov_b32 s7, 0
.LBB71_1871:
	s_and_b32 vcc_lo, exec_lo, s1
	s_cbranch_vccz .LBB71_1910
; %bb.1872:
	s_cmp_lt_i32 s2, 5
	s_mov_b32 s1, -1
	s_cbranch_scc1 .LBB71_1893
; %bb.1873:
	s_cmp_lt_i32 s2, 8
	s_cbranch_scc1 .LBB71_1883
; %bb.1874:
	s_cmp_lt_i32 s2, 9
	s_cbranch_scc1 .LBB71_1880
; %bb.1875:
	s_cmp_gt_i32 s2, 9
	s_cbranch_scc0 .LBB71_1877
; %bb.1876:
	s_wait_xcnt 0x0
	v_cndmask_b32_e64 v1, 0, 1, s0
	v_mov_b32_e32 v8, 0
	s_mov_b32 s1, 0
	s_delay_alu instid0(VALU_DEP_2) | instskip(NEXT) | instid1(VALU_DEP_2)
	v_cvt_f64_u32_e32 v[6:7], v1
	v_mov_b32_e32 v9, v8
	global_store_b128 v[4:5], v[6:9], off
.LBB71_1877:
	s_and_not1_b32 vcc_lo, exec_lo, s1
	s_cbranch_vccnz .LBB71_1879
; %bb.1878:
	s_wait_xcnt 0x0
	v_cndmask_b32_e64 v6, 0, 1.0, s0
	v_mov_b32_e32 v7, 0
	global_store_b64 v[4:5], v[6:7], off
.LBB71_1879:
	s_mov_b32 s1, 0
.LBB71_1880:
	s_delay_alu instid0(SALU_CYCLE_1)
	s_and_not1_b32 vcc_lo, exec_lo, s1
	s_cbranch_vccnz .LBB71_1882
; %bb.1881:
	s_wait_xcnt 0x0
	v_cndmask_b32_e64 v1, 0, 1.0, s0
	s_delay_alu instid0(VALU_DEP_1) | instskip(NEXT) | instid1(VALU_DEP_1)
	v_cvt_f16_f32_e32 v1, v1
	v_and_b32_e32 v1, 0xffff, v1
	global_store_b32 v[4:5], v1, off
.LBB71_1882:
	s_mov_b32 s1, 0
.LBB71_1883:
	s_delay_alu instid0(SALU_CYCLE_1)
	s_and_not1_b32 vcc_lo, exec_lo, s1
	s_cbranch_vccnz .LBB71_1892
; %bb.1884:
	s_cmp_lt_i32 s2, 6
	s_mov_b32 s1, -1
	s_cbranch_scc1 .LBB71_1890
; %bb.1885:
	s_cmp_gt_i32 s2, 6
	s_cbranch_scc0 .LBB71_1887
; %bb.1886:
	s_wait_xcnt 0x0
	v_cndmask_b32_e64 v1, 0, 1, s0
	s_mov_b32 s1, 0
	s_delay_alu instid0(VALU_DEP_1)
	v_cvt_f64_u32_e32 v[6:7], v1
	global_store_b64 v[4:5], v[6:7], off
.LBB71_1887:
	s_and_not1_b32 vcc_lo, exec_lo, s1
	s_cbranch_vccnz .LBB71_1889
; %bb.1888:
	s_wait_xcnt 0x0
	v_cndmask_b32_e64 v1, 0, 1.0, s0
	global_store_b32 v[4:5], v1, off
.LBB71_1889:
	s_mov_b32 s1, 0
.LBB71_1890:
	s_delay_alu instid0(SALU_CYCLE_1)
	s_and_not1_b32 vcc_lo, exec_lo, s1
	s_cbranch_vccnz .LBB71_1892
; %bb.1891:
	s_wait_xcnt 0x0
	v_cndmask_b32_e64 v1, 0, 1.0, s0
	s_delay_alu instid0(VALU_DEP_1)
	v_cvt_f16_f32_e32 v1, v1
	global_store_b16 v[4:5], v1, off
.LBB71_1892:
	s_mov_b32 s1, 0
.LBB71_1893:
	s_delay_alu instid0(SALU_CYCLE_1)
	s_and_not1_b32 vcc_lo, exec_lo, s1
	s_cbranch_vccnz .LBB71_1909
; %bb.1894:
	s_cmp_lt_i32 s2, 2
	s_mov_b32 s1, -1
	s_cbranch_scc1 .LBB71_1904
; %bb.1895:
	s_cmp_lt_i32 s2, 3
	s_cbranch_scc1 .LBB71_1901
; %bb.1896:
	s_cmp_gt_i32 s2, 3
	s_cbranch_scc0 .LBB71_1898
; %bb.1897:
	s_mov_b32 s1, 0
	s_wait_xcnt 0x0
	v_cndmask_b32_e64 v6, 0, 1, s0
	v_mov_b32_e32 v7, s1
	global_store_b64 v[4:5], v[6:7], off
.LBB71_1898:
	s_and_not1_b32 vcc_lo, exec_lo, s1
	s_cbranch_vccnz .LBB71_1900
; %bb.1899:
	s_wait_xcnt 0x0
	v_cndmask_b32_e64 v1, 0, 1, s0
	global_store_b32 v[4:5], v1, off
.LBB71_1900:
	s_mov_b32 s1, 0
.LBB71_1901:
	s_delay_alu instid0(SALU_CYCLE_1)
	s_and_not1_b32 vcc_lo, exec_lo, s1
	s_cbranch_vccnz .LBB71_1903
; %bb.1902:
	s_wait_xcnt 0x0
	v_cndmask_b32_e64 v1, 0, 1, s0
	global_store_b16 v[4:5], v1, off
.LBB71_1903:
	s_mov_b32 s1, 0
.LBB71_1904:
	s_delay_alu instid0(SALU_CYCLE_1)
	s_and_not1_b32 vcc_lo, exec_lo, s1
	s_cbranch_vccnz .LBB71_1909
; %bb.1905:
	s_wait_xcnt 0x0
	v_cndmask_b32_e64 v1, 0, 1, s0
	s_cmp_gt_i32 s2, 0
	s_mov_b32 s0, -1
	s_cbranch_scc0 .LBB71_1907
; %bb.1906:
	s_mov_b32 s0, 0
	global_store_b8 v[4:5], v1, off
.LBB71_1907:
	s_and_not1_b32 vcc_lo, exec_lo, s0
	s_cbranch_vccnz .LBB71_1909
; %bb.1908:
	global_store_b8 v[4:5], v1, off
.LBB71_1909:
	s_mov_b32 s7, -1
.LBB71_1910:
	s_delay_alu instid0(SALU_CYCLE_1)
	s_and_not1_b32 vcc_lo, exec_lo, s7
	s_cbranch_vccnz .LBB71_2106
; %bb.1911:
	v_cmp_eq_f64_e64 s0, 0xfff00000, v[12:13]
	s_wait_xcnt 0x0
	v_mov_b32_e32 v3, 0
	s_cmp_lt_i32 s2, 11
	s_delay_alu instid0(VALU_DEP_1)
	v_add_nc_u64_e32 v[2:3], s[4:5], v[2:3]
	s_cbranch_scc1 .LBB71_1989
; %bb.1912:
	s_mov_b32 s11, -1
	s_mov_b32 s3, 0
	s_cmp_gt_i32 s2, 25
	s_mov_b32 s7, 0
	s_mov_b32 s1, 0
	s_cbranch_scc0 .LBB71_1945
; %bb.1913:
	s_cmp_gt_i32 s2, 28
	s_cbranch_scc0 .LBB71_1928
; %bb.1914:
	s_cmp_gt_i32 s2, 43
	;; [unrolled: 3-line block ×3, first 2 shown]
	s_cbranch_scc0 .LBB71_1918
; %bb.1916:
	s_mov_b32 s1, -1
	s_mov_b32 s11, 0
	s_cmp_eq_u32 s2, 46
	s_cbranch_scc0 .LBB71_1918
; %bb.1917:
	v_cndmask_b32_e64 v1, 0, 1.0, s0
	s_mov_b32 s1, 0
	s_mov_b32 s7, -1
	s_delay_alu instid0(VALU_DEP_1) | instskip(NEXT) | instid1(VALU_DEP_1)
	v_bfe_u32 v4, v1, 16, 1
	v_add3_u32 v1, v1, v4, 0x7fff
	s_delay_alu instid0(VALU_DEP_1)
	v_lshrrev_b32_e32 v1, 16, v1
	global_store_b32 v[2:3], v1, off
.LBB71_1918:
	s_and_b32 vcc_lo, exec_lo, s11
	s_cbranch_vccz .LBB71_1923
; %bb.1919:
	s_cmp_eq_u32 s2, 44
	s_mov_b32 s1, -1
	s_cbranch_scc0 .LBB71_1923
; %bb.1920:
	v_cndmask_b32_e64 v5, 0, 1.0, s0
	s_mov_b32 s7, exec_lo
	s_wait_xcnt 0x0
	s_delay_alu instid0(VALU_DEP_1) | instskip(NEXT) | instid1(VALU_DEP_1)
	v_dual_mov_b32 v4, 0xff :: v_dual_lshrrev_b32 v1, 23, v5
	v_cmpx_ne_u32_e32 0xff, v1
; %bb.1921:
	v_and_b32_e32 v4, 0x400000, v5
	v_and_or_b32 v5, 0x3fffff, v5, v1
	s_delay_alu instid0(VALU_DEP_2) | instskip(NEXT) | instid1(VALU_DEP_2)
	v_cmp_ne_u32_e32 vcc_lo, 0, v4
	v_cmp_ne_u32_e64 s1, 0, v5
	s_and_b32 s1, vcc_lo, s1
	s_delay_alu instid0(SALU_CYCLE_1) | instskip(NEXT) | instid1(VALU_DEP_1)
	v_cndmask_b32_e64 v4, 0, 1, s1
	v_add_nc_u32_e32 v4, v1, v4
; %bb.1922:
	s_or_b32 exec_lo, exec_lo, s7
	s_mov_b32 s1, 0
	s_mov_b32 s7, -1
	global_store_b8 v[2:3], v4, off
.LBB71_1923:
	s_mov_b32 s11, 0
.LBB71_1924:
	s_delay_alu instid0(SALU_CYCLE_1)
	s_and_b32 vcc_lo, exec_lo, s11
	s_cbranch_vccz .LBB71_1927
; %bb.1925:
	s_cmp_eq_u32 s2, 29
	s_mov_b32 s1, -1
	s_cbranch_scc0 .LBB71_1927
; %bb.1926:
	s_mov_b32 s1, 0
	s_wait_xcnt 0x0
	v_cndmask_b32_e64 v4, 0, 1, s0
	v_mov_b32_e32 v5, s1
	s_mov_b32 s7, -1
	global_store_b64 v[2:3], v[4:5], off
.LBB71_1927:
	s_mov_b32 s11, 0
.LBB71_1928:
	s_delay_alu instid0(SALU_CYCLE_1)
	s_and_b32 vcc_lo, exec_lo, s11
	s_cbranch_vccz .LBB71_1944
; %bb.1929:
	s_cmp_lt_i32 s2, 27
	s_mov_b32 s7, -1
	s_cbranch_scc1 .LBB71_1935
; %bb.1930:
	s_cmp_gt_i32 s2, 27
	s_cbranch_scc0 .LBB71_1932
; %bb.1931:
	s_wait_xcnt 0x0
	v_cndmask_b32_e64 v1, 0, 1, s0
	s_mov_b32 s7, 0
	global_store_b32 v[2:3], v1, off
.LBB71_1932:
	s_and_not1_b32 vcc_lo, exec_lo, s7
	s_cbranch_vccnz .LBB71_1934
; %bb.1933:
	s_wait_xcnt 0x0
	v_cndmask_b32_e64 v1, 0, 1, s0
	global_store_b16 v[2:3], v1, off
.LBB71_1934:
	s_mov_b32 s7, 0
.LBB71_1935:
	s_delay_alu instid0(SALU_CYCLE_1)
	s_and_not1_b32 vcc_lo, exec_lo, s7
	s_cbranch_vccnz .LBB71_1943
; %bb.1936:
	s_wait_xcnt 0x0
	v_cndmask_b32_e64 v4, 0, 1.0, s0
	v_mov_b32_e32 v5, 0x80
	s_mov_b32 s7, exec_lo
	s_delay_alu instid0(VALU_DEP_2)
	v_cmpx_gt_u32_e32 0x43800000, v4
	s_cbranch_execz .LBB71_1942
; %bb.1937:
	s_mov_b32 s11, 0
	s_mov_b32 s12, exec_lo
                                        ; implicit-def: $vgpr1
	v_cmpx_lt_u32_e32 0x3bffffff, v4
	s_xor_b32 s12, exec_lo, s12
	s_cbranch_execz .LBB71_2163
; %bb.1938:
	v_bfe_u32 v1, v4, 20, 1
	s_mov_b32 s11, exec_lo
	s_delay_alu instid0(VALU_DEP_1) | instskip(NEXT) | instid1(VALU_DEP_1)
	v_add3_u32 v1, v4, v1, 0x487ffff
                                        ; implicit-def: $vgpr4
	v_lshrrev_b32_e32 v1, 20, v1
	s_and_not1_saveexec_b32 s12, s12
	s_cbranch_execnz .LBB71_2164
.LBB71_1939:
	s_or_b32 exec_lo, exec_lo, s12
	v_mov_b32_e32 v5, 0
	s_and_saveexec_b32 s12, s11
.LBB71_1940:
	v_mov_b32_e32 v5, v1
.LBB71_1941:
	s_or_b32 exec_lo, exec_lo, s12
.LBB71_1942:
	s_delay_alu instid0(SALU_CYCLE_1)
	s_or_b32 exec_lo, exec_lo, s7
	global_store_b8 v[2:3], v5, off
.LBB71_1943:
	s_mov_b32 s7, -1
.LBB71_1944:
	s_mov_b32 s11, 0
.LBB71_1945:
	s_delay_alu instid0(SALU_CYCLE_1)
	s_and_b32 vcc_lo, exec_lo, s11
	s_cbranch_vccz .LBB71_1985
; %bb.1946:
	s_cmp_gt_i32 s2, 22
	s_mov_b32 s3, -1
	s_cbranch_scc0 .LBB71_1978
; %bb.1947:
	s_cmp_lt_i32 s2, 24
	s_cbranch_scc1 .LBB71_1967
; %bb.1948:
	s_cmp_gt_i32 s2, 24
	s_cbranch_scc0 .LBB71_1956
; %bb.1949:
	s_wait_xcnt 0x0
	v_cndmask_b32_e64 v4, 0, 1.0, s0
	v_mov_b32_e32 v5, 0x80
	s_mov_b32 s3, exec_lo
	s_delay_alu instid0(VALU_DEP_2)
	v_cmpx_gt_u32_e32 0x47800000, v4
	s_cbranch_execz .LBB71_1955
; %bb.1950:
	s_mov_b32 s7, 0
	s_mov_b32 s11, exec_lo
                                        ; implicit-def: $vgpr1
	v_cmpx_lt_u32_e32 0x37ffffff, v4
	s_xor_b32 s11, exec_lo, s11
	s_cbranch_execz .LBB71_2166
; %bb.1951:
	v_bfe_u32 v1, v4, 21, 1
	s_mov_b32 s7, exec_lo
	s_delay_alu instid0(VALU_DEP_1) | instskip(NEXT) | instid1(VALU_DEP_1)
	v_add3_u32 v1, v4, v1, 0x88fffff
                                        ; implicit-def: $vgpr4
	v_lshrrev_b32_e32 v1, 21, v1
	s_and_not1_saveexec_b32 s11, s11
	s_cbranch_execnz .LBB71_2167
.LBB71_1952:
	s_or_b32 exec_lo, exec_lo, s11
	v_mov_b32_e32 v5, 0
	s_and_saveexec_b32 s11, s7
.LBB71_1953:
	v_mov_b32_e32 v5, v1
.LBB71_1954:
	s_or_b32 exec_lo, exec_lo, s11
.LBB71_1955:
	s_delay_alu instid0(SALU_CYCLE_1)
	s_or_b32 exec_lo, exec_lo, s3
	s_mov_b32 s3, 0
	global_store_b8 v[2:3], v5, off
.LBB71_1956:
	s_and_b32 vcc_lo, exec_lo, s3
	s_cbranch_vccz .LBB71_1966
; %bb.1957:
	s_wait_xcnt 0x0
	v_cndmask_b32_e64 v4, 0, 1.0, s0
	s_mov_b32 s3, exec_lo
                                        ; implicit-def: $vgpr1
	s_delay_alu instid0(VALU_DEP_1)
	v_cmpx_gt_u32_e32 0x43f00000, v4
	s_xor_b32 s3, exec_lo, s3
	s_cbranch_execz .LBB71_1963
; %bb.1958:
	s_mov_b32 s7, exec_lo
                                        ; implicit-def: $vgpr1
	v_cmpx_lt_u32_e32 0x3c7fffff, v4
	s_xor_b32 s7, exec_lo, s7
; %bb.1959:
	v_bfe_u32 v1, v4, 20, 1
	s_delay_alu instid0(VALU_DEP_1) | instskip(NEXT) | instid1(VALU_DEP_1)
	v_add3_u32 v1, v4, v1, 0x407ffff
	v_and_b32_e32 v4, 0xff00000, v1
	v_lshrrev_b32_e32 v1, 20, v1
	s_delay_alu instid0(VALU_DEP_2) | instskip(NEXT) | instid1(VALU_DEP_2)
	v_cmp_ne_u32_e32 vcc_lo, 0x7f00000, v4
                                        ; implicit-def: $vgpr4
	v_cndmask_b32_e32 v1, 0x7e, v1, vcc_lo
; %bb.1960:
	s_and_not1_saveexec_b32 s7, s7
; %bb.1961:
	v_add_f32_e32 v1, 0x46800000, v4
; %bb.1962:
	s_or_b32 exec_lo, exec_lo, s7
                                        ; implicit-def: $vgpr4
.LBB71_1963:
	s_and_not1_saveexec_b32 s3, s3
; %bb.1964:
	v_mov_b32_e32 v1, 0x7f
	v_cmp_lt_u32_e32 vcc_lo, 0x7f800000, v4
	s_delay_alu instid0(VALU_DEP_2)
	v_cndmask_b32_e32 v1, 0x7e, v1, vcc_lo
; %bb.1965:
	s_or_b32 exec_lo, exec_lo, s3
	global_store_b8 v[2:3], v1, off
.LBB71_1966:
	s_mov_b32 s3, 0
.LBB71_1967:
	s_delay_alu instid0(SALU_CYCLE_1)
	s_and_not1_b32 vcc_lo, exec_lo, s3
	s_cbranch_vccnz .LBB71_1977
; %bb.1968:
	s_wait_xcnt 0x0
	v_cndmask_b32_e64 v4, 0, 1.0, s0
	s_mov_b32 s3, exec_lo
                                        ; implicit-def: $vgpr1
	s_delay_alu instid0(VALU_DEP_1)
	v_cmpx_gt_u32_e32 0x47800000, v4
	s_xor_b32 s3, exec_lo, s3
	s_cbranch_execz .LBB71_1974
; %bb.1969:
	s_mov_b32 s7, exec_lo
                                        ; implicit-def: $vgpr1
	v_cmpx_lt_u32_e32 0x387fffff, v4
	s_xor_b32 s7, exec_lo, s7
; %bb.1970:
	v_bfe_u32 v1, v4, 21, 1
	s_delay_alu instid0(VALU_DEP_1) | instskip(NEXT) | instid1(VALU_DEP_1)
	v_add3_u32 v1, v4, v1, 0x80fffff
                                        ; implicit-def: $vgpr4
	v_lshrrev_b32_e32 v1, 21, v1
; %bb.1971:
	s_and_not1_saveexec_b32 s7, s7
; %bb.1972:
	v_add_f32_e32 v1, 0x43000000, v4
; %bb.1973:
	s_or_b32 exec_lo, exec_lo, s7
                                        ; implicit-def: $vgpr4
.LBB71_1974:
	s_and_not1_saveexec_b32 s3, s3
; %bb.1975:
	v_mov_b32_e32 v1, 0x7f
	v_cmp_lt_u32_e32 vcc_lo, 0x7f800000, v4
	s_delay_alu instid0(VALU_DEP_2)
	v_cndmask_b32_e32 v1, 0x7c, v1, vcc_lo
; %bb.1976:
	s_or_b32 exec_lo, exec_lo, s3
	global_store_b8 v[2:3], v1, off
.LBB71_1977:
	s_mov_b32 s3, 0
	s_mov_b32 s7, -1
.LBB71_1978:
	s_and_not1_b32 vcc_lo, exec_lo, s3
	s_mov_b32 s3, 0
	s_cbranch_vccnz .LBB71_1985
; %bb.1979:
	s_cmp_gt_i32 s2, 14
	s_mov_b32 s3, -1
	s_cbranch_scc0 .LBB71_1983
; %bb.1980:
	s_cmp_eq_u32 s2, 15
	s_mov_b32 s1, -1
	s_cbranch_scc0 .LBB71_1982
; %bb.1981:
	s_wait_xcnt 0x0
	v_cndmask_b32_e64 v1, 0, 1.0, s0
	s_mov_b32 s1, 0
	s_mov_b32 s7, -1
	s_delay_alu instid0(VALU_DEP_1) | instskip(NEXT) | instid1(VALU_DEP_1)
	v_bfe_u32 v4, v1, 16, 1
	v_add3_u32 v1, v1, v4, 0x7fff
	global_store_d16_hi_b16 v[2:3], v1, off
.LBB71_1982:
	s_mov_b32 s3, 0
.LBB71_1983:
	s_delay_alu instid0(SALU_CYCLE_1)
	s_and_b32 vcc_lo, exec_lo, s3
	s_mov_b32 s3, 0
	s_cbranch_vccz .LBB71_1985
; %bb.1984:
	s_cmp_lg_u32 s2, 11
	s_mov_b32 s3, -1
	s_cselect_b32 s1, -1, 0
.LBB71_1985:
	s_delay_alu instid0(SALU_CYCLE_1)
	s_and_b32 vcc_lo, exec_lo, s1
	s_cbranch_vccnz .LBB71_2165
; %bb.1986:
	s_and_not1_b32 vcc_lo, exec_lo, s3
	s_cbranch_vccnz .LBB71_1988
.LBB71_1987:
	s_wait_xcnt 0x0
	v_cndmask_b32_e64 v1, 0, 1, s0
	s_mov_b32 s7, -1
	global_store_b8 v[2:3], v1, off
.LBB71_1988:
	s_mov_b32 s1, 0
	s_branch .LBB71_1990
.LBB71_1989:
	s_mov_b32 s1, -1
	s_mov_b32 s7, 0
.LBB71_1990:
	s_and_b32 vcc_lo, exec_lo, s1
	s_cbranch_vccz .LBB71_2029
; %bb.1991:
	s_cmp_lt_i32 s2, 5
	s_mov_b32 s1, -1
	s_cbranch_scc1 .LBB71_2012
; %bb.1992:
	s_cmp_lt_i32 s2, 8
	s_cbranch_scc1 .LBB71_2002
; %bb.1993:
	s_cmp_lt_i32 s2, 9
	s_cbranch_scc1 .LBB71_1999
; %bb.1994:
	s_cmp_gt_i32 s2, 9
	s_cbranch_scc0 .LBB71_1996
; %bb.1995:
	s_wait_xcnt 0x0
	v_cndmask_b32_e64 v1, 0, 1, s0
	v_mov_b32_e32 v6, 0
	s_mov_b32 s1, 0
	s_delay_alu instid0(VALU_DEP_2) | instskip(NEXT) | instid1(VALU_DEP_2)
	v_cvt_f64_u32_e32 v[4:5], v1
	v_mov_b32_e32 v7, v6
	global_store_b128 v[2:3], v[4:7], off
.LBB71_1996:
	s_and_not1_b32 vcc_lo, exec_lo, s1
	s_cbranch_vccnz .LBB71_1998
; %bb.1997:
	s_wait_xcnt 0x0
	v_cndmask_b32_e64 v4, 0, 1.0, s0
	v_mov_b32_e32 v5, 0
	global_store_b64 v[2:3], v[4:5], off
.LBB71_1998:
	s_mov_b32 s1, 0
.LBB71_1999:
	s_delay_alu instid0(SALU_CYCLE_1)
	s_and_not1_b32 vcc_lo, exec_lo, s1
	s_cbranch_vccnz .LBB71_2001
; %bb.2000:
	s_wait_xcnt 0x0
	v_cndmask_b32_e64 v1, 0, 1.0, s0
	s_delay_alu instid0(VALU_DEP_1) | instskip(NEXT) | instid1(VALU_DEP_1)
	v_cvt_f16_f32_e32 v1, v1
	v_and_b32_e32 v1, 0xffff, v1
	global_store_b32 v[2:3], v1, off
.LBB71_2001:
	s_mov_b32 s1, 0
.LBB71_2002:
	s_delay_alu instid0(SALU_CYCLE_1)
	s_and_not1_b32 vcc_lo, exec_lo, s1
	s_cbranch_vccnz .LBB71_2011
; %bb.2003:
	s_cmp_lt_i32 s2, 6
	s_mov_b32 s1, -1
	s_cbranch_scc1 .LBB71_2009
; %bb.2004:
	s_cmp_gt_i32 s2, 6
	s_cbranch_scc0 .LBB71_2006
; %bb.2005:
	s_wait_xcnt 0x0
	v_cndmask_b32_e64 v1, 0, 1, s0
	s_mov_b32 s1, 0
	s_delay_alu instid0(VALU_DEP_1)
	v_cvt_f64_u32_e32 v[4:5], v1
	global_store_b64 v[2:3], v[4:5], off
.LBB71_2006:
	s_and_not1_b32 vcc_lo, exec_lo, s1
	s_cbranch_vccnz .LBB71_2008
; %bb.2007:
	s_wait_xcnt 0x0
	v_cndmask_b32_e64 v1, 0, 1.0, s0
	global_store_b32 v[2:3], v1, off
.LBB71_2008:
	s_mov_b32 s1, 0
.LBB71_2009:
	s_delay_alu instid0(SALU_CYCLE_1)
	s_and_not1_b32 vcc_lo, exec_lo, s1
	s_cbranch_vccnz .LBB71_2011
; %bb.2010:
	s_wait_xcnt 0x0
	v_cndmask_b32_e64 v1, 0, 1.0, s0
	s_delay_alu instid0(VALU_DEP_1)
	v_cvt_f16_f32_e32 v1, v1
	global_store_b16 v[2:3], v1, off
.LBB71_2011:
	s_mov_b32 s1, 0
.LBB71_2012:
	s_delay_alu instid0(SALU_CYCLE_1)
	s_and_not1_b32 vcc_lo, exec_lo, s1
	s_cbranch_vccnz .LBB71_2028
; %bb.2013:
	s_cmp_lt_i32 s2, 2
	s_mov_b32 s1, -1
	s_cbranch_scc1 .LBB71_2023
; %bb.2014:
	s_cmp_lt_i32 s2, 3
	s_cbranch_scc1 .LBB71_2020
; %bb.2015:
	s_cmp_gt_i32 s2, 3
	s_cbranch_scc0 .LBB71_2017
; %bb.2016:
	s_mov_b32 s1, 0
	s_wait_xcnt 0x0
	v_cndmask_b32_e64 v4, 0, 1, s0
	v_mov_b32_e32 v5, s1
	global_store_b64 v[2:3], v[4:5], off
.LBB71_2017:
	s_and_not1_b32 vcc_lo, exec_lo, s1
	s_cbranch_vccnz .LBB71_2019
; %bb.2018:
	s_wait_xcnt 0x0
	v_cndmask_b32_e64 v1, 0, 1, s0
	global_store_b32 v[2:3], v1, off
.LBB71_2019:
	s_mov_b32 s1, 0
.LBB71_2020:
	s_delay_alu instid0(SALU_CYCLE_1)
	s_and_not1_b32 vcc_lo, exec_lo, s1
	s_cbranch_vccnz .LBB71_2022
; %bb.2021:
	s_wait_xcnt 0x0
	v_cndmask_b32_e64 v1, 0, 1, s0
	global_store_b16 v[2:3], v1, off
.LBB71_2022:
	s_mov_b32 s1, 0
.LBB71_2023:
	s_delay_alu instid0(SALU_CYCLE_1)
	s_and_not1_b32 vcc_lo, exec_lo, s1
	s_cbranch_vccnz .LBB71_2028
; %bb.2024:
	s_cmp_gt_i32 s2, 0
	s_mov_b32 s1, -1
	s_cbranch_scc0 .LBB71_2026
; %bb.2025:
	s_wait_xcnt 0x0
	v_cndmask_b32_e64 v1, 0, 1, s0
	s_mov_b32 s1, 0
	global_store_b8 v[2:3], v1, off
.LBB71_2026:
	s_and_not1_b32 vcc_lo, exec_lo, s1
	s_cbranch_vccnz .LBB71_2028
; %bb.2027:
	s_wait_xcnt 0x0
	v_cndmask_b32_e64 v1, 0, 1, s0
	global_store_b8 v[2:3], v1, off
.LBB71_2028:
	s_mov_b32 s7, -1
.LBB71_2029:
	s_delay_alu instid0(SALU_CYCLE_1)
	s_and_not1_b32 vcc_lo, exec_lo, s7
	s_cbranch_vccnz .LBB71_2106
; %bb.2030:
	v_cmp_eq_f64_e64 s1, 0xfff00000, v[14:15]
	s_wait_xcnt 0x0
	v_mov_b32_e32 v1, 0
	s_cmp_lt_i32 s2, 11
	s_delay_alu instid0(VALU_DEP_1)
	v_add_nc_u64_e32 v[2:3], s[4:5], v[0:1]
	s_cbranch_scc1 .LBB71_2151
; %bb.2031:
	s_mov_b32 s4, -1
	s_mov_b32 s3, 0
	s_cmp_gt_i32 s2, 25
	s_mov_b32 s0, 0
	s_cbranch_scc0 .LBB71_2064
; %bb.2032:
	s_cmp_gt_i32 s2, 28
	s_cbranch_scc0 .LBB71_2048
; %bb.2033:
	s_cmp_gt_i32 s2, 43
	;; [unrolled: 3-line block ×3, first 2 shown]
	s_cbranch_scc0 .LBB71_2038
; %bb.2035:
	s_cmp_eq_u32 s2, 46
	s_mov_b32 s0, -1
	s_cbranch_scc0 .LBB71_2037
; %bb.2036:
	v_cndmask_b32_e64 v0, 0, 1.0, s1
	s_mov_b32 s0, 0
	s_delay_alu instid0(VALU_DEP_1) | instskip(NEXT) | instid1(VALU_DEP_1)
	v_bfe_u32 v1, v0, 16, 1
	v_add3_u32 v0, v0, v1, 0x7fff
	s_delay_alu instid0(VALU_DEP_1)
	v_lshrrev_b32_e32 v0, 16, v0
	global_store_b32 v[2:3], v0, off
.LBB71_2037:
	s_mov_b32 s4, 0
.LBB71_2038:
	s_delay_alu instid0(SALU_CYCLE_1)
	s_and_b32 vcc_lo, exec_lo, s4
	s_cbranch_vccz .LBB71_2043
; %bb.2039:
	s_cmp_eq_u32 s2, 44
	s_mov_b32 s0, -1
	s_cbranch_scc0 .LBB71_2043
; %bb.2040:
	v_cndmask_b32_e64 v4, 0, 1.0, s1
	s_mov_b32 s4, exec_lo
	s_wait_xcnt 0x0
	s_delay_alu instid0(VALU_DEP_1) | instskip(NEXT) | instid1(VALU_DEP_1)
	v_dual_mov_b32 v1, 0xff :: v_dual_lshrrev_b32 v0, 23, v4
	v_cmpx_ne_u32_e32 0xff, v0
; %bb.2041:
	v_and_b32_e32 v1, 0x400000, v4
	v_and_or_b32 v4, 0x3fffff, v4, v0
	s_delay_alu instid0(VALU_DEP_2) | instskip(NEXT) | instid1(VALU_DEP_2)
	v_cmp_ne_u32_e32 vcc_lo, 0, v1
	v_cmp_ne_u32_e64 s0, 0, v4
	s_and_b32 s0, vcc_lo, s0
	s_delay_alu instid0(SALU_CYCLE_1) | instskip(NEXT) | instid1(VALU_DEP_1)
	v_cndmask_b32_e64 v1, 0, 1, s0
	v_add_nc_u32_e32 v1, v0, v1
; %bb.2042:
	s_or_b32 exec_lo, exec_lo, s4
	s_mov_b32 s0, 0
	global_store_b8 v[2:3], v1, off
.LBB71_2043:
	s_mov_b32 s4, 0
.LBB71_2044:
	s_delay_alu instid0(SALU_CYCLE_1)
	s_and_b32 vcc_lo, exec_lo, s4
	s_cbranch_vccz .LBB71_2047
; %bb.2045:
	s_cmp_eq_u32 s2, 29
	s_mov_b32 s0, -1
	s_cbranch_scc0 .LBB71_2047
; %bb.2046:
	s_mov_b32 s0, 0
	s_wait_xcnt 0x0
	v_cndmask_b32_e64 v0, 0, 1, s1
	v_mov_b32_e32 v1, s0
	global_store_b64 v[2:3], v[0:1], off
.LBB71_2047:
	s_mov_b32 s4, 0
.LBB71_2048:
	s_delay_alu instid0(SALU_CYCLE_1)
	s_and_b32 vcc_lo, exec_lo, s4
	s_cbranch_vccz .LBB71_2063
; %bb.2049:
	s_cmp_lt_i32 s2, 27
	s_mov_b32 s4, -1
	s_cbranch_scc1 .LBB71_2055
; %bb.2050:
	s_cmp_gt_i32 s2, 27
	s_cbranch_scc0 .LBB71_2052
; %bb.2051:
	s_wait_xcnt 0x0
	v_cndmask_b32_e64 v0, 0, 1, s1
	s_mov_b32 s4, 0
	global_store_b32 v[2:3], v0, off
.LBB71_2052:
	s_and_not1_b32 vcc_lo, exec_lo, s4
	s_cbranch_vccnz .LBB71_2054
; %bb.2053:
	s_wait_xcnt 0x0
	v_cndmask_b32_e64 v0, 0, 1, s1
	global_store_b16 v[2:3], v0, off
.LBB71_2054:
	s_mov_b32 s4, 0
.LBB71_2055:
	s_delay_alu instid0(SALU_CYCLE_1)
	s_and_not1_b32 vcc_lo, exec_lo, s4
	s_cbranch_vccnz .LBB71_2063
; %bb.2056:
	s_wait_xcnt 0x0
	v_cndmask_b32_e64 v1, 0, 1.0, s1
	v_mov_b32_e32 v4, 0x80
	s_mov_b32 s4, exec_lo
	s_delay_alu instid0(VALU_DEP_2)
	v_cmpx_gt_u32_e32 0x43800000, v1
	s_cbranch_execz .LBB71_2062
; %bb.2057:
	s_mov_b32 s5, 0
	s_mov_b32 s7, exec_lo
                                        ; implicit-def: $vgpr0
	v_cmpx_lt_u32_e32 0x3bffffff, v1
	s_xor_b32 s7, exec_lo, s7
	s_cbranch_execz .LBB71_2168
; %bb.2058:
	v_bfe_u32 v0, v1, 20, 1
	s_mov_b32 s5, exec_lo
	s_delay_alu instid0(VALU_DEP_1) | instskip(NEXT) | instid1(VALU_DEP_1)
	v_add3_u32 v0, v1, v0, 0x487ffff
                                        ; implicit-def: $vgpr1
	v_lshrrev_b32_e32 v0, 20, v0
	s_and_not1_saveexec_b32 s7, s7
	s_cbranch_execnz .LBB71_2169
.LBB71_2059:
	s_or_b32 exec_lo, exec_lo, s7
	v_mov_b32_e32 v4, 0
	s_and_saveexec_b32 s7, s5
.LBB71_2060:
	v_mov_b32_e32 v4, v0
.LBB71_2061:
	s_or_b32 exec_lo, exec_lo, s7
.LBB71_2062:
	s_delay_alu instid0(SALU_CYCLE_1)
	s_or_b32 exec_lo, exec_lo, s4
	global_store_b8 v[2:3], v4, off
.LBB71_2063:
	s_mov_b32 s4, 0
.LBB71_2064:
	s_delay_alu instid0(SALU_CYCLE_1)
	s_and_b32 vcc_lo, exec_lo, s4
	s_cbranch_vccz .LBB71_2104
; %bb.2065:
	s_cmp_gt_i32 s2, 22
	s_mov_b32 s3, -1
	s_cbranch_scc0 .LBB71_2097
; %bb.2066:
	s_cmp_lt_i32 s2, 24
	s_cbranch_scc1 .LBB71_2086
; %bb.2067:
	s_cmp_gt_i32 s2, 24
	s_cbranch_scc0 .LBB71_2075
; %bb.2068:
	s_wait_xcnt 0x0
	v_cndmask_b32_e64 v1, 0, 1.0, s1
	v_mov_b32_e32 v4, 0x80
	s_mov_b32 s3, exec_lo
	s_delay_alu instid0(VALU_DEP_2)
	v_cmpx_gt_u32_e32 0x47800000, v1
	s_cbranch_execz .LBB71_2074
; %bb.2069:
	s_mov_b32 s4, 0
	s_mov_b32 s5, exec_lo
                                        ; implicit-def: $vgpr0
	v_cmpx_lt_u32_e32 0x37ffffff, v1
	s_xor_b32 s5, exec_lo, s5
	s_cbranch_execz .LBB71_2171
; %bb.2070:
	v_bfe_u32 v0, v1, 21, 1
	s_mov_b32 s4, exec_lo
	s_delay_alu instid0(VALU_DEP_1) | instskip(NEXT) | instid1(VALU_DEP_1)
	v_add3_u32 v0, v1, v0, 0x88fffff
                                        ; implicit-def: $vgpr1
	v_lshrrev_b32_e32 v0, 21, v0
	s_and_not1_saveexec_b32 s5, s5
	s_cbranch_execnz .LBB71_2172
.LBB71_2071:
	s_or_b32 exec_lo, exec_lo, s5
	v_mov_b32_e32 v4, 0
	s_and_saveexec_b32 s5, s4
.LBB71_2072:
	v_mov_b32_e32 v4, v0
.LBB71_2073:
	s_or_b32 exec_lo, exec_lo, s5
.LBB71_2074:
	s_delay_alu instid0(SALU_CYCLE_1)
	s_or_b32 exec_lo, exec_lo, s3
	s_mov_b32 s3, 0
	global_store_b8 v[2:3], v4, off
.LBB71_2075:
	s_and_b32 vcc_lo, exec_lo, s3
	s_cbranch_vccz .LBB71_2085
; %bb.2076:
	s_wait_xcnt 0x0
	v_cndmask_b32_e64 v1, 0, 1.0, s1
	s_mov_b32 s3, exec_lo
                                        ; implicit-def: $vgpr0
	s_delay_alu instid0(VALU_DEP_1)
	v_cmpx_gt_u32_e32 0x43f00000, v1
	s_xor_b32 s3, exec_lo, s3
	s_cbranch_execz .LBB71_2082
; %bb.2077:
	s_mov_b32 s4, exec_lo
                                        ; implicit-def: $vgpr0
	v_cmpx_lt_u32_e32 0x3c7fffff, v1
	s_xor_b32 s4, exec_lo, s4
; %bb.2078:
	v_bfe_u32 v0, v1, 20, 1
	s_delay_alu instid0(VALU_DEP_1) | instskip(NEXT) | instid1(VALU_DEP_1)
	v_add3_u32 v0, v1, v0, 0x407ffff
	v_and_b32_e32 v1, 0xff00000, v0
	v_lshrrev_b32_e32 v0, 20, v0
	s_delay_alu instid0(VALU_DEP_2) | instskip(NEXT) | instid1(VALU_DEP_2)
	v_cmp_ne_u32_e32 vcc_lo, 0x7f00000, v1
                                        ; implicit-def: $vgpr1
	v_cndmask_b32_e32 v0, 0x7e, v0, vcc_lo
; %bb.2079:
	s_and_not1_saveexec_b32 s4, s4
; %bb.2080:
	v_add_f32_e32 v0, 0x46800000, v1
; %bb.2081:
	s_or_b32 exec_lo, exec_lo, s4
                                        ; implicit-def: $vgpr1
.LBB71_2082:
	s_and_not1_saveexec_b32 s3, s3
; %bb.2083:
	v_mov_b32_e32 v0, 0x7f
	v_cmp_lt_u32_e32 vcc_lo, 0x7f800000, v1
	s_delay_alu instid0(VALU_DEP_2)
	v_cndmask_b32_e32 v0, 0x7e, v0, vcc_lo
; %bb.2084:
	s_or_b32 exec_lo, exec_lo, s3
	global_store_b8 v[2:3], v0, off
.LBB71_2085:
	s_mov_b32 s3, 0
.LBB71_2086:
	s_delay_alu instid0(SALU_CYCLE_1)
	s_and_not1_b32 vcc_lo, exec_lo, s3
	s_cbranch_vccnz .LBB71_2096
; %bb.2087:
	s_wait_xcnt 0x0
	v_cndmask_b32_e64 v1, 0, 1.0, s1
	s_mov_b32 s3, exec_lo
                                        ; implicit-def: $vgpr0
	s_delay_alu instid0(VALU_DEP_1)
	v_cmpx_gt_u32_e32 0x47800000, v1
	s_xor_b32 s3, exec_lo, s3
	s_cbranch_execz .LBB71_2093
; %bb.2088:
	s_mov_b32 s4, exec_lo
                                        ; implicit-def: $vgpr0
	v_cmpx_lt_u32_e32 0x387fffff, v1
	s_xor_b32 s4, exec_lo, s4
; %bb.2089:
	v_bfe_u32 v0, v1, 21, 1
	s_delay_alu instid0(VALU_DEP_1) | instskip(NEXT) | instid1(VALU_DEP_1)
	v_add3_u32 v0, v1, v0, 0x80fffff
                                        ; implicit-def: $vgpr1
	v_lshrrev_b32_e32 v0, 21, v0
; %bb.2090:
	s_and_not1_saveexec_b32 s4, s4
; %bb.2091:
	v_add_f32_e32 v0, 0x43000000, v1
; %bb.2092:
	s_or_b32 exec_lo, exec_lo, s4
                                        ; implicit-def: $vgpr1
.LBB71_2093:
	s_and_not1_saveexec_b32 s3, s3
; %bb.2094:
	v_mov_b32_e32 v0, 0x7f
	v_cmp_lt_u32_e32 vcc_lo, 0x7f800000, v1
	s_delay_alu instid0(VALU_DEP_2)
	v_cndmask_b32_e32 v0, 0x7c, v0, vcc_lo
; %bb.2095:
	s_or_b32 exec_lo, exec_lo, s3
	global_store_b8 v[2:3], v0, off
.LBB71_2096:
	s_mov_b32 s3, 0
.LBB71_2097:
	s_delay_alu instid0(SALU_CYCLE_1)
	s_and_not1_b32 vcc_lo, exec_lo, s3
	s_mov_b32 s3, 0
	s_cbranch_vccnz .LBB71_2104
; %bb.2098:
	s_cmp_gt_i32 s2, 14
	s_mov_b32 s3, -1
	s_cbranch_scc0 .LBB71_2102
; %bb.2099:
	s_cmp_eq_u32 s2, 15
	s_mov_b32 s0, -1
	s_cbranch_scc0 .LBB71_2101
; %bb.2100:
	s_wait_xcnt 0x0
	v_cndmask_b32_e64 v0, 0, 1.0, s1
	s_mov_b32 s0, 0
	s_delay_alu instid0(VALU_DEP_1) | instskip(NEXT) | instid1(VALU_DEP_1)
	v_bfe_u32 v1, v0, 16, 1
	v_add3_u32 v0, v0, v1, 0x7fff
	global_store_d16_hi_b16 v[2:3], v0, off
.LBB71_2101:
	s_mov_b32 s3, 0
.LBB71_2102:
	s_delay_alu instid0(SALU_CYCLE_1)
	s_and_b32 vcc_lo, exec_lo, s3
	s_mov_b32 s3, 0
	s_cbranch_vccz .LBB71_2104
; %bb.2103:
	s_cmp_lg_u32 s2, 11
	s_mov_b32 s3, -1
	s_cselect_b32 s0, -1, 0
.LBB71_2104:
	s_delay_alu instid0(SALU_CYCLE_1)
	s_and_b32 vcc_lo, exec_lo, s0
	s_cbranch_vccnz .LBB71_2170
.LBB71_2105:
	s_mov_b32 s0, 0
	s_branch .LBB71_2107
.LBB71_2106:
	s_mov_b32 s0, 0
	s_wait_xcnt 0x0
	s_mov_b32 s3, 0
                                        ; implicit-def: $sgpr1
                                        ; implicit-def: $vgpr2_vgpr3
                                        ; implicit-def: $sgpr6
.LBB71_2107:
	s_and_not1_b32 s2, s8, exec_lo
	s_and_b32 s4, s10, exec_lo
	s_and_b32 s0, s0, exec_lo
	;; [unrolled: 1-line block ×3, first 2 shown]
	s_or_b32 s8, s2, s4
.LBB71_2108:
	s_wait_xcnt 0x0
	s_or_b32 exec_lo, exec_lo, s9
	s_and_saveexec_b32 s2, s8
	s_cbranch_execz .LBB71_2111
; %bb.2109:
	; divergent unreachable
	s_or_b32 exec_lo, exec_lo, s2
	s_and_saveexec_b32 s2, s30
	s_delay_alu instid0(SALU_CYCLE_1)
	s_xor_b32 s2, exec_lo, s2
	s_cbranch_execnz .LBB71_2112
.LBB71_2110:
	s_or_b32 exec_lo, exec_lo, s2
	s_and_saveexec_b32 s2, s0
	s_cbranch_execnz .LBB71_2113
	s_branch .LBB71_2150
.LBB71_2111:
	s_or_b32 exec_lo, exec_lo, s2
	s_and_saveexec_b32 s2, s30
	s_delay_alu instid0(SALU_CYCLE_1)
	s_xor_b32 s2, exec_lo, s2
	s_cbranch_execz .LBB71_2110
.LBB71_2112:
	v_cndmask_b32_e64 v0, 0, 1, s1
	global_store_b8 v[2:3], v0, off
	s_wait_xcnt 0x0
	s_or_b32 exec_lo, exec_lo, s2
	s_and_saveexec_b32 s2, s0
	s_cbranch_execz .LBB71_2150
.LBB71_2113:
	s_sext_i32_i16 s2, s6
	s_mov_b32 s0, -1
	s_cmp_lt_i32 s2, 5
	s_cbranch_scc1 .LBB71_2134
; %bb.2114:
	s_cmp_lt_i32 s2, 8
	s_cbranch_scc1 .LBB71_2124
; %bb.2115:
	;; [unrolled: 3-line block ×3, first 2 shown]
	s_cmp_gt_i32 s2, 9
	s_cbranch_scc0 .LBB71_2118
; %bb.2117:
	v_cndmask_b32_e64 v0, 0, 1, s1
	s_wait_loadcnt 0x0
	v_mov_b32_e32 v6, 0
	s_mov_b32 s0, 0
	s_delay_alu instid0(VALU_DEP_2) | instskip(NEXT) | instid1(VALU_DEP_2)
	v_cvt_f64_u32_e32 v[4:5], v0
	v_mov_b32_e32 v7, v6
	global_store_b128 v[2:3], v[4:7], off
.LBB71_2118:
	s_and_not1_b32 vcc_lo, exec_lo, s0
	s_cbranch_vccnz .LBB71_2120
; %bb.2119:
	v_cndmask_b32_e64 v0, 0, 1.0, s1
	v_mov_b32_e32 v1, 0
	global_store_b64 v[2:3], v[0:1], off
.LBB71_2120:
	s_mov_b32 s0, 0
.LBB71_2121:
	s_delay_alu instid0(SALU_CYCLE_1)
	s_and_not1_b32 vcc_lo, exec_lo, s0
	s_cbranch_vccnz .LBB71_2123
; %bb.2122:
	s_wait_xcnt 0x0
	v_cndmask_b32_e64 v0, 0, 1.0, s1
	s_delay_alu instid0(VALU_DEP_1) | instskip(NEXT) | instid1(VALU_DEP_1)
	v_cvt_f16_f32_e32 v0, v0
	v_and_b32_e32 v0, 0xffff, v0
	global_store_b32 v[2:3], v0, off
.LBB71_2123:
	s_mov_b32 s0, 0
.LBB71_2124:
	s_delay_alu instid0(SALU_CYCLE_1)
	s_and_not1_b32 vcc_lo, exec_lo, s0
	s_cbranch_vccnz .LBB71_2133
; %bb.2125:
	s_sext_i32_i16 s2, s6
	s_mov_b32 s0, -1
	s_cmp_lt_i32 s2, 6
	s_cbranch_scc1 .LBB71_2131
; %bb.2126:
	s_cmp_gt_i32 s2, 6
	s_cbranch_scc0 .LBB71_2128
; %bb.2127:
	s_wait_xcnt 0x0
	v_cndmask_b32_e64 v0, 0, 1, s1
	s_mov_b32 s0, 0
	s_delay_alu instid0(VALU_DEP_1)
	v_cvt_f64_u32_e32 v[0:1], v0
	global_store_b64 v[2:3], v[0:1], off
.LBB71_2128:
	s_and_not1_b32 vcc_lo, exec_lo, s0
	s_cbranch_vccnz .LBB71_2130
; %bb.2129:
	s_wait_xcnt 0x0
	v_cndmask_b32_e64 v0, 0, 1.0, s1
	global_store_b32 v[2:3], v0, off
.LBB71_2130:
	s_mov_b32 s0, 0
.LBB71_2131:
	s_delay_alu instid0(SALU_CYCLE_1)
	s_and_not1_b32 vcc_lo, exec_lo, s0
	s_cbranch_vccnz .LBB71_2133
; %bb.2132:
	s_wait_xcnt 0x0
	v_cndmask_b32_e64 v0, 0, 1.0, s1
	s_delay_alu instid0(VALU_DEP_1)
	v_cvt_f16_f32_e32 v0, v0
	global_store_b16 v[2:3], v0, off
.LBB71_2133:
	s_mov_b32 s0, 0
.LBB71_2134:
	s_delay_alu instid0(SALU_CYCLE_1)
	s_and_not1_b32 vcc_lo, exec_lo, s0
	s_cbranch_vccnz .LBB71_2150
; %bb.2135:
	s_sext_i32_i16 s2, s6
	s_mov_b32 s0, -1
	s_cmp_lt_i32 s2, 2
	s_cbranch_scc1 .LBB71_2145
; %bb.2136:
	s_cmp_lt_i32 s2, 3
	s_cbranch_scc1 .LBB71_2142
; %bb.2137:
	s_cmp_gt_i32 s2, 3
	s_cbranch_scc0 .LBB71_2139
; %bb.2138:
	s_mov_b32 s0, 0
	s_wait_xcnt 0x0
	v_cndmask_b32_e64 v0, 0, 1, s1
	v_mov_b32_e32 v1, s0
	global_store_b64 v[2:3], v[0:1], off
.LBB71_2139:
	s_and_not1_b32 vcc_lo, exec_lo, s0
	s_cbranch_vccnz .LBB71_2141
; %bb.2140:
	s_wait_xcnt 0x0
	v_cndmask_b32_e64 v0, 0, 1, s1
	global_store_b32 v[2:3], v0, off
.LBB71_2141:
	s_mov_b32 s0, 0
.LBB71_2142:
	s_delay_alu instid0(SALU_CYCLE_1)
	s_and_not1_b32 vcc_lo, exec_lo, s0
	s_cbranch_vccnz .LBB71_2144
; %bb.2143:
	s_wait_xcnt 0x0
	v_cndmask_b32_e64 v0, 0, 1, s1
	global_store_b16 v[2:3], v0, off
.LBB71_2144:
	s_mov_b32 s0, 0
.LBB71_2145:
	s_delay_alu instid0(SALU_CYCLE_1)
	s_and_not1_b32 vcc_lo, exec_lo, s0
	s_cbranch_vccnz .LBB71_2150
; %bb.2146:
	s_sext_i32_i16 s0, s6
	s_delay_alu instid0(SALU_CYCLE_1)
	s_cmp_gt_i32 s0, 0
	s_mov_b32 s0, -1
	s_cbranch_scc0 .LBB71_2148
; %bb.2147:
	s_wait_xcnt 0x0
	v_cndmask_b32_e64 v0, 0, 1, s1
	s_mov_b32 s0, 0
	global_store_b8 v[2:3], v0, off
.LBB71_2148:
	s_and_not1_b32 vcc_lo, exec_lo, s0
	s_cbranch_vccnz .LBB71_2150
; %bb.2149:
	s_wait_xcnt 0x0
	v_cndmask_b32_e64 v0, 0, 1, s1
	global_store_b8 v[2:3], v0, off
	s_endpgm
.LBB71_2150:
	s_endpgm
.LBB71_2151:
	s_mov_b32 s3, 0
	s_mov_b32 s0, -1
	s_branch .LBB71_2107
.LBB71_2152:
	s_or_b32 s10, s10, exec_lo
	s_trap 2
	s_cbranch_execz .LBB71_1621
	s_branch .LBB71_1622
.LBB71_2153:
	s_and_not1_saveexec_b32 s12, s12
	s_cbranch_execz .LBB71_1701
.LBB71_2154:
	v_add_f32_e32 v1, 0x46000000, v3
	s_and_not1_b32 s11, s11, exec_lo
	s_delay_alu instid0(VALU_DEP_1) | instskip(NEXT) | instid1(VALU_DEP_1)
	v_and_b32_e32 v1, 0xff, v1
	v_cmp_ne_u32_e32 vcc_lo, 0, v1
	s_and_b32 s13, vcc_lo, exec_lo
	s_delay_alu instid0(SALU_CYCLE_1)
	s_or_b32 s11, s11, s13
	s_or_b32 exec_lo, exec_lo, s12
	v_mov_b32_e32 v5, 0
	s_and_saveexec_b32 s12, s11
	s_cbranch_execnz .LBB71_1702
	s_branch .LBB71_1703
.LBB71_2155:
	s_or_b32 s10, s10, exec_lo
	s_trap 2
	s_cbranch_execz .LBB71_1749
	s_branch .LBB71_1750
.LBB71_2156:
	s_and_not1_saveexec_b32 s11, s11
	s_cbranch_execz .LBB71_1714
.LBB71_2157:
	v_add_f32_e32 v1, 0x42800000, v3
	s_and_not1_b32 s7, s7, exec_lo
	s_delay_alu instid0(VALU_DEP_1) | instskip(NEXT) | instid1(VALU_DEP_1)
	v_and_b32_e32 v1, 0xff, v1
	v_cmp_ne_u32_e32 vcc_lo, 0, v1
	s_and_b32 s12, vcc_lo, exec_lo
	s_delay_alu instid0(SALU_CYCLE_1)
	s_or_b32 s7, s7, s12
	s_or_b32 exec_lo, exec_lo, s11
	v_mov_b32_e32 v5, 0
	s_and_saveexec_b32 s11, s7
	s_cbranch_execnz .LBB71_1715
	s_branch .LBB71_1716
.LBB71_2158:
	s_and_not1_saveexec_b32 s12, s12
	s_cbranch_execz .LBB71_1820
.LBB71_2159:
	v_add_f32_e32 v1, 0x46000000, v3
	s_and_not1_b32 s11, s11, exec_lo
	s_delay_alu instid0(VALU_DEP_1) | instskip(NEXT) | instid1(VALU_DEP_1)
	v_and_b32_e32 v1, 0xff, v1
	v_cmp_ne_u32_e32 vcc_lo, 0, v1
	s_and_b32 s13, vcc_lo, exec_lo
	s_delay_alu instid0(SALU_CYCLE_1)
	s_or_b32 s11, s11, s13
	s_or_b32 exec_lo, exec_lo, s12
	v_mov_b32_e32 v6, 0
	s_and_saveexec_b32 s12, s11
	s_cbranch_execnz .LBB71_1821
	s_branch .LBB71_1822
.LBB71_2160:
	s_or_b32 s10, s10, exec_lo
	s_trap 2
	s_cbranch_execz .LBB71_1868
	s_branch .LBB71_1869
.LBB71_2161:
	s_and_not1_saveexec_b32 s11, s11
	s_cbranch_execz .LBB71_1833
.LBB71_2162:
	v_add_f32_e32 v1, 0x42800000, v3
	s_and_not1_b32 s7, s7, exec_lo
	s_delay_alu instid0(VALU_DEP_1) | instskip(NEXT) | instid1(VALU_DEP_1)
	v_and_b32_e32 v1, 0xff, v1
	v_cmp_ne_u32_e32 vcc_lo, 0, v1
	s_and_b32 s12, vcc_lo, exec_lo
	s_delay_alu instid0(SALU_CYCLE_1)
	s_or_b32 s7, s7, s12
	s_or_b32 exec_lo, exec_lo, s11
	v_mov_b32_e32 v6, 0
	s_and_saveexec_b32 s11, s7
	s_cbranch_execnz .LBB71_1834
	s_branch .LBB71_1835
.LBB71_2163:
	s_and_not1_saveexec_b32 s12, s12
	s_cbranch_execz .LBB71_1939
.LBB71_2164:
	v_add_f32_e32 v1, 0x46000000, v4
	s_and_not1_b32 s11, s11, exec_lo
	s_delay_alu instid0(VALU_DEP_1) | instskip(NEXT) | instid1(VALU_DEP_1)
	v_and_b32_e32 v1, 0xff, v1
	v_cmp_ne_u32_e32 vcc_lo, 0, v1
	s_and_b32 s13, vcc_lo, exec_lo
	s_delay_alu instid0(SALU_CYCLE_1)
	s_or_b32 s11, s11, s13
	s_or_b32 exec_lo, exec_lo, s12
	v_mov_b32_e32 v5, 0
	s_and_saveexec_b32 s12, s11
	s_cbranch_execnz .LBB71_1940
	s_branch .LBB71_1941
.LBB71_2165:
	s_or_b32 s10, s10, exec_lo
	s_trap 2
	s_cbranch_execz .LBB71_1987
	s_branch .LBB71_1988
.LBB71_2166:
	s_and_not1_saveexec_b32 s11, s11
	s_cbranch_execz .LBB71_1952
.LBB71_2167:
	v_add_f32_e32 v1, 0x42800000, v4
	s_and_not1_b32 s7, s7, exec_lo
	s_delay_alu instid0(VALU_DEP_1) | instskip(NEXT) | instid1(VALU_DEP_1)
	v_and_b32_e32 v1, 0xff, v1
	v_cmp_ne_u32_e32 vcc_lo, 0, v1
	s_and_b32 s12, vcc_lo, exec_lo
	s_delay_alu instid0(SALU_CYCLE_1)
	s_or_b32 s7, s7, s12
	s_or_b32 exec_lo, exec_lo, s11
	v_mov_b32_e32 v5, 0
	s_and_saveexec_b32 s11, s7
	s_cbranch_execnz .LBB71_1953
	s_branch .LBB71_1954
.LBB71_2168:
	s_and_not1_saveexec_b32 s7, s7
	s_cbranch_execz .LBB71_2059
.LBB71_2169:
	v_add_f32_e32 v0, 0x46000000, v1
	s_and_not1_b32 s5, s5, exec_lo
	s_delay_alu instid0(VALU_DEP_1) | instskip(NEXT) | instid1(VALU_DEP_1)
	v_and_b32_e32 v0, 0xff, v0
	v_cmp_ne_u32_e32 vcc_lo, 0, v0
	s_and_b32 s11, vcc_lo, exec_lo
	s_delay_alu instid0(SALU_CYCLE_1)
	s_or_b32 s5, s5, s11
	s_or_b32 exec_lo, exec_lo, s7
	v_mov_b32_e32 v4, 0
	s_and_saveexec_b32 s7, s5
	s_cbranch_execnz .LBB71_2060
	s_branch .LBB71_2061
.LBB71_2170:
	s_mov_b32 s3, 0
	s_or_b32 s10, s10, exec_lo
	s_trap 2
	s_branch .LBB71_2105
.LBB71_2171:
	s_and_not1_saveexec_b32 s5, s5
	s_cbranch_execz .LBB71_2071
.LBB71_2172:
	v_add_f32_e32 v0, 0x42800000, v1
	s_and_not1_b32 s4, s4, exec_lo
	s_delay_alu instid0(VALU_DEP_1) | instskip(NEXT) | instid1(VALU_DEP_1)
	v_and_b32_e32 v0, 0xff, v0
	v_cmp_ne_u32_e32 vcc_lo, 0, v0
	s_and_b32 s7, vcc_lo, exec_lo
	s_delay_alu instid0(SALU_CYCLE_1)
	s_or_b32 s4, s4, s7
	s_or_b32 exec_lo, exec_lo, s5
	v_mov_b32_e32 v4, 0
	s_and_saveexec_b32 s5, s4
	s_cbranch_execnz .LBB71_2072
	s_branch .LBB71_2073
	.section	.rodata,"a",@progbits
	.p2align	6, 0x0
	.amdhsa_kernel _ZN2at6native32elementwise_kernel_manual_unrollILi128ELi4EZNS0_15gpu_kernel_implIZZZNS0_12_GLOBAL__N_120isneginf_kernel_implERNS_18TensorIteratorBaseEENKUlvE_clEvENKUlvE_clEvEUldE_EEvS5_RKT_EUlibE0_EEviT1_
		.amdhsa_group_segment_fixed_size 0
		.amdhsa_private_segment_fixed_size 0
		.amdhsa_kernarg_size 360
		.amdhsa_user_sgpr_count 2
		.amdhsa_user_sgpr_dispatch_ptr 0
		.amdhsa_user_sgpr_queue_ptr 0
		.amdhsa_user_sgpr_kernarg_segment_ptr 1
		.amdhsa_user_sgpr_dispatch_id 0
		.amdhsa_user_sgpr_kernarg_preload_length 0
		.amdhsa_user_sgpr_kernarg_preload_offset 0
		.amdhsa_user_sgpr_private_segment_size 0
		.amdhsa_wavefront_size32 1
		.amdhsa_uses_dynamic_stack 0
		.amdhsa_enable_private_segment 0
		.amdhsa_system_sgpr_workgroup_id_x 1
		.amdhsa_system_sgpr_workgroup_id_y 0
		.amdhsa_system_sgpr_workgroup_id_z 0
		.amdhsa_system_sgpr_workgroup_info 0
		.amdhsa_system_vgpr_workitem_id 0
		.amdhsa_next_free_vgpr 20
		.amdhsa_next_free_sgpr 68
		.amdhsa_named_barrier_count 0
		.amdhsa_reserve_vcc 1
		.amdhsa_float_round_mode_32 0
		.amdhsa_float_round_mode_16_64 0
		.amdhsa_float_denorm_mode_32 3
		.amdhsa_float_denorm_mode_16_64 3
		.amdhsa_fp16_overflow 0
		.amdhsa_memory_ordered 1
		.amdhsa_forward_progress 1
		.amdhsa_inst_pref_size 255
		.amdhsa_round_robin_scheduling 0
		.amdhsa_exception_fp_ieee_invalid_op 0
		.amdhsa_exception_fp_denorm_src 0
		.amdhsa_exception_fp_ieee_div_zero 0
		.amdhsa_exception_fp_ieee_overflow 0
		.amdhsa_exception_fp_ieee_underflow 0
		.amdhsa_exception_fp_ieee_inexact 0
		.amdhsa_exception_int_div_zero 0
	.end_amdhsa_kernel
	.section	.text._ZN2at6native32elementwise_kernel_manual_unrollILi128ELi4EZNS0_15gpu_kernel_implIZZZNS0_12_GLOBAL__N_120isneginf_kernel_implERNS_18TensorIteratorBaseEENKUlvE_clEvENKUlvE_clEvEUldE_EEvS5_RKT_EUlibE0_EEviT1_,"axG",@progbits,_ZN2at6native32elementwise_kernel_manual_unrollILi128ELi4EZNS0_15gpu_kernel_implIZZZNS0_12_GLOBAL__N_120isneginf_kernel_implERNS_18TensorIteratorBaseEENKUlvE_clEvENKUlvE_clEvEUldE_EEvS5_RKT_EUlibE0_EEviT1_,comdat
.Lfunc_end71:
	.size	_ZN2at6native32elementwise_kernel_manual_unrollILi128ELi4EZNS0_15gpu_kernel_implIZZZNS0_12_GLOBAL__N_120isneginf_kernel_implERNS_18TensorIteratorBaseEENKUlvE_clEvENKUlvE_clEvEUldE_EEvS5_RKT_EUlibE0_EEviT1_, .Lfunc_end71-_ZN2at6native32elementwise_kernel_manual_unrollILi128ELi4EZNS0_15gpu_kernel_implIZZZNS0_12_GLOBAL__N_120isneginf_kernel_implERNS_18TensorIteratorBaseEENKUlvE_clEvENKUlvE_clEvEUldE_EEvS5_RKT_EUlibE0_EEviT1_
                                        ; -- End function
	.set _ZN2at6native32elementwise_kernel_manual_unrollILi128ELi4EZNS0_15gpu_kernel_implIZZZNS0_12_GLOBAL__N_120isneginf_kernel_implERNS_18TensorIteratorBaseEENKUlvE_clEvENKUlvE_clEvEUldE_EEvS5_RKT_EUlibE0_EEviT1_.num_vgpr, 20
	.set _ZN2at6native32elementwise_kernel_manual_unrollILi128ELi4EZNS0_15gpu_kernel_implIZZZNS0_12_GLOBAL__N_120isneginf_kernel_implERNS_18TensorIteratorBaseEENKUlvE_clEvENKUlvE_clEvEUldE_EEvS5_RKT_EUlibE0_EEviT1_.num_agpr, 0
	.set _ZN2at6native32elementwise_kernel_manual_unrollILi128ELi4EZNS0_15gpu_kernel_implIZZZNS0_12_GLOBAL__N_120isneginf_kernel_implERNS_18TensorIteratorBaseEENKUlvE_clEvENKUlvE_clEvEUldE_EEvS5_RKT_EUlibE0_EEviT1_.numbered_sgpr, 68
	.set _ZN2at6native32elementwise_kernel_manual_unrollILi128ELi4EZNS0_15gpu_kernel_implIZZZNS0_12_GLOBAL__N_120isneginf_kernel_implERNS_18TensorIteratorBaseEENKUlvE_clEvENKUlvE_clEvEUldE_EEvS5_RKT_EUlibE0_EEviT1_.num_named_barrier, 0
	.set _ZN2at6native32elementwise_kernel_manual_unrollILi128ELi4EZNS0_15gpu_kernel_implIZZZNS0_12_GLOBAL__N_120isneginf_kernel_implERNS_18TensorIteratorBaseEENKUlvE_clEvENKUlvE_clEvEUldE_EEvS5_RKT_EUlibE0_EEviT1_.private_seg_size, 0
	.set _ZN2at6native32elementwise_kernel_manual_unrollILi128ELi4EZNS0_15gpu_kernel_implIZZZNS0_12_GLOBAL__N_120isneginf_kernel_implERNS_18TensorIteratorBaseEENKUlvE_clEvENKUlvE_clEvEUldE_EEvS5_RKT_EUlibE0_EEviT1_.uses_vcc, 1
	.set _ZN2at6native32elementwise_kernel_manual_unrollILi128ELi4EZNS0_15gpu_kernel_implIZZZNS0_12_GLOBAL__N_120isneginf_kernel_implERNS_18TensorIteratorBaseEENKUlvE_clEvENKUlvE_clEvEUldE_EEvS5_RKT_EUlibE0_EEviT1_.uses_flat_scratch, 0
	.set _ZN2at6native32elementwise_kernel_manual_unrollILi128ELi4EZNS0_15gpu_kernel_implIZZZNS0_12_GLOBAL__N_120isneginf_kernel_implERNS_18TensorIteratorBaseEENKUlvE_clEvENKUlvE_clEvEUldE_EEvS5_RKT_EUlibE0_EEviT1_.has_dyn_sized_stack, 0
	.set _ZN2at6native32elementwise_kernel_manual_unrollILi128ELi4EZNS0_15gpu_kernel_implIZZZNS0_12_GLOBAL__N_120isneginf_kernel_implERNS_18TensorIteratorBaseEENKUlvE_clEvENKUlvE_clEvEUldE_EEvS5_RKT_EUlibE0_EEviT1_.has_recursion, 0
	.set _ZN2at6native32elementwise_kernel_manual_unrollILi128ELi4EZNS0_15gpu_kernel_implIZZZNS0_12_GLOBAL__N_120isneginf_kernel_implERNS_18TensorIteratorBaseEENKUlvE_clEvENKUlvE_clEvEUldE_EEvS5_RKT_EUlibE0_EEviT1_.has_indirect_call, 0
	.section	.AMDGPU.csdata,"",@progbits
; Kernel info:
; codeLenInByte = 41800
; TotalNumSgprs: 70
; NumVgprs: 20
; ScratchSize: 0
; MemoryBound: 1
; FloatMode: 240
; IeeeMode: 1
; LDSByteSize: 0 bytes/workgroup (compile time only)
; SGPRBlocks: 0
; VGPRBlocks: 1
; NumSGPRsForWavesPerEU: 70
; NumVGPRsForWavesPerEU: 20
; NamedBarCnt: 0
; Occupancy: 16
; WaveLimiterHint : 1
; COMPUTE_PGM_RSRC2:SCRATCH_EN: 0
; COMPUTE_PGM_RSRC2:USER_SGPR: 2
; COMPUTE_PGM_RSRC2:TRAP_HANDLER: 0
; COMPUTE_PGM_RSRC2:TGID_X_EN: 1
; COMPUTE_PGM_RSRC2:TGID_Y_EN: 0
; COMPUTE_PGM_RSRC2:TGID_Z_EN: 0
; COMPUTE_PGM_RSRC2:TIDIG_COMP_CNT: 0
	.section	.text._ZN2at6native29vectorized_elementwise_kernelILi16EZZZNS0_12_GLOBAL__N_120isneginf_kernel_implERNS_18TensorIteratorBaseEENKUlvE_clEvENKUlvE0_clEvEUlfE_St5arrayIPcLm2EEEEviT0_T1_,"axG",@progbits,_ZN2at6native29vectorized_elementwise_kernelILi16EZZZNS0_12_GLOBAL__N_120isneginf_kernel_implERNS_18TensorIteratorBaseEENKUlvE_clEvENKUlvE0_clEvEUlfE_St5arrayIPcLm2EEEEviT0_T1_,comdat
	.globl	_ZN2at6native29vectorized_elementwise_kernelILi16EZZZNS0_12_GLOBAL__N_120isneginf_kernel_implERNS_18TensorIteratorBaseEENKUlvE_clEvENKUlvE0_clEvEUlfE_St5arrayIPcLm2EEEEviT0_T1_ ; -- Begin function _ZN2at6native29vectorized_elementwise_kernelILi16EZZZNS0_12_GLOBAL__N_120isneginf_kernel_implERNS_18TensorIteratorBaseEENKUlvE_clEvENKUlvE0_clEvEUlfE_St5arrayIPcLm2EEEEviT0_T1_
	.p2align	8
	.type	_ZN2at6native29vectorized_elementwise_kernelILi16EZZZNS0_12_GLOBAL__N_120isneginf_kernel_implERNS_18TensorIteratorBaseEENKUlvE_clEvENKUlvE0_clEvEUlfE_St5arrayIPcLm2EEEEviT0_T1_,@function
_ZN2at6native29vectorized_elementwise_kernelILi16EZZZNS0_12_GLOBAL__N_120isneginf_kernel_implERNS_18TensorIteratorBaseEENKUlvE_clEvENKUlvE0_clEvEUlfE_St5arrayIPcLm2EEEEviT0_T1_: ; @_ZN2at6native29vectorized_elementwise_kernelILi16EZZZNS0_12_GLOBAL__N_120isneginf_kernel_implERNS_18TensorIteratorBaseEENKUlvE_clEvENKUlvE0_clEvEUlfE_St5arrayIPcLm2EEEEviT0_T1_
; %bb.0:
	s_clause 0x1
	s_load_b32 s3, s[0:1], 0x0
	s_load_b128 s[4:7], s[0:1], 0x8
	s_wait_xcnt 0x0
	s_bfe_u32 s0, ttmp6, 0x4000c
	s_and_b32 s1, ttmp6, 15
	s_add_co_i32 s0, s0, 1
	s_getreg_b32 s2, hwreg(HW_REG_IB_STS2, 6, 4)
	s_mul_i32 s0, ttmp9, s0
	s_delay_alu instid0(SALU_CYCLE_1) | instskip(SKIP_2) | instid1(SALU_CYCLE_1)
	s_add_co_i32 s1, s1, s0
	s_cmp_eq_u32 s2, 0
	s_cselect_b32 s0, ttmp9, s1
	s_lshl_b32 s2, s0, 12
	s_mov_b32 s0, -1
	s_wait_kmcnt 0x0
	s_sub_co_i32 s1, s3, s2
	s_delay_alu instid0(SALU_CYCLE_1)
	s_cmp_gt_i32 s1, 0xfff
	s_cbranch_scc0 .LBB72_2
; %bb.1:
	s_ashr_i32 s3, s2, 31
	v_lshlrev_b32_e32 v1, 6, v0
	s_lshl_b64 s[8:9], s[2:3], 2
	s_mov_b32 s0, 0
	s_add_nc_u64 s[8:9], s[6:7], s[8:9]
	s_clause 0x3
	global_load_b128 v[2:5], v1, s[8:9] offset:16
	global_load_b128 v[6:9], v1, s[8:9]
	global_load_b128 v[10:13], v1, s[8:9] offset:48
	global_load_b128 v[14:17], v1, s[8:9] offset:32
	s_wait_xcnt 0x0
	s_add_nc_u64 s[8:9], s[4:5], s[2:3]
	s_wait_loadcnt 0x3
	v_cmp_eq_f32_e32 vcc_lo, 0xff800000, v3
	v_cndmask_b32_e64 v1, 0, 1, vcc_lo
	v_cmp_eq_f32_e32 vcc_lo, 0xff800000, v2
	s_delay_alu instid0(VALU_DEP_2) | instskip(SKIP_2) | instid1(VALU_DEP_2)
	v_lshlrev_b16 v1, 8, v1
	v_cndmask_b32_e64 v2, 0, 1, vcc_lo
	v_cmp_eq_f32_e32 vcc_lo, 0xff800000, v5
	v_or_b32_e32 v1, v2, v1
	v_cndmask_b32_e64 v3, 0, 1, vcc_lo
	v_cmp_eq_f32_e32 vcc_lo, 0xff800000, v4
	s_delay_alu instid0(VALU_DEP_2) | instskip(SKIP_3) | instid1(VALU_DEP_2)
	v_lshlrev_b16 v3, 8, v3
	v_cndmask_b32_e64 v4, 0, 1, vcc_lo
	s_wait_loadcnt 0x2
	v_cmp_eq_f32_e32 vcc_lo, 0xff800000, v7
	v_or_b32_e32 v2, v4, v3
	v_cndmask_b32_e64 v5, 0, 1, vcc_lo
	v_cmp_eq_f32_e32 vcc_lo, 0xff800000, v6
	s_delay_alu instid0(VALU_DEP_3) | instskip(NEXT) | instid1(VALU_DEP_3)
	v_lshlrev_b32_e32 v2, 16, v2
	v_lshlrev_b16 v5, 8, v5
	v_cndmask_b32_e64 v6, 0, 1, vcc_lo
	v_cmp_eq_f32_e32 vcc_lo, 0xff800000, v9
	v_and_b32_e32 v1, 0xffff, v1
	v_cndmask_b32_e64 v7, 0, 1, vcc_lo
	v_cmp_eq_f32_e32 vcc_lo, 0xff800000, v8
	s_delay_alu instid0(VALU_DEP_2) | instskip(SKIP_3) | instid1(VALU_DEP_2)
	v_lshlrev_b16 v7, 8, v7
	v_cndmask_b32_e64 v8, 0, 1, vcc_lo
	s_wait_loadcnt 0x1
	v_cmp_eq_f32_e32 vcc_lo, 0xff800000, v11
	v_or_b32_e32 v4, v8, v7
	v_cndmask_b32_e64 v9, 0, 1, vcc_lo
	v_cmp_eq_f32_e32 vcc_lo, 0xff800000, v10
	v_or_b32_e32 v3, v6, v5
	s_delay_alu instid0(VALU_DEP_3) | instskip(SKIP_4) | instid1(VALU_DEP_2)
	v_lshlrev_b16 v9, 8, v9
	v_cndmask_b32_e64 v10, 0, 1, vcc_lo
	v_cmp_eq_f32_e32 vcc_lo, 0xff800000, v13
	v_cndmask_b32_e64 v11, 0, 1, vcc_lo
	v_cmp_eq_f32_e32 vcc_lo, 0xff800000, v12
	v_lshlrev_b16 v11, 8, v11
	v_cndmask_b32_e64 v12, 0, 1, vcc_lo
	s_wait_loadcnt 0x0
	v_cmp_eq_f32_e32 vcc_lo, 0xff800000, v15
	s_delay_alu instid0(VALU_DEP_2) | instskip(SKIP_2) | instid1(VALU_DEP_3)
	v_or_b32_e32 v6, v12, v11
	v_cndmask_b32_e64 v13, 0, 1, vcc_lo
	v_cmp_eq_f32_e32 vcc_lo, 0xff800000, v14
	v_lshlrev_b32_e32 v6, 16, v6
	s_delay_alu instid0(VALU_DEP_3) | instskip(SKIP_2) | instid1(VALU_DEP_2)
	v_lshlrev_b16 v13, 8, v13
	v_cndmask_b32_e64 v14, 0, 1, vcc_lo
	v_cmp_eq_f32_e32 vcc_lo, 0xff800000, v17
	v_dual_lshlrev_b32 v4, 16, v4 :: v_dual_bitop2_b32 v7, v14, v13 bitop3:0x54
	v_cndmask_b32_e64 v15, 0, 1, vcc_lo
	v_cmp_eq_f32_e32 vcc_lo, 0xff800000, v16
	s_delay_alu instid0(VALU_DEP_3) | instskip(NEXT) | instid1(VALU_DEP_3)
	v_and_b32_e32 v7, 0xffff, v7
	v_lshlrev_b16 v15, 8, v15
	v_cndmask_b32_e64 v16, 0, 1, vcc_lo
	s_delay_alu instid0(VALU_DEP_1) | instskip(SKIP_2) | instid1(VALU_DEP_3)
	v_or_b32_e32 v8, v16, v15
	v_or_b32_e32 v5, v10, v9
	v_and_b32_e32 v9, 0xffff, v3
	v_dual_lshlrev_b32 v8, 16, v8 :: v_dual_bitop2_b32 v3, v1, v2 bitop3:0x54
	s_delay_alu instid0(VALU_DEP_3) | instskip(NEXT) | instid1(VALU_DEP_3)
	v_and_b32_e32 v5, 0xffff, v5
	v_or_b32_e32 v2, v9, v4
	s_delay_alu instid0(VALU_DEP_3) | instskip(NEXT) | instid1(VALU_DEP_3)
	v_or_b32_e32 v4, v7, v8
	v_or_b32_e32 v5, v5, v6
	global_store_b128 v0, v[2:5], s[8:9] scale_offset
.LBB72_2:
	s_and_not1_b32 vcc_lo, exec_lo, s0
	s_cbranch_vccnz .LBB72_50
; %bb.3:
	v_cmp_gt_i32_e32 vcc_lo, s1, v0
	s_wait_xcnt 0x0
	v_dual_mov_b32 v3, v0 :: v_dual_bitop2_b32 v1, s2, v0 bitop3:0x54
	v_or_b32_e32 v2, 0x100, v0
	s_mov_b32 s3, 0
	s_mov_b32 s9, 0
	s_and_saveexec_b32 s8, vcc_lo
	s_cbranch_execz .LBB72_5
; %bb.4:
	global_load_b32 v3, v1, s[6:7] scale_offset
	s_wait_loadcnt 0x0
	v_cmp_eq_f32_e64 s0, 0xff800000, v3
	v_or_b32_e32 v3, 0x100, v0
	s_and_b32 s9, s0, exec_lo
.LBB72_5:
	s_wait_xcnt 0x0
	s_or_b32 exec_lo, exec_lo, s8
	s_delay_alu instid0(SALU_CYCLE_1)
	s_mov_b32 s8, exec_lo
	v_cmpx_gt_i32_e64 s1, v3
	s_cbranch_execz .LBB72_7
; %bb.6:
	v_add_nc_u32_e32 v4, s2, v3
	v_add_nc_u32_e32 v3, 0x100, v3
	global_load_b32 v4, v4, s[6:7] scale_offset
	s_wait_loadcnt 0x0
	v_cmp_eq_f32_e64 s0, 0xff800000, v4
	s_and_b32 s3, s0, exec_lo
.LBB72_7:
	s_wait_xcnt 0x0
	s_or_b32 exec_lo, exec_lo, s8
	s_mov_b32 s8, 0
	s_mov_b32 s11, 0
	s_mov_b32 s10, exec_lo
	v_cmpx_gt_i32_e64 s1, v3
	s_cbranch_execz .LBB72_9
; %bb.8:
	v_add_nc_u32_e32 v4, s2, v3
	v_add_nc_u32_e32 v3, 0x100, v3
	global_load_b32 v4, v4, s[6:7] scale_offset
	s_wait_loadcnt 0x0
	v_cmp_eq_f32_e64 s0, 0xff800000, v4
	s_and_b32 s11, s0, exec_lo
.LBB72_9:
	s_wait_xcnt 0x0
	s_or_b32 exec_lo, exec_lo, s10
	s_delay_alu instid0(SALU_CYCLE_1)
	s_mov_b32 s10, exec_lo
	v_cmpx_gt_i32_e64 s1, v3
	s_cbranch_execz .LBB72_11
; %bb.10:
	v_add_nc_u32_e32 v4, s2, v3
	v_add_nc_u32_e32 v3, 0x100, v3
	global_load_b32 v4, v4, s[6:7] scale_offset
	s_wait_loadcnt 0x0
	v_cmp_eq_f32_e64 s0, 0xff800000, v4
	s_and_b32 s8, s0, exec_lo
.LBB72_11:
	s_wait_xcnt 0x0
	s_or_b32 exec_lo, exec_lo, s10
	s_mov_b32 s10, 0
	s_mov_b32 s13, 0
	s_mov_b32 s12, exec_lo
	v_cmpx_gt_i32_e64 s1, v3
	s_cbranch_execz .LBB72_13
; %bb.12:
	v_add_nc_u32_e32 v4, s2, v3
	v_add_nc_u32_e32 v3, 0x100, v3
	global_load_b32 v4, v4, s[6:7] scale_offset
	s_wait_loadcnt 0x0
	v_cmp_eq_f32_e64 s0, 0xff800000, v4
	s_and_b32 s13, s0, exec_lo
.LBB72_13:
	;; [unrolled: 29-line block ×6, first 2 shown]
	s_wait_xcnt 0x0
	s_or_b32 exec_lo, exec_lo, s20
	s_delay_alu instid0(SALU_CYCLE_1)
	s_mov_b32 s20, exec_lo
	v_cmpx_gt_i32_e64 s1, v3
	s_cbranch_execz .LBB72_31
; %bb.30:
	v_add_nc_u32_e32 v4, s2, v3
	v_add_nc_u32_e32 v3, 0x100, v3
	global_load_b32 v4, v4, s[6:7] scale_offset
	s_wait_loadcnt 0x0
	v_cmp_eq_f32_e64 s0, 0xff800000, v4
	s_and_b32 s18, s0, exec_lo
.LBB72_31:
	s_wait_xcnt 0x0
	s_or_b32 exec_lo, exec_lo, s20
	s_mov_b32 s20, 0
	s_mov_b32 s22, 0
	s_mov_b32 s23, exec_lo
	v_cmpx_gt_i32_e64 s1, v3
	s_cbranch_execnz .LBB72_51
; %bb.32:
	s_or_b32 exec_lo, exec_lo, s23
	s_delay_alu instid0(SALU_CYCLE_1)
	s_mov_b32 s23, exec_lo
	v_cmpx_gt_i32_e64 s1, v3
	s_cbranch_execnz .LBB72_52
.LBB72_33:
	s_or_b32 exec_lo, exec_lo, s23
	s_and_saveexec_b32 s0, vcc_lo
	s_cbranch_execnz .LBB72_53
.LBB72_34:
	s_or_b32 exec_lo, exec_lo, s0
	s_delay_alu instid0(SALU_CYCLE_1)
	s_mov_b32 s0, exec_lo
	v_cmpx_gt_i32_e64 s1, v0
	s_cbranch_execnz .LBB72_54
.LBB72_35:
	s_or_b32 exec_lo, exec_lo, s0
	s_delay_alu instid0(SALU_CYCLE_1)
	s_mov_b32 s0, exec_lo
	v_cmpx_gt_i32_e64 s1, v0
	s_cbranch_execnz .LBB72_55
.LBB72_36:
	s_or_b32 exec_lo, exec_lo, s0
	s_delay_alu instid0(SALU_CYCLE_1)
	s_mov_b32 s0, exec_lo
	v_cmpx_gt_i32_e64 s1, v0
	s_cbranch_execnz .LBB72_56
.LBB72_37:
	s_or_b32 exec_lo, exec_lo, s0
	s_delay_alu instid0(SALU_CYCLE_1)
	s_mov_b32 s0, exec_lo
	v_cmpx_gt_i32_e64 s1, v0
	s_cbranch_execnz .LBB72_57
.LBB72_38:
	s_or_b32 exec_lo, exec_lo, s0
	s_delay_alu instid0(SALU_CYCLE_1)
	s_mov_b32 s0, exec_lo
	v_cmpx_gt_i32_e64 s1, v0
	s_cbranch_execnz .LBB72_58
.LBB72_39:
	s_or_b32 exec_lo, exec_lo, s0
	s_delay_alu instid0(SALU_CYCLE_1)
	s_mov_b32 s0, exec_lo
	v_cmpx_gt_i32_e64 s1, v0
	s_cbranch_execnz .LBB72_59
.LBB72_40:
	s_or_b32 exec_lo, exec_lo, s0
	s_delay_alu instid0(SALU_CYCLE_1)
	s_mov_b32 s0, exec_lo
	v_cmpx_gt_i32_e64 s1, v0
	s_cbranch_execnz .LBB72_60
.LBB72_41:
	s_or_b32 exec_lo, exec_lo, s0
	s_delay_alu instid0(SALU_CYCLE_1)
	s_mov_b32 s0, exec_lo
	v_cmpx_gt_i32_e64 s1, v0
	s_cbranch_execnz .LBB72_61
.LBB72_42:
	s_or_b32 exec_lo, exec_lo, s0
	s_delay_alu instid0(SALU_CYCLE_1)
	s_mov_b32 s0, exec_lo
	v_cmpx_gt_i32_e64 s1, v0
	s_cbranch_execnz .LBB72_62
.LBB72_43:
	s_or_b32 exec_lo, exec_lo, s0
	s_delay_alu instid0(SALU_CYCLE_1)
	s_mov_b32 s0, exec_lo
	v_cmpx_gt_i32_e64 s1, v0
	s_cbranch_execnz .LBB72_63
.LBB72_44:
	s_or_b32 exec_lo, exec_lo, s0
	s_delay_alu instid0(SALU_CYCLE_1)
	s_mov_b32 s0, exec_lo
	v_cmpx_gt_i32_e64 s1, v0
	s_cbranch_execnz .LBB72_64
.LBB72_45:
	s_or_b32 exec_lo, exec_lo, s0
	s_delay_alu instid0(SALU_CYCLE_1)
	s_mov_b32 s0, exec_lo
	v_cmpx_gt_i32_e64 s1, v0
	s_cbranch_execnz .LBB72_65
.LBB72_46:
	s_or_b32 exec_lo, exec_lo, s0
	s_delay_alu instid0(SALU_CYCLE_1)
	s_mov_b32 s0, exec_lo
	v_cmpx_gt_i32_e64 s1, v0
	s_cbranch_execnz .LBB72_66
.LBB72_47:
	s_or_b32 exec_lo, exec_lo, s0
	s_delay_alu instid0(SALU_CYCLE_1)
	s_mov_b32 s0, exec_lo
	v_cmpx_gt_i32_e64 s1, v0
	s_cbranch_execnz .LBB72_67
.LBB72_48:
	s_or_b32 exec_lo, exec_lo, s0
	s_delay_alu instid0(SALU_CYCLE_1)
	s_mov_b32 s0, exec_lo
	v_cmpx_gt_i32_e64 s1, v0
	s_cbranch_execz .LBB72_50
.LBB72_49:
	v_cndmask_b32_e64 v1, 0, 1, s20
	v_add_nc_u32_e32 v0, s2, v0
	global_store_b8 v0, v1, s[4:5]
.LBB72_50:
	s_endpgm
.LBB72_51:
	v_add_nc_u32_e32 v4, s2, v3
	v_add_nc_u32_e32 v3, 0x100, v3
	global_load_b32 v4, v4, s[6:7] scale_offset
	s_wait_loadcnt 0x0
	v_cmp_eq_f32_e64 s0, 0xff800000, v4
	s_and_b32 s22, s0, exec_lo
	s_wait_xcnt 0x0
	s_or_b32 exec_lo, exec_lo, s23
	s_delay_alu instid0(SALU_CYCLE_1)
	s_mov_b32 s23, exec_lo
	v_cmpx_gt_i32_e64 s1, v3
	s_cbranch_execz .LBB72_33
.LBB72_52:
	v_add_nc_u32_e32 v3, s2, v3
	global_load_b32 v3, v3, s[6:7] scale_offset
	s_wait_loadcnt 0x0
	v_cmp_eq_f32_e64 s0, 0xff800000, v3
	s_and_b32 s20, s0, exec_lo
	s_wait_xcnt 0x0
	s_or_b32 exec_lo, exec_lo, s23
	s_and_saveexec_b32 s0, vcc_lo
	s_cbranch_execz .LBB72_34
.LBB72_53:
	v_cndmask_b32_e64 v3, 0, 1, s9
	v_mov_b32_e32 v0, v2
	global_store_b8 v1, v3, s[4:5]
	s_wait_xcnt 0x0
	s_or_b32 exec_lo, exec_lo, s0
	s_delay_alu instid0(SALU_CYCLE_1)
	s_mov_b32 s0, exec_lo
	v_cmpx_gt_i32_e64 s1, v0
	s_cbranch_execz .LBB72_35
.LBB72_54:
	v_cndmask_b32_e64 v1, 0, 1, s3
	v_add_nc_u32_e32 v2, s2, v0
	v_add_nc_u32_e32 v0, 0x100, v0
	global_store_b8 v2, v1, s[4:5]
	s_wait_xcnt 0x0
	s_or_b32 exec_lo, exec_lo, s0
	s_delay_alu instid0(SALU_CYCLE_1)
	s_mov_b32 s0, exec_lo
	v_cmpx_gt_i32_e64 s1, v0
	s_cbranch_execz .LBB72_36
.LBB72_55:
	v_cndmask_b32_e64 v1, 0, 1, s11
	v_add_nc_u32_e32 v2, s2, v0
	v_add_nc_u32_e32 v0, 0x100, v0
	global_store_b8 v2, v1, s[4:5]
	s_wait_xcnt 0x0
	s_or_b32 exec_lo, exec_lo, s0
	s_delay_alu instid0(SALU_CYCLE_1)
	s_mov_b32 s0, exec_lo
	v_cmpx_gt_i32_e64 s1, v0
	s_cbranch_execz .LBB72_37
.LBB72_56:
	v_cndmask_b32_e64 v1, 0, 1, s8
	v_add_nc_u32_e32 v2, s2, v0
	v_add_nc_u32_e32 v0, 0x100, v0
	global_store_b8 v2, v1, s[4:5]
	s_wait_xcnt 0x0
	s_or_b32 exec_lo, exec_lo, s0
	s_delay_alu instid0(SALU_CYCLE_1)
	s_mov_b32 s0, exec_lo
	v_cmpx_gt_i32_e64 s1, v0
	s_cbranch_execz .LBB72_38
.LBB72_57:
	v_cndmask_b32_e64 v1, 0, 1, s13
	v_add_nc_u32_e32 v2, s2, v0
	v_add_nc_u32_e32 v0, 0x100, v0
	global_store_b8 v2, v1, s[4:5]
	s_wait_xcnt 0x0
	s_or_b32 exec_lo, exec_lo, s0
	s_delay_alu instid0(SALU_CYCLE_1)
	s_mov_b32 s0, exec_lo
	v_cmpx_gt_i32_e64 s1, v0
	s_cbranch_execz .LBB72_39
.LBB72_58:
	v_cndmask_b32_e64 v1, 0, 1, s10
	v_add_nc_u32_e32 v2, s2, v0
	v_add_nc_u32_e32 v0, 0x100, v0
	global_store_b8 v2, v1, s[4:5]
	s_wait_xcnt 0x0
	s_or_b32 exec_lo, exec_lo, s0
	s_delay_alu instid0(SALU_CYCLE_1)
	s_mov_b32 s0, exec_lo
	v_cmpx_gt_i32_e64 s1, v0
	s_cbranch_execz .LBB72_40
.LBB72_59:
	v_cndmask_b32_e64 v1, 0, 1, s15
	v_add_nc_u32_e32 v2, s2, v0
	v_add_nc_u32_e32 v0, 0x100, v0
	global_store_b8 v2, v1, s[4:5]
	s_wait_xcnt 0x0
	s_or_b32 exec_lo, exec_lo, s0
	s_delay_alu instid0(SALU_CYCLE_1)
	s_mov_b32 s0, exec_lo
	v_cmpx_gt_i32_e64 s1, v0
	s_cbranch_execz .LBB72_41
.LBB72_60:
	v_cndmask_b32_e64 v1, 0, 1, s12
	v_add_nc_u32_e32 v2, s2, v0
	v_add_nc_u32_e32 v0, 0x100, v0
	global_store_b8 v2, v1, s[4:5]
	s_wait_xcnt 0x0
	s_or_b32 exec_lo, exec_lo, s0
	s_delay_alu instid0(SALU_CYCLE_1)
	s_mov_b32 s0, exec_lo
	v_cmpx_gt_i32_e64 s1, v0
	s_cbranch_execz .LBB72_42
.LBB72_61:
	v_cndmask_b32_e64 v1, 0, 1, s17
	v_add_nc_u32_e32 v2, s2, v0
	v_add_nc_u32_e32 v0, 0x100, v0
	global_store_b8 v2, v1, s[4:5]
	s_wait_xcnt 0x0
	s_or_b32 exec_lo, exec_lo, s0
	s_delay_alu instid0(SALU_CYCLE_1)
	s_mov_b32 s0, exec_lo
	v_cmpx_gt_i32_e64 s1, v0
	s_cbranch_execz .LBB72_43
.LBB72_62:
	v_cndmask_b32_e64 v1, 0, 1, s14
	v_add_nc_u32_e32 v2, s2, v0
	v_add_nc_u32_e32 v0, 0x100, v0
	global_store_b8 v2, v1, s[4:5]
	s_wait_xcnt 0x0
	s_or_b32 exec_lo, exec_lo, s0
	s_delay_alu instid0(SALU_CYCLE_1)
	s_mov_b32 s0, exec_lo
	v_cmpx_gt_i32_e64 s1, v0
	s_cbranch_execz .LBB72_44
.LBB72_63:
	v_cndmask_b32_e64 v1, 0, 1, s19
	v_add_nc_u32_e32 v2, s2, v0
	v_add_nc_u32_e32 v0, 0x100, v0
	global_store_b8 v2, v1, s[4:5]
	s_wait_xcnt 0x0
	s_or_b32 exec_lo, exec_lo, s0
	s_delay_alu instid0(SALU_CYCLE_1)
	s_mov_b32 s0, exec_lo
	v_cmpx_gt_i32_e64 s1, v0
	s_cbranch_execz .LBB72_45
.LBB72_64:
	v_cndmask_b32_e64 v1, 0, 1, s16
	v_add_nc_u32_e32 v2, s2, v0
	v_add_nc_u32_e32 v0, 0x100, v0
	global_store_b8 v2, v1, s[4:5]
	s_wait_xcnt 0x0
	s_or_b32 exec_lo, exec_lo, s0
	s_delay_alu instid0(SALU_CYCLE_1)
	s_mov_b32 s0, exec_lo
	v_cmpx_gt_i32_e64 s1, v0
	s_cbranch_execz .LBB72_46
.LBB72_65:
	v_cndmask_b32_e64 v1, 0, 1, s21
	v_add_nc_u32_e32 v2, s2, v0
	v_add_nc_u32_e32 v0, 0x100, v0
	global_store_b8 v2, v1, s[4:5]
	s_wait_xcnt 0x0
	s_or_b32 exec_lo, exec_lo, s0
	s_delay_alu instid0(SALU_CYCLE_1)
	s_mov_b32 s0, exec_lo
	v_cmpx_gt_i32_e64 s1, v0
	s_cbranch_execz .LBB72_47
.LBB72_66:
	v_cndmask_b32_e64 v1, 0, 1, s18
	v_add_nc_u32_e32 v2, s2, v0
	v_add_nc_u32_e32 v0, 0x100, v0
	global_store_b8 v2, v1, s[4:5]
	s_wait_xcnt 0x0
	s_or_b32 exec_lo, exec_lo, s0
	s_delay_alu instid0(SALU_CYCLE_1)
	s_mov_b32 s0, exec_lo
	v_cmpx_gt_i32_e64 s1, v0
	s_cbranch_execz .LBB72_48
.LBB72_67:
	v_cndmask_b32_e64 v1, 0, 1, s22
	v_add_nc_u32_e32 v2, s2, v0
	v_add_nc_u32_e32 v0, 0x100, v0
	global_store_b8 v2, v1, s[4:5]
	s_wait_xcnt 0x0
	s_or_b32 exec_lo, exec_lo, s0
	s_delay_alu instid0(SALU_CYCLE_1)
	s_mov_b32 s0, exec_lo
	v_cmpx_gt_i32_e64 s1, v0
	s_cbranch_execnz .LBB72_49
	s_branch .LBB72_50
	.section	.rodata,"a",@progbits
	.p2align	6, 0x0
	.amdhsa_kernel _ZN2at6native29vectorized_elementwise_kernelILi16EZZZNS0_12_GLOBAL__N_120isneginf_kernel_implERNS_18TensorIteratorBaseEENKUlvE_clEvENKUlvE0_clEvEUlfE_St5arrayIPcLm2EEEEviT0_T1_
		.amdhsa_group_segment_fixed_size 0
		.amdhsa_private_segment_fixed_size 0
		.amdhsa_kernarg_size 24
		.amdhsa_user_sgpr_count 2
		.amdhsa_user_sgpr_dispatch_ptr 0
		.amdhsa_user_sgpr_queue_ptr 0
		.amdhsa_user_sgpr_kernarg_segment_ptr 1
		.amdhsa_user_sgpr_dispatch_id 0
		.amdhsa_user_sgpr_kernarg_preload_length 0
		.amdhsa_user_sgpr_kernarg_preload_offset 0
		.amdhsa_user_sgpr_private_segment_size 0
		.amdhsa_wavefront_size32 1
		.amdhsa_uses_dynamic_stack 0
		.amdhsa_enable_private_segment 0
		.amdhsa_system_sgpr_workgroup_id_x 1
		.amdhsa_system_sgpr_workgroup_id_y 0
		.amdhsa_system_sgpr_workgroup_id_z 0
		.amdhsa_system_sgpr_workgroup_info 0
		.amdhsa_system_vgpr_workitem_id 0
		.amdhsa_next_free_vgpr 18
		.amdhsa_next_free_sgpr 24
		.amdhsa_named_barrier_count 0
		.amdhsa_reserve_vcc 1
		.amdhsa_float_round_mode_32 0
		.amdhsa_float_round_mode_16_64 0
		.amdhsa_float_denorm_mode_32 3
		.amdhsa_float_denorm_mode_16_64 3
		.amdhsa_fp16_overflow 0
		.amdhsa_memory_ordered 1
		.amdhsa_forward_progress 1
		.amdhsa_inst_pref_size 25
		.amdhsa_round_robin_scheduling 0
		.amdhsa_exception_fp_ieee_invalid_op 0
		.amdhsa_exception_fp_denorm_src 0
		.amdhsa_exception_fp_ieee_div_zero 0
		.amdhsa_exception_fp_ieee_overflow 0
		.amdhsa_exception_fp_ieee_underflow 0
		.amdhsa_exception_fp_ieee_inexact 0
		.amdhsa_exception_int_div_zero 0
	.end_amdhsa_kernel
	.section	.text._ZN2at6native29vectorized_elementwise_kernelILi16EZZZNS0_12_GLOBAL__N_120isneginf_kernel_implERNS_18TensorIteratorBaseEENKUlvE_clEvENKUlvE0_clEvEUlfE_St5arrayIPcLm2EEEEviT0_T1_,"axG",@progbits,_ZN2at6native29vectorized_elementwise_kernelILi16EZZZNS0_12_GLOBAL__N_120isneginf_kernel_implERNS_18TensorIteratorBaseEENKUlvE_clEvENKUlvE0_clEvEUlfE_St5arrayIPcLm2EEEEviT0_T1_,comdat
.Lfunc_end72:
	.size	_ZN2at6native29vectorized_elementwise_kernelILi16EZZZNS0_12_GLOBAL__N_120isneginf_kernel_implERNS_18TensorIteratorBaseEENKUlvE_clEvENKUlvE0_clEvEUlfE_St5arrayIPcLm2EEEEviT0_T1_, .Lfunc_end72-_ZN2at6native29vectorized_elementwise_kernelILi16EZZZNS0_12_GLOBAL__N_120isneginf_kernel_implERNS_18TensorIteratorBaseEENKUlvE_clEvENKUlvE0_clEvEUlfE_St5arrayIPcLm2EEEEviT0_T1_
                                        ; -- End function
	.set _ZN2at6native29vectorized_elementwise_kernelILi16EZZZNS0_12_GLOBAL__N_120isneginf_kernel_implERNS_18TensorIteratorBaseEENKUlvE_clEvENKUlvE0_clEvEUlfE_St5arrayIPcLm2EEEEviT0_T1_.num_vgpr, 18
	.set _ZN2at6native29vectorized_elementwise_kernelILi16EZZZNS0_12_GLOBAL__N_120isneginf_kernel_implERNS_18TensorIteratorBaseEENKUlvE_clEvENKUlvE0_clEvEUlfE_St5arrayIPcLm2EEEEviT0_T1_.num_agpr, 0
	.set _ZN2at6native29vectorized_elementwise_kernelILi16EZZZNS0_12_GLOBAL__N_120isneginf_kernel_implERNS_18TensorIteratorBaseEENKUlvE_clEvENKUlvE0_clEvEUlfE_St5arrayIPcLm2EEEEviT0_T1_.numbered_sgpr, 24
	.set _ZN2at6native29vectorized_elementwise_kernelILi16EZZZNS0_12_GLOBAL__N_120isneginf_kernel_implERNS_18TensorIteratorBaseEENKUlvE_clEvENKUlvE0_clEvEUlfE_St5arrayIPcLm2EEEEviT0_T1_.num_named_barrier, 0
	.set _ZN2at6native29vectorized_elementwise_kernelILi16EZZZNS0_12_GLOBAL__N_120isneginf_kernel_implERNS_18TensorIteratorBaseEENKUlvE_clEvENKUlvE0_clEvEUlfE_St5arrayIPcLm2EEEEviT0_T1_.private_seg_size, 0
	.set _ZN2at6native29vectorized_elementwise_kernelILi16EZZZNS0_12_GLOBAL__N_120isneginf_kernel_implERNS_18TensorIteratorBaseEENKUlvE_clEvENKUlvE0_clEvEUlfE_St5arrayIPcLm2EEEEviT0_T1_.uses_vcc, 1
	.set _ZN2at6native29vectorized_elementwise_kernelILi16EZZZNS0_12_GLOBAL__N_120isneginf_kernel_implERNS_18TensorIteratorBaseEENKUlvE_clEvENKUlvE0_clEvEUlfE_St5arrayIPcLm2EEEEviT0_T1_.uses_flat_scratch, 0
	.set _ZN2at6native29vectorized_elementwise_kernelILi16EZZZNS0_12_GLOBAL__N_120isneginf_kernel_implERNS_18TensorIteratorBaseEENKUlvE_clEvENKUlvE0_clEvEUlfE_St5arrayIPcLm2EEEEviT0_T1_.has_dyn_sized_stack, 0
	.set _ZN2at6native29vectorized_elementwise_kernelILi16EZZZNS0_12_GLOBAL__N_120isneginf_kernel_implERNS_18TensorIteratorBaseEENKUlvE_clEvENKUlvE0_clEvEUlfE_St5arrayIPcLm2EEEEviT0_T1_.has_recursion, 0
	.set _ZN2at6native29vectorized_elementwise_kernelILi16EZZZNS0_12_GLOBAL__N_120isneginf_kernel_implERNS_18TensorIteratorBaseEENKUlvE_clEvENKUlvE0_clEvEUlfE_St5arrayIPcLm2EEEEviT0_T1_.has_indirect_call, 0
	.section	.AMDGPU.csdata,"",@progbits
; Kernel info:
; codeLenInByte = 3200
; TotalNumSgprs: 26
; NumVgprs: 18
; ScratchSize: 0
; MemoryBound: 0
; FloatMode: 240
; IeeeMode: 1
; LDSByteSize: 0 bytes/workgroup (compile time only)
; SGPRBlocks: 0
; VGPRBlocks: 1
; NumSGPRsForWavesPerEU: 26
; NumVGPRsForWavesPerEU: 18
; NamedBarCnt: 0
; Occupancy: 16
; WaveLimiterHint : 0
; COMPUTE_PGM_RSRC2:SCRATCH_EN: 0
; COMPUTE_PGM_RSRC2:USER_SGPR: 2
; COMPUTE_PGM_RSRC2:TRAP_HANDLER: 0
; COMPUTE_PGM_RSRC2:TGID_X_EN: 1
; COMPUTE_PGM_RSRC2:TGID_Y_EN: 0
; COMPUTE_PGM_RSRC2:TGID_Z_EN: 0
; COMPUTE_PGM_RSRC2:TIDIG_COMP_CNT: 0
	.section	.text._ZN2at6native29vectorized_elementwise_kernelILi8EZZZNS0_12_GLOBAL__N_120isneginf_kernel_implERNS_18TensorIteratorBaseEENKUlvE_clEvENKUlvE0_clEvEUlfE_St5arrayIPcLm2EEEEviT0_T1_,"axG",@progbits,_ZN2at6native29vectorized_elementwise_kernelILi8EZZZNS0_12_GLOBAL__N_120isneginf_kernel_implERNS_18TensorIteratorBaseEENKUlvE_clEvENKUlvE0_clEvEUlfE_St5arrayIPcLm2EEEEviT0_T1_,comdat
	.globl	_ZN2at6native29vectorized_elementwise_kernelILi8EZZZNS0_12_GLOBAL__N_120isneginf_kernel_implERNS_18TensorIteratorBaseEENKUlvE_clEvENKUlvE0_clEvEUlfE_St5arrayIPcLm2EEEEviT0_T1_ ; -- Begin function _ZN2at6native29vectorized_elementwise_kernelILi8EZZZNS0_12_GLOBAL__N_120isneginf_kernel_implERNS_18TensorIteratorBaseEENKUlvE_clEvENKUlvE0_clEvEUlfE_St5arrayIPcLm2EEEEviT0_T1_
	.p2align	8
	.type	_ZN2at6native29vectorized_elementwise_kernelILi8EZZZNS0_12_GLOBAL__N_120isneginf_kernel_implERNS_18TensorIteratorBaseEENKUlvE_clEvENKUlvE0_clEvEUlfE_St5arrayIPcLm2EEEEviT0_T1_,@function
_ZN2at6native29vectorized_elementwise_kernelILi8EZZZNS0_12_GLOBAL__N_120isneginf_kernel_implERNS_18TensorIteratorBaseEENKUlvE_clEvENKUlvE0_clEvEUlfE_St5arrayIPcLm2EEEEviT0_T1_: ; @_ZN2at6native29vectorized_elementwise_kernelILi8EZZZNS0_12_GLOBAL__N_120isneginf_kernel_implERNS_18TensorIteratorBaseEENKUlvE_clEvENKUlvE0_clEvEUlfE_St5arrayIPcLm2EEEEviT0_T1_
; %bb.0:
	s_clause 0x1
	s_load_b32 s3, s[0:1], 0x0
	s_load_b128 s[4:7], s[0:1], 0x8
	s_wait_xcnt 0x0
	s_bfe_u32 s0, ttmp6, 0x4000c
	s_and_b32 s1, ttmp6, 15
	s_add_co_i32 s0, s0, 1
	s_getreg_b32 s2, hwreg(HW_REG_IB_STS2, 6, 4)
	s_mul_i32 s0, ttmp9, s0
	s_delay_alu instid0(SALU_CYCLE_1) | instskip(SKIP_2) | instid1(SALU_CYCLE_1)
	s_add_co_i32 s1, s1, s0
	s_cmp_eq_u32 s2, 0
	s_cselect_b32 s0, ttmp9, s1
	s_lshl_b32 s2, s0, 12
	s_mov_b32 s0, -1
	s_wait_kmcnt 0x0
	s_sub_co_i32 s1, s3, s2
	s_delay_alu instid0(SALU_CYCLE_1)
	s_cmp_gt_i32 s1, 0xfff
	s_cbranch_scc0 .LBB73_2
; %bb.1:
	s_ashr_i32 s3, s2, 31
	v_lshlrev_b32_e32 v1, 5, v0
	s_lshl_b64 s[8:9], s[2:3], 2
	s_mov_b32 s0, 0
	s_add_nc_u64 s[8:9], s[6:7], s[8:9]
	s_clause 0x3
	global_load_b128 v[2:5], v1, s[8:9]
	global_load_b128 v[6:9], v1, s[8:9] offset:16
	global_load_b128 v[10:13], v1, s[8:9] offset:8192
	;; [unrolled: 1-line block ×3, first 2 shown]
	s_wait_xcnt 0x0
	v_or3_b32 v1, 0, 0, 0
	s_add_nc_u64 s[8:9], s[4:5], s[2:3]
	s_wait_loadcnt 0x3
	v_cmp_eq_f32_e32 vcc_lo, 0xff800000, v2
	v_cndmask_b32_e64 v2, 0, 1, vcc_lo
	v_cmp_eq_f32_e32 vcc_lo, 0xff800000, v3
	v_cndmask_b32_e64 v3, 0, 0x100, vcc_lo
	v_cmp_eq_f32_e32 vcc_lo, 0xff800000, v4
	s_delay_alu instid0(VALU_DEP_2)
	v_or_b32_e32 v2, v3, v2
	v_cndmask_b32_e64 v4, 0, 0x10000, vcc_lo
	v_cmp_eq_f32_e32 vcc_lo, 0xff800000, v5
	v_cndmask_b32_e64 v5, 0, 0x1000000, vcc_lo
	s_wait_loadcnt 0x2
	v_cmp_eq_f32_e32 vcc_lo, 0xff800000, v6
	s_delay_alu instid0(VALU_DEP_2) | instskip(SKIP_2) | instid1(VALU_DEP_3)
	v_or3_b32 v2, v2, v4, v5
	v_cndmask_b32_e64 v6, 0, 1, vcc_lo
	v_cmp_eq_f32_e32 vcc_lo, 0xff800000, v7
	v_or3_b32 v2, v2, 0, 0
	v_cndmask_b32_e64 v7, 0, 0x100, vcc_lo
	v_cmp_eq_f32_e32 vcc_lo, 0xff800000, v8
	s_delay_alu instid0(VALU_DEP_3) | instskip(NEXT) | instid1(VALU_DEP_3)
	v_or3_b32 v2, v2, 0, 0
	v_or3_b32 v5, v1, v6, v7
	v_cndmask_b32_e64 v8, 0, 0x10000, vcc_lo
	v_cmp_eq_f32_e32 vcc_lo, 0xff800000, v9
	v_cndmask_b32_e64 v9, 0, 0x1000000, vcc_lo
	s_wait_loadcnt 0x1
	v_cmp_eq_f32_e32 vcc_lo, 0xff800000, v10
	v_cndmask_b32_e64 v10, 0, 1, vcc_lo
	v_cmp_eq_f32_e32 vcc_lo, 0xff800000, v11
	v_cndmask_b32_e64 v11, 0, 0x100, vcc_lo
	v_cmp_eq_f32_e32 vcc_lo, 0xff800000, v12
	s_delay_alu instid0(VALU_DEP_2)
	v_or_b32_e32 v3, v11, v10
	v_cndmask_b32_e64 v12, 0, 0x10000, vcc_lo
	v_cmp_eq_f32_e32 vcc_lo, 0xff800000, v13
	v_cndmask_b32_e64 v13, 0, 0x1000000, vcc_lo
	s_wait_loadcnt 0x0
	v_cmp_eq_f32_e32 vcc_lo, 0xff800000, v14
	s_delay_alu instid0(VALU_DEP_2) | instskip(SKIP_2) | instid1(VALU_DEP_3)
	v_or3_b32 v3, v3, v12, v13
	v_cndmask_b32_e64 v14, 0, 1, vcc_lo
	v_cmp_eq_f32_e32 vcc_lo, 0xff800000, v15
	v_or3_b32 v6, v3, 0, 0
	v_or3_b32 v3, v5, v8, v9
	v_cndmask_b32_e64 v10, 0, 0x100, vcc_lo
	v_cmp_eq_f32_e32 vcc_lo, 0xff800000, v16
	s_delay_alu instid0(VALU_DEP_2) | instskip(SKIP_3) | instid1(VALU_DEP_1)
	v_or3_b32 v1, v1, v14, v10
	v_cndmask_b32_e64 v11, 0, 0x10000, vcc_lo
	v_cmp_eq_f32_e32 vcc_lo, 0xff800000, v17
	v_cndmask_b32_e64 v4, 0, 0x1000000, vcc_lo
	v_or3_b32 v5, v1, v11, v4
	v_or3_b32 v4, v6, 0, 0
	s_clause 0x1
	global_store_b64 v0, v[2:3], s[8:9] scale_offset
	global_store_b64 v0, v[4:5], s[8:9] offset:2048 scale_offset
.LBB73_2:
	s_and_not1_b32 vcc_lo, exec_lo, s0
	s_cbranch_vccnz .LBB73_50
; %bb.3:
	v_cmp_gt_i32_e32 vcc_lo, s1, v0
	s_wait_xcnt 0x1
	v_dual_mov_b32 v3, v0 :: v_dual_bitop2_b32 v1, s2, v0 bitop3:0x54
	v_or_b32_e32 v2, 0x100, v0
	s_mov_b32 s3, 0
	s_wait_xcnt 0x0
	s_mov_b32 s9, 0
	s_and_saveexec_b32 s8, vcc_lo
	s_cbranch_execz .LBB73_5
; %bb.4:
	global_load_b32 v3, v1, s[6:7] scale_offset
	s_wait_loadcnt 0x0
	v_cmp_eq_f32_e64 s0, 0xff800000, v3
	v_or_b32_e32 v3, 0x100, v0
	s_and_b32 s9, s0, exec_lo
.LBB73_5:
	s_wait_xcnt 0x0
	s_or_b32 exec_lo, exec_lo, s8
	s_delay_alu instid0(SALU_CYCLE_1)
	s_mov_b32 s8, exec_lo
	v_cmpx_gt_i32_e64 s1, v3
	s_cbranch_execz .LBB73_7
; %bb.6:
	v_add_nc_u32_e32 v4, s2, v3
	v_add_nc_u32_e32 v3, 0x100, v3
	global_load_b32 v4, v4, s[6:7] scale_offset
	s_wait_loadcnt 0x0
	v_cmp_eq_f32_e64 s0, 0xff800000, v4
	s_and_b32 s3, s0, exec_lo
.LBB73_7:
	s_wait_xcnt 0x0
	s_or_b32 exec_lo, exec_lo, s8
	s_mov_b32 s8, 0
	s_mov_b32 s11, 0
	s_mov_b32 s10, exec_lo
	v_cmpx_gt_i32_e64 s1, v3
	s_cbranch_execz .LBB73_9
; %bb.8:
	v_add_nc_u32_e32 v4, s2, v3
	v_add_nc_u32_e32 v3, 0x100, v3
	global_load_b32 v4, v4, s[6:7] scale_offset
	s_wait_loadcnt 0x0
	v_cmp_eq_f32_e64 s0, 0xff800000, v4
	s_and_b32 s11, s0, exec_lo
.LBB73_9:
	s_wait_xcnt 0x0
	s_or_b32 exec_lo, exec_lo, s10
	s_delay_alu instid0(SALU_CYCLE_1)
	s_mov_b32 s10, exec_lo
	v_cmpx_gt_i32_e64 s1, v3
	s_cbranch_execz .LBB73_11
; %bb.10:
	v_add_nc_u32_e32 v4, s2, v3
	v_add_nc_u32_e32 v3, 0x100, v3
	global_load_b32 v4, v4, s[6:7] scale_offset
	s_wait_loadcnt 0x0
	v_cmp_eq_f32_e64 s0, 0xff800000, v4
	s_and_b32 s8, s0, exec_lo
.LBB73_11:
	s_wait_xcnt 0x0
	s_or_b32 exec_lo, exec_lo, s10
	s_mov_b32 s10, 0
	s_mov_b32 s13, 0
	s_mov_b32 s12, exec_lo
	v_cmpx_gt_i32_e64 s1, v3
	s_cbranch_execz .LBB73_13
; %bb.12:
	v_add_nc_u32_e32 v4, s2, v3
	v_add_nc_u32_e32 v3, 0x100, v3
	global_load_b32 v4, v4, s[6:7] scale_offset
	s_wait_loadcnt 0x0
	v_cmp_eq_f32_e64 s0, 0xff800000, v4
	s_and_b32 s13, s0, exec_lo
.LBB73_13:
	;; [unrolled: 29-line block ×6, first 2 shown]
	s_wait_xcnt 0x0
	s_or_b32 exec_lo, exec_lo, s20
	s_delay_alu instid0(SALU_CYCLE_1)
	s_mov_b32 s20, exec_lo
	v_cmpx_gt_i32_e64 s1, v3
	s_cbranch_execz .LBB73_31
; %bb.30:
	v_add_nc_u32_e32 v4, s2, v3
	v_add_nc_u32_e32 v3, 0x100, v3
	global_load_b32 v4, v4, s[6:7] scale_offset
	s_wait_loadcnt 0x0
	v_cmp_eq_f32_e64 s0, 0xff800000, v4
	s_and_b32 s18, s0, exec_lo
.LBB73_31:
	s_wait_xcnt 0x0
	s_or_b32 exec_lo, exec_lo, s20
	s_mov_b32 s20, 0
	s_mov_b32 s22, 0
	s_mov_b32 s23, exec_lo
	v_cmpx_gt_i32_e64 s1, v3
	s_cbranch_execnz .LBB73_51
; %bb.32:
	s_or_b32 exec_lo, exec_lo, s23
	s_delay_alu instid0(SALU_CYCLE_1)
	s_mov_b32 s23, exec_lo
	v_cmpx_gt_i32_e64 s1, v3
	s_cbranch_execnz .LBB73_52
.LBB73_33:
	s_or_b32 exec_lo, exec_lo, s23
	s_and_saveexec_b32 s0, vcc_lo
	s_cbranch_execnz .LBB73_53
.LBB73_34:
	s_or_b32 exec_lo, exec_lo, s0
	s_delay_alu instid0(SALU_CYCLE_1)
	s_mov_b32 s0, exec_lo
	v_cmpx_gt_i32_e64 s1, v0
	s_cbranch_execnz .LBB73_54
.LBB73_35:
	s_or_b32 exec_lo, exec_lo, s0
	s_delay_alu instid0(SALU_CYCLE_1)
	s_mov_b32 s0, exec_lo
	v_cmpx_gt_i32_e64 s1, v0
	s_cbranch_execnz .LBB73_55
.LBB73_36:
	s_or_b32 exec_lo, exec_lo, s0
	s_delay_alu instid0(SALU_CYCLE_1)
	s_mov_b32 s0, exec_lo
	v_cmpx_gt_i32_e64 s1, v0
	s_cbranch_execnz .LBB73_56
.LBB73_37:
	s_or_b32 exec_lo, exec_lo, s0
	s_delay_alu instid0(SALU_CYCLE_1)
	s_mov_b32 s0, exec_lo
	v_cmpx_gt_i32_e64 s1, v0
	s_cbranch_execnz .LBB73_57
.LBB73_38:
	s_or_b32 exec_lo, exec_lo, s0
	s_delay_alu instid0(SALU_CYCLE_1)
	s_mov_b32 s0, exec_lo
	v_cmpx_gt_i32_e64 s1, v0
	s_cbranch_execnz .LBB73_58
.LBB73_39:
	s_or_b32 exec_lo, exec_lo, s0
	s_delay_alu instid0(SALU_CYCLE_1)
	s_mov_b32 s0, exec_lo
	v_cmpx_gt_i32_e64 s1, v0
	s_cbranch_execnz .LBB73_59
.LBB73_40:
	s_or_b32 exec_lo, exec_lo, s0
	s_delay_alu instid0(SALU_CYCLE_1)
	s_mov_b32 s0, exec_lo
	v_cmpx_gt_i32_e64 s1, v0
	s_cbranch_execnz .LBB73_60
.LBB73_41:
	s_or_b32 exec_lo, exec_lo, s0
	s_delay_alu instid0(SALU_CYCLE_1)
	s_mov_b32 s0, exec_lo
	v_cmpx_gt_i32_e64 s1, v0
	s_cbranch_execnz .LBB73_61
.LBB73_42:
	s_or_b32 exec_lo, exec_lo, s0
	s_delay_alu instid0(SALU_CYCLE_1)
	s_mov_b32 s0, exec_lo
	v_cmpx_gt_i32_e64 s1, v0
	s_cbranch_execnz .LBB73_62
.LBB73_43:
	s_or_b32 exec_lo, exec_lo, s0
	s_delay_alu instid0(SALU_CYCLE_1)
	s_mov_b32 s0, exec_lo
	v_cmpx_gt_i32_e64 s1, v0
	s_cbranch_execnz .LBB73_63
.LBB73_44:
	s_or_b32 exec_lo, exec_lo, s0
	s_delay_alu instid0(SALU_CYCLE_1)
	s_mov_b32 s0, exec_lo
	v_cmpx_gt_i32_e64 s1, v0
	s_cbranch_execnz .LBB73_64
.LBB73_45:
	s_or_b32 exec_lo, exec_lo, s0
	s_delay_alu instid0(SALU_CYCLE_1)
	s_mov_b32 s0, exec_lo
	v_cmpx_gt_i32_e64 s1, v0
	s_cbranch_execnz .LBB73_65
.LBB73_46:
	s_or_b32 exec_lo, exec_lo, s0
	s_delay_alu instid0(SALU_CYCLE_1)
	s_mov_b32 s0, exec_lo
	v_cmpx_gt_i32_e64 s1, v0
	s_cbranch_execnz .LBB73_66
.LBB73_47:
	s_or_b32 exec_lo, exec_lo, s0
	s_delay_alu instid0(SALU_CYCLE_1)
	s_mov_b32 s0, exec_lo
	v_cmpx_gt_i32_e64 s1, v0
	s_cbranch_execnz .LBB73_67
.LBB73_48:
	s_or_b32 exec_lo, exec_lo, s0
	s_delay_alu instid0(SALU_CYCLE_1)
	s_mov_b32 s0, exec_lo
	v_cmpx_gt_i32_e64 s1, v0
	s_cbranch_execz .LBB73_50
.LBB73_49:
	v_cndmask_b32_e64 v1, 0, 1, s20
	v_add_nc_u32_e32 v0, s2, v0
	global_store_b8 v0, v1, s[4:5]
.LBB73_50:
	s_endpgm
.LBB73_51:
	v_add_nc_u32_e32 v4, s2, v3
	v_add_nc_u32_e32 v3, 0x100, v3
	global_load_b32 v4, v4, s[6:7] scale_offset
	s_wait_loadcnt 0x0
	v_cmp_eq_f32_e64 s0, 0xff800000, v4
	s_and_b32 s22, s0, exec_lo
	s_wait_xcnt 0x0
	s_or_b32 exec_lo, exec_lo, s23
	s_delay_alu instid0(SALU_CYCLE_1)
	s_mov_b32 s23, exec_lo
	v_cmpx_gt_i32_e64 s1, v3
	s_cbranch_execz .LBB73_33
.LBB73_52:
	v_add_nc_u32_e32 v3, s2, v3
	global_load_b32 v3, v3, s[6:7] scale_offset
	s_wait_loadcnt 0x0
	v_cmp_eq_f32_e64 s0, 0xff800000, v3
	s_and_b32 s20, s0, exec_lo
	s_wait_xcnt 0x0
	s_or_b32 exec_lo, exec_lo, s23
	s_and_saveexec_b32 s0, vcc_lo
	s_cbranch_execz .LBB73_34
.LBB73_53:
	v_cndmask_b32_e64 v3, 0, 1, s9
	v_mov_b32_e32 v0, v2
	global_store_b8 v1, v3, s[4:5]
	s_wait_xcnt 0x0
	s_or_b32 exec_lo, exec_lo, s0
	s_delay_alu instid0(SALU_CYCLE_1)
	s_mov_b32 s0, exec_lo
	v_cmpx_gt_i32_e64 s1, v0
	s_cbranch_execz .LBB73_35
.LBB73_54:
	v_cndmask_b32_e64 v1, 0, 1, s3
	v_add_nc_u32_e32 v2, s2, v0
	v_add_nc_u32_e32 v0, 0x100, v0
	global_store_b8 v2, v1, s[4:5]
	s_wait_xcnt 0x0
	s_or_b32 exec_lo, exec_lo, s0
	s_delay_alu instid0(SALU_CYCLE_1)
	s_mov_b32 s0, exec_lo
	v_cmpx_gt_i32_e64 s1, v0
	s_cbranch_execz .LBB73_36
.LBB73_55:
	v_cndmask_b32_e64 v1, 0, 1, s11
	v_add_nc_u32_e32 v2, s2, v0
	v_add_nc_u32_e32 v0, 0x100, v0
	global_store_b8 v2, v1, s[4:5]
	s_wait_xcnt 0x0
	s_or_b32 exec_lo, exec_lo, s0
	s_delay_alu instid0(SALU_CYCLE_1)
	s_mov_b32 s0, exec_lo
	v_cmpx_gt_i32_e64 s1, v0
	s_cbranch_execz .LBB73_37
.LBB73_56:
	v_cndmask_b32_e64 v1, 0, 1, s8
	v_add_nc_u32_e32 v2, s2, v0
	v_add_nc_u32_e32 v0, 0x100, v0
	global_store_b8 v2, v1, s[4:5]
	s_wait_xcnt 0x0
	s_or_b32 exec_lo, exec_lo, s0
	s_delay_alu instid0(SALU_CYCLE_1)
	s_mov_b32 s0, exec_lo
	v_cmpx_gt_i32_e64 s1, v0
	s_cbranch_execz .LBB73_38
.LBB73_57:
	v_cndmask_b32_e64 v1, 0, 1, s13
	v_add_nc_u32_e32 v2, s2, v0
	v_add_nc_u32_e32 v0, 0x100, v0
	global_store_b8 v2, v1, s[4:5]
	s_wait_xcnt 0x0
	s_or_b32 exec_lo, exec_lo, s0
	s_delay_alu instid0(SALU_CYCLE_1)
	s_mov_b32 s0, exec_lo
	v_cmpx_gt_i32_e64 s1, v0
	s_cbranch_execz .LBB73_39
.LBB73_58:
	v_cndmask_b32_e64 v1, 0, 1, s10
	v_add_nc_u32_e32 v2, s2, v0
	v_add_nc_u32_e32 v0, 0x100, v0
	global_store_b8 v2, v1, s[4:5]
	s_wait_xcnt 0x0
	s_or_b32 exec_lo, exec_lo, s0
	s_delay_alu instid0(SALU_CYCLE_1)
	s_mov_b32 s0, exec_lo
	v_cmpx_gt_i32_e64 s1, v0
	s_cbranch_execz .LBB73_40
.LBB73_59:
	v_cndmask_b32_e64 v1, 0, 1, s15
	v_add_nc_u32_e32 v2, s2, v0
	v_add_nc_u32_e32 v0, 0x100, v0
	global_store_b8 v2, v1, s[4:5]
	s_wait_xcnt 0x0
	s_or_b32 exec_lo, exec_lo, s0
	s_delay_alu instid0(SALU_CYCLE_1)
	s_mov_b32 s0, exec_lo
	v_cmpx_gt_i32_e64 s1, v0
	s_cbranch_execz .LBB73_41
.LBB73_60:
	v_cndmask_b32_e64 v1, 0, 1, s12
	v_add_nc_u32_e32 v2, s2, v0
	v_add_nc_u32_e32 v0, 0x100, v0
	global_store_b8 v2, v1, s[4:5]
	s_wait_xcnt 0x0
	s_or_b32 exec_lo, exec_lo, s0
	s_delay_alu instid0(SALU_CYCLE_1)
	s_mov_b32 s0, exec_lo
	v_cmpx_gt_i32_e64 s1, v0
	s_cbranch_execz .LBB73_42
.LBB73_61:
	v_cndmask_b32_e64 v1, 0, 1, s17
	v_add_nc_u32_e32 v2, s2, v0
	v_add_nc_u32_e32 v0, 0x100, v0
	global_store_b8 v2, v1, s[4:5]
	s_wait_xcnt 0x0
	s_or_b32 exec_lo, exec_lo, s0
	s_delay_alu instid0(SALU_CYCLE_1)
	s_mov_b32 s0, exec_lo
	v_cmpx_gt_i32_e64 s1, v0
	s_cbranch_execz .LBB73_43
.LBB73_62:
	v_cndmask_b32_e64 v1, 0, 1, s14
	v_add_nc_u32_e32 v2, s2, v0
	v_add_nc_u32_e32 v0, 0x100, v0
	global_store_b8 v2, v1, s[4:5]
	s_wait_xcnt 0x0
	s_or_b32 exec_lo, exec_lo, s0
	s_delay_alu instid0(SALU_CYCLE_1)
	s_mov_b32 s0, exec_lo
	v_cmpx_gt_i32_e64 s1, v0
	s_cbranch_execz .LBB73_44
.LBB73_63:
	v_cndmask_b32_e64 v1, 0, 1, s19
	v_add_nc_u32_e32 v2, s2, v0
	v_add_nc_u32_e32 v0, 0x100, v0
	global_store_b8 v2, v1, s[4:5]
	s_wait_xcnt 0x0
	s_or_b32 exec_lo, exec_lo, s0
	s_delay_alu instid0(SALU_CYCLE_1)
	s_mov_b32 s0, exec_lo
	v_cmpx_gt_i32_e64 s1, v0
	s_cbranch_execz .LBB73_45
.LBB73_64:
	v_cndmask_b32_e64 v1, 0, 1, s16
	v_add_nc_u32_e32 v2, s2, v0
	v_add_nc_u32_e32 v0, 0x100, v0
	global_store_b8 v2, v1, s[4:5]
	s_wait_xcnt 0x0
	s_or_b32 exec_lo, exec_lo, s0
	s_delay_alu instid0(SALU_CYCLE_1)
	s_mov_b32 s0, exec_lo
	v_cmpx_gt_i32_e64 s1, v0
	s_cbranch_execz .LBB73_46
.LBB73_65:
	v_cndmask_b32_e64 v1, 0, 1, s21
	v_add_nc_u32_e32 v2, s2, v0
	v_add_nc_u32_e32 v0, 0x100, v0
	global_store_b8 v2, v1, s[4:5]
	s_wait_xcnt 0x0
	s_or_b32 exec_lo, exec_lo, s0
	s_delay_alu instid0(SALU_CYCLE_1)
	s_mov_b32 s0, exec_lo
	v_cmpx_gt_i32_e64 s1, v0
	s_cbranch_execz .LBB73_47
.LBB73_66:
	v_cndmask_b32_e64 v1, 0, 1, s18
	v_add_nc_u32_e32 v2, s2, v0
	v_add_nc_u32_e32 v0, 0x100, v0
	global_store_b8 v2, v1, s[4:5]
	s_wait_xcnt 0x0
	s_or_b32 exec_lo, exec_lo, s0
	s_delay_alu instid0(SALU_CYCLE_1)
	s_mov_b32 s0, exec_lo
	v_cmpx_gt_i32_e64 s1, v0
	s_cbranch_execz .LBB73_48
.LBB73_67:
	v_cndmask_b32_e64 v1, 0, 1, s22
	v_add_nc_u32_e32 v2, s2, v0
	v_add_nc_u32_e32 v0, 0x100, v0
	global_store_b8 v2, v1, s[4:5]
	s_wait_xcnt 0x0
	s_or_b32 exec_lo, exec_lo, s0
	s_delay_alu instid0(SALU_CYCLE_1)
	s_mov_b32 s0, exec_lo
	v_cmpx_gt_i32_e64 s1, v0
	s_cbranch_execnz .LBB73_49
	s_branch .LBB73_50
	.section	.rodata,"a",@progbits
	.p2align	6, 0x0
	.amdhsa_kernel _ZN2at6native29vectorized_elementwise_kernelILi8EZZZNS0_12_GLOBAL__N_120isneginf_kernel_implERNS_18TensorIteratorBaseEENKUlvE_clEvENKUlvE0_clEvEUlfE_St5arrayIPcLm2EEEEviT0_T1_
		.amdhsa_group_segment_fixed_size 0
		.amdhsa_private_segment_fixed_size 0
		.amdhsa_kernarg_size 24
		.amdhsa_user_sgpr_count 2
		.amdhsa_user_sgpr_dispatch_ptr 0
		.amdhsa_user_sgpr_queue_ptr 0
		.amdhsa_user_sgpr_kernarg_segment_ptr 1
		.amdhsa_user_sgpr_dispatch_id 0
		.amdhsa_user_sgpr_kernarg_preload_length 0
		.amdhsa_user_sgpr_kernarg_preload_offset 0
		.amdhsa_user_sgpr_private_segment_size 0
		.amdhsa_wavefront_size32 1
		.amdhsa_uses_dynamic_stack 0
		.amdhsa_enable_private_segment 0
		.amdhsa_system_sgpr_workgroup_id_x 1
		.amdhsa_system_sgpr_workgroup_id_y 0
		.amdhsa_system_sgpr_workgroup_id_z 0
		.amdhsa_system_sgpr_workgroup_info 0
		.amdhsa_system_vgpr_workitem_id 0
		.amdhsa_next_free_vgpr 18
		.amdhsa_next_free_sgpr 24
		.amdhsa_named_barrier_count 0
		.amdhsa_reserve_vcc 1
		.amdhsa_float_round_mode_32 0
		.amdhsa_float_round_mode_16_64 0
		.amdhsa_float_denorm_mode_32 3
		.amdhsa_float_denorm_mode_16_64 3
		.amdhsa_fp16_overflow 0
		.amdhsa_memory_ordered 1
		.amdhsa_forward_progress 1
		.amdhsa_inst_pref_size 25
		.amdhsa_round_robin_scheduling 0
		.amdhsa_exception_fp_ieee_invalid_op 0
		.amdhsa_exception_fp_denorm_src 0
		.amdhsa_exception_fp_ieee_div_zero 0
		.amdhsa_exception_fp_ieee_overflow 0
		.amdhsa_exception_fp_ieee_underflow 0
		.amdhsa_exception_fp_ieee_inexact 0
		.amdhsa_exception_int_div_zero 0
	.end_amdhsa_kernel
	.section	.text._ZN2at6native29vectorized_elementwise_kernelILi8EZZZNS0_12_GLOBAL__N_120isneginf_kernel_implERNS_18TensorIteratorBaseEENKUlvE_clEvENKUlvE0_clEvEUlfE_St5arrayIPcLm2EEEEviT0_T1_,"axG",@progbits,_ZN2at6native29vectorized_elementwise_kernelILi8EZZZNS0_12_GLOBAL__N_120isneginf_kernel_implERNS_18TensorIteratorBaseEENKUlvE_clEvENKUlvE0_clEvEUlfE_St5arrayIPcLm2EEEEviT0_T1_,comdat
.Lfunc_end73:
	.size	_ZN2at6native29vectorized_elementwise_kernelILi8EZZZNS0_12_GLOBAL__N_120isneginf_kernel_implERNS_18TensorIteratorBaseEENKUlvE_clEvENKUlvE0_clEvEUlfE_St5arrayIPcLm2EEEEviT0_T1_, .Lfunc_end73-_ZN2at6native29vectorized_elementwise_kernelILi8EZZZNS0_12_GLOBAL__N_120isneginf_kernel_implERNS_18TensorIteratorBaseEENKUlvE_clEvENKUlvE0_clEvEUlfE_St5arrayIPcLm2EEEEviT0_T1_
                                        ; -- End function
	.set _ZN2at6native29vectorized_elementwise_kernelILi8EZZZNS0_12_GLOBAL__N_120isneginf_kernel_implERNS_18TensorIteratorBaseEENKUlvE_clEvENKUlvE0_clEvEUlfE_St5arrayIPcLm2EEEEviT0_T1_.num_vgpr, 18
	.set _ZN2at6native29vectorized_elementwise_kernelILi8EZZZNS0_12_GLOBAL__N_120isneginf_kernel_implERNS_18TensorIteratorBaseEENKUlvE_clEvENKUlvE0_clEvEUlfE_St5arrayIPcLm2EEEEviT0_T1_.num_agpr, 0
	.set _ZN2at6native29vectorized_elementwise_kernelILi8EZZZNS0_12_GLOBAL__N_120isneginf_kernel_implERNS_18TensorIteratorBaseEENKUlvE_clEvENKUlvE0_clEvEUlfE_St5arrayIPcLm2EEEEviT0_T1_.numbered_sgpr, 24
	.set _ZN2at6native29vectorized_elementwise_kernelILi8EZZZNS0_12_GLOBAL__N_120isneginf_kernel_implERNS_18TensorIteratorBaseEENKUlvE_clEvENKUlvE0_clEvEUlfE_St5arrayIPcLm2EEEEviT0_T1_.num_named_barrier, 0
	.set _ZN2at6native29vectorized_elementwise_kernelILi8EZZZNS0_12_GLOBAL__N_120isneginf_kernel_implERNS_18TensorIteratorBaseEENKUlvE_clEvENKUlvE0_clEvEUlfE_St5arrayIPcLm2EEEEviT0_T1_.private_seg_size, 0
	.set _ZN2at6native29vectorized_elementwise_kernelILi8EZZZNS0_12_GLOBAL__N_120isneginf_kernel_implERNS_18TensorIteratorBaseEENKUlvE_clEvENKUlvE0_clEvEUlfE_St5arrayIPcLm2EEEEviT0_T1_.uses_vcc, 1
	.set _ZN2at6native29vectorized_elementwise_kernelILi8EZZZNS0_12_GLOBAL__N_120isneginf_kernel_implERNS_18TensorIteratorBaseEENKUlvE_clEvENKUlvE0_clEvEUlfE_St5arrayIPcLm2EEEEviT0_T1_.uses_flat_scratch, 0
	.set _ZN2at6native29vectorized_elementwise_kernelILi8EZZZNS0_12_GLOBAL__N_120isneginf_kernel_implERNS_18TensorIteratorBaseEENKUlvE_clEvENKUlvE0_clEvEUlfE_St5arrayIPcLm2EEEEviT0_T1_.has_dyn_sized_stack, 0
	.set _ZN2at6native29vectorized_elementwise_kernelILi8EZZZNS0_12_GLOBAL__N_120isneginf_kernel_implERNS_18TensorIteratorBaseEENKUlvE_clEvENKUlvE0_clEvEUlfE_St5arrayIPcLm2EEEEviT0_T1_.has_recursion, 0
	.set _ZN2at6native29vectorized_elementwise_kernelILi8EZZZNS0_12_GLOBAL__N_120isneginf_kernel_implERNS_18TensorIteratorBaseEENKUlvE_clEvENKUlvE0_clEvEUlfE_St5arrayIPcLm2EEEEviT0_T1_.has_indirect_call, 0
	.section	.AMDGPU.csdata,"",@progbits
; Kernel info:
; codeLenInByte = 3176
; TotalNumSgprs: 26
; NumVgprs: 18
; ScratchSize: 0
; MemoryBound: 0
; FloatMode: 240
; IeeeMode: 1
; LDSByteSize: 0 bytes/workgroup (compile time only)
; SGPRBlocks: 0
; VGPRBlocks: 1
; NumSGPRsForWavesPerEU: 26
; NumVGPRsForWavesPerEU: 18
; NamedBarCnt: 0
; Occupancy: 16
; WaveLimiterHint : 1
; COMPUTE_PGM_RSRC2:SCRATCH_EN: 0
; COMPUTE_PGM_RSRC2:USER_SGPR: 2
; COMPUTE_PGM_RSRC2:TRAP_HANDLER: 0
; COMPUTE_PGM_RSRC2:TGID_X_EN: 1
; COMPUTE_PGM_RSRC2:TGID_Y_EN: 0
; COMPUTE_PGM_RSRC2:TGID_Z_EN: 0
; COMPUTE_PGM_RSRC2:TIDIG_COMP_CNT: 0
	.section	.text._ZN2at6native29vectorized_elementwise_kernelILi4EZZZNS0_12_GLOBAL__N_120isneginf_kernel_implERNS_18TensorIteratorBaseEENKUlvE_clEvENKUlvE0_clEvEUlfE_St5arrayIPcLm2EEEEviT0_T1_,"axG",@progbits,_ZN2at6native29vectorized_elementwise_kernelILi4EZZZNS0_12_GLOBAL__N_120isneginf_kernel_implERNS_18TensorIteratorBaseEENKUlvE_clEvENKUlvE0_clEvEUlfE_St5arrayIPcLm2EEEEviT0_T1_,comdat
	.globl	_ZN2at6native29vectorized_elementwise_kernelILi4EZZZNS0_12_GLOBAL__N_120isneginf_kernel_implERNS_18TensorIteratorBaseEENKUlvE_clEvENKUlvE0_clEvEUlfE_St5arrayIPcLm2EEEEviT0_T1_ ; -- Begin function _ZN2at6native29vectorized_elementwise_kernelILi4EZZZNS0_12_GLOBAL__N_120isneginf_kernel_implERNS_18TensorIteratorBaseEENKUlvE_clEvENKUlvE0_clEvEUlfE_St5arrayIPcLm2EEEEviT0_T1_
	.p2align	8
	.type	_ZN2at6native29vectorized_elementwise_kernelILi4EZZZNS0_12_GLOBAL__N_120isneginf_kernel_implERNS_18TensorIteratorBaseEENKUlvE_clEvENKUlvE0_clEvEUlfE_St5arrayIPcLm2EEEEviT0_T1_,@function
_ZN2at6native29vectorized_elementwise_kernelILi4EZZZNS0_12_GLOBAL__N_120isneginf_kernel_implERNS_18TensorIteratorBaseEENKUlvE_clEvENKUlvE0_clEvEUlfE_St5arrayIPcLm2EEEEviT0_T1_: ; @_ZN2at6native29vectorized_elementwise_kernelILi4EZZZNS0_12_GLOBAL__N_120isneginf_kernel_implERNS_18TensorIteratorBaseEENKUlvE_clEvENKUlvE0_clEvEUlfE_St5arrayIPcLm2EEEEviT0_T1_
; %bb.0:
	s_clause 0x1
	s_load_b32 s3, s[0:1], 0x0
	s_load_b128 s[4:7], s[0:1], 0x8
	s_wait_xcnt 0x0
	s_bfe_u32 s0, ttmp6, 0x4000c
	s_and_b32 s1, ttmp6, 15
	s_add_co_i32 s0, s0, 1
	s_getreg_b32 s2, hwreg(HW_REG_IB_STS2, 6, 4)
	s_mul_i32 s0, ttmp9, s0
	s_delay_alu instid0(SALU_CYCLE_1) | instskip(SKIP_2) | instid1(SALU_CYCLE_1)
	s_add_co_i32 s1, s1, s0
	s_cmp_eq_u32 s2, 0
	s_cselect_b32 s0, ttmp9, s1
	s_lshl_b32 s2, s0, 12
	s_mov_b32 s0, -1
	s_wait_kmcnt 0x0
	s_sub_co_i32 s1, s3, s2
	s_delay_alu instid0(SALU_CYCLE_1)
	s_cmp_gt_i32 s1, 0xfff
	s_cbranch_scc0 .LBB74_2
; %bb.1:
	s_ashr_i32 s3, s2, 31
	s_mov_b32 s0, 0
	s_lshl_b64 s[8:9], s[2:3], 2
	s_delay_alu instid0(SALU_CYCLE_1)
	s_add_nc_u64 s[8:9], s[6:7], s[8:9]
	s_clause 0x3
	global_load_b128 v[2:5], v0, s[8:9] scale_offset
	global_load_b128 v[6:9], v0, s[8:9] offset:4096 scale_offset
	global_load_b128 v[10:13], v0, s[8:9] offset:8192 scale_offset
	;; [unrolled: 1-line block ×3, first 2 shown]
	s_wait_xcnt 0x0
	s_add_nc_u64 s[8:9], s[4:5], s[2:3]
	s_wait_loadcnt 0x3
	v_cmp_eq_f32_e32 vcc_lo, 0xff800000, v2
	v_cndmask_b32_e64 v1, 0, 1, vcc_lo
	v_cmp_eq_f32_e32 vcc_lo, 0xff800000, v3
	v_cndmask_b32_e64 v2, 0, 0x100, vcc_lo
	v_cmp_eq_f32_e32 vcc_lo, 0xff800000, v4
	s_delay_alu instid0(VALU_DEP_2)
	v_or_b32_e32 v1, v2, v1
	v_cndmask_b32_e64 v3, 0, 0x10000, vcc_lo
	v_cmp_eq_f32_e32 vcc_lo, 0xff800000, v5
	v_cndmask_b32_e64 v4, 0, 0x1000000, vcc_lo
	s_wait_loadcnt 0x2
	v_cmp_eq_f32_e32 vcc_lo, 0xff800000, v6
	s_delay_alu instid0(VALU_DEP_2) | instskip(SKIP_4) | instid1(VALU_DEP_2)
	v_or3_b32 v1, v1, v3, v4
	v_cndmask_b32_e64 v5, 0, 1, vcc_lo
	v_cmp_eq_f32_e32 vcc_lo, 0xff800000, v7
	v_cndmask_b32_e64 v6, 0, 0x100, vcc_lo
	v_cmp_eq_f32_e32 vcc_lo, 0xff800000, v8
	v_or_b32_e32 v2, v6, v5
	v_cndmask_b32_e64 v7, 0, 0x10000, vcc_lo
	v_cmp_eq_f32_e32 vcc_lo, 0xff800000, v9
	v_cndmask_b32_e64 v8, 0, 0x1000000, vcc_lo
	s_wait_loadcnt 0x1
	v_cmp_eq_f32_e32 vcc_lo, 0xff800000, v10
	s_delay_alu instid0(VALU_DEP_2) | instskip(SKIP_4) | instid1(VALU_DEP_2)
	v_or3_b32 v2, v2, v7, v8
	v_cndmask_b32_e64 v9, 0, 1, vcc_lo
	v_cmp_eq_f32_e32 vcc_lo, 0xff800000, v11
	v_cndmask_b32_e64 v10, 0, 0x100, vcc_lo
	v_cmp_eq_f32_e32 vcc_lo, 0xff800000, v12
	;; [unrolled: 12-line block ×3, first 2 shown]
	v_or_b32_e32 v6, v14, v13
	v_cndmask_b32_e64 v15, 0, 0x10000, vcc_lo
	v_cmp_eq_f32_e32 vcc_lo, 0xff800000, v17
	v_cndmask_b32_e64 v16, 0, 0x1000000, vcc_lo
	s_delay_alu instid0(VALU_DEP_1)
	v_or3_b32 v4, v6, v15, v16
	s_clause 0x3
	global_store_b32 v0, v1, s[8:9] scale_offset
	global_store_b32 v0, v2, s[8:9] offset:1024 scale_offset
	global_store_b32 v0, v3, s[8:9] offset:2048 scale_offset
	;; [unrolled: 1-line block ×3, first 2 shown]
.LBB74_2:
	s_and_not1_b32 vcc_lo, exec_lo, s0
	s_cbranch_vccnz .LBB74_50
; %bb.3:
	v_cmp_gt_i32_e32 vcc_lo, s1, v0
	s_wait_xcnt 0x1
	v_dual_mov_b32 v3, v0 :: v_dual_bitop2_b32 v1, s2, v0 bitop3:0x54
	v_or_b32_e32 v2, 0x100, v0
	s_mov_b32 s3, 0
	s_wait_xcnt 0x0
	s_mov_b32 s9, 0
	s_and_saveexec_b32 s8, vcc_lo
	s_cbranch_execz .LBB74_5
; %bb.4:
	global_load_b32 v3, v1, s[6:7] scale_offset
	s_wait_loadcnt 0x0
	v_cmp_eq_f32_e64 s0, 0xff800000, v3
	v_or_b32_e32 v3, 0x100, v0
	s_and_b32 s9, s0, exec_lo
.LBB74_5:
	s_wait_xcnt 0x0
	s_or_b32 exec_lo, exec_lo, s8
	s_delay_alu instid0(SALU_CYCLE_1)
	s_mov_b32 s8, exec_lo
	v_cmpx_gt_i32_e64 s1, v3
	s_cbranch_execz .LBB74_7
; %bb.6:
	v_add_nc_u32_e32 v4, s2, v3
	v_add_nc_u32_e32 v3, 0x100, v3
	global_load_b32 v4, v4, s[6:7] scale_offset
	s_wait_loadcnt 0x0
	v_cmp_eq_f32_e64 s0, 0xff800000, v4
	s_and_b32 s3, s0, exec_lo
.LBB74_7:
	s_wait_xcnt 0x0
	s_or_b32 exec_lo, exec_lo, s8
	s_mov_b32 s8, 0
	s_mov_b32 s11, 0
	s_mov_b32 s10, exec_lo
	v_cmpx_gt_i32_e64 s1, v3
	s_cbranch_execz .LBB74_9
; %bb.8:
	v_add_nc_u32_e32 v4, s2, v3
	v_add_nc_u32_e32 v3, 0x100, v3
	global_load_b32 v4, v4, s[6:7] scale_offset
	s_wait_loadcnt 0x0
	v_cmp_eq_f32_e64 s0, 0xff800000, v4
	s_and_b32 s11, s0, exec_lo
.LBB74_9:
	s_wait_xcnt 0x0
	s_or_b32 exec_lo, exec_lo, s10
	s_delay_alu instid0(SALU_CYCLE_1)
	s_mov_b32 s10, exec_lo
	v_cmpx_gt_i32_e64 s1, v3
	s_cbranch_execz .LBB74_11
; %bb.10:
	v_add_nc_u32_e32 v4, s2, v3
	v_add_nc_u32_e32 v3, 0x100, v3
	global_load_b32 v4, v4, s[6:7] scale_offset
	s_wait_loadcnt 0x0
	v_cmp_eq_f32_e64 s0, 0xff800000, v4
	s_and_b32 s8, s0, exec_lo
.LBB74_11:
	s_wait_xcnt 0x0
	s_or_b32 exec_lo, exec_lo, s10
	s_mov_b32 s10, 0
	s_mov_b32 s13, 0
	s_mov_b32 s12, exec_lo
	v_cmpx_gt_i32_e64 s1, v3
	s_cbranch_execz .LBB74_13
; %bb.12:
	v_add_nc_u32_e32 v4, s2, v3
	v_add_nc_u32_e32 v3, 0x100, v3
	global_load_b32 v4, v4, s[6:7] scale_offset
	s_wait_loadcnt 0x0
	v_cmp_eq_f32_e64 s0, 0xff800000, v4
	s_and_b32 s13, s0, exec_lo
.LBB74_13:
	;; [unrolled: 29-line block ×6, first 2 shown]
	s_wait_xcnt 0x0
	s_or_b32 exec_lo, exec_lo, s20
	s_delay_alu instid0(SALU_CYCLE_1)
	s_mov_b32 s20, exec_lo
	v_cmpx_gt_i32_e64 s1, v3
	s_cbranch_execz .LBB74_31
; %bb.30:
	v_add_nc_u32_e32 v4, s2, v3
	v_add_nc_u32_e32 v3, 0x100, v3
	global_load_b32 v4, v4, s[6:7] scale_offset
	s_wait_loadcnt 0x0
	v_cmp_eq_f32_e64 s0, 0xff800000, v4
	s_and_b32 s18, s0, exec_lo
.LBB74_31:
	s_wait_xcnt 0x0
	s_or_b32 exec_lo, exec_lo, s20
	s_mov_b32 s20, 0
	s_mov_b32 s22, 0
	s_mov_b32 s23, exec_lo
	v_cmpx_gt_i32_e64 s1, v3
	s_cbranch_execnz .LBB74_51
; %bb.32:
	s_or_b32 exec_lo, exec_lo, s23
	s_delay_alu instid0(SALU_CYCLE_1)
	s_mov_b32 s23, exec_lo
	v_cmpx_gt_i32_e64 s1, v3
	s_cbranch_execnz .LBB74_52
.LBB74_33:
	s_or_b32 exec_lo, exec_lo, s23
	s_and_saveexec_b32 s0, vcc_lo
	s_cbranch_execnz .LBB74_53
.LBB74_34:
	s_or_b32 exec_lo, exec_lo, s0
	s_delay_alu instid0(SALU_CYCLE_1)
	s_mov_b32 s0, exec_lo
	v_cmpx_gt_i32_e64 s1, v0
	s_cbranch_execnz .LBB74_54
.LBB74_35:
	s_or_b32 exec_lo, exec_lo, s0
	s_delay_alu instid0(SALU_CYCLE_1)
	s_mov_b32 s0, exec_lo
	v_cmpx_gt_i32_e64 s1, v0
	s_cbranch_execnz .LBB74_55
.LBB74_36:
	s_or_b32 exec_lo, exec_lo, s0
	s_delay_alu instid0(SALU_CYCLE_1)
	s_mov_b32 s0, exec_lo
	v_cmpx_gt_i32_e64 s1, v0
	s_cbranch_execnz .LBB74_56
.LBB74_37:
	s_or_b32 exec_lo, exec_lo, s0
	s_delay_alu instid0(SALU_CYCLE_1)
	s_mov_b32 s0, exec_lo
	v_cmpx_gt_i32_e64 s1, v0
	s_cbranch_execnz .LBB74_57
.LBB74_38:
	s_or_b32 exec_lo, exec_lo, s0
	s_delay_alu instid0(SALU_CYCLE_1)
	s_mov_b32 s0, exec_lo
	v_cmpx_gt_i32_e64 s1, v0
	s_cbranch_execnz .LBB74_58
.LBB74_39:
	s_or_b32 exec_lo, exec_lo, s0
	s_delay_alu instid0(SALU_CYCLE_1)
	s_mov_b32 s0, exec_lo
	v_cmpx_gt_i32_e64 s1, v0
	s_cbranch_execnz .LBB74_59
.LBB74_40:
	s_or_b32 exec_lo, exec_lo, s0
	s_delay_alu instid0(SALU_CYCLE_1)
	s_mov_b32 s0, exec_lo
	v_cmpx_gt_i32_e64 s1, v0
	s_cbranch_execnz .LBB74_60
.LBB74_41:
	s_or_b32 exec_lo, exec_lo, s0
	s_delay_alu instid0(SALU_CYCLE_1)
	s_mov_b32 s0, exec_lo
	v_cmpx_gt_i32_e64 s1, v0
	s_cbranch_execnz .LBB74_61
.LBB74_42:
	s_or_b32 exec_lo, exec_lo, s0
	s_delay_alu instid0(SALU_CYCLE_1)
	s_mov_b32 s0, exec_lo
	v_cmpx_gt_i32_e64 s1, v0
	s_cbranch_execnz .LBB74_62
.LBB74_43:
	s_or_b32 exec_lo, exec_lo, s0
	s_delay_alu instid0(SALU_CYCLE_1)
	s_mov_b32 s0, exec_lo
	v_cmpx_gt_i32_e64 s1, v0
	s_cbranch_execnz .LBB74_63
.LBB74_44:
	s_or_b32 exec_lo, exec_lo, s0
	s_delay_alu instid0(SALU_CYCLE_1)
	s_mov_b32 s0, exec_lo
	v_cmpx_gt_i32_e64 s1, v0
	s_cbranch_execnz .LBB74_64
.LBB74_45:
	s_or_b32 exec_lo, exec_lo, s0
	s_delay_alu instid0(SALU_CYCLE_1)
	s_mov_b32 s0, exec_lo
	v_cmpx_gt_i32_e64 s1, v0
	s_cbranch_execnz .LBB74_65
.LBB74_46:
	s_or_b32 exec_lo, exec_lo, s0
	s_delay_alu instid0(SALU_CYCLE_1)
	s_mov_b32 s0, exec_lo
	v_cmpx_gt_i32_e64 s1, v0
	s_cbranch_execnz .LBB74_66
.LBB74_47:
	s_or_b32 exec_lo, exec_lo, s0
	s_delay_alu instid0(SALU_CYCLE_1)
	s_mov_b32 s0, exec_lo
	v_cmpx_gt_i32_e64 s1, v0
	s_cbranch_execnz .LBB74_67
.LBB74_48:
	s_or_b32 exec_lo, exec_lo, s0
	s_delay_alu instid0(SALU_CYCLE_1)
	s_mov_b32 s0, exec_lo
	v_cmpx_gt_i32_e64 s1, v0
	s_cbranch_execz .LBB74_50
.LBB74_49:
	v_cndmask_b32_e64 v1, 0, 1, s20
	v_add_nc_u32_e32 v0, s2, v0
	global_store_b8 v0, v1, s[4:5]
.LBB74_50:
	s_endpgm
.LBB74_51:
	v_add_nc_u32_e32 v4, s2, v3
	v_add_nc_u32_e32 v3, 0x100, v3
	global_load_b32 v4, v4, s[6:7] scale_offset
	s_wait_loadcnt 0x0
	v_cmp_eq_f32_e64 s0, 0xff800000, v4
	s_and_b32 s22, s0, exec_lo
	s_wait_xcnt 0x0
	s_or_b32 exec_lo, exec_lo, s23
	s_delay_alu instid0(SALU_CYCLE_1)
	s_mov_b32 s23, exec_lo
	v_cmpx_gt_i32_e64 s1, v3
	s_cbranch_execz .LBB74_33
.LBB74_52:
	v_add_nc_u32_e32 v3, s2, v3
	global_load_b32 v3, v3, s[6:7] scale_offset
	s_wait_loadcnt 0x0
	v_cmp_eq_f32_e64 s0, 0xff800000, v3
	s_and_b32 s20, s0, exec_lo
	s_wait_xcnt 0x0
	s_or_b32 exec_lo, exec_lo, s23
	s_and_saveexec_b32 s0, vcc_lo
	s_cbranch_execz .LBB74_34
.LBB74_53:
	v_cndmask_b32_e64 v3, 0, 1, s9
	v_mov_b32_e32 v0, v2
	global_store_b8 v1, v3, s[4:5]
	s_wait_xcnt 0x0
	s_or_b32 exec_lo, exec_lo, s0
	s_delay_alu instid0(SALU_CYCLE_1)
	s_mov_b32 s0, exec_lo
	v_cmpx_gt_i32_e64 s1, v0
	s_cbranch_execz .LBB74_35
.LBB74_54:
	v_cndmask_b32_e64 v1, 0, 1, s3
	v_add_nc_u32_e32 v2, s2, v0
	v_add_nc_u32_e32 v0, 0x100, v0
	global_store_b8 v2, v1, s[4:5]
	s_wait_xcnt 0x0
	s_or_b32 exec_lo, exec_lo, s0
	s_delay_alu instid0(SALU_CYCLE_1)
	s_mov_b32 s0, exec_lo
	v_cmpx_gt_i32_e64 s1, v0
	s_cbranch_execz .LBB74_36
.LBB74_55:
	v_cndmask_b32_e64 v1, 0, 1, s11
	v_add_nc_u32_e32 v2, s2, v0
	v_add_nc_u32_e32 v0, 0x100, v0
	global_store_b8 v2, v1, s[4:5]
	s_wait_xcnt 0x0
	s_or_b32 exec_lo, exec_lo, s0
	s_delay_alu instid0(SALU_CYCLE_1)
	s_mov_b32 s0, exec_lo
	v_cmpx_gt_i32_e64 s1, v0
	s_cbranch_execz .LBB74_37
.LBB74_56:
	v_cndmask_b32_e64 v1, 0, 1, s8
	v_add_nc_u32_e32 v2, s2, v0
	v_add_nc_u32_e32 v0, 0x100, v0
	global_store_b8 v2, v1, s[4:5]
	s_wait_xcnt 0x0
	s_or_b32 exec_lo, exec_lo, s0
	s_delay_alu instid0(SALU_CYCLE_1)
	s_mov_b32 s0, exec_lo
	v_cmpx_gt_i32_e64 s1, v0
	s_cbranch_execz .LBB74_38
.LBB74_57:
	v_cndmask_b32_e64 v1, 0, 1, s13
	v_add_nc_u32_e32 v2, s2, v0
	v_add_nc_u32_e32 v0, 0x100, v0
	global_store_b8 v2, v1, s[4:5]
	s_wait_xcnt 0x0
	s_or_b32 exec_lo, exec_lo, s0
	s_delay_alu instid0(SALU_CYCLE_1)
	s_mov_b32 s0, exec_lo
	v_cmpx_gt_i32_e64 s1, v0
	s_cbranch_execz .LBB74_39
.LBB74_58:
	v_cndmask_b32_e64 v1, 0, 1, s10
	v_add_nc_u32_e32 v2, s2, v0
	v_add_nc_u32_e32 v0, 0x100, v0
	global_store_b8 v2, v1, s[4:5]
	s_wait_xcnt 0x0
	s_or_b32 exec_lo, exec_lo, s0
	s_delay_alu instid0(SALU_CYCLE_1)
	s_mov_b32 s0, exec_lo
	v_cmpx_gt_i32_e64 s1, v0
	s_cbranch_execz .LBB74_40
.LBB74_59:
	v_cndmask_b32_e64 v1, 0, 1, s15
	v_add_nc_u32_e32 v2, s2, v0
	v_add_nc_u32_e32 v0, 0x100, v0
	global_store_b8 v2, v1, s[4:5]
	s_wait_xcnt 0x0
	s_or_b32 exec_lo, exec_lo, s0
	s_delay_alu instid0(SALU_CYCLE_1)
	s_mov_b32 s0, exec_lo
	v_cmpx_gt_i32_e64 s1, v0
	s_cbranch_execz .LBB74_41
.LBB74_60:
	v_cndmask_b32_e64 v1, 0, 1, s12
	v_add_nc_u32_e32 v2, s2, v0
	v_add_nc_u32_e32 v0, 0x100, v0
	global_store_b8 v2, v1, s[4:5]
	s_wait_xcnt 0x0
	s_or_b32 exec_lo, exec_lo, s0
	s_delay_alu instid0(SALU_CYCLE_1)
	s_mov_b32 s0, exec_lo
	v_cmpx_gt_i32_e64 s1, v0
	s_cbranch_execz .LBB74_42
.LBB74_61:
	v_cndmask_b32_e64 v1, 0, 1, s17
	v_add_nc_u32_e32 v2, s2, v0
	v_add_nc_u32_e32 v0, 0x100, v0
	global_store_b8 v2, v1, s[4:5]
	s_wait_xcnt 0x0
	s_or_b32 exec_lo, exec_lo, s0
	s_delay_alu instid0(SALU_CYCLE_1)
	s_mov_b32 s0, exec_lo
	v_cmpx_gt_i32_e64 s1, v0
	s_cbranch_execz .LBB74_43
.LBB74_62:
	v_cndmask_b32_e64 v1, 0, 1, s14
	v_add_nc_u32_e32 v2, s2, v0
	v_add_nc_u32_e32 v0, 0x100, v0
	global_store_b8 v2, v1, s[4:5]
	s_wait_xcnt 0x0
	s_or_b32 exec_lo, exec_lo, s0
	s_delay_alu instid0(SALU_CYCLE_1)
	s_mov_b32 s0, exec_lo
	v_cmpx_gt_i32_e64 s1, v0
	s_cbranch_execz .LBB74_44
.LBB74_63:
	v_cndmask_b32_e64 v1, 0, 1, s19
	v_add_nc_u32_e32 v2, s2, v0
	v_add_nc_u32_e32 v0, 0x100, v0
	global_store_b8 v2, v1, s[4:5]
	s_wait_xcnt 0x0
	s_or_b32 exec_lo, exec_lo, s0
	s_delay_alu instid0(SALU_CYCLE_1)
	s_mov_b32 s0, exec_lo
	v_cmpx_gt_i32_e64 s1, v0
	s_cbranch_execz .LBB74_45
.LBB74_64:
	v_cndmask_b32_e64 v1, 0, 1, s16
	v_add_nc_u32_e32 v2, s2, v0
	v_add_nc_u32_e32 v0, 0x100, v0
	global_store_b8 v2, v1, s[4:5]
	s_wait_xcnt 0x0
	s_or_b32 exec_lo, exec_lo, s0
	s_delay_alu instid0(SALU_CYCLE_1)
	s_mov_b32 s0, exec_lo
	v_cmpx_gt_i32_e64 s1, v0
	s_cbranch_execz .LBB74_46
.LBB74_65:
	v_cndmask_b32_e64 v1, 0, 1, s21
	v_add_nc_u32_e32 v2, s2, v0
	v_add_nc_u32_e32 v0, 0x100, v0
	global_store_b8 v2, v1, s[4:5]
	s_wait_xcnt 0x0
	s_or_b32 exec_lo, exec_lo, s0
	s_delay_alu instid0(SALU_CYCLE_1)
	s_mov_b32 s0, exec_lo
	v_cmpx_gt_i32_e64 s1, v0
	s_cbranch_execz .LBB74_47
.LBB74_66:
	v_cndmask_b32_e64 v1, 0, 1, s18
	v_add_nc_u32_e32 v2, s2, v0
	v_add_nc_u32_e32 v0, 0x100, v0
	global_store_b8 v2, v1, s[4:5]
	s_wait_xcnt 0x0
	s_or_b32 exec_lo, exec_lo, s0
	s_delay_alu instid0(SALU_CYCLE_1)
	s_mov_b32 s0, exec_lo
	v_cmpx_gt_i32_e64 s1, v0
	s_cbranch_execz .LBB74_48
.LBB74_67:
	v_cndmask_b32_e64 v1, 0, 1, s22
	v_add_nc_u32_e32 v2, s2, v0
	v_add_nc_u32_e32 v0, 0x100, v0
	global_store_b8 v2, v1, s[4:5]
	s_wait_xcnt 0x0
	s_or_b32 exec_lo, exec_lo, s0
	s_delay_alu instid0(SALU_CYCLE_1)
	s_mov_b32 s0, exec_lo
	v_cmpx_gt_i32_e64 s1, v0
	s_cbranch_execnz .LBB74_49
	s_branch .LBB74_50
	.section	.rodata,"a",@progbits
	.p2align	6, 0x0
	.amdhsa_kernel _ZN2at6native29vectorized_elementwise_kernelILi4EZZZNS0_12_GLOBAL__N_120isneginf_kernel_implERNS_18TensorIteratorBaseEENKUlvE_clEvENKUlvE0_clEvEUlfE_St5arrayIPcLm2EEEEviT0_T1_
		.amdhsa_group_segment_fixed_size 0
		.amdhsa_private_segment_fixed_size 0
		.amdhsa_kernarg_size 24
		.amdhsa_user_sgpr_count 2
		.amdhsa_user_sgpr_dispatch_ptr 0
		.amdhsa_user_sgpr_queue_ptr 0
		.amdhsa_user_sgpr_kernarg_segment_ptr 1
		.amdhsa_user_sgpr_dispatch_id 0
		.amdhsa_user_sgpr_kernarg_preload_length 0
		.amdhsa_user_sgpr_kernarg_preload_offset 0
		.amdhsa_user_sgpr_private_segment_size 0
		.amdhsa_wavefront_size32 1
		.amdhsa_uses_dynamic_stack 0
		.amdhsa_enable_private_segment 0
		.amdhsa_system_sgpr_workgroup_id_x 1
		.amdhsa_system_sgpr_workgroup_id_y 0
		.amdhsa_system_sgpr_workgroup_id_z 0
		.amdhsa_system_sgpr_workgroup_info 0
		.amdhsa_system_vgpr_workitem_id 0
		.amdhsa_next_free_vgpr 18
		.amdhsa_next_free_sgpr 24
		.amdhsa_named_barrier_count 0
		.amdhsa_reserve_vcc 1
		.amdhsa_float_round_mode_32 0
		.amdhsa_float_round_mode_16_64 0
		.amdhsa_float_denorm_mode_32 3
		.amdhsa_float_denorm_mode_16_64 3
		.amdhsa_fp16_overflow 0
		.amdhsa_memory_ordered 1
		.amdhsa_forward_progress 1
		.amdhsa_inst_pref_size 25
		.amdhsa_round_robin_scheduling 0
		.amdhsa_exception_fp_ieee_invalid_op 0
		.amdhsa_exception_fp_denorm_src 0
		.amdhsa_exception_fp_ieee_div_zero 0
		.amdhsa_exception_fp_ieee_overflow 0
		.amdhsa_exception_fp_ieee_underflow 0
		.amdhsa_exception_fp_ieee_inexact 0
		.amdhsa_exception_int_div_zero 0
	.end_amdhsa_kernel
	.section	.text._ZN2at6native29vectorized_elementwise_kernelILi4EZZZNS0_12_GLOBAL__N_120isneginf_kernel_implERNS_18TensorIteratorBaseEENKUlvE_clEvENKUlvE0_clEvEUlfE_St5arrayIPcLm2EEEEviT0_T1_,"axG",@progbits,_ZN2at6native29vectorized_elementwise_kernelILi4EZZZNS0_12_GLOBAL__N_120isneginf_kernel_implERNS_18TensorIteratorBaseEENKUlvE_clEvENKUlvE0_clEvEUlfE_St5arrayIPcLm2EEEEviT0_T1_,comdat
.Lfunc_end74:
	.size	_ZN2at6native29vectorized_elementwise_kernelILi4EZZZNS0_12_GLOBAL__N_120isneginf_kernel_implERNS_18TensorIteratorBaseEENKUlvE_clEvENKUlvE0_clEvEUlfE_St5arrayIPcLm2EEEEviT0_T1_, .Lfunc_end74-_ZN2at6native29vectorized_elementwise_kernelILi4EZZZNS0_12_GLOBAL__N_120isneginf_kernel_implERNS_18TensorIteratorBaseEENKUlvE_clEvENKUlvE0_clEvEUlfE_St5arrayIPcLm2EEEEviT0_T1_
                                        ; -- End function
	.set _ZN2at6native29vectorized_elementwise_kernelILi4EZZZNS0_12_GLOBAL__N_120isneginf_kernel_implERNS_18TensorIteratorBaseEENKUlvE_clEvENKUlvE0_clEvEUlfE_St5arrayIPcLm2EEEEviT0_T1_.num_vgpr, 18
	.set _ZN2at6native29vectorized_elementwise_kernelILi4EZZZNS0_12_GLOBAL__N_120isneginf_kernel_implERNS_18TensorIteratorBaseEENKUlvE_clEvENKUlvE0_clEvEUlfE_St5arrayIPcLm2EEEEviT0_T1_.num_agpr, 0
	.set _ZN2at6native29vectorized_elementwise_kernelILi4EZZZNS0_12_GLOBAL__N_120isneginf_kernel_implERNS_18TensorIteratorBaseEENKUlvE_clEvENKUlvE0_clEvEUlfE_St5arrayIPcLm2EEEEviT0_T1_.numbered_sgpr, 24
	.set _ZN2at6native29vectorized_elementwise_kernelILi4EZZZNS0_12_GLOBAL__N_120isneginf_kernel_implERNS_18TensorIteratorBaseEENKUlvE_clEvENKUlvE0_clEvEUlfE_St5arrayIPcLm2EEEEviT0_T1_.num_named_barrier, 0
	.set _ZN2at6native29vectorized_elementwise_kernelILi4EZZZNS0_12_GLOBAL__N_120isneginf_kernel_implERNS_18TensorIteratorBaseEENKUlvE_clEvENKUlvE0_clEvEUlfE_St5arrayIPcLm2EEEEviT0_T1_.private_seg_size, 0
	.set _ZN2at6native29vectorized_elementwise_kernelILi4EZZZNS0_12_GLOBAL__N_120isneginf_kernel_implERNS_18TensorIteratorBaseEENKUlvE_clEvENKUlvE0_clEvEUlfE_St5arrayIPcLm2EEEEviT0_T1_.uses_vcc, 1
	.set _ZN2at6native29vectorized_elementwise_kernelILi4EZZZNS0_12_GLOBAL__N_120isneginf_kernel_implERNS_18TensorIteratorBaseEENKUlvE_clEvENKUlvE0_clEvEUlfE_St5arrayIPcLm2EEEEviT0_T1_.uses_flat_scratch, 0
	.set _ZN2at6native29vectorized_elementwise_kernelILi4EZZZNS0_12_GLOBAL__N_120isneginf_kernel_implERNS_18TensorIteratorBaseEENKUlvE_clEvENKUlvE0_clEvEUlfE_St5arrayIPcLm2EEEEviT0_T1_.has_dyn_sized_stack, 0
	.set _ZN2at6native29vectorized_elementwise_kernelILi4EZZZNS0_12_GLOBAL__N_120isneginf_kernel_implERNS_18TensorIteratorBaseEENKUlvE_clEvENKUlvE0_clEvEUlfE_St5arrayIPcLm2EEEEviT0_T1_.has_recursion, 0
	.set _ZN2at6native29vectorized_elementwise_kernelILi4EZZZNS0_12_GLOBAL__N_120isneginf_kernel_implERNS_18TensorIteratorBaseEENKUlvE_clEvENKUlvE0_clEvEUlfE_St5arrayIPcLm2EEEEviT0_T1_.has_indirect_call, 0
	.section	.AMDGPU.csdata,"",@progbits
; Kernel info:
; codeLenInByte = 3148
; TotalNumSgprs: 26
; NumVgprs: 18
; ScratchSize: 0
; MemoryBound: 0
; FloatMode: 240
; IeeeMode: 1
; LDSByteSize: 0 bytes/workgroup (compile time only)
; SGPRBlocks: 0
; VGPRBlocks: 1
; NumSGPRsForWavesPerEU: 26
; NumVGPRsForWavesPerEU: 18
; NamedBarCnt: 0
; Occupancy: 16
; WaveLimiterHint : 1
; COMPUTE_PGM_RSRC2:SCRATCH_EN: 0
; COMPUTE_PGM_RSRC2:USER_SGPR: 2
; COMPUTE_PGM_RSRC2:TRAP_HANDLER: 0
; COMPUTE_PGM_RSRC2:TGID_X_EN: 1
; COMPUTE_PGM_RSRC2:TGID_Y_EN: 0
; COMPUTE_PGM_RSRC2:TGID_Z_EN: 0
; COMPUTE_PGM_RSRC2:TIDIG_COMP_CNT: 0
	.section	.text._ZN2at6native29vectorized_elementwise_kernelILi2EZZZNS0_12_GLOBAL__N_120isneginf_kernel_implERNS_18TensorIteratorBaseEENKUlvE_clEvENKUlvE0_clEvEUlfE_St5arrayIPcLm2EEEEviT0_T1_,"axG",@progbits,_ZN2at6native29vectorized_elementwise_kernelILi2EZZZNS0_12_GLOBAL__N_120isneginf_kernel_implERNS_18TensorIteratorBaseEENKUlvE_clEvENKUlvE0_clEvEUlfE_St5arrayIPcLm2EEEEviT0_T1_,comdat
	.globl	_ZN2at6native29vectorized_elementwise_kernelILi2EZZZNS0_12_GLOBAL__N_120isneginf_kernel_implERNS_18TensorIteratorBaseEENKUlvE_clEvENKUlvE0_clEvEUlfE_St5arrayIPcLm2EEEEviT0_T1_ ; -- Begin function _ZN2at6native29vectorized_elementwise_kernelILi2EZZZNS0_12_GLOBAL__N_120isneginf_kernel_implERNS_18TensorIteratorBaseEENKUlvE_clEvENKUlvE0_clEvEUlfE_St5arrayIPcLm2EEEEviT0_T1_
	.p2align	8
	.type	_ZN2at6native29vectorized_elementwise_kernelILi2EZZZNS0_12_GLOBAL__N_120isneginf_kernel_implERNS_18TensorIteratorBaseEENKUlvE_clEvENKUlvE0_clEvEUlfE_St5arrayIPcLm2EEEEviT0_T1_,@function
_ZN2at6native29vectorized_elementwise_kernelILi2EZZZNS0_12_GLOBAL__N_120isneginf_kernel_implERNS_18TensorIteratorBaseEENKUlvE_clEvENKUlvE0_clEvEUlfE_St5arrayIPcLm2EEEEviT0_T1_: ; @_ZN2at6native29vectorized_elementwise_kernelILi2EZZZNS0_12_GLOBAL__N_120isneginf_kernel_implERNS_18TensorIteratorBaseEENKUlvE_clEvENKUlvE0_clEvEUlfE_St5arrayIPcLm2EEEEviT0_T1_
; %bb.0:
	s_clause 0x1
	s_load_b32 s3, s[0:1], 0x0
	s_load_b128 s[4:7], s[0:1], 0x8
	s_wait_xcnt 0x0
	s_bfe_u32 s0, ttmp6, 0x4000c
	s_and_b32 s1, ttmp6, 15
	s_add_co_i32 s0, s0, 1
	s_getreg_b32 s2, hwreg(HW_REG_IB_STS2, 6, 4)
	s_mul_i32 s0, ttmp9, s0
	s_delay_alu instid0(SALU_CYCLE_1) | instskip(SKIP_2) | instid1(SALU_CYCLE_1)
	s_add_co_i32 s1, s1, s0
	s_cmp_eq_u32 s2, 0
	s_cselect_b32 s0, ttmp9, s1
	s_lshl_b32 s2, s0, 12
	s_mov_b32 s0, -1
	s_wait_kmcnt 0x0
	s_sub_co_i32 s1, s3, s2
	s_delay_alu instid0(SALU_CYCLE_1)
	s_cmp_gt_i32 s1, 0xfff
	s_cbranch_scc0 .LBB75_2
; %bb.1:
	s_ashr_i32 s3, s2, 31
	s_mov_b32 s0, 0
	s_lshl_b64 s[8:9], s[2:3], 2
	s_delay_alu instid0(SALU_CYCLE_1)
	s_add_nc_u64 s[8:9], s[6:7], s[8:9]
	s_clause 0x7
	global_load_b64 v[2:3], v0, s[8:9] scale_offset
	global_load_b64 v[4:5], v0, s[8:9] offset:2048 scale_offset
	global_load_b64 v[6:7], v0, s[8:9] offset:4096 scale_offset
	;; [unrolled: 1-line block ×7, first 2 shown]
	s_wait_xcnt 0x0
	s_add_nc_u64 s[8:9], s[4:5], s[2:3]
	s_wait_loadcnt 0x7
	v_cmp_eq_f32_e32 vcc_lo, 0xff800000, v2
	v_cndmask_b32_e64 v1, 0, 1, vcc_lo
	v_cmp_eq_f32_e32 vcc_lo, 0xff800000, v3
	v_cndmask_b32_e64 v2, 0, 0x100, vcc_lo
	s_wait_loadcnt 0x6
	v_cmp_eq_f32_e32 vcc_lo, 0xff800000, v4
	s_delay_alu instid0(VALU_DEP_2)
	v_or_b32_e32 v1, v2, v1
	v_cndmask_b32_e64 v3, 0, 1, vcc_lo
	v_cmp_eq_f32_e32 vcc_lo, 0xff800000, v5
	v_cndmask_b32_e64 v4, 0, 0x100, vcc_lo
	s_wait_loadcnt 0x5
	v_cmp_eq_f32_e32 vcc_lo, 0xff800000, v6
	s_delay_alu instid0(VALU_DEP_2)
	v_or_b32_e32 v2, v4, v3
	;; [unrolled: 7-line block ×6, first 2 shown]
	v_cndmask_b32_e64 v13, 0, 1, vcc_lo
	v_cmp_eq_f32_e32 vcc_lo, 0xff800000, v15
	v_cndmask_b32_e64 v14, 0, 0x100, vcc_lo
	s_wait_loadcnt 0x0
	v_cmp_eq_f32_e32 vcc_lo, 0xff800000, v16
	s_delay_alu instid0(VALU_DEP_2) | instskip(SKIP_3) | instid1(VALU_DEP_1)
	v_or_b32_e32 v7, v14, v13
	v_cndmask_b32_e64 v15, 0, 1, vcc_lo
	v_cmp_eq_f32_e32 vcc_lo, 0xff800000, v17
	v_cndmask_b32_e64 v16, 0, 0x100, vcc_lo
	v_or_b32_e32 v8, v16, v15
	s_clause 0x7
	global_store_b16 v0, v1, s[8:9] scale_offset
	global_store_b16 v0, v2, s[8:9] offset:512 scale_offset
	global_store_b16 v0, v3, s[8:9] offset:1024 scale_offset
	;; [unrolled: 1-line block ×7, first 2 shown]
.LBB75_2:
	s_and_not1_b32 vcc_lo, exec_lo, s0
	s_cbranch_vccnz .LBB75_50
; %bb.3:
	v_cmp_gt_i32_e32 vcc_lo, s1, v0
	s_wait_xcnt 0x5
	v_dual_mov_b32 v3, v0 :: v_dual_bitop2_b32 v1, s2, v0 bitop3:0x54
	v_or_b32_e32 v2, 0x100, v0
	s_mov_b32 s3, 0
	s_wait_xcnt 0x0
	s_mov_b32 s9, 0
	s_and_saveexec_b32 s8, vcc_lo
	s_cbranch_execz .LBB75_5
; %bb.4:
	global_load_b32 v3, v1, s[6:7] scale_offset
	s_wait_loadcnt 0x0
	v_cmp_eq_f32_e64 s0, 0xff800000, v3
	v_or_b32_e32 v3, 0x100, v0
	s_and_b32 s9, s0, exec_lo
.LBB75_5:
	s_wait_xcnt 0x0
	s_or_b32 exec_lo, exec_lo, s8
	s_delay_alu instid0(SALU_CYCLE_1)
	s_mov_b32 s8, exec_lo
	v_cmpx_gt_i32_e64 s1, v3
	s_cbranch_execz .LBB75_7
; %bb.6:
	v_add_nc_u32_e32 v4, s2, v3
	v_add_nc_u32_e32 v3, 0x100, v3
	global_load_b32 v4, v4, s[6:7] scale_offset
	s_wait_loadcnt 0x0
	v_cmp_eq_f32_e64 s0, 0xff800000, v4
	s_and_b32 s3, s0, exec_lo
.LBB75_7:
	s_wait_xcnt 0x0
	s_or_b32 exec_lo, exec_lo, s8
	s_mov_b32 s8, 0
	s_mov_b32 s11, 0
	s_mov_b32 s10, exec_lo
	v_cmpx_gt_i32_e64 s1, v3
	s_cbranch_execz .LBB75_9
; %bb.8:
	v_add_nc_u32_e32 v4, s2, v3
	v_add_nc_u32_e32 v3, 0x100, v3
	global_load_b32 v4, v4, s[6:7] scale_offset
	s_wait_loadcnt 0x0
	v_cmp_eq_f32_e64 s0, 0xff800000, v4
	s_and_b32 s11, s0, exec_lo
.LBB75_9:
	s_wait_xcnt 0x0
	s_or_b32 exec_lo, exec_lo, s10
	s_delay_alu instid0(SALU_CYCLE_1)
	s_mov_b32 s10, exec_lo
	v_cmpx_gt_i32_e64 s1, v3
	s_cbranch_execz .LBB75_11
; %bb.10:
	v_add_nc_u32_e32 v4, s2, v3
	v_add_nc_u32_e32 v3, 0x100, v3
	global_load_b32 v4, v4, s[6:7] scale_offset
	s_wait_loadcnt 0x0
	v_cmp_eq_f32_e64 s0, 0xff800000, v4
	s_and_b32 s8, s0, exec_lo
.LBB75_11:
	s_wait_xcnt 0x0
	s_or_b32 exec_lo, exec_lo, s10
	s_mov_b32 s10, 0
	s_mov_b32 s13, 0
	s_mov_b32 s12, exec_lo
	v_cmpx_gt_i32_e64 s1, v3
	s_cbranch_execz .LBB75_13
; %bb.12:
	v_add_nc_u32_e32 v4, s2, v3
	v_add_nc_u32_e32 v3, 0x100, v3
	global_load_b32 v4, v4, s[6:7] scale_offset
	s_wait_loadcnt 0x0
	v_cmp_eq_f32_e64 s0, 0xff800000, v4
	s_and_b32 s13, s0, exec_lo
.LBB75_13:
	;; [unrolled: 29-line block ×6, first 2 shown]
	s_wait_xcnt 0x0
	s_or_b32 exec_lo, exec_lo, s20
	s_delay_alu instid0(SALU_CYCLE_1)
	s_mov_b32 s20, exec_lo
	v_cmpx_gt_i32_e64 s1, v3
	s_cbranch_execz .LBB75_31
; %bb.30:
	v_add_nc_u32_e32 v4, s2, v3
	v_add_nc_u32_e32 v3, 0x100, v3
	global_load_b32 v4, v4, s[6:7] scale_offset
	s_wait_loadcnt 0x0
	v_cmp_eq_f32_e64 s0, 0xff800000, v4
	s_and_b32 s18, s0, exec_lo
.LBB75_31:
	s_wait_xcnt 0x0
	s_or_b32 exec_lo, exec_lo, s20
	s_mov_b32 s20, 0
	s_mov_b32 s22, 0
	s_mov_b32 s23, exec_lo
	v_cmpx_gt_i32_e64 s1, v3
	s_cbranch_execnz .LBB75_51
; %bb.32:
	s_or_b32 exec_lo, exec_lo, s23
	s_delay_alu instid0(SALU_CYCLE_1)
	s_mov_b32 s23, exec_lo
	v_cmpx_gt_i32_e64 s1, v3
	s_cbranch_execnz .LBB75_52
.LBB75_33:
	s_or_b32 exec_lo, exec_lo, s23
	s_and_saveexec_b32 s0, vcc_lo
	s_cbranch_execnz .LBB75_53
.LBB75_34:
	s_or_b32 exec_lo, exec_lo, s0
	s_delay_alu instid0(SALU_CYCLE_1)
	s_mov_b32 s0, exec_lo
	v_cmpx_gt_i32_e64 s1, v0
	s_cbranch_execnz .LBB75_54
.LBB75_35:
	s_or_b32 exec_lo, exec_lo, s0
	s_delay_alu instid0(SALU_CYCLE_1)
	s_mov_b32 s0, exec_lo
	v_cmpx_gt_i32_e64 s1, v0
	s_cbranch_execnz .LBB75_55
.LBB75_36:
	s_or_b32 exec_lo, exec_lo, s0
	s_delay_alu instid0(SALU_CYCLE_1)
	s_mov_b32 s0, exec_lo
	v_cmpx_gt_i32_e64 s1, v0
	s_cbranch_execnz .LBB75_56
.LBB75_37:
	s_or_b32 exec_lo, exec_lo, s0
	s_delay_alu instid0(SALU_CYCLE_1)
	s_mov_b32 s0, exec_lo
	v_cmpx_gt_i32_e64 s1, v0
	s_cbranch_execnz .LBB75_57
.LBB75_38:
	s_or_b32 exec_lo, exec_lo, s0
	s_delay_alu instid0(SALU_CYCLE_1)
	s_mov_b32 s0, exec_lo
	v_cmpx_gt_i32_e64 s1, v0
	s_cbranch_execnz .LBB75_58
.LBB75_39:
	s_or_b32 exec_lo, exec_lo, s0
	s_delay_alu instid0(SALU_CYCLE_1)
	s_mov_b32 s0, exec_lo
	v_cmpx_gt_i32_e64 s1, v0
	s_cbranch_execnz .LBB75_59
.LBB75_40:
	s_or_b32 exec_lo, exec_lo, s0
	s_delay_alu instid0(SALU_CYCLE_1)
	s_mov_b32 s0, exec_lo
	v_cmpx_gt_i32_e64 s1, v0
	s_cbranch_execnz .LBB75_60
.LBB75_41:
	s_or_b32 exec_lo, exec_lo, s0
	s_delay_alu instid0(SALU_CYCLE_1)
	s_mov_b32 s0, exec_lo
	v_cmpx_gt_i32_e64 s1, v0
	s_cbranch_execnz .LBB75_61
.LBB75_42:
	s_or_b32 exec_lo, exec_lo, s0
	s_delay_alu instid0(SALU_CYCLE_1)
	s_mov_b32 s0, exec_lo
	v_cmpx_gt_i32_e64 s1, v0
	s_cbranch_execnz .LBB75_62
.LBB75_43:
	s_or_b32 exec_lo, exec_lo, s0
	s_delay_alu instid0(SALU_CYCLE_1)
	s_mov_b32 s0, exec_lo
	v_cmpx_gt_i32_e64 s1, v0
	s_cbranch_execnz .LBB75_63
.LBB75_44:
	s_or_b32 exec_lo, exec_lo, s0
	s_delay_alu instid0(SALU_CYCLE_1)
	s_mov_b32 s0, exec_lo
	v_cmpx_gt_i32_e64 s1, v0
	s_cbranch_execnz .LBB75_64
.LBB75_45:
	s_or_b32 exec_lo, exec_lo, s0
	s_delay_alu instid0(SALU_CYCLE_1)
	s_mov_b32 s0, exec_lo
	v_cmpx_gt_i32_e64 s1, v0
	s_cbranch_execnz .LBB75_65
.LBB75_46:
	s_or_b32 exec_lo, exec_lo, s0
	s_delay_alu instid0(SALU_CYCLE_1)
	s_mov_b32 s0, exec_lo
	v_cmpx_gt_i32_e64 s1, v0
	s_cbranch_execnz .LBB75_66
.LBB75_47:
	s_or_b32 exec_lo, exec_lo, s0
	s_delay_alu instid0(SALU_CYCLE_1)
	s_mov_b32 s0, exec_lo
	v_cmpx_gt_i32_e64 s1, v0
	s_cbranch_execnz .LBB75_67
.LBB75_48:
	s_or_b32 exec_lo, exec_lo, s0
	s_delay_alu instid0(SALU_CYCLE_1)
	s_mov_b32 s0, exec_lo
	v_cmpx_gt_i32_e64 s1, v0
	s_cbranch_execz .LBB75_50
.LBB75_49:
	v_cndmask_b32_e64 v1, 0, 1, s20
	v_add_nc_u32_e32 v0, s2, v0
	global_store_b8 v0, v1, s[4:5]
.LBB75_50:
	s_endpgm
.LBB75_51:
	v_add_nc_u32_e32 v4, s2, v3
	v_add_nc_u32_e32 v3, 0x100, v3
	global_load_b32 v4, v4, s[6:7] scale_offset
	s_wait_loadcnt 0x0
	v_cmp_eq_f32_e64 s0, 0xff800000, v4
	s_and_b32 s22, s0, exec_lo
	s_wait_xcnt 0x0
	s_or_b32 exec_lo, exec_lo, s23
	s_delay_alu instid0(SALU_CYCLE_1)
	s_mov_b32 s23, exec_lo
	v_cmpx_gt_i32_e64 s1, v3
	s_cbranch_execz .LBB75_33
.LBB75_52:
	v_add_nc_u32_e32 v3, s2, v3
	global_load_b32 v3, v3, s[6:7] scale_offset
	s_wait_loadcnt 0x0
	v_cmp_eq_f32_e64 s0, 0xff800000, v3
	s_and_b32 s20, s0, exec_lo
	s_wait_xcnt 0x0
	s_or_b32 exec_lo, exec_lo, s23
	s_and_saveexec_b32 s0, vcc_lo
	s_cbranch_execz .LBB75_34
.LBB75_53:
	v_cndmask_b32_e64 v3, 0, 1, s9
	v_mov_b32_e32 v0, v2
	global_store_b8 v1, v3, s[4:5]
	s_wait_xcnt 0x0
	s_or_b32 exec_lo, exec_lo, s0
	s_delay_alu instid0(SALU_CYCLE_1)
	s_mov_b32 s0, exec_lo
	v_cmpx_gt_i32_e64 s1, v0
	s_cbranch_execz .LBB75_35
.LBB75_54:
	v_cndmask_b32_e64 v1, 0, 1, s3
	v_add_nc_u32_e32 v2, s2, v0
	v_add_nc_u32_e32 v0, 0x100, v0
	global_store_b8 v2, v1, s[4:5]
	s_wait_xcnt 0x0
	s_or_b32 exec_lo, exec_lo, s0
	s_delay_alu instid0(SALU_CYCLE_1)
	s_mov_b32 s0, exec_lo
	v_cmpx_gt_i32_e64 s1, v0
	s_cbranch_execz .LBB75_36
.LBB75_55:
	v_cndmask_b32_e64 v1, 0, 1, s11
	v_add_nc_u32_e32 v2, s2, v0
	v_add_nc_u32_e32 v0, 0x100, v0
	global_store_b8 v2, v1, s[4:5]
	s_wait_xcnt 0x0
	s_or_b32 exec_lo, exec_lo, s0
	s_delay_alu instid0(SALU_CYCLE_1)
	s_mov_b32 s0, exec_lo
	v_cmpx_gt_i32_e64 s1, v0
	s_cbranch_execz .LBB75_37
.LBB75_56:
	v_cndmask_b32_e64 v1, 0, 1, s8
	v_add_nc_u32_e32 v2, s2, v0
	v_add_nc_u32_e32 v0, 0x100, v0
	global_store_b8 v2, v1, s[4:5]
	s_wait_xcnt 0x0
	s_or_b32 exec_lo, exec_lo, s0
	s_delay_alu instid0(SALU_CYCLE_1)
	s_mov_b32 s0, exec_lo
	v_cmpx_gt_i32_e64 s1, v0
	s_cbranch_execz .LBB75_38
.LBB75_57:
	v_cndmask_b32_e64 v1, 0, 1, s13
	v_add_nc_u32_e32 v2, s2, v0
	v_add_nc_u32_e32 v0, 0x100, v0
	global_store_b8 v2, v1, s[4:5]
	s_wait_xcnt 0x0
	s_or_b32 exec_lo, exec_lo, s0
	s_delay_alu instid0(SALU_CYCLE_1)
	s_mov_b32 s0, exec_lo
	v_cmpx_gt_i32_e64 s1, v0
	s_cbranch_execz .LBB75_39
.LBB75_58:
	v_cndmask_b32_e64 v1, 0, 1, s10
	v_add_nc_u32_e32 v2, s2, v0
	v_add_nc_u32_e32 v0, 0x100, v0
	global_store_b8 v2, v1, s[4:5]
	s_wait_xcnt 0x0
	s_or_b32 exec_lo, exec_lo, s0
	s_delay_alu instid0(SALU_CYCLE_1)
	s_mov_b32 s0, exec_lo
	v_cmpx_gt_i32_e64 s1, v0
	s_cbranch_execz .LBB75_40
.LBB75_59:
	v_cndmask_b32_e64 v1, 0, 1, s15
	v_add_nc_u32_e32 v2, s2, v0
	v_add_nc_u32_e32 v0, 0x100, v0
	global_store_b8 v2, v1, s[4:5]
	s_wait_xcnt 0x0
	s_or_b32 exec_lo, exec_lo, s0
	s_delay_alu instid0(SALU_CYCLE_1)
	s_mov_b32 s0, exec_lo
	v_cmpx_gt_i32_e64 s1, v0
	s_cbranch_execz .LBB75_41
.LBB75_60:
	v_cndmask_b32_e64 v1, 0, 1, s12
	v_add_nc_u32_e32 v2, s2, v0
	v_add_nc_u32_e32 v0, 0x100, v0
	global_store_b8 v2, v1, s[4:5]
	s_wait_xcnt 0x0
	s_or_b32 exec_lo, exec_lo, s0
	s_delay_alu instid0(SALU_CYCLE_1)
	s_mov_b32 s0, exec_lo
	v_cmpx_gt_i32_e64 s1, v0
	s_cbranch_execz .LBB75_42
.LBB75_61:
	v_cndmask_b32_e64 v1, 0, 1, s17
	v_add_nc_u32_e32 v2, s2, v0
	v_add_nc_u32_e32 v0, 0x100, v0
	global_store_b8 v2, v1, s[4:5]
	s_wait_xcnt 0x0
	s_or_b32 exec_lo, exec_lo, s0
	s_delay_alu instid0(SALU_CYCLE_1)
	s_mov_b32 s0, exec_lo
	v_cmpx_gt_i32_e64 s1, v0
	s_cbranch_execz .LBB75_43
.LBB75_62:
	v_cndmask_b32_e64 v1, 0, 1, s14
	v_add_nc_u32_e32 v2, s2, v0
	v_add_nc_u32_e32 v0, 0x100, v0
	global_store_b8 v2, v1, s[4:5]
	s_wait_xcnt 0x0
	s_or_b32 exec_lo, exec_lo, s0
	s_delay_alu instid0(SALU_CYCLE_1)
	s_mov_b32 s0, exec_lo
	v_cmpx_gt_i32_e64 s1, v0
	s_cbranch_execz .LBB75_44
.LBB75_63:
	v_cndmask_b32_e64 v1, 0, 1, s19
	v_add_nc_u32_e32 v2, s2, v0
	v_add_nc_u32_e32 v0, 0x100, v0
	global_store_b8 v2, v1, s[4:5]
	s_wait_xcnt 0x0
	s_or_b32 exec_lo, exec_lo, s0
	s_delay_alu instid0(SALU_CYCLE_1)
	s_mov_b32 s0, exec_lo
	v_cmpx_gt_i32_e64 s1, v0
	s_cbranch_execz .LBB75_45
.LBB75_64:
	v_cndmask_b32_e64 v1, 0, 1, s16
	v_add_nc_u32_e32 v2, s2, v0
	v_add_nc_u32_e32 v0, 0x100, v0
	global_store_b8 v2, v1, s[4:5]
	s_wait_xcnt 0x0
	s_or_b32 exec_lo, exec_lo, s0
	s_delay_alu instid0(SALU_CYCLE_1)
	s_mov_b32 s0, exec_lo
	v_cmpx_gt_i32_e64 s1, v0
	s_cbranch_execz .LBB75_46
.LBB75_65:
	v_cndmask_b32_e64 v1, 0, 1, s21
	v_add_nc_u32_e32 v2, s2, v0
	v_add_nc_u32_e32 v0, 0x100, v0
	global_store_b8 v2, v1, s[4:5]
	s_wait_xcnt 0x0
	s_or_b32 exec_lo, exec_lo, s0
	s_delay_alu instid0(SALU_CYCLE_1)
	s_mov_b32 s0, exec_lo
	v_cmpx_gt_i32_e64 s1, v0
	s_cbranch_execz .LBB75_47
.LBB75_66:
	v_cndmask_b32_e64 v1, 0, 1, s18
	v_add_nc_u32_e32 v2, s2, v0
	v_add_nc_u32_e32 v0, 0x100, v0
	global_store_b8 v2, v1, s[4:5]
	s_wait_xcnt 0x0
	s_or_b32 exec_lo, exec_lo, s0
	s_delay_alu instid0(SALU_CYCLE_1)
	s_mov_b32 s0, exec_lo
	v_cmpx_gt_i32_e64 s1, v0
	s_cbranch_execz .LBB75_48
.LBB75_67:
	v_cndmask_b32_e64 v1, 0, 1, s22
	v_add_nc_u32_e32 v2, s2, v0
	v_add_nc_u32_e32 v0, 0x100, v0
	global_store_b8 v2, v1, s[4:5]
	s_wait_xcnt 0x0
	s_or_b32 exec_lo, exec_lo, s0
	s_delay_alu instid0(SALU_CYCLE_1)
	s_mov_b32 s0, exec_lo
	v_cmpx_gt_i32_e64 s1, v0
	s_cbranch_execnz .LBB75_49
	s_branch .LBB75_50
	.section	.rodata,"a",@progbits
	.p2align	6, 0x0
	.amdhsa_kernel _ZN2at6native29vectorized_elementwise_kernelILi2EZZZNS0_12_GLOBAL__N_120isneginf_kernel_implERNS_18TensorIteratorBaseEENKUlvE_clEvENKUlvE0_clEvEUlfE_St5arrayIPcLm2EEEEviT0_T1_
		.amdhsa_group_segment_fixed_size 0
		.amdhsa_private_segment_fixed_size 0
		.amdhsa_kernarg_size 24
		.amdhsa_user_sgpr_count 2
		.amdhsa_user_sgpr_dispatch_ptr 0
		.amdhsa_user_sgpr_queue_ptr 0
		.amdhsa_user_sgpr_kernarg_segment_ptr 1
		.amdhsa_user_sgpr_dispatch_id 0
		.amdhsa_user_sgpr_kernarg_preload_length 0
		.amdhsa_user_sgpr_kernarg_preload_offset 0
		.amdhsa_user_sgpr_private_segment_size 0
		.amdhsa_wavefront_size32 1
		.amdhsa_uses_dynamic_stack 0
		.amdhsa_enable_private_segment 0
		.amdhsa_system_sgpr_workgroup_id_x 1
		.amdhsa_system_sgpr_workgroup_id_y 0
		.amdhsa_system_sgpr_workgroup_id_z 0
		.amdhsa_system_sgpr_workgroup_info 0
		.amdhsa_system_vgpr_workitem_id 0
		.amdhsa_next_free_vgpr 18
		.amdhsa_next_free_sgpr 24
		.amdhsa_named_barrier_count 0
		.amdhsa_reserve_vcc 1
		.amdhsa_float_round_mode_32 0
		.amdhsa_float_round_mode_16_64 0
		.amdhsa_float_denorm_mode_32 3
		.amdhsa_float_denorm_mode_16_64 3
		.amdhsa_fp16_overflow 0
		.amdhsa_memory_ordered 1
		.amdhsa_forward_progress 1
		.amdhsa_inst_pref_size 26
		.amdhsa_round_robin_scheduling 0
		.amdhsa_exception_fp_ieee_invalid_op 0
		.amdhsa_exception_fp_denorm_src 0
		.amdhsa_exception_fp_ieee_div_zero 0
		.amdhsa_exception_fp_ieee_overflow 0
		.amdhsa_exception_fp_ieee_underflow 0
		.amdhsa_exception_fp_ieee_inexact 0
		.amdhsa_exception_int_div_zero 0
	.end_amdhsa_kernel
	.section	.text._ZN2at6native29vectorized_elementwise_kernelILi2EZZZNS0_12_GLOBAL__N_120isneginf_kernel_implERNS_18TensorIteratorBaseEENKUlvE_clEvENKUlvE0_clEvEUlfE_St5arrayIPcLm2EEEEviT0_T1_,"axG",@progbits,_ZN2at6native29vectorized_elementwise_kernelILi2EZZZNS0_12_GLOBAL__N_120isneginf_kernel_implERNS_18TensorIteratorBaseEENKUlvE_clEvENKUlvE0_clEvEUlfE_St5arrayIPcLm2EEEEviT0_T1_,comdat
.Lfunc_end75:
	.size	_ZN2at6native29vectorized_elementwise_kernelILi2EZZZNS0_12_GLOBAL__N_120isneginf_kernel_implERNS_18TensorIteratorBaseEENKUlvE_clEvENKUlvE0_clEvEUlfE_St5arrayIPcLm2EEEEviT0_T1_, .Lfunc_end75-_ZN2at6native29vectorized_elementwise_kernelILi2EZZZNS0_12_GLOBAL__N_120isneginf_kernel_implERNS_18TensorIteratorBaseEENKUlvE_clEvENKUlvE0_clEvEUlfE_St5arrayIPcLm2EEEEviT0_T1_
                                        ; -- End function
	.set _ZN2at6native29vectorized_elementwise_kernelILi2EZZZNS0_12_GLOBAL__N_120isneginf_kernel_implERNS_18TensorIteratorBaseEENKUlvE_clEvENKUlvE0_clEvEUlfE_St5arrayIPcLm2EEEEviT0_T1_.num_vgpr, 18
	.set _ZN2at6native29vectorized_elementwise_kernelILi2EZZZNS0_12_GLOBAL__N_120isneginf_kernel_implERNS_18TensorIteratorBaseEENKUlvE_clEvENKUlvE0_clEvEUlfE_St5arrayIPcLm2EEEEviT0_T1_.num_agpr, 0
	.set _ZN2at6native29vectorized_elementwise_kernelILi2EZZZNS0_12_GLOBAL__N_120isneginf_kernel_implERNS_18TensorIteratorBaseEENKUlvE_clEvENKUlvE0_clEvEUlfE_St5arrayIPcLm2EEEEviT0_T1_.numbered_sgpr, 24
	.set _ZN2at6native29vectorized_elementwise_kernelILi2EZZZNS0_12_GLOBAL__N_120isneginf_kernel_implERNS_18TensorIteratorBaseEENKUlvE_clEvENKUlvE0_clEvEUlfE_St5arrayIPcLm2EEEEviT0_T1_.num_named_barrier, 0
	.set _ZN2at6native29vectorized_elementwise_kernelILi2EZZZNS0_12_GLOBAL__N_120isneginf_kernel_implERNS_18TensorIteratorBaseEENKUlvE_clEvENKUlvE0_clEvEUlfE_St5arrayIPcLm2EEEEviT0_T1_.private_seg_size, 0
	.set _ZN2at6native29vectorized_elementwise_kernelILi2EZZZNS0_12_GLOBAL__N_120isneginf_kernel_implERNS_18TensorIteratorBaseEENKUlvE_clEvENKUlvE0_clEvEUlfE_St5arrayIPcLm2EEEEviT0_T1_.uses_vcc, 1
	.set _ZN2at6native29vectorized_elementwise_kernelILi2EZZZNS0_12_GLOBAL__N_120isneginf_kernel_implERNS_18TensorIteratorBaseEENKUlvE_clEvENKUlvE0_clEvEUlfE_St5arrayIPcLm2EEEEviT0_T1_.uses_flat_scratch, 0
	.set _ZN2at6native29vectorized_elementwise_kernelILi2EZZZNS0_12_GLOBAL__N_120isneginf_kernel_implERNS_18TensorIteratorBaseEENKUlvE_clEvENKUlvE0_clEvEUlfE_St5arrayIPcLm2EEEEviT0_T1_.has_dyn_sized_stack, 0
	.set _ZN2at6native29vectorized_elementwise_kernelILi2EZZZNS0_12_GLOBAL__N_120isneginf_kernel_implERNS_18TensorIteratorBaseEENKUlvE_clEvENKUlvE0_clEvEUlfE_St5arrayIPcLm2EEEEviT0_T1_.has_recursion, 0
	.set _ZN2at6native29vectorized_elementwise_kernelILi2EZZZNS0_12_GLOBAL__N_120isneginf_kernel_implERNS_18TensorIteratorBaseEENKUlvE_clEvENKUlvE0_clEvEUlfE_St5arrayIPcLm2EEEEviT0_T1_.has_indirect_call, 0
	.section	.AMDGPU.csdata,"",@progbits
; Kernel info:
; codeLenInByte = 3236
; TotalNumSgprs: 26
; NumVgprs: 18
; ScratchSize: 0
; MemoryBound: 0
; FloatMode: 240
; IeeeMode: 1
; LDSByteSize: 0 bytes/workgroup (compile time only)
; SGPRBlocks: 0
; VGPRBlocks: 1
; NumSGPRsForWavesPerEU: 26
; NumVGPRsForWavesPerEU: 18
; NamedBarCnt: 0
; Occupancy: 16
; WaveLimiterHint : 1
; COMPUTE_PGM_RSRC2:SCRATCH_EN: 0
; COMPUTE_PGM_RSRC2:USER_SGPR: 2
; COMPUTE_PGM_RSRC2:TRAP_HANDLER: 0
; COMPUTE_PGM_RSRC2:TGID_X_EN: 1
; COMPUTE_PGM_RSRC2:TGID_Y_EN: 0
; COMPUTE_PGM_RSRC2:TGID_Z_EN: 0
; COMPUTE_PGM_RSRC2:TIDIG_COMP_CNT: 0
	.section	.text._ZN2at6native27unrolled_elementwise_kernelIZZZNS0_12_GLOBAL__N_120isneginf_kernel_implERNS_18TensorIteratorBaseEENKUlvE_clEvENKUlvE0_clEvEUlfE_St5arrayIPcLm2EELi4E23TrivialOffsetCalculatorILi1EjESC_NS0_6memory15LoadWithoutCastENSD_16StoreWithoutCastEEEviT_T0_T2_T3_T4_T5_,"axG",@progbits,_ZN2at6native27unrolled_elementwise_kernelIZZZNS0_12_GLOBAL__N_120isneginf_kernel_implERNS_18TensorIteratorBaseEENKUlvE_clEvENKUlvE0_clEvEUlfE_St5arrayIPcLm2EELi4E23TrivialOffsetCalculatorILi1EjESC_NS0_6memory15LoadWithoutCastENSD_16StoreWithoutCastEEEviT_T0_T2_T3_T4_T5_,comdat
	.globl	_ZN2at6native27unrolled_elementwise_kernelIZZZNS0_12_GLOBAL__N_120isneginf_kernel_implERNS_18TensorIteratorBaseEENKUlvE_clEvENKUlvE0_clEvEUlfE_St5arrayIPcLm2EELi4E23TrivialOffsetCalculatorILi1EjESC_NS0_6memory15LoadWithoutCastENSD_16StoreWithoutCastEEEviT_T0_T2_T3_T4_T5_ ; -- Begin function _ZN2at6native27unrolled_elementwise_kernelIZZZNS0_12_GLOBAL__N_120isneginf_kernel_implERNS_18TensorIteratorBaseEENKUlvE_clEvENKUlvE0_clEvEUlfE_St5arrayIPcLm2EELi4E23TrivialOffsetCalculatorILi1EjESC_NS0_6memory15LoadWithoutCastENSD_16StoreWithoutCastEEEviT_T0_T2_T3_T4_T5_
	.p2align	8
	.type	_ZN2at6native27unrolled_elementwise_kernelIZZZNS0_12_GLOBAL__N_120isneginf_kernel_implERNS_18TensorIteratorBaseEENKUlvE_clEvENKUlvE0_clEvEUlfE_St5arrayIPcLm2EELi4E23TrivialOffsetCalculatorILi1EjESC_NS0_6memory15LoadWithoutCastENSD_16StoreWithoutCastEEEviT_T0_T2_T3_T4_T5_,@function
_ZN2at6native27unrolled_elementwise_kernelIZZZNS0_12_GLOBAL__N_120isneginf_kernel_implERNS_18TensorIteratorBaseEENKUlvE_clEvENKUlvE0_clEvEUlfE_St5arrayIPcLm2EELi4E23TrivialOffsetCalculatorILi1EjESC_NS0_6memory15LoadWithoutCastENSD_16StoreWithoutCastEEEviT_T0_T2_T3_T4_T5_: ; @_ZN2at6native27unrolled_elementwise_kernelIZZZNS0_12_GLOBAL__N_120isneginf_kernel_implERNS_18TensorIteratorBaseEENKUlvE_clEvENKUlvE0_clEvEUlfE_St5arrayIPcLm2EELi4E23TrivialOffsetCalculatorILi1EjESC_NS0_6memory15LoadWithoutCastENSD_16StoreWithoutCastEEEviT_T0_T2_T3_T4_T5_
; %bb.0:
	s_clause 0x1
	s_load_b32 s2, s[0:1], 0x0
	s_load_b128 s[4:7], s[0:1], 0x8
	s_bfe_u32 s3, ttmp6, 0x4000c
	s_wait_xcnt 0x0
	s_and_b32 s0, ttmp6, 15
	s_add_co_i32 s3, s3, 1
	v_or_b32_e32 v1, 0x100, v0
	s_mul_i32 s1, ttmp9, s3
	s_getreg_b32 s3, hwreg(HW_REG_IB_STS2, 6, 4)
	s_add_co_i32 s0, s0, s1
	s_cmp_eq_u32 s3, 0
	s_mov_b32 s8, 0
	s_cselect_b32 s0, ttmp9, s0
	s_mov_b32 s3, 0
	s_lshl_b32 s1, s0, 10
	s_delay_alu instid0(SALU_CYCLE_1) | instskip(SKIP_2) | instid1(SALU_CYCLE_1)
	v_dual_mov_b32 v3, v0 :: v_dual_bitop2_b32 v2, s1, v0 bitop3:0x54
	s_wait_kmcnt 0x0
	s_sub_co_i32 s2, s2, s1
	v_cmp_gt_i32_e32 vcc_lo, s2, v0
	s_and_saveexec_b32 s9, vcc_lo
	s_cbranch_execz .LBB76_2
; %bb.1:
	global_load_b32 v3, v2, s[6:7] scale_offset
	s_wait_loadcnt 0x0
	v_cmp_eq_f32_e64 s0, 0xff800000, v3
	v_or_b32_e32 v3, 0x100, v0
	s_and_b32 s3, s0, exec_lo
.LBB76_2:
	s_or_b32 exec_lo, exec_lo, s9
	s_delay_alu instid0(SALU_CYCLE_1) | instskip(NEXT) | instid1(VALU_DEP_1)
	s_mov_b32 s9, exec_lo
	v_cmpx_gt_i32_e64 s2, v3
	s_cbranch_execz .LBB76_4
; %bb.3:
	v_add_nc_u32_e32 v4, s1, v3
	v_add_nc_u32_e32 v3, 0x100, v3
	global_load_b32 v4, v4, s[6:7] scale_offset
	s_wait_loadcnt 0x0
	v_cmp_eq_f32_e64 s0, 0xff800000, v4
	s_and_b32 s8, s0, exec_lo
.LBB76_4:
	s_or_b32 exec_lo, exec_lo, s9
	s_mov_b32 s9, 0
	s_mov_b32 s10, 0
	s_mov_b32 s11, exec_lo
	v_cmpx_gt_i32_e64 s2, v3
	s_cbranch_execz .LBB76_6
; %bb.5:
	v_add_nc_u32_e32 v4, s1, v3
	v_add_nc_u32_e32 v3, 0x100, v3
	global_load_b32 v4, v4, s[6:7] scale_offset
	s_wait_loadcnt 0x0
	v_cmp_eq_f32_e64 s0, 0xff800000, v4
	s_and_b32 s10, s0, exec_lo
.LBB76_6:
	s_or_b32 exec_lo, exec_lo, s11
	s_delay_alu instid0(SALU_CYCLE_1)
	s_mov_b32 s11, exec_lo
	v_cmpx_gt_i32_e64 s2, v3
	s_cbranch_execz .LBB76_8
; %bb.7:
	v_add_nc_u32_e32 v3, s1, v3
	global_load_b32 v3, v3, s[6:7] scale_offset
	s_wait_loadcnt 0x0
	v_cmp_eq_f32_e64 s0, 0xff800000, v3
	s_and_b32 s9, s0, exec_lo
.LBB76_8:
	s_or_b32 exec_lo, exec_lo, s11
	v_cndmask_b32_e64 v3, 0, 1, s3
	v_cndmask_b32_e64 v4, 0, 1, s8
	;; [unrolled: 1-line block ×3, first 2 shown]
	v_cmp_gt_i32_e64 s0, s2, v1
	s_delay_alu instid0(VALU_DEP_4) | instskip(NEXT) | instid1(VALU_DEP_4)
	v_cndmask_b32_e32 v3, 0, v3, vcc_lo
	v_lshlrev_b16 v4, 8, v4
	s_delay_alu instid0(VALU_DEP_1) | instskip(NEXT) | instid1(VALU_DEP_1)
	v_dual_lshlrev_b32 v5, 16, v5 :: v_dual_bitop2_b32 v4, v3, v4 bitop3:0x54
	v_and_b32_e32 v4, 0xffff, v4
	s_delay_alu instid0(VALU_DEP_1) | instskip(SKIP_1) | instid1(VALU_DEP_2)
	v_cndmask_b32_e64 v3, v3, v4, s0
	v_or_b32_e32 v4, 0x200, v0
	v_or_b32_e32 v5, v3, v5
	s_delay_alu instid0(VALU_DEP_2) | instskip(SKIP_1) | instid1(VALU_DEP_2)
	v_cmp_gt_i32_e64 s0, s2, v4
	v_cndmask_b32_e64 v4, 0, 1, s9
	v_cndmask_b32_e64 v3, v3, v5, s0
	s_delay_alu instid0(VALU_DEP_2) | instskip(NEXT) | instid1(VALU_DEP_2)
	v_lshlrev_b16 v4, 8, v4
	v_lshrrev_b32_e32 v5, 16, v3
	s_delay_alu instid0(VALU_DEP_1) | instskip(SKIP_1) | instid1(VALU_DEP_2)
	v_bitop3_b16 v4, v5, v4, 0xff bitop3:0xec
	v_or_b32_e32 v5, 0x300, v0
	v_lshlrev_b32_e32 v4, 16, v4
	s_delay_alu instid0(VALU_DEP_2) | instskip(NEXT) | instid1(VALU_DEP_2)
	v_cmp_gt_i32_e64 s0, s2, v5
	v_and_or_b32 v4, 0xffff, v3, v4
	s_delay_alu instid0(VALU_DEP_1)
	v_cndmask_b32_e64 v3, v3, v4, s0
	s_and_saveexec_b32 s0, vcc_lo
	s_cbranch_execnz .LBB76_13
; %bb.9:
	s_or_b32 exec_lo, exec_lo, s0
	s_delay_alu instid0(SALU_CYCLE_1)
	s_mov_b32 s0, exec_lo
	v_cmpx_gt_i32_e64 s2, v0
	s_cbranch_execnz .LBB76_14
.LBB76_10:
	s_or_b32 exec_lo, exec_lo, s0
	s_delay_alu instid0(SALU_CYCLE_1)
	s_mov_b32 s0, exec_lo
	v_cmpx_gt_i32_e64 s2, v0
	s_cbranch_execnz .LBB76_15
.LBB76_11:
	s_or_b32 exec_lo, exec_lo, s0
	s_delay_alu instid0(SALU_CYCLE_1)
	s_mov_b32 s0, exec_lo
	v_cmpx_gt_i32_e64 s2, v0
	s_cbranch_execnz .LBB76_16
.LBB76_12:
	s_endpgm
.LBB76_13:
	v_mov_b32_e32 v0, v1
	global_store_b8 v2, v3, s[4:5]
	s_wait_xcnt 0x0
	s_or_b32 exec_lo, exec_lo, s0
	s_delay_alu instid0(SALU_CYCLE_1)
	s_mov_b32 s0, exec_lo
	v_cmpx_gt_i32_e64 s2, v0
	s_cbranch_execz .LBB76_10
.LBB76_14:
	v_add_nc_u32_e32 v1, 0x100, v0
	v_dual_add_nc_u32 v2, s1, v0 :: v_dual_lshrrev_b32 v4, 8, v3
	s_delay_alu instid0(VALU_DEP_2) | instskip(SKIP_3) | instid1(SALU_CYCLE_1)
	v_mov_b32_e32 v0, v1
	global_store_b8 v2, v4, s[4:5]
	s_wait_xcnt 0x0
	s_or_b32 exec_lo, exec_lo, s0
	s_mov_b32 s0, exec_lo
	v_cmpx_gt_i32_e64 s2, v0
	s_cbranch_execz .LBB76_11
.LBB76_15:
	v_add_nc_u32_e32 v1, 0x100, v0
	s_delay_alu instid0(VALU_DEP_1) | instskip(SKIP_3) | instid1(SALU_CYCLE_1)
	v_dual_add_nc_u32 v2, s1, v0 :: v_dual_mov_b32 v0, v1
	global_store_d16_hi_b8 v2, v3, s[4:5]
	s_wait_xcnt 0x0
	s_or_b32 exec_lo, exec_lo, s0
	s_mov_b32 s0, exec_lo
	v_cmpx_gt_i32_e64 s2, v0
	s_cbranch_execz .LBB76_12
.LBB76_16:
	v_dual_add_nc_u32 v0, s1, v0 :: v_dual_lshrrev_b32 v1, 24, v3
	global_store_b8 v0, v1, s[4:5]
	s_endpgm
	.section	.rodata,"a",@progbits
	.p2align	6, 0x0
	.amdhsa_kernel _ZN2at6native27unrolled_elementwise_kernelIZZZNS0_12_GLOBAL__N_120isneginf_kernel_implERNS_18TensorIteratorBaseEENKUlvE_clEvENKUlvE0_clEvEUlfE_St5arrayIPcLm2EELi4E23TrivialOffsetCalculatorILi1EjESC_NS0_6memory15LoadWithoutCastENSD_16StoreWithoutCastEEEviT_T0_T2_T3_T4_T5_
		.amdhsa_group_segment_fixed_size 0
		.amdhsa_private_segment_fixed_size 0
		.amdhsa_kernarg_size 28
		.amdhsa_user_sgpr_count 2
		.amdhsa_user_sgpr_dispatch_ptr 0
		.amdhsa_user_sgpr_queue_ptr 0
		.amdhsa_user_sgpr_kernarg_segment_ptr 1
		.amdhsa_user_sgpr_dispatch_id 0
		.amdhsa_user_sgpr_kernarg_preload_length 0
		.amdhsa_user_sgpr_kernarg_preload_offset 0
		.amdhsa_user_sgpr_private_segment_size 0
		.amdhsa_wavefront_size32 1
		.amdhsa_uses_dynamic_stack 0
		.amdhsa_enable_private_segment 0
		.amdhsa_system_sgpr_workgroup_id_x 1
		.amdhsa_system_sgpr_workgroup_id_y 0
		.amdhsa_system_sgpr_workgroup_id_z 0
		.amdhsa_system_sgpr_workgroup_info 0
		.amdhsa_system_vgpr_workitem_id 0
		.amdhsa_next_free_vgpr 6
		.amdhsa_next_free_sgpr 12
		.amdhsa_named_barrier_count 0
		.amdhsa_reserve_vcc 1
		.amdhsa_float_round_mode_32 0
		.amdhsa_float_round_mode_16_64 0
		.amdhsa_float_denorm_mode_32 3
		.amdhsa_float_denorm_mode_16_64 3
		.amdhsa_fp16_overflow 0
		.amdhsa_memory_ordered 1
		.amdhsa_forward_progress 1
		.amdhsa_inst_pref_size 7
		.amdhsa_round_robin_scheduling 0
		.amdhsa_exception_fp_ieee_invalid_op 0
		.amdhsa_exception_fp_denorm_src 0
		.amdhsa_exception_fp_ieee_div_zero 0
		.amdhsa_exception_fp_ieee_overflow 0
		.amdhsa_exception_fp_ieee_underflow 0
		.amdhsa_exception_fp_ieee_inexact 0
		.amdhsa_exception_int_div_zero 0
	.end_amdhsa_kernel
	.section	.text._ZN2at6native27unrolled_elementwise_kernelIZZZNS0_12_GLOBAL__N_120isneginf_kernel_implERNS_18TensorIteratorBaseEENKUlvE_clEvENKUlvE0_clEvEUlfE_St5arrayIPcLm2EELi4E23TrivialOffsetCalculatorILi1EjESC_NS0_6memory15LoadWithoutCastENSD_16StoreWithoutCastEEEviT_T0_T2_T3_T4_T5_,"axG",@progbits,_ZN2at6native27unrolled_elementwise_kernelIZZZNS0_12_GLOBAL__N_120isneginf_kernel_implERNS_18TensorIteratorBaseEENKUlvE_clEvENKUlvE0_clEvEUlfE_St5arrayIPcLm2EELi4E23TrivialOffsetCalculatorILi1EjESC_NS0_6memory15LoadWithoutCastENSD_16StoreWithoutCastEEEviT_T0_T2_T3_T4_T5_,comdat
.Lfunc_end76:
	.size	_ZN2at6native27unrolled_elementwise_kernelIZZZNS0_12_GLOBAL__N_120isneginf_kernel_implERNS_18TensorIteratorBaseEENKUlvE_clEvENKUlvE0_clEvEUlfE_St5arrayIPcLm2EELi4E23TrivialOffsetCalculatorILi1EjESC_NS0_6memory15LoadWithoutCastENSD_16StoreWithoutCastEEEviT_T0_T2_T3_T4_T5_, .Lfunc_end76-_ZN2at6native27unrolled_elementwise_kernelIZZZNS0_12_GLOBAL__N_120isneginf_kernel_implERNS_18TensorIteratorBaseEENKUlvE_clEvENKUlvE0_clEvEUlfE_St5arrayIPcLm2EELi4E23TrivialOffsetCalculatorILi1EjESC_NS0_6memory15LoadWithoutCastENSD_16StoreWithoutCastEEEviT_T0_T2_T3_T4_T5_
                                        ; -- End function
	.set _ZN2at6native27unrolled_elementwise_kernelIZZZNS0_12_GLOBAL__N_120isneginf_kernel_implERNS_18TensorIteratorBaseEENKUlvE_clEvENKUlvE0_clEvEUlfE_St5arrayIPcLm2EELi4E23TrivialOffsetCalculatorILi1EjESC_NS0_6memory15LoadWithoutCastENSD_16StoreWithoutCastEEEviT_T0_T2_T3_T4_T5_.num_vgpr, 6
	.set _ZN2at6native27unrolled_elementwise_kernelIZZZNS0_12_GLOBAL__N_120isneginf_kernel_implERNS_18TensorIteratorBaseEENKUlvE_clEvENKUlvE0_clEvEUlfE_St5arrayIPcLm2EELi4E23TrivialOffsetCalculatorILi1EjESC_NS0_6memory15LoadWithoutCastENSD_16StoreWithoutCastEEEviT_T0_T2_T3_T4_T5_.num_agpr, 0
	.set _ZN2at6native27unrolled_elementwise_kernelIZZZNS0_12_GLOBAL__N_120isneginf_kernel_implERNS_18TensorIteratorBaseEENKUlvE_clEvENKUlvE0_clEvEUlfE_St5arrayIPcLm2EELi4E23TrivialOffsetCalculatorILi1EjESC_NS0_6memory15LoadWithoutCastENSD_16StoreWithoutCastEEEviT_T0_T2_T3_T4_T5_.numbered_sgpr, 12
	.set _ZN2at6native27unrolled_elementwise_kernelIZZZNS0_12_GLOBAL__N_120isneginf_kernel_implERNS_18TensorIteratorBaseEENKUlvE_clEvENKUlvE0_clEvEUlfE_St5arrayIPcLm2EELi4E23TrivialOffsetCalculatorILi1EjESC_NS0_6memory15LoadWithoutCastENSD_16StoreWithoutCastEEEviT_T0_T2_T3_T4_T5_.num_named_barrier, 0
	.set _ZN2at6native27unrolled_elementwise_kernelIZZZNS0_12_GLOBAL__N_120isneginf_kernel_implERNS_18TensorIteratorBaseEENKUlvE_clEvENKUlvE0_clEvEUlfE_St5arrayIPcLm2EELi4E23TrivialOffsetCalculatorILi1EjESC_NS0_6memory15LoadWithoutCastENSD_16StoreWithoutCastEEEviT_T0_T2_T3_T4_T5_.private_seg_size, 0
	.set _ZN2at6native27unrolled_elementwise_kernelIZZZNS0_12_GLOBAL__N_120isneginf_kernel_implERNS_18TensorIteratorBaseEENKUlvE_clEvENKUlvE0_clEvEUlfE_St5arrayIPcLm2EELi4E23TrivialOffsetCalculatorILi1EjESC_NS0_6memory15LoadWithoutCastENSD_16StoreWithoutCastEEEviT_T0_T2_T3_T4_T5_.uses_vcc, 1
	.set _ZN2at6native27unrolled_elementwise_kernelIZZZNS0_12_GLOBAL__N_120isneginf_kernel_implERNS_18TensorIteratorBaseEENKUlvE_clEvENKUlvE0_clEvEUlfE_St5arrayIPcLm2EELi4E23TrivialOffsetCalculatorILi1EjESC_NS0_6memory15LoadWithoutCastENSD_16StoreWithoutCastEEEviT_T0_T2_T3_T4_T5_.uses_flat_scratch, 0
	.set _ZN2at6native27unrolled_elementwise_kernelIZZZNS0_12_GLOBAL__N_120isneginf_kernel_implERNS_18TensorIteratorBaseEENKUlvE_clEvENKUlvE0_clEvEUlfE_St5arrayIPcLm2EELi4E23TrivialOffsetCalculatorILi1EjESC_NS0_6memory15LoadWithoutCastENSD_16StoreWithoutCastEEEviT_T0_T2_T3_T4_T5_.has_dyn_sized_stack, 0
	.set _ZN2at6native27unrolled_elementwise_kernelIZZZNS0_12_GLOBAL__N_120isneginf_kernel_implERNS_18TensorIteratorBaseEENKUlvE_clEvENKUlvE0_clEvEUlfE_St5arrayIPcLm2EELi4E23TrivialOffsetCalculatorILi1EjESC_NS0_6memory15LoadWithoutCastENSD_16StoreWithoutCastEEEviT_T0_T2_T3_T4_T5_.has_recursion, 0
	.set _ZN2at6native27unrolled_elementwise_kernelIZZZNS0_12_GLOBAL__N_120isneginf_kernel_implERNS_18TensorIteratorBaseEENKUlvE_clEvENKUlvE0_clEvEUlfE_St5arrayIPcLm2EELi4E23TrivialOffsetCalculatorILi1EjESC_NS0_6memory15LoadWithoutCastENSD_16StoreWithoutCastEEEviT_T0_T2_T3_T4_T5_.has_indirect_call, 0
	.section	.AMDGPU.csdata,"",@progbits
; Kernel info:
; codeLenInByte = 844
; TotalNumSgprs: 14
; NumVgprs: 6
; ScratchSize: 0
; MemoryBound: 0
; FloatMode: 240
; IeeeMode: 1
; LDSByteSize: 0 bytes/workgroup (compile time only)
; SGPRBlocks: 0
; VGPRBlocks: 0
; NumSGPRsForWavesPerEU: 14
; NumVGPRsForWavesPerEU: 6
; NamedBarCnt: 0
; Occupancy: 16
; WaveLimiterHint : 0
; COMPUTE_PGM_RSRC2:SCRATCH_EN: 0
; COMPUTE_PGM_RSRC2:USER_SGPR: 2
; COMPUTE_PGM_RSRC2:TRAP_HANDLER: 0
; COMPUTE_PGM_RSRC2:TGID_X_EN: 1
; COMPUTE_PGM_RSRC2:TGID_Y_EN: 0
; COMPUTE_PGM_RSRC2:TGID_Z_EN: 0
; COMPUTE_PGM_RSRC2:TIDIG_COMP_CNT: 0
	.section	.text._ZN2at6native32elementwise_kernel_manual_unrollILi128ELi8EZNS0_22gpu_kernel_impl_nocastIZZZNS0_12_GLOBAL__N_120isneginf_kernel_implERNS_18TensorIteratorBaseEENKUlvE_clEvENKUlvE0_clEvEUlfE_EEvS5_RKT_EUlibE_EEviT1_,"axG",@progbits,_ZN2at6native32elementwise_kernel_manual_unrollILi128ELi8EZNS0_22gpu_kernel_impl_nocastIZZZNS0_12_GLOBAL__N_120isneginf_kernel_implERNS_18TensorIteratorBaseEENKUlvE_clEvENKUlvE0_clEvEUlfE_EEvS5_RKT_EUlibE_EEviT1_,comdat
	.globl	_ZN2at6native32elementwise_kernel_manual_unrollILi128ELi8EZNS0_22gpu_kernel_impl_nocastIZZZNS0_12_GLOBAL__N_120isneginf_kernel_implERNS_18TensorIteratorBaseEENKUlvE_clEvENKUlvE0_clEvEUlfE_EEvS5_RKT_EUlibE_EEviT1_ ; -- Begin function _ZN2at6native32elementwise_kernel_manual_unrollILi128ELi8EZNS0_22gpu_kernel_impl_nocastIZZZNS0_12_GLOBAL__N_120isneginf_kernel_implERNS_18TensorIteratorBaseEENKUlvE_clEvENKUlvE0_clEvEUlfE_EEvS5_RKT_EUlibE_EEviT1_
	.p2align	8
	.type	_ZN2at6native32elementwise_kernel_manual_unrollILi128ELi8EZNS0_22gpu_kernel_impl_nocastIZZZNS0_12_GLOBAL__N_120isneginf_kernel_implERNS_18TensorIteratorBaseEENKUlvE_clEvENKUlvE0_clEvEUlfE_EEvS5_RKT_EUlibE_EEviT1_,@function
_ZN2at6native32elementwise_kernel_manual_unrollILi128ELi8EZNS0_22gpu_kernel_impl_nocastIZZZNS0_12_GLOBAL__N_120isneginf_kernel_implERNS_18TensorIteratorBaseEENKUlvE_clEvENKUlvE0_clEvEUlfE_EEvS5_RKT_EUlibE_EEviT1_: ; @_ZN2at6native32elementwise_kernel_manual_unrollILi128ELi8EZNS0_22gpu_kernel_impl_nocastIZZZNS0_12_GLOBAL__N_120isneginf_kernel_implERNS_18TensorIteratorBaseEENKUlvE_clEvENKUlvE0_clEvEUlfE_EEvS5_RKT_EUlibE_EEviT1_
; %bb.0:
	s_clause 0x1
	s_load_b32 s28, s[0:1], 0x8
	s_load_b32 s34, s[0:1], 0x0
	s_bfe_u32 s2, ttmp6, 0x4000c
	s_and_b32 s3, ttmp6, 15
	s_add_co_i32 s2, s2, 1
	s_getreg_b32 s4, hwreg(HW_REG_IB_STS2, 6, 4)
	s_mul_i32 s2, ttmp9, s2
	s_add_nc_u64 s[12:13], s[0:1], 8
	s_add_co_i32 s3, s3, s2
	s_cmp_eq_u32 s4, 0
	s_mov_b32 s17, 0
	s_cselect_b32 s2, ttmp9, s3
	s_wait_xcnt 0x0
	s_mov_b32 s0, exec_lo
	v_lshl_or_b32 v0, s2, 10, v0
	s_delay_alu instid0(VALU_DEP_1) | instskip(SKIP_2) | instid1(SALU_CYCLE_1)
	v_or_b32_e32 v16, 0x380, v0
	s_wait_kmcnt 0x0
	s_add_co_i32 s29, s28, -1
	s_cmp_gt_u32 s29, 1
	s_cselect_b32 s30, -1, 0
	v_cmpx_le_i32_e64 s34, v16
	s_xor_b32 s31, exec_lo, s0
	s_cbranch_execz .LBB77_7
; %bb.1:
	s_clause 0x3
	s_load_b128 s[4:7], s[12:13], 0x4
	s_load_b64 s[14:15], s[12:13], 0x14
	s_load_b128 s[8:11], s[12:13], 0xc4
	s_load_b128 s[0:3], s[12:13], 0x148
	s_cmp_lg_u32 s28, 0
	s_add_nc_u64 s[20:21], s[12:13], 0xc4
	s_cselect_b32 s36, -1, 0
	s_min_u32 s35, s29, 15
	s_cmp_gt_u32 s28, 1
	s_mov_b32 s19, s17
	s_cselect_b32 s33, -1, 0
	s_wait_kmcnt 0x0
	s_mov_b32 s16, s5
	s_mov_b32 s18, s14
	s_mov_b32 s5, exec_lo
	v_cmpx_gt_i32_e64 s34, v0
	s_cbranch_execz .LBB77_14
; %bb.2:
	s_and_not1_b32 vcc_lo, exec_lo, s30
	s_cbranch_vccnz .LBB77_21
; %bb.3:
	s_and_not1_b32 vcc_lo, exec_lo, s36
	s_cbranch_vccnz .LBB77_129
; %bb.4:
	s_add_co_i32 s14, s35, 1
	s_cmp_eq_u32 s29, 2
	s_cbranch_scc1 .LBB77_131
; %bb.5:
	v_dual_mov_b32 v2, 0 :: v_dual_mov_b32 v3, 0
	v_mov_b32_e32 v1, v0
	s_and_b32 s22, s14, 28
	s_mov_b32 s23, 0
	s_mov_b64 s[24:25], s[12:13]
	s_mov_b64 s[26:27], s[20:21]
.LBB77_6:                               ; =>This Inner Loop Header: Depth=1
	s_clause 0x1
	s_load_b256 s[40:47], s[24:25], 0x4
	s_load_b128 s[56:59], s[24:25], 0x24
	s_load_b256 s[48:55], s[26:27], 0x0
	s_add_co_i32 s23, s23, 4
	s_wait_xcnt 0x0
	s_add_nc_u64 s[24:25], s[24:25], 48
	s_cmp_lg_u32 s22, s23
	s_add_nc_u64 s[26:27], s[26:27], 32
	s_wait_kmcnt 0x0
	v_mul_hi_u32 v4, s41, v1
	s_delay_alu instid0(VALU_DEP_1) | instskip(NEXT) | instid1(VALU_DEP_1)
	v_add_nc_u32_e32 v4, v1, v4
	v_lshrrev_b32_e32 v4, s42, v4
	s_delay_alu instid0(VALU_DEP_1) | instskip(NEXT) | instid1(VALU_DEP_1)
	v_mul_hi_u32 v5, s44, v4
	v_add_nc_u32_e32 v5, v4, v5
	s_delay_alu instid0(VALU_DEP_1) | instskip(NEXT) | instid1(VALU_DEP_1)
	v_lshrrev_b32_e32 v5, s45, v5
	v_mul_hi_u32 v6, s47, v5
	s_delay_alu instid0(VALU_DEP_1) | instskip(SKIP_1) | instid1(VALU_DEP_1)
	v_add_nc_u32_e32 v6, v5, v6
	v_mul_lo_u32 v7, v4, s40
	v_sub_nc_u32_e32 v1, v1, v7
	v_mul_lo_u32 v7, v5, s43
	s_delay_alu instid0(VALU_DEP_4) | instskip(NEXT) | instid1(VALU_DEP_3)
	v_lshrrev_b32_e32 v6, s56, v6
	v_mad_u32 v3, v1, s49, v3
	v_mad_u32 v1, v1, s48, v2
	s_delay_alu instid0(VALU_DEP_4) | instskip(NEXT) | instid1(VALU_DEP_4)
	v_sub_nc_u32_e32 v2, v4, v7
	v_mul_hi_u32 v8, s58, v6
	v_mul_lo_u32 v4, v6, s46
	s_delay_alu instid0(VALU_DEP_3) | instskip(SKIP_1) | instid1(VALU_DEP_4)
	v_mad_u32 v3, v2, s51, v3
	v_mad_u32 v2, v2, s50, v1
	v_add_nc_u32_e32 v7, v6, v8
	s_delay_alu instid0(VALU_DEP_1) | instskip(NEXT) | instid1(VALU_DEP_1)
	v_dual_sub_nc_u32 v4, v5, v4 :: v_dual_lshrrev_b32 v1, s59, v7
	v_mad_u32 v3, v4, s53, v3
	s_delay_alu instid0(VALU_DEP_4) | instskip(NEXT) | instid1(VALU_DEP_3)
	v_mad_u32 v2, v4, s52, v2
	v_mul_lo_u32 v5, v1, s57
	s_delay_alu instid0(VALU_DEP_1) | instskip(NEXT) | instid1(VALU_DEP_1)
	v_sub_nc_u32_e32 v4, v6, v5
	v_mad_u32 v3, v4, s55, v3
	s_delay_alu instid0(VALU_DEP_4)
	v_mad_u32 v2, v4, s54, v2
	s_cbranch_scc1 .LBB77_6
	s_branch .LBB77_132
.LBB77_7:
	s_and_not1_saveexec_b32 s0, s31
	s_cbranch_execz .LBB77_221
.LBB77_8:
	v_cndmask_b32_e64 v14, 0, 1, s30
	s_and_not1_b32 vcc_lo, exec_lo, s30
	s_cbranch_vccnz .LBB77_20
; %bb.9:
	s_cmp_lg_u32 s28, 0
	s_mov_b32 s6, 0
	s_cbranch_scc0 .LBB77_23
; %bb.10:
	s_min_u32 s1, s29, 15
	s_delay_alu instid0(SALU_CYCLE_1)
	s_add_co_i32 s1, s1, 1
	s_cmp_eq_u32 s29, 2
	s_cbranch_scc1 .LBB77_24
; %bb.11:
	v_dual_mov_b32 v2, 0 :: v_dual_mov_b32 v3, 0
	v_mov_b32_e32 v1, v0
	s_and_b32 s0, s1, 28
	s_add_nc_u64 s[2:3], s[12:13], 0xc4
	s_mov_b32 s7, 0
	s_mov_b64 s[4:5], s[12:13]
.LBB77_12:                              ; =>This Inner Loop Header: Depth=1
	s_clause 0x1
	s_load_b256 s[16:23], s[4:5], 0x4
	s_load_b128 s[8:11], s[4:5], 0x24
	s_load_b256 s[36:43], s[2:3], 0x0
	s_add_co_i32 s7, s7, 4
	s_wait_xcnt 0x0
	s_add_nc_u64 s[4:5], s[4:5], 48
	s_cmp_lg_u32 s0, s7
	s_add_nc_u64 s[2:3], s[2:3], 32
	s_wait_kmcnt 0x0
	v_mul_hi_u32 v4, s17, v1
	s_delay_alu instid0(VALU_DEP_1) | instskip(NEXT) | instid1(VALU_DEP_1)
	v_add_nc_u32_e32 v4, v1, v4
	v_lshrrev_b32_e32 v4, s18, v4
	s_delay_alu instid0(VALU_DEP_1) | instskip(NEXT) | instid1(VALU_DEP_1)
	v_mul_hi_u32 v5, s20, v4
	v_add_nc_u32_e32 v5, v4, v5
	s_delay_alu instid0(VALU_DEP_1) | instskip(NEXT) | instid1(VALU_DEP_1)
	v_lshrrev_b32_e32 v5, s21, v5
	v_mul_hi_u32 v6, s23, v5
	s_delay_alu instid0(VALU_DEP_1) | instskip(SKIP_1) | instid1(VALU_DEP_1)
	v_add_nc_u32_e32 v6, v5, v6
	v_mul_lo_u32 v7, v4, s16
	v_sub_nc_u32_e32 v1, v1, v7
	v_mul_lo_u32 v7, v5, s19
	s_delay_alu instid0(VALU_DEP_4) | instskip(NEXT) | instid1(VALU_DEP_3)
	v_lshrrev_b32_e32 v6, s8, v6
	v_mad_u32 v3, v1, s37, v3
	v_mad_u32 v1, v1, s36, v2
	s_delay_alu instid0(VALU_DEP_4) | instskip(NEXT) | instid1(VALU_DEP_4)
	v_sub_nc_u32_e32 v2, v4, v7
	v_mul_hi_u32 v8, s10, v6
	v_mul_lo_u32 v4, v6, s22
	s_delay_alu instid0(VALU_DEP_3) | instskip(SKIP_1) | instid1(VALU_DEP_4)
	v_mad_u32 v3, v2, s39, v3
	v_mad_u32 v2, v2, s38, v1
	v_add_nc_u32_e32 v7, v6, v8
	s_delay_alu instid0(VALU_DEP_1) | instskip(NEXT) | instid1(VALU_DEP_1)
	v_dual_sub_nc_u32 v4, v5, v4 :: v_dual_lshrrev_b32 v1, s11, v7
	v_mad_u32 v3, v4, s41, v3
	s_delay_alu instid0(VALU_DEP_4) | instskip(NEXT) | instid1(VALU_DEP_3)
	v_mad_u32 v2, v4, s40, v2
	v_mul_lo_u32 v5, v1, s9
	s_delay_alu instid0(VALU_DEP_1) | instskip(NEXT) | instid1(VALU_DEP_1)
	v_sub_nc_u32_e32 v4, v6, v5
	v_mad_u32 v3, v4, s43, v3
	s_delay_alu instid0(VALU_DEP_4)
	v_mad_u32 v2, v4, s42, v2
	s_cbranch_scc1 .LBB77_12
; %bb.13:
	s_and_b32 s4, s1, 3
	s_mov_b32 s1, 0
	s_cmp_eq_u32 s4, 0
	s_cbranch_scc0 .LBB77_25
	s_branch .LBB77_27
.LBB77_14:
	s_or_b32 exec_lo, exec_lo, s5
	s_delay_alu instid0(SALU_CYCLE_1)
	s_mov_b32 s5, exec_lo
	v_cmpx_gt_i32_e64 s34, v0
	s_cbranch_execz .LBB77_139
.LBB77_15:
	s_and_not1_b32 vcc_lo, exec_lo, s30
	s_cbranch_vccnz .LBB77_22
; %bb.16:
	s_and_not1_b32 vcc_lo, exec_lo, s36
	s_cbranch_vccnz .LBB77_130
; %bb.17:
	s_add_co_i32 s14, s35, 1
	s_cmp_eq_u32 s29, 2
	s_cbranch_scc1 .LBB77_147
; %bb.18:
	v_dual_mov_b32 v2, 0 :: v_dual_mov_b32 v3, 0
	v_mov_b32_e32 v1, v0
	s_and_b32 s22, s14, 28
	s_mov_b32 s23, 0
	s_mov_b64 s[24:25], s[12:13]
	s_mov_b64 s[26:27], s[20:21]
.LBB77_19:                              ; =>This Inner Loop Header: Depth=1
	s_clause 0x1
	s_load_b256 s[40:47], s[24:25], 0x4
	s_load_b128 s[56:59], s[24:25], 0x24
	s_load_b256 s[48:55], s[26:27], 0x0
	s_add_co_i32 s23, s23, 4
	s_wait_xcnt 0x0
	s_add_nc_u64 s[24:25], s[24:25], 48
	s_cmp_eq_u32 s22, s23
	s_add_nc_u64 s[26:27], s[26:27], 32
	s_wait_kmcnt 0x0
	v_mul_hi_u32 v4, s41, v1
	s_delay_alu instid0(VALU_DEP_1) | instskip(NEXT) | instid1(VALU_DEP_1)
	v_add_nc_u32_e32 v4, v1, v4
	v_lshrrev_b32_e32 v4, s42, v4
	s_delay_alu instid0(VALU_DEP_1) | instskip(NEXT) | instid1(VALU_DEP_1)
	v_mul_hi_u32 v5, s44, v4
	v_add_nc_u32_e32 v5, v4, v5
	s_delay_alu instid0(VALU_DEP_1) | instskip(NEXT) | instid1(VALU_DEP_1)
	v_lshrrev_b32_e32 v5, s45, v5
	v_mul_hi_u32 v6, s47, v5
	s_delay_alu instid0(VALU_DEP_1) | instskip(SKIP_1) | instid1(VALU_DEP_1)
	v_add_nc_u32_e32 v6, v5, v6
	v_mul_lo_u32 v7, v4, s40
	v_sub_nc_u32_e32 v1, v1, v7
	v_mul_lo_u32 v7, v5, s43
	s_delay_alu instid0(VALU_DEP_4) | instskip(NEXT) | instid1(VALU_DEP_3)
	v_lshrrev_b32_e32 v6, s56, v6
	v_mad_u32 v3, v1, s49, v3
	v_mad_u32 v1, v1, s48, v2
	s_delay_alu instid0(VALU_DEP_4) | instskip(NEXT) | instid1(VALU_DEP_4)
	v_sub_nc_u32_e32 v2, v4, v7
	v_mul_hi_u32 v8, s58, v6
	v_mul_lo_u32 v4, v6, s46
	s_delay_alu instid0(VALU_DEP_3) | instskip(SKIP_1) | instid1(VALU_DEP_4)
	v_mad_u32 v3, v2, s51, v3
	v_mad_u32 v2, v2, s50, v1
	v_add_nc_u32_e32 v7, v6, v8
	s_delay_alu instid0(VALU_DEP_1) | instskip(NEXT) | instid1(VALU_DEP_1)
	v_dual_sub_nc_u32 v4, v5, v4 :: v_dual_lshrrev_b32 v1, s59, v7
	v_mad_u32 v3, v4, s53, v3
	s_delay_alu instid0(VALU_DEP_4) | instskip(NEXT) | instid1(VALU_DEP_3)
	v_mad_u32 v2, v4, s52, v2
	v_mul_lo_u32 v5, v1, s57
	s_delay_alu instid0(VALU_DEP_1) | instskip(NEXT) | instid1(VALU_DEP_1)
	v_sub_nc_u32_e32 v4, v6, v5
	v_mad_u32 v3, v4, s55, v3
	s_delay_alu instid0(VALU_DEP_4)
	v_mad_u32 v2, v4, s54, v2
	s_cbranch_scc0 .LBB77_19
	s_branch .LBB77_148
.LBB77_20:
	s_mov_b32 s6, -1
                                        ; implicit-def: $vgpr3
	s_branch .LBB77_27
.LBB77_21:
                                        ; implicit-def: $vgpr3
	s_branch .LBB77_136
.LBB77_22:
                                        ; implicit-def: $vgpr3
	s_branch .LBB77_152
.LBB77_23:
	v_dual_mov_b32 v3, 0 :: v_dual_mov_b32 v2, 0
	s_branch .LBB77_27
.LBB77_24:
	v_mov_b64_e32 v[2:3], 0
	v_mov_b32_e32 v1, v0
	s_mov_b32 s0, 0
	s_and_b32 s4, s1, 3
	s_mov_b32 s1, 0
	s_cmp_eq_u32 s4, 0
	s_cbranch_scc1 .LBB77_27
.LBB77_25:
	s_lshl_b32 s2, s0, 3
	s_mov_b32 s3, s1
	s_mul_u64 s[8:9], s[0:1], 12
	s_add_nc_u64 s[2:3], s[12:13], s[2:3]
	s_delay_alu instid0(SALU_CYCLE_1)
	s_add_nc_u64 s[0:1], s[2:3], 0xc4
	s_add_nc_u64 s[2:3], s[12:13], s[8:9]
.LBB77_26:                              ; =>This Inner Loop Header: Depth=1
	s_load_b96 s[8:10], s[2:3], 0x4
	s_add_co_i32 s4, s4, -1
	s_wait_xcnt 0x0
	s_add_nc_u64 s[2:3], s[2:3], 12
	s_cmp_lg_u32 s4, 0
	s_wait_kmcnt 0x0
	v_mul_hi_u32 v4, s9, v1
	s_delay_alu instid0(VALU_DEP_1) | instskip(NEXT) | instid1(VALU_DEP_1)
	v_add_nc_u32_e32 v4, v1, v4
	v_lshrrev_b32_e32 v4, s10, v4
	s_load_b64 s[10:11], s[0:1], 0x0
	s_wait_xcnt 0x0
	s_add_nc_u64 s[0:1], s[0:1], 8
	s_delay_alu instid0(VALU_DEP_1) | instskip(NEXT) | instid1(VALU_DEP_1)
	v_mul_lo_u32 v5, v4, s8
	v_sub_nc_u32_e32 v1, v1, v5
	s_wait_kmcnt 0x0
	s_delay_alu instid0(VALU_DEP_1)
	v_mad_u32 v3, v1, s11, v3
	v_mad_u32 v2, v1, s10, v2
	v_mov_b32_e32 v1, v4
	s_cbranch_scc1 .LBB77_26
.LBB77_27:
	s_and_not1_b32 vcc_lo, exec_lo, s6
	s_cbranch_vccnz .LBB77_30
; %bb.28:
	s_clause 0x1
	s_load_b96 s[0:2], s[12:13], 0x4
	s_load_b64 s[4:5], s[12:13], 0xc4
	s_cmp_lt_u32 s28, 2
	s_wait_kmcnt 0x0
	v_mul_hi_u32 v1, s1, v0
	s_delay_alu instid0(VALU_DEP_1) | instskip(NEXT) | instid1(VALU_DEP_1)
	v_add_nc_u32_e32 v1, v0, v1
	v_lshrrev_b32_e32 v1, s2, v1
	s_delay_alu instid0(VALU_DEP_1) | instskip(NEXT) | instid1(VALU_DEP_1)
	v_mul_lo_u32 v2, v1, s0
	v_sub_nc_u32_e32 v2, v0, v2
	s_delay_alu instid0(VALU_DEP_1)
	v_mul_lo_u32 v3, v2, s5
	v_mul_lo_u32 v2, v2, s4
	s_cbranch_scc1 .LBB77_30
; %bb.29:
	s_clause 0x1
	s_load_b96 s[0:2], s[12:13], 0x10
	s_load_b64 s[4:5], s[12:13], 0xcc
	s_wait_kmcnt 0x0
	v_mul_hi_u32 v4, s1, v1
	s_delay_alu instid0(VALU_DEP_1) | instskip(NEXT) | instid1(VALU_DEP_1)
	v_add_nc_u32_e32 v4, v1, v4
	v_lshrrev_b32_e32 v4, s2, v4
	s_delay_alu instid0(VALU_DEP_1) | instskip(NEXT) | instid1(VALU_DEP_1)
	v_mul_lo_u32 v4, v4, s0
	v_sub_nc_u32_e32 v1, v1, v4
	s_delay_alu instid0(VALU_DEP_1)
	v_mad_u32 v2, v1, s4, v2
	v_mad_u32 v3, v1, s5, v3
.LBB77_30:
	v_cmp_ne_u32_e32 vcc_lo, 1, v14
	v_add_nc_u32_e32 v1, 0x80, v0
	s_cbranch_vccnz .LBB77_36
; %bb.31:
	s_cmp_lg_u32 s28, 0
	s_mov_b32 s6, 0
	s_cbranch_scc0 .LBB77_37
; %bb.32:
	s_min_u32 s1, s29, 15
	s_delay_alu instid0(SALU_CYCLE_1)
	s_add_co_i32 s1, s1, 1
	s_cmp_eq_u32 s29, 2
	s_cbranch_scc1 .LBB77_38
; %bb.33:
	v_dual_mov_b32 v4, 0 :: v_dual_mov_b32 v5, 0
	v_mov_b32_e32 v6, v1
	s_and_b32 s0, s1, 28
	s_add_nc_u64 s[2:3], s[12:13], 0xc4
	s_mov_b32 s7, 0
	s_mov_b64 s[4:5], s[12:13]
.LBB77_34:                              ; =>This Inner Loop Header: Depth=1
	s_clause 0x1
	s_load_b256 s[16:23], s[4:5], 0x4
	s_load_b128 s[8:11], s[4:5], 0x24
	s_load_b256 s[36:43], s[2:3], 0x0
	s_add_co_i32 s7, s7, 4
	s_wait_xcnt 0x0
	s_add_nc_u64 s[4:5], s[4:5], 48
	s_cmp_lg_u32 s0, s7
	s_add_nc_u64 s[2:3], s[2:3], 32
	s_wait_kmcnt 0x0
	v_mul_hi_u32 v7, s17, v6
	s_delay_alu instid0(VALU_DEP_1) | instskip(NEXT) | instid1(VALU_DEP_1)
	v_add_nc_u32_e32 v7, v6, v7
	v_lshrrev_b32_e32 v7, s18, v7
	s_delay_alu instid0(VALU_DEP_1) | instskip(NEXT) | instid1(VALU_DEP_1)
	v_mul_hi_u32 v8, s20, v7
	v_add_nc_u32_e32 v8, v7, v8
	s_delay_alu instid0(VALU_DEP_1) | instskip(NEXT) | instid1(VALU_DEP_1)
	v_lshrrev_b32_e32 v8, s21, v8
	v_mul_hi_u32 v9, s23, v8
	s_delay_alu instid0(VALU_DEP_1) | instskip(SKIP_1) | instid1(VALU_DEP_1)
	v_add_nc_u32_e32 v9, v8, v9
	v_mul_lo_u32 v10, v7, s16
	v_sub_nc_u32_e32 v6, v6, v10
	v_mul_lo_u32 v10, v8, s19
	s_delay_alu instid0(VALU_DEP_4) | instskip(NEXT) | instid1(VALU_DEP_3)
	v_lshrrev_b32_e32 v9, s8, v9
	v_mad_u32 v5, v6, s37, v5
	v_mad_u32 v4, v6, s36, v4
	s_delay_alu instid0(VALU_DEP_4) | instskip(NEXT) | instid1(VALU_DEP_4)
	v_sub_nc_u32_e32 v6, v7, v10
	v_mul_hi_u32 v11, s10, v9
	v_mul_lo_u32 v7, v9, s22
	s_delay_alu instid0(VALU_DEP_3) | instskip(SKIP_1) | instid1(VALU_DEP_4)
	v_mad_u32 v5, v6, s39, v5
	v_mad_u32 v4, v6, s38, v4
	v_add_nc_u32_e32 v10, v9, v11
	s_delay_alu instid0(VALU_DEP_1) | instskip(NEXT) | instid1(VALU_DEP_1)
	v_dual_sub_nc_u32 v7, v8, v7 :: v_dual_lshrrev_b32 v6, s11, v10
	v_mad_u32 v5, v7, s41, v5
	s_delay_alu instid0(VALU_DEP_4) | instskip(NEXT) | instid1(VALU_DEP_3)
	v_mad_u32 v4, v7, s40, v4
	v_mul_lo_u32 v8, v6, s9
	s_delay_alu instid0(VALU_DEP_1) | instskip(NEXT) | instid1(VALU_DEP_1)
	v_sub_nc_u32_e32 v7, v9, v8
	v_mad_u32 v5, v7, s43, v5
	s_delay_alu instid0(VALU_DEP_4)
	v_mad_u32 v4, v7, s42, v4
	s_cbranch_scc1 .LBB77_34
; %bb.35:
	s_and_b32 s4, s1, 3
	s_mov_b32 s1, 0
	s_cmp_eq_u32 s4, 0
	s_cbranch_scc0 .LBB77_39
	s_branch .LBB77_41
.LBB77_36:
	s_mov_b32 s6, -1
                                        ; implicit-def: $vgpr5
	s_branch .LBB77_41
.LBB77_37:
	v_dual_mov_b32 v5, 0 :: v_dual_mov_b32 v4, 0
	s_branch .LBB77_41
.LBB77_38:
	v_mov_b64_e32 v[4:5], 0
	v_mov_b32_e32 v6, v1
	s_mov_b32 s0, 0
	s_and_b32 s4, s1, 3
	s_mov_b32 s1, 0
	s_cmp_eq_u32 s4, 0
	s_cbranch_scc1 .LBB77_41
.LBB77_39:
	s_lshl_b32 s2, s0, 3
	s_mov_b32 s3, s1
	s_mul_u64 s[8:9], s[0:1], 12
	s_add_nc_u64 s[2:3], s[12:13], s[2:3]
	s_delay_alu instid0(SALU_CYCLE_1)
	s_add_nc_u64 s[0:1], s[2:3], 0xc4
	s_add_nc_u64 s[2:3], s[12:13], s[8:9]
.LBB77_40:                              ; =>This Inner Loop Header: Depth=1
	s_load_b96 s[8:10], s[2:3], 0x4
	s_add_co_i32 s4, s4, -1
	s_wait_xcnt 0x0
	s_add_nc_u64 s[2:3], s[2:3], 12
	s_cmp_lg_u32 s4, 0
	s_wait_kmcnt 0x0
	v_mul_hi_u32 v7, s9, v6
	s_delay_alu instid0(VALU_DEP_1) | instskip(NEXT) | instid1(VALU_DEP_1)
	v_add_nc_u32_e32 v7, v6, v7
	v_lshrrev_b32_e32 v7, s10, v7
	s_load_b64 s[10:11], s[0:1], 0x0
	s_wait_xcnt 0x0
	s_add_nc_u64 s[0:1], s[0:1], 8
	s_delay_alu instid0(VALU_DEP_1) | instskip(NEXT) | instid1(VALU_DEP_1)
	v_mul_lo_u32 v8, v7, s8
	v_sub_nc_u32_e32 v6, v6, v8
	s_wait_kmcnt 0x0
	s_delay_alu instid0(VALU_DEP_1)
	v_mad_u32 v5, v6, s11, v5
	v_mad_u32 v4, v6, s10, v4
	v_mov_b32_e32 v6, v7
	s_cbranch_scc1 .LBB77_40
.LBB77_41:
	s_and_not1_b32 vcc_lo, exec_lo, s6
	s_cbranch_vccnz .LBB77_44
; %bb.42:
	s_clause 0x1
	s_load_b96 s[0:2], s[12:13], 0x4
	s_load_b64 s[4:5], s[12:13], 0xc4
	s_cmp_lt_u32 s28, 2
	s_wait_kmcnt 0x0
	v_mul_hi_u32 v4, s1, v1
	s_delay_alu instid0(VALU_DEP_1) | instskip(NEXT) | instid1(VALU_DEP_1)
	v_add_nc_u32_e32 v4, v1, v4
	v_lshrrev_b32_e32 v6, s2, v4
	s_delay_alu instid0(VALU_DEP_1) | instskip(NEXT) | instid1(VALU_DEP_1)
	v_mul_lo_u32 v4, v6, s0
	v_sub_nc_u32_e32 v1, v1, v4
	s_delay_alu instid0(VALU_DEP_1)
	v_mul_lo_u32 v5, v1, s5
	v_mul_lo_u32 v4, v1, s4
	s_cbranch_scc1 .LBB77_44
; %bb.43:
	s_clause 0x1
	s_load_b96 s[0:2], s[12:13], 0x10
	s_load_b64 s[4:5], s[12:13], 0xcc
	s_wait_kmcnt 0x0
	v_mul_hi_u32 v1, s1, v6
	s_delay_alu instid0(VALU_DEP_1) | instskip(NEXT) | instid1(VALU_DEP_1)
	v_add_nc_u32_e32 v1, v6, v1
	v_lshrrev_b32_e32 v1, s2, v1
	s_delay_alu instid0(VALU_DEP_1) | instskip(NEXT) | instid1(VALU_DEP_1)
	v_mul_lo_u32 v1, v1, s0
	v_sub_nc_u32_e32 v1, v6, v1
	s_delay_alu instid0(VALU_DEP_1)
	v_mad_u32 v4, v1, s4, v4
	v_mad_u32 v5, v1, s5, v5
.LBB77_44:
	v_cmp_ne_u32_e32 vcc_lo, 1, v14
	v_add_nc_u32_e32 v1, 0x100, v0
	s_cbranch_vccnz .LBB77_50
; %bb.45:
	s_cmp_lg_u32 s28, 0
	s_mov_b32 s6, 0
	s_cbranch_scc0 .LBB77_51
; %bb.46:
	s_min_u32 s1, s29, 15
	s_delay_alu instid0(SALU_CYCLE_1)
	s_add_co_i32 s1, s1, 1
	s_cmp_eq_u32 s29, 2
	s_cbranch_scc1 .LBB77_52
; %bb.47:
	v_dual_mov_b32 v6, 0 :: v_dual_mov_b32 v7, 0
	v_mov_b32_e32 v8, v1
	s_and_b32 s0, s1, 28
	s_add_nc_u64 s[2:3], s[12:13], 0xc4
	s_mov_b32 s7, 0
	s_mov_b64 s[4:5], s[12:13]
.LBB77_48:                              ; =>This Inner Loop Header: Depth=1
	s_clause 0x1
	s_load_b256 s[16:23], s[4:5], 0x4
	s_load_b128 s[8:11], s[4:5], 0x24
	s_load_b256 s[36:43], s[2:3], 0x0
	s_add_co_i32 s7, s7, 4
	s_wait_xcnt 0x0
	s_add_nc_u64 s[4:5], s[4:5], 48
	s_cmp_lg_u32 s0, s7
	s_add_nc_u64 s[2:3], s[2:3], 32
	s_wait_kmcnt 0x0
	v_mul_hi_u32 v9, s17, v8
	s_delay_alu instid0(VALU_DEP_1) | instskip(NEXT) | instid1(VALU_DEP_1)
	v_add_nc_u32_e32 v9, v8, v9
	v_lshrrev_b32_e32 v9, s18, v9
	s_delay_alu instid0(VALU_DEP_1) | instskip(NEXT) | instid1(VALU_DEP_1)
	v_mul_hi_u32 v10, s20, v9
	v_add_nc_u32_e32 v10, v9, v10
	s_delay_alu instid0(VALU_DEP_1) | instskip(NEXT) | instid1(VALU_DEP_1)
	v_lshrrev_b32_e32 v10, s21, v10
	v_mul_hi_u32 v11, s23, v10
	s_delay_alu instid0(VALU_DEP_1) | instskip(SKIP_1) | instid1(VALU_DEP_1)
	v_add_nc_u32_e32 v11, v10, v11
	v_mul_lo_u32 v12, v9, s16
	v_sub_nc_u32_e32 v8, v8, v12
	v_mul_lo_u32 v12, v10, s19
	s_delay_alu instid0(VALU_DEP_4) | instskip(NEXT) | instid1(VALU_DEP_3)
	v_lshrrev_b32_e32 v11, s8, v11
	v_mad_u32 v7, v8, s37, v7
	v_mad_u32 v6, v8, s36, v6
	s_delay_alu instid0(VALU_DEP_4) | instskip(NEXT) | instid1(VALU_DEP_4)
	v_sub_nc_u32_e32 v8, v9, v12
	v_mul_hi_u32 v13, s10, v11
	v_mul_lo_u32 v9, v11, s22
	s_delay_alu instid0(VALU_DEP_3) | instskip(SKIP_1) | instid1(VALU_DEP_4)
	v_mad_u32 v7, v8, s39, v7
	v_mad_u32 v6, v8, s38, v6
	v_add_nc_u32_e32 v12, v11, v13
	s_delay_alu instid0(VALU_DEP_1) | instskip(NEXT) | instid1(VALU_DEP_1)
	v_dual_sub_nc_u32 v9, v10, v9 :: v_dual_lshrrev_b32 v8, s11, v12
	v_mad_u32 v7, v9, s41, v7
	s_delay_alu instid0(VALU_DEP_4) | instskip(NEXT) | instid1(VALU_DEP_3)
	v_mad_u32 v6, v9, s40, v6
	v_mul_lo_u32 v10, v8, s9
	s_delay_alu instid0(VALU_DEP_1) | instskip(NEXT) | instid1(VALU_DEP_1)
	v_sub_nc_u32_e32 v9, v11, v10
	v_mad_u32 v7, v9, s43, v7
	s_delay_alu instid0(VALU_DEP_4)
	v_mad_u32 v6, v9, s42, v6
	s_cbranch_scc1 .LBB77_48
; %bb.49:
	s_and_b32 s4, s1, 3
	s_mov_b32 s1, 0
	s_cmp_eq_u32 s4, 0
	s_cbranch_scc0 .LBB77_53
	s_branch .LBB77_55
.LBB77_50:
	s_mov_b32 s6, -1
                                        ; implicit-def: $vgpr7
	s_branch .LBB77_55
.LBB77_51:
	v_dual_mov_b32 v7, 0 :: v_dual_mov_b32 v6, 0
	s_branch .LBB77_55
.LBB77_52:
	v_mov_b64_e32 v[6:7], 0
	v_mov_b32_e32 v8, v1
	s_mov_b32 s0, 0
	s_and_b32 s4, s1, 3
	s_mov_b32 s1, 0
	s_cmp_eq_u32 s4, 0
	s_cbranch_scc1 .LBB77_55
.LBB77_53:
	s_lshl_b32 s2, s0, 3
	s_mov_b32 s3, s1
	s_mul_u64 s[8:9], s[0:1], 12
	s_add_nc_u64 s[2:3], s[12:13], s[2:3]
	s_delay_alu instid0(SALU_CYCLE_1)
	s_add_nc_u64 s[0:1], s[2:3], 0xc4
	s_add_nc_u64 s[2:3], s[12:13], s[8:9]
.LBB77_54:                              ; =>This Inner Loop Header: Depth=1
	s_load_b96 s[8:10], s[2:3], 0x4
	s_add_co_i32 s4, s4, -1
	s_wait_xcnt 0x0
	s_add_nc_u64 s[2:3], s[2:3], 12
	s_cmp_lg_u32 s4, 0
	s_wait_kmcnt 0x0
	v_mul_hi_u32 v9, s9, v8
	s_delay_alu instid0(VALU_DEP_1) | instskip(NEXT) | instid1(VALU_DEP_1)
	v_add_nc_u32_e32 v9, v8, v9
	v_lshrrev_b32_e32 v9, s10, v9
	s_load_b64 s[10:11], s[0:1], 0x0
	s_wait_xcnt 0x0
	s_add_nc_u64 s[0:1], s[0:1], 8
	s_delay_alu instid0(VALU_DEP_1) | instskip(NEXT) | instid1(VALU_DEP_1)
	v_mul_lo_u32 v10, v9, s8
	v_sub_nc_u32_e32 v8, v8, v10
	s_wait_kmcnt 0x0
	s_delay_alu instid0(VALU_DEP_1)
	v_mad_u32 v7, v8, s11, v7
	v_mad_u32 v6, v8, s10, v6
	v_mov_b32_e32 v8, v9
	s_cbranch_scc1 .LBB77_54
.LBB77_55:
	s_and_not1_b32 vcc_lo, exec_lo, s6
	s_cbranch_vccnz .LBB77_58
; %bb.56:
	s_clause 0x1
	s_load_b96 s[0:2], s[12:13], 0x4
	s_load_b64 s[4:5], s[12:13], 0xc4
	s_cmp_lt_u32 s28, 2
	s_wait_kmcnt 0x0
	v_mul_hi_u32 v6, s1, v1
	s_delay_alu instid0(VALU_DEP_1) | instskip(NEXT) | instid1(VALU_DEP_1)
	v_add_nc_u32_e32 v6, v1, v6
	v_lshrrev_b32_e32 v8, s2, v6
	s_delay_alu instid0(VALU_DEP_1) | instskip(NEXT) | instid1(VALU_DEP_1)
	v_mul_lo_u32 v6, v8, s0
	v_sub_nc_u32_e32 v1, v1, v6
	s_delay_alu instid0(VALU_DEP_1)
	v_mul_lo_u32 v7, v1, s5
	v_mul_lo_u32 v6, v1, s4
	s_cbranch_scc1 .LBB77_58
; %bb.57:
	s_clause 0x1
	s_load_b96 s[0:2], s[12:13], 0x10
	s_load_b64 s[4:5], s[12:13], 0xcc
	s_wait_kmcnt 0x0
	v_mul_hi_u32 v1, s1, v8
	s_delay_alu instid0(VALU_DEP_1) | instskip(NEXT) | instid1(VALU_DEP_1)
	v_add_nc_u32_e32 v1, v8, v1
	v_lshrrev_b32_e32 v1, s2, v1
	s_delay_alu instid0(VALU_DEP_1) | instskip(NEXT) | instid1(VALU_DEP_1)
	v_mul_lo_u32 v1, v1, s0
	v_sub_nc_u32_e32 v1, v8, v1
	s_delay_alu instid0(VALU_DEP_1)
	v_mad_u32 v6, v1, s4, v6
	v_mad_u32 v7, v1, s5, v7
.LBB77_58:
	v_cmp_ne_u32_e32 vcc_lo, 1, v14
	v_add_nc_u32_e32 v1, 0x180, v0
	s_cbranch_vccnz .LBB77_64
; %bb.59:
	s_cmp_lg_u32 s28, 0
	s_mov_b32 s6, 0
	s_cbranch_scc0 .LBB77_65
; %bb.60:
	s_min_u32 s1, s29, 15
	s_delay_alu instid0(SALU_CYCLE_1)
	s_add_co_i32 s1, s1, 1
	s_cmp_eq_u32 s29, 2
	s_cbranch_scc1 .LBB77_66
; %bb.61:
	v_dual_mov_b32 v8, 0 :: v_dual_mov_b32 v9, 0
	v_mov_b32_e32 v10, v1
	s_and_b32 s0, s1, 28
	s_add_nc_u64 s[2:3], s[12:13], 0xc4
	s_mov_b32 s7, 0
	s_mov_b64 s[4:5], s[12:13]
.LBB77_62:                              ; =>This Inner Loop Header: Depth=1
	s_clause 0x1
	s_load_b256 s[16:23], s[4:5], 0x4
	s_load_b128 s[8:11], s[4:5], 0x24
	s_load_b256 s[36:43], s[2:3], 0x0
	s_add_co_i32 s7, s7, 4
	s_wait_xcnt 0x0
	s_add_nc_u64 s[4:5], s[4:5], 48
	s_cmp_lg_u32 s0, s7
	s_add_nc_u64 s[2:3], s[2:3], 32
	s_wait_kmcnt 0x0
	v_mul_hi_u32 v11, s17, v10
	s_delay_alu instid0(VALU_DEP_1) | instskip(NEXT) | instid1(VALU_DEP_1)
	v_add_nc_u32_e32 v11, v10, v11
	v_lshrrev_b32_e32 v11, s18, v11
	s_delay_alu instid0(VALU_DEP_1) | instskip(NEXT) | instid1(VALU_DEP_1)
	v_mul_hi_u32 v12, s20, v11
	v_add_nc_u32_e32 v12, v11, v12
	s_delay_alu instid0(VALU_DEP_1) | instskip(NEXT) | instid1(VALU_DEP_1)
	v_lshrrev_b32_e32 v12, s21, v12
	v_mul_hi_u32 v13, s23, v12
	s_delay_alu instid0(VALU_DEP_1) | instskip(SKIP_1) | instid1(VALU_DEP_1)
	v_add_nc_u32_e32 v13, v12, v13
	v_mul_lo_u32 v15, v11, s16
	v_sub_nc_u32_e32 v10, v10, v15
	v_mul_lo_u32 v15, v12, s19
	s_delay_alu instid0(VALU_DEP_4) | instskip(NEXT) | instid1(VALU_DEP_3)
	v_lshrrev_b32_e32 v13, s8, v13
	v_mad_u32 v9, v10, s37, v9
	v_mad_u32 v8, v10, s36, v8
	s_delay_alu instid0(VALU_DEP_4) | instskip(NEXT) | instid1(VALU_DEP_4)
	v_sub_nc_u32_e32 v10, v11, v15
	v_mul_hi_u32 v17, s10, v13
	v_mul_lo_u32 v11, v13, s22
	s_delay_alu instid0(VALU_DEP_3) | instskip(SKIP_1) | instid1(VALU_DEP_3)
	v_mad_u32 v9, v10, s39, v9
	v_mad_u32 v8, v10, s38, v8
	v_dual_add_nc_u32 v15, v13, v17 :: v_dual_sub_nc_u32 v11, v12, v11
	s_delay_alu instid0(VALU_DEP_1) | instskip(NEXT) | instid1(VALU_DEP_2)
	v_lshrrev_b32_e32 v10, s11, v15
	v_mad_u32 v9, v11, s41, v9
	s_delay_alu instid0(VALU_DEP_4) | instskip(NEXT) | instid1(VALU_DEP_3)
	v_mad_u32 v8, v11, s40, v8
	v_mul_lo_u32 v12, v10, s9
	s_delay_alu instid0(VALU_DEP_1) | instskip(NEXT) | instid1(VALU_DEP_1)
	v_sub_nc_u32_e32 v11, v13, v12
	v_mad_u32 v9, v11, s43, v9
	s_delay_alu instid0(VALU_DEP_4)
	v_mad_u32 v8, v11, s42, v8
	s_cbranch_scc1 .LBB77_62
; %bb.63:
	s_and_b32 s4, s1, 3
	s_mov_b32 s1, 0
	s_cmp_eq_u32 s4, 0
	s_cbranch_scc0 .LBB77_67
	s_branch .LBB77_69
.LBB77_64:
	s_mov_b32 s6, -1
                                        ; implicit-def: $vgpr9
	s_branch .LBB77_69
.LBB77_65:
	v_dual_mov_b32 v9, 0 :: v_dual_mov_b32 v8, 0
	s_branch .LBB77_69
.LBB77_66:
	v_mov_b64_e32 v[8:9], 0
	v_mov_b32_e32 v10, v1
	s_mov_b32 s0, 0
	s_and_b32 s4, s1, 3
	s_mov_b32 s1, 0
	s_cmp_eq_u32 s4, 0
	s_cbranch_scc1 .LBB77_69
.LBB77_67:
	s_lshl_b32 s2, s0, 3
	s_mov_b32 s3, s1
	s_mul_u64 s[8:9], s[0:1], 12
	s_add_nc_u64 s[2:3], s[12:13], s[2:3]
	s_delay_alu instid0(SALU_CYCLE_1)
	s_add_nc_u64 s[0:1], s[2:3], 0xc4
	s_add_nc_u64 s[2:3], s[12:13], s[8:9]
.LBB77_68:                              ; =>This Inner Loop Header: Depth=1
	s_load_b96 s[8:10], s[2:3], 0x4
	s_add_co_i32 s4, s4, -1
	s_wait_xcnt 0x0
	s_add_nc_u64 s[2:3], s[2:3], 12
	s_cmp_lg_u32 s4, 0
	s_wait_kmcnt 0x0
	v_mul_hi_u32 v11, s9, v10
	s_delay_alu instid0(VALU_DEP_1) | instskip(NEXT) | instid1(VALU_DEP_1)
	v_add_nc_u32_e32 v11, v10, v11
	v_lshrrev_b32_e32 v11, s10, v11
	s_load_b64 s[10:11], s[0:1], 0x0
	s_wait_xcnt 0x0
	s_add_nc_u64 s[0:1], s[0:1], 8
	s_delay_alu instid0(VALU_DEP_1) | instskip(NEXT) | instid1(VALU_DEP_1)
	v_mul_lo_u32 v12, v11, s8
	v_sub_nc_u32_e32 v10, v10, v12
	s_wait_kmcnt 0x0
	s_delay_alu instid0(VALU_DEP_1)
	v_mad_u32 v9, v10, s11, v9
	v_mad_u32 v8, v10, s10, v8
	v_mov_b32_e32 v10, v11
	s_cbranch_scc1 .LBB77_68
.LBB77_69:
	s_and_not1_b32 vcc_lo, exec_lo, s6
	s_cbranch_vccnz .LBB77_72
; %bb.70:
	s_clause 0x1
	s_load_b96 s[0:2], s[12:13], 0x4
	s_load_b64 s[4:5], s[12:13], 0xc4
	s_cmp_lt_u32 s28, 2
	s_wait_kmcnt 0x0
	v_mul_hi_u32 v8, s1, v1
	s_delay_alu instid0(VALU_DEP_1) | instskip(NEXT) | instid1(VALU_DEP_1)
	v_add_nc_u32_e32 v8, v1, v8
	v_lshrrev_b32_e32 v10, s2, v8
	s_delay_alu instid0(VALU_DEP_1) | instskip(NEXT) | instid1(VALU_DEP_1)
	v_mul_lo_u32 v8, v10, s0
	v_sub_nc_u32_e32 v1, v1, v8
	s_delay_alu instid0(VALU_DEP_1)
	v_mul_lo_u32 v9, v1, s5
	v_mul_lo_u32 v8, v1, s4
	s_cbranch_scc1 .LBB77_72
; %bb.71:
	s_clause 0x1
	s_load_b96 s[0:2], s[12:13], 0x10
	s_load_b64 s[4:5], s[12:13], 0xcc
	s_wait_kmcnt 0x0
	v_mul_hi_u32 v1, s1, v10
	s_delay_alu instid0(VALU_DEP_1) | instskip(NEXT) | instid1(VALU_DEP_1)
	v_add_nc_u32_e32 v1, v10, v1
	v_lshrrev_b32_e32 v1, s2, v1
	s_delay_alu instid0(VALU_DEP_1) | instskip(NEXT) | instid1(VALU_DEP_1)
	v_mul_lo_u32 v1, v1, s0
	v_sub_nc_u32_e32 v1, v10, v1
	s_delay_alu instid0(VALU_DEP_1)
	v_mad_u32 v8, v1, s4, v8
	v_mad_u32 v9, v1, s5, v9
.LBB77_72:
	v_cmp_ne_u32_e32 vcc_lo, 1, v14
	v_add_nc_u32_e32 v1, 0x200, v0
	s_cbranch_vccnz .LBB77_78
; %bb.73:
	s_cmp_lg_u32 s28, 0
	s_mov_b32 s6, 0
	s_cbranch_scc0 .LBB77_79
; %bb.74:
	s_min_u32 s1, s29, 15
	s_delay_alu instid0(SALU_CYCLE_1)
	s_add_co_i32 s1, s1, 1
	s_cmp_eq_u32 s29, 2
	s_cbranch_scc1 .LBB77_80
; %bb.75:
	v_dual_mov_b32 v10, 0 :: v_dual_mov_b32 v11, 0
	v_mov_b32_e32 v12, v1
	s_and_b32 s0, s1, 28
	s_add_nc_u64 s[2:3], s[12:13], 0xc4
	s_mov_b32 s7, 0
	s_mov_b64 s[4:5], s[12:13]
.LBB77_76:                              ; =>This Inner Loop Header: Depth=1
	s_clause 0x1
	s_load_b256 s[16:23], s[4:5], 0x4
	s_load_b128 s[8:11], s[4:5], 0x24
	s_load_b256 s[36:43], s[2:3], 0x0
	s_add_co_i32 s7, s7, 4
	s_wait_xcnt 0x0
	s_add_nc_u64 s[4:5], s[4:5], 48
	s_cmp_lg_u32 s0, s7
	s_add_nc_u64 s[2:3], s[2:3], 32
	s_wait_kmcnt 0x0
	v_mul_hi_u32 v13, s17, v12
	s_delay_alu instid0(VALU_DEP_1) | instskip(NEXT) | instid1(VALU_DEP_1)
	v_add_nc_u32_e32 v13, v12, v13
	v_lshrrev_b32_e32 v13, s18, v13
	s_delay_alu instid0(VALU_DEP_1) | instskip(NEXT) | instid1(VALU_DEP_1)
	v_mul_lo_u32 v18, v13, s16
	v_sub_nc_u32_e32 v12, v12, v18
	v_mul_hi_u32 v15, s20, v13
	s_delay_alu instid0(VALU_DEP_2) | instskip(SKIP_1) | instid1(VALU_DEP_3)
	v_mad_u32 v11, v12, s37, v11
	v_mad_u32 v10, v12, s36, v10
	v_add_nc_u32_e32 v15, v13, v15
	s_delay_alu instid0(VALU_DEP_1) | instskip(NEXT) | instid1(VALU_DEP_1)
	v_lshrrev_b32_e32 v15, s21, v15
	v_mul_hi_u32 v17, s23, v15
	v_mul_lo_u32 v18, v15, s19
	s_delay_alu instid0(VALU_DEP_1) | instskip(NEXT) | instid1(VALU_DEP_1)
	v_dual_add_nc_u32 v17, v15, v17 :: v_dual_sub_nc_u32 v12, v13, v18
	v_lshrrev_b32_e32 v17, s8, v17
	s_delay_alu instid0(VALU_DEP_2) | instskip(SKIP_1) | instid1(VALU_DEP_3)
	v_mad_u32 v11, v12, s39, v11
	v_mad_u32 v10, v12, s38, v10
	v_mul_hi_u32 v19, s10, v17
	v_mul_lo_u32 v13, v17, s22
	s_delay_alu instid0(VALU_DEP_1) | instskip(NEXT) | instid1(VALU_DEP_1)
	v_dual_add_nc_u32 v18, v17, v19 :: v_dual_sub_nc_u32 v13, v15, v13
	v_lshrrev_b32_e32 v12, s11, v18
	s_delay_alu instid0(VALU_DEP_2) | instskip(SKIP_1) | instid1(VALU_DEP_3)
	v_mad_u32 v11, v13, s41, v11
	v_mad_u32 v10, v13, s40, v10
	v_mul_lo_u32 v15, v12, s9
	s_delay_alu instid0(VALU_DEP_1) | instskip(NEXT) | instid1(VALU_DEP_1)
	v_sub_nc_u32_e32 v13, v17, v15
	v_mad_u32 v11, v13, s43, v11
	s_delay_alu instid0(VALU_DEP_4)
	v_mad_u32 v10, v13, s42, v10
	s_cbranch_scc1 .LBB77_76
; %bb.77:
	s_and_b32 s4, s1, 3
	s_mov_b32 s1, 0
	s_cmp_eq_u32 s4, 0
	s_cbranch_scc0 .LBB77_81
	s_branch .LBB77_83
.LBB77_78:
	s_mov_b32 s6, -1
                                        ; implicit-def: $vgpr11
	s_branch .LBB77_83
.LBB77_79:
	v_dual_mov_b32 v11, 0 :: v_dual_mov_b32 v10, 0
	s_branch .LBB77_83
.LBB77_80:
	v_mov_b64_e32 v[10:11], 0
	v_mov_b32_e32 v12, v1
	s_mov_b32 s0, 0
	s_and_b32 s4, s1, 3
	s_mov_b32 s1, 0
	s_cmp_eq_u32 s4, 0
	s_cbranch_scc1 .LBB77_83
.LBB77_81:
	s_lshl_b32 s2, s0, 3
	s_mov_b32 s3, s1
	s_mul_u64 s[8:9], s[0:1], 12
	s_add_nc_u64 s[2:3], s[12:13], s[2:3]
	s_delay_alu instid0(SALU_CYCLE_1)
	s_add_nc_u64 s[0:1], s[2:3], 0xc4
	s_add_nc_u64 s[2:3], s[12:13], s[8:9]
.LBB77_82:                              ; =>This Inner Loop Header: Depth=1
	s_load_b96 s[8:10], s[2:3], 0x4
	s_add_co_i32 s4, s4, -1
	s_wait_xcnt 0x0
	s_add_nc_u64 s[2:3], s[2:3], 12
	s_cmp_lg_u32 s4, 0
	s_wait_kmcnt 0x0
	v_mul_hi_u32 v13, s9, v12
	s_delay_alu instid0(VALU_DEP_1) | instskip(NEXT) | instid1(VALU_DEP_1)
	v_add_nc_u32_e32 v13, v12, v13
	v_lshrrev_b32_e32 v13, s10, v13
	s_load_b64 s[10:11], s[0:1], 0x0
	s_wait_xcnt 0x0
	s_add_nc_u64 s[0:1], s[0:1], 8
	s_delay_alu instid0(VALU_DEP_1) | instskip(NEXT) | instid1(VALU_DEP_1)
	v_mul_lo_u32 v15, v13, s8
	v_sub_nc_u32_e32 v12, v12, v15
	s_wait_kmcnt 0x0
	s_delay_alu instid0(VALU_DEP_1)
	v_mad_u32 v11, v12, s11, v11
	v_mad_u32 v10, v12, s10, v10
	v_mov_b32_e32 v12, v13
	s_cbranch_scc1 .LBB77_82
.LBB77_83:
	s_and_not1_b32 vcc_lo, exec_lo, s6
	s_cbranch_vccnz .LBB77_86
; %bb.84:
	s_clause 0x1
	s_load_b96 s[0:2], s[12:13], 0x4
	s_load_b64 s[4:5], s[12:13], 0xc4
	s_cmp_lt_u32 s28, 2
	s_wait_kmcnt 0x0
	v_mul_hi_u32 v10, s1, v1
	s_delay_alu instid0(VALU_DEP_1) | instskip(NEXT) | instid1(VALU_DEP_1)
	v_add_nc_u32_e32 v10, v1, v10
	v_lshrrev_b32_e32 v12, s2, v10
	s_delay_alu instid0(VALU_DEP_1) | instskip(NEXT) | instid1(VALU_DEP_1)
	v_mul_lo_u32 v10, v12, s0
	v_sub_nc_u32_e32 v1, v1, v10
	s_delay_alu instid0(VALU_DEP_1)
	v_mul_lo_u32 v11, v1, s5
	v_mul_lo_u32 v10, v1, s4
	s_cbranch_scc1 .LBB77_86
; %bb.85:
	s_clause 0x1
	s_load_b96 s[0:2], s[12:13], 0x10
	s_load_b64 s[4:5], s[12:13], 0xcc
	s_wait_kmcnt 0x0
	v_mul_hi_u32 v1, s1, v12
	s_delay_alu instid0(VALU_DEP_1) | instskip(NEXT) | instid1(VALU_DEP_1)
	v_add_nc_u32_e32 v1, v12, v1
	v_lshrrev_b32_e32 v1, s2, v1
	s_delay_alu instid0(VALU_DEP_1) | instskip(NEXT) | instid1(VALU_DEP_1)
	v_mul_lo_u32 v1, v1, s0
	v_sub_nc_u32_e32 v1, v12, v1
	s_delay_alu instid0(VALU_DEP_1)
	v_mad_u32 v10, v1, s4, v10
	v_mad_u32 v11, v1, s5, v11
.LBB77_86:
	v_cmp_ne_u32_e32 vcc_lo, 1, v14
	v_add_nc_u32_e32 v1, 0x280, v0
	s_cbranch_vccnz .LBB77_92
; %bb.87:
	s_cmp_lg_u32 s28, 0
	s_mov_b32 s6, 0
	s_cbranch_scc0 .LBB77_93
; %bb.88:
	s_min_u32 s1, s29, 15
	s_delay_alu instid0(SALU_CYCLE_1)
	s_add_co_i32 s1, s1, 1
	s_cmp_eq_u32 s29, 2
	s_cbranch_scc1 .LBB77_94
; %bb.89:
	v_dual_mov_b32 v12, 0 :: v_dual_mov_b32 v13, 0
	v_mov_b32_e32 v15, v1
	s_and_b32 s0, s1, 28
	s_add_nc_u64 s[2:3], s[12:13], 0xc4
	s_mov_b32 s7, 0
	s_mov_b64 s[4:5], s[12:13]
.LBB77_90:                              ; =>This Inner Loop Header: Depth=1
	s_clause 0x1
	s_load_b256 s[16:23], s[4:5], 0x4
	s_load_b128 s[8:11], s[4:5], 0x24
	s_load_b256 s[36:43], s[2:3], 0x0
	s_add_co_i32 s7, s7, 4
	s_wait_xcnt 0x0
	s_add_nc_u64 s[4:5], s[4:5], 48
	s_cmp_lg_u32 s0, s7
	s_add_nc_u64 s[2:3], s[2:3], 32
	s_wait_kmcnt 0x0
	v_mul_hi_u32 v17, s17, v15
	s_delay_alu instid0(VALU_DEP_1) | instskip(NEXT) | instid1(VALU_DEP_1)
	v_add_nc_u32_e32 v17, v15, v17
	v_lshrrev_b32_e32 v17, s18, v17
	s_delay_alu instid0(VALU_DEP_1) | instskip(NEXT) | instid1(VALU_DEP_1)
	v_mul_hi_u32 v18, s20, v17
	v_add_nc_u32_e32 v18, v17, v18
	s_delay_alu instid0(VALU_DEP_1) | instskip(NEXT) | instid1(VALU_DEP_1)
	v_lshrrev_b32_e32 v18, s21, v18
	v_mul_hi_u32 v19, s23, v18
	s_delay_alu instid0(VALU_DEP_1) | instskip(SKIP_1) | instid1(VALU_DEP_1)
	v_add_nc_u32_e32 v19, v18, v19
	v_mul_lo_u32 v20, v17, s16
	v_sub_nc_u32_e32 v15, v15, v20
	v_mul_lo_u32 v20, v18, s19
	s_delay_alu instid0(VALU_DEP_4) | instskip(NEXT) | instid1(VALU_DEP_3)
	v_lshrrev_b32_e32 v19, s8, v19
	v_mad_u32 v13, v15, s37, v13
	v_mad_u32 v12, v15, s36, v12
	s_delay_alu instid0(VALU_DEP_4) | instskip(NEXT) | instid1(VALU_DEP_4)
	v_sub_nc_u32_e32 v15, v17, v20
	v_mul_hi_u32 v21, s10, v19
	v_mul_lo_u32 v17, v19, s22
	s_delay_alu instid0(VALU_DEP_3) | instskip(SKIP_1) | instid1(VALU_DEP_4)
	v_mad_u32 v13, v15, s39, v13
	v_mad_u32 v12, v15, s38, v12
	v_add_nc_u32_e32 v20, v19, v21
	s_delay_alu instid0(VALU_DEP_1) | instskip(NEXT) | instid1(VALU_DEP_1)
	v_dual_sub_nc_u32 v17, v18, v17 :: v_dual_lshrrev_b32 v15, s11, v20
	v_mad_u32 v13, v17, s41, v13
	s_delay_alu instid0(VALU_DEP_4) | instskip(NEXT) | instid1(VALU_DEP_3)
	v_mad_u32 v12, v17, s40, v12
	v_mul_lo_u32 v18, v15, s9
	s_delay_alu instid0(VALU_DEP_1) | instskip(NEXT) | instid1(VALU_DEP_1)
	v_sub_nc_u32_e32 v17, v19, v18
	v_mad_u32 v13, v17, s43, v13
	s_delay_alu instid0(VALU_DEP_4)
	v_mad_u32 v12, v17, s42, v12
	s_cbranch_scc1 .LBB77_90
; %bb.91:
	s_and_b32 s4, s1, 3
	s_mov_b32 s1, 0
	s_cmp_eq_u32 s4, 0
	s_cbranch_scc0 .LBB77_95
	s_branch .LBB77_97
.LBB77_92:
	s_mov_b32 s6, -1
                                        ; implicit-def: $vgpr13
	s_branch .LBB77_97
.LBB77_93:
	v_dual_mov_b32 v13, 0 :: v_dual_mov_b32 v12, 0
	s_branch .LBB77_97
.LBB77_94:
	v_mov_b64_e32 v[12:13], 0
	v_mov_b32_e32 v15, v1
	s_mov_b32 s0, 0
	s_and_b32 s4, s1, 3
	s_mov_b32 s1, 0
	s_cmp_eq_u32 s4, 0
	s_cbranch_scc1 .LBB77_97
.LBB77_95:
	s_lshl_b32 s2, s0, 3
	s_mov_b32 s3, s1
	s_mul_u64 s[8:9], s[0:1], 12
	s_add_nc_u64 s[2:3], s[12:13], s[2:3]
	s_delay_alu instid0(SALU_CYCLE_1)
	s_add_nc_u64 s[0:1], s[2:3], 0xc4
	s_add_nc_u64 s[2:3], s[12:13], s[8:9]
.LBB77_96:                              ; =>This Inner Loop Header: Depth=1
	s_load_b96 s[8:10], s[2:3], 0x4
	s_add_co_i32 s4, s4, -1
	s_wait_xcnt 0x0
	s_add_nc_u64 s[2:3], s[2:3], 12
	s_cmp_lg_u32 s4, 0
	s_wait_kmcnt 0x0
	v_mul_hi_u32 v17, s9, v15
	s_delay_alu instid0(VALU_DEP_1) | instskip(NEXT) | instid1(VALU_DEP_1)
	v_add_nc_u32_e32 v17, v15, v17
	v_lshrrev_b32_e32 v17, s10, v17
	s_load_b64 s[10:11], s[0:1], 0x0
	s_wait_xcnt 0x0
	s_add_nc_u64 s[0:1], s[0:1], 8
	s_delay_alu instid0(VALU_DEP_1) | instskip(NEXT) | instid1(VALU_DEP_1)
	v_mul_lo_u32 v18, v17, s8
	v_sub_nc_u32_e32 v15, v15, v18
	s_wait_kmcnt 0x0
	s_delay_alu instid0(VALU_DEP_1)
	v_mad_u32 v13, v15, s11, v13
	v_mad_u32 v12, v15, s10, v12
	v_mov_b32_e32 v15, v17
	s_cbranch_scc1 .LBB77_96
.LBB77_97:
	s_and_not1_b32 vcc_lo, exec_lo, s6
	s_cbranch_vccnz .LBB77_100
; %bb.98:
	s_clause 0x1
	s_load_b96 s[0:2], s[12:13], 0x4
	s_load_b64 s[4:5], s[12:13], 0xc4
	s_cmp_lt_u32 s28, 2
	s_wait_kmcnt 0x0
	v_mul_hi_u32 v12, s1, v1
	s_delay_alu instid0(VALU_DEP_1) | instskip(NEXT) | instid1(VALU_DEP_1)
	v_add_nc_u32_e32 v12, v1, v12
	v_lshrrev_b32_e32 v15, s2, v12
	s_delay_alu instid0(VALU_DEP_1) | instskip(NEXT) | instid1(VALU_DEP_1)
	v_mul_lo_u32 v12, v15, s0
	v_sub_nc_u32_e32 v1, v1, v12
	s_delay_alu instid0(VALU_DEP_1)
	v_mul_lo_u32 v13, v1, s5
	v_mul_lo_u32 v12, v1, s4
	s_cbranch_scc1 .LBB77_100
; %bb.99:
	s_clause 0x1
	s_load_b96 s[0:2], s[12:13], 0x10
	s_load_b64 s[4:5], s[12:13], 0xcc
	s_wait_kmcnt 0x0
	v_mul_hi_u32 v1, s1, v15
	s_delay_alu instid0(VALU_DEP_1) | instskip(NEXT) | instid1(VALU_DEP_1)
	v_add_nc_u32_e32 v1, v15, v1
	v_lshrrev_b32_e32 v1, s2, v1
	s_delay_alu instid0(VALU_DEP_1) | instskip(NEXT) | instid1(VALU_DEP_1)
	v_mul_lo_u32 v1, v1, s0
	v_sub_nc_u32_e32 v1, v15, v1
	s_delay_alu instid0(VALU_DEP_1)
	v_mad_u32 v12, v1, s4, v12
	v_mad_u32 v13, v1, s5, v13
.LBB77_100:
	v_cmp_ne_u32_e32 vcc_lo, 1, v14
	v_add_nc_u32_e32 v15, 0x300, v0
	s_cbranch_vccnz .LBB77_106
; %bb.101:
	s_cmp_lg_u32 s28, 0
	s_mov_b32 s6, 0
	s_cbranch_scc0 .LBB77_107
; %bb.102:
	s_min_u32 s1, s29, 15
	s_delay_alu instid0(SALU_CYCLE_1)
	s_add_co_i32 s1, s1, 1
	s_cmp_eq_u32 s29, 2
	s_cbranch_scc1 .LBB77_108
; %bb.103:
	v_dual_mov_b32 v0, 0 :: v_dual_mov_b32 v1, 0
	v_mov_b32_e32 v17, v15
	s_and_b32 s0, s1, 28
	s_add_nc_u64 s[2:3], s[12:13], 0xc4
	s_mov_b32 s7, 0
	s_mov_b64 s[4:5], s[12:13]
.LBB77_104:                             ; =>This Inner Loop Header: Depth=1
	s_clause 0x1
	s_load_b256 s[16:23], s[4:5], 0x4
	s_load_b128 s[8:11], s[4:5], 0x24
	s_load_b256 s[36:43], s[2:3], 0x0
	s_add_co_i32 s7, s7, 4
	s_wait_xcnt 0x0
	s_add_nc_u64 s[4:5], s[4:5], 48
	s_cmp_lg_u32 s0, s7
	s_add_nc_u64 s[2:3], s[2:3], 32
	s_wait_kmcnt 0x0
	v_mul_hi_u32 v18, s17, v17
	s_delay_alu instid0(VALU_DEP_1) | instskip(NEXT) | instid1(VALU_DEP_1)
	v_add_nc_u32_e32 v18, v17, v18
	v_lshrrev_b32_e32 v18, s18, v18
	s_delay_alu instid0(VALU_DEP_1) | instskip(NEXT) | instid1(VALU_DEP_1)
	v_mul_hi_u32 v19, s20, v18
	v_add_nc_u32_e32 v19, v18, v19
	s_delay_alu instid0(VALU_DEP_1) | instskip(NEXT) | instid1(VALU_DEP_1)
	v_lshrrev_b32_e32 v19, s21, v19
	v_mul_hi_u32 v20, s23, v19
	s_delay_alu instid0(VALU_DEP_1) | instskip(SKIP_1) | instid1(VALU_DEP_1)
	v_add_nc_u32_e32 v20, v19, v20
	v_mul_lo_u32 v21, v18, s16
	v_sub_nc_u32_e32 v17, v17, v21
	v_mul_lo_u32 v21, v19, s19
	s_delay_alu instid0(VALU_DEP_4) | instskip(NEXT) | instid1(VALU_DEP_3)
	v_lshrrev_b32_e32 v20, s8, v20
	v_mad_u32 v1, v17, s37, v1
	v_mad_u32 v0, v17, s36, v0
	s_delay_alu instid0(VALU_DEP_4) | instskip(NEXT) | instid1(VALU_DEP_4)
	v_sub_nc_u32_e32 v17, v18, v21
	v_mul_hi_u32 v22, s10, v20
	v_mul_lo_u32 v18, v20, s22
	s_delay_alu instid0(VALU_DEP_3) | instskip(SKIP_1) | instid1(VALU_DEP_4)
	v_mad_u32 v1, v17, s39, v1
	v_mad_u32 v0, v17, s38, v0
	v_add_nc_u32_e32 v21, v20, v22
	s_delay_alu instid0(VALU_DEP_1) | instskip(NEXT) | instid1(VALU_DEP_1)
	v_dual_sub_nc_u32 v18, v19, v18 :: v_dual_lshrrev_b32 v17, s11, v21
	v_mad_u32 v1, v18, s41, v1
	s_delay_alu instid0(VALU_DEP_4) | instskip(NEXT) | instid1(VALU_DEP_3)
	v_mad_u32 v0, v18, s40, v0
	v_mul_lo_u32 v19, v17, s9
	s_delay_alu instid0(VALU_DEP_1) | instskip(NEXT) | instid1(VALU_DEP_1)
	v_sub_nc_u32_e32 v18, v20, v19
	v_mad_u32 v1, v18, s43, v1
	s_delay_alu instid0(VALU_DEP_4)
	v_mad_u32 v0, v18, s42, v0
	s_cbranch_scc1 .LBB77_104
; %bb.105:
	s_and_b32 s4, s1, 3
	s_mov_b32 s1, 0
	s_cmp_eq_u32 s4, 0
	s_cbranch_scc0 .LBB77_109
	s_branch .LBB77_111
.LBB77_106:
	s_mov_b32 s6, -1
                                        ; implicit-def: $vgpr1
	s_branch .LBB77_111
.LBB77_107:
	v_dual_mov_b32 v1, 0 :: v_dual_mov_b32 v0, 0
	s_branch .LBB77_111
.LBB77_108:
	v_mov_b64_e32 v[0:1], 0
	v_mov_b32_e32 v17, v15
	s_mov_b32 s0, 0
	s_and_b32 s4, s1, 3
	s_mov_b32 s1, 0
	s_cmp_eq_u32 s4, 0
	s_cbranch_scc1 .LBB77_111
.LBB77_109:
	s_lshl_b32 s2, s0, 3
	s_mov_b32 s3, s1
	s_mul_u64 s[8:9], s[0:1], 12
	s_add_nc_u64 s[2:3], s[12:13], s[2:3]
	s_delay_alu instid0(SALU_CYCLE_1)
	s_add_nc_u64 s[0:1], s[2:3], 0xc4
	s_add_nc_u64 s[2:3], s[12:13], s[8:9]
.LBB77_110:                             ; =>This Inner Loop Header: Depth=1
	s_load_b96 s[8:10], s[2:3], 0x4
	s_add_co_i32 s4, s4, -1
	s_wait_xcnt 0x0
	s_add_nc_u64 s[2:3], s[2:3], 12
	s_cmp_lg_u32 s4, 0
	s_wait_kmcnt 0x0
	v_mul_hi_u32 v18, s9, v17
	s_delay_alu instid0(VALU_DEP_1) | instskip(NEXT) | instid1(VALU_DEP_1)
	v_add_nc_u32_e32 v18, v17, v18
	v_lshrrev_b32_e32 v18, s10, v18
	s_load_b64 s[10:11], s[0:1], 0x0
	s_wait_xcnt 0x0
	s_add_nc_u64 s[0:1], s[0:1], 8
	s_delay_alu instid0(VALU_DEP_1) | instskip(NEXT) | instid1(VALU_DEP_1)
	v_mul_lo_u32 v19, v18, s8
	v_sub_nc_u32_e32 v17, v17, v19
	s_wait_kmcnt 0x0
	s_delay_alu instid0(VALU_DEP_1)
	v_mad_u32 v1, v17, s11, v1
	v_mad_u32 v0, v17, s10, v0
	v_mov_b32_e32 v17, v18
	s_cbranch_scc1 .LBB77_110
.LBB77_111:
	s_and_not1_b32 vcc_lo, exec_lo, s6
	s_cbranch_vccnz .LBB77_114
; %bb.112:
	s_clause 0x1
	s_load_b96 s[0:2], s[12:13], 0x4
	s_load_b64 s[4:5], s[12:13], 0xc4
	s_cmp_lt_u32 s28, 2
	s_wait_kmcnt 0x0
	v_mul_hi_u32 v0, s1, v15
	s_delay_alu instid0(VALU_DEP_1) | instskip(NEXT) | instid1(VALU_DEP_1)
	v_add_nc_u32_e32 v0, v15, v0
	v_lshrrev_b32_e32 v17, s2, v0
	s_delay_alu instid0(VALU_DEP_1) | instskip(NEXT) | instid1(VALU_DEP_1)
	v_mul_lo_u32 v0, v17, s0
	v_sub_nc_u32_e32 v0, v15, v0
	s_delay_alu instid0(VALU_DEP_1)
	v_mul_lo_u32 v1, v0, s5
	v_mul_lo_u32 v0, v0, s4
	s_cbranch_scc1 .LBB77_114
; %bb.113:
	s_clause 0x1
	s_load_b96 s[0:2], s[12:13], 0x10
	s_load_b64 s[4:5], s[12:13], 0xcc
	s_wait_kmcnt 0x0
	v_mul_hi_u32 v15, s1, v17
	s_delay_alu instid0(VALU_DEP_1) | instskip(NEXT) | instid1(VALU_DEP_1)
	v_add_nc_u32_e32 v15, v17, v15
	v_lshrrev_b32_e32 v15, s2, v15
	s_delay_alu instid0(VALU_DEP_1) | instskip(NEXT) | instid1(VALU_DEP_1)
	v_mul_lo_u32 v15, v15, s0
	v_sub_nc_u32_e32 v15, v17, v15
	s_delay_alu instid0(VALU_DEP_1)
	v_mad_u32 v0, v15, s4, v0
	v_mad_u32 v1, v15, s5, v1
.LBB77_114:
	v_cmp_ne_u32_e32 vcc_lo, 1, v14
	s_cbranch_vccnz .LBB77_120
; %bb.115:
	s_cmp_lg_u32 s28, 0
	s_mov_b32 s6, 0
	s_cbranch_scc0 .LBB77_121
; %bb.116:
	s_min_u32 s1, s29, 15
	s_delay_alu instid0(SALU_CYCLE_1)
	s_add_co_i32 s1, s1, 1
	s_cmp_eq_u32 s29, 2
	s_cbranch_scc1 .LBB77_122
; %bb.117:
	v_dual_mov_b32 v14, 0 :: v_dual_mov_b32 v15, 0
	v_mov_b32_e32 v17, v16
	s_and_b32 s0, s1, 28
	s_add_nc_u64 s[2:3], s[12:13], 0xc4
	s_mov_b32 s7, 0
	s_mov_b64 s[4:5], s[12:13]
.LBB77_118:                             ; =>This Inner Loop Header: Depth=1
	s_clause 0x1
	s_load_b256 s[16:23], s[4:5], 0x4
	s_load_b128 s[8:11], s[4:5], 0x24
	s_load_b256 s[36:43], s[2:3], 0x0
	s_add_co_i32 s7, s7, 4
	s_wait_xcnt 0x0
	s_add_nc_u64 s[4:5], s[4:5], 48
	s_cmp_lg_u32 s0, s7
	s_add_nc_u64 s[2:3], s[2:3], 32
	s_wait_kmcnt 0x0
	v_mul_hi_u32 v18, s17, v17
	s_delay_alu instid0(VALU_DEP_1) | instskip(NEXT) | instid1(VALU_DEP_1)
	v_add_nc_u32_e32 v18, v17, v18
	v_lshrrev_b32_e32 v18, s18, v18
	s_delay_alu instid0(VALU_DEP_1) | instskip(NEXT) | instid1(VALU_DEP_1)
	v_mul_hi_u32 v19, s20, v18
	v_add_nc_u32_e32 v19, v18, v19
	s_delay_alu instid0(VALU_DEP_1) | instskip(NEXT) | instid1(VALU_DEP_1)
	v_lshrrev_b32_e32 v19, s21, v19
	v_mul_hi_u32 v20, s23, v19
	s_delay_alu instid0(VALU_DEP_1) | instskip(SKIP_1) | instid1(VALU_DEP_1)
	v_add_nc_u32_e32 v20, v19, v20
	v_mul_lo_u32 v21, v18, s16
	v_sub_nc_u32_e32 v17, v17, v21
	v_mul_lo_u32 v21, v19, s19
	s_delay_alu instid0(VALU_DEP_4) | instskip(NEXT) | instid1(VALU_DEP_3)
	v_lshrrev_b32_e32 v20, s8, v20
	v_mad_u32 v15, v17, s37, v15
	v_mad_u32 v14, v17, s36, v14
	s_delay_alu instid0(VALU_DEP_4) | instskip(NEXT) | instid1(VALU_DEP_4)
	v_sub_nc_u32_e32 v17, v18, v21
	v_mul_hi_u32 v22, s10, v20
	v_mul_lo_u32 v18, v20, s22
	s_delay_alu instid0(VALU_DEP_3) | instskip(SKIP_1) | instid1(VALU_DEP_4)
	v_mad_u32 v15, v17, s39, v15
	v_mad_u32 v14, v17, s38, v14
	v_add_nc_u32_e32 v21, v20, v22
	s_delay_alu instid0(VALU_DEP_1) | instskip(NEXT) | instid1(VALU_DEP_1)
	v_dual_sub_nc_u32 v18, v19, v18 :: v_dual_lshrrev_b32 v17, s11, v21
	v_mad_u32 v15, v18, s41, v15
	s_delay_alu instid0(VALU_DEP_4) | instskip(NEXT) | instid1(VALU_DEP_3)
	v_mad_u32 v14, v18, s40, v14
	v_mul_lo_u32 v19, v17, s9
	s_delay_alu instid0(VALU_DEP_1) | instskip(NEXT) | instid1(VALU_DEP_1)
	v_sub_nc_u32_e32 v18, v20, v19
	v_mad_u32 v15, v18, s43, v15
	s_delay_alu instid0(VALU_DEP_4)
	v_mad_u32 v14, v18, s42, v14
	s_cbranch_scc1 .LBB77_118
; %bb.119:
	s_and_b32 s4, s1, 3
	s_mov_b32 s1, 0
	s_cmp_eq_u32 s4, 0
	s_cbranch_scc0 .LBB77_123
	s_branch .LBB77_125
.LBB77_120:
	s_mov_b32 s6, -1
                                        ; implicit-def: $vgpr15
	s_branch .LBB77_125
.LBB77_121:
	v_dual_mov_b32 v15, 0 :: v_dual_mov_b32 v14, 0
	s_branch .LBB77_125
.LBB77_122:
	v_mov_b64_e32 v[14:15], 0
	v_mov_b32_e32 v17, v16
	s_mov_b32 s0, 0
	s_and_b32 s4, s1, 3
	s_mov_b32 s1, 0
	s_cmp_eq_u32 s4, 0
	s_cbranch_scc1 .LBB77_125
.LBB77_123:
	s_lshl_b32 s2, s0, 3
	s_mov_b32 s3, s1
	s_mul_u64 s[8:9], s[0:1], 12
	s_add_nc_u64 s[2:3], s[12:13], s[2:3]
	s_delay_alu instid0(SALU_CYCLE_1)
	s_add_nc_u64 s[0:1], s[2:3], 0xc4
	s_add_nc_u64 s[2:3], s[12:13], s[8:9]
.LBB77_124:                             ; =>This Inner Loop Header: Depth=1
	s_load_b96 s[8:10], s[2:3], 0x4
	s_add_co_i32 s4, s4, -1
	s_wait_xcnt 0x0
	s_add_nc_u64 s[2:3], s[2:3], 12
	s_cmp_lg_u32 s4, 0
	s_wait_kmcnt 0x0
	v_mul_hi_u32 v18, s9, v17
	s_delay_alu instid0(VALU_DEP_1) | instskip(NEXT) | instid1(VALU_DEP_1)
	v_add_nc_u32_e32 v18, v17, v18
	v_lshrrev_b32_e32 v18, s10, v18
	s_load_b64 s[10:11], s[0:1], 0x0
	s_wait_xcnt 0x0
	s_add_nc_u64 s[0:1], s[0:1], 8
	s_delay_alu instid0(VALU_DEP_1) | instskip(NEXT) | instid1(VALU_DEP_1)
	v_mul_lo_u32 v19, v18, s8
	v_sub_nc_u32_e32 v17, v17, v19
	s_wait_kmcnt 0x0
	s_delay_alu instid0(VALU_DEP_1)
	v_mad_u32 v15, v17, s11, v15
	v_mad_u32 v14, v17, s10, v14
	v_mov_b32_e32 v17, v18
	s_cbranch_scc1 .LBB77_124
.LBB77_125:
	s_and_not1_b32 vcc_lo, exec_lo, s6
	s_cbranch_vccnz .LBB77_128
; %bb.126:
	s_clause 0x1
	s_load_b96 s[0:2], s[12:13], 0x4
	s_load_b64 s[4:5], s[12:13], 0xc4
	s_cmp_lt_u32 s28, 2
	s_wait_kmcnt 0x0
	v_mul_hi_u32 v14, s1, v16
	s_delay_alu instid0(VALU_DEP_1) | instskip(NEXT) | instid1(VALU_DEP_1)
	v_add_nc_u32_e32 v14, v16, v14
	v_lshrrev_b32_e32 v17, s2, v14
	s_delay_alu instid0(VALU_DEP_1) | instskip(NEXT) | instid1(VALU_DEP_1)
	v_mul_lo_u32 v14, v17, s0
	v_sub_nc_u32_e32 v14, v16, v14
	s_delay_alu instid0(VALU_DEP_1)
	v_mul_lo_u32 v15, v14, s5
	v_mul_lo_u32 v14, v14, s4
	s_cbranch_scc1 .LBB77_128
; %bb.127:
	s_clause 0x1
	s_load_b96 s[0:2], s[12:13], 0x10
	s_load_b64 s[4:5], s[12:13], 0xcc
	s_wait_kmcnt 0x0
	v_mul_hi_u32 v16, s1, v17
	s_delay_alu instid0(VALU_DEP_1) | instskip(NEXT) | instid1(VALU_DEP_1)
	v_add_nc_u32_e32 v16, v17, v16
	v_lshrrev_b32_e32 v16, s2, v16
	s_delay_alu instid0(VALU_DEP_1) | instskip(NEXT) | instid1(VALU_DEP_1)
	v_mul_lo_u32 v16, v16, s0
	v_sub_nc_u32_e32 v16, v17, v16
	s_delay_alu instid0(VALU_DEP_1)
	v_mad_u32 v14, v16, s4, v14
	v_mad_u32 v15, v16, s5, v15
.LBB77_128:
	s_load_b128 s[0:3], s[12:13], 0x148
	s_wait_kmcnt 0x0
	s_clause 0x7
	global_load_b32 v16, v3, s[2:3]
	global_load_b32 v17, v5, s[2:3]
	global_load_b32 v18, v7, s[2:3]
	global_load_b32 v19, v9, s[2:3]
	global_load_b32 v20, v11, s[2:3]
	global_load_b32 v21, v13, s[2:3]
	global_load_b32 v22, v1, s[2:3]
	global_load_b32 v23, v15, s[2:3]
	s_wait_loadcnt 0x7
	v_cmp_eq_f32_e32 vcc_lo, 0xff800000, v16
	s_wait_xcnt 0x1
	v_cndmask_b32_e64 v1, 0, 1, vcc_lo
	s_wait_loadcnt 0x6
	v_cmp_eq_f32_e32 vcc_lo, 0xff800000, v17
	v_cndmask_b32_e64 v3, 0, 1, vcc_lo
	s_wait_loadcnt 0x5
	v_cmp_eq_f32_e32 vcc_lo, 0xff800000, v18
	;; [unrolled: 3-line block ×7, first 2 shown]
	s_wait_xcnt 0x0
	v_cndmask_b32_e64 v15, 0, 1, vcc_lo
	s_clause 0x7
	global_store_b8 v2, v1, s[0:1]
	global_store_b8 v4, v3, s[0:1]
	;; [unrolled: 1-line block ×8, first 2 shown]
	s_endpgm
.LBB77_129:
	v_dual_mov_b32 v3, 0 :: v_dual_mov_b32 v2, 0
	s_branch .LBB77_135
.LBB77_130:
	v_dual_mov_b32 v3, 0 :: v_dual_mov_b32 v2, 0
	s_branch .LBB77_151
.LBB77_131:
	v_mov_b64_e32 v[2:3], 0
	v_mov_b32_e32 v1, v0
	s_mov_b32 s22, 0
.LBB77_132:
	s_and_b32 s14, s14, 3
	s_mov_b32 s23, 0
	s_cmp_eq_u32 s14, 0
	s_cbranch_scc1 .LBB77_135
; %bb.133:
	s_lshl_b32 s24, s22, 3
	s_mov_b32 s25, s23
	s_mul_u64 s[26:27], s[22:23], 12
	s_add_nc_u64 s[24:25], s[12:13], s[24:25]
	s_delay_alu instid0(SALU_CYCLE_1)
	s_add_nc_u64 s[22:23], s[24:25], 0xc4
	s_add_nc_u64 s[24:25], s[12:13], s[26:27]
.LBB77_134:                             ; =>This Inner Loop Header: Depth=1
	s_load_b96 s[40:42], s[24:25], 0x4
	s_load_b64 s[26:27], s[22:23], 0x0
	s_add_co_i32 s14, s14, -1
	s_wait_xcnt 0x0
	s_add_nc_u64 s[24:25], s[24:25], 12
	s_cmp_lg_u32 s14, 0
	s_add_nc_u64 s[22:23], s[22:23], 8
	s_wait_kmcnt 0x0
	v_mul_hi_u32 v4, s41, v1
	s_delay_alu instid0(VALU_DEP_1) | instskip(NEXT) | instid1(VALU_DEP_1)
	v_add_nc_u32_e32 v4, v1, v4
	v_lshrrev_b32_e32 v4, s42, v4
	s_delay_alu instid0(VALU_DEP_1) | instskip(NEXT) | instid1(VALU_DEP_1)
	v_mul_lo_u32 v5, v4, s40
	v_sub_nc_u32_e32 v1, v1, v5
	s_delay_alu instid0(VALU_DEP_1)
	v_mad_u32 v3, v1, s27, v3
	v_mad_u32 v2, v1, s26, v2
	v_mov_b32_e32 v1, v4
	s_cbranch_scc1 .LBB77_134
.LBB77_135:
	s_cbranch_execnz .LBB77_138
.LBB77_136:
	v_mov_b32_e32 v1, 0
	s_and_not1_b32 vcc_lo, exec_lo, s33
	s_delay_alu instid0(VALU_DEP_1) | instskip(NEXT) | instid1(VALU_DEP_1)
	v_mul_u64_e32 v[2:3], s[16:17], v[0:1]
	v_add_nc_u32_e32 v2, v0, v3
	s_delay_alu instid0(VALU_DEP_1) | instskip(NEXT) | instid1(VALU_DEP_1)
	v_lshrrev_b32_e32 v4, s6, v2
	v_mul_lo_u32 v2, v4, s4
	s_delay_alu instid0(VALU_DEP_1) | instskip(NEXT) | instid1(VALU_DEP_1)
	v_sub_nc_u32_e32 v2, v0, v2
	v_mul_lo_u32 v3, v2, s9
	v_mul_lo_u32 v2, v2, s8
	s_cbranch_vccnz .LBB77_138
; %bb.137:
	v_mov_b32_e32 v5, v1
	s_delay_alu instid0(VALU_DEP_1) | instskip(NEXT) | instid1(VALU_DEP_1)
	v_mul_u64_e32 v[6:7], s[18:19], v[4:5]
	v_add_nc_u32_e32 v1, v4, v7
	s_delay_alu instid0(VALU_DEP_1) | instskip(NEXT) | instid1(VALU_DEP_1)
	v_lshrrev_b32_e32 v1, s15, v1
	v_mul_lo_u32 v1, v1, s7
	s_delay_alu instid0(VALU_DEP_1) | instskip(NEXT) | instid1(VALU_DEP_1)
	v_sub_nc_u32_e32 v1, v4, v1
	v_mad_u32 v2, v1, s10, v2
	v_mad_u32 v3, v1, s11, v3
.LBB77_138:
	global_load_b32 v1, v3, s[2:3]
	v_add_nc_u32_e32 v0, 0x80, v0
	s_wait_loadcnt 0x0
	v_cmp_eq_f32_e32 vcc_lo, 0xff800000, v1
	v_cndmask_b32_e64 v1, 0, 1, vcc_lo
	global_store_b8 v2, v1, s[0:1]
	s_wait_xcnt 0x0
	s_or_b32 exec_lo, exec_lo, s5
	s_delay_alu instid0(SALU_CYCLE_1)
	s_mov_b32 s5, exec_lo
	v_cmpx_gt_i32_e64 s34, v0
	s_cbranch_execnz .LBB77_15
.LBB77_139:
	s_or_b32 exec_lo, exec_lo, s5
	s_delay_alu instid0(SALU_CYCLE_1)
	s_mov_b32 s5, exec_lo
	v_cmpx_gt_i32_e64 s34, v0
	s_cbranch_execz .LBB77_155
.LBB77_140:
	s_and_not1_b32 vcc_lo, exec_lo, s30
	s_cbranch_vccnz .LBB77_145
; %bb.141:
	s_and_not1_b32 vcc_lo, exec_lo, s36
	s_cbranch_vccnz .LBB77_146
; %bb.142:
	s_add_co_i32 s14, s35, 1
	s_cmp_eq_u32 s29, 2
	s_cbranch_scc1 .LBB77_163
; %bb.143:
	v_dual_mov_b32 v2, 0 :: v_dual_mov_b32 v3, 0
	v_mov_b32_e32 v1, v0
	s_and_b32 s22, s14, 28
	s_mov_b32 s23, 0
	s_mov_b64 s[24:25], s[12:13]
	s_mov_b64 s[26:27], s[20:21]
.LBB77_144:                             ; =>This Inner Loop Header: Depth=1
	s_clause 0x1
	s_load_b256 s[40:47], s[24:25], 0x4
	s_load_b128 s[56:59], s[24:25], 0x24
	s_load_b256 s[48:55], s[26:27], 0x0
	s_add_co_i32 s23, s23, 4
	s_wait_xcnt 0x0
	s_add_nc_u64 s[24:25], s[24:25], 48
	s_cmp_eq_u32 s22, s23
	s_add_nc_u64 s[26:27], s[26:27], 32
	s_wait_kmcnt 0x0
	v_mul_hi_u32 v4, s41, v1
	s_delay_alu instid0(VALU_DEP_1) | instskip(NEXT) | instid1(VALU_DEP_1)
	v_add_nc_u32_e32 v4, v1, v4
	v_lshrrev_b32_e32 v4, s42, v4
	s_delay_alu instid0(VALU_DEP_1) | instskip(NEXT) | instid1(VALU_DEP_1)
	v_mul_hi_u32 v5, s44, v4
	v_add_nc_u32_e32 v5, v4, v5
	s_delay_alu instid0(VALU_DEP_1) | instskip(NEXT) | instid1(VALU_DEP_1)
	v_lshrrev_b32_e32 v5, s45, v5
	v_mul_hi_u32 v6, s47, v5
	s_delay_alu instid0(VALU_DEP_1) | instskip(SKIP_1) | instid1(VALU_DEP_1)
	v_add_nc_u32_e32 v6, v5, v6
	v_mul_lo_u32 v7, v4, s40
	v_sub_nc_u32_e32 v1, v1, v7
	v_mul_lo_u32 v7, v5, s43
	s_delay_alu instid0(VALU_DEP_4) | instskip(NEXT) | instid1(VALU_DEP_3)
	v_lshrrev_b32_e32 v6, s56, v6
	v_mad_u32 v3, v1, s49, v3
	v_mad_u32 v1, v1, s48, v2
	s_delay_alu instid0(VALU_DEP_4) | instskip(NEXT) | instid1(VALU_DEP_4)
	v_sub_nc_u32_e32 v2, v4, v7
	v_mul_hi_u32 v8, s58, v6
	v_mul_lo_u32 v4, v6, s46
	s_delay_alu instid0(VALU_DEP_3) | instskip(SKIP_1) | instid1(VALU_DEP_4)
	v_mad_u32 v3, v2, s51, v3
	v_mad_u32 v2, v2, s50, v1
	v_add_nc_u32_e32 v7, v6, v8
	s_delay_alu instid0(VALU_DEP_1) | instskip(NEXT) | instid1(VALU_DEP_1)
	v_dual_sub_nc_u32 v4, v5, v4 :: v_dual_lshrrev_b32 v1, s59, v7
	v_mad_u32 v3, v4, s53, v3
	s_delay_alu instid0(VALU_DEP_4) | instskip(NEXT) | instid1(VALU_DEP_3)
	v_mad_u32 v2, v4, s52, v2
	v_mul_lo_u32 v5, v1, s57
	s_delay_alu instid0(VALU_DEP_1) | instskip(NEXT) | instid1(VALU_DEP_1)
	v_sub_nc_u32_e32 v4, v6, v5
	v_mad_u32 v3, v4, s55, v3
	s_delay_alu instid0(VALU_DEP_4)
	v_mad_u32 v2, v4, s54, v2
	s_cbranch_scc0 .LBB77_144
	s_branch .LBB77_164
.LBB77_145:
                                        ; implicit-def: $vgpr3
	s_branch .LBB77_168
.LBB77_146:
	v_dual_mov_b32 v3, 0 :: v_dual_mov_b32 v2, 0
	s_branch .LBB77_167
.LBB77_147:
	v_mov_b64_e32 v[2:3], 0
	v_mov_b32_e32 v1, v0
	s_mov_b32 s22, 0
.LBB77_148:
	s_and_b32 s14, s14, 3
	s_mov_b32 s23, 0
	s_cmp_eq_u32 s14, 0
	s_cbranch_scc1 .LBB77_151
; %bb.149:
	s_lshl_b32 s24, s22, 3
	s_mov_b32 s25, s23
	s_mul_u64 s[26:27], s[22:23], 12
	s_add_nc_u64 s[24:25], s[12:13], s[24:25]
	s_delay_alu instid0(SALU_CYCLE_1)
	s_add_nc_u64 s[22:23], s[24:25], 0xc4
	s_add_nc_u64 s[24:25], s[12:13], s[26:27]
.LBB77_150:                             ; =>This Inner Loop Header: Depth=1
	s_load_b96 s[40:42], s[24:25], 0x4
	s_load_b64 s[26:27], s[22:23], 0x0
	s_add_co_i32 s14, s14, -1
	s_wait_xcnt 0x0
	s_add_nc_u64 s[24:25], s[24:25], 12
	s_cmp_lg_u32 s14, 0
	s_add_nc_u64 s[22:23], s[22:23], 8
	s_wait_kmcnt 0x0
	v_mul_hi_u32 v4, s41, v1
	s_delay_alu instid0(VALU_DEP_1) | instskip(NEXT) | instid1(VALU_DEP_1)
	v_add_nc_u32_e32 v4, v1, v4
	v_lshrrev_b32_e32 v4, s42, v4
	s_delay_alu instid0(VALU_DEP_1) | instskip(NEXT) | instid1(VALU_DEP_1)
	v_mul_lo_u32 v5, v4, s40
	v_sub_nc_u32_e32 v1, v1, v5
	s_delay_alu instid0(VALU_DEP_1)
	v_mad_u32 v3, v1, s27, v3
	v_mad_u32 v2, v1, s26, v2
	v_mov_b32_e32 v1, v4
	s_cbranch_scc1 .LBB77_150
.LBB77_151:
	s_cbranch_execnz .LBB77_154
.LBB77_152:
	v_mov_b32_e32 v1, 0
	s_and_not1_b32 vcc_lo, exec_lo, s33
	s_delay_alu instid0(VALU_DEP_1) | instskip(NEXT) | instid1(VALU_DEP_1)
	v_mul_u64_e32 v[2:3], s[16:17], v[0:1]
	v_add_nc_u32_e32 v2, v0, v3
	s_delay_alu instid0(VALU_DEP_1) | instskip(NEXT) | instid1(VALU_DEP_1)
	v_lshrrev_b32_e32 v4, s6, v2
	v_mul_lo_u32 v2, v4, s4
	s_delay_alu instid0(VALU_DEP_1) | instskip(NEXT) | instid1(VALU_DEP_1)
	v_sub_nc_u32_e32 v2, v0, v2
	v_mul_lo_u32 v3, v2, s9
	v_mul_lo_u32 v2, v2, s8
	s_cbranch_vccnz .LBB77_154
; %bb.153:
	v_mov_b32_e32 v5, v1
	s_delay_alu instid0(VALU_DEP_1) | instskip(NEXT) | instid1(VALU_DEP_1)
	v_mul_u64_e32 v[6:7], s[18:19], v[4:5]
	v_add_nc_u32_e32 v1, v4, v7
	s_delay_alu instid0(VALU_DEP_1) | instskip(NEXT) | instid1(VALU_DEP_1)
	v_lshrrev_b32_e32 v1, s15, v1
	v_mul_lo_u32 v1, v1, s7
	s_delay_alu instid0(VALU_DEP_1) | instskip(NEXT) | instid1(VALU_DEP_1)
	v_sub_nc_u32_e32 v1, v4, v1
	v_mad_u32 v2, v1, s10, v2
	v_mad_u32 v3, v1, s11, v3
.LBB77_154:
	global_load_b32 v1, v3, s[2:3]
	v_add_nc_u32_e32 v0, 0x80, v0
	s_wait_loadcnt 0x0
	v_cmp_eq_f32_e32 vcc_lo, 0xff800000, v1
	v_cndmask_b32_e64 v1, 0, 1, vcc_lo
	global_store_b8 v2, v1, s[0:1]
	s_wait_xcnt 0x0
	s_or_b32 exec_lo, exec_lo, s5
	s_delay_alu instid0(SALU_CYCLE_1)
	s_mov_b32 s5, exec_lo
	v_cmpx_gt_i32_e64 s34, v0
	s_cbranch_execnz .LBB77_140
.LBB77_155:
	s_or_b32 exec_lo, exec_lo, s5
	s_delay_alu instid0(SALU_CYCLE_1)
	s_mov_b32 s5, exec_lo
	v_cmpx_gt_i32_e64 s34, v0
	s_cbranch_execz .LBB77_171
.LBB77_156:
	s_and_not1_b32 vcc_lo, exec_lo, s30
	s_cbranch_vccnz .LBB77_161
; %bb.157:
	s_and_not1_b32 vcc_lo, exec_lo, s36
	s_cbranch_vccnz .LBB77_162
; %bb.158:
	s_add_co_i32 s14, s35, 1
	s_cmp_eq_u32 s29, 2
	s_cbranch_scc1 .LBB77_179
; %bb.159:
	v_dual_mov_b32 v2, 0 :: v_dual_mov_b32 v3, 0
	v_mov_b32_e32 v1, v0
	s_and_b32 s22, s14, 28
	s_mov_b32 s23, 0
	s_mov_b64 s[24:25], s[12:13]
	s_mov_b64 s[26:27], s[20:21]
.LBB77_160:                             ; =>This Inner Loop Header: Depth=1
	s_clause 0x1
	s_load_b256 s[40:47], s[24:25], 0x4
	s_load_b128 s[56:59], s[24:25], 0x24
	s_load_b256 s[48:55], s[26:27], 0x0
	s_add_co_i32 s23, s23, 4
	s_wait_xcnt 0x0
	s_add_nc_u64 s[24:25], s[24:25], 48
	s_cmp_eq_u32 s22, s23
	s_add_nc_u64 s[26:27], s[26:27], 32
	s_wait_kmcnt 0x0
	v_mul_hi_u32 v4, s41, v1
	s_delay_alu instid0(VALU_DEP_1) | instskip(NEXT) | instid1(VALU_DEP_1)
	v_add_nc_u32_e32 v4, v1, v4
	v_lshrrev_b32_e32 v4, s42, v4
	s_delay_alu instid0(VALU_DEP_1) | instskip(NEXT) | instid1(VALU_DEP_1)
	v_mul_hi_u32 v5, s44, v4
	v_add_nc_u32_e32 v5, v4, v5
	s_delay_alu instid0(VALU_DEP_1) | instskip(NEXT) | instid1(VALU_DEP_1)
	v_lshrrev_b32_e32 v5, s45, v5
	v_mul_hi_u32 v6, s47, v5
	s_delay_alu instid0(VALU_DEP_1) | instskip(SKIP_1) | instid1(VALU_DEP_1)
	v_add_nc_u32_e32 v6, v5, v6
	v_mul_lo_u32 v7, v4, s40
	v_sub_nc_u32_e32 v1, v1, v7
	v_mul_lo_u32 v7, v5, s43
	s_delay_alu instid0(VALU_DEP_4) | instskip(NEXT) | instid1(VALU_DEP_3)
	v_lshrrev_b32_e32 v6, s56, v6
	v_mad_u32 v3, v1, s49, v3
	v_mad_u32 v1, v1, s48, v2
	s_delay_alu instid0(VALU_DEP_4) | instskip(NEXT) | instid1(VALU_DEP_4)
	v_sub_nc_u32_e32 v2, v4, v7
	v_mul_hi_u32 v8, s58, v6
	v_mul_lo_u32 v4, v6, s46
	s_delay_alu instid0(VALU_DEP_3) | instskip(SKIP_1) | instid1(VALU_DEP_4)
	v_mad_u32 v3, v2, s51, v3
	v_mad_u32 v2, v2, s50, v1
	v_add_nc_u32_e32 v7, v6, v8
	s_delay_alu instid0(VALU_DEP_1) | instskip(NEXT) | instid1(VALU_DEP_1)
	v_dual_sub_nc_u32 v4, v5, v4 :: v_dual_lshrrev_b32 v1, s59, v7
	v_mad_u32 v3, v4, s53, v3
	s_delay_alu instid0(VALU_DEP_4) | instskip(NEXT) | instid1(VALU_DEP_3)
	v_mad_u32 v2, v4, s52, v2
	v_mul_lo_u32 v5, v1, s57
	s_delay_alu instid0(VALU_DEP_1) | instskip(NEXT) | instid1(VALU_DEP_1)
	v_sub_nc_u32_e32 v4, v6, v5
	v_mad_u32 v3, v4, s55, v3
	s_delay_alu instid0(VALU_DEP_4)
	v_mad_u32 v2, v4, s54, v2
	s_cbranch_scc0 .LBB77_160
	s_branch .LBB77_180
.LBB77_161:
                                        ; implicit-def: $vgpr3
	s_branch .LBB77_184
.LBB77_162:
	v_dual_mov_b32 v3, 0 :: v_dual_mov_b32 v2, 0
	s_branch .LBB77_183
.LBB77_163:
	v_mov_b64_e32 v[2:3], 0
	v_mov_b32_e32 v1, v0
	s_mov_b32 s22, 0
.LBB77_164:
	s_and_b32 s14, s14, 3
	s_mov_b32 s23, 0
	s_cmp_eq_u32 s14, 0
	s_cbranch_scc1 .LBB77_167
; %bb.165:
	s_lshl_b32 s24, s22, 3
	s_mov_b32 s25, s23
	s_mul_u64 s[26:27], s[22:23], 12
	s_add_nc_u64 s[24:25], s[12:13], s[24:25]
	s_delay_alu instid0(SALU_CYCLE_1)
	s_add_nc_u64 s[22:23], s[24:25], 0xc4
	s_add_nc_u64 s[24:25], s[12:13], s[26:27]
.LBB77_166:                             ; =>This Inner Loop Header: Depth=1
	s_load_b96 s[40:42], s[24:25], 0x4
	s_load_b64 s[26:27], s[22:23], 0x0
	s_add_co_i32 s14, s14, -1
	s_wait_xcnt 0x0
	s_add_nc_u64 s[24:25], s[24:25], 12
	s_cmp_lg_u32 s14, 0
	s_add_nc_u64 s[22:23], s[22:23], 8
	s_wait_kmcnt 0x0
	v_mul_hi_u32 v4, s41, v1
	s_delay_alu instid0(VALU_DEP_1) | instskip(NEXT) | instid1(VALU_DEP_1)
	v_add_nc_u32_e32 v4, v1, v4
	v_lshrrev_b32_e32 v4, s42, v4
	s_delay_alu instid0(VALU_DEP_1) | instskip(NEXT) | instid1(VALU_DEP_1)
	v_mul_lo_u32 v5, v4, s40
	v_sub_nc_u32_e32 v1, v1, v5
	s_delay_alu instid0(VALU_DEP_1)
	v_mad_u32 v3, v1, s27, v3
	v_mad_u32 v2, v1, s26, v2
	v_mov_b32_e32 v1, v4
	s_cbranch_scc1 .LBB77_166
.LBB77_167:
	s_cbranch_execnz .LBB77_170
.LBB77_168:
	v_mov_b32_e32 v1, 0
	s_and_not1_b32 vcc_lo, exec_lo, s33
	s_delay_alu instid0(VALU_DEP_1) | instskip(NEXT) | instid1(VALU_DEP_1)
	v_mul_u64_e32 v[2:3], s[16:17], v[0:1]
	v_add_nc_u32_e32 v2, v0, v3
	s_delay_alu instid0(VALU_DEP_1) | instskip(NEXT) | instid1(VALU_DEP_1)
	v_lshrrev_b32_e32 v4, s6, v2
	v_mul_lo_u32 v2, v4, s4
	s_delay_alu instid0(VALU_DEP_1) | instskip(NEXT) | instid1(VALU_DEP_1)
	v_sub_nc_u32_e32 v2, v0, v2
	v_mul_lo_u32 v3, v2, s9
	v_mul_lo_u32 v2, v2, s8
	s_cbranch_vccnz .LBB77_170
; %bb.169:
	v_mov_b32_e32 v5, v1
	s_delay_alu instid0(VALU_DEP_1) | instskip(NEXT) | instid1(VALU_DEP_1)
	v_mul_u64_e32 v[6:7], s[18:19], v[4:5]
	v_add_nc_u32_e32 v1, v4, v7
	s_delay_alu instid0(VALU_DEP_1) | instskip(NEXT) | instid1(VALU_DEP_1)
	v_lshrrev_b32_e32 v1, s15, v1
	v_mul_lo_u32 v1, v1, s7
	s_delay_alu instid0(VALU_DEP_1) | instskip(NEXT) | instid1(VALU_DEP_1)
	v_sub_nc_u32_e32 v1, v4, v1
	v_mad_u32 v2, v1, s10, v2
	v_mad_u32 v3, v1, s11, v3
.LBB77_170:
	global_load_b32 v1, v3, s[2:3]
	v_add_nc_u32_e32 v0, 0x80, v0
	s_wait_loadcnt 0x0
	v_cmp_eq_f32_e32 vcc_lo, 0xff800000, v1
	v_cndmask_b32_e64 v1, 0, 1, vcc_lo
	global_store_b8 v2, v1, s[0:1]
	s_wait_xcnt 0x0
	s_or_b32 exec_lo, exec_lo, s5
	s_delay_alu instid0(SALU_CYCLE_1)
	s_mov_b32 s5, exec_lo
	v_cmpx_gt_i32_e64 s34, v0
	s_cbranch_execnz .LBB77_156
.LBB77_171:
	s_or_b32 exec_lo, exec_lo, s5
	s_delay_alu instid0(SALU_CYCLE_1)
	s_mov_b32 s5, exec_lo
	v_cmpx_gt_i32_e64 s34, v0
	s_cbranch_execz .LBB77_187
.LBB77_172:
	s_and_not1_b32 vcc_lo, exec_lo, s30
	s_cbranch_vccnz .LBB77_177
; %bb.173:
	s_and_not1_b32 vcc_lo, exec_lo, s36
	s_cbranch_vccnz .LBB77_178
; %bb.174:
	s_add_co_i32 s14, s35, 1
	s_cmp_eq_u32 s29, 2
	s_cbranch_scc1 .LBB77_195
; %bb.175:
	v_dual_mov_b32 v2, 0 :: v_dual_mov_b32 v3, 0
	v_mov_b32_e32 v1, v0
	s_and_b32 s22, s14, 28
	s_mov_b32 s23, 0
	s_mov_b64 s[24:25], s[12:13]
	s_mov_b64 s[26:27], s[20:21]
.LBB77_176:                             ; =>This Inner Loop Header: Depth=1
	s_clause 0x1
	s_load_b256 s[40:47], s[24:25], 0x4
	s_load_b128 s[56:59], s[24:25], 0x24
	s_load_b256 s[48:55], s[26:27], 0x0
	s_add_co_i32 s23, s23, 4
	s_wait_xcnt 0x0
	s_add_nc_u64 s[24:25], s[24:25], 48
	s_cmp_eq_u32 s22, s23
	s_add_nc_u64 s[26:27], s[26:27], 32
	s_wait_kmcnt 0x0
	v_mul_hi_u32 v4, s41, v1
	s_delay_alu instid0(VALU_DEP_1) | instskip(NEXT) | instid1(VALU_DEP_1)
	v_add_nc_u32_e32 v4, v1, v4
	v_lshrrev_b32_e32 v4, s42, v4
	s_delay_alu instid0(VALU_DEP_1) | instskip(NEXT) | instid1(VALU_DEP_1)
	v_mul_hi_u32 v5, s44, v4
	v_add_nc_u32_e32 v5, v4, v5
	s_delay_alu instid0(VALU_DEP_1) | instskip(NEXT) | instid1(VALU_DEP_1)
	v_lshrrev_b32_e32 v5, s45, v5
	v_mul_hi_u32 v6, s47, v5
	s_delay_alu instid0(VALU_DEP_1) | instskip(SKIP_1) | instid1(VALU_DEP_1)
	v_add_nc_u32_e32 v6, v5, v6
	v_mul_lo_u32 v7, v4, s40
	v_sub_nc_u32_e32 v1, v1, v7
	v_mul_lo_u32 v7, v5, s43
	s_delay_alu instid0(VALU_DEP_4) | instskip(NEXT) | instid1(VALU_DEP_3)
	v_lshrrev_b32_e32 v6, s56, v6
	v_mad_u32 v3, v1, s49, v3
	v_mad_u32 v1, v1, s48, v2
	s_delay_alu instid0(VALU_DEP_4) | instskip(NEXT) | instid1(VALU_DEP_4)
	v_sub_nc_u32_e32 v2, v4, v7
	v_mul_hi_u32 v8, s58, v6
	v_mul_lo_u32 v4, v6, s46
	s_delay_alu instid0(VALU_DEP_3) | instskip(SKIP_1) | instid1(VALU_DEP_4)
	v_mad_u32 v3, v2, s51, v3
	v_mad_u32 v2, v2, s50, v1
	v_add_nc_u32_e32 v7, v6, v8
	s_delay_alu instid0(VALU_DEP_1) | instskip(NEXT) | instid1(VALU_DEP_1)
	v_dual_sub_nc_u32 v4, v5, v4 :: v_dual_lshrrev_b32 v1, s59, v7
	v_mad_u32 v3, v4, s53, v3
	s_delay_alu instid0(VALU_DEP_4) | instskip(NEXT) | instid1(VALU_DEP_3)
	v_mad_u32 v2, v4, s52, v2
	v_mul_lo_u32 v5, v1, s57
	s_delay_alu instid0(VALU_DEP_1) | instskip(NEXT) | instid1(VALU_DEP_1)
	v_sub_nc_u32_e32 v4, v6, v5
	v_mad_u32 v3, v4, s55, v3
	s_delay_alu instid0(VALU_DEP_4)
	v_mad_u32 v2, v4, s54, v2
	s_cbranch_scc0 .LBB77_176
	s_branch .LBB77_196
.LBB77_177:
                                        ; implicit-def: $vgpr3
	s_branch .LBB77_200
.LBB77_178:
	v_dual_mov_b32 v3, 0 :: v_dual_mov_b32 v2, 0
	s_branch .LBB77_199
.LBB77_179:
	v_mov_b64_e32 v[2:3], 0
	v_mov_b32_e32 v1, v0
	s_mov_b32 s22, 0
.LBB77_180:
	s_and_b32 s14, s14, 3
	s_mov_b32 s23, 0
	s_cmp_eq_u32 s14, 0
	s_cbranch_scc1 .LBB77_183
; %bb.181:
	s_lshl_b32 s24, s22, 3
	s_mov_b32 s25, s23
	s_mul_u64 s[26:27], s[22:23], 12
	s_add_nc_u64 s[24:25], s[12:13], s[24:25]
	s_delay_alu instid0(SALU_CYCLE_1)
	s_add_nc_u64 s[22:23], s[24:25], 0xc4
	s_add_nc_u64 s[24:25], s[12:13], s[26:27]
.LBB77_182:                             ; =>This Inner Loop Header: Depth=1
	s_load_b96 s[40:42], s[24:25], 0x4
	s_load_b64 s[26:27], s[22:23], 0x0
	s_add_co_i32 s14, s14, -1
	s_wait_xcnt 0x0
	s_add_nc_u64 s[24:25], s[24:25], 12
	s_cmp_lg_u32 s14, 0
	s_add_nc_u64 s[22:23], s[22:23], 8
	s_wait_kmcnt 0x0
	v_mul_hi_u32 v4, s41, v1
	s_delay_alu instid0(VALU_DEP_1) | instskip(NEXT) | instid1(VALU_DEP_1)
	v_add_nc_u32_e32 v4, v1, v4
	v_lshrrev_b32_e32 v4, s42, v4
	s_delay_alu instid0(VALU_DEP_1) | instskip(NEXT) | instid1(VALU_DEP_1)
	v_mul_lo_u32 v5, v4, s40
	v_sub_nc_u32_e32 v1, v1, v5
	s_delay_alu instid0(VALU_DEP_1)
	v_mad_u32 v3, v1, s27, v3
	v_mad_u32 v2, v1, s26, v2
	v_mov_b32_e32 v1, v4
	s_cbranch_scc1 .LBB77_182
.LBB77_183:
	s_cbranch_execnz .LBB77_186
.LBB77_184:
	v_mov_b32_e32 v1, 0
	s_and_not1_b32 vcc_lo, exec_lo, s33
	s_delay_alu instid0(VALU_DEP_1) | instskip(NEXT) | instid1(VALU_DEP_1)
	v_mul_u64_e32 v[2:3], s[16:17], v[0:1]
	v_add_nc_u32_e32 v2, v0, v3
	s_delay_alu instid0(VALU_DEP_1) | instskip(NEXT) | instid1(VALU_DEP_1)
	v_lshrrev_b32_e32 v4, s6, v2
	v_mul_lo_u32 v2, v4, s4
	s_delay_alu instid0(VALU_DEP_1) | instskip(NEXT) | instid1(VALU_DEP_1)
	v_sub_nc_u32_e32 v2, v0, v2
	v_mul_lo_u32 v3, v2, s9
	v_mul_lo_u32 v2, v2, s8
	s_cbranch_vccnz .LBB77_186
; %bb.185:
	v_mov_b32_e32 v5, v1
	s_delay_alu instid0(VALU_DEP_1) | instskip(NEXT) | instid1(VALU_DEP_1)
	v_mul_u64_e32 v[6:7], s[18:19], v[4:5]
	v_add_nc_u32_e32 v1, v4, v7
	s_delay_alu instid0(VALU_DEP_1) | instskip(NEXT) | instid1(VALU_DEP_1)
	v_lshrrev_b32_e32 v1, s15, v1
	v_mul_lo_u32 v1, v1, s7
	s_delay_alu instid0(VALU_DEP_1) | instskip(NEXT) | instid1(VALU_DEP_1)
	v_sub_nc_u32_e32 v1, v4, v1
	v_mad_u32 v2, v1, s10, v2
	v_mad_u32 v3, v1, s11, v3
.LBB77_186:
	global_load_b32 v1, v3, s[2:3]
	v_add_nc_u32_e32 v0, 0x80, v0
	s_wait_loadcnt 0x0
	v_cmp_eq_f32_e32 vcc_lo, 0xff800000, v1
	v_cndmask_b32_e64 v1, 0, 1, vcc_lo
	global_store_b8 v2, v1, s[0:1]
	s_wait_xcnt 0x0
	s_or_b32 exec_lo, exec_lo, s5
	s_delay_alu instid0(SALU_CYCLE_1)
	s_mov_b32 s5, exec_lo
	v_cmpx_gt_i32_e64 s34, v0
	s_cbranch_execnz .LBB77_172
.LBB77_187:
	s_or_b32 exec_lo, exec_lo, s5
	s_delay_alu instid0(SALU_CYCLE_1)
	s_mov_b32 s5, exec_lo
	v_cmpx_gt_i32_e64 s34, v0
	s_cbranch_execz .LBB77_203
.LBB77_188:
	s_and_not1_b32 vcc_lo, exec_lo, s30
	s_cbranch_vccnz .LBB77_193
; %bb.189:
	s_and_not1_b32 vcc_lo, exec_lo, s36
	s_cbranch_vccnz .LBB77_194
; %bb.190:
	s_add_co_i32 s14, s35, 1
	s_cmp_eq_u32 s29, 2
	s_cbranch_scc1 .LBB77_211
; %bb.191:
	v_dual_mov_b32 v2, 0 :: v_dual_mov_b32 v3, 0
	v_mov_b32_e32 v1, v0
	s_and_b32 s22, s14, 28
	s_mov_b32 s23, 0
	s_mov_b64 s[24:25], s[12:13]
	s_mov_b64 s[26:27], s[20:21]
.LBB77_192:                             ; =>This Inner Loop Header: Depth=1
	s_clause 0x1
	s_load_b256 s[40:47], s[24:25], 0x4
	s_load_b128 s[56:59], s[24:25], 0x24
	s_load_b256 s[48:55], s[26:27], 0x0
	s_add_co_i32 s23, s23, 4
	s_wait_xcnt 0x0
	s_add_nc_u64 s[24:25], s[24:25], 48
	s_cmp_eq_u32 s22, s23
	s_add_nc_u64 s[26:27], s[26:27], 32
	s_wait_kmcnt 0x0
	v_mul_hi_u32 v4, s41, v1
	s_delay_alu instid0(VALU_DEP_1) | instskip(NEXT) | instid1(VALU_DEP_1)
	v_add_nc_u32_e32 v4, v1, v4
	v_lshrrev_b32_e32 v4, s42, v4
	s_delay_alu instid0(VALU_DEP_1) | instskip(NEXT) | instid1(VALU_DEP_1)
	v_mul_hi_u32 v5, s44, v4
	v_add_nc_u32_e32 v5, v4, v5
	s_delay_alu instid0(VALU_DEP_1) | instskip(NEXT) | instid1(VALU_DEP_1)
	v_lshrrev_b32_e32 v5, s45, v5
	v_mul_hi_u32 v6, s47, v5
	s_delay_alu instid0(VALU_DEP_1) | instskip(SKIP_1) | instid1(VALU_DEP_1)
	v_add_nc_u32_e32 v6, v5, v6
	v_mul_lo_u32 v7, v4, s40
	v_sub_nc_u32_e32 v1, v1, v7
	v_mul_lo_u32 v7, v5, s43
	s_delay_alu instid0(VALU_DEP_4) | instskip(NEXT) | instid1(VALU_DEP_3)
	v_lshrrev_b32_e32 v6, s56, v6
	v_mad_u32 v3, v1, s49, v3
	v_mad_u32 v1, v1, s48, v2
	s_delay_alu instid0(VALU_DEP_4) | instskip(NEXT) | instid1(VALU_DEP_4)
	v_sub_nc_u32_e32 v2, v4, v7
	v_mul_hi_u32 v8, s58, v6
	v_mul_lo_u32 v4, v6, s46
	s_delay_alu instid0(VALU_DEP_3) | instskip(SKIP_1) | instid1(VALU_DEP_4)
	v_mad_u32 v3, v2, s51, v3
	v_mad_u32 v2, v2, s50, v1
	v_add_nc_u32_e32 v7, v6, v8
	s_delay_alu instid0(VALU_DEP_1) | instskip(NEXT) | instid1(VALU_DEP_1)
	v_dual_sub_nc_u32 v4, v5, v4 :: v_dual_lshrrev_b32 v1, s59, v7
	v_mad_u32 v3, v4, s53, v3
	s_delay_alu instid0(VALU_DEP_4) | instskip(NEXT) | instid1(VALU_DEP_3)
	v_mad_u32 v2, v4, s52, v2
	v_mul_lo_u32 v5, v1, s57
	s_delay_alu instid0(VALU_DEP_1) | instskip(NEXT) | instid1(VALU_DEP_1)
	v_sub_nc_u32_e32 v4, v6, v5
	v_mad_u32 v3, v4, s55, v3
	s_delay_alu instid0(VALU_DEP_4)
	v_mad_u32 v2, v4, s54, v2
	s_cbranch_scc0 .LBB77_192
	s_branch .LBB77_212
.LBB77_193:
                                        ; implicit-def: $vgpr3
	s_branch .LBB77_216
.LBB77_194:
	v_dual_mov_b32 v3, 0 :: v_dual_mov_b32 v2, 0
	s_branch .LBB77_215
.LBB77_195:
	v_mov_b64_e32 v[2:3], 0
	v_mov_b32_e32 v1, v0
	s_mov_b32 s22, 0
.LBB77_196:
	s_and_b32 s14, s14, 3
	s_mov_b32 s23, 0
	s_cmp_eq_u32 s14, 0
	s_cbranch_scc1 .LBB77_199
; %bb.197:
	s_lshl_b32 s24, s22, 3
	s_mov_b32 s25, s23
	s_mul_u64 s[26:27], s[22:23], 12
	s_add_nc_u64 s[24:25], s[12:13], s[24:25]
	s_delay_alu instid0(SALU_CYCLE_1)
	s_add_nc_u64 s[22:23], s[24:25], 0xc4
	s_add_nc_u64 s[24:25], s[12:13], s[26:27]
.LBB77_198:                             ; =>This Inner Loop Header: Depth=1
	s_load_b96 s[40:42], s[24:25], 0x4
	s_load_b64 s[26:27], s[22:23], 0x0
	s_add_co_i32 s14, s14, -1
	s_wait_xcnt 0x0
	s_add_nc_u64 s[24:25], s[24:25], 12
	s_cmp_lg_u32 s14, 0
	s_add_nc_u64 s[22:23], s[22:23], 8
	s_wait_kmcnt 0x0
	v_mul_hi_u32 v4, s41, v1
	s_delay_alu instid0(VALU_DEP_1) | instskip(NEXT) | instid1(VALU_DEP_1)
	v_add_nc_u32_e32 v4, v1, v4
	v_lshrrev_b32_e32 v4, s42, v4
	s_delay_alu instid0(VALU_DEP_1) | instskip(NEXT) | instid1(VALU_DEP_1)
	v_mul_lo_u32 v5, v4, s40
	v_sub_nc_u32_e32 v1, v1, v5
	s_delay_alu instid0(VALU_DEP_1)
	v_mad_u32 v3, v1, s27, v3
	v_mad_u32 v2, v1, s26, v2
	v_mov_b32_e32 v1, v4
	s_cbranch_scc1 .LBB77_198
.LBB77_199:
	s_cbranch_execnz .LBB77_202
.LBB77_200:
	v_mov_b32_e32 v1, 0
	s_and_not1_b32 vcc_lo, exec_lo, s33
	s_delay_alu instid0(VALU_DEP_1) | instskip(NEXT) | instid1(VALU_DEP_1)
	v_mul_u64_e32 v[2:3], s[16:17], v[0:1]
	v_add_nc_u32_e32 v2, v0, v3
	s_delay_alu instid0(VALU_DEP_1) | instskip(NEXT) | instid1(VALU_DEP_1)
	v_lshrrev_b32_e32 v4, s6, v2
	v_mul_lo_u32 v2, v4, s4
	s_delay_alu instid0(VALU_DEP_1) | instskip(NEXT) | instid1(VALU_DEP_1)
	v_sub_nc_u32_e32 v2, v0, v2
	v_mul_lo_u32 v3, v2, s9
	v_mul_lo_u32 v2, v2, s8
	s_cbranch_vccnz .LBB77_202
; %bb.201:
	v_mov_b32_e32 v5, v1
	s_delay_alu instid0(VALU_DEP_1) | instskip(NEXT) | instid1(VALU_DEP_1)
	v_mul_u64_e32 v[6:7], s[18:19], v[4:5]
	v_add_nc_u32_e32 v1, v4, v7
	s_delay_alu instid0(VALU_DEP_1) | instskip(NEXT) | instid1(VALU_DEP_1)
	v_lshrrev_b32_e32 v1, s15, v1
	v_mul_lo_u32 v1, v1, s7
	s_delay_alu instid0(VALU_DEP_1) | instskip(NEXT) | instid1(VALU_DEP_1)
	v_sub_nc_u32_e32 v1, v4, v1
	v_mad_u32 v2, v1, s10, v2
	v_mad_u32 v3, v1, s11, v3
.LBB77_202:
	global_load_b32 v1, v3, s[2:3]
	v_add_nc_u32_e32 v0, 0x80, v0
	s_wait_loadcnt 0x0
	v_cmp_eq_f32_e32 vcc_lo, 0xff800000, v1
	v_cndmask_b32_e64 v1, 0, 1, vcc_lo
	global_store_b8 v2, v1, s[0:1]
	s_wait_xcnt 0x0
	s_or_b32 exec_lo, exec_lo, s5
	s_delay_alu instid0(SALU_CYCLE_1)
	s_mov_b32 s5, exec_lo
	v_cmpx_gt_i32_e64 s34, v0
	s_cbranch_execnz .LBB77_188
.LBB77_203:
	s_or_b32 exec_lo, exec_lo, s5
	s_delay_alu instid0(SALU_CYCLE_1)
	s_mov_b32 s5, exec_lo
	v_cmpx_gt_i32_e64 s34, v0
	s_cbranch_execz .LBB77_219
.LBB77_204:
	s_and_not1_b32 vcc_lo, exec_lo, s30
	s_cbranch_vccnz .LBB77_209
; %bb.205:
	s_and_not1_b32 vcc_lo, exec_lo, s36
	s_cbranch_vccnz .LBB77_210
; %bb.206:
	s_add_co_i32 s14, s35, 1
	s_cmp_eq_u32 s29, 2
	s_cbranch_scc1 .LBB77_222
; %bb.207:
	v_dual_mov_b32 v2, 0 :: v_dual_mov_b32 v3, 0
	v_mov_b32_e32 v1, v0
	s_and_b32 s22, s14, 28
	s_mov_b32 s23, 0
	s_mov_b64 s[24:25], s[12:13]
	s_mov_b64 s[26:27], s[20:21]
.LBB77_208:                             ; =>This Inner Loop Header: Depth=1
	s_clause 0x1
	s_load_b256 s[40:47], s[24:25], 0x4
	s_load_b128 s[56:59], s[24:25], 0x24
	s_load_b256 s[48:55], s[26:27], 0x0
	s_add_co_i32 s23, s23, 4
	s_wait_xcnt 0x0
	s_add_nc_u64 s[24:25], s[24:25], 48
	s_cmp_eq_u32 s22, s23
	s_add_nc_u64 s[26:27], s[26:27], 32
	s_wait_kmcnt 0x0
	v_mul_hi_u32 v4, s41, v1
	s_delay_alu instid0(VALU_DEP_1) | instskip(NEXT) | instid1(VALU_DEP_1)
	v_add_nc_u32_e32 v4, v1, v4
	v_lshrrev_b32_e32 v4, s42, v4
	s_delay_alu instid0(VALU_DEP_1) | instskip(NEXT) | instid1(VALU_DEP_1)
	v_mul_hi_u32 v5, s44, v4
	v_add_nc_u32_e32 v5, v4, v5
	s_delay_alu instid0(VALU_DEP_1) | instskip(NEXT) | instid1(VALU_DEP_1)
	v_lshrrev_b32_e32 v5, s45, v5
	v_mul_hi_u32 v6, s47, v5
	s_delay_alu instid0(VALU_DEP_1) | instskip(SKIP_1) | instid1(VALU_DEP_1)
	v_add_nc_u32_e32 v6, v5, v6
	v_mul_lo_u32 v7, v4, s40
	v_sub_nc_u32_e32 v1, v1, v7
	v_mul_lo_u32 v7, v5, s43
	s_delay_alu instid0(VALU_DEP_4) | instskip(NEXT) | instid1(VALU_DEP_3)
	v_lshrrev_b32_e32 v6, s56, v6
	v_mad_u32 v3, v1, s49, v3
	v_mad_u32 v1, v1, s48, v2
	s_delay_alu instid0(VALU_DEP_4) | instskip(NEXT) | instid1(VALU_DEP_4)
	v_sub_nc_u32_e32 v2, v4, v7
	v_mul_hi_u32 v8, s58, v6
	v_mul_lo_u32 v4, v6, s46
	s_delay_alu instid0(VALU_DEP_3) | instskip(SKIP_1) | instid1(VALU_DEP_4)
	v_mad_u32 v3, v2, s51, v3
	v_mad_u32 v2, v2, s50, v1
	v_add_nc_u32_e32 v7, v6, v8
	s_delay_alu instid0(VALU_DEP_1) | instskip(NEXT) | instid1(VALU_DEP_1)
	v_dual_sub_nc_u32 v4, v5, v4 :: v_dual_lshrrev_b32 v1, s59, v7
	v_mad_u32 v3, v4, s53, v3
	s_delay_alu instid0(VALU_DEP_4) | instskip(NEXT) | instid1(VALU_DEP_3)
	v_mad_u32 v2, v4, s52, v2
	v_mul_lo_u32 v5, v1, s57
	s_delay_alu instid0(VALU_DEP_1) | instskip(NEXT) | instid1(VALU_DEP_1)
	v_sub_nc_u32_e32 v4, v6, v5
	v_mad_u32 v3, v4, s55, v3
	s_delay_alu instid0(VALU_DEP_4)
	v_mad_u32 v2, v4, s54, v2
	s_cbranch_scc0 .LBB77_208
	s_branch .LBB77_223
.LBB77_209:
                                        ; implicit-def: $vgpr3
	s_branch .LBB77_227
.LBB77_210:
	v_dual_mov_b32 v3, 0 :: v_dual_mov_b32 v2, 0
	s_branch .LBB77_226
.LBB77_211:
	v_mov_b64_e32 v[2:3], 0
	v_mov_b32_e32 v1, v0
	s_mov_b32 s22, 0
.LBB77_212:
	s_and_b32 s14, s14, 3
	s_mov_b32 s23, 0
	s_cmp_eq_u32 s14, 0
	s_cbranch_scc1 .LBB77_215
; %bb.213:
	s_lshl_b32 s24, s22, 3
	s_mov_b32 s25, s23
	s_mul_u64 s[26:27], s[22:23], 12
	s_add_nc_u64 s[24:25], s[12:13], s[24:25]
	s_delay_alu instid0(SALU_CYCLE_1)
	s_add_nc_u64 s[22:23], s[24:25], 0xc4
	s_add_nc_u64 s[24:25], s[12:13], s[26:27]
.LBB77_214:                             ; =>This Inner Loop Header: Depth=1
	s_load_b96 s[40:42], s[24:25], 0x4
	s_load_b64 s[26:27], s[22:23], 0x0
	s_add_co_i32 s14, s14, -1
	s_wait_xcnt 0x0
	s_add_nc_u64 s[24:25], s[24:25], 12
	s_cmp_lg_u32 s14, 0
	s_add_nc_u64 s[22:23], s[22:23], 8
	s_wait_kmcnt 0x0
	v_mul_hi_u32 v4, s41, v1
	s_delay_alu instid0(VALU_DEP_1) | instskip(NEXT) | instid1(VALU_DEP_1)
	v_add_nc_u32_e32 v4, v1, v4
	v_lshrrev_b32_e32 v4, s42, v4
	s_delay_alu instid0(VALU_DEP_1) | instskip(NEXT) | instid1(VALU_DEP_1)
	v_mul_lo_u32 v5, v4, s40
	v_sub_nc_u32_e32 v1, v1, v5
	s_delay_alu instid0(VALU_DEP_1)
	v_mad_u32 v3, v1, s27, v3
	v_mad_u32 v2, v1, s26, v2
	v_mov_b32_e32 v1, v4
	s_cbranch_scc1 .LBB77_214
.LBB77_215:
	s_cbranch_execnz .LBB77_218
.LBB77_216:
	v_mov_b32_e32 v1, 0
	s_and_not1_b32 vcc_lo, exec_lo, s33
	s_delay_alu instid0(VALU_DEP_1) | instskip(NEXT) | instid1(VALU_DEP_1)
	v_mul_u64_e32 v[2:3], s[16:17], v[0:1]
	v_add_nc_u32_e32 v2, v0, v3
	s_delay_alu instid0(VALU_DEP_1) | instskip(NEXT) | instid1(VALU_DEP_1)
	v_lshrrev_b32_e32 v4, s6, v2
	v_mul_lo_u32 v2, v4, s4
	s_delay_alu instid0(VALU_DEP_1) | instskip(NEXT) | instid1(VALU_DEP_1)
	v_sub_nc_u32_e32 v2, v0, v2
	v_mul_lo_u32 v3, v2, s9
	v_mul_lo_u32 v2, v2, s8
	s_cbranch_vccnz .LBB77_218
; %bb.217:
	v_mov_b32_e32 v5, v1
	s_delay_alu instid0(VALU_DEP_1) | instskip(NEXT) | instid1(VALU_DEP_1)
	v_mul_u64_e32 v[6:7], s[18:19], v[4:5]
	v_add_nc_u32_e32 v1, v4, v7
	s_delay_alu instid0(VALU_DEP_1) | instskip(NEXT) | instid1(VALU_DEP_1)
	v_lshrrev_b32_e32 v1, s15, v1
	v_mul_lo_u32 v1, v1, s7
	s_delay_alu instid0(VALU_DEP_1) | instskip(NEXT) | instid1(VALU_DEP_1)
	v_sub_nc_u32_e32 v1, v4, v1
	v_mad_u32 v2, v1, s10, v2
	v_mad_u32 v3, v1, s11, v3
.LBB77_218:
	global_load_b32 v1, v3, s[2:3]
	v_add_nc_u32_e32 v0, 0x80, v0
	s_wait_loadcnt 0x0
	v_cmp_eq_f32_e32 vcc_lo, 0xff800000, v1
	v_cndmask_b32_e64 v1, 0, 1, vcc_lo
	global_store_b8 v2, v1, s[0:1]
	s_wait_xcnt 0x0
	s_or_b32 exec_lo, exec_lo, s5
	s_delay_alu instid0(SALU_CYCLE_1)
	s_mov_b32 s5, exec_lo
	v_cmpx_gt_i32_e64 s34, v0
	s_cbranch_execnz .LBB77_204
.LBB77_219:
	s_or_b32 exec_lo, exec_lo, s5
	s_delay_alu instid0(SALU_CYCLE_1)
	s_mov_b32 s5, exec_lo
	v_cmpx_gt_i32_e64 s34, v0
	s_cbranch_execnz .LBB77_230
.LBB77_220:
	s_or_b32 exec_lo, exec_lo, s5
                                        ; implicit-def: $vgpr16
                                        ; implicit-def: $vgpr0
	s_and_not1_saveexec_b32 s0, s31
	s_cbranch_execnz .LBB77_8
.LBB77_221:
	s_endpgm
.LBB77_222:
	v_mov_b64_e32 v[2:3], 0
	v_mov_b32_e32 v1, v0
	s_mov_b32 s22, 0
.LBB77_223:
	s_and_b32 s14, s14, 3
	s_mov_b32 s23, 0
	s_cmp_eq_u32 s14, 0
	s_cbranch_scc1 .LBB77_226
; %bb.224:
	s_lshl_b32 s24, s22, 3
	s_mov_b32 s25, s23
	s_mul_u64 s[26:27], s[22:23], 12
	s_add_nc_u64 s[24:25], s[12:13], s[24:25]
	s_delay_alu instid0(SALU_CYCLE_1)
	s_add_nc_u64 s[22:23], s[24:25], 0xc4
	s_add_nc_u64 s[24:25], s[12:13], s[26:27]
.LBB77_225:                             ; =>This Inner Loop Header: Depth=1
	s_load_b96 s[40:42], s[24:25], 0x4
	s_load_b64 s[26:27], s[22:23], 0x0
	s_add_co_i32 s14, s14, -1
	s_wait_xcnt 0x0
	s_add_nc_u64 s[24:25], s[24:25], 12
	s_cmp_lg_u32 s14, 0
	s_add_nc_u64 s[22:23], s[22:23], 8
	s_wait_kmcnt 0x0
	v_mul_hi_u32 v4, s41, v1
	s_delay_alu instid0(VALU_DEP_1) | instskip(NEXT) | instid1(VALU_DEP_1)
	v_add_nc_u32_e32 v4, v1, v4
	v_lshrrev_b32_e32 v4, s42, v4
	s_delay_alu instid0(VALU_DEP_1) | instskip(NEXT) | instid1(VALU_DEP_1)
	v_mul_lo_u32 v5, v4, s40
	v_sub_nc_u32_e32 v1, v1, v5
	s_delay_alu instid0(VALU_DEP_1)
	v_mad_u32 v3, v1, s27, v3
	v_mad_u32 v2, v1, s26, v2
	v_mov_b32_e32 v1, v4
	s_cbranch_scc1 .LBB77_225
.LBB77_226:
	s_cbranch_execnz .LBB77_229
.LBB77_227:
	v_mov_b32_e32 v1, 0
	s_and_not1_b32 vcc_lo, exec_lo, s33
	s_delay_alu instid0(VALU_DEP_1) | instskip(NEXT) | instid1(VALU_DEP_1)
	v_mul_u64_e32 v[2:3], s[16:17], v[0:1]
	v_add_nc_u32_e32 v2, v0, v3
	s_delay_alu instid0(VALU_DEP_1) | instskip(NEXT) | instid1(VALU_DEP_1)
	v_lshrrev_b32_e32 v4, s6, v2
	v_mul_lo_u32 v2, v4, s4
	s_delay_alu instid0(VALU_DEP_1) | instskip(NEXT) | instid1(VALU_DEP_1)
	v_sub_nc_u32_e32 v2, v0, v2
	v_mul_lo_u32 v3, v2, s9
	v_mul_lo_u32 v2, v2, s8
	s_cbranch_vccnz .LBB77_229
; %bb.228:
	v_mov_b32_e32 v5, v1
	s_delay_alu instid0(VALU_DEP_1) | instskip(NEXT) | instid1(VALU_DEP_1)
	v_mul_u64_e32 v[6:7], s[18:19], v[4:5]
	v_add_nc_u32_e32 v1, v4, v7
	s_delay_alu instid0(VALU_DEP_1) | instskip(NEXT) | instid1(VALU_DEP_1)
	v_lshrrev_b32_e32 v1, s15, v1
	v_mul_lo_u32 v1, v1, s7
	s_delay_alu instid0(VALU_DEP_1) | instskip(NEXT) | instid1(VALU_DEP_1)
	v_sub_nc_u32_e32 v1, v4, v1
	v_mad_u32 v2, v1, s10, v2
	v_mad_u32 v3, v1, s11, v3
.LBB77_229:
	global_load_b32 v1, v3, s[2:3]
	v_add_nc_u32_e32 v0, 0x80, v0
	s_wait_loadcnt 0x0
	v_cmp_eq_f32_e32 vcc_lo, 0xff800000, v1
	v_cndmask_b32_e64 v1, 0, 1, vcc_lo
	global_store_b8 v2, v1, s[0:1]
	s_wait_xcnt 0x0
	s_or_b32 exec_lo, exec_lo, s5
	s_delay_alu instid0(SALU_CYCLE_1)
	s_mov_b32 s5, exec_lo
	v_cmpx_gt_i32_e64 s34, v0
	s_cbranch_execz .LBB77_220
.LBB77_230:
	s_and_not1_b32 vcc_lo, exec_lo, s30
	s_cbranch_vccnz .LBB77_235
; %bb.231:
	s_and_not1_b32 vcc_lo, exec_lo, s36
	s_cbranch_vccnz .LBB77_236
; %bb.232:
	s_add_co_i32 s35, s35, 1
	s_cmp_eq_u32 s29, 2
	s_cbranch_scc1 .LBB77_237
; %bb.233:
	v_dual_mov_b32 v2, 0 :: v_dual_mov_b32 v3, 0
	v_mov_b32_e32 v1, v0
	s_and_b32 s22, s35, 28
	s_mov_b32 s14, 0
	s_mov_b64 s[24:25], s[12:13]
.LBB77_234:                             ; =>This Inner Loop Header: Depth=1
	s_clause 0x1
	s_load_b256 s[36:43], s[24:25], 0x4
	s_load_b128 s[52:55], s[24:25], 0x24
	s_load_b256 s[44:51], s[20:21], 0x0
	s_add_co_i32 s14, s14, 4
	s_wait_xcnt 0x0
	s_add_nc_u64 s[24:25], s[24:25], 48
	s_cmp_eq_u32 s22, s14
	s_add_nc_u64 s[20:21], s[20:21], 32
	s_wait_kmcnt 0x0
	v_mul_hi_u32 v4, s37, v1
	s_delay_alu instid0(VALU_DEP_1) | instskip(NEXT) | instid1(VALU_DEP_1)
	v_add_nc_u32_e32 v4, v1, v4
	v_lshrrev_b32_e32 v4, s38, v4
	s_delay_alu instid0(VALU_DEP_1) | instskip(NEXT) | instid1(VALU_DEP_1)
	v_mul_hi_u32 v5, s40, v4
	v_add_nc_u32_e32 v5, v4, v5
	s_delay_alu instid0(VALU_DEP_1) | instskip(NEXT) | instid1(VALU_DEP_1)
	v_lshrrev_b32_e32 v5, s41, v5
	v_mul_hi_u32 v6, s43, v5
	s_delay_alu instid0(VALU_DEP_1) | instskip(SKIP_1) | instid1(VALU_DEP_1)
	v_add_nc_u32_e32 v6, v5, v6
	v_mul_lo_u32 v7, v4, s36
	v_sub_nc_u32_e32 v1, v1, v7
	v_mul_lo_u32 v7, v5, s39
	s_delay_alu instid0(VALU_DEP_4) | instskip(NEXT) | instid1(VALU_DEP_3)
	v_lshrrev_b32_e32 v6, s52, v6
	v_mad_u32 v3, v1, s45, v3
	v_mad_u32 v1, v1, s44, v2
	s_delay_alu instid0(VALU_DEP_4) | instskip(NEXT) | instid1(VALU_DEP_4)
	v_sub_nc_u32_e32 v2, v4, v7
	v_mul_hi_u32 v8, s54, v6
	v_mul_lo_u32 v4, v6, s42
	s_delay_alu instid0(VALU_DEP_3) | instskip(SKIP_1) | instid1(VALU_DEP_4)
	v_mad_u32 v3, v2, s47, v3
	v_mad_u32 v2, v2, s46, v1
	v_add_nc_u32_e32 v7, v6, v8
	s_delay_alu instid0(VALU_DEP_1) | instskip(NEXT) | instid1(VALU_DEP_1)
	v_dual_sub_nc_u32 v4, v5, v4 :: v_dual_lshrrev_b32 v1, s55, v7
	v_mad_u32 v3, v4, s49, v3
	s_delay_alu instid0(VALU_DEP_4) | instskip(NEXT) | instid1(VALU_DEP_3)
	v_mad_u32 v2, v4, s48, v2
	v_mul_lo_u32 v5, v1, s53
	s_delay_alu instid0(VALU_DEP_1) | instskip(NEXT) | instid1(VALU_DEP_1)
	v_sub_nc_u32_e32 v4, v6, v5
	v_mad_u32 v3, v4, s51, v3
	s_delay_alu instid0(VALU_DEP_4)
	v_mad_u32 v2, v4, s50, v2
	s_cbranch_scc0 .LBB77_234
	s_branch .LBB77_238
.LBB77_235:
                                        ; implicit-def: $vgpr3
	s_branch .LBB77_242
.LBB77_236:
	v_dual_mov_b32 v3, 0 :: v_dual_mov_b32 v2, 0
	s_branch .LBB77_241
.LBB77_237:
	v_mov_b64_e32 v[2:3], 0
	v_mov_b32_e32 v1, v0
	s_mov_b32 s22, 0
.LBB77_238:
	s_and_b32 s14, s35, 3
	s_mov_b32 s23, 0
	s_cmp_eq_u32 s14, 0
	s_cbranch_scc1 .LBB77_241
; %bb.239:
	s_lshl_b32 s20, s22, 3
	s_mov_b32 s21, s23
	s_mul_u64 s[22:23], s[22:23], 12
	s_add_nc_u64 s[20:21], s[12:13], s[20:21]
	s_add_nc_u64 s[22:23], s[12:13], s[22:23]
	;; [unrolled: 1-line block ×3, first 2 shown]
.LBB77_240:                             ; =>This Inner Loop Header: Depth=1
	s_load_b96 s[24:26], s[22:23], 0x4
	s_add_co_i32 s14, s14, -1
	s_wait_xcnt 0x0
	s_add_nc_u64 s[22:23], s[22:23], 12
	s_cmp_lg_u32 s14, 0
	s_wait_kmcnt 0x0
	v_mul_hi_u32 v4, s25, v1
	s_delay_alu instid0(VALU_DEP_1) | instskip(NEXT) | instid1(VALU_DEP_1)
	v_add_nc_u32_e32 v4, v1, v4
	v_lshrrev_b32_e32 v4, s26, v4
	s_load_b64 s[26:27], s[20:21], 0x0
	s_wait_xcnt 0x0
	s_add_nc_u64 s[20:21], s[20:21], 8
	s_delay_alu instid0(VALU_DEP_1) | instskip(NEXT) | instid1(VALU_DEP_1)
	v_mul_lo_u32 v5, v4, s24
	v_sub_nc_u32_e32 v1, v1, v5
	s_wait_kmcnt 0x0
	s_delay_alu instid0(VALU_DEP_1)
	v_mad_u32 v3, v1, s27, v3
	v_mad_u32 v2, v1, s26, v2
	v_mov_b32_e32 v1, v4
	s_cbranch_scc1 .LBB77_240
.LBB77_241:
	s_cbranch_execnz .LBB77_244
.LBB77_242:
	v_mov_b32_e32 v1, 0
	s_and_not1_b32 vcc_lo, exec_lo, s33
	s_delay_alu instid0(VALU_DEP_1) | instskip(NEXT) | instid1(VALU_DEP_1)
	v_mul_u64_e32 v[2:3], s[16:17], v[0:1]
	v_add_nc_u32_e32 v2, v0, v3
	s_delay_alu instid0(VALU_DEP_1) | instskip(NEXT) | instid1(VALU_DEP_1)
	v_lshrrev_b32_e32 v4, s6, v2
	v_mul_lo_u32 v2, v4, s4
	s_delay_alu instid0(VALU_DEP_1) | instskip(NEXT) | instid1(VALU_DEP_1)
	v_sub_nc_u32_e32 v0, v0, v2
	v_mul_lo_u32 v3, v0, s9
	v_mul_lo_u32 v2, v0, s8
	s_cbranch_vccnz .LBB77_244
; %bb.243:
	v_mov_b32_e32 v5, v1
	s_delay_alu instid0(VALU_DEP_1) | instskip(NEXT) | instid1(VALU_DEP_1)
	v_mul_u64_e32 v[0:1], s[18:19], v[4:5]
	v_add_nc_u32_e32 v0, v4, v1
	s_delay_alu instid0(VALU_DEP_1) | instskip(NEXT) | instid1(VALU_DEP_1)
	v_lshrrev_b32_e32 v0, s15, v0
	v_mul_lo_u32 v0, v0, s7
	s_delay_alu instid0(VALU_DEP_1) | instskip(NEXT) | instid1(VALU_DEP_1)
	v_sub_nc_u32_e32 v0, v4, v0
	v_mad_u32 v2, v0, s10, v2
	v_mad_u32 v3, v0, s11, v3
.LBB77_244:
	global_load_b32 v0, v3, s[2:3]
	s_wait_loadcnt 0x0
	v_cmp_eq_f32_e32 vcc_lo, 0xff800000, v0
	v_cndmask_b32_e64 v0, 0, 1, vcc_lo
	global_store_b8 v2, v0, s[0:1]
	s_wait_xcnt 0x0
	s_or_b32 exec_lo, exec_lo, s5
                                        ; implicit-def: $vgpr16
                                        ; implicit-def: $vgpr0
	s_and_not1_saveexec_b32 s0, s31
	s_cbranch_execz .LBB77_221
	s_branch .LBB77_8
	.section	.rodata,"a",@progbits
	.p2align	6, 0x0
	.amdhsa_kernel _ZN2at6native32elementwise_kernel_manual_unrollILi128ELi8EZNS0_22gpu_kernel_impl_nocastIZZZNS0_12_GLOBAL__N_120isneginf_kernel_implERNS_18TensorIteratorBaseEENKUlvE_clEvENKUlvE0_clEvEUlfE_EEvS5_RKT_EUlibE_EEviT1_
		.amdhsa_group_segment_fixed_size 0
		.amdhsa_private_segment_fixed_size 0
		.amdhsa_kernarg_size 360
		.amdhsa_user_sgpr_count 2
		.amdhsa_user_sgpr_dispatch_ptr 0
		.amdhsa_user_sgpr_queue_ptr 0
		.amdhsa_user_sgpr_kernarg_segment_ptr 1
		.amdhsa_user_sgpr_dispatch_id 0
		.amdhsa_user_sgpr_kernarg_preload_length 0
		.amdhsa_user_sgpr_kernarg_preload_offset 0
		.amdhsa_user_sgpr_private_segment_size 0
		.amdhsa_wavefront_size32 1
		.amdhsa_uses_dynamic_stack 0
		.amdhsa_enable_private_segment 0
		.amdhsa_system_sgpr_workgroup_id_x 1
		.amdhsa_system_sgpr_workgroup_id_y 0
		.amdhsa_system_sgpr_workgroup_id_z 0
		.amdhsa_system_sgpr_workgroup_info 0
		.amdhsa_system_vgpr_workitem_id 0
		.amdhsa_next_free_vgpr 24
		.amdhsa_next_free_sgpr 60
		.amdhsa_named_barrier_count 0
		.amdhsa_reserve_vcc 1
		.amdhsa_float_round_mode_32 0
		.amdhsa_float_round_mode_16_64 0
		.amdhsa_float_denorm_mode_32 3
		.amdhsa_float_denorm_mode_16_64 3
		.amdhsa_fp16_overflow 0
		.amdhsa_memory_ordered 1
		.amdhsa_forward_progress 1
		.amdhsa_inst_pref_size 99
		.amdhsa_round_robin_scheduling 0
		.amdhsa_exception_fp_ieee_invalid_op 0
		.amdhsa_exception_fp_denorm_src 0
		.amdhsa_exception_fp_ieee_div_zero 0
		.amdhsa_exception_fp_ieee_overflow 0
		.amdhsa_exception_fp_ieee_underflow 0
		.amdhsa_exception_fp_ieee_inexact 0
		.amdhsa_exception_int_div_zero 0
	.end_amdhsa_kernel
	.section	.text._ZN2at6native32elementwise_kernel_manual_unrollILi128ELi8EZNS0_22gpu_kernel_impl_nocastIZZZNS0_12_GLOBAL__N_120isneginf_kernel_implERNS_18TensorIteratorBaseEENKUlvE_clEvENKUlvE0_clEvEUlfE_EEvS5_RKT_EUlibE_EEviT1_,"axG",@progbits,_ZN2at6native32elementwise_kernel_manual_unrollILi128ELi8EZNS0_22gpu_kernel_impl_nocastIZZZNS0_12_GLOBAL__N_120isneginf_kernel_implERNS_18TensorIteratorBaseEENKUlvE_clEvENKUlvE0_clEvEUlfE_EEvS5_RKT_EUlibE_EEviT1_,comdat
.Lfunc_end77:
	.size	_ZN2at6native32elementwise_kernel_manual_unrollILi128ELi8EZNS0_22gpu_kernel_impl_nocastIZZZNS0_12_GLOBAL__N_120isneginf_kernel_implERNS_18TensorIteratorBaseEENKUlvE_clEvENKUlvE0_clEvEUlfE_EEvS5_RKT_EUlibE_EEviT1_, .Lfunc_end77-_ZN2at6native32elementwise_kernel_manual_unrollILi128ELi8EZNS0_22gpu_kernel_impl_nocastIZZZNS0_12_GLOBAL__N_120isneginf_kernel_implERNS_18TensorIteratorBaseEENKUlvE_clEvENKUlvE0_clEvEUlfE_EEvS5_RKT_EUlibE_EEviT1_
                                        ; -- End function
	.set _ZN2at6native32elementwise_kernel_manual_unrollILi128ELi8EZNS0_22gpu_kernel_impl_nocastIZZZNS0_12_GLOBAL__N_120isneginf_kernel_implERNS_18TensorIteratorBaseEENKUlvE_clEvENKUlvE0_clEvEUlfE_EEvS5_RKT_EUlibE_EEviT1_.num_vgpr, 24
	.set _ZN2at6native32elementwise_kernel_manual_unrollILi128ELi8EZNS0_22gpu_kernel_impl_nocastIZZZNS0_12_GLOBAL__N_120isneginf_kernel_implERNS_18TensorIteratorBaseEENKUlvE_clEvENKUlvE0_clEvEUlfE_EEvS5_RKT_EUlibE_EEviT1_.num_agpr, 0
	.set _ZN2at6native32elementwise_kernel_manual_unrollILi128ELi8EZNS0_22gpu_kernel_impl_nocastIZZZNS0_12_GLOBAL__N_120isneginf_kernel_implERNS_18TensorIteratorBaseEENKUlvE_clEvENKUlvE0_clEvEUlfE_EEvS5_RKT_EUlibE_EEviT1_.numbered_sgpr, 60
	.set _ZN2at6native32elementwise_kernel_manual_unrollILi128ELi8EZNS0_22gpu_kernel_impl_nocastIZZZNS0_12_GLOBAL__N_120isneginf_kernel_implERNS_18TensorIteratorBaseEENKUlvE_clEvENKUlvE0_clEvEUlfE_EEvS5_RKT_EUlibE_EEviT1_.num_named_barrier, 0
	.set _ZN2at6native32elementwise_kernel_manual_unrollILi128ELi8EZNS0_22gpu_kernel_impl_nocastIZZZNS0_12_GLOBAL__N_120isneginf_kernel_implERNS_18TensorIteratorBaseEENKUlvE_clEvENKUlvE0_clEvEUlfE_EEvS5_RKT_EUlibE_EEviT1_.private_seg_size, 0
	.set _ZN2at6native32elementwise_kernel_manual_unrollILi128ELi8EZNS0_22gpu_kernel_impl_nocastIZZZNS0_12_GLOBAL__N_120isneginf_kernel_implERNS_18TensorIteratorBaseEENKUlvE_clEvENKUlvE0_clEvEUlfE_EEvS5_RKT_EUlibE_EEviT1_.uses_vcc, 1
	.set _ZN2at6native32elementwise_kernel_manual_unrollILi128ELi8EZNS0_22gpu_kernel_impl_nocastIZZZNS0_12_GLOBAL__N_120isneginf_kernel_implERNS_18TensorIteratorBaseEENKUlvE_clEvENKUlvE0_clEvEUlfE_EEvS5_RKT_EUlibE_EEviT1_.uses_flat_scratch, 0
	.set _ZN2at6native32elementwise_kernel_manual_unrollILi128ELi8EZNS0_22gpu_kernel_impl_nocastIZZZNS0_12_GLOBAL__N_120isneginf_kernel_implERNS_18TensorIteratorBaseEENKUlvE_clEvENKUlvE0_clEvEUlfE_EEvS5_RKT_EUlibE_EEviT1_.has_dyn_sized_stack, 0
	.set _ZN2at6native32elementwise_kernel_manual_unrollILi128ELi8EZNS0_22gpu_kernel_impl_nocastIZZZNS0_12_GLOBAL__N_120isneginf_kernel_implERNS_18TensorIteratorBaseEENKUlvE_clEvENKUlvE0_clEvEUlfE_EEvS5_RKT_EUlibE_EEviT1_.has_recursion, 0
	.set _ZN2at6native32elementwise_kernel_manual_unrollILi128ELi8EZNS0_22gpu_kernel_impl_nocastIZZZNS0_12_GLOBAL__N_120isneginf_kernel_implERNS_18TensorIteratorBaseEENKUlvE_clEvENKUlvE0_clEvEUlfE_EEvS5_RKT_EUlibE_EEviT1_.has_indirect_call, 0
	.section	.AMDGPU.csdata,"",@progbits
; Kernel info:
; codeLenInByte = 12548
; TotalNumSgprs: 62
; NumVgprs: 24
; ScratchSize: 0
; MemoryBound: 0
; FloatMode: 240
; IeeeMode: 1
; LDSByteSize: 0 bytes/workgroup (compile time only)
; SGPRBlocks: 0
; VGPRBlocks: 1
; NumSGPRsForWavesPerEU: 62
; NumVGPRsForWavesPerEU: 24
; NamedBarCnt: 0
; Occupancy: 16
; WaveLimiterHint : 1
; COMPUTE_PGM_RSRC2:SCRATCH_EN: 0
; COMPUTE_PGM_RSRC2:USER_SGPR: 2
; COMPUTE_PGM_RSRC2:TRAP_HANDLER: 0
; COMPUTE_PGM_RSRC2:TGID_X_EN: 1
; COMPUTE_PGM_RSRC2:TGID_Y_EN: 0
; COMPUTE_PGM_RSRC2:TGID_Z_EN: 0
; COMPUTE_PGM_RSRC2:TIDIG_COMP_CNT: 0
	.section	.text._ZN2at6native32elementwise_kernel_manual_unrollILi128ELi4EZNS0_15gpu_kernel_implIZZZNS0_12_GLOBAL__N_120isneginf_kernel_implERNS_18TensorIteratorBaseEENKUlvE_clEvENKUlvE0_clEvEUlfE_EEvS5_RKT_EUlibE_EEviT1_,"axG",@progbits,_ZN2at6native32elementwise_kernel_manual_unrollILi128ELi4EZNS0_15gpu_kernel_implIZZZNS0_12_GLOBAL__N_120isneginf_kernel_implERNS_18TensorIteratorBaseEENKUlvE_clEvENKUlvE0_clEvEUlfE_EEvS5_RKT_EUlibE_EEviT1_,comdat
	.globl	_ZN2at6native32elementwise_kernel_manual_unrollILi128ELi4EZNS0_15gpu_kernel_implIZZZNS0_12_GLOBAL__N_120isneginf_kernel_implERNS_18TensorIteratorBaseEENKUlvE_clEvENKUlvE0_clEvEUlfE_EEvS5_RKT_EUlibE_EEviT1_ ; -- Begin function _ZN2at6native32elementwise_kernel_manual_unrollILi128ELi4EZNS0_15gpu_kernel_implIZZZNS0_12_GLOBAL__N_120isneginf_kernel_implERNS_18TensorIteratorBaseEENKUlvE_clEvENKUlvE0_clEvEUlfE_EEvS5_RKT_EUlibE_EEviT1_
	.p2align	8
	.type	_ZN2at6native32elementwise_kernel_manual_unrollILi128ELi4EZNS0_15gpu_kernel_implIZZZNS0_12_GLOBAL__N_120isneginf_kernel_implERNS_18TensorIteratorBaseEENKUlvE_clEvENKUlvE0_clEvEUlfE_EEvS5_RKT_EUlibE_EEviT1_,@function
_ZN2at6native32elementwise_kernel_manual_unrollILi128ELi4EZNS0_15gpu_kernel_implIZZZNS0_12_GLOBAL__N_120isneginf_kernel_implERNS_18TensorIteratorBaseEENKUlvE_clEvENKUlvE0_clEvEUlfE_EEvS5_RKT_EUlibE_EEviT1_: ; @_ZN2at6native32elementwise_kernel_manual_unrollILi128ELi4EZNS0_15gpu_kernel_implIZZZNS0_12_GLOBAL__N_120isneginf_kernel_implERNS_18TensorIteratorBaseEENKUlvE_clEvENKUlvE0_clEvEUlfE_EEvS5_RKT_EUlibE_EEviT1_
; %bb.0:
	v_mov_b32_e32 v1, 0
	s_bfe_u32 s10, ttmp6, 0x4000c
	s_clause 0x1
	s_load_b32 s13, s[0:1], 0x0
	s_load_b128 s[4:7], s[0:1], 0x8
	s_add_co_i32 s10, s10, 1
	s_and_b32 s9, ttmp6, 15
	global_load_u16 v1, v1, s[0:1] offset:33
	s_load_b64 s[2:3], s[0:1], 0x18
	s_wait_xcnt 0x0
	s_mul_i32 s1, ttmp9, s10
	s_getreg_b32 s11, hwreg(HW_REG_IB_STS2, 6, 4)
	s_add_co_i32 s9, s9, s1
	s_mov_b32 s12, 0
	s_wait_loadcnt 0x0
	v_readfirstlane_b32 s8, v1
	s_and_b32 s0, 0xffff, s8
	s_delay_alu instid0(SALU_CYCLE_1)
	s_lshr_b32 s10, s0, 8
	s_cmp_eq_u32 s11, 0
	s_cselect_b32 s0, ttmp9, s9
	s_mov_b32 s9, 0
	v_lshl_or_b32 v4, s0, 9, v0
	s_mov_b32 s0, exec_lo
	s_delay_alu instid0(VALU_DEP_1) | instskip(SKIP_1) | instid1(VALU_DEP_1)
	v_or_b32_e32 v0, 0x180, v4
	s_wait_kmcnt 0x0
	v_cmpx_le_i32_e64 s13, v0
	s_xor_b32 s11, exec_lo, s0
	s_cbranch_execz .LBB78_1031
; %bb.1:
	s_mov_b32 s1, -1
	s_mov_b32 s16, 0
	s_mov_b32 s14, 0
	s_mov_b32 s15, exec_lo
	v_cmpx_gt_i32_e64 s13, v4
	s_cbranch_execz .LBB78_252
; %bb.2:
	v_mul_lo_u32 v0, v4, s3
	s_and_b32 s0, 0xffff, s10
	s_delay_alu instid0(SALU_CYCLE_1) | instskip(NEXT) | instid1(VALU_DEP_1)
	s_cmp_lt_i32 s0, 11
	v_ashrrev_i32_e32 v1, 31, v0
	s_delay_alu instid0(VALU_DEP_1)
	v_add_nc_u64_e32 v[0:1], s[6:7], v[0:1]
	s_cbranch_scc1 .LBB78_9
; %bb.3:
	s_cmp_gt_i32 s0, 25
	s_cbranch_scc0 .LBB78_18
; %bb.4:
	s_cmp_gt_i32 s0, 28
	s_cbranch_scc0 .LBB78_21
	;; [unrolled: 3-line block ×4, first 2 shown]
; %bb.7:
	s_cmp_eq_u32 s0, 46
	s_cbranch_scc0 .LBB78_27
; %bb.8:
	global_load_b32 v2, v[0:1], off
	s_wait_loadcnt 0x0
	v_lshlrev_b32_e32 v2, 16, v2
	s_branch .LBB78_29
.LBB78_9:
	s_mov_b32 s1, 0
                                        ; implicit-def: $vgpr2
	s_cbranch_execnz .LBB78_202
.LBB78_10:
	s_and_not1_b32 vcc_lo, exec_lo, s1
	s_cbranch_vccnz .LBB78_249
.LBB78_11:
	s_wait_xcnt 0x0
	v_mul_lo_u32 v0, v4, s2
	s_wait_loadcnt 0x0
	s_delay_alu instid0(VALU_DEP_2) | instskip(SKIP_1) | instid1(SALU_CYCLE_1)
	v_cmp_eq_f32_e64 s0, 0xff800000, v2
	s_and_b32 s12, s8, 0xff
	s_cmp_lt_i32 s12, 11
	v_ashrrev_i32_e32 v1, 31, v0
	s_delay_alu instid0(VALU_DEP_1)
	v_add_nc_u64_e32 v[0:1], s[4:5], v[0:1]
	s_cbranch_scc1 .LBB78_19
; %bb.12:
	s_and_b32 s17, 0xffff, s12
	s_delay_alu instid0(SALU_CYCLE_1)
	s_cmp_gt_i32 s17, 25
	s_cbranch_scc0 .LBB78_22
; %bb.13:
	s_cmp_gt_i32 s17, 28
	s_cbranch_scc0 .LBB78_24
; %bb.14:
	;; [unrolled: 3-line block ×4, first 2 shown]
	s_mov_b32 s19, 0
	s_mov_b32 s1, -1
	s_cmp_eq_u32 s17, 46
	s_mov_b32 s18, 0
	s_cbranch_scc0 .LBB78_33
; %bb.17:
	v_cndmask_b32_e64 v2, 0, 1.0, s0
	s_mov_b32 s18, -1
	s_mov_b32 s1, 0
	s_delay_alu instid0(VALU_DEP_1) | instskip(NEXT) | instid1(VALU_DEP_1)
	v_bfe_u32 v3, v2, 16, 1
	v_add3_u32 v2, v2, v3, 0x7fff
	s_delay_alu instid0(VALU_DEP_1)
	v_lshrrev_b32_e32 v2, 16, v2
	global_store_b32 v[0:1], v2, off
	s_branch .LBB78_33
.LBB78_18:
	s_mov_b32 s1, 0
                                        ; implicit-def: $vgpr2
	s_cbranch_execnz .LBB78_167
	s_branch .LBB78_201
.LBB78_19:
	s_mov_b32 s1, 0
	s_mov_b32 s18, 0
	s_cbranch_execnz .LBB78_102
.LBB78_20:
	s_and_not1_b32 vcc_lo, exec_lo, s18
	s_cbranch_vccnz .LBB78_250
	s_branch .LBB78_140
.LBB78_21:
	s_mov_b32 s12, -1
	s_mov_b32 s1, 0
                                        ; implicit-def: $vgpr2
	s_branch .LBB78_148
.LBB78_22:
	s_mov_b32 s19, -1
	s_mov_b32 s1, 0
	s_mov_b32 s18, 0
	s_branch .LBB78_60
.LBB78_23:
	s_mov_b32 s12, -1
	s_mov_b32 s1, 0
                                        ; implicit-def: $vgpr2
	s_branch .LBB78_143
.LBB78_24:
	s_mov_b32 s19, -1
	s_mov_b32 s1, 0
	s_mov_b32 s18, 0
	s_branch .LBB78_43
.LBB78_25:
	s_mov_b32 s12, -1
	s_branch .LBB78_28
.LBB78_26:
	s_mov_b32 s19, -1
	s_mov_b32 s1, 0
	s_mov_b32 s18, 0
	s_branch .LBB78_39
.LBB78_27:
	s_mov_b32 s14, -1
.LBB78_28:
	s_mov_b32 s1, 0
                                        ; implicit-def: $vgpr2
.LBB78_29:
	s_and_b32 vcc_lo, exec_lo, s12
	s_cbranch_vccz .LBB78_142
; %bb.30:
	s_cmp_eq_u32 s0, 44
	s_cbranch_scc0 .LBB78_141
; %bb.31:
	global_load_u8 v2, v[0:1], off
	s_mov_b32 s14, 0
	s_mov_b32 s1, -1
	s_wait_loadcnt 0x0
	v_lshlrev_b32_e32 v3, 23, v2
	v_cmp_ne_u32_e32 vcc_lo, 0xff, v2
	s_delay_alu instid0(VALU_DEP_2) | instskip(SKIP_1) | instid1(VALU_DEP_2)
	v_cndmask_b32_e32 v3, 0x7f800001, v3, vcc_lo
	v_cmp_ne_u32_e32 vcc_lo, 0, v2
	v_cndmask_b32_e32 v2, 0x400000, v3, vcc_lo
	s_branch .LBB78_142
.LBB78_32:
	s_mov_b32 s19, -1
	s_mov_b32 s1, 0
	s_mov_b32 s18, 0
.LBB78_33:
	s_and_b32 vcc_lo, exec_lo, s19
	s_cbranch_vccz .LBB78_38
; %bb.34:
	s_cmp_eq_u32 s17, 44
	s_mov_b32 s1, -1
	s_cbranch_scc0 .LBB78_38
; %bb.35:
	v_cndmask_b32_e64 v5, 0, 1.0, s0
	s_mov_b32 s18, exec_lo
	s_wait_xcnt 0x0
	s_delay_alu instid0(VALU_DEP_1) | instskip(NEXT) | instid1(VALU_DEP_1)
	v_dual_mov_b32 v3, 0xff :: v_dual_lshrrev_b32 v2, 23, v5
	v_cmpx_ne_u32_e32 0xff, v2
; %bb.36:
	v_and_b32_e32 v3, 0x400000, v5
	v_and_or_b32 v5, 0x3fffff, v5, v2
	s_delay_alu instid0(VALU_DEP_2) | instskip(NEXT) | instid1(VALU_DEP_2)
	v_cmp_ne_u32_e32 vcc_lo, 0, v3
	v_cmp_ne_u32_e64 s1, 0, v5
	s_and_b32 s1, vcc_lo, s1
	s_delay_alu instid0(SALU_CYCLE_1) | instskip(NEXT) | instid1(VALU_DEP_1)
	v_cndmask_b32_e64 v3, 0, 1, s1
	v_add_nc_u32_e32 v3, v2, v3
; %bb.37:
	s_or_b32 exec_lo, exec_lo, s18
	s_mov_b32 s18, -1
	s_mov_b32 s1, 0
	global_store_b8 v[0:1], v3, off
.LBB78_38:
	s_mov_b32 s19, 0
.LBB78_39:
	s_delay_alu instid0(SALU_CYCLE_1)
	s_and_b32 vcc_lo, exec_lo, s19
	s_cbranch_vccz .LBB78_42
; %bb.40:
	s_cmp_eq_u32 s17, 29
	s_mov_b32 s1, -1
	s_cbranch_scc0 .LBB78_42
; %bb.41:
	s_mov_b32 s1, 0
	s_wait_xcnt 0x0
	v_cndmask_b32_e64 v2, 0, 1, s0
	v_mov_b32_e32 v3, s1
	s_mov_b32 s18, -1
	s_mov_b32 s19, 0
	global_store_b64 v[0:1], v[2:3], off
	s_branch .LBB78_43
.LBB78_42:
	s_mov_b32 s19, 0
.LBB78_43:
	s_delay_alu instid0(SALU_CYCLE_1)
	s_and_b32 vcc_lo, exec_lo, s19
	s_cbranch_vccz .LBB78_59
; %bb.44:
	s_cmp_lt_i32 s17, 27
	s_mov_b32 s18, -1
	s_cbranch_scc1 .LBB78_50
; %bb.45:
	s_cmp_gt_i32 s17, 27
	s_cbranch_scc0 .LBB78_47
; %bb.46:
	s_wait_xcnt 0x0
	v_cndmask_b32_e64 v2, 0, 1, s0
	s_mov_b32 s18, 0
	global_store_b32 v[0:1], v2, off
.LBB78_47:
	s_and_not1_b32 vcc_lo, exec_lo, s18
	s_cbranch_vccnz .LBB78_49
; %bb.48:
	s_wait_xcnt 0x0
	v_cndmask_b32_e64 v2, 0, 1, s0
	global_store_b16 v[0:1], v2, off
.LBB78_49:
	s_mov_b32 s18, 0
.LBB78_50:
	s_delay_alu instid0(SALU_CYCLE_1)
	s_and_not1_b32 vcc_lo, exec_lo, s18
	s_cbranch_vccnz .LBB78_58
; %bb.51:
	s_wait_xcnt 0x0
	v_cndmask_b32_e64 v3, 0, 1.0, s0
	v_mov_b32_e32 v5, 0x80
	s_mov_b32 s18, exec_lo
	s_delay_alu instid0(VALU_DEP_2)
	v_cmpx_gt_u32_e32 0x43800000, v3
	s_cbranch_execz .LBB78_57
; %bb.52:
	s_mov_b32 s19, 0
	s_mov_b32 s20, exec_lo
                                        ; implicit-def: $vgpr2
	v_cmpx_lt_u32_e32 0x3bffffff, v3
	s_xor_b32 s20, exec_lo, s20
	s_cbranch_execz .LBB78_279
; %bb.53:
	v_bfe_u32 v2, v3, 20, 1
	s_mov_b32 s19, exec_lo
	s_delay_alu instid0(VALU_DEP_1) | instskip(NEXT) | instid1(VALU_DEP_1)
	v_add3_u32 v2, v3, v2, 0x487ffff
                                        ; implicit-def: $vgpr3
	v_lshrrev_b32_e32 v2, 20, v2
	s_and_not1_saveexec_b32 s20, s20
	s_cbranch_execnz .LBB78_280
.LBB78_54:
	s_or_b32 exec_lo, exec_lo, s20
	v_mov_b32_e32 v5, 0
	s_and_saveexec_b32 s20, s19
.LBB78_55:
	v_mov_b32_e32 v5, v2
.LBB78_56:
	s_or_b32 exec_lo, exec_lo, s20
.LBB78_57:
	s_delay_alu instid0(SALU_CYCLE_1)
	s_or_b32 exec_lo, exec_lo, s18
	global_store_b8 v[0:1], v5, off
.LBB78_58:
	s_mov_b32 s18, -1
.LBB78_59:
	s_mov_b32 s19, 0
.LBB78_60:
	s_delay_alu instid0(SALU_CYCLE_1)
	s_and_b32 vcc_lo, exec_lo, s19
	s_cbranch_vccz .LBB78_101
; %bb.61:
	s_cmp_gt_i32 s17, 22
	s_mov_b32 s19, -1
	s_cbranch_scc0 .LBB78_93
; %bb.62:
	s_cmp_lt_i32 s17, 24
	s_mov_b32 s18, -1
	s_cbranch_scc1 .LBB78_82
; %bb.63:
	s_cmp_gt_i32 s17, 24
	s_cbranch_scc0 .LBB78_71
; %bb.64:
	s_wait_xcnt 0x0
	v_cndmask_b32_e64 v3, 0, 1.0, s0
	v_mov_b32_e32 v5, 0x80
	s_mov_b32 s18, exec_lo
	s_delay_alu instid0(VALU_DEP_2)
	v_cmpx_gt_u32_e32 0x47800000, v3
	s_cbranch_execz .LBB78_70
; %bb.65:
	s_mov_b32 s19, 0
	s_mov_b32 s20, exec_lo
                                        ; implicit-def: $vgpr2
	v_cmpx_lt_u32_e32 0x37ffffff, v3
	s_xor_b32 s20, exec_lo, s20
	s_cbranch_execz .LBB78_283
; %bb.66:
	v_bfe_u32 v2, v3, 21, 1
	s_mov_b32 s19, exec_lo
	s_delay_alu instid0(VALU_DEP_1) | instskip(NEXT) | instid1(VALU_DEP_1)
	v_add3_u32 v2, v3, v2, 0x88fffff
                                        ; implicit-def: $vgpr3
	v_lshrrev_b32_e32 v2, 21, v2
	s_and_not1_saveexec_b32 s20, s20
	s_cbranch_execnz .LBB78_284
.LBB78_67:
	s_or_b32 exec_lo, exec_lo, s20
	v_mov_b32_e32 v5, 0
	s_and_saveexec_b32 s20, s19
.LBB78_68:
	v_mov_b32_e32 v5, v2
.LBB78_69:
	s_or_b32 exec_lo, exec_lo, s20
.LBB78_70:
	s_delay_alu instid0(SALU_CYCLE_1)
	s_or_b32 exec_lo, exec_lo, s18
	s_mov_b32 s18, 0
	global_store_b8 v[0:1], v5, off
.LBB78_71:
	s_and_b32 vcc_lo, exec_lo, s18
	s_cbranch_vccz .LBB78_81
; %bb.72:
	s_wait_xcnt 0x0
	v_cndmask_b32_e64 v3, 0, 1.0, s0
	s_mov_b32 s18, exec_lo
                                        ; implicit-def: $vgpr2
	s_delay_alu instid0(VALU_DEP_1)
	v_cmpx_gt_u32_e32 0x43f00000, v3
	s_xor_b32 s18, exec_lo, s18
	s_cbranch_execz .LBB78_78
; %bb.73:
	s_mov_b32 s19, exec_lo
                                        ; implicit-def: $vgpr2
	v_cmpx_lt_u32_e32 0x3c7fffff, v3
	s_xor_b32 s19, exec_lo, s19
; %bb.74:
	v_bfe_u32 v2, v3, 20, 1
	s_delay_alu instid0(VALU_DEP_1) | instskip(NEXT) | instid1(VALU_DEP_1)
	v_add3_u32 v2, v3, v2, 0x407ffff
	v_and_b32_e32 v3, 0xff00000, v2
	v_lshrrev_b32_e32 v2, 20, v2
	s_delay_alu instid0(VALU_DEP_2) | instskip(NEXT) | instid1(VALU_DEP_2)
	v_cmp_ne_u32_e32 vcc_lo, 0x7f00000, v3
                                        ; implicit-def: $vgpr3
	v_cndmask_b32_e32 v2, 0x7e, v2, vcc_lo
; %bb.75:
	s_and_not1_saveexec_b32 s19, s19
; %bb.76:
	v_add_f32_e32 v2, 0x46800000, v3
; %bb.77:
	s_or_b32 exec_lo, exec_lo, s19
                                        ; implicit-def: $vgpr3
.LBB78_78:
	s_and_not1_saveexec_b32 s18, s18
; %bb.79:
	v_mov_b32_e32 v2, 0x7f
	v_cmp_lt_u32_e32 vcc_lo, 0x7f800000, v3
	s_delay_alu instid0(VALU_DEP_2)
	v_cndmask_b32_e32 v2, 0x7e, v2, vcc_lo
; %bb.80:
	s_or_b32 exec_lo, exec_lo, s18
	global_store_b8 v[0:1], v2, off
.LBB78_81:
	s_mov_b32 s18, 0
.LBB78_82:
	s_delay_alu instid0(SALU_CYCLE_1)
	s_and_not1_b32 vcc_lo, exec_lo, s18
	s_cbranch_vccnz .LBB78_92
; %bb.83:
	s_wait_xcnt 0x0
	v_cndmask_b32_e64 v3, 0, 1.0, s0
	s_mov_b32 s18, exec_lo
                                        ; implicit-def: $vgpr2
	s_delay_alu instid0(VALU_DEP_1)
	v_cmpx_gt_u32_e32 0x47800000, v3
	s_xor_b32 s18, exec_lo, s18
	s_cbranch_execz .LBB78_89
; %bb.84:
	s_mov_b32 s19, exec_lo
                                        ; implicit-def: $vgpr2
	v_cmpx_lt_u32_e32 0x387fffff, v3
	s_xor_b32 s19, exec_lo, s19
; %bb.85:
	v_bfe_u32 v2, v3, 21, 1
	s_delay_alu instid0(VALU_DEP_1) | instskip(NEXT) | instid1(VALU_DEP_1)
	v_add3_u32 v2, v3, v2, 0x80fffff
                                        ; implicit-def: $vgpr3
	v_lshrrev_b32_e32 v2, 21, v2
; %bb.86:
	s_and_not1_saveexec_b32 s19, s19
; %bb.87:
	v_add_f32_e32 v2, 0x43000000, v3
; %bb.88:
	s_or_b32 exec_lo, exec_lo, s19
                                        ; implicit-def: $vgpr3
.LBB78_89:
	s_and_not1_saveexec_b32 s18, s18
; %bb.90:
	v_mov_b32_e32 v2, 0x7f
	v_cmp_lt_u32_e32 vcc_lo, 0x7f800000, v3
	s_delay_alu instid0(VALU_DEP_2)
	v_cndmask_b32_e32 v2, 0x7c, v2, vcc_lo
; %bb.91:
	s_or_b32 exec_lo, exec_lo, s18
	global_store_b8 v[0:1], v2, off
.LBB78_92:
	s_mov_b32 s19, 0
	s_mov_b32 s18, -1
.LBB78_93:
	s_and_not1_b32 vcc_lo, exec_lo, s19
	s_cbranch_vccnz .LBB78_101
; %bb.94:
	s_cmp_gt_i32 s17, 14
	s_mov_b32 s19, -1
	s_cbranch_scc0 .LBB78_98
; %bb.95:
	s_cmp_eq_u32 s17, 15
	s_mov_b32 s1, -1
	s_cbranch_scc0 .LBB78_97
; %bb.96:
	s_wait_xcnt 0x0
	v_cndmask_b32_e64 v2, 0, 1.0, s0
	s_mov_b32 s18, -1
	s_mov_b32 s1, 0
	s_delay_alu instid0(VALU_DEP_1) | instskip(NEXT) | instid1(VALU_DEP_1)
	v_bfe_u32 v3, v2, 16, 1
	v_add3_u32 v2, v2, v3, 0x7fff
	global_store_d16_hi_b16 v[0:1], v2, off
.LBB78_97:
	s_mov_b32 s19, 0
.LBB78_98:
	s_delay_alu instid0(SALU_CYCLE_1)
	s_and_b32 vcc_lo, exec_lo, s19
	s_cbranch_vccz .LBB78_101
; %bb.99:
	s_cmp_eq_u32 s17, 11
	s_mov_b32 s1, -1
	s_cbranch_scc0 .LBB78_101
; %bb.100:
	s_wait_xcnt 0x0
	v_cndmask_b32_e64 v2, 0, 1, s0
	s_mov_b32 s18, -1
	s_mov_b32 s1, 0
	global_store_b8 v[0:1], v2, off
.LBB78_101:
	s_branch .LBB78_20
.LBB78_102:
	s_and_b32 s12, 0xffff, s12
	s_mov_b32 s17, -1
	s_cmp_lt_i32 s12, 5
	s_cbranch_scc1 .LBB78_123
; %bb.103:
	s_cmp_lt_i32 s12, 8
	s_cbranch_scc1 .LBB78_113
; %bb.104:
	;; [unrolled: 3-line block ×3, first 2 shown]
	s_cmp_gt_i32 s12, 9
	s_cbranch_scc0 .LBB78_107
; %bb.106:
	s_wait_xcnt 0x0
	v_cndmask_b32_e64 v2, 0, 1, s0
	v_mov_b32_e32 v8, 0
	s_mov_b32 s17, 0
	s_delay_alu instid0(VALU_DEP_2) | instskip(NEXT) | instid1(VALU_DEP_2)
	v_cvt_f64_u32_e32 v[6:7], v2
	v_mov_b32_e32 v9, v8
	global_store_b128 v[0:1], v[6:9], off
.LBB78_107:
	s_and_not1_b32 vcc_lo, exec_lo, s17
	s_cbranch_vccnz .LBB78_109
; %bb.108:
	s_wait_xcnt 0x0
	v_cndmask_b32_e64 v2, 0, 1.0, s0
	v_mov_b32_e32 v3, 0
	global_store_b64 v[0:1], v[2:3], off
.LBB78_109:
	s_mov_b32 s17, 0
.LBB78_110:
	s_delay_alu instid0(SALU_CYCLE_1)
	s_and_not1_b32 vcc_lo, exec_lo, s17
	s_cbranch_vccnz .LBB78_112
; %bb.111:
	s_wait_xcnt 0x0
	v_cndmask_b32_e64 v2, 0, 1.0, s0
	s_delay_alu instid0(VALU_DEP_1) | instskip(NEXT) | instid1(VALU_DEP_1)
	v_cvt_f16_f32_e32 v2, v2
	v_and_b32_e32 v2, 0xffff, v2
	global_store_b32 v[0:1], v2, off
.LBB78_112:
	s_mov_b32 s17, 0
.LBB78_113:
	s_delay_alu instid0(SALU_CYCLE_1)
	s_and_not1_b32 vcc_lo, exec_lo, s17
	s_cbranch_vccnz .LBB78_122
; %bb.114:
	s_cmp_lt_i32 s12, 6
	s_mov_b32 s17, -1
	s_cbranch_scc1 .LBB78_120
; %bb.115:
	s_cmp_gt_i32 s12, 6
	s_cbranch_scc0 .LBB78_117
; %bb.116:
	s_wait_xcnt 0x0
	v_cndmask_b32_e64 v2, 0, 1, s0
	s_mov_b32 s17, 0
	s_delay_alu instid0(VALU_DEP_1)
	v_cvt_f64_u32_e32 v[2:3], v2
	global_store_b64 v[0:1], v[2:3], off
.LBB78_117:
	s_and_not1_b32 vcc_lo, exec_lo, s17
	s_cbranch_vccnz .LBB78_119
; %bb.118:
	s_wait_xcnt 0x0
	v_cndmask_b32_e64 v2, 0, 1.0, s0
	global_store_b32 v[0:1], v2, off
.LBB78_119:
	s_mov_b32 s17, 0
.LBB78_120:
	s_delay_alu instid0(SALU_CYCLE_1)
	s_and_not1_b32 vcc_lo, exec_lo, s17
	s_cbranch_vccnz .LBB78_122
; %bb.121:
	s_wait_xcnt 0x0
	v_cndmask_b32_e64 v2, 0, 1.0, s0
	s_delay_alu instid0(VALU_DEP_1)
	v_cvt_f16_f32_e32 v2, v2
	global_store_b16 v[0:1], v2, off
.LBB78_122:
	s_mov_b32 s17, 0
.LBB78_123:
	s_delay_alu instid0(SALU_CYCLE_1)
	s_and_not1_b32 vcc_lo, exec_lo, s17
	s_cbranch_vccnz .LBB78_139
; %bb.124:
	s_cmp_lt_i32 s12, 2
	s_mov_b32 s17, -1
	s_cbranch_scc1 .LBB78_134
; %bb.125:
	s_cmp_lt_i32 s12, 3
	s_cbranch_scc1 .LBB78_131
; %bb.126:
	s_cmp_gt_i32 s12, 3
	s_cbranch_scc0 .LBB78_128
; %bb.127:
	s_mov_b32 s17, 0
	s_wait_xcnt 0x0
	v_cndmask_b32_e64 v2, 0, 1, s0
	v_mov_b32_e32 v3, s17
	global_store_b64 v[0:1], v[2:3], off
.LBB78_128:
	s_and_not1_b32 vcc_lo, exec_lo, s17
	s_cbranch_vccnz .LBB78_130
; %bb.129:
	s_wait_xcnt 0x0
	v_cndmask_b32_e64 v2, 0, 1, s0
	global_store_b32 v[0:1], v2, off
.LBB78_130:
	s_mov_b32 s17, 0
.LBB78_131:
	s_delay_alu instid0(SALU_CYCLE_1)
	s_and_not1_b32 vcc_lo, exec_lo, s17
	s_cbranch_vccnz .LBB78_133
; %bb.132:
	s_wait_xcnt 0x0
	v_cndmask_b32_e64 v2, 0, 1, s0
	global_store_b16 v[0:1], v2, off
.LBB78_133:
	s_mov_b32 s17, 0
.LBB78_134:
	s_delay_alu instid0(SALU_CYCLE_1)
	s_and_not1_b32 vcc_lo, exec_lo, s17
	s_cbranch_vccnz .LBB78_139
; %bb.135:
	s_wait_xcnt 0x0
	v_cndmask_b32_e64 v2, 0, 1, s0
	s_cmp_gt_i32 s12, 0
	s_mov_b32 s0, -1
	s_cbranch_scc0 .LBB78_137
; %bb.136:
	s_mov_b32 s0, 0
	global_store_b8 v[0:1], v2, off
.LBB78_137:
	s_and_not1_b32 vcc_lo, exec_lo, s0
	s_cbranch_vccnz .LBB78_139
; %bb.138:
	global_store_b8 v[0:1], v2, off
.LBB78_139:
.LBB78_140:
	v_add_nc_u32_e32 v4, 0x80, v4
	s_mov_b32 s0, -1
	s_branch .LBB78_251
.LBB78_141:
	s_mov_b32 s14, -1
                                        ; implicit-def: $vgpr2
.LBB78_142:
	s_mov_b32 s12, 0
.LBB78_143:
	s_delay_alu instid0(SALU_CYCLE_1)
	s_and_b32 vcc_lo, exec_lo, s12
	s_cbranch_vccz .LBB78_147
; %bb.144:
	s_cmp_eq_u32 s0, 29
	s_cbranch_scc0 .LBB78_146
; %bb.145:
	global_load_b64 v[2:3], v[0:1], off
	s_mov_b32 s1, -1
	s_mov_b32 s14, 0
	s_mov_b32 s12, 0
	s_wait_loadcnt 0x0
	v_clz_i32_u32_e32 v5, v3
	s_delay_alu instid0(VALU_DEP_1) | instskip(NEXT) | instid1(VALU_DEP_1)
	v_min_u32_e32 v5, 32, v5
	v_lshlrev_b64_e32 v[2:3], v5, v[2:3]
	s_delay_alu instid0(VALU_DEP_1) | instskip(NEXT) | instid1(VALU_DEP_1)
	v_min_u32_e32 v2, 1, v2
	v_dual_sub_nc_u32 v3, 32, v5 :: v_dual_bitop2_b32 v2, v3, v2 bitop3:0x54
	s_delay_alu instid0(VALU_DEP_1) | instskip(NEXT) | instid1(VALU_DEP_1)
	v_cvt_f32_u32_e32 v2, v2
	v_ldexp_f32 v2, v2, v3
	s_branch .LBB78_148
.LBB78_146:
	s_mov_b32 s14, -1
                                        ; implicit-def: $vgpr2
.LBB78_147:
	s_mov_b32 s12, 0
.LBB78_148:
	s_delay_alu instid0(SALU_CYCLE_1)
	s_and_b32 vcc_lo, exec_lo, s12
	s_cbranch_vccz .LBB78_166
; %bb.149:
	s_cmp_lt_i32 s0, 27
	s_cbranch_scc1 .LBB78_152
; %bb.150:
	s_cmp_gt_i32 s0, 27
	s_cbranch_scc0 .LBB78_153
; %bb.151:
	global_load_b32 v2, v[0:1], off
	s_mov_b32 s1, 0
	s_wait_loadcnt 0x0
	v_cvt_f32_u32_e32 v2, v2
	s_branch .LBB78_154
.LBB78_152:
	s_mov_b32 s1, -1
                                        ; implicit-def: $vgpr2
	s_branch .LBB78_157
.LBB78_153:
	s_mov_b32 s1, -1
                                        ; implicit-def: $vgpr2
.LBB78_154:
	s_delay_alu instid0(SALU_CYCLE_1)
	s_and_not1_b32 vcc_lo, exec_lo, s1
	s_cbranch_vccnz .LBB78_156
; %bb.155:
	global_load_u16 v2, v[0:1], off
	s_wait_loadcnt 0x0
	v_cvt_f32_u32_e32 v2, v2
.LBB78_156:
	s_mov_b32 s1, 0
.LBB78_157:
	s_delay_alu instid0(SALU_CYCLE_1)
	s_and_not1_b32 vcc_lo, exec_lo, s1
	s_cbranch_vccnz .LBB78_165
; %bb.158:
	global_load_u8 v3, v[0:1], off
	s_mov_b32 s1, 0
	s_mov_b32 s12, exec_lo
	s_wait_loadcnt 0x0
	v_cmpx_lt_i16_e32 0x7f, v3
	s_xor_b32 s12, exec_lo, s12
	s_cbranch_execz .LBB78_178
; %bb.159:
	s_mov_b32 s1, -1
	s_mov_b32 s17, exec_lo
	v_cmpx_eq_u16_e32 0x80, v3
; %bb.160:
	s_xor_b32 s1, exec_lo, -1
; %bb.161:
	s_or_b32 exec_lo, exec_lo, s17
	s_delay_alu instid0(SALU_CYCLE_1)
	s_and_b32 s1, s1, exec_lo
	s_or_saveexec_b32 s12, s12
	v_mov_b32_e32 v2, 0x7f800001
	s_xor_b32 exec_lo, exec_lo, s12
	s_cbranch_execnz .LBB78_179
.LBB78_162:
	s_or_b32 exec_lo, exec_lo, s12
	s_and_saveexec_b32 s12, s1
	s_cbranch_execz .LBB78_164
.LBB78_163:
	v_and_b32_e32 v2, 0xffff, v3
	s_delay_alu instid0(VALU_DEP_1) | instskip(SKIP_1) | instid1(VALU_DEP_2)
	v_dual_lshlrev_b32 v3, 24, v3 :: v_dual_bitop2_b32 v5, 7, v2 bitop3:0x40
	v_bfe_u32 v8, v2, 3, 4
	v_and_b32_e32 v3, 0x80000000, v3
	s_delay_alu instid0(VALU_DEP_3) | instskip(NEXT) | instid1(VALU_DEP_3)
	v_clz_i32_u32_e32 v6, v5
	v_cmp_eq_u32_e32 vcc_lo, 0, v8
	s_delay_alu instid0(VALU_DEP_2) | instskip(NEXT) | instid1(VALU_DEP_1)
	v_min_u32_e32 v6, 32, v6
	v_subrev_nc_u32_e32 v7, 28, v6
	v_sub_nc_u32_e32 v6, 29, v6
	s_delay_alu instid0(VALU_DEP_2) | instskip(NEXT) | instid1(VALU_DEP_2)
	v_lshlrev_b32_e32 v2, v7, v2
	v_cndmask_b32_e32 v6, v8, v6, vcc_lo
	s_delay_alu instid0(VALU_DEP_2) | instskip(NEXT) | instid1(VALU_DEP_1)
	v_and_b32_e32 v2, 7, v2
	v_cndmask_b32_e32 v2, v5, v2, vcc_lo
	s_delay_alu instid0(VALU_DEP_3) | instskip(NEXT) | instid1(VALU_DEP_2)
	v_lshl_add_u32 v5, v6, 23, 0x3b800000
	v_lshlrev_b32_e32 v2, 20, v2
	s_delay_alu instid0(VALU_DEP_1)
	v_or3_b32 v2, v3, v5, v2
.LBB78_164:
	s_or_b32 exec_lo, exec_lo, s12
.LBB78_165:
	s_mov_b32 s1, -1
.LBB78_166:
	s_branch .LBB78_201
.LBB78_167:
	s_cmp_gt_i32 s0, 22
	s_cbranch_scc0 .LBB78_177
; %bb.168:
	s_cmp_lt_i32 s0, 24
	s_cbranch_scc1 .LBB78_180
; %bb.169:
	s_cmp_gt_i32 s0, 24
	s_cbranch_scc0 .LBB78_181
; %bb.170:
	global_load_u8 v3, v[0:1], off
	s_mov_b32 s1, 0
	s_mov_b32 s12, exec_lo
	s_wait_loadcnt 0x0
	v_cmpx_lt_i16_e32 0x7f, v3
	s_xor_b32 s12, exec_lo, s12
	s_cbranch_execz .LBB78_193
; %bb.171:
	s_mov_b32 s1, -1
	s_mov_b32 s17, exec_lo
	v_cmpx_eq_u16_e32 0x80, v3
; %bb.172:
	s_xor_b32 s1, exec_lo, -1
; %bb.173:
	s_or_b32 exec_lo, exec_lo, s17
	s_delay_alu instid0(SALU_CYCLE_1)
	s_and_b32 s1, s1, exec_lo
	s_or_saveexec_b32 s12, s12
	v_mov_b32_e32 v2, 0x7f800001
	s_xor_b32 exec_lo, exec_lo, s12
	s_cbranch_execnz .LBB78_194
.LBB78_174:
	s_or_b32 exec_lo, exec_lo, s12
	s_and_saveexec_b32 s12, s1
	s_cbranch_execz .LBB78_176
.LBB78_175:
	v_and_b32_e32 v2, 0xffff, v3
	s_delay_alu instid0(VALU_DEP_1) | instskip(SKIP_1) | instid1(VALU_DEP_2)
	v_dual_lshlrev_b32 v3, 24, v3 :: v_dual_bitop2_b32 v5, 3, v2 bitop3:0x40
	v_bfe_u32 v8, v2, 2, 5
	v_and_b32_e32 v3, 0x80000000, v3
	s_delay_alu instid0(VALU_DEP_3) | instskip(NEXT) | instid1(VALU_DEP_3)
	v_clz_i32_u32_e32 v6, v5
	v_cmp_eq_u32_e32 vcc_lo, 0, v8
	s_delay_alu instid0(VALU_DEP_2) | instskip(NEXT) | instid1(VALU_DEP_1)
	v_min_u32_e32 v6, 32, v6
	v_subrev_nc_u32_e32 v7, 29, v6
	v_sub_nc_u32_e32 v6, 30, v6
	s_delay_alu instid0(VALU_DEP_2) | instskip(NEXT) | instid1(VALU_DEP_2)
	v_lshlrev_b32_e32 v2, v7, v2
	v_cndmask_b32_e32 v6, v8, v6, vcc_lo
	s_delay_alu instid0(VALU_DEP_2) | instskip(NEXT) | instid1(VALU_DEP_1)
	v_and_b32_e32 v2, 3, v2
	v_cndmask_b32_e32 v2, v5, v2, vcc_lo
	s_delay_alu instid0(VALU_DEP_3) | instskip(NEXT) | instid1(VALU_DEP_2)
	v_lshl_add_u32 v5, v6, 23, 0x37800000
	v_lshlrev_b32_e32 v2, 21, v2
	s_delay_alu instid0(VALU_DEP_1)
	v_or3_b32 v2, v3, v5, v2
.LBB78_176:
	s_or_b32 exec_lo, exec_lo, s12
	s_mov_b32 s1, 0
	s_branch .LBB78_182
.LBB78_177:
	s_mov_b32 s12, -1
                                        ; implicit-def: $vgpr2
	s_branch .LBB78_188
.LBB78_178:
	s_or_saveexec_b32 s12, s12
	v_mov_b32_e32 v2, 0x7f800001
	s_xor_b32 exec_lo, exec_lo, s12
	s_cbranch_execz .LBB78_162
.LBB78_179:
	v_cmp_ne_u16_e32 vcc_lo, 0, v3
	v_mov_b32_e32 v2, 0
	s_and_not1_b32 s1, s1, exec_lo
	s_and_b32 s17, vcc_lo, exec_lo
	s_delay_alu instid0(SALU_CYCLE_1)
	s_or_b32 s1, s1, s17
	s_or_b32 exec_lo, exec_lo, s12
	s_and_saveexec_b32 s12, s1
	s_cbranch_execnz .LBB78_163
	s_branch .LBB78_164
.LBB78_180:
	s_mov_b32 s1, -1
                                        ; implicit-def: $vgpr2
	s_branch .LBB78_185
.LBB78_181:
	s_mov_b32 s1, -1
                                        ; implicit-def: $vgpr2
.LBB78_182:
	s_delay_alu instid0(SALU_CYCLE_1)
	s_and_b32 vcc_lo, exec_lo, s1
	s_cbranch_vccz .LBB78_184
; %bb.183:
	global_load_u8 v2, v[0:1], off
	s_wait_loadcnt 0x0
	v_lshlrev_b32_e32 v2, 24, v2
	s_delay_alu instid0(VALU_DEP_1) | instskip(NEXT) | instid1(VALU_DEP_1)
	v_and_b32_e32 v3, 0x7f000000, v2
	v_clz_i32_u32_e32 v5, v3
	v_add_nc_u32_e32 v7, 0x1000000, v3
	v_cmp_ne_u32_e32 vcc_lo, 0, v3
	s_delay_alu instid0(VALU_DEP_3) | instskip(NEXT) | instid1(VALU_DEP_1)
	v_min_u32_e32 v5, 32, v5
	v_sub_nc_u32_e64 v5, v5, 4 clamp
	s_delay_alu instid0(VALU_DEP_1) | instskip(NEXT) | instid1(VALU_DEP_1)
	v_dual_lshlrev_b32 v6, v5, v3 :: v_dual_lshlrev_b32 v5, 23, v5
	v_lshrrev_b32_e32 v6, 4, v6
	s_delay_alu instid0(VALU_DEP_1) | instskip(NEXT) | instid1(VALU_DEP_1)
	v_dual_sub_nc_u32 v5, v6, v5 :: v_dual_ashrrev_i32 v6, 8, v7
	v_add_nc_u32_e32 v5, 0x3c000000, v5
	s_delay_alu instid0(VALU_DEP_1) | instskip(NEXT) | instid1(VALU_DEP_1)
	v_and_or_b32 v5, 0x7f800000, v6, v5
	v_cndmask_b32_e32 v3, 0, v5, vcc_lo
	s_delay_alu instid0(VALU_DEP_1)
	v_and_or_b32 v2, 0x80000000, v2, v3
.LBB78_184:
	s_mov_b32 s1, 0
.LBB78_185:
	s_delay_alu instid0(SALU_CYCLE_1)
	s_and_not1_b32 vcc_lo, exec_lo, s1
	s_cbranch_vccnz .LBB78_187
; %bb.186:
	global_load_u8 v2, v[0:1], off
	s_wait_loadcnt 0x0
	v_lshlrev_b32_e32 v3, 25, v2
	v_lshlrev_b16 v2, 8, v2
	s_delay_alu instid0(VALU_DEP_2) | instskip(NEXT) | instid1(VALU_DEP_2)
	v_cmp_gt_u32_e32 vcc_lo, 0x8000000, v3
	v_and_or_b32 v6, 0x7f00, v2, 0.5
	v_lshrrev_b32_e32 v5, 4, v3
	v_bfe_i32 v2, v2, 0, 16
	s_delay_alu instid0(VALU_DEP_3) | instskip(NEXT) | instid1(VALU_DEP_3)
	v_add_f32_e32 v6, -0.5, v6
	v_or_b32_e32 v5, 0x70000000, v5
	s_delay_alu instid0(VALU_DEP_1) | instskip(NEXT) | instid1(VALU_DEP_1)
	v_mul_f32_e32 v5, 0x7800000, v5
	v_cndmask_b32_e32 v3, v5, v6, vcc_lo
	s_delay_alu instid0(VALU_DEP_1)
	v_and_or_b32 v2, 0x80000000, v2, v3
.LBB78_187:
	s_mov_b32 s12, 0
	s_mov_b32 s1, -1
.LBB78_188:
	s_and_not1_b32 vcc_lo, exec_lo, s12
	s_cbranch_vccnz .LBB78_201
; %bb.189:
	s_cmp_gt_i32 s0, 14
	s_cbranch_scc0 .LBB78_192
; %bb.190:
	s_cmp_eq_u32 s0, 15
	s_cbranch_scc0 .LBB78_195
; %bb.191:
	global_load_u16 v2, v[0:1], off
	s_mov_b32 s1, -1
	s_mov_b32 s14, 0
	s_wait_loadcnt 0x0
	v_lshlrev_b32_e32 v2, 16, v2
	s_branch .LBB78_196
.LBB78_192:
	s_mov_b32 s12, -1
                                        ; implicit-def: $vgpr2
	s_branch .LBB78_197
.LBB78_193:
	s_or_saveexec_b32 s12, s12
	v_mov_b32_e32 v2, 0x7f800001
	s_xor_b32 exec_lo, exec_lo, s12
	s_cbranch_execz .LBB78_174
.LBB78_194:
	v_cmp_ne_u16_e32 vcc_lo, 0, v3
	v_mov_b32_e32 v2, 0
	s_and_not1_b32 s1, s1, exec_lo
	s_and_b32 s17, vcc_lo, exec_lo
	s_delay_alu instid0(SALU_CYCLE_1)
	s_or_b32 s1, s1, s17
	s_or_b32 exec_lo, exec_lo, s12
	s_and_saveexec_b32 s12, s1
	s_cbranch_execnz .LBB78_175
	s_branch .LBB78_176
.LBB78_195:
	s_mov_b32 s14, -1
                                        ; implicit-def: $vgpr2
.LBB78_196:
	s_mov_b32 s12, 0
.LBB78_197:
	s_delay_alu instid0(SALU_CYCLE_1)
	s_and_b32 vcc_lo, exec_lo, s12
	s_cbranch_vccz .LBB78_201
; %bb.198:
	s_cmp_eq_u32 s0, 11
	s_cbranch_scc0 .LBB78_200
; %bb.199:
	global_load_u8 v2, v[0:1], off
	s_mov_b32 s14, 0
	s_mov_b32 s1, -1
	s_wait_loadcnt 0x0
	v_cmp_ne_u16_e32 vcc_lo, 0, v2
	v_cndmask_b32_e64 v2, 0, 1.0, vcc_lo
	s_branch .LBB78_201
.LBB78_200:
	s_mov_b32 s14, -1
                                        ; implicit-def: $vgpr2
.LBB78_201:
	s_branch .LBB78_10
.LBB78_202:
	s_cmp_lt_i32 s0, 5
	s_cbranch_scc1 .LBB78_207
; %bb.203:
	s_cmp_lt_i32 s0, 8
	s_cbranch_scc1 .LBB78_208
; %bb.204:
	;; [unrolled: 3-line block ×3, first 2 shown]
	s_cmp_gt_i32 s0, 9
	s_cbranch_scc0 .LBB78_210
; %bb.206:
	global_load_b64 v[2:3], v[0:1], off
	s_mov_b32 s1, 0
	s_wait_loadcnt 0x0
	v_cvt_f32_f64_e32 v2, v[2:3]
	s_branch .LBB78_211
.LBB78_207:
                                        ; implicit-def: $vgpr2
	s_branch .LBB78_229
.LBB78_208:
	s_mov_b32 s1, -1
                                        ; implicit-def: $vgpr2
	s_branch .LBB78_217
.LBB78_209:
	s_mov_b32 s1, -1
                                        ; implicit-def: $vgpr2
	s_branch .LBB78_214
.LBB78_210:
	s_mov_b32 s1, -1
                                        ; implicit-def: $vgpr2
.LBB78_211:
	s_delay_alu instid0(SALU_CYCLE_1)
	s_and_not1_b32 vcc_lo, exec_lo, s1
	s_cbranch_vccnz .LBB78_213
; %bb.212:
	global_load_b32 v2, v[0:1], off
.LBB78_213:
	s_mov_b32 s1, 0
.LBB78_214:
	s_delay_alu instid0(SALU_CYCLE_1)
	s_and_not1_b32 vcc_lo, exec_lo, s1
	s_cbranch_vccnz .LBB78_216
; %bb.215:
	s_wait_loadcnt 0x0
	global_load_b32 v2, v[0:1], off
	s_wait_loadcnt 0x0
	v_cvt_f32_f16_e32 v2, v2
.LBB78_216:
	s_mov_b32 s1, 0
.LBB78_217:
	s_delay_alu instid0(SALU_CYCLE_1)
	s_and_not1_b32 vcc_lo, exec_lo, s1
	s_cbranch_vccnz .LBB78_228
; %bb.218:
	s_cmp_lt_i32 s0, 6
	s_cbranch_scc1 .LBB78_221
; %bb.219:
	s_cmp_gt_i32 s0, 6
	s_cbranch_scc0 .LBB78_222
; %bb.220:
	s_wait_loadcnt 0x0
	global_load_b64 v[2:3], v[0:1], off
	s_mov_b32 s1, 0
	s_wait_loadcnt 0x0
	v_cvt_f32_f64_e32 v2, v[2:3]
	s_branch .LBB78_223
.LBB78_221:
	s_mov_b32 s1, -1
                                        ; implicit-def: $vgpr2
	s_branch .LBB78_226
.LBB78_222:
	s_mov_b32 s1, -1
                                        ; implicit-def: $vgpr2
.LBB78_223:
	s_delay_alu instid0(SALU_CYCLE_1)
	s_and_not1_b32 vcc_lo, exec_lo, s1
	s_cbranch_vccnz .LBB78_225
; %bb.224:
	s_wait_loadcnt 0x0
	global_load_b32 v2, v[0:1], off
.LBB78_225:
	s_mov_b32 s1, 0
.LBB78_226:
	s_delay_alu instid0(SALU_CYCLE_1)
	s_and_not1_b32 vcc_lo, exec_lo, s1
	s_cbranch_vccnz .LBB78_228
; %bb.227:
	s_wait_loadcnt 0x0
	global_load_u16 v2, v[0:1], off
	s_wait_loadcnt 0x0
	v_cvt_f32_f16_e32 v2, v2
.LBB78_228:
	s_cbranch_execnz .LBB78_248
.LBB78_229:
	s_cmp_lt_i32 s0, 2
	s_cbranch_scc1 .LBB78_233
; %bb.230:
	s_cmp_lt_i32 s0, 3
	s_cbranch_scc1 .LBB78_234
; %bb.231:
	s_cmp_gt_i32 s0, 3
	s_cbranch_scc0 .LBB78_235
; %bb.232:
	s_wait_loadcnt 0x0
	global_load_b64 v[2:3], v[0:1], off
	s_mov_b32 s1, 0
	s_wait_loadcnt 0x0
	v_xor_b32_e32 v5, v2, v3
	v_cls_i32_e32 v6, v3
	s_delay_alu instid0(VALU_DEP_2) | instskip(NEXT) | instid1(VALU_DEP_1)
	v_ashrrev_i32_e32 v5, 31, v5
	v_add_nc_u32_e32 v5, 32, v5
	s_delay_alu instid0(VALU_DEP_1) | instskip(NEXT) | instid1(VALU_DEP_1)
	v_add_min_u32_e64 v5, v6, -1, v5
	v_lshlrev_b64_e32 v[2:3], v5, v[2:3]
	s_delay_alu instid0(VALU_DEP_1) | instskip(NEXT) | instid1(VALU_DEP_1)
	v_min_u32_e32 v2, 1, v2
	v_dual_sub_nc_u32 v3, 32, v5 :: v_dual_bitop2_b32 v2, v3, v2 bitop3:0x54
	s_delay_alu instid0(VALU_DEP_1) | instskip(NEXT) | instid1(VALU_DEP_1)
	v_cvt_f32_i32_e32 v2, v2
	v_ldexp_f32 v2, v2, v3
	s_branch .LBB78_236
.LBB78_233:
	s_mov_b32 s1, -1
                                        ; implicit-def: $vgpr2
	s_branch .LBB78_242
.LBB78_234:
	s_mov_b32 s1, -1
                                        ; implicit-def: $vgpr2
	s_branch .LBB78_239
.LBB78_235:
	s_mov_b32 s1, -1
                                        ; implicit-def: $vgpr2
.LBB78_236:
	s_delay_alu instid0(SALU_CYCLE_1)
	s_and_not1_b32 vcc_lo, exec_lo, s1
	s_cbranch_vccnz .LBB78_238
; %bb.237:
	s_wait_loadcnt 0x0
	global_load_b32 v2, v[0:1], off
	s_wait_loadcnt 0x0
	v_cvt_f32_i32_e32 v2, v2
.LBB78_238:
	s_mov_b32 s1, 0
.LBB78_239:
	s_delay_alu instid0(SALU_CYCLE_1)
	s_and_not1_b32 vcc_lo, exec_lo, s1
	s_cbranch_vccnz .LBB78_241
; %bb.240:
	s_wait_loadcnt 0x0
	global_load_i16 v2, v[0:1], off
	s_wait_loadcnt 0x0
	v_cvt_f32_i32_e32 v2, v2
.LBB78_241:
	s_mov_b32 s1, 0
.LBB78_242:
	s_delay_alu instid0(SALU_CYCLE_1)
	s_and_not1_b32 vcc_lo, exec_lo, s1
	s_cbranch_vccnz .LBB78_248
; %bb.243:
	s_cmp_gt_i32 s0, 0
	s_mov_b32 s0, 0
	s_cbranch_scc0 .LBB78_245
; %bb.244:
	s_wait_loadcnt 0x0
	global_load_i8 v2, v[0:1], off
	s_wait_loadcnt 0x0
	v_cvt_f32_i32_e32 v2, v2
	s_branch .LBB78_246
.LBB78_245:
	s_mov_b32 s0, -1
                                        ; implicit-def: $vgpr2
.LBB78_246:
	s_delay_alu instid0(SALU_CYCLE_1)
	s_and_not1_b32 vcc_lo, exec_lo, s0
	s_cbranch_vccnz .LBB78_248
; %bb.247:
	global_load_u8 v0, v[0:1], off
	s_wait_loadcnt 0x0
	v_cvt_f32_ubyte0_e32 v2, v0
.LBB78_248:
	s_branch .LBB78_11
.LBB78_249:
	s_mov_b32 s1, 0
.LBB78_250:
	s_mov_b32 s0, 0
                                        ; implicit-def: $vgpr4
.LBB78_251:
	s_and_b32 s12, s1, exec_lo
	s_and_b32 s14, s14, exec_lo
	s_or_not1_b32 s1, s0, exec_lo
.LBB78_252:
	s_wait_xcnt 0x0
	s_or_b32 exec_lo, exec_lo, s15
	s_mov_b32 s17, 0
	s_mov_b32 s0, 0
                                        ; implicit-def: $vgpr0_vgpr1
                                        ; implicit-def: $vgpr2
	s_and_saveexec_b32 s15, s1
	s_cbranch_execz .LBB78_261
; %bb.253:
	s_mov_b32 s0, -1
	s_mov_b32 s16, s14
	s_mov_b32 s17, s12
	s_mov_b32 s18, exec_lo
	v_cmpx_gt_i32_e64 s13, v4
	s_cbranch_execz .LBB78_515
; %bb.254:
	v_mul_lo_u32 v0, v4, s3
	s_and_b32 s0, 0xffff, s10
	s_delay_alu instid0(SALU_CYCLE_1) | instskip(NEXT) | instid1(VALU_DEP_1)
	s_cmp_lt_i32 s0, 11
	v_ashrrev_i32_e32 v1, 31, v0
	s_delay_alu instid0(VALU_DEP_1)
	v_add_nc_u64_e32 v[0:1], s[6:7], v[0:1]
	s_cbranch_scc1 .LBB78_264
; %bb.255:
	s_cmp_gt_i32 s0, 25
	s_cbranch_scc0 .LBB78_273
; %bb.256:
	s_cmp_gt_i32 s0, 28
	s_cbranch_scc0 .LBB78_275
	;; [unrolled: 3-line block ×4, first 2 shown]
; %bb.259:
	s_cmp_eq_u32 s0, 46
	s_mov_b32 s17, 0
	s_cbranch_scc0 .LBB78_285
; %bb.260:
	s_wait_loadcnt 0x0
	global_load_b32 v2, v[0:1], off
	s_mov_b32 s1, -1
	s_mov_b32 s16, 0
	s_wait_loadcnt 0x0
	v_lshlrev_b32_e32 v2, 16, v2
	s_branch .LBB78_287
.LBB78_261:
	s_or_b32 exec_lo, exec_lo, s15
	s_mov_b32 s1, 0
	s_and_saveexec_b32 s13, s14
	s_cbranch_execnz .LBB78_863
.LBB78_262:
	s_or_b32 exec_lo, exec_lo, s13
	s_and_saveexec_b32 s13, s16
	s_delay_alu instid0(SALU_CYCLE_1)
	s_xor_b32 s13, exec_lo, s13
	s_cbranch_execz .LBB78_864
.LBB78_263:
	s_wait_loadcnt 0x0
	global_load_u8 v2, v[0:1], off
	s_or_b32 s0, s0, exec_lo
	s_wait_loadcnt 0x0
	v_cmp_ne_u16_e32 vcc_lo, 0, v2
	v_cndmask_b32_e64 v2, 0, 1.0, vcc_lo
	s_wait_xcnt 0x0
	s_or_b32 exec_lo, exec_lo, s13
	s_and_saveexec_b32 s13, s17
	s_cbranch_execz .LBB78_910
	s_branch .LBB78_865
.LBB78_264:
	s_mov_b32 s1, 0
	s_mov_b32 s16, s14
                                        ; implicit-def: $vgpr2
	s_cbranch_execnz .LBB78_464
.LBB78_265:
	s_and_not1_b32 vcc_lo, exec_lo, s1
	s_cbranch_vccnz .LBB78_512
.LBB78_266:
	s_wait_xcnt 0x0
	v_mul_lo_u32 v0, v4, s2
	s_wait_loadcnt 0x0
	s_delay_alu instid0(VALU_DEP_2) | instskip(SKIP_1) | instid1(SALU_CYCLE_1)
	v_cmp_eq_f32_e64 s0, 0xff800000, v2
	s_and_b32 s17, s8, 0xff
	s_cmp_lt_i32 s17, 11
	v_ashrrev_i32_e32 v1, 31, v0
	s_delay_alu instid0(VALU_DEP_1)
	v_add_nc_u64_e32 v[0:1], s[4:5], v[0:1]
	s_cbranch_scc1 .LBB78_274
; %bb.267:
	s_and_b32 s19, 0xffff, s17
	s_delay_alu instid0(SALU_CYCLE_1)
	s_cmp_gt_i32 s19, 25
	s_cbranch_scc0 .LBB78_276
; %bb.268:
	s_cmp_gt_i32 s19, 28
	s_cbranch_scc0 .LBB78_278
; %bb.269:
	;; [unrolled: 3-line block ×4, first 2 shown]
	s_mov_b32 s21, 0
	s_mov_b32 s1, -1
	s_cmp_eq_u32 s19, 46
	s_mov_b32 s20, 0
	s_cbranch_scc0 .LBB78_291
; %bb.272:
	v_cndmask_b32_e64 v2, 0, 1.0, s0
	s_mov_b32 s20, -1
	s_mov_b32 s1, 0
	s_delay_alu instid0(VALU_DEP_1) | instskip(NEXT) | instid1(VALU_DEP_1)
	v_bfe_u32 v3, v2, 16, 1
	v_add3_u32 v2, v2, v3, 0x7fff
	s_delay_alu instid0(VALU_DEP_1)
	v_lshrrev_b32_e32 v2, 16, v2
	global_store_b32 v[0:1], v2, off
	s_branch .LBB78_291
.LBB78_273:
	s_mov_b32 s17, -1
	s_mov_b32 s1, 0
	s_mov_b32 s16, s14
                                        ; implicit-def: $vgpr2
	s_branch .LBB78_428
.LBB78_274:
	s_mov_b32 s19, -1
	s_mov_b32 s20, 0
	s_mov_b32 s1, s12
	s_branch .LBB78_360
.LBB78_275:
	s_mov_b32 s17, -1
	s_mov_b32 s1, 0
	s_mov_b32 s16, s14
                                        ; implicit-def: $vgpr2
	s_branch .LBB78_409
.LBB78_276:
	s_mov_b32 s21, -1
	s_mov_b32 s20, 0
	s_mov_b32 s1, s12
	s_branch .LBB78_318
.LBB78_277:
	s_mov_b32 s17, -1
	s_mov_b32 s1, 0
	s_mov_b32 s16, s14
                                        ; implicit-def: $vgpr2
	s_branch .LBB78_404
.LBB78_278:
	s_mov_b32 s21, -1
	s_mov_b32 s20, 0
	s_mov_b32 s1, s12
	s_branch .LBB78_301
.LBB78_279:
	s_and_not1_saveexec_b32 s20, s20
	s_cbranch_execz .LBB78_54
.LBB78_280:
	v_add_f32_e32 v2, 0x46000000, v3
	s_and_not1_b32 s19, s19, exec_lo
	s_delay_alu instid0(VALU_DEP_1) | instskip(NEXT) | instid1(VALU_DEP_1)
	v_and_b32_e32 v2, 0xff, v2
	v_cmp_ne_u32_e32 vcc_lo, 0, v2
	s_and_b32 s21, vcc_lo, exec_lo
	s_delay_alu instid0(SALU_CYCLE_1)
	s_or_b32 s19, s19, s21
	s_or_b32 exec_lo, exec_lo, s20
	v_mov_b32_e32 v5, 0
	s_and_saveexec_b32 s20, s19
	s_cbranch_execnz .LBB78_55
	s_branch .LBB78_56
.LBB78_281:
	s_mov_b32 s17, -1
	s_mov_b32 s1, 0
	s_mov_b32 s16, s14
	s_branch .LBB78_286
.LBB78_282:
	s_mov_b32 s21, -1
	s_mov_b32 s20, 0
	s_mov_b32 s1, s12
	s_branch .LBB78_297
.LBB78_283:
	s_and_not1_saveexec_b32 s20, s20
	s_cbranch_execz .LBB78_67
.LBB78_284:
	v_add_f32_e32 v2, 0x42800000, v3
	s_and_not1_b32 s19, s19, exec_lo
	s_delay_alu instid0(VALU_DEP_1) | instskip(NEXT) | instid1(VALU_DEP_1)
	v_and_b32_e32 v2, 0xff, v2
	v_cmp_ne_u32_e32 vcc_lo, 0, v2
	s_and_b32 s21, vcc_lo, exec_lo
	s_delay_alu instid0(SALU_CYCLE_1)
	s_or_b32 s19, s19, s21
	s_or_b32 exec_lo, exec_lo, s20
	v_mov_b32_e32 v5, 0
	s_and_saveexec_b32 s20, s19
	s_cbranch_execnz .LBB78_68
	s_branch .LBB78_69
.LBB78_285:
	s_mov_b32 s16, -1
	s_mov_b32 s1, 0
.LBB78_286:
                                        ; implicit-def: $vgpr2
.LBB78_287:
	s_and_b32 vcc_lo, exec_lo, s17
	s_cbranch_vccz .LBB78_403
; %bb.288:
	s_cmp_eq_u32 s0, 44
	s_cbranch_scc0 .LBB78_402
; %bb.289:
	s_wait_loadcnt 0x0
	global_load_u8 v2, v[0:1], off
	s_mov_b32 s16, 0
	s_mov_b32 s1, -1
	s_wait_loadcnt 0x0
	v_lshlrev_b32_e32 v3, 23, v2
	v_cmp_ne_u32_e32 vcc_lo, 0xff, v2
	s_delay_alu instid0(VALU_DEP_2) | instskip(SKIP_1) | instid1(VALU_DEP_2)
	v_cndmask_b32_e32 v3, 0x7f800001, v3, vcc_lo
	v_cmp_ne_u32_e32 vcc_lo, 0, v2
	v_cndmask_b32_e32 v2, 0x400000, v3, vcc_lo
	s_branch .LBB78_403
.LBB78_290:
	s_mov_b32 s21, -1
	s_mov_b32 s20, 0
	s_mov_b32 s1, s12
.LBB78_291:
	s_and_b32 vcc_lo, exec_lo, s21
	s_cbranch_vccz .LBB78_296
; %bb.292:
	s_cmp_eq_u32 s19, 44
	s_mov_b32 s1, -1
	s_cbranch_scc0 .LBB78_296
; %bb.293:
	v_cndmask_b32_e64 v5, 0, 1.0, s0
	s_mov_b32 s20, exec_lo
	s_wait_xcnt 0x0
	s_delay_alu instid0(VALU_DEP_1) | instskip(NEXT) | instid1(VALU_DEP_1)
	v_dual_mov_b32 v3, 0xff :: v_dual_lshrrev_b32 v2, 23, v5
	v_cmpx_ne_u32_e32 0xff, v2
; %bb.294:
	v_and_b32_e32 v3, 0x400000, v5
	v_and_or_b32 v5, 0x3fffff, v5, v2
	s_delay_alu instid0(VALU_DEP_2) | instskip(NEXT) | instid1(VALU_DEP_2)
	v_cmp_ne_u32_e32 vcc_lo, 0, v3
	v_cmp_ne_u32_e64 s1, 0, v5
	s_and_b32 s1, vcc_lo, s1
	s_delay_alu instid0(SALU_CYCLE_1) | instskip(NEXT) | instid1(VALU_DEP_1)
	v_cndmask_b32_e64 v3, 0, 1, s1
	v_add_nc_u32_e32 v3, v2, v3
; %bb.295:
	s_or_b32 exec_lo, exec_lo, s20
	s_mov_b32 s20, -1
	s_mov_b32 s1, 0
	global_store_b8 v[0:1], v3, off
.LBB78_296:
	s_mov_b32 s21, 0
.LBB78_297:
	s_delay_alu instid0(SALU_CYCLE_1)
	s_and_b32 vcc_lo, exec_lo, s21
	s_cbranch_vccz .LBB78_300
; %bb.298:
	s_cmp_eq_u32 s19, 29
	s_mov_b32 s1, -1
	s_cbranch_scc0 .LBB78_300
; %bb.299:
	s_mov_b32 s1, 0
	s_wait_xcnt 0x0
	v_cndmask_b32_e64 v2, 0, 1, s0
	v_mov_b32_e32 v3, s1
	s_mov_b32 s20, -1
	s_mov_b32 s21, 0
	global_store_b64 v[0:1], v[2:3], off
	s_branch .LBB78_301
.LBB78_300:
	s_mov_b32 s21, 0
.LBB78_301:
	s_delay_alu instid0(SALU_CYCLE_1)
	s_and_b32 vcc_lo, exec_lo, s21
	s_cbranch_vccz .LBB78_317
; %bb.302:
	s_cmp_lt_i32 s19, 27
	s_mov_b32 s20, -1
	s_cbranch_scc1 .LBB78_308
; %bb.303:
	s_cmp_gt_i32 s19, 27
	s_cbranch_scc0 .LBB78_305
; %bb.304:
	s_wait_xcnt 0x0
	v_cndmask_b32_e64 v2, 0, 1, s0
	s_mov_b32 s20, 0
	global_store_b32 v[0:1], v2, off
.LBB78_305:
	s_and_not1_b32 vcc_lo, exec_lo, s20
	s_cbranch_vccnz .LBB78_307
; %bb.306:
	s_wait_xcnt 0x0
	v_cndmask_b32_e64 v2, 0, 1, s0
	global_store_b16 v[0:1], v2, off
.LBB78_307:
	s_mov_b32 s20, 0
.LBB78_308:
	s_delay_alu instid0(SALU_CYCLE_1)
	s_and_not1_b32 vcc_lo, exec_lo, s20
	s_cbranch_vccnz .LBB78_316
; %bb.309:
	s_wait_xcnt 0x0
	v_cndmask_b32_e64 v3, 0, 1.0, s0
	v_mov_b32_e32 v5, 0x80
	s_mov_b32 s20, exec_lo
	s_delay_alu instid0(VALU_DEP_2)
	v_cmpx_gt_u32_e32 0x43800000, v3
	s_cbranch_execz .LBB78_315
; %bb.310:
	s_mov_b32 s21, 0
	s_mov_b32 s22, exec_lo
                                        ; implicit-def: $vgpr2
	v_cmpx_lt_u32_e32 0x3bffffff, v3
	s_xor_b32 s22, exec_lo, s22
	s_cbranch_execz .LBB78_528
; %bb.311:
	v_bfe_u32 v2, v3, 20, 1
	s_mov_b32 s21, exec_lo
	s_delay_alu instid0(VALU_DEP_1) | instskip(NEXT) | instid1(VALU_DEP_1)
	v_add3_u32 v2, v3, v2, 0x487ffff
                                        ; implicit-def: $vgpr3
	v_lshrrev_b32_e32 v2, 20, v2
	s_and_not1_saveexec_b32 s22, s22
	s_cbranch_execnz .LBB78_529
.LBB78_312:
	s_or_b32 exec_lo, exec_lo, s22
	v_mov_b32_e32 v5, 0
	s_and_saveexec_b32 s22, s21
.LBB78_313:
	v_mov_b32_e32 v5, v2
.LBB78_314:
	s_or_b32 exec_lo, exec_lo, s22
.LBB78_315:
	s_delay_alu instid0(SALU_CYCLE_1)
	s_or_b32 exec_lo, exec_lo, s20
	global_store_b8 v[0:1], v5, off
.LBB78_316:
	s_mov_b32 s20, -1
.LBB78_317:
	s_mov_b32 s21, 0
.LBB78_318:
	s_delay_alu instid0(SALU_CYCLE_1)
	s_and_b32 vcc_lo, exec_lo, s21
	s_cbranch_vccz .LBB78_359
; %bb.319:
	s_cmp_gt_i32 s19, 22
	s_mov_b32 s21, -1
	s_cbranch_scc0 .LBB78_351
; %bb.320:
	s_cmp_lt_i32 s19, 24
	s_mov_b32 s20, -1
	s_cbranch_scc1 .LBB78_340
; %bb.321:
	s_cmp_gt_i32 s19, 24
	s_cbranch_scc0 .LBB78_329
; %bb.322:
	s_wait_xcnt 0x0
	v_cndmask_b32_e64 v3, 0, 1.0, s0
	v_mov_b32_e32 v5, 0x80
	s_mov_b32 s20, exec_lo
	s_delay_alu instid0(VALU_DEP_2)
	v_cmpx_gt_u32_e32 0x47800000, v3
	s_cbranch_execz .LBB78_328
; %bb.323:
	s_mov_b32 s21, 0
	s_mov_b32 s22, exec_lo
                                        ; implicit-def: $vgpr2
	v_cmpx_lt_u32_e32 0x37ffffff, v3
	s_xor_b32 s22, exec_lo, s22
	s_cbranch_execz .LBB78_531
; %bb.324:
	v_bfe_u32 v2, v3, 21, 1
	s_mov_b32 s21, exec_lo
	s_delay_alu instid0(VALU_DEP_1) | instskip(NEXT) | instid1(VALU_DEP_1)
	v_add3_u32 v2, v3, v2, 0x88fffff
                                        ; implicit-def: $vgpr3
	v_lshrrev_b32_e32 v2, 21, v2
	s_and_not1_saveexec_b32 s22, s22
	s_cbranch_execnz .LBB78_532
.LBB78_325:
	s_or_b32 exec_lo, exec_lo, s22
	v_mov_b32_e32 v5, 0
	s_and_saveexec_b32 s22, s21
.LBB78_326:
	v_mov_b32_e32 v5, v2
.LBB78_327:
	s_or_b32 exec_lo, exec_lo, s22
.LBB78_328:
	s_delay_alu instid0(SALU_CYCLE_1)
	s_or_b32 exec_lo, exec_lo, s20
	s_mov_b32 s20, 0
	global_store_b8 v[0:1], v5, off
.LBB78_329:
	s_and_b32 vcc_lo, exec_lo, s20
	s_cbranch_vccz .LBB78_339
; %bb.330:
	s_wait_xcnt 0x0
	v_cndmask_b32_e64 v3, 0, 1.0, s0
	s_mov_b32 s20, exec_lo
                                        ; implicit-def: $vgpr2
	s_delay_alu instid0(VALU_DEP_1)
	v_cmpx_gt_u32_e32 0x43f00000, v3
	s_xor_b32 s20, exec_lo, s20
	s_cbranch_execz .LBB78_336
; %bb.331:
	s_mov_b32 s21, exec_lo
                                        ; implicit-def: $vgpr2
	v_cmpx_lt_u32_e32 0x3c7fffff, v3
	s_xor_b32 s21, exec_lo, s21
; %bb.332:
	v_bfe_u32 v2, v3, 20, 1
	s_delay_alu instid0(VALU_DEP_1) | instskip(NEXT) | instid1(VALU_DEP_1)
	v_add3_u32 v2, v3, v2, 0x407ffff
	v_and_b32_e32 v3, 0xff00000, v2
	v_lshrrev_b32_e32 v2, 20, v2
	s_delay_alu instid0(VALU_DEP_2) | instskip(NEXT) | instid1(VALU_DEP_2)
	v_cmp_ne_u32_e32 vcc_lo, 0x7f00000, v3
                                        ; implicit-def: $vgpr3
	v_cndmask_b32_e32 v2, 0x7e, v2, vcc_lo
; %bb.333:
	s_and_not1_saveexec_b32 s21, s21
; %bb.334:
	v_add_f32_e32 v2, 0x46800000, v3
; %bb.335:
	s_or_b32 exec_lo, exec_lo, s21
                                        ; implicit-def: $vgpr3
.LBB78_336:
	s_and_not1_saveexec_b32 s20, s20
; %bb.337:
	v_mov_b32_e32 v2, 0x7f
	v_cmp_lt_u32_e32 vcc_lo, 0x7f800000, v3
	s_delay_alu instid0(VALU_DEP_2)
	v_cndmask_b32_e32 v2, 0x7e, v2, vcc_lo
; %bb.338:
	s_or_b32 exec_lo, exec_lo, s20
	global_store_b8 v[0:1], v2, off
.LBB78_339:
	s_mov_b32 s20, 0
.LBB78_340:
	s_delay_alu instid0(SALU_CYCLE_1)
	s_and_not1_b32 vcc_lo, exec_lo, s20
	s_cbranch_vccnz .LBB78_350
; %bb.341:
	s_wait_xcnt 0x0
	v_cndmask_b32_e64 v3, 0, 1.0, s0
	s_mov_b32 s20, exec_lo
                                        ; implicit-def: $vgpr2
	s_delay_alu instid0(VALU_DEP_1)
	v_cmpx_gt_u32_e32 0x47800000, v3
	s_xor_b32 s20, exec_lo, s20
	s_cbranch_execz .LBB78_347
; %bb.342:
	s_mov_b32 s21, exec_lo
                                        ; implicit-def: $vgpr2
	v_cmpx_lt_u32_e32 0x387fffff, v3
	s_xor_b32 s21, exec_lo, s21
; %bb.343:
	v_bfe_u32 v2, v3, 21, 1
	s_delay_alu instid0(VALU_DEP_1) | instskip(NEXT) | instid1(VALU_DEP_1)
	v_add3_u32 v2, v3, v2, 0x80fffff
                                        ; implicit-def: $vgpr3
	v_lshrrev_b32_e32 v2, 21, v2
; %bb.344:
	s_and_not1_saveexec_b32 s21, s21
; %bb.345:
	v_add_f32_e32 v2, 0x43000000, v3
; %bb.346:
	s_or_b32 exec_lo, exec_lo, s21
                                        ; implicit-def: $vgpr3
.LBB78_347:
	s_and_not1_saveexec_b32 s20, s20
; %bb.348:
	v_mov_b32_e32 v2, 0x7f
	v_cmp_lt_u32_e32 vcc_lo, 0x7f800000, v3
	s_delay_alu instid0(VALU_DEP_2)
	v_cndmask_b32_e32 v2, 0x7c, v2, vcc_lo
; %bb.349:
	s_or_b32 exec_lo, exec_lo, s20
	global_store_b8 v[0:1], v2, off
.LBB78_350:
	s_mov_b32 s21, 0
	s_mov_b32 s20, -1
.LBB78_351:
	s_and_not1_b32 vcc_lo, exec_lo, s21
	s_cbranch_vccnz .LBB78_359
; %bb.352:
	s_cmp_gt_i32 s19, 14
	s_mov_b32 s21, -1
	s_cbranch_scc0 .LBB78_356
; %bb.353:
	s_cmp_eq_u32 s19, 15
	s_mov_b32 s1, -1
	s_cbranch_scc0 .LBB78_355
; %bb.354:
	s_wait_xcnt 0x0
	v_cndmask_b32_e64 v2, 0, 1.0, s0
	s_mov_b32 s20, -1
	s_mov_b32 s1, 0
	s_delay_alu instid0(VALU_DEP_1) | instskip(NEXT) | instid1(VALU_DEP_1)
	v_bfe_u32 v3, v2, 16, 1
	v_add3_u32 v2, v2, v3, 0x7fff
	global_store_d16_hi_b16 v[0:1], v2, off
.LBB78_355:
	s_mov_b32 s21, 0
.LBB78_356:
	s_delay_alu instid0(SALU_CYCLE_1)
	s_and_b32 vcc_lo, exec_lo, s21
	s_cbranch_vccz .LBB78_359
; %bb.357:
	s_cmp_eq_u32 s19, 11
	s_mov_b32 s1, -1
	s_cbranch_scc0 .LBB78_359
; %bb.358:
	s_wait_xcnt 0x0
	v_cndmask_b32_e64 v2, 0, 1, s0
	s_mov_b32 s20, -1
	s_mov_b32 s1, 0
	global_store_b8 v[0:1], v2, off
.LBB78_359:
	s_mov_b32 s19, 0
.LBB78_360:
	s_delay_alu instid0(SALU_CYCLE_1)
	s_and_b32 vcc_lo, exec_lo, s19
	s_cbranch_vccz .LBB78_399
; %bb.361:
	s_and_b32 s17, 0xffff, s17
	s_mov_b32 s19, -1
	s_cmp_lt_i32 s17, 5
	s_cbranch_scc1 .LBB78_382
; %bb.362:
	s_cmp_lt_i32 s17, 8
	s_cbranch_scc1 .LBB78_372
; %bb.363:
	s_cmp_lt_i32 s17, 9
	s_cbranch_scc1 .LBB78_369
; %bb.364:
	s_cmp_gt_i32 s17, 9
	s_cbranch_scc0 .LBB78_366
; %bb.365:
	s_wait_xcnt 0x0
	v_cndmask_b32_e64 v2, 0, 1, s0
	v_mov_b32_e32 v8, 0
	s_mov_b32 s19, 0
	s_delay_alu instid0(VALU_DEP_2) | instskip(NEXT) | instid1(VALU_DEP_2)
	v_cvt_f64_u32_e32 v[6:7], v2
	v_mov_b32_e32 v9, v8
	global_store_b128 v[0:1], v[6:9], off
.LBB78_366:
	s_and_not1_b32 vcc_lo, exec_lo, s19
	s_cbranch_vccnz .LBB78_368
; %bb.367:
	s_wait_xcnt 0x0
	v_cndmask_b32_e64 v2, 0, 1.0, s0
	v_mov_b32_e32 v3, 0
	global_store_b64 v[0:1], v[2:3], off
.LBB78_368:
	s_mov_b32 s19, 0
.LBB78_369:
	s_delay_alu instid0(SALU_CYCLE_1)
	s_and_not1_b32 vcc_lo, exec_lo, s19
	s_cbranch_vccnz .LBB78_371
; %bb.370:
	s_wait_xcnt 0x0
	v_cndmask_b32_e64 v2, 0, 1.0, s0
	s_delay_alu instid0(VALU_DEP_1) | instskip(NEXT) | instid1(VALU_DEP_1)
	v_cvt_f16_f32_e32 v2, v2
	v_and_b32_e32 v2, 0xffff, v2
	global_store_b32 v[0:1], v2, off
.LBB78_371:
	s_mov_b32 s19, 0
.LBB78_372:
	s_delay_alu instid0(SALU_CYCLE_1)
	s_and_not1_b32 vcc_lo, exec_lo, s19
	s_cbranch_vccnz .LBB78_381
; %bb.373:
	s_cmp_lt_i32 s17, 6
	s_mov_b32 s19, -1
	s_cbranch_scc1 .LBB78_379
; %bb.374:
	s_cmp_gt_i32 s17, 6
	s_cbranch_scc0 .LBB78_376
; %bb.375:
	s_wait_xcnt 0x0
	v_cndmask_b32_e64 v2, 0, 1, s0
	s_mov_b32 s19, 0
	s_delay_alu instid0(VALU_DEP_1)
	v_cvt_f64_u32_e32 v[2:3], v2
	global_store_b64 v[0:1], v[2:3], off
.LBB78_376:
	s_and_not1_b32 vcc_lo, exec_lo, s19
	s_cbranch_vccnz .LBB78_378
; %bb.377:
	s_wait_xcnt 0x0
	v_cndmask_b32_e64 v2, 0, 1.0, s0
	global_store_b32 v[0:1], v2, off
.LBB78_378:
	s_mov_b32 s19, 0
.LBB78_379:
	s_delay_alu instid0(SALU_CYCLE_1)
	s_and_not1_b32 vcc_lo, exec_lo, s19
	s_cbranch_vccnz .LBB78_381
; %bb.380:
	s_wait_xcnt 0x0
	v_cndmask_b32_e64 v2, 0, 1.0, s0
	s_delay_alu instid0(VALU_DEP_1)
	v_cvt_f16_f32_e32 v2, v2
	global_store_b16 v[0:1], v2, off
.LBB78_381:
	s_mov_b32 s19, 0
.LBB78_382:
	s_delay_alu instid0(SALU_CYCLE_1)
	s_and_not1_b32 vcc_lo, exec_lo, s19
	s_cbranch_vccnz .LBB78_398
; %bb.383:
	s_cmp_lt_i32 s17, 2
	s_mov_b32 s19, -1
	s_cbranch_scc1 .LBB78_393
; %bb.384:
	s_cmp_lt_i32 s17, 3
	s_cbranch_scc1 .LBB78_390
; %bb.385:
	s_cmp_gt_i32 s17, 3
	s_cbranch_scc0 .LBB78_387
; %bb.386:
	s_mov_b32 s19, 0
	s_wait_xcnt 0x0
	v_cndmask_b32_e64 v2, 0, 1, s0
	v_mov_b32_e32 v3, s19
	global_store_b64 v[0:1], v[2:3], off
.LBB78_387:
	s_and_not1_b32 vcc_lo, exec_lo, s19
	s_cbranch_vccnz .LBB78_389
; %bb.388:
	s_wait_xcnt 0x0
	v_cndmask_b32_e64 v2, 0, 1, s0
	global_store_b32 v[0:1], v2, off
.LBB78_389:
	s_mov_b32 s19, 0
.LBB78_390:
	s_delay_alu instid0(SALU_CYCLE_1)
	s_and_not1_b32 vcc_lo, exec_lo, s19
	s_cbranch_vccnz .LBB78_392
; %bb.391:
	s_wait_xcnt 0x0
	v_cndmask_b32_e64 v2, 0, 1, s0
	global_store_b16 v[0:1], v2, off
.LBB78_392:
	s_mov_b32 s19, 0
.LBB78_393:
	s_delay_alu instid0(SALU_CYCLE_1)
	s_and_not1_b32 vcc_lo, exec_lo, s19
	s_cbranch_vccnz .LBB78_398
; %bb.394:
	s_wait_xcnt 0x0
	v_cndmask_b32_e64 v2, 0, 1, s0
	s_cmp_gt_i32 s17, 0
	s_mov_b32 s0, -1
	s_cbranch_scc0 .LBB78_396
; %bb.395:
	s_mov_b32 s0, 0
	global_store_b8 v[0:1], v2, off
.LBB78_396:
	s_and_not1_b32 vcc_lo, exec_lo, s0
	s_cbranch_vccnz .LBB78_398
; %bb.397:
	global_store_b8 v[0:1], v2, off
.LBB78_398:
	s_mov_b32 s20, -1
.LBB78_399:
	s_delay_alu instid0(SALU_CYCLE_1)
	s_and_not1_b32 vcc_lo, exec_lo, s20
	s_cbranch_vccnz .LBB78_401
; %bb.400:
	v_add_nc_u32_e32 v4, 0x80, v4
	s_mov_b32 s0, -1
	s_branch .LBB78_514
.LBB78_401:
	s_mov_b32 s0, 0
	s_branch .LBB78_513
.LBB78_402:
	s_mov_b32 s16, -1
                                        ; implicit-def: $vgpr2
.LBB78_403:
	s_mov_b32 s17, 0
.LBB78_404:
	s_delay_alu instid0(SALU_CYCLE_1)
	s_and_b32 vcc_lo, exec_lo, s17
	s_cbranch_vccz .LBB78_408
; %bb.405:
	s_cmp_eq_u32 s0, 29
	s_cbranch_scc0 .LBB78_407
; %bb.406:
	s_wait_loadcnt 0x0
	global_load_b64 v[2:3], v[0:1], off
	s_mov_b32 s1, -1
	s_mov_b32 s16, 0
	s_mov_b32 s17, 0
	s_wait_loadcnt 0x0
	v_clz_i32_u32_e32 v5, v3
	s_delay_alu instid0(VALU_DEP_1) | instskip(NEXT) | instid1(VALU_DEP_1)
	v_min_u32_e32 v5, 32, v5
	v_lshlrev_b64_e32 v[2:3], v5, v[2:3]
	s_delay_alu instid0(VALU_DEP_1) | instskip(NEXT) | instid1(VALU_DEP_1)
	v_min_u32_e32 v2, 1, v2
	v_dual_sub_nc_u32 v3, 32, v5 :: v_dual_bitop2_b32 v2, v3, v2 bitop3:0x54
	s_delay_alu instid0(VALU_DEP_1) | instskip(NEXT) | instid1(VALU_DEP_1)
	v_cvt_f32_u32_e32 v2, v2
	v_ldexp_f32 v2, v2, v3
	s_branch .LBB78_409
.LBB78_407:
	s_mov_b32 s16, -1
                                        ; implicit-def: $vgpr2
.LBB78_408:
	s_mov_b32 s17, 0
.LBB78_409:
	s_delay_alu instid0(SALU_CYCLE_1)
	s_and_b32 vcc_lo, exec_lo, s17
	s_cbranch_vccz .LBB78_427
; %bb.410:
	s_cmp_lt_i32 s0, 27
	s_cbranch_scc1 .LBB78_413
; %bb.411:
	s_cmp_gt_i32 s0, 27
	s_cbranch_scc0 .LBB78_414
; %bb.412:
	s_wait_loadcnt 0x0
	global_load_b32 v2, v[0:1], off
	s_mov_b32 s1, 0
	s_wait_loadcnt 0x0
	v_cvt_f32_u32_e32 v2, v2
	s_branch .LBB78_415
.LBB78_413:
	s_mov_b32 s1, -1
                                        ; implicit-def: $vgpr2
	s_branch .LBB78_418
.LBB78_414:
	s_mov_b32 s1, -1
                                        ; implicit-def: $vgpr2
.LBB78_415:
	s_delay_alu instid0(SALU_CYCLE_1)
	s_and_not1_b32 vcc_lo, exec_lo, s1
	s_cbranch_vccnz .LBB78_417
; %bb.416:
	s_wait_loadcnt 0x0
	global_load_u16 v2, v[0:1], off
	s_wait_loadcnt 0x0
	v_cvt_f32_u32_e32 v2, v2
.LBB78_417:
	s_mov_b32 s1, 0
.LBB78_418:
	s_delay_alu instid0(SALU_CYCLE_1)
	s_and_not1_b32 vcc_lo, exec_lo, s1
	s_cbranch_vccnz .LBB78_426
; %bb.419:
	global_load_u8 v3, v[0:1], off
	s_mov_b32 s1, 0
	s_mov_b32 s17, exec_lo
	s_wait_loadcnt 0x0
	v_cmpx_lt_i16_e32 0x7f, v3
	s_xor_b32 s17, exec_lo, s17
	s_cbranch_execz .LBB78_440
; %bb.420:
	s_mov_b32 s1, -1
	s_mov_b32 s19, exec_lo
	v_cmpx_eq_u16_e32 0x80, v3
; %bb.421:
	s_xor_b32 s1, exec_lo, -1
; %bb.422:
	s_or_b32 exec_lo, exec_lo, s19
	s_delay_alu instid0(SALU_CYCLE_1)
	s_and_b32 s1, s1, exec_lo
	s_or_saveexec_b32 s17, s17
	v_mov_b32_e32 v2, 0x7f800001
	s_xor_b32 exec_lo, exec_lo, s17
	s_cbranch_execnz .LBB78_441
.LBB78_423:
	s_or_b32 exec_lo, exec_lo, s17
	s_and_saveexec_b32 s17, s1
	s_cbranch_execz .LBB78_425
.LBB78_424:
	v_and_b32_e32 v2, 0xffff, v3
	s_delay_alu instid0(VALU_DEP_1) | instskip(SKIP_1) | instid1(VALU_DEP_2)
	v_dual_lshlrev_b32 v3, 24, v3 :: v_dual_bitop2_b32 v5, 7, v2 bitop3:0x40
	v_bfe_u32 v8, v2, 3, 4
	v_and_b32_e32 v3, 0x80000000, v3
	s_delay_alu instid0(VALU_DEP_3) | instskip(NEXT) | instid1(VALU_DEP_3)
	v_clz_i32_u32_e32 v6, v5
	v_cmp_eq_u32_e32 vcc_lo, 0, v8
	s_delay_alu instid0(VALU_DEP_2) | instskip(NEXT) | instid1(VALU_DEP_1)
	v_min_u32_e32 v6, 32, v6
	v_subrev_nc_u32_e32 v7, 28, v6
	v_sub_nc_u32_e32 v6, 29, v6
	s_delay_alu instid0(VALU_DEP_2) | instskip(NEXT) | instid1(VALU_DEP_2)
	v_lshlrev_b32_e32 v2, v7, v2
	v_cndmask_b32_e32 v6, v8, v6, vcc_lo
	s_delay_alu instid0(VALU_DEP_2) | instskip(NEXT) | instid1(VALU_DEP_1)
	v_and_b32_e32 v2, 7, v2
	v_cndmask_b32_e32 v2, v5, v2, vcc_lo
	s_delay_alu instid0(VALU_DEP_3) | instskip(NEXT) | instid1(VALU_DEP_2)
	v_lshl_add_u32 v5, v6, 23, 0x3b800000
	v_lshlrev_b32_e32 v2, 20, v2
	s_delay_alu instid0(VALU_DEP_1)
	v_or3_b32 v2, v3, v5, v2
.LBB78_425:
	s_or_b32 exec_lo, exec_lo, s17
.LBB78_426:
	s_mov_b32 s1, -1
.LBB78_427:
	s_mov_b32 s17, 0
.LBB78_428:
	s_delay_alu instid0(SALU_CYCLE_1)
	s_and_b32 vcc_lo, exec_lo, s17
	s_cbranch_vccz .LBB78_463
; %bb.429:
	s_cmp_gt_i32 s0, 22
	s_cbranch_scc0 .LBB78_439
; %bb.430:
	s_cmp_lt_i32 s0, 24
	s_cbranch_scc1 .LBB78_442
; %bb.431:
	s_cmp_gt_i32 s0, 24
	s_cbranch_scc0 .LBB78_443
; %bb.432:
	global_load_u8 v3, v[0:1], off
	s_mov_b32 s1, 0
	s_mov_b32 s17, exec_lo
	s_wait_loadcnt 0x0
	v_cmpx_lt_i16_e32 0x7f, v3
	s_xor_b32 s17, exec_lo, s17
	s_cbranch_execz .LBB78_455
; %bb.433:
	s_mov_b32 s1, -1
	s_mov_b32 s19, exec_lo
	v_cmpx_eq_u16_e32 0x80, v3
; %bb.434:
	s_xor_b32 s1, exec_lo, -1
; %bb.435:
	s_or_b32 exec_lo, exec_lo, s19
	s_delay_alu instid0(SALU_CYCLE_1)
	s_and_b32 s1, s1, exec_lo
	s_or_saveexec_b32 s17, s17
	v_mov_b32_e32 v2, 0x7f800001
	s_xor_b32 exec_lo, exec_lo, s17
	s_cbranch_execnz .LBB78_456
.LBB78_436:
	s_or_b32 exec_lo, exec_lo, s17
	s_and_saveexec_b32 s17, s1
	s_cbranch_execz .LBB78_438
.LBB78_437:
	v_and_b32_e32 v2, 0xffff, v3
	s_delay_alu instid0(VALU_DEP_1) | instskip(SKIP_1) | instid1(VALU_DEP_2)
	v_dual_lshlrev_b32 v3, 24, v3 :: v_dual_bitop2_b32 v5, 3, v2 bitop3:0x40
	v_bfe_u32 v8, v2, 2, 5
	v_and_b32_e32 v3, 0x80000000, v3
	s_delay_alu instid0(VALU_DEP_3) | instskip(NEXT) | instid1(VALU_DEP_3)
	v_clz_i32_u32_e32 v6, v5
	v_cmp_eq_u32_e32 vcc_lo, 0, v8
	s_delay_alu instid0(VALU_DEP_2) | instskip(NEXT) | instid1(VALU_DEP_1)
	v_min_u32_e32 v6, 32, v6
	v_subrev_nc_u32_e32 v7, 29, v6
	v_sub_nc_u32_e32 v6, 30, v6
	s_delay_alu instid0(VALU_DEP_2) | instskip(NEXT) | instid1(VALU_DEP_2)
	v_lshlrev_b32_e32 v2, v7, v2
	v_cndmask_b32_e32 v6, v8, v6, vcc_lo
	s_delay_alu instid0(VALU_DEP_2) | instskip(NEXT) | instid1(VALU_DEP_1)
	v_and_b32_e32 v2, 3, v2
	v_cndmask_b32_e32 v2, v5, v2, vcc_lo
	s_delay_alu instid0(VALU_DEP_3) | instskip(NEXT) | instid1(VALU_DEP_2)
	v_lshl_add_u32 v5, v6, 23, 0x37800000
	v_lshlrev_b32_e32 v2, 21, v2
	s_delay_alu instid0(VALU_DEP_1)
	v_or3_b32 v2, v3, v5, v2
.LBB78_438:
	s_or_b32 exec_lo, exec_lo, s17
	s_mov_b32 s1, 0
	s_branch .LBB78_444
.LBB78_439:
	s_mov_b32 s17, -1
                                        ; implicit-def: $vgpr2
	s_branch .LBB78_450
.LBB78_440:
	s_or_saveexec_b32 s17, s17
	v_mov_b32_e32 v2, 0x7f800001
	s_xor_b32 exec_lo, exec_lo, s17
	s_cbranch_execz .LBB78_423
.LBB78_441:
	v_cmp_ne_u16_e32 vcc_lo, 0, v3
	v_mov_b32_e32 v2, 0
	s_and_not1_b32 s1, s1, exec_lo
	s_and_b32 s19, vcc_lo, exec_lo
	s_delay_alu instid0(SALU_CYCLE_1)
	s_or_b32 s1, s1, s19
	s_or_b32 exec_lo, exec_lo, s17
	s_and_saveexec_b32 s17, s1
	s_cbranch_execnz .LBB78_424
	s_branch .LBB78_425
.LBB78_442:
	s_mov_b32 s1, -1
                                        ; implicit-def: $vgpr2
	s_branch .LBB78_447
.LBB78_443:
	s_mov_b32 s1, -1
                                        ; implicit-def: $vgpr2
.LBB78_444:
	s_delay_alu instid0(SALU_CYCLE_1)
	s_and_b32 vcc_lo, exec_lo, s1
	s_cbranch_vccz .LBB78_446
; %bb.445:
	s_wait_loadcnt 0x0
	global_load_u8 v2, v[0:1], off
	s_wait_loadcnt 0x0
	v_lshlrev_b32_e32 v2, 24, v2
	s_delay_alu instid0(VALU_DEP_1) | instskip(NEXT) | instid1(VALU_DEP_1)
	v_and_b32_e32 v3, 0x7f000000, v2
	v_clz_i32_u32_e32 v5, v3
	v_add_nc_u32_e32 v7, 0x1000000, v3
	v_cmp_ne_u32_e32 vcc_lo, 0, v3
	s_delay_alu instid0(VALU_DEP_3) | instskip(NEXT) | instid1(VALU_DEP_1)
	v_min_u32_e32 v5, 32, v5
	v_sub_nc_u32_e64 v5, v5, 4 clamp
	s_delay_alu instid0(VALU_DEP_1) | instskip(NEXT) | instid1(VALU_DEP_1)
	v_dual_lshlrev_b32 v6, v5, v3 :: v_dual_lshlrev_b32 v5, 23, v5
	v_lshrrev_b32_e32 v6, 4, v6
	s_delay_alu instid0(VALU_DEP_1) | instskip(NEXT) | instid1(VALU_DEP_1)
	v_dual_sub_nc_u32 v5, v6, v5 :: v_dual_ashrrev_i32 v6, 8, v7
	v_add_nc_u32_e32 v5, 0x3c000000, v5
	s_delay_alu instid0(VALU_DEP_1) | instskip(NEXT) | instid1(VALU_DEP_1)
	v_and_or_b32 v5, 0x7f800000, v6, v5
	v_cndmask_b32_e32 v3, 0, v5, vcc_lo
	s_delay_alu instid0(VALU_DEP_1)
	v_and_or_b32 v2, 0x80000000, v2, v3
.LBB78_446:
	s_mov_b32 s1, 0
.LBB78_447:
	s_delay_alu instid0(SALU_CYCLE_1)
	s_and_not1_b32 vcc_lo, exec_lo, s1
	s_cbranch_vccnz .LBB78_449
; %bb.448:
	s_wait_loadcnt 0x0
	global_load_u8 v2, v[0:1], off
	s_wait_loadcnt 0x0
	v_lshlrev_b32_e32 v3, 25, v2
	v_lshlrev_b16 v2, 8, v2
	s_delay_alu instid0(VALU_DEP_2) | instskip(NEXT) | instid1(VALU_DEP_2)
	v_cmp_gt_u32_e32 vcc_lo, 0x8000000, v3
	v_and_or_b32 v6, 0x7f00, v2, 0.5
	v_lshrrev_b32_e32 v5, 4, v3
	v_bfe_i32 v2, v2, 0, 16
	s_delay_alu instid0(VALU_DEP_3) | instskip(NEXT) | instid1(VALU_DEP_3)
	v_add_f32_e32 v6, -0.5, v6
	v_or_b32_e32 v5, 0x70000000, v5
	s_delay_alu instid0(VALU_DEP_1) | instskip(NEXT) | instid1(VALU_DEP_1)
	v_mul_f32_e32 v5, 0x7800000, v5
	v_cndmask_b32_e32 v3, v5, v6, vcc_lo
	s_delay_alu instid0(VALU_DEP_1)
	v_and_or_b32 v2, 0x80000000, v2, v3
.LBB78_449:
	s_mov_b32 s17, 0
	s_mov_b32 s1, -1
.LBB78_450:
	s_and_not1_b32 vcc_lo, exec_lo, s17
	s_cbranch_vccnz .LBB78_463
; %bb.451:
	s_cmp_gt_i32 s0, 14
	s_cbranch_scc0 .LBB78_454
; %bb.452:
	s_cmp_eq_u32 s0, 15
	s_cbranch_scc0 .LBB78_457
; %bb.453:
	s_wait_loadcnt 0x0
	global_load_u16 v2, v[0:1], off
	s_mov_b32 s1, -1
	s_mov_b32 s16, 0
	s_wait_loadcnt 0x0
	v_lshlrev_b32_e32 v2, 16, v2
	s_branch .LBB78_458
.LBB78_454:
	s_mov_b32 s17, -1
                                        ; implicit-def: $vgpr2
	s_branch .LBB78_459
.LBB78_455:
	s_or_saveexec_b32 s17, s17
	v_mov_b32_e32 v2, 0x7f800001
	s_xor_b32 exec_lo, exec_lo, s17
	s_cbranch_execz .LBB78_436
.LBB78_456:
	v_cmp_ne_u16_e32 vcc_lo, 0, v3
	v_mov_b32_e32 v2, 0
	s_and_not1_b32 s1, s1, exec_lo
	s_and_b32 s19, vcc_lo, exec_lo
	s_delay_alu instid0(SALU_CYCLE_1)
	s_or_b32 s1, s1, s19
	s_or_b32 exec_lo, exec_lo, s17
	s_and_saveexec_b32 s17, s1
	s_cbranch_execnz .LBB78_437
	s_branch .LBB78_438
.LBB78_457:
	s_mov_b32 s16, -1
                                        ; implicit-def: $vgpr2
.LBB78_458:
	s_mov_b32 s17, 0
.LBB78_459:
	s_delay_alu instid0(SALU_CYCLE_1)
	s_and_b32 vcc_lo, exec_lo, s17
	s_cbranch_vccz .LBB78_463
; %bb.460:
	s_cmp_eq_u32 s0, 11
	s_cbranch_scc0 .LBB78_462
; %bb.461:
	s_wait_loadcnt 0x0
	global_load_u8 v2, v[0:1], off
	s_mov_b32 s16, 0
	s_mov_b32 s1, -1
	s_wait_loadcnt 0x0
	v_cmp_ne_u16_e32 vcc_lo, 0, v2
	v_cndmask_b32_e64 v2, 0, 1.0, vcc_lo
	s_branch .LBB78_463
.LBB78_462:
	s_mov_b32 s16, -1
                                        ; implicit-def: $vgpr2
.LBB78_463:
	s_branch .LBB78_265
.LBB78_464:
	s_cmp_lt_i32 s0, 5
	s_cbranch_scc1 .LBB78_469
; %bb.465:
	s_cmp_lt_i32 s0, 8
	s_cbranch_scc1 .LBB78_470
; %bb.466:
	;; [unrolled: 3-line block ×3, first 2 shown]
	s_cmp_gt_i32 s0, 9
	s_cbranch_scc0 .LBB78_472
; %bb.468:
	s_wait_loadcnt 0x0
	global_load_b64 v[2:3], v[0:1], off
	s_mov_b32 s1, 0
	s_wait_loadcnt 0x0
	v_cvt_f32_f64_e32 v2, v[2:3]
	s_branch .LBB78_473
.LBB78_469:
	s_mov_b32 s1, -1
                                        ; implicit-def: $vgpr2
	s_branch .LBB78_491
.LBB78_470:
	s_mov_b32 s1, -1
                                        ; implicit-def: $vgpr2
	s_branch .LBB78_479
.LBB78_471:
	s_mov_b32 s1, -1
                                        ; implicit-def: $vgpr2
	s_branch .LBB78_476
.LBB78_472:
	s_mov_b32 s1, -1
                                        ; implicit-def: $vgpr2
.LBB78_473:
	s_delay_alu instid0(SALU_CYCLE_1)
	s_and_not1_b32 vcc_lo, exec_lo, s1
	s_cbranch_vccnz .LBB78_475
; %bb.474:
	s_wait_loadcnt 0x0
	global_load_b32 v2, v[0:1], off
.LBB78_475:
	s_mov_b32 s1, 0
.LBB78_476:
	s_delay_alu instid0(SALU_CYCLE_1)
	s_and_not1_b32 vcc_lo, exec_lo, s1
	s_cbranch_vccnz .LBB78_478
; %bb.477:
	s_wait_loadcnt 0x0
	global_load_b32 v2, v[0:1], off
	s_wait_loadcnt 0x0
	v_cvt_f32_f16_e32 v2, v2
.LBB78_478:
	s_mov_b32 s1, 0
.LBB78_479:
	s_delay_alu instid0(SALU_CYCLE_1)
	s_and_not1_b32 vcc_lo, exec_lo, s1
	s_cbranch_vccnz .LBB78_490
; %bb.480:
	s_cmp_lt_i32 s0, 6
	s_cbranch_scc1 .LBB78_483
; %bb.481:
	s_cmp_gt_i32 s0, 6
	s_cbranch_scc0 .LBB78_484
; %bb.482:
	s_wait_loadcnt 0x0
	global_load_b64 v[2:3], v[0:1], off
	s_mov_b32 s1, 0
	s_wait_loadcnt 0x0
	v_cvt_f32_f64_e32 v2, v[2:3]
	s_branch .LBB78_485
.LBB78_483:
	s_mov_b32 s1, -1
                                        ; implicit-def: $vgpr2
	s_branch .LBB78_488
.LBB78_484:
	s_mov_b32 s1, -1
                                        ; implicit-def: $vgpr2
.LBB78_485:
	s_delay_alu instid0(SALU_CYCLE_1)
	s_and_not1_b32 vcc_lo, exec_lo, s1
	s_cbranch_vccnz .LBB78_487
; %bb.486:
	s_wait_loadcnt 0x0
	global_load_b32 v2, v[0:1], off
.LBB78_487:
	s_mov_b32 s1, 0
.LBB78_488:
	s_delay_alu instid0(SALU_CYCLE_1)
	s_and_not1_b32 vcc_lo, exec_lo, s1
	s_cbranch_vccnz .LBB78_490
; %bb.489:
	s_wait_loadcnt 0x0
	global_load_u16 v2, v[0:1], off
	s_wait_loadcnt 0x0
	v_cvt_f32_f16_e32 v2, v2
.LBB78_490:
	s_mov_b32 s1, 0
.LBB78_491:
	s_delay_alu instid0(SALU_CYCLE_1)
	s_and_not1_b32 vcc_lo, exec_lo, s1
	s_cbranch_vccnz .LBB78_511
; %bb.492:
	s_cmp_lt_i32 s0, 2
	s_cbranch_scc1 .LBB78_496
; %bb.493:
	s_cmp_lt_i32 s0, 3
	s_cbranch_scc1 .LBB78_497
; %bb.494:
	s_cmp_gt_i32 s0, 3
	s_cbranch_scc0 .LBB78_498
; %bb.495:
	s_wait_loadcnt 0x0
	global_load_b64 v[2:3], v[0:1], off
	s_mov_b32 s1, 0
	s_wait_loadcnt 0x0
	v_xor_b32_e32 v5, v2, v3
	v_cls_i32_e32 v6, v3
	s_delay_alu instid0(VALU_DEP_2) | instskip(NEXT) | instid1(VALU_DEP_1)
	v_ashrrev_i32_e32 v5, 31, v5
	v_add_nc_u32_e32 v5, 32, v5
	s_delay_alu instid0(VALU_DEP_1) | instskip(NEXT) | instid1(VALU_DEP_1)
	v_add_min_u32_e64 v5, v6, -1, v5
	v_lshlrev_b64_e32 v[2:3], v5, v[2:3]
	s_delay_alu instid0(VALU_DEP_1) | instskip(NEXT) | instid1(VALU_DEP_1)
	v_min_u32_e32 v2, 1, v2
	v_dual_sub_nc_u32 v3, 32, v5 :: v_dual_bitop2_b32 v2, v3, v2 bitop3:0x54
	s_delay_alu instid0(VALU_DEP_1) | instskip(NEXT) | instid1(VALU_DEP_1)
	v_cvt_f32_i32_e32 v2, v2
	v_ldexp_f32 v2, v2, v3
	s_branch .LBB78_499
.LBB78_496:
	s_mov_b32 s1, -1
                                        ; implicit-def: $vgpr2
	s_branch .LBB78_505
.LBB78_497:
	s_mov_b32 s1, -1
                                        ; implicit-def: $vgpr2
	s_branch .LBB78_502
.LBB78_498:
	s_mov_b32 s1, -1
                                        ; implicit-def: $vgpr2
.LBB78_499:
	s_delay_alu instid0(SALU_CYCLE_1)
	s_and_not1_b32 vcc_lo, exec_lo, s1
	s_cbranch_vccnz .LBB78_501
; %bb.500:
	s_wait_loadcnt 0x0
	global_load_b32 v2, v[0:1], off
	s_wait_loadcnt 0x0
	v_cvt_f32_i32_e32 v2, v2
.LBB78_501:
	s_mov_b32 s1, 0
.LBB78_502:
	s_delay_alu instid0(SALU_CYCLE_1)
	s_and_not1_b32 vcc_lo, exec_lo, s1
	s_cbranch_vccnz .LBB78_504
; %bb.503:
	s_wait_loadcnt 0x0
	global_load_i16 v2, v[0:1], off
	s_wait_loadcnt 0x0
	v_cvt_f32_i32_e32 v2, v2
.LBB78_504:
	s_mov_b32 s1, 0
.LBB78_505:
	s_delay_alu instid0(SALU_CYCLE_1)
	s_and_not1_b32 vcc_lo, exec_lo, s1
	s_cbranch_vccnz .LBB78_511
; %bb.506:
	s_cmp_gt_i32 s0, 0
	s_mov_b32 s0, 0
	s_cbranch_scc0 .LBB78_508
; %bb.507:
	s_wait_loadcnt 0x0
	global_load_i8 v2, v[0:1], off
	s_wait_loadcnt 0x0
	v_cvt_f32_i32_e32 v2, v2
	s_branch .LBB78_509
.LBB78_508:
	s_mov_b32 s0, -1
                                        ; implicit-def: $vgpr2
.LBB78_509:
	s_delay_alu instid0(SALU_CYCLE_1)
	s_and_not1_b32 vcc_lo, exec_lo, s0
	s_cbranch_vccnz .LBB78_511
; %bb.510:
	global_load_u8 v0, v[0:1], off
	s_wait_loadcnt 0x0
	v_cvt_f32_ubyte0_e32 v2, v0
.LBB78_511:
	s_branch .LBB78_266
.LBB78_512:
	s_mov_b32 s0, 0
	s_mov_b32 s1, s12
.LBB78_513:
                                        ; implicit-def: $vgpr4
.LBB78_514:
	s_and_not1_b32 s17, s12, exec_lo
	s_and_b32 s1, s1, exec_lo
	s_and_not1_b32 s19, s14, exec_lo
	s_and_b32 s16, s16, exec_lo
	s_or_b32 s17, s17, s1
	s_or_b32 s16, s19, s16
	s_or_not1_b32 s0, s0, exec_lo
.LBB78_515:
	s_wait_xcnt 0x0
	s_or_b32 exec_lo, exec_lo, s18
	s_mov_b32 s1, 0
	s_mov_b32 s19, 0
	s_mov_b32 s20, 0
                                        ; implicit-def: $vgpr0_vgpr1
                                        ; implicit-def: $vgpr2
	s_and_saveexec_b32 s18, s0
	s_cbranch_execz .LBB78_862
; %bb.516:
	s_mov_b32 s20, -1
	s_mov_b32 s0, s16
	s_mov_b32 s1, s17
	s_mov_b32 s19, exec_lo
	v_cmpx_gt_i32_e64 s13, v4
	s_cbranch_execz .LBB78_776
; %bb.517:
	v_mul_lo_u32 v0, v4, s3
	s_and_b32 s0, 0xffff, s10
	s_delay_alu instid0(SALU_CYCLE_1) | instskip(NEXT) | instid1(VALU_DEP_1)
	s_cmp_lt_i32 s0, 11
	v_ashrrev_i32_e32 v1, 31, v0
	s_delay_alu instid0(VALU_DEP_1)
	v_add_nc_u64_e32 v[0:1], s[6:7], v[0:1]
	s_cbranch_scc1 .LBB78_524
; %bb.518:
	s_cmp_gt_i32 s0, 25
	s_cbranch_scc0 .LBB78_525
; %bb.519:
	s_cmp_gt_i32 s0, 28
	s_cbranch_scc0 .LBB78_526
	;; [unrolled: 3-line block ×4, first 2 shown]
; %bb.522:
	s_cmp_eq_u32 s0, 46
	s_mov_b32 s21, 0
	s_cbranch_scc0 .LBB78_533
; %bb.523:
	s_wait_loadcnt 0x0
	global_load_b32 v2, v[0:1], off
	s_mov_b32 s1, -1
	s_mov_b32 s20, 0
	s_wait_loadcnt 0x0
	v_lshlrev_b32_e32 v2, 16, v2
	s_branch .LBB78_535
.LBB78_524:
	s_mov_b32 s21, -1
	s_mov_b32 s1, 0
	s_mov_b32 s20, s16
                                        ; implicit-def: $vgpr2
	s_branch .LBB78_600
.LBB78_525:
	s_mov_b32 s21, -1
	s_mov_b32 s1, 0
	s_mov_b32 s20, s16
                                        ; implicit-def: $vgpr2
	s_branch .LBB78_564
.LBB78_526:
	s_mov_b32 s21, -1
	s_mov_b32 s1, 0
	s_mov_b32 s20, s16
                                        ; implicit-def: $vgpr2
	s_branch .LBB78_545
.LBB78_527:
	s_mov_b32 s21, -1
	s_mov_b32 s1, 0
	s_mov_b32 s20, s16
                                        ; implicit-def: $vgpr2
	s_branch .LBB78_540
.LBB78_528:
	s_and_not1_saveexec_b32 s22, s22
	s_cbranch_execz .LBB78_312
.LBB78_529:
	v_add_f32_e32 v2, 0x46000000, v3
	s_and_not1_b32 s21, s21, exec_lo
	s_delay_alu instid0(VALU_DEP_1) | instskip(NEXT) | instid1(VALU_DEP_1)
	v_and_b32_e32 v2, 0xff, v2
	v_cmp_ne_u32_e32 vcc_lo, 0, v2
	s_and_b32 s23, vcc_lo, exec_lo
	s_delay_alu instid0(SALU_CYCLE_1)
	s_or_b32 s21, s21, s23
	s_or_b32 exec_lo, exec_lo, s22
	v_mov_b32_e32 v5, 0
	s_and_saveexec_b32 s22, s21
	s_cbranch_execnz .LBB78_313
	s_branch .LBB78_314
.LBB78_530:
	s_mov_b32 s21, -1
	s_mov_b32 s1, 0
	s_mov_b32 s20, s16
	s_branch .LBB78_534
.LBB78_531:
	s_and_not1_saveexec_b32 s22, s22
	s_cbranch_execz .LBB78_325
.LBB78_532:
	v_add_f32_e32 v2, 0x42800000, v3
	s_and_not1_b32 s21, s21, exec_lo
	s_delay_alu instid0(VALU_DEP_1) | instskip(NEXT) | instid1(VALU_DEP_1)
	v_and_b32_e32 v2, 0xff, v2
	v_cmp_ne_u32_e32 vcc_lo, 0, v2
	s_and_b32 s23, vcc_lo, exec_lo
	s_delay_alu instid0(SALU_CYCLE_1)
	s_or_b32 s21, s21, s23
	s_or_b32 exec_lo, exec_lo, s22
	v_mov_b32_e32 v5, 0
	s_and_saveexec_b32 s22, s21
	s_cbranch_execnz .LBB78_326
	s_branch .LBB78_327
.LBB78_533:
	s_mov_b32 s1, 0
.LBB78_534:
                                        ; implicit-def: $vgpr2
.LBB78_535:
	s_and_b32 vcc_lo, exec_lo, s21
	s_cbranch_vccz .LBB78_539
; %bb.536:
	s_cmp_eq_u32 s0, 44
	s_cbranch_scc0 .LBB78_538
; %bb.537:
	s_wait_loadcnt 0x0
	global_load_u8 v2, v[0:1], off
	s_mov_b32 s20, 0
	s_mov_b32 s1, -1
	s_wait_loadcnt 0x0
	v_lshlrev_b32_e32 v3, 23, v2
	v_cmp_ne_u32_e32 vcc_lo, 0xff, v2
	s_delay_alu instid0(VALU_DEP_2) | instskip(SKIP_1) | instid1(VALU_DEP_2)
	v_cndmask_b32_e32 v3, 0x7f800001, v3, vcc_lo
	v_cmp_ne_u32_e32 vcc_lo, 0, v2
	v_cndmask_b32_e32 v2, 0x400000, v3, vcc_lo
	s_branch .LBB78_539
.LBB78_538:
	s_mov_b32 s20, -1
                                        ; implicit-def: $vgpr2
.LBB78_539:
	s_mov_b32 s21, 0
.LBB78_540:
	s_delay_alu instid0(SALU_CYCLE_1)
	s_and_b32 vcc_lo, exec_lo, s21
	s_cbranch_vccz .LBB78_544
; %bb.541:
	s_cmp_eq_u32 s0, 29
	s_cbranch_scc0 .LBB78_543
; %bb.542:
	s_wait_loadcnt 0x0
	global_load_b64 v[2:3], v[0:1], off
	s_mov_b32 s1, -1
	s_mov_b32 s20, 0
	s_mov_b32 s21, 0
	s_wait_loadcnt 0x0
	v_clz_i32_u32_e32 v5, v3
	s_delay_alu instid0(VALU_DEP_1) | instskip(NEXT) | instid1(VALU_DEP_1)
	v_min_u32_e32 v5, 32, v5
	v_lshlrev_b64_e32 v[2:3], v5, v[2:3]
	s_delay_alu instid0(VALU_DEP_1) | instskip(NEXT) | instid1(VALU_DEP_1)
	v_min_u32_e32 v2, 1, v2
	v_dual_sub_nc_u32 v3, 32, v5 :: v_dual_bitop2_b32 v2, v3, v2 bitop3:0x54
	s_delay_alu instid0(VALU_DEP_1) | instskip(NEXT) | instid1(VALU_DEP_1)
	v_cvt_f32_u32_e32 v2, v2
	v_ldexp_f32 v2, v2, v3
	s_branch .LBB78_545
.LBB78_543:
	s_mov_b32 s20, -1
                                        ; implicit-def: $vgpr2
.LBB78_544:
	s_mov_b32 s21, 0
.LBB78_545:
	s_delay_alu instid0(SALU_CYCLE_1)
	s_and_b32 vcc_lo, exec_lo, s21
	s_cbranch_vccz .LBB78_563
; %bb.546:
	s_cmp_lt_i32 s0, 27
	s_cbranch_scc1 .LBB78_549
; %bb.547:
	s_cmp_gt_i32 s0, 27
	s_cbranch_scc0 .LBB78_550
; %bb.548:
	s_wait_loadcnt 0x0
	global_load_b32 v2, v[0:1], off
	s_mov_b32 s1, 0
	s_wait_loadcnt 0x0
	v_cvt_f32_u32_e32 v2, v2
	s_branch .LBB78_551
.LBB78_549:
	s_mov_b32 s1, -1
                                        ; implicit-def: $vgpr2
	s_branch .LBB78_554
.LBB78_550:
	s_mov_b32 s1, -1
                                        ; implicit-def: $vgpr2
.LBB78_551:
	s_delay_alu instid0(SALU_CYCLE_1)
	s_and_not1_b32 vcc_lo, exec_lo, s1
	s_cbranch_vccnz .LBB78_553
; %bb.552:
	s_wait_loadcnt 0x0
	global_load_u16 v2, v[0:1], off
	s_wait_loadcnt 0x0
	v_cvt_f32_u32_e32 v2, v2
.LBB78_553:
	s_mov_b32 s1, 0
.LBB78_554:
	s_delay_alu instid0(SALU_CYCLE_1)
	s_and_not1_b32 vcc_lo, exec_lo, s1
	s_cbranch_vccnz .LBB78_562
; %bb.555:
	global_load_u8 v3, v[0:1], off
	s_mov_b32 s1, 0
	s_mov_b32 s21, exec_lo
	s_wait_loadcnt 0x0
	v_cmpx_lt_i16_e32 0x7f, v3
	s_xor_b32 s21, exec_lo, s21
	s_cbranch_execz .LBB78_576
; %bb.556:
	s_mov_b32 s1, -1
	s_mov_b32 s22, exec_lo
	v_cmpx_eq_u16_e32 0x80, v3
; %bb.557:
	s_xor_b32 s1, exec_lo, -1
; %bb.558:
	s_or_b32 exec_lo, exec_lo, s22
	s_delay_alu instid0(SALU_CYCLE_1)
	s_and_b32 s1, s1, exec_lo
	s_or_saveexec_b32 s21, s21
	v_mov_b32_e32 v2, 0x7f800001
	s_xor_b32 exec_lo, exec_lo, s21
	s_cbranch_execnz .LBB78_577
.LBB78_559:
	s_or_b32 exec_lo, exec_lo, s21
	s_and_saveexec_b32 s21, s1
	s_cbranch_execz .LBB78_561
.LBB78_560:
	v_and_b32_e32 v2, 0xffff, v3
	s_delay_alu instid0(VALU_DEP_1) | instskip(SKIP_1) | instid1(VALU_DEP_2)
	v_dual_lshlrev_b32 v3, 24, v3 :: v_dual_bitop2_b32 v5, 7, v2 bitop3:0x40
	v_bfe_u32 v8, v2, 3, 4
	v_and_b32_e32 v3, 0x80000000, v3
	s_delay_alu instid0(VALU_DEP_3) | instskip(NEXT) | instid1(VALU_DEP_3)
	v_clz_i32_u32_e32 v6, v5
	v_cmp_eq_u32_e32 vcc_lo, 0, v8
	s_delay_alu instid0(VALU_DEP_2) | instskip(NEXT) | instid1(VALU_DEP_1)
	v_min_u32_e32 v6, 32, v6
	v_subrev_nc_u32_e32 v7, 28, v6
	v_sub_nc_u32_e32 v6, 29, v6
	s_delay_alu instid0(VALU_DEP_2) | instskip(NEXT) | instid1(VALU_DEP_2)
	v_lshlrev_b32_e32 v2, v7, v2
	v_cndmask_b32_e32 v6, v8, v6, vcc_lo
	s_delay_alu instid0(VALU_DEP_2) | instskip(NEXT) | instid1(VALU_DEP_1)
	v_and_b32_e32 v2, 7, v2
	v_cndmask_b32_e32 v2, v5, v2, vcc_lo
	s_delay_alu instid0(VALU_DEP_3) | instskip(NEXT) | instid1(VALU_DEP_2)
	v_lshl_add_u32 v5, v6, 23, 0x3b800000
	v_lshlrev_b32_e32 v2, 20, v2
	s_delay_alu instid0(VALU_DEP_1)
	v_or3_b32 v2, v3, v5, v2
.LBB78_561:
	s_or_b32 exec_lo, exec_lo, s21
.LBB78_562:
	s_mov_b32 s1, -1
.LBB78_563:
	s_mov_b32 s21, 0
.LBB78_564:
	s_delay_alu instid0(SALU_CYCLE_1)
	s_and_b32 vcc_lo, exec_lo, s21
	s_cbranch_vccz .LBB78_599
; %bb.565:
	s_cmp_gt_i32 s0, 22
	s_cbranch_scc0 .LBB78_575
; %bb.566:
	s_cmp_lt_i32 s0, 24
	s_cbranch_scc1 .LBB78_578
; %bb.567:
	s_cmp_gt_i32 s0, 24
	s_cbranch_scc0 .LBB78_579
; %bb.568:
	global_load_u8 v3, v[0:1], off
	s_mov_b32 s1, 0
	s_mov_b32 s21, exec_lo
	s_wait_loadcnt 0x0
	v_cmpx_lt_i16_e32 0x7f, v3
	s_xor_b32 s21, exec_lo, s21
	s_cbranch_execz .LBB78_591
; %bb.569:
	s_mov_b32 s1, -1
	s_mov_b32 s22, exec_lo
	v_cmpx_eq_u16_e32 0x80, v3
; %bb.570:
	s_xor_b32 s1, exec_lo, -1
; %bb.571:
	s_or_b32 exec_lo, exec_lo, s22
	s_delay_alu instid0(SALU_CYCLE_1)
	s_and_b32 s1, s1, exec_lo
	s_or_saveexec_b32 s21, s21
	v_mov_b32_e32 v2, 0x7f800001
	s_xor_b32 exec_lo, exec_lo, s21
	s_cbranch_execnz .LBB78_592
.LBB78_572:
	s_or_b32 exec_lo, exec_lo, s21
	s_and_saveexec_b32 s21, s1
	s_cbranch_execz .LBB78_574
.LBB78_573:
	v_and_b32_e32 v2, 0xffff, v3
	s_delay_alu instid0(VALU_DEP_1) | instskip(SKIP_1) | instid1(VALU_DEP_2)
	v_dual_lshlrev_b32 v3, 24, v3 :: v_dual_bitop2_b32 v5, 3, v2 bitop3:0x40
	v_bfe_u32 v8, v2, 2, 5
	v_and_b32_e32 v3, 0x80000000, v3
	s_delay_alu instid0(VALU_DEP_3) | instskip(NEXT) | instid1(VALU_DEP_3)
	v_clz_i32_u32_e32 v6, v5
	v_cmp_eq_u32_e32 vcc_lo, 0, v8
	s_delay_alu instid0(VALU_DEP_2) | instskip(NEXT) | instid1(VALU_DEP_1)
	v_min_u32_e32 v6, 32, v6
	v_subrev_nc_u32_e32 v7, 29, v6
	v_sub_nc_u32_e32 v6, 30, v6
	s_delay_alu instid0(VALU_DEP_2) | instskip(NEXT) | instid1(VALU_DEP_2)
	v_lshlrev_b32_e32 v2, v7, v2
	v_cndmask_b32_e32 v6, v8, v6, vcc_lo
	s_delay_alu instid0(VALU_DEP_2) | instskip(NEXT) | instid1(VALU_DEP_1)
	v_and_b32_e32 v2, 3, v2
	v_cndmask_b32_e32 v2, v5, v2, vcc_lo
	s_delay_alu instid0(VALU_DEP_3) | instskip(NEXT) | instid1(VALU_DEP_2)
	v_lshl_add_u32 v5, v6, 23, 0x37800000
	v_lshlrev_b32_e32 v2, 21, v2
	s_delay_alu instid0(VALU_DEP_1)
	v_or3_b32 v2, v3, v5, v2
.LBB78_574:
	s_or_b32 exec_lo, exec_lo, s21
	s_mov_b32 s1, 0
	s_branch .LBB78_580
.LBB78_575:
	s_mov_b32 s21, -1
                                        ; implicit-def: $vgpr2
	s_branch .LBB78_586
.LBB78_576:
	s_or_saveexec_b32 s21, s21
	v_mov_b32_e32 v2, 0x7f800001
	s_xor_b32 exec_lo, exec_lo, s21
	s_cbranch_execz .LBB78_559
.LBB78_577:
	v_cmp_ne_u16_e32 vcc_lo, 0, v3
	v_mov_b32_e32 v2, 0
	s_and_not1_b32 s1, s1, exec_lo
	s_and_b32 s22, vcc_lo, exec_lo
	s_delay_alu instid0(SALU_CYCLE_1)
	s_or_b32 s1, s1, s22
	s_or_b32 exec_lo, exec_lo, s21
	s_and_saveexec_b32 s21, s1
	s_cbranch_execnz .LBB78_560
	s_branch .LBB78_561
.LBB78_578:
	s_mov_b32 s1, -1
                                        ; implicit-def: $vgpr2
	s_branch .LBB78_583
.LBB78_579:
	s_mov_b32 s1, -1
                                        ; implicit-def: $vgpr2
.LBB78_580:
	s_delay_alu instid0(SALU_CYCLE_1)
	s_and_b32 vcc_lo, exec_lo, s1
	s_cbranch_vccz .LBB78_582
; %bb.581:
	s_wait_loadcnt 0x0
	global_load_u8 v2, v[0:1], off
	s_wait_loadcnt 0x0
	v_lshlrev_b32_e32 v2, 24, v2
	s_delay_alu instid0(VALU_DEP_1) | instskip(NEXT) | instid1(VALU_DEP_1)
	v_and_b32_e32 v3, 0x7f000000, v2
	v_clz_i32_u32_e32 v5, v3
	v_add_nc_u32_e32 v7, 0x1000000, v3
	v_cmp_ne_u32_e32 vcc_lo, 0, v3
	s_delay_alu instid0(VALU_DEP_3) | instskip(NEXT) | instid1(VALU_DEP_1)
	v_min_u32_e32 v5, 32, v5
	v_sub_nc_u32_e64 v5, v5, 4 clamp
	s_delay_alu instid0(VALU_DEP_1) | instskip(NEXT) | instid1(VALU_DEP_1)
	v_dual_lshlrev_b32 v6, v5, v3 :: v_dual_lshlrev_b32 v5, 23, v5
	v_lshrrev_b32_e32 v6, 4, v6
	s_delay_alu instid0(VALU_DEP_1) | instskip(NEXT) | instid1(VALU_DEP_1)
	v_dual_sub_nc_u32 v5, v6, v5 :: v_dual_ashrrev_i32 v6, 8, v7
	v_add_nc_u32_e32 v5, 0x3c000000, v5
	s_delay_alu instid0(VALU_DEP_1) | instskip(NEXT) | instid1(VALU_DEP_1)
	v_and_or_b32 v5, 0x7f800000, v6, v5
	v_cndmask_b32_e32 v3, 0, v5, vcc_lo
	s_delay_alu instid0(VALU_DEP_1)
	v_and_or_b32 v2, 0x80000000, v2, v3
.LBB78_582:
	s_mov_b32 s1, 0
.LBB78_583:
	s_delay_alu instid0(SALU_CYCLE_1)
	s_and_not1_b32 vcc_lo, exec_lo, s1
	s_cbranch_vccnz .LBB78_585
; %bb.584:
	s_wait_loadcnt 0x0
	global_load_u8 v2, v[0:1], off
	s_wait_loadcnt 0x0
	v_lshlrev_b32_e32 v3, 25, v2
	v_lshlrev_b16 v2, 8, v2
	s_delay_alu instid0(VALU_DEP_2) | instskip(NEXT) | instid1(VALU_DEP_2)
	v_cmp_gt_u32_e32 vcc_lo, 0x8000000, v3
	v_and_or_b32 v6, 0x7f00, v2, 0.5
	v_lshrrev_b32_e32 v5, 4, v3
	v_bfe_i32 v2, v2, 0, 16
	s_delay_alu instid0(VALU_DEP_3) | instskip(NEXT) | instid1(VALU_DEP_3)
	v_add_f32_e32 v6, -0.5, v6
	v_or_b32_e32 v5, 0x70000000, v5
	s_delay_alu instid0(VALU_DEP_1) | instskip(NEXT) | instid1(VALU_DEP_1)
	v_mul_f32_e32 v5, 0x7800000, v5
	v_cndmask_b32_e32 v3, v5, v6, vcc_lo
	s_delay_alu instid0(VALU_DEP_1)
	v_and_or_b32 v2, 0x80000000, v2, v3
.LBB78_585:
	s_mov_b32 s21, 0
	s_mov_b32 s1, -1
.LBB78_586:
	s_and_not1_b32 vcc_lo, exec_lo, s21
	s_cbranch_vccnz .LBB78_599
; %bb.587:
	s_cmp_gt_i32 s0, 14
	s_cbranch_scc0 .LBB78_590
; %bb.588:
	s_cmp_eq_u32 s0, 15
	s_cbranch_scc0 .LBB78_593
; %bb.589:
	s_wait_loadcnt 0x0
	global_load_u16 v2, v[0:1], off
	s_mov_b32 s1, -1
	s_mov_b32 s20, 0
	s_wait_loadcnt 0x0
	v_lshlrev_b32_e32 v2, 16, v2
	s_branch .LBB78_594
.LBB78_590:
	s_mov_b32 s21, -1
                                        ; implicit-def: $vgpr2
	s_branch .LBB78_595
.LBB78_591:
	s_or_saveexec_b32 s21, s21
	v_mov_b32_e32 v2, 0x7f800001
	s_xor_b32 exec_lo, exec_lo, s21
	s_cbranch_execz .LBB78_572
.LBB78_592:
	v_cmp_ne_u16_e32 vcc_lo, 0, v3
	v_mov_b32_e32 v2, 0
	s_and_not1_b32 s1, s1, exec_lo
	s_and_b32 s22, vcc_lo, exec_lo
	s_delay_alu instid0(SALU_CYCLE_1)
	s_or_b32 s1, s1, s22
	s_or_b32 exec_lo, exec_lo, s21
	s_and_saveexec_b32 s21, s1
	s_cbranch_execnz .LBB78_573
	s_branch .LBB78_574
.LBB78_593:
	s_mov_b32 s20, -1
                                        ; implicit-def: $vgpr2
.LBB78_594:
	s_mov_b32 s21, 0
.LBB78_595:
	s_delay_alu instid0(SALU_CYCLE_1)
	s_and_b32 vcc_lo, exec_lo, s21
	s_cbranch_vccz .LBB78_599
; %bb.596:
	s_cmp_eq_u32 s0, 11
	s_cbranch_scc0 .LBB78_598
; %bb.597:
	s_wait_loadcnt 0x0
	global_load_u8 v2, v[0:1], off
	s_mov_b32 s20, 0
	s_mov_b32 s1, -1
	s_wait_loadcnt 0x0
	v_cmp_ne_u16_e32 vcc_lo, 0, v2
	v_cndmask_b32_e64 v2, 0, 1.0, vcc_lo
	s_branch .LBB78_599
.LBB78_598:
	s_mov_b32 s20, -1
                                        ; implicit-def: $vgpr2
.LBB78_599:
	s_mov_b32 s21, 0
.LBB78_600:
	s_delay_alu instid0(SALU_CYCLE_1)
	s_and_b32 vcc_lo, exec_lo, s21
	s_cbranch_vccz .LBB78_649
; %bb.601:
	s_cmp_lt_i32 s0, 5
	s_cbranch_scc1 .LBB78_606
; %bb.602:
	s_cmp_lt_i32 s0, 8
	s_cbranch_scc1 .LBB78_607
	;; [unrolled: 3-line block ×3, first 2 shown]
; %bb.604:
	s_cmp_gt_i32 s0, 9
	s_cbranch_scc0 .LBB78_609
; %bb.605:
	s_wait_loadcnt 0x0
	global_load_b64 v[2:3], v[0:1], off
	s_mov_b32 s1, 0
	s_wait_loadcnt 0x0
	v_cvt_f32_f64_e32 v2, v[2:3]
	s_branch .LBB78_610
.LBB78_606:
	s_mov_b32 s1, -1
                                        ; implicit-def: $vgpr2
	s_branch .LBB78_628
.LBB78_607:
	s_mov_b32 s1, -1
                                        ; implicit-def: $vgpr2
	s_branch .LBB78_616
.LBB78_608:
	s_mov_b32 s1, -1
                                        ; implicit-def: $vgpr2
	s_branch .LBB78_613
.LBB78_609:
	s_mov_b32 s1, -1
                                        ; implicit-def: $vgpr2
.LBB78_610:
	s_delay_alu instid0(SALU_CYCLE_1)
	s_and_not1_b32 vcc_lo, exec_lo, s1
	s_cbranch_vccnz .LBB78_612
; %bb.611:
	s_wait_loadcnt 0x0
	global_load_b32 v2, v[0:1], off
.LBB78_612:
	s_mov_b32 s1, 0
.LBB78_613:
	s_delay_alu instid0(SALU_CYCLE_1)
	s_and_not1_b32 vcc_lo, exec_lo, s1
	s_cbranch_vccnz .LBB78_615
; %bb.614:
	s_wait_loadcnt 0x0
	global_load_b32 v2, v[0:1], off
	s_wait_loadcnt 0x0
	v_cvt_f32_f16_e32 v2, v2
.LBB78_615:
	s_mov_b32 s1, 0
.LBB78_616:
	s_delay_alu instid0(SALU_CYCLE_1)
	s_and_not1_b32 vcc_lo, exec_lo, s1
	s_cbranch_vccnz .LBB78_627
; %bb.617:
	s_cmp_lt_i32 s0, 6
	s_cbranch_scc1 .LBB78_620
; %bb.618:
	s_cmp_gt_i32 s0, 6
	s_cbranch_scc0 .LBB78_621
; %bb.619:
	s_wait_loadcnt 0x0
	global_load_b64 v[2:3], v[0:1], off
	s_mov_b32 s1, 0
	s_wait_loadcnt 0x0
	v_cvt_f32_f64_e32 v2, v[2:3]
	s_branch .LBB78_622
.LBB78_620:
	s_mov_b32 s1, -1
                                        ; implicit-def: $vgpr2
	s_branch .LBB78_625
.LBB78_621:
	s_mov_b32 s1, -1
                                        ; implicit-def: $vgpr2
.LBB78_622:
	s_delay_alu instid0(SALU_CYCLE_1)
	s_and_not1_b32 vcc_lo, exec_lo, s1
	s_cbranch_vccnz .LBB78_624
; %bb.623:
	s_wait_loadcnt 0x0
	global_load_b32 v2, v[0:1], off
.LBB78_624:
	s_mov_b32 s1, 0
.LBB78_625:
	s_delay_alu instid0(SALU_CYCLE_1)
	s_and_not1_b32 vcc_lo, exec_lo, s1
	s_cbranch_vccnz .LBB78_627
; %bb.626:
	s_wait_loadcnt 0x0
	global_load_u16 v2, v[0:1], off
	s_wait_loadcnt 0x0
	v_cvt_f32_f16_e32 v2, v2
.LBB78_627:
	s_mov_b32 s1, 0
.LBB78_628:
	s_delay_alu instid0(SALU_CYCLE_1)
	s_and_not1_b32 vcc_lo, exec_lo, s1
	s_cbranch_vccnz .LBB78_648
; %bb.629:
	s_cmp_lt_i32 s0, 2
	s_cbranch_scc1 .LBB78_633
; %bb.630:
	s_cmp_lt_i32 s0, 3
	s_cbranch_scc1 .LBB78_634
; %bb.631:
	s_cmp_gt_i32 s0, 3
	s_cbranch_scc0 .LBB78_635
; %bb.632:
	s_wait_loadcnt 0x0
	global_load_b64 v[2:3], v[0:1], off
	s_mov_b32 s1, 0
	s_wait_loadcnt 0x0
	v_xor_b32_e32 v5, v2, v3
	v_cls_i32_e32 v6, v3
	s_delay_alu instid0(VALU_DEP_2) | instskip(NEXT) | instid1(VALU_DEP_1)
	v_ashrrev_i32_e32 v5, 31, v5
	v_add_nc_u32_e32 v5, 32, v5
	s_delay_alu instid0(VALU_DEP_1) | instskip(NEXT) | instid1(VALU_DEP_1)
	v_add_min_u32_e64 v5, v6, -1, v5
	v_lshlrev_b64_e32 v[2:3], v5, v[2:3]
	s_delay_alu instid0(VALU_DEP_1) | instskip(NEXT) | instid1(VALU_DEP_1)
	v_min_u32_e32 v2, 1, v2
	v_dual_sub_nc_u32 v3, 32, v5 :: v_dual_bitop2_b32 v2, v3, v2 bitop3:0x54
	s_delay_alu instid0(VALU_DEP_1) | instskip(NEXT) | instid1(VALU_DEP_1)
	v_cvt_f32_i32_e32 v2, v2
	v_ldexp_f32 v2, v2, v3
	s_branch .LBB78_636
.LBB78_633:
	s_mov_b32 s1, -1
                                        ; implicit-def: $vgpr2
	s_branch .LBB78_642
.LBB78_634:
	s_mov_b32 s1, -1
                                        ; implicit-def: $vgpr2
	s_branch .LBB78_639
.LBB78_635:
	s_mov_b32 s1, -1
                                        ; implicit-def: $vgpr2
.LBB78_636:
	s_delay_alu instid0(SALU_CYCLE_1)
	s_and_not1_b32 vcc_lo, exec_lo, s1
	s_cbranch_vccnz .LBB78_638
; %bb.637:
	s_wait_loadcnt 0x0
	global_load_b32 v2, v[0:1], off
	s_wait_loadcnt 0x0
	v_cvt_f32_i32_e32 v2, v2
.LBB78_638:
	s_mov_b32 s1, 0
.LBB78_639:
	s_delay_alu instid0(SALU_CYCLE_1)
	s_and_not1_b32 vcc_lo, exec_lo, s1
	s_cbranch_vccnz .LBB78_641
; %bb.640:
	s_wait_loadcnt 0x0
	global_load_i16 v2, v[0:1], off
	s_wait_loadcnt 0x0
	v_cvt_f32_i32_e32 v2, v2
.LBB78_641:
	s_mov_b32 s1, 0
.LBB78_642:
	s_delay_alu instid0(SALU_CYCLE_1)
	s_and_not1_b32 vcc_lo, exec_lo, s1
	s_cbranch_vccnz .LBB78_648
; %bb.643:
	s_cmp_gt_i32 s0, 0
	s_mov_b32 s0, 0
	s_cbranch_scc0 .LBB78_645
; %bb.644:
	s_wait_loadcnt 0x0
	global_load_i8 v2, v[0:1], off
	s_wait_loadcnt 0x0
	v_cvt_f32_i32_e32 v2, v2
	s_branch .LBB78_646
.LBB78_645:
	s_mov_b32 s0, -1
                                        ; implicit-def: $vgpr2
.LBB78_646:
	s_delay_alu instid0(SALU_CYCLE_1)
	s_and_not1_b32 vcc_lo, exec_lo, s0
	s_cbranch_vccnz .LBB78_648
; %bb.647:
	global_load_u8 v0, v[0:1], off
	s_wait_loadcnt 0x0
	v_cvt_f32_ubyte0_e32 v2, v0
.LBB78_648:
	s_mov_b32 s1, -1
.LBB78_649:
	s_delay_alu instid0(SALU_CYCLE_1)
	s_and_not1_b32 vcc_lo, exec_lo, s1
	s_cbranch_vccnz .LBB78_657
; %bb.650:
	s_wait_xcnt 0x0
	v_mul_lo_u32 v0, v4, s2
	s_wait_loadcnt 0x0
	s_delay_alu instid0(VALU_DEP_2) | instskip(SKIP_1) | instid1(SALU_CYCLE_1)
	v_cmp_eq_f32_e64 s0, 0xff800000, v2
	s_and_b32 s21, s8, 0xff
	s_cmp_lt_i32 s21, 11
	v_ashrrev_i32_e32 v1, 31, v0
	s_delay_alu instid0(VALU_DEP_1)
	v_add_nc_u64_e32 v[0:1], s[4:5], v[0:1]
	s_cbranch_scc1 .LBB78_658
; %bb.651:
	s_and_b32 s22, 0xffff, s21
	s_delay_alu instid0(SALU_CYCLE_1)
	s_cmp_gt_i32 s22, 25
	s_cbranch_scc0 .LBB78_659
; %bb.652:
	s_cmp_gt_i32 s22, 28
	s_cbranch_scc0 .LBB78_660
; %bb.653:
	;; [unrolled: 3-line block ×4, first 2 shown]
	s_mov_b32 s24, 0
	s_mov_b32 s1, -1
	s_cmp_eq_u32 s22, 46
	s_mov_b32 s23, 0
	s_cbranch_scc0 .LBB78_663
; %bb.656:
	v_cndmask_b32_e64 v2, 0, 1.0, s0
	s_mov_b32 s23, -1
	s_mov_b32 s1, 0
	s_delay_alu instid0(VALU_DEP_1) | instskip(NEXT) | instid1(VALU_DEP_1)
	v_bfe_u32 v3, v2, 16, 1
	v_add3_u32 v2, v2, v3, 0x7fff
	s_delay_alu instid0(VALU_DEP_1)
	v_lshrrev_b32_e32 v2, 16, v2
	global_store_b32 v[0:1], v2, off
	s_branch .LBB78_663
.LBB78_657:
	s_mov_b32 s21, 0
	s_mov_b32 s1, s17
	s_branch .LBB78_774
.LBB78_658:
	s_mov_b32 s22, -1
	s_mov_b32 s23, 0
	s_mov_b32 s1, s17
	s_branch .LBB78_732
.LBB78_659:
	s_mov_b32 s24, -1
	s_mov_b32 s23, 0
	s_mov_b32 s1, s17
	s_branch .LBB78_690
.LBB78_660:
	s_mov_b32 s24, -1
	s_mov_b32 s23, 0
	s_mov_b32 s1, s17
	s_branch .LBB78_673
.LBB78_661:
	s_mov_b32 s24, -1
	s_mov_b32 s23, 0
	s_mov_b32 s1, s17
	s_branch .LBB78_669
.LBB78_662:
	s_mov_b32 s24, -1
	s_mov_b32 s23, 0
	s_mov_b32 s1, s17
.LBB78_663:
	s_and_b32 vcc_lo, exec_lo, s24
	s_cbranch_vccz .LBB78_668
; %bb.664:
	s_cmp_eq_u32 s22, 44
	s_mov_b32 s1, -1
	s_cbranch_scc0 .LBB78_668
; %bb.665:
	v_cndmask_b32_e64 v5, 0, 1.0, s0
	s_mov_b32 s23, exec_lo
	s_wait_xcnt 0x0
	s_delay_alu instid0(VALU_DEP_1) | instskip(NEXT) | instid1(VALU_DEP_1)
	v_dual_mov_b32 v3, 0xff :: v_dual_lshrrev_b32 v2, 23, v5
	v_cmpx_ne_u32_e32 0xff, v2
; %bb.666:
	v_and_b32_e32 v3, 0x400000, v5
	v_and_or_b32 v5, 0x3fffff, v5, v2
	s_delay_alu instid0(VALU_DEP_2) | instskip(NEXT) | instid1(VALU_DEP_2)
	v_cmp_ne_u32_e32 vcc_lo, 0, v3
	v_cmp_ne_u32_e64 s1, 0, v5
	s_and_b32 s1, vcc_lo, s1
	s_delay_alu instid0(SALU_CYCLE_1) | instskip(NEXT) | instid1(VALU_DEP_1)
	v_cndmask_b32_e64 v3, 0, 1, s1
	v_add_nc_u32_e32 v3, v2, v3
; %bb.667:
	s_or_b32 exec_lo, exec_lo, s23
	s_mov_b32 s23, -1
	s_mov_b32 s1, 0
	global_store_b8 v[0:1], v3, off
.LBB78_668:
	s_mov_b32 s24, 0
.LBB78_669:
	s_delay_alu instid0(SALU_CYCLE_1)
	s_and_b32 vcc_lo, exec_lo, s24
	s_cbranch_vccz .LBB78_672
; %bb.670:
	s_cmp_eq_u32 s22, 29
	s_mov_b32 s1, -1
	s_cbranch_scc0 .LBB78_672
; %bb.671:
	s_mov_b32 s1, 0
	s_wait_xcnt 0x0
	v_cndmask_b32_e64 v2, 0, 1, s0
	v_mov_b32_e32 v3, s1
	s_mov_b32 s23, -1
	s_mov_b32 s24, 0
	global_store_b64 v[0:1], v[2:3], off
	s_branch .LBB78_673
.LBB78_672:
	s_mov_b32 s24, 0
.LBB78_673:
	s_delay_alu instid0(SALU_CYCLE_1)
	s_and_b32 vcc_lo, exec_lo, s24
	s_cbranch_vccz .LBB78_689
; %bb.674:
	s_cmp_lt_i32 s22, 27
	s_mov_b32 s23, -1
	s_cbranch_scc1 .LBB78_680
; %bb.675:
	s_cmp_gt_i32 s22, 27
	s_cbranch_scc0 .LBB78_677
; %bb.676:
	s_wait_xcnt 0x0
	v_cndmask_b32_e64 v2, 0, 1, s0
	s_mov_b32 s23, 0
	global_store_b32 v[0:1], v2, off
.LBB78_677:
	s_and_not1_b32 vcc_lo, exec_lo, s23
	s_cbranch_vccnz .LBB78_679
; %bb.678:
	s_wait_xcnt 0x0
	v_cndmask_b32_e64 v2, 0, 1, s0
	global_store_b16 v[0:1], v2, off
.LBB78_679:
	s_mov_b32 s23, 0
.LBB78_680:
	s_delay_alu instid0(SALU_CYCLE_1)
	s_and_not1_b32 vcc_lo, exec_lo, s23
	s_cbranch_vccnz .LBB78_688
; %bb.681:
	s_wait_xcnt 0x0
	v_cndmask_b32_e64 v3, 0, 1.0, s0
	v_mov_b32_e32 v5, 0x80
	s_mov_b32 s23, exec_lo
	s_delay_alu instid0(VALU_DEP_2)
	v_cmpx_gt_u32_e32 0x43800000, v3
	s_cbranch_execz .LBB78_687
; %bb.682:
	s_mov_b32 s24, 0
	s_mov_b32 s25, exec_lo
                                        ; implicit-def: $vgpr2
	v_cmpx_lt_u32_e32 0x3bffffff, v3
	s_xor_b32 s25, exec_lo, s25
	s_cbranch_execz .LBB78_789
; %bb.683:
	v_bfe_u32 v2, v3, 20, 1
	s_mov_b32 s24, exec_lo
	s_delay_alu instid0(VALU_DEP_1) | instskip(NEXT) | instid1(VALU_DEP_1)
	v_add3_u32 v2, v3, v2, 0x487ffff
                                        ; implicit-def: $vgpr3
	v_lshrrev_b32_e32 v2, 20, v2
	s_and_not1_saveexec_b32 s25, s25
	s_cbranch_execnz .LBB78_790
.LBB78_684:
	s_or_b32 exec_lo, exec_lo, s25
	v_mov_b32_e32 v5, 0
	s_and_saveexec_b32 s25, s24
.LBB78_685:
	v_mov_b32_e32 v5, v2
.LBB78_686:
	s_or_b32 exec_lo, exec_lo, s25
.LBB78_687:
	s_delay_alu instid0(SALU_CYCLE_1)
	s_or_b32 exec_lo, exec_lo, s23
	global_store_b8 v[0:1], v5, off
.LBB78_688:
	s_mov_b32 s23, -1
.LBB78_689:
	s_mov_b32 s24, 0
.LBB78_690:
	s_delay_alu instid0(SALU_CYCLE_1)
	s_and_b32 vcc_lo, exec_lo, s24
	s_cbranch_vccz .LBB78_731
; %bb.691:
	s_cmp_gt_i32 s22, 22
	s_mov_b32 s24, -1
	s_cbranch_scc0 .LBB78_723
; %bb.692:
	s_cmp_lt_i32 s22, 24
	s_mov_b32 s23, -1
	s_cbranch_scc1 .LBB78_712
; %bb.693:
	s_cmp_gt_i32 s22, 24
	s_cbranch_scc0 .LBB78_701
; %bb.694:
	s_wait_xcnt 0x0
	v_cndmask_b32_e64 v3, 0, 1.0, s0
	v_mov_b32_e32 v5, 0x80
	s_mov_b32 s23, exec_lo
	s_delay_alu instid0(VALU_DEP_2)
	v_cmpx_gt_u32_e32 0x47800000, v3
	s_cbranch_execz .LBB78_700
; %bb.695:
	s_mov_b32 s24, 0
	s_mov_b32 s25, exec_lo
                                        ; implicit-def: $vgpr2
	v_cmpx_lt_u32_e32 0x37ffffff, v3
	s_xor_b32 s25, exec_lo, s25
	s_cbranch_execz .LBB78_792
; %bb.696:
	v_bfe_u32 v2, v3, 21, 1
	s_mov_b32 s24, exec_lo
	s_delay_alu instid0(VALU_DEP_1) | instskip(NEXT) | instid1(VALU_DEP_1)
	v_add3_u32 v2, v3, v2, 0x88fffff
                                        ; implicit-def: $vgpr3
	v_lshrrev_b32_e32 v2, 21, v2
	s_and_not1_saveexec_b32 s25, s25
	s_cbranch_execnz .LBB78_793
.LBB78_697:
	s_or_b32 exec_lo, exec_lo, s25
	v_mov_b32_e32 v5, 0
	s_and_saveexec_b32 s25, s24
.LBB78_698:
	v_mov_b32_e32 v5, v2
.LBB78_699:
	s_or_b32 exec_lo, exec_lo, s25
.LBB78_700:
	s_delay_alu instid0(SALU_CYCLE_1)
	s_or_b32 exec_lo, exec_lo, s23
	s_mov_b32 s23, 0
	global_store_b8 v[0:1], v5, off
.LBB78_701:
	s_and_b32 vcc_lo, exec_lo, s23
	s_cbranch_vccz .LBB78_711
; %bb.702:
	s_wait_xcnt 0x0
	v_cndmask_b32_e64 v3, 0, 1.0, s0
	s_mov_b32 s23, exec_lo
                                        ; implicit-def: $vgpr2
	s_delay_alu instid0(VALU_DEP_1)
	v_cmpx_gt_u32_e32 0x43f00000, v3
	s_xor_b32 s23, exec_lo, s23
	s_cbranch_execz .LBB78_708
; %bb.703:
	s_mov_b32 s24, exec_lo
                                        ; implicit-def: $vgpr2
	v_cmpx_lt_u32_e32 0x3c7fffff, v3
	s_xor_b32 s24, exec_lo, s24
; %bb.704:
	v_bfe_u32 v2, v3, 20, 1
	s_delay_alu instid0(VALU_DEP_1) | instskip(NEXT) | instid1(VALU_DEP_1)
	v_add3_u32 v2, v3, v2, 0x407ffff
	v_and_b32_e32 v3, 0xff00000, v2
	v_lshrrev_b32_e32 v2, 20, v2
	s_delay_alu instid0(VALU_DEP_2) | instskip(NEXT) | instid1(VALU_DEP_2)
	v_cmp_ne_u32_e32 vcc_lo, 0x7f00000, v3
                                        ; implicit-def: $vgpr3
	v_cndmask_b32_e32 v2, 0x7e, v2, vcc_lo
; %bb.705:
	s_and_not1_saveexec_b32 s24, s24
; %bb.706:
	v_add_f32_e32 v2, 0x46800000, v3
; %bb.707:
	s_or_b32 exec_lo, exec_lo, s24
                                        ; implicit-def: $vgpr3
.LBB78_708:
	s_and_not1_saveexec_b32 s23, s23
; %bb.709:
	v_mov_b32_e32 v2, 0x7f
	v_cmp_lt_u32_e32 vcc_lo, 0x7f800000, v3
	s_delay_alu instid0(VALU_DEP_2)
	v_cndmask_b32_e32 v2, 0x7e, v2, vcc_lo
; %bb.710:
	s_or_b32 exec_lo, exec_lo, s23
	global_store_b8 v[0:1], v2, off
.LBB78_711:
	s_mov_b32 s23, 0
.LBB78_712:
	s_delay_alu instid0(SALU_CYCLE_1)
	s_and_not1_b32 vcc_lo, exec_lo, s23
	s_cbranch_vccnz .LBB78_722
; %bb.713:
	s_wait_xcnt 0x0
	v_cndmask_b32_e64 v3, 0, 1.0, s0
	s_mov_b32 s23, exec_lo
                                        ; implicit-def: $vgpr2
	s_delay_alu instid0(VALU_DEP_1)
	v_cmpx_gt_u32_e32 0x47800000, v3
	s_xor_b32 s23, exec_lo, s23
	s_cbranch_execz .LBB78_719
; %bb.714:
	s_mov_b32 s24, exec_lo
                                        ; implicit-def: $vgpr2
	v_cmpx_lt_u32_e32 0x387fffff, v3
	s_xor_b32 s24, exec_lo, s24
; %bb.715:
	v_bfe_u32 v2, v3, 21, 1
	s_delay_alu instid0(VALU_DEP_1) | instskip(NEXT) | instid1(VALU_DEP_1)
	v_add3_u32 v2, v3, v2, 0x80fffff
                                        ; implicit-def: $vgpr3
	v_lshrrev_b32_e32 v2, 21, v2
; %bb.716:
	s_and_not1_saveexec_b32 s24, s24
; %bb.717:
	v_add_f32_e32 v2, 0x43000000, v3
; %bb.718:
	s_or_b32 exec_lo, exec_lo, s24
                                        ; implicit-def: $vgpr3
.LBB78_719:
	s_and_not1_saveexec_b32 s23, s23
; %bb.720:
	v_mov_b32_e32 v2, 0x7f
	v_cmp_lt_u32_e32 vcc_lo, 0x7f800000, v3
	s_delay_alu instid0(VALU_DEP_2)
	v_cndmask_b32_e32 v2, 0x7c, v2, vcc_lo
; %bb.721:
	s_or_b32 exec_lo, exec_lo, s23
	global_store_b8 v[0:1], v2, off
.LBB78_722:
	s_mov_b32 s24, 0
	s_mov_b32 s23, -1
.LBB78_723:
	s_and_not1_b32 vcc_lo, exec_lo, s24
	s_cbranch_vccnz .LBB78_731
; %bb.724:
	s_cmp_gt_i32 s22, 14
	s_mov_b32 s24, -1
	s_cbranch_scc0 .LBB78_728
; %bb.725:
	s_cmp_eq_u32 s22, 15
	s_mov_b32 s1, -1
	s_cbranch_scc0 .LBB78_727
; %bb.726:
	s_wait_xcnt 0x0
	v_cndmask_b32_e64 v2, 0, 1.0, s0
	s_mov_b32 s23, -1
	s_mov_b32 s1, 0
	s_delay_alu instid0(VALU_DEP_1) | instskip(NEXT) | instid1(VALU_DEP_1)
	v_bfe_u32 v3, v2, 16, 1
	v_add3_u32 v2, v2, v3, 0x7fff
	global_store_d16_hi_b16 v[0:1], v2, off
.LBB78_727:
	s_mov_b32 s24, 0
.LBB78_728:
	s_delay_alu instid0(SALU_CYCLE_1)
	s_and_b32 vcc_lo, exec_lo, s24
	s_cbranch_vccz .LBB78_731
; %bb.729:
	s_cmp_eq_u32 s22, 11
	s_mov_b32 s1, -1
	s_cbranch_scc0 .LBB78_731
; %bb.730:
	s_wait_xcnt 0x0
	v_cndmask_b32_e64 v2, 0, 1, s0
	s_mov_b32 s23, -1
	s_mov_b32 s1, 0
	global_store_b8 v[0:1], v2, off
.LBB78_731:
	s_mov_b32 s22, 0
.LBB78_732:
	s_delay_alu instid0(SALU_CYCLE_1)
	s_and_b32 vcc_lo, exec_lo, s22
	s_cbranch_vccz .LBB78_771
; %bb.733:
	s_and_b32 s21, 0xffff, s21
	s_mov_b32 s22, -1
	s_cmp_lt_i32 s21, 5
	s_cbranch_scc1 .LBB78_754
; %bb.734:
	s_cmp_lt_i32 s21, 8
	s_cbranch_scc1 .LBB78_744
; %bb.735:
	;; [unrolled: 3-line block ×3, first 2 shown]
	s_cmp_gt_i32 s21, 9
	s_cbranch_scc0 .LBB78_738
; %bb.737:
	s_wait_xcnt 0x0
	v_cndmask_b32_e64 v2, 0, 1, s0
	v_mov_b32_e32 v8, 0
	s_mov_b32 s22, 0
	s_delay_alu instid0(VALU_DEP_2) | instskip(NEXT) | instid1(VALU_DEP_2)
	v_cvt_f64_u32_e32 v[6:7], v2
	v_mov_b32_e32 v9, v8
	global_store_b128 v[0:1], v[6:9], off
.LBB78_738:
	s_and_not1_b32 vcc_lo, exec_lo, s22
	s_cbranch_vccnz .LBB78_740
; %bb.739:
	s_wait_xcnt 0x0
	v_cndmask_b32_e64 v2, 0, 1.0, s0
	v_mov_b32_e32 v3, 0
	global_store_b64 v[0:1], v[2:3], off
.LBB78_740:
	s_mov_b32 s22, 0
.LBB78_741:
	s_delay_alu instid0(SALU_CYCLE_1)
	s_and_not1_b32 vcc_lo, exec_lo, s22
	s_cbranch_vccnz .LBB78_743
; %bb.742:
	s_wait_xcnt 0x0
	v_cndmask_b32_e64 v2, 0, 1.0, s0
	s_delay_alu instid0(VALU_DEP_1) | instskip(NEXT) | instid1(VALU_DEP_1)
	v_cvt_f16_f32_e32 v2, v2
	v_and_b32_e32 v2, 0xffff, v2
	global_store_b32 v[0:1], v2, off
.LBB78_743:
	s_mov_b32 s22, 0
.LBB78_744:
	s_delay_alu instid0(SALU_CYCLE_1)
	s_and_not1_b32 vcc_lo, exec_lo, s22
	s_cbranch_vccnz .LBB78_753
; %bb.745:
	s_cmp_lt_i32 s21, 6
	s_mov_b32 s22, -1
	s_cbranch_scc1 .LBB78_751
; %bb.746:
	s_cmp_gt_i32 s21, 6
	s_cbranch_scc0 .LBB78_748
; %bb.747:
	s_wait_xcnt 0x0
	v_cndmask_b32_e64 v2, 0, 1, s0
	s_mov_b32 s22, 0
	s_delay_alu instid0(VALU_DEP_1)
	v_cvt_f64_u32_e32 v[2:3], v2
	global_store_b64 v[0:1], v[2:3], off
.LBB78_748:
	s_and_not1_b32 vcc_lo, exec_lo, s22
	s_cbranch_vccnz .LBB78_750
; %bb.749:
	s_wait_xcnt 0x0
	v_cndmask_b32_e64 v2, 0, 1.0, s0
	global_store_b32 v[0:1], v2, off
.LBB78_750:
	s_mov_b32 s22, 0
.LBB78_751:
	s_delay_alu instid0(SALU_CYCLE_1)
	s_and_not1_b32 vcc_lo, exec_lo, s22
	s_cbranch_vccnz .LBB78_753
; %bb.752:
	s_wait_xcnt 0x0
	v_cndmask_b32_e64 v2, 0, 1.0, s0
	s_delay_alu instid0(VALU_DEP_1)
	v_cvt_f16_f32_e32 v2, v2
	global_store_b16 v[0:1], v2, off
.LBB78_753:
	s_mov_b32 s22, 0
.LBB78_754:
	s_delay_alu instid0(SALU_CYCLE_1)
	s_and_not1_b32 vcc_lo, exec_lo, s22
	s_cbranch_vccnz .LBB78_770
; %bb.755:
	s_cmp_lt_i32 s21, 2
	s_mov_b32 s22, -1
	s_cbranch_scc1 .LBB78_765
; %bb.756:
	s_cmp_lt_i32 s21, 3
	s_cbranch_scc1 .LBB78_762
; %bb.757:
	s_cmp_gt_i32 s21, 3
	s_cbranch_scc0 .LBB78_759
; %bb.758:
	s_mov_b32 s22, 0
	s_wait_xcnt 0x0
	v_cndmask_b32_e64 v2, 0, 1, s0
	v_mov_b32_e32 v3, s22
	global_store_b64 v[0:1], v[2:3], off
.LBB78_759:
	s_and_not1_b32 vcc_lo, exec_lo, s22
	s_cbranch_vccnz .LBB78_761
; %bb.760:
	s_wait_xcnt 0x0
	v_cndmask_b32_e64 v2, 0, 1, s0
	global_store_b32 v[0:1], v2, off
.LBB78_761:
	s_mov_b32 s22, 0
.LBB78_762:
	s_delay_alu instid0(SALU_CYCLE_1)
	s_and_not1_b32 vcc_lo, exec_lo, s22
	s_cbranch_vccnz .LBB78_764
; %bb.763:
	s_wait_xcnt 0x0
	v_cndmask_b32_e64 v2, 0, 1, s0
	global_store_b16 v[0:1], v2, off
.LBB78_764:
	s_mov_b32 s22, 0
.LBB78_765:
	s_delay_alu instid0(SALU_CYCLE_1)
	s_and_not1_b32 vcc_lo, exec_lo, s22
	s_cbranch_vccnz .LBB78_770
; %bb.766:
	s_wait_xcnt 0x0
	v_cndmask_b32_e64 v2, 0, 1, s0
	s_cmp_gt_i32 s21, 0
	s_mov_b32 s0, -1
	s_cbranch_scc0 .LBB78_768
; %bb.767:
	s_mov_b32 s0, 0
	global_store_b8 v[0:1], v2, off
.LBB78_768:
	s_and_not1_b32 vcc_lo, exec_lo, s0
	s_cbranch_vccnz .LBB78_770
; %bb.769:
	global_store_b8 v[0:1], v2, off
.LBB78_770:
	s_mov_b32 s23, -1
.LBB78_771:
	s_delay_alu instid0(SALU_CYCLE_1)
	s_and_not1_b32 vcc_lo, exec_lo, s23
	s_cbranch_vccnz .LBB78_773
; %bb.772:
	v_add_nc_u32_e32 v4, 0x80, v4
	s_mov_b32 s21, -1
	s_branch .LBB78_775
.LBB78_773:
	s_mov_b32 s21, 0
.LBB78_774:
                                        ; implicit-def: $vgpr4
.LBB78_775:
	s_and_not1_b32 s0, s17, exec_lo
	s_and_b32 s1, s1, exec_lo
	s_and_not1_b32 s22, s16, exec_lo
	s_and_b32 s20, s20, exec_lo
	s_or_b32 s1, s0, s1
	s_or_b32 s0, s22, s20
	s_or_not1_b32 s20, s21, exec_lo
.LBB78_776:
	s_wait_xcnt 0x0
	s_or_b32 exec_lo, exec_lo, s19
	s_mov_b32 s21, 0
	s_mov_b32 s22, 0
	;; [unrolled: 1-line block ×3, first 2 shown]
                                        ; implicit-def: $vgpr0_vgpr1
                                        ; implicit-def: $vgpr2
	s_and_saveexec_b32 s19, s20
	s_cbranch_execz .LBB78_861
; %bb.777:
	v_cmp_gt_i32_e32 vcc_lo, s13, v4
	s_mov_b32 s20, 0
	s_mov_b32 s21, s0
	;; [unrolled: 1-line block ×3, first 2 shown]
                                        ; implicit-def: $vgpr0_vgpr1
                                        ; implicit-def: $vgpr2
	s_and_saveexec_b32 s13, vcc_lo
	s_cbranch_execz .LBB78_860
; %bb.778:
	v_mul_lo_u32 v0, v4, s3
	s_and_b32 s20, 0xffff, s10
	s_delay_alu instid0(SALU_CYCLE_1) | instskip(NEXT) | instid1(VALU_DEP_1)
	s_cmp_lt_i32 s20, 11
	v_ashrrev_i32_e32 v1, 31, v0
	s_delay_alu instid0(VALU_DEP_1)
	v_add_nc_u64_e32 v[0:1], s[6:7], v[0:1]
	s_cbranch_scc1 .LBB78_785
; %bb.779:
	s_cmp_gt_i32 s20, 25
	s_cbranch_scc0 .LBB78_786
; %bb.780:
	s_cmp_gt_i32 s20, 28
	s_cbranch_scc0 .LBB78_787
	;; [unrolled: 3-line block ×4, first 2 shown]
; %bb.783:
	s_cmp_eq_u32 s20, 46
	s_cbranch_scc0 .LBB78_794
; %bb.784:
	s_wait_loadcnt 0x0
	global_load_b32 v2, v[0:1], off
	s_mov_b32 s21, 0
	s_mov_b32 s23, -1
	s_wait_loadcnt 0x0
	v_lshlrev_b32_e32 v2, 16, v2
	s_branch .LBB78_796
.LBB78_785:
	s_mov_b32 s20, -1
	s_mov_b32 s21, s0
                                        ; implicit-def: $vgpr2
	s_branch .LBB78_859
.LBB78_786:
	s_mov_b32 s24, -1
	s_mov_b32 s21, s0
                                        ; implicit-def: $vgpr2
	s_branch .LBB78_825
.LBB78_787:
	s_mov_b32 s24, -1
	s_mov_b32 s21, s0
                                        ; implicit-def: $vgpr2
	s_branch .LBB78_806
.LBB78_788:
	s_mov_b32 s24, -1
	s_mov_b32 s21, s0
                                        ; implicit-def: $vgpr2
	s_branch .LBB78_801
.LBB78_789:
	s_and_not1_saveexec_b32 s25, s25
	s_cbranch_execz .LBB78_684
.LBB78_790:
	v_add_f32_e32 v2, 0x46000000, v3
	s_and_not1_b32 s24, s24, exec_lo
	s_delay_alu instid0(VALU_DEP_1) | instskip(NEXT) | instid1(VALU_DEP_1)
	v_and_b32_e32 v2, 0xff, v2
	v_cmp_ne_u32_e32 vcc_lo, 0, v2
	s_and_b32 s26, vcc_lo, exec_lo
	s_delay_alu instid0(SALU_CYCLE_1)
	s_or_b32 s24, s24, s26
	s_or_b32 exec_lo, exec_lo, s25
	v_mov_b32_e32 v5, 0
	s_and_saveexec_b32 s25, s24
	s_cbranch_execnz .LBB78_685
	s_branch .LBB78_686
.LBB78_791:
	s_mov_b32 s24, -1
	s_mov_b32 s21, s0
	s_branch .LBB78_795
.LBB78_792:
	s_and_not1_saveexec_b32 s25, s25
	s_cbranch_execz .LBB78_697
.LBB78_793:
	v_add_f32_e32 v2, 0x42800000, v3
	s_and_not1_b32 s24, s24, exec_lo
	s_delay_alu instid0(VALU_DEP_1) | instskip(NEXT) | instid1(VALU_DEP_1)
	v_and_b32_e32 v2, 0xff, v2
	v_cmp_ne_u32_e32 vcc_lo, 0, v2
	s_and_b32 s26, vcc_lo, exec_lo
	s_delay_alu instid0(SALU_CYCLE_1)
	s_or_b32 s24, s24, s26
	s_or_b32 exec_lo, exec_lo, s25
	v_mov_b32_e32 v5, 0
	s_and_saveexec_b32 s25, s24
	s_cbranch_execnz .LBB78_698
	s_branch .LBB78_699
.LBB78_794:
	s_mov_b32 s21, -1
.LBB78_795:
                                        ; implicit-def: $vgpr2
.LBB78_796:
	s_and_b32 vcc_lo, exec_lo, s24
	s_cbranch_vccz .LBB78_800
; %bb.797:
	s_cmp_eq_u32 s20, 44
	s_cbranch_scc0 .LBB78_799
; %bb.798:
	s_wait_loadcnt 0x0
	global_load_u8 v2, v[0:1], off
	s_mov_b32 s21, 0
	s_mov_b32 s23, -1
	s_wait_loadcnt 0x0
	v_lshlrev_b32_e32 v3, 23, v2
	v_cmp_ne_u32_e32 vcc_lo, 0xff, v2
	s_delay_alu instid0(VALU_DEP_2) | instskip(SKIP_1) | instid1(VALU_DEP_2)
	v_cndmask_b32_e32 v3, 0x7f800001, v3, vcc_lo
	v_cmp_ne_u32_e32 vcc_lo, 0, v2
	v_cndmask_b32_e32 v2, 0x400000, v3, vcc_lo
	s_branch .LBB78_800
.LBB78_799:
	s_mov_b32 s21, -1
                                        ; implicit-def: $vgpr2
.LBB78_800:
	s_mov_b32 s24, 0
.LBB78_801:
	s_delay_alu instid0(SALU_CYCLE_1)
	s_and_b32 vcc_lo, exec_lo, s24
	s_cbranch_vccz .LBB78_805
; %bb.802:
	s_cmp_eq_u32 s20, 29
	s_cbranch_scc0 .LBB78_804
; %bb.803:
	s_wait_loadcnt 0x0
	global_load_b64 v[2:3], v[0:1], off
	s_mov_b32 s21, 0
	s_mov_b32 s23, -1
	s_mov_b32 s24, 0
	s_wait_loadcnt 0x0
	v_clz_i32_u32_e32 v5, v3
	s_delay_alu instid0(VALU_DEP_1) | instskip(NEXT) | instid1(VALU_DEP_1)
	v_min_u32_e32 v5, 32, v5
	v_lshlrev_b64_e32 v[2:3], v5, v[2:3]
	s_delay_alu instid0(VALU_DEP_1) | instskip(NEXT) | instid1(VALU_DEP_1)
	v_min_u32_e32 v2, 1, v2
	v_dual_sub_nc_u32 v3, 32, v5 :: v_dual_bitop2_b32 v2, v3, v2 bitop3:0x54
	s_delay_alu instid0(VALU_DEP_1) | instskip(NEXT) | instid1(VALU_DEP_1)
	v_cvt_f32_u32_e32 v2, v2
	v_ldexp_f32 v2, v2, v3
	s_branch .LBB78_806
.LBB78_804:
	s_mov_b32 s21, -1
                                        ; implicit-def: $vgpr2
.LBB78_805:
	s_mov_b32 s24, 0
.LBB78_806:
	s_delay_alu instid0(SALU_CYCLE_1)
	s_and_b32 vcc_lo, exec_lo, s24
	s_cbranch_vccz .LBB78_824
; %bb.807:
	s_cmp_lt_i32 s20, 27
	s_cbranch_scc1 .LBB78_810
; %bb.808:
	s_cmp_gt_i32 s20, 27
	s_cbranch_scc0 .LBB78_811
; %bb.809:
	s_wait_loadcnt 0x0
	global_load_b32 v2, v[0:1], off
	s_mov_b32 s23, 0
	s_wait_loadcnt 0x0
	v_cvt_f32_u32_e32 v2, v2
	s_branch .LBB78_812
.LBB78_810:
	s_mov_b32 s23, -1
                                        ; implicit-def: $vgpr2
	s_branch .LBB78_815
.LBB78_811:
	s_mov_b32 s23, -1
                                        ; implicit-def: $vgpr2
.LBB78_812:
	s_delay_alu instid0(SALU_CYCLE_1)
	s_and_not1_b32 vcc_lo, exec_lo, s23
	s_cbranch_vccnz .LBB78_814
; %bb.813:
	s_wait_loadcnt 0x0
	global_load_u16 v2, v[0:1], off
	s_wait_loadcnt 0x0
	v_cvt_f32_u32_e32 v2, v2
.LBB78_814:
	s_mov_b32 s23, 0
.LBB78_815:
	s_delay_alu instid0(SALU_CYCLE_1)
	s_and_not1_b32 vcc_lo, exec_lo, s23
	s_cbranch_vccnz .LBB78_823
; %bb.816:
	global_load_u8 v3, v[0:1], off
	s_mov_b32 s23, 0
	s_mov_b32 s24, exec_lo
	s_wait_loadcnt 0x0
	v_cmpx_lt_i16_e32 0x7f, v3
	s_xor_b32 s24, exec_lo, s24
	s_cbranch_execz .LBB78_837
; %bb.817:
	s_mov_b32 s23, -1
	s_mov_b32 s25, exec_lo
	v_cmpx_eq_u16_e32 0x80, v3
; %bb.818:
	s_xor_b32 s23, exec_lo, -1
; %bb.819:
	s_or_b32 exec_lo, exec_lo, s25
	s_delay_alu instid0(SALU_CYCLE_1)
	s_and_b32 s23, s23, exec_lo
	s_or_saveexec_b32 s24, s24
	v_mov_b32_e32 v2, 0x7f800001
	s_xor_b32 exec_lo, exec_lo, s24
	s_cbranch_execnz .LBB78_838
.LBB78_820:
	s_or_b32 exec_lo, exec_lo, s24
	s_and_saveexec_b32 s24, s23
	s_cbranch_execz .LBB78_822
.LBB78_821:
	v_and_b32_e32 v2, 0xffff, v3
	s_delay_alu instid0(VALU_DEP_1) | instskip(SKIP_1) | instid1(VALU_DEP_2)
	v_dual_lshlrev_b32 v3, 24, v3 :: v_dual_bitop2_b32 v5, 7, v2 bitop3:0x40
	v_bfe_u32 v8, v2, 3, 4
	v_and_b32_e32 v3, 0x80000000, v3
	s_delay_alu instid0(VALU_DEP_3) | instskip(NEXT) | instid1(VALU_DEP_3)
	v_clz_i32_u32_e32 v6, v5
	v_cmp_eq_u32_e32 vcc_lo, 0, v8
	s_delay_alu instid0(VALU_DEP_2) | instskip(NEXT) | instid1(VALU_DEP_1)
	v_min_u32_e32 v6, 32, v6
	v_subrev_nc_u32_e32 v7, 28, v6
	v_sub_nc_u32_e32 v6, 29, v6
	s_delay_alu instid0(VALU_DEP_2) | instskip(NEXT) | instid1(VALU_DEP_2)
	v_lshlrev_b32_e32 v2, v7, v2
	v_cndmask_b32_e32 v6, v8, v6, vcc_lo
	s_delay_alu instid0(VALU_DEP_2) | instskip(NEXT) | instid1(VALU_DEP_1)
	v_and_b32_e32 v2, 7, v2
	v_cndmask_b32_e32 v2, v5, v2, vcc_lo
	s_delay_alu instid0(VALU_DEP_3) | instskip(NEXT) | instid1(VALU_DEP_2)
	v_lshl_add_u32 v5, v6, 23, 0x3b800000
	v_lshlrev_b32_e32 v2, 20, v2
	s_delay_alu instid0(VALU_DEP_1)
	v_or3_b32 v2, v3, v5, v2
.LBB78_822:
	s_or_b32 exec_lo, exec_lo, s24
.LBB78_823:
	s_mov_b32 s23, -1
.LBB78_824:
	s_mov_b32 s24, 0
.LBB78_825:
	s_delay_alu instid0(SALU_CYCLE_1)
	s_and_b32 vcc_lo, exec_lo, s24
	s_cbranch_vccz .LBB78_858
; %bb.826:
	s_cmp_gt_i32 s20, 22
	s_cbranch_scc0 .LBB78_836
; %bb.827:
	s_cmp_lt_i32 s20, 24
	s_cbranch_scc1 .LBB78_839
; %bb.828:
	s_cmp_gt_i32 s20, 24
	s_cbranch_scc0 .LBB78_840
; %bb.829:
	global_load_u8 v3, v[0:1], off
	s_mov_b32 s23, exec_lo
	s_wait_loadcnt 0x0
	v_cmpx_lt_i16_e32 0x7f, v3
	s_xor_b32 s23, exec_lo, s23
	s_cbranch_execz .LBB78_852
; %bb.830:
	s_mov_b32 s22, -1
	s_mov_b32 s24, exec_lo
	v_cmpx_eq_u16_e32 0x80, v3
; %bb.831:
	s_xor_b32 s22, exec_lo, -1
; %bb.832:
	s_or_b32 exec_lo, exec_lo, s24
	s_delay_alu instid0(SALU_CYCLE_1)
	s_and_b32 s22, s22, exec_lo
	s_or_saveexec_b32 s23, s23
	v_mov_b32_e32 v2, 0x7f800001
	s_xor_b32 exec_lo, exec_lo, s23
	s_cbranch_execnz .LBB78_853
.LBB78_833:
	s_or_b32 exec_lo, exec_lo, s23
	s_and_saveexec_b32 s23, s22
	s_cbranch_execz .LBB78_835
.LBB78_834:
	v_and_b32_e32 v2, 0xffff, v3
	s_delay_alu instid0(VALU_DEP_1) | instskip(SKIP_1) | instid1(VALU_DEP_2)
	v_dual_lshlrev_b32 v3, 24, v3 :: v_dual_bitop2_b32 v5, 3, v2 bitop3:0x40
	v_bfe_u32 v8, v2, 2, 5
	v_and_b32_e32 v3, 0x80000000, v3
	s_delay_alu instid0(VALU_DEP_3) | instskip(NEXT) | instid1(VALU_DEP_3)
	v_clz_i32_u32_e32 v6, v5
	v_cmp_eq_u32_e32 vcc_lo, 0, v8
	s_delay_alu instid0(VALU_DEP_2) | instskip(NEXT) | instid1(VALU_DEP_1)
	v_min_u32_e32 v6, 32, v6
	v_subrev_nc_u32_e32 v7, 29, v6
	v_sub_nc_u32_e32 v6, 30, v6
	s_delay_alu instid0(VALU_DEP_2) | instskip(NEXT) | instid1(VALU_DEP_2)
	v_lshlrev_b32_e32 v2, v7, v2
	v_cndmask_b32_e32 v6, v8, v6, vcc_lo
	s_delay_alu instid0(VALU_DEP_2) | instskip(NEXT) | instid1(VALU_DEP_1)
	v_and_b32_e32 v2, 3, v2
	v_cndmask_b32_e32 v2, v5, v2, vcc_lo
	s_delay_alu instid0(VALU_DEP_3) | instskip(NEXT) | instid1(VALU_DEP_2)
	v_lshl_add_u32 v5, v6, 23, 0x37800000
	v_lshlrev_b32_e32 v2, 21, v2
	s_delay_alu instid0(VALU_DEP_1)
	v_or3_b32 v2, v3, v5, v2
.LBB78_835:
	s_or_b32 exec_lo, exec_lo, s23
	s_mov_b32 s22, 0
	s_branch .LBB78_841
.LBB78_836:
	s_mov_b32 s22, -1
                                        ; implicit-def: $vgpr2
	s_branch .LBB78_847
.LBB78_837:
	s_or_saveexec_b32 s24, s24
	v_mov_b32_e32 v2, 0x7f800001
	s_xor_b32 exec_lo, exec_lo, s24
	s_cbranch_execz .LBB78_820
.LBB78_838:
	v_cmp_ne_u16_e32 vcc_lo, 0, v3
	v_mov_b32_e32 v2, 0
	s_and_not1_b32 s23, s23, exec_lo
	s_and_b32 s25, vcc_lo, exec_lo
	s_delay_alu instid0(SALU_CYCLE_1)
	s_or_b32 s23, s23, s25
	s_or_b32 exec_lo, exec_lo, s24
	s_and_saveexec_b32 s24, s23
	s_cbranch_execnz .LBB78_821
	s_branch .LBB78_822
.LBB78_839:
	s_mov_b32 s22, -1
                                        ; implicit-def: $vgpr2
	s_branch .LBB78_844
.LBB78_840:
	s_mov_b32 s22, -1
                                        ; implicit-def: $vgpr2
.LBB78_841:
	s_delay_alu instid0(SALU_CYCLE_1)
	s_and_b32 vcc_lo, exec_lo, s22
	s_cbranch_vccz .LBB78_843
; %bb.842:
	s_wait_loadcnt 0x0
	global_load_u8 v2, v[0:1], off
	s_wait_loadcnt 0x0
	v_lshlrev_b32_e32 v2, 24, v2
	s_delay_alu instid0(VALU_DEP_1) | instskip(NEXT) | instid1(VALU_DEP_1)
	v_and_b32_e32 v3, 0x7f000000, v2
	v_clz_i32_u32_e32 v5, v3
	v_add_nc_u32_e32 v7, 0x1000000, v3
	v_cmp_ne_u32_e32 vcc_lo, 0, v3
	s_delay_alu instid0(VALU_DEP_3) | instskip(NEXT) | instid1(VALU_DEP_1)
	v_min_u32_e32 v5, 32, v5
	v_sub_nc_u32_e64 v5, v5, 4 clamp
	s_delay_alu instid0(VALU_DEP_1) | instskip(NEXT) | instid1(VALU_DEP_1)
	v_dual_lshlrev_b32 v6, v5, v3 :: v_dual_lshlrev_b32 v5, 23, v5
	v_lshrrev_b32_e32 v6, 4, v6
	s_delay_alu instid0(VALU_DEP_1) | instskip(NEXT) | instid1(VALU_DEP_1)
	v_dual_sub_nc_u32 v5, v6, v5 :: v_dual_ashrrev_i32 v6, 8, v7
	v_add_nc_u32_e32 v5, 0x3c000000, v5
	s_delay_alu instid0(VALU_DEP_1) | instskip(NEXT) | instid1(VALU_DEP_1)
	v_and_or_b32 v5, 0x7f800000, v6, v5
	v_cndmask_b32_e32 v3, 0, v5, vcc_lo
	s_delay_alu instid0(VALU_DEP_1)
	v_and_or_b32 v2, 0x80000000, v2, v3
.LBB78_843:
	s_mov_b32 s22, 0
.LBB78_844:
	s_delay_alu instid0(SALU_CYCLE_1)
	s_and_not1_b32 vcc_lo, exec_lo, s22
	s_cbranch_vccnz .LBB78_846
; %bb.845:
	s_wait_loadcnt 0x0
	global_load_u8 v2, v[0:1], off
	s_wait_loadcnt 0x0
	v_lshlrev_b32_e32 v3, 25, v2
	v_lshlrev_b16 v2, 8, v2
	s_delay_alu instid0(VALU_DEP_2) | instskip(NEXT) | instid1(VALU_DEP_2)
	v_cmp_gt_u32_e32 vcc_lo, 0x8000000, v3
	v_and_or_b32 v6, 0x7f00, v2, 0.5
	v_lshrrev_b32_e32 v5, 4, v3
	v_bfe_i32 v2, v2, 0, 16
	s_delay_alu instid0(VALU_DEP_3) | instskip(NEXT) | instid1(VALU_DEP_3)
	v_add_f32_e32 v6, -0.5, v6
	v_or_b32_e32 v5, 0x70000000, v5
	s_delay_alu instid0(VALU_DEP_1) | instskip(NEXT) | instid1(VALU_DEP_1)
	v_mul_f32_e32 v5, 0x7800000, v5
	v_cndmask_b32_e32 v3, v5, v6, vcc_lo
	s_delay_alu instid0(VALU_DEP_1)
	v_and_or_b32 v2, 0x80000000, v2, v3
.LBB78_846:
	s_mov_b32 s22, 0
	s_mov_b32 s23, -1
.LBB78_847:
	s_and_not1_b32 vcc_lo, exec_lo, s22
	s_mov_b32 s22, 0
	s_cbranch_vccnz .LBB78_858
; %bb.848:
	s_cmp_gt_i32 s20, 14
	s_cbranch_scc0 .LBB78_851
; %bb.849:
	s_cmp_eq_u32 s20, 15
	s_cbranch_scc0 .LBB78_854
; %bb.850:
	s_wait_loadcnt 0x0
	global_load_u16 v2, v[0:1], off
	s_mov_b32 s21, 0
	s_mov_b32 s23, -1
	s_wait_loadcnt 0x0
	v_lshlrev_b32_e32 v2, 16, v2
	s_branch .LBB78_856
.LBB78_851:
	s_mov_b32 s22, -1
	s_branch .LBB78_855
.LBB78_852:
	s_or_saveexec_b32 s23, s23
	v_mov_b32_e32 v2, 0x7f800001
	s_xor_b32 exec_lo, exec_lo, s23
	s_cbranch_execz .LBB78_833
.LBB78_853:
	v_cmp_ne_u16_e32 vcc_lo, 0, v3
	v_mov_b32_e32 v2, 0
	s_and_not1_b32 s22, s22, exec_lo
	s_and_b32 s24, vcc_lo, exec_lo
	s_delay_alu instid0(SALU_CYCLE_1)
	s_or_b32 s22, s22, s24
	s_or_b32 exec_lo, exec_lo, s23
	s_and_saveexec_b32 s23, s22
	s_cbranch_execnz .LBB78_834
	s_branch .LBB78_835
.LBB78_854:
	s_mov_b32 s21, -1
.LBB78_855:
                                        ; implicit-def: $vgpr2
.LBB78_856:
	s_and_b32 vcc_lo, exec_lo, s22
	s_mov_b32 s22, 0
	s_cbranch_vccz .LBB78_858
; %bb.857:
	s_cmp_lg_u32 s20, 11
	s_mov_b32 s22, -1
	s_cselect_b32 s20, -1, 0
	s_and_not1_b32 s21, s21, exec_lo
	s_and_b32 s20, s20, exec_lo
	s_delay_alu instid0(SALU_CYCLE_1)
	s_or_b32 s21, s21, s20
.LBB78_858:
	s_mov_b32 s20, 0
.LBB78_859:
	s_and_not1_b32 s25, s0, exec_lo
	s_and_b32 s21, s21, exec_lo
	s_and_b32 s23, s23, exec_lo
	;; [unrolled: 1-line block ×4, first 2 shown]
	s_or_b32 s21, s25, s21
.LBB78_860:
	s_wait_xcnt 0x0
	s_or_b32 exec_lo, exec_lo, s13
	s_delay_alu instid0(SALU_CYCLE_1)
	s_and_not1_b32 s0, s0, exec_lo
	s_and_b32 s13, s21, exec_lo
	s_and_b32 s23, s23, exec_lo
	;; [unrolled: 1-line block ×4, first 2 shown]
	s_or_b32 s0, s0, s13
.LBB78_861:
	s_or_b32 exec_lo, exec_lo, s19
	s_delay_alu instid0(SALU_CYCLE_1)
	s_and_not1_b32 s13, s17, exec_lo
	s_and_b32 s1, s1, exec_lo
	s_and_b32 s0, s0, exec_lo
	s_or_b32 s17, s13, s1
	s_and_not1_b32 s13, s16, exec_lo
	s_and_b32 s20, s23, exec_lo
	s_and_b32 s19, s22, exec_lo
	;; [unrolled: 1-line block ×3, first 2 shown]
	s_or_b32 s16, s13, s0
.LBB78_862:
	s_or_b32 exec_lo, exec_lo, s18
	s_delay_alu instid0(SALU_CYCLE_1)
	s_and_not1_b32 s0, s12, exec_lo
	s_and_b32 s12, s17, exec_lo
	s_and_not1_b32 s13, s14, exec_lo
	s_and_b32 s14, s16, exec_lo
	s_or_b32 s12, s0, s12
	s_and_b32 s0, s20, exec_lo
	s_and_b32 s17, s19, exec_lo
	;; [unrolled: 1-line block ×3, first 2 shown]
	s_or_b32 s14, s13, s14
	s_or_b32 exec_lo, exec_lo, s15
	s_mov_b32 s1, 0
	s_and_saveexec_b32 s13, s14
	s_cbranch_execz .LBB78_262
.LBB78_863:
	s_mov_b32 s1, exec_lo
	s_and_not1_b32 s16, s16, exec_lo
	s_trap 2
	s_or_b32 exec_lo, exec_lo, s13
	s_and_saveexec_b32 s13, s16
	s_delay_alu instid0(SALU_CYCLE_1)
	s_xor_b32 s13, exec_lo, s13
	s_cbranch_execnz .LBB78_263
.LBB78_864:
	s_or_b32 exec_lo, exec_lo, s13
	s_and_saveexec_b32 s13, s17
	s_cbranch_execz .LBB78_910
.LBB78_865:
	s_sext_i32_i16 s14, s10
	s_delay_alu instid0(SALU_CYCLE_1)
	s_cmp_lt_i32 s14, 5
	s_cbranch_scc1 .LBB78_870
; %bb.866:
	s_cmp_lt_i32 s14, 8
	s_cbranch_scc1 .LBB78_871
; %bb.867:
	;; [unrolled: 3-line block ×3, first 2 shown]
	s_cmp_gt_i32 s14, 9
	s_cbranch_scc0 .LBB78_873
; %bb.869:
	s_wait_loadcnt 0x0
	global_load_b64 v[2:3], v[0:1], off
	s_mov_b32 s14, 0
	s_wait_loadcnt 0x0
	v_cvt_f32_f64_e32 v2, v[2:3]
	s_branch .LBB78_874
.LBB78_870:
                                        ; implicit-def: $vgpr2
	s_branch .LBB78_891
.LBB78_871:
                                        ; implicit-def: $vgpr2
	s_branch .LBB78_880
.LBB78_872:
	s_mov_b32 s14, -1
                                        ; implicit-def: $vgpr2
	s_branch .LBB78_877
.LBB78_873:
	s_mov_b32 s14, -1
                                        ; implicit-def: $vgpr2
.LBB78_874:
	s_delay_alu instid0(SALU_CYCLE_1)
	s_and_not1_b32 vcc_lo, exec_lo, s14
	s_cbranch_vccnz .LBB78_876
; %bb.875:
	s_wait_loadcnt 0x0
	global_load_b32 v2, v[0:1], off
.LBB78_876:
	s_mov_b32 s14, 0
.LBB78_877:
	s_delay_alu instid0(SALU_CYCLE_1)
	s_and_not1_b32 vcc_lo, exec_lo, s14
	s_cbranch_vccnz .LBB78_879
; %bb.878:
	s_wait_loadcnt 0x0
	global_load_b32 v2, v[0:1], off
	s_wait_loadcnt 0x0
	v_cvt_f32_f16_e32 v2, v2
.LBB78_879:
	s_cbranch_execnz .LBB78_890
.LBB78_880:
	s_sext_i32_i16 s14, s10
	s_delay_alu instid0(SALU_CYCLE_1)
	s_cmp_lt_i32 s14, 6
	s_cbranch_scc1 .LBB78_883
; %bb.881:
	s_cmp_gt_i32 s14, 6
	s_cbranch_scc0 .LBB78_884
; %bb.882:
	s_wait_loadcnt 0x0
	global_load_b64 v[2:3], v[0:1], off
	s_mov_b32 s14, 0
	s_wait_loadcnt 0x0
	v_cvt_f32_f64_e32 v2, v[2:3]
	s_branch .LBB78_885
.LBB78_883:
	s_mov_b32 s14, -1
                                        ; implicit-def: $vgpr2
	s_branch .LBB78_888
.LBB78_884:
	s_mov_b32 s14, -1
                                        ; implicit-def: $vgpr2
.LBB78_885:
	s_delay_alu instid0(SALU_CYCLE_1)
	s_and_not1_b32 vcc_lo, exec_lo, s14
	s_cbranch_vccnz .LBB78_887
; %bb.886:
	s_wait_loadcnt 0x0
	global_load_b32 v2, v[0:1], off
.LBB78_887:
	s_mov_b32 s14, 0
.LBB78_888:
	s_delay_alu instid0(SALU_CYCLE_1)
	s_and_not1_b32 vcc_lo, exec_lo, s14
	s_cbranch_vccnz .LBB78_890
; %bb.889:
	s_wait_loadcnt 0x0
	global_load_u16 v2, v[0:1], off
	s_wait_loadcnt 0x0
	v_cvt_f32_f16_e32 v2, v2
.LBB78_890:
	s_cbranch_execnz .LBB78_909
.LBB78_891:
	s_sext_i32_i16 s14, s10
	s_delay_alu instid0(SALU_CYCLE_1)
	s_cmp_lt_i32 s14, 2
	s_cbranch_scc1 .LBB78_895
; %bb.892:
	s_cmp_lt_i32 s14, 3
	s_cbranch_scc1 .LBB78_896
; %bb.893:
	s_cmp_gt_i32 s14, 3
	s_cbranch_scc0 .LBB78_897
; %bb.894:
	s_wait_loadcnt 0x0
	global_load_b64 v[2:3], v[0:1], off
	s_mov_b32 s14, 0
	s_wait_loadcnt 0x0
	v_xor_b32_e32 v5, v2, v3
	v_cls_i32_e32 v6, v3
	s_delay_alu instid0(VALU_DEP_2) | instskip(NEXT) | instid1(VALU_DEP_1)
	v_ashrrev_i32_e32 v5, 31, v5
	v_add_nc_u32_e32 v5, 32, v5
	s_delay_alu instid0(VALU_DEP_1) | instskip(NEXT) | instid1(VALU_DEP_1)
	v_add_min_u32_e64 v5, v6, -1, v5
	v_lshlrev_b64_e32 v[2:3], v5, v[2:3]
	s_delay_alu instid0(VALU_DEP_1) | instskip(NEXT) | instid1(VALU_DEP_1)
	v_min_u32_e32 v2, 1, v2
	v_dual_sub_nc_u32 v3, 32, v5 :: v_dual_bitop2_b32 v2, v3, v2 bitop3:0x54
	s_delay_alu instid0(VALU_DEP_1) | instskip(NEXT) | instid1(VALU_DEP_1)
	v_cvt_f32_i32_e32 v2, v2
	v_ldexp_f32 v2, v2, v3
	s_branch .LBB78_898
.LBB78_895:
                                        ; implicit-def: $vgpr2
	s_branch .LBB78_904
.LBB78_896:
	s_mov_b32 s14, -1
                                        ; implicit-def: $vgpr2
	s_branch .LBB78_901
.LBB78_897:
	s_mov_b32 s14, -1
                                        ; implicit-def: $vgpr2
.LBB78_898:
	s_delay_alu instid0(SALU_CYCLE_1)
	s_and_not1_b32 vcc_lo, exec_lo, s14
	s_cbranch_vccnz .LBB78_900
; %bb.899:
	s_wait_loadcnt 0x0
	global_load_b32 v2, v[0:1], off
	s_wait_loadcnt 0x0
	v_cvt_f32_i32_e32 v2, v2
.LBB78_900:
	s_mov_b32 s14, 0
.LBB78_901:
	s_delay_alu instid0(SALU_CYCLE_1)
	s_and_not1_b32 vcc_lo, exec_lo, s14
	s_cbranch_vccnz .LBB78_903
; %bb.902:
	s_wait_loadcnt 0x0
	global_load_i16 v2, v[0:1], off
	s_wait_loadcnt 0x0
	v_cvt_f32_i32_e32 v2, v2
.LBB78_903:
	s_cbranch_execnz .LBB78_909
.LBB78_904:
	s_sext_i32_i16 s14, s10
	s_delay_alu instid0(SALU_CYCLE_1)
	s_cmp_gt_i32 s14, 0
	s_mov_b32 s14, 0
	s_cbranch_scc0 .LBB78_906
; %bb.905:
	s_wait_loadcnt 0x0
	global_load_i8 v2, v[0:1], off
	s_wait_loadcnt 0x0
	v_cvt_f32_i32_e32 v2, v2
	s_branch .LBB78_907
.LBB78_906:
	s_mov_b32 s14, -1
                                        ; implicit-def: $vgpr2
.LBB78_907:
	s_delay_alu instid0(SALU_CYCLE_1)
	s_and_not1_b32 vcc_lo, exec_lo, s14
	s_cbranch_vccnz .LBB78_909
; %bb.908:
	global_load_u8 v0, v[0:1], off
	s_wait_loadcnt 0x0
	v_cvt_f32_ubyte0_e32 v2, v0
.LBB78_909:
	s_or_b32 s0, s0, exec_lo
.LBB78_910:
	s_wait_xcnt 0x0
	s_or_b32 exec_lo, exec_lo, s13
	s_mov_b32 s17, 0
	s_mov_b32 s16, 0
                                        ; implicit-def: $sgpr13
                                        ; implicit-def: $sgpr14
                                        ; implicit-def: $vgpr0_vgpr1
	s_and_saveexec_b32 s15, s0
	s_cbranch_execz .LBB78_918
; %bb.911:
	v_mul_lo_u32 v0, v4, s2
	s_wait_loadcnt 0x0
	s_delay_alu instid0(VALU_DEP_2) | instskip(SKIP_1) | instid1(SALU_CYCLE_1)
	v_cmp_eq_f32_e64 s13, 0xff800000, v2
	s_and_b32 s14, s8, 0xff
	s_cmp_lt_i32 s14, 11
	v_ashrrev_i32_e32 v1, 31, v0
	s_delay_alu instid0(VALU_DEP_1)
	v_add_nc_u64_e32 v[0:1], s[4:5], v[0:1]
	s_cbranch_scc1 .LBB78_921
; %bb.912:
	s_and_b32 s16, 0xffff, s14
	s_mov_b32 s17, -1
	s_cmp_gt_i32 s16, 25
	s_mov_b32 s0, s12
	s_cbranch_scc0 .LBB78_949
; %bb.913:
	s_cmp_gt_i32 s16, 28
	s_mov_b32 s0, s12
	s_cbranch_scc0 .LBB78_933
; %bb.914:
	;; [unrolled: 4-line block ×4, first 2 shown]
	s_cmp_eq_u32 s16, 46
	s_mov_b32 s0, -1
	s_cbranch_scc0 .LBB78_922
; %bb.917:
	v_cndmask_b32_e64 v2, 0, 1.0, s13
	s_mov_b32 s0, 0
	s_mov_b32 s17, 0
	s_delay_alu instid0(VALU_DEP_1) | instskip(NEXT) | instid1(VALU_DEP_1)
	v_bfe_u32 v3, v2, 16, 1
	v_add3_u32 v2, v2, v3, 0x7fff
	s_delay_alu instid0(VALU_DEP_1)
	v_lshrrev_b32_e32 v2, 16, v2
	global_store_b32 v[0:1], v2, off
	s_branch .LBB78_923
.LBB78_918:
	s_or_b32 exec_lo, exec_lo, s15
	s_and_saveexec_b32 s0, s12
	s_cbranch_execnz .LBB78_991
.LBB78_919:
	s_or_b32 exec_lo, exec_lo, s0
	s_and_saveexec_b32 s0, s17
	s_delay_alu instid0(SALU_CYCLE_1)
	s_xor_b32 s0, exec_lo, s0
	s_cbranch_execz .LBB78_992
.LBB78_920:
	s_wait_loadcnt 0x0
	v_cndmask_b32_e64 v2, 0, 1, s13
	global_store_b8 v[0:1], v2, off
	s_wait_xcnt 0x0
	s_or_b32 exec_lo, exec_lo, s0
	s_and_saveexec_b32 s0, s16
	s_delay_alu instid0(SALU_CYCLE_1)
	s_xor_b32 s0, exec_lo, s0
	s_cbranch_execz .LBB78_1030
	s_branch .LBB78_993
.LBB78_921:
	s_mov_b32 s18, 0
	s_mov_b32 s17, -1
	s_mov_b32 s0, s12
	s_branch .LBB78_990
.LBB78_922:
	s_mov_b32 s17, 0
.LBB78_923:
	s_delay_alu instid0(SALU_CYCLE_1)
	s_and_b32 vcc_lo, exec_lo, s17
	s_cbranch_vccz .LBB78_928
; %bb.924:
	s_cmp_eq_u32 s16, 44
	s_mov_b32 s0, -1
	s_cbranch_scc0 .LBB78_928
; %bb.925:
	v_cndmask_b32_e64 v4, 0, 1.0, s13
	s_mov_b32 s17, exec_lo
	s_wait_xcnt 0x0
	s_delay_alu instid0(VALU_DEP_1) | instskip(NEXT) | instid1(VALU_DEP_1)
	v_dual_mov_b32 v3, 0xff :: v_dual_lshrrev_b32 v2, 23, v4
	v_cmpx_ne_u32_e32 0xff, v2
; %bb.926:
	v_and_b32_e32 v3, 0x400000, v4
	v_and_or_b32 v4, 0x3fffff, v4, v2
	s_delay_alu instid0(VALU_DEP_2) | instskip(NEXT) | instid1(VALU_DEP_2)
	v_cmp_ne_u32_e32 vcc_lo, 0, v3
	v_cmp_ne_u32_e64 s0, 0, v4
	s_and_b32 s0, vcc_lo, s0
	s_delay_alu instid0(SALU_CYCLE_1) | instskip(NEXT) | instid1(VALU_DEP_1)
	v_cndmask_b32_e64 v3, 0, 1, s0
	v_add_nc_u32_e32 v3, v2, v3
; %bb.927:
	s_or_b32 exec_lo, exec_lo, s17
	s_mov_b32 s0, 0
	global_store_b8 v[0:1], v3, off
.LBB78_928:
	s_mov_b32 s17, 0
.LBB78_929:
	s_delay_alu instid0(SALU_CYCLE_1)
	s_and_b32 vcc_lo, exec_lo, s17
	s_cbranch_vccz .LBB78_932
; %bb.930:
	s_cmp_eq_u32 s16, 29
	s_mov_b32 s0, -1
	s_cbranch_scc0 .LBB78_932
; %bb.931:
	s_mov_b32 s0, 0
	s_wait_xcnt 0x0
	v_cndmask_b32_e64 v2, 0, 1, s13
	v_mov_b32_e32 v3, s0
	s_mov_b32 s17, 0
	global_store_b64 v[0:1], v[2:3], off
	s_branch .LBB78_933
.LBB78_932:
	s_mov_b32 s17, 0
.LBB78_933:
	s_delay_alu instid0(SALU_CYCLE_1)
	s_and_b32 vcc_lo, exec_lo, s17
	s_cbranch_vccz .LBB78_948
; %bb.934:
	s_cmp_lt_i32 s16, 27
	s_mov_b32 s17, -1
	s_cbranch_scc1 .LBB78_940
; %bb.935:
	s_wait_xcnt 0x0
	v_cndmask_b32_e64 v2, 0, 1, s13
	s_cmp_gt_i32 s16, 27
	s_cbranch_scc0 .LBB78_937
; %bb.936:
	s_mov_b32 s17, 0
	global_store_b32 v[0:1], v2, off
.LBB78_937:
	s_and_not1_b32 vcc_lo, exec_lo, s17
	s_cbranch_vccnz .LBB78_939
; %bb.938:
	global_store_b16 v[0:1], v2, off
.LBB78_939:
	s_mov_b32 s17, 0
.LBB78_940:
	s_delay_alu instid0(SALU_CYCLE_1)
	s_and_not1_b32 vcc_lo, exec_lo, s17
	s_cbranch_vccnz .LBB78_948
; %bb.941:
	s_wait_xcnt 0x0
	v_cndmask_b32_e64 v3, 0, 1.0, s13
	v_mov_b32_e32 v4, 0x80
	s_mov_b32 s17, exec_lo
	s_delay_alu instid0(VALU_DEP_2)
	v_cmpx_gt_u32_e32 0x43800000, v3
	s_cbranch_execz .LBB78_947
; %bb.942:
	s_mov_b32 s18, 0
	s_mov_b32 s19, exec_lo
                                        ; implicit-def: $vgpr2
	v_cmpx_lt_u32_e32 0x3bffffff, v3
	s_xor_b32 s19, exec_lo, s19
	s_cbranch_execz .LBB78_1045
; %bb.943:
	v_bfe_u32 v2, v3, 20, 1
	s_mov_b32 s18, exec_lo
	s_delay_alu instid0(VALU_DEP_1) | instskip(NEXT) | instid1(VALU_DEP_1)
	v_add3_u32 v2, v3, v2, 0x487ffff
                                        ; implicit-def: $vgpr3
	v_lshrrev_b32_e32 v2, 20, v2
	s_and_not1_saveexec_b32 s19, s19
	s_cbranch_execnz .LBB78_1046
.LBB78_944:
	s_or_b32 exec_lo, exec_lo, s19
	v_mov_b32_e32 v4, 0
	s_and_saveexec_b32 s19, s18
.LBB78_945:
	v_mov_b32_e32 v4, v2
.LBB78_946:
	s_or_b32 exec_lo, exec_lo, s19
.LBB78_947:
	s_delay_alu instid0(SALU_CYCLE_1)
	s_or_b32 exec_lo, exec_lo, s17
	global_store_b8 v[0:1], v4, off
.LBB78_948:
	s_mov_b32 s17, 0
.LBB78_949:
	s_delay_alu instid0(SALU_CYCLE_1)
	s_and_b32 vcc_lo, exec_lo, s17
	s_mov_b32 s17, 0
	s_cbranch_vccz .LBB78_989
; %bb.950:
	s_cmp_gt_i32 s16, 22
	s_mov_b32 s18, -1
	s_cbranch_scc0 .LBB78_982
; %bb.951:
	s_cmp_lt_i32 s16, 24
	s_cbranch_scc1 .LBB78_971
; %bb.952:
	s_cmp_gt_i32 s16, 24
	s_cbranch_scc0 .LBB78_960
; %bb.953:
	s_wait_xcnt 0x0
	v_cndmask_b32_e64 v3, 0, 1.0, s13
	v_mov_b32_e32 v4, 0x80
	s_mov_b32 s18, exec_lo
	s_delay_alu instid0(VALU_DEP_2)
	v_cmpx_gt_u32_e32 0x47800000, v3
	s_cbranch_execz .LBB78_959
; %bb.954:
	s_mov_b32 s19, 0
	s_mov_b32 s20, exec_lo
                                        ; implicit-def: $vgpr2
	v_cmpx_lt_u32_e32 0x37ffffff, v3
	s_xor_b32 s20, exec_lo, s20
	s_cbranch_execz .LBB78_1171
; %bb.955:
	v_bfe_u32 v2, v3, 21, 1
	s_mov_b32 s19, exec_lo
	s_delay_alu instid0(VALU_DEP_1) | instskip(NEXT) | instid1(VALU_DEP_1)
	v_add3_u32 v2, v3, v2, 0x88fffff
                                        ; implicit-def: $vgpr3
	v_lshrrev_b32_e32 v2, 21, v2
	s_and_not1_saveexec_b32 s20, s20
	s_cbranch_execnz .LBB78_1172
.LBB78_956:
	s_or_b32 exec_lo, exec_lo, s20
	v_mov_b32_e32 v4, 0
	s_and_saveexec_b32 s20, s19
.LBB78_957:
	v_mov_b32_e32 v4, v2
.LBB78_958:
	s_or_b32 exec_lo, exec_lo, s20
.LBB78_959:
	s_delay_alu instid0(SALU_CYCLE_1)
	s_or_b32 exec_lo, exec_lo, s18
	s_mov_b32 s18, 0
	global_store_b8 v[0:1], v4, off
.LBB78_960:
	s_and_b32 vcc_lo, exec_lo, s18
	s_cbranch_vccz .LBB78_970
; %bb.961:
	s_wait_xcnt 0x0
	v_cndmask_b32_e64 v3, 0, 1.0, s13
	s_mov_b32 s18, exec_lo
                                        ; implicit-def: $vgpr2
	s_delay_alu instid0(VALU_DEP_1)
	v_cmpx_gt_u32_e32 0x43f00000, v3
	s_xor_b32 s18, exec_lo, s18
	s_cbranch_execz .LBB78_967
; %bb.962:
	s_mov_b32 s19, exec_lo
                                        ; implicit-def: $vgpr2
	v_cmpx_lt_u32_e32 0x3c7fffff, v3
	s_xor_b32 s19, exec_lo, s19
; %bb.963:
	v_bfe_u32 v2, v3, 20, 1
	s_delay_alu instid0(VALU_DEP_1) | instskip(NEXT) | instid1(VALU_DEP_1)
	v_add3_u32 v2, v3, v2, 0x407ffff
	v_and_b32_e32 v3, 0xff00000, v2
	v_lshrrev_b32_e32 v2, 20, v2
	s_delay_alu instid0(VALU_DEP_2) | instskip(NEXT) | instid1(VALU_DEP_2)
	v_cmp_ne_u32_e32 vcc_lo, 0x7f00000, v3
                                        ; implicit-def: $vgpr3
	v_cndmask_b32_e32 v2, 0x7e, v2, vcc_lo
; %bb.964:
	s_and_not1_saveexec_b32 s19, s19
; %bb.965:
	v_add_f32_e32 v2, 0x46800000, v3
; %bb.966:
	s_or_b32 exec_lo, exec_lo, s19
                                        ; implicit-def: $vgpr3
.LBB78_967:
	s_and_not1_saveexec_b32 s18, s18
; %bb.968:
	v_mov_b32_e32 v2, 0x7f
	v_cmp_lt_u32_e32 vcc_lo, 0x7f800000, v3
	s_delay_alu instid0(VALU_DEP_2)
	v_cndmask_b32_e32 v2, 0x7e, v2, vcc_lo
; %bb.969:
	s_or_b32 exec_lo, exec_lo, s18
	global_store_b8 v[0:1], v2, off
.LBB78_970:
	s_mov_b32 s18, 0
.LBB78_971:
	s_delay_alu instid0(SALU_CYCLE_1)
	s_and_not1_b32 vcc_lo, exec_lo, s18
	s_cbranch_vccnz .LBB78_981
; %bb.972:
	s_wait_xcnt 0x0
	v_cndmask_b32_e64 v3, 0, 1.0, s13
	s_mov_b32 s18, exec_lo
                                        ; implicit-def: $vgpr2
	s_delay_alu instid0(VALU_DEP_1)
	v_cmpx_gt_u32_e32 0x47800000, v3
	s_xor_b32 s18, exec_lo, s18
	s_cbranch_execz .LBB78_978
; %bb.973:
	s_mov_b32 s19, exec_lo
                                        ; implicit-def: $vgpr2
	v_cmpx_lt_u32_e32 0x387fffff, v3
	s_xor_b32 s19, exec_lo, s19
; %bb.974:
	v_bfe_u32 v2, v3, 21, 1
	s_delay_alu instid0(VALU_DEP_1) | instskip(NEXT) | instid1(VALU_DEP_1)
	v_add3_u32 v2, v3, v2, 0x80fffff
                                        ; implicit-def: $vgpr3
	v_lshrrev_b32_e32 v2, 21, v2
; %bb.975:
	s_and_not1_saveexec_b32 s19, s19
; %bb.976:
	v_add_f32_e32 v2, 0x43000000, v3
; %bb.977:
	s_or_b32 exec_lo, exec_lo, s19
                                        ; implicit-def: $vgpr3
.LBB78_978:
	s_and_not1_saveexec_b32 s18, s18
; %bb.979:
	v_mov_b32_e32 v2, 0x7f
	v_cmp_lt_u32_e32 vcc_lo, 0x7f800000, v3
	s_delay_alu instid0(VALU_DEP_2)
	v_cndmask_b32_e32 v2, 0x7c, v2, vcc_lo
; %bb.980:
	s_or_b32 exec_lo, exec_lo, s18
	global_store_b8 v[0:1], v2, off
.LBB78_981:
	s_mov_b32 s18, 0
.LBB78_982:
	s_delay_alu instid0(SALU_CYCLE_1)
	s_and_not1_b32 vcc_lo, exec_lo, s18
	s_mov_b32 s18, 0
	s_cbranch_vccnz .LBB78_990
; %bb.983:
	s_cmp_gt_i32 s16, 14
	s_mov_b32 s18, -1
	s_cbranch_scc0 .LBB78_987
; %bb.984:
	s_cmp_eq_u32 s16, 15
	s_mov_b32 s0, -1
	s_cbranch_scc0 .LBB78_986
; %bb.985:
	s_wait_xcnt 0x0
	v_cndmask_b32_e64 v2, 0, 1.0, s13
	s_mov_b32 s0, 0
	s_delay_alu instid0(VALU_DEP_1) | instskip(NEXT) | instid1(VALU_DEP_1)
	v_bfe_u32 v3, v2, 16, 1
	v_add3_u32 v2, v2, v3, 0x7fff
	global_store_d16_hi_b16 v[0:1], v2, off
.LBB78_986:
	s_mov_b32 s18, 0
.LBB78_987:
	s_delay_alu instid0(SALU_CYCLE_1)
	s_and_b32 vcc_lo, exec_lo, s18
	s_mov_b32 s18, 0
	s_cbranch_vccz .LBB78_990
; %bb.988:
	s_cmp_lg_u32 s16, 11
	s_mov_b32 s18, -1
	s_cselect_b32 s16, -1, 0
	s_and_not1_b32 s0, s0, exec_lo
	s_and_b32 s16, s16, exec_lo
	s_delay_alu instid0(SALU_CYCLE_1)
	s_or_b32 s0, s0, s16
	s_branch .LBB78_990
.LBB78_989:
	s_mov_b32 s18, 0
.LBB78_990:
	s_and_not1_b32 s12, s12, exec_lo
	s_and_b32 s0, s0, exec_lo
	s_and_b32 s16, s17, exec_lo
	s_and_b32 s17, s18, exec_lo
	s_or_b32 s12, s12, s0
	s_wait_xcnt 0x0
	s_or_b32 exec_lo, exec_lo, s15
	s_and_saveexec_b32 s0, s12
	s_cbranch_execz .LBB78_919
.LBB78_991:
	s_or_b32 s1, s1, exec_lo
	s_and_not1_b32 s17, s17, exec_lo
	s_trap 2
	s_or_b32 exec_lo, exec_lo, s0
	s_and_saveexec_b32 s0, s17
	s_delay_alu instid0(SALU_CYCLE_1)
	s_xor_b32 s0, exec_lo, s0
	s_cbranch_execnz .LBB78_920
.LBB78_992:
	s_or_b32 exec_lo, exec_lo, s0
	s_and_saveexec_b32 s0, s16
	s_delay_alu instid0(SALU_CYCLE_1)
	s_xor_b32 s0, exec_lo, s0
	s_cbranch_execz .LBB78_1030
.LBB78_993:
	s_sext_i32_i16 s15, s14
	s_mov_b32 s12, -1
	s_cmp_lt_i32 s15, 5
	s_cbranch_scc1 .LBB78_1014
; %bb.994:
	s_cmp_lt_i32 s15, 8
	s_cbranch_scc1 .LBB78_1004
; %bb.995:
	;; [unrolled: 3-line block ×3, first 2 shown]
	s_cmp_gt_i32 s15, 9
	s_cbranch_scc0 .LBB78_998
; %bb.997:
	s_wait_loadcnt 0x0
	v_cndmask_b32_e64 v2, 0, 1, s13
	v_mov_b32_e32 v4, 0
	s_mov_b32 s12, 0
	s_delay_alu instid0(VALU_DEP_2) | instskip(NEXT) | instid1(VALU_DEP_2)
	v_cvt_f64_u32_e32 v[2:3], v2
	v_mov_b32_e32 v5, v4
	global_store_b128 v[0:1], v[2:5], off
.LBB78_998:
	s_and_not1_b32 vcc_lo, exec_lo, s12
	s_cbranch_vccnz .LBB78_1000
; %bb.999:
	s_wait_loadcnt 0x0
	v_cndmask_b32_e64 v2, 0, 1.0, s13
	v_mov_b32_e32 v3, 0
	global_store_b64 v[0:1], v[2:3], off
.LBB78_1000:
	s_mov_b32 s12, 0
.LBB78_1001:
	s_delay_alu instid0(SALU_CYCLE_1)
	s_and_not1_b32 vcc_lo, exec_lo, s12
	s_cbranch_vccnz .LBB78_1003
; %bb.1002:
	s_wait_loadcnt 0x0
	v_cndmask_b32_e64 v2, 0, 1.0, s13
	s_delay_alu instid0(VALU_DEP_1) | instskip(NEXT) | instid1(VALU_DEP_1)
	v_cvt_f16_f32_e32 v2, v2
	v_and_b32_e32 v2, 0xffff, v2
	global_store_b32 v[0:1], v2, off
.LBB78_1003:
	s_mov_b32 s12, 0
.LBB78_1004:
	s_delay_alu instid0(SALU_CYCLE_1)
	s_and_not1_b32 vcc_lo, exec_lo, s12
	s_cbranch_vccnz .LBB78_1013
; %bb.1005:
	s_sext_i32_i16 s15, s14
	s_mov_b32 s12, -1
	s_cmp_lt_i32 s15, 6
	s_cbranch_scc1 .LBB78_1011
; %bb.1006:
	s_cmp_gt_i32 s15, 6
	s_cbranch_scc0 .LBB78_1008
; %bb.1007:
	s_wait_loadcnt 0x0
	v_cndmask_b32_e64 v2, 0, 1, s13
	s_mov_b32 s12, 0
	s_delay_alu instid0(VALU_DEP_1)
	v_cvt_f64_u32_e32 v[2:3], v2
	global_store_b64 v[0:1], v[2:3], off
.LBB78_1008:
	s_and_not1_b32 vcc_lo, exec_lo, s12
	s_cbranch_vccnz .LBB78_1010
; %bb.1009:
	s_wait_loadcnt 0x0
	v_cndmask_b32_e64 v2, 0, 1.0, s13
	global_store_b32 v[0:1], v2, off
.LBB78_1010:
	s_mov_b32 s12, 0
.LBB78_1011:
	s_delay_alu instid0(SALU_CYCLE_1)
	s_and_not1_b32 vcc_lo, exec_lo, s12
	s_cbranch_vccnz .LBB78_1013
; %bb.1012:
	s_wait_loadcnt 0x0
	v_cndmask_b32_e64 v2, 0, 1.0, s13
	s_delay_alu instid0(VALU_DEP_1)
	v_cvt_f16_f32_e32 v2, v2
	global_store_b16 v[0:1], v2, off
.LBB78_1013:
	s_mov_b32 s12, 0
.LBB78_1014:
	s_delay_alu instid0(SALU_CYCLE_1)
	s_and_not1_b32 vcc_lo, exec_lo, s12
	s_cbranch_vccnz .LBB78_1030
; %bb.1015:
	s_sext_i32_i16 s15, s14
	s_mov_b32 s12, -1
	s_cmp_lt_i32 s15, 2
	s_cbranch_scc1 .LBB78_1025
; %bb.1016:
	s_cmp_lt_i32 s15, 3
	s_cbranch_scc1 .LBB78_1022
; %bb.1017:
	s_cmp_gt_i32 s15, 3
	s_cbranch_scc0 .LBB78_1019
; %bb.1018:
	s_mov_b32 s12, 0
	s_wait_loadcnt 0x0
	v_cndmask_b32_e64 v2, 0, 1, s13
	v_mov_b32_e32 v3, s12
	global_store_b64 v[0:1], v[2:3], off
.LBB78_1019:
	s_and_not1_b32 vcc_lo, exec_lo, s12
	s_cbranch_vccnz .LBB78_1021
; %bb.1020:
	s_wait_loadcnt 0x0
	v_cndmask_b32_e64 v2, 0, 1, s13
	global_store_b32 v[0:1], v2, off
.LBB78_1021:
	s_mov_b32 s12, 0
.LBB78_1022:
	s_delay_alu instid0(SALU_CYCLE_1)
	s_and_not1_b32 vcc_lo, exec_lo, s12
	s_cbranch_vccnz .LBB78_1024
; %bb.1023:
	s_wait_loadcnt 0x0
	v_cndmask_b32_e64 v2, 0, 1, s13
	global_store_b16 v[0:1], v2, off
.LBB78_1024:
	s_mov_b32 s12, 0
.LBB78_1025:
	s_delay_alu instid0(SALU_CYCLE_1)
	s_and_not1_b32 vcc_lo, exec_lo, s12
	s_cbranch_vccnz .LBB78_1030
; %bb.1026:
	s_wait_loadcnt 0x0
	v_cndmask_b32_e64 v2, 0, 1, s13
	s_sext_i32_i16 s12, s14
	s_delay_alu instid0(SALU_CYCLE_1)
	s_cmp_gt_i32 s12, 0
	s_mov_b32 s12, -1
	s_cbranch_scc0 .LBB78_1028
; %bb.1027:
	s_mov_b32 s12, 0
	global_store_b8 v[0:1], v2, off
.LBB78_1028:
	s_and_not1_b32 vcc_lo, exec_lo, s12
	s_cbranch_vccnz .LBB78_1030
; %bb.1029:
	global_store_b8 v[0:1], v2, off
.LBB78_1030:
	s_wait_xcnt 0x0
	s_or_b32 exec_lo, exec_lo, s0
	s_delay_alu instid0(SALU_CYCLE_1)
	s_and_b32 s12, s1, exec_lo
                                        ; implicit-def: $vgpr4
.LBB78_1031:
	s_or_saveexec_b32 s11, s11
	s_mov_b32 s0, 0
                                        ; implicit-def: $sgpr1
                                        ; implicit-def: $sgpr13
                                        ; implicit-def: $vgpr0_vgpr1
	s_xor_b32 exec_lo, exec_lo, s11
	s_cbranch_execz .LBB78_1983
; %bb.1032:
	v_mul_lo_u32 v0, s3, v4
	s_and_b32 s0, 0xffff, s10
	s_delay_alu instid0(SALU_CYCLE_1) | instskip(NEXT) | instid1(VALU_DEP_1)
	s_cmp_lt_i32 s0, 11
	v_ashrrev_i32_e32 v1, 31, v0
	s_wait_loadcnt 0x0
	s_delay_alu instid0(VALU_DEP_1)
	v_add_nc_u64_e32 v[2:3], s[6:7], v[0:1]
	s_cbranch_scc1 .LBB78_1039
; %bb.1033:
	s_cmp_gt_i32 s0, 25
	s_mov_b32 s10, 0
	s_cbranch_scc0 .LBB78_1041
; %bb.1034:
	s_cmp_gt_i32 s0, 28
	s_cbranch_scc0 .LBB78_1042
; %bb.1035:
	s_cmp_gt_i32 s0, 43
	;; [unrolled: 3-line block ×3, first 2 shown]
	s_cbranch_scc0 .LBB78_1044
; %bb.1037:
	s_cmp_eq_u32 s0, 46
	s_cbranch_scc0 .LBB78_1047
; %bb.1038:
	global_load_b32 v1, v[2:3], off
	s_mov_b32 s1, 0
	s_mov_b32 s13, -1
	s_wait_loadcnt 0x0
	v_lshlrev_b32_e32 v5, 16, v1
	s_branch .LBB78_1049
.LBB78_1039:
	s_mov_b32 s13, 0
	s_mov_b32 s9, s12
                                        ; implicit-def: $vgpr5
	s_cbranch_execnz .LBB78_1112
.LBB78_1040:
	s_and_not1_b32 vcc_lo, exec_lo, s13
	s_cbranch_vccz .LBB78_1157
	s_branch .LBB78_1981
.LBB78_1041:
	s_mov_b32 s13, 0
	s_mov_b32 s1, 0
                                        ; implicit-def: $vgpr5
	s_cbranch_execnz .LBB78_1077
	s_branch .LBB78_1108
.LBB78_1042:
	s_mov_b32 s9, -1
	s_mov_b32 s13, 0
	s_mov_b32 s1, 0
                                        ; implicit-def: $vgpr5
	s_branch .LBB78_1058
.LBB78_1043:
	s_mov_b32 s13, 0
	s_mov_b32 s1, 0
                                        ; implicit-def: $vgpr5
	s_cbranch_execnz .LBB78_1054
	s_branch .LBB78_1057
.LBB78_1044:
	s_mov_b32 s9, -1
	s_mov_b32 s13, 0
	s_mov_b32 s1, 0
	s_branch .LBB78_1048
.LBB78_1045:
	s_and_not1_saveexec_b32 s19, s19
	s_cbranch_execz .LBB78_944
.LBB78_1046:
	v_add_f32_e32 v2, 0x46000000, v3
	s_and_not1_b32 s18, s18, exec_lo
	s_delay_alu instid0(VALU_DEP_1) | instskip(NEXT) | instid1(VALU_DEP_1)
	v_and_b32_e32 v2, 0xff, v2
	v_cmp_ne_u32_e32 vcc_lo, 0, v2
	s_and_b32 s20, vcc_lo, exec_lo
	s_delay_alu instid0(SALU_CYCLE_1)
	s_or_b32 s18, s18, s20
	s_or_b32 exec_lo, exec_lo, s19
	v_mov_b32_e32 v4, 0
	s_and_saveexec_b32 s19, s18
	s_cbranch_execnz .LBB78_945
	s_branch .LBB78_946
.LBB78_1047:
	s_mov_b32 s1, -1
	s_mov_b32 s13, 0
.LBB78_1048:
                                        ; implicit-def: $vgpr5
.LBB78_1049:
	s_and_b32 vcc_lo, exec_lo, s9
	s_cbranch_vccz .LBB78_1052
; %bb.1050:
	s_cmp_eq_u32 s0, 44
	s_cbranch_scc0 .LBB78_1053
; %bb.1051:
	global_load_u8 v1, v[2:3], off
	s_mov_b32 s1, 0
	s_mov_b32 s13, -1
	s_wait_loadcnt 0x0
	v_lshlrev_b32_e32 v5, 23, v1
	v_cmp_ne_u32_e32 vcc_lo, 0xff, v1
	s_delay_alu instid0(VALU_DEP_2) | instskip(SKIP_1) | instid1(VALU_DEP_2)
	v_cndmask_b32_e32 v5, 0x7f800001, v5, vcc_lo
	v_cmp_ne_u32_e32 vcc_lo, 0, v1
	v_cndmask_b32_e32 v5, 0x400000, v5, vcc_lo
.LBB78_1052:
	s_branch .LBB78_1057
.LBB78_1053:
	s_mov_b32 s1, -1
                                        ; implicit-def: $vgpr5
	s_branch .LBB78_1057
.LBB78_1054:
	s_cmp_eq_u32 s0, 29
	s_cbranch_scc0 .LBB78_1056
; %bb.1055:
	global_load_b64 v[6:7], v[2:3], off
	s_mov_b32 s1, 0
	s_mov_b32 s13, -1
	s_mov_b32 s9, 0
	s_wait_loadcnt 0x0
	v_clz_i32_u32_e32 v1, v7
	s_delay_alu instid0(VALU_DEP_1) | instskip(NEXT) | instid1(VALU_DEP_1)
	v_min_u32_e32 v1, 32, v1
	v_lshlrev_b64_e32 v[6:7], v1, v[6:7]
	v_sub_nc_u32_e32 v1, 32, v1
	s_delay_alu instid0(VALU_DEP_2) | instskip(NEXT) | instid1(VALU_DEP_1)
	v_min_u32_e32 v5, 1, v6
	v_or_b32_e32 v5, v7, v5
	s_delay_alu instid0(VALU_DEP_1) | instskip(NEXT) | instid1(VALU_DEP_1)
	v_cvt_f32_u32_e32 v5, v5
	v_ldexp_f32 v5, v5, v1
	s_branch .LBB78_1058
.LBB78_1056:
	s_mov_b32 s1, -1
                                        ; implicit-def: $vgpr5
.LBB78_1057:
	s_mov_b32 s9, 0
.LBB78_1058:
	s_delay_alu instid0(SALU_CYCLE_1)
	s_and_b32 vcc_lo, exec_lo, s9
	s_cbranch_vccz .LBB78_1076
; %bb.1059:
	s_cmp_lt_i32 s0, 27
	s_cbranch_scc1 .LBB78_1062
; %bb.1060:
	s_cmp_gt_i32 s0, 27
	s_cbranch_scc0 .LBB78_1063
; %bb.1061:
	global_load_b32 v1, v[2:3], off
	s_mov_b32 s9, 0
	s_wait_loadcnt 0x0
	v_cvt_f32_u32_e32 v5, v1
	s_branch .LBB78_1064
.LBB78_1062:
	s_mov_b32 s9, -1
                                        ; implicit-def: $vgpr5
	s_branch .LBB78_1067
.LBB78_1063:
	s_mov_b32 s9, -1
                                        ; implicit-def: $vgpr5
.LBB78_1064:
	s_delay_alu instid0(SALU_CYCLE_1)
	s_and_not1_b32 vcc_lo, exec_lo, s9
	s_cbranch_vccnz .LBB78_1066
; %bb.1065:
	global_load_u16 v1, v[2:3], off
	s_wait_loadcnt 0x0
	v_cvt_f32_u32_e32 v5, v1
.LBB78_1066:
	s_mov_b32 s9, 0
.LBB78_1067:
	s_delay_alu instid0(SALU_CYCLE_1)
	s_and_not1_b32 vcc_lo, exec_lo, s9
	s_cbranch_vccnz .LBB78_1075
; %bb.1068:
	global_load_u8 v1, v[2:3], off
	s_mov_b32 s9, 0
	s_mov_b32 s13, exec_lo
	s_wait_loadcnt 0x0
	v_cmpx_lt_i16_e32 0x7f, v1
	s_xor_b32 s13, exec_lo, s13
	s_cbranch_execz .LBB78_1088
; %bb.1069:
	s_mov_b32 s9, -1
	s_mov_b32 s14, exec_lo
	v_cmpx_eq_u16_e32 0x80, v1
; %bb.1070:
	s_xor_b32 s9, exec_lo, -1
; %bb.1071:
	s_or_b32 exec_lo, exec_lo, s14
	s_delay_alu instid0(SALU_CYCLE_1)
	s_and_b32 s9, s9, exec_lo
	s_or_saveexec_b32 s13, s13
	v_mov_b32_e32 v5, 0x7f800001
	s_xor_b32 exec_lo, exec_lo, s13
	s_cbranch_execnz .LBB78_1089
.LBB78_1072:
	s_or_b32 exec_lo, exec_lo, s13
	s_and_saveexec_b32 s13, s9
	s_cbranch_execz .LBB78_1074
.LBB78_1073:
	v_and_b32_e32 v5, 0xffff, v1
	s_delay_alu instid0(VALU_DEP_1) | instskip(SKIP_1) | instid1(VALU_DEP_2)
	v_and_b32_e32 v6, 7, v5
	v_bfe_u32 v9, v5, 3, 4
	v_clz_i32_u32_e32 v7, v6
	s_delay_alu instid0(VALU_DEP_2) | instskip(NEXT) | instid1(VALU_DEP_2)
	v_cmp_eq_u32_e32 vcc_lo, 0, v9
	v_min_u32_e32 v7, 32, v7
	s_delay_alu instid0(VALU_DEP_1) | instskip(NEXT) | instid1(VALU_DEP_1)
	v_subrev_nc_u32_e32 v8, 28, v7
	v_dual_lshlrev_b32 v5, v8, v5 :: v_dual_sub_nc_u32 v7, 29, v7
	s_delay_alu instid0(VALU_DEP_1) | instskip(NEXT) | instid1(VALU_DEP_2)
	v_and_b32_e32 v5, 7, v5
	v_dual_lshlrev_b32 v1, 24, v1 :: v_dual_cndmask_b32 v7, v9, v7, vcc_lo
	s_delay_alu instid0(VALU_DEP_2) | instskip(NEXT) | instid1(VALU_DEP_2)
	v_cndmask_b32_e32 v5, v6, v5, vcc_lo
	v_and_b32_e32 v1, 0x80000000, v1
	s_delay_alu instid0(VALU_DEP_3) | instskip(NEXT) | instid1(VALU_DEP_3)
	v_lshl_add_u32 v6, v7, 23, 0x3b800000
	v_lshlrev_b32_e32 v5, 20, v5
	s_delay_alu instid0(VALU_DEP_1)
	v_or3_b32 v5, v1, v6, v5
.LBB78_1074:
	s_or_b32 exec_lo, exec_lo, s13
.LBB78_1075:
	s_mov_b32 s13, -1
.LBB78_1076:
	s_branch .LBB78_1108
.LBB78_1077:
	s_cmp_gt_i32 s0, 22
	s_cbranch_scc0 .LBB78_1087
; %bb.1078:
	s_cmp_lt_i32 s0, 24
	s_cbranch_scc1 .LBB78_1090
; %bb.1079:
	s_cmp_gt_i32 s0, 24
	s_cbranch_scc0 .LBB78_1091
; %bb.1080:
	global_load_u8 v1, v[2:3], off
	s_mov_b32 s9, 0
	s_mov_b32 s10, exec_lo
	s_wait_loadcnt 0x0
	v_cmpx_lt_i16_e32 0x7f, v1
	s_xor_b32 s10, exec_lo, s10
	s_cbranch_execz .LBB78_1102
; %bb.1081:
	s_mov_b32 s9, -1
	s_mov_b32 s13, exec_lo
	v_cmpx_eq_u16_e32 0x80, v1
; %bb.1082:
	s_xor_b32 s9, exec_lo, -1
; %bb.1083:
	s_or_b32 exec_lo, exec_lo, s13
	s_delay_alu instid0(SALU_CYCLE_1)
	s_and_b32 s9, s9, exec_lo
	s_or_saveexec_b32 s10, s10
	v_mov_b32_e32 v5, 0x7f800001
	s_xor_b32 exec_lo, exec_lo, s10
	s_cbranch_execnz .LBB78_1103
.LBB78_1084:
	s_or_b32 exec_lo, exec_lo, s10
	s_and_saveexec_b32 s10, s9
	s_cbranch_execz .LBB78_1086
.LBB78_1085:
	v_and_b32_e32 v5, 0xffff, v1
	s_delay_alu instid0(VALU_DEP_1) | instskip(SKIP_1) | instid1(VALU_DEP_2)
	v_and_b32_e32 v6, 3, v5
	v_bfe_u32 v9, v5, 2, 5
	v_clz_i32_u32_e32 v7, v6
	s_delay_alu instid0(VALU_DEP_2) | instskip(NEXT) | instid1(VALU_DEP_2)
	v_cmp_eq_u32_e32 vcc_lo, 0, v9
	v_min_u32_e32 v7, 32, v7
	s_delay_alu instid0(VALU_DEP_1) | instskip(NEXT) | instid1(VALU_DEP_1)
	v_subrev_nc_u32_e32 v8, 29, v7
	v_dual_lshlrev_b32 v5, v8, v5 :: v_dual_sub_nc_u32 v7, 30, v7
	s_delay_alu instid0(VALU_DEP_1) | instskip(NEXT) | instid1(VALU_DEP_2)
	v_and_b32_e32 v5, 3, v5
	v_dual_lshlrev_b32 v1, 24, v1 :: v_dual_cndmask_b32 v7, v9, v7, vcc_lo
	s_delay_alu instid0(VALU_DEP_2) | instskip(NEXT) | instid1(VALU_DEP_2)
	v_cndmask_b32_e32 v5, v6, v5, vcc_lo
	v_and_b32_e32 v1, 0x80000000, v1
	s_delay_alu instid0(VALU_DEP_3) | instskip(NEXT) | instid1(VALU_DEP_3)
	v_lshl_add_u32 v6, v7, 23, 0x37800000
	v_lshlrev_b32_e32 v5, 21, v5
	s_delay_alu instid0(VALU_DEP_1)
	v_or3_b32 v5, v1, v6, v5
.LBB78_1086:
	s_or_b32 exec_lo, exec_lo, s10
	s_mov_b32 s9, 0
	s_branch .LBB78_1092
.LBB78_1087:
                                        ; implicit-def: $vgpr5
	s_mov_b32 s10, 0
	s_branch .LBB78_1098
.LBB78_1088:
	s_or_saveexec_b32 s13, s13
	v_mov_b32_e32 v5, 0x7f800001
	s_xor_b32 exec_lo, exec_lo, s13
	s_cbranch_execz .LBB78_1072
.LBB78_1089:
	v_cmp_ne_u16_e32 vcc_lo, 0, v1
	v_mov_b32_e32 v5, 0
	s_and_not1_b32 s9, s9, exec_lo
	s_and_b32 s14, vcc_lo, exec_lo
	s_delay_alu instid0(SALU_CYCLE_1)
	s_or_b32 s9, s9, s14
	s_or_b32 exec_lo, exec_lo, s13
	s_and_saveexec_b32 s13, s9
	s_cbranch_execnz .LBB78_1073
	s_branch .LBB78_1074
.LBB78_1090:
	s_mov_b32 s9, -1
                                        ; implicit-def: $vgpr5
	s_branch .LBB78_1095
.LBB78_1091:
	s_mov_b32 s9, -1
                                        ; implicit-def: $vgpr5
.LBB78_1092:
	s_delay_alu instid0(SALU_CYCLE_1)
	s_and_b32 vcc_lo, exec_lo, s9
	s_cbranch_vccz .LBB78_1094
; %bb.1093:
	global_load_u8 v1, v[2:3], off
	s_wait_loadcnt 0x0
	v_lshlrev_b32_e32 v1, 24, v1
	s_delay_alu instid0(VALU_DEP_1) | instskip(NEXT) | instid1(VALU_DEP_1)
	v_and_b32_e32 v5, 0x7f000000, v1
	v_clz_i32_u32_e32 v6, v5
	v_cmp_ne_u32_e32 vcc_lo, 0, v5
	v_add_nc_u32_e32 v8, 0x1000000, v5
	s_delay_alu instid0(VALU_DEP_3) | instskip(NEXT) | instid1(VALU_DEP_1)
	v_min_u32_e32 v6, 32, v6
	v_sub_nc_u32_e64 v6, v6, 4 clamp
	s_delay_alu instid0(VALU_DEP_1) | instskip(NEXT) | instid1(VALU_DEP_1)
	v_dual_lshlrev_b32 v7, v6, v5 :: v_dual_lshlrev_b32 v6, 23, v6
	v_lshrrev_b32_e32 v7, 4, v7
	s_delay_alu instid0(VALU_DEP_1) | instskip(NEXT) | instid1(VALU_DEP_1)
	v_dual_sub_nc_u32 v6, v7, v6 :: v_dual_ashrrev_i32 v7, 8, v8
	v_add_nc_u32_e32 v6, 0x3c000000, v6
	s_delay_alu instid0(VALU_DEP_1) | instskip(NEXT) | instid1(VALU_DEP_1)
	v_and_or_b32 v6, 0x7f800000, v7, v6
	v_cndmask_b32_e32 v5, 0, v6, vcc_lo
	s_delay_alu instid0(VALU_DEP_1)
	v_and_or_b32 v5, 0x80000000, v1, v5
.LBB78_1094:
	s_mov_b32 s9, 0
.LBB78_1095:
	s_delay_alu instid0(SALU_CYCLE_1)
	s_and_not1_b32 vcc_lo, exec_lo, s9
	s_cbranch_vccnz .LBB78_1097
; %bb.1096:
	global_load_u8 v1, v[2:3], off
	s_wait_loadcnt 0x0
	v_lshlrev_b32_e32 v5, 25, v1
	v_lshlrev_b16 v1, 8, v1
	s_delay_alu instid0(VALU_DEP_1) | instskip(SKIP_1) | instid1(VALU_DEP_2)
	v_and_or_b32 v7, 0x7f00, v1, 0.5
	v_bfe_i32 v1, v1, 0, 16
	v_dual_add_f32 v7, -0.5, v7 :: v_dual_lshrrev_b32 v6, 4, v5
	v_cmp_gt_u32_e32 vcc_lo, 0x8000000, v5
	s_delay_alu instid0(VALU_DEP_2) | instskip(NEXT) | instid1(VALU_DEP_1)
	v_or_b32_e32 v6, 0x70000000, v6
	v_mul_f32_e32 v6, 0x7800000, v6
	s_delay_alu instid0(VALU_DEP_1) | instskip(NEXT) | instid1(VALU_DEP_1)
	v_cndmask_b32_e32 v5, v6, v7, vcc_lo
	v_and_or_b32 v5, 0x80000000, v1, v5
.LBB78_1097:
	s_mov_b32 s13, -1
	s_mov_b32 s10, 0
	s_cbranch_execnz .LBB78_1108
.LBB78_1098:
	s_cmp_gt_i32 s0, 14
	s_cbranch_scc0 .LBB78_1101
; %bb.1099:
	s_cmp_eq_u32 s0, 15
	s_cbranch_scc0 .LBB78_1104
; %bb.1100:
	global_load_u16 v1, v[2:3], off
	s_mov_b32 s1, 0
	s_mov_b32 s13, -1
	s_wait_loadcnt 0x0
	v_lshlrev_b32_e32 v5, 16, v1
	s_branch .LBB78_1105
.LBB78_1101:
	s_mov_b32 s9, -1
                                        ; implicit-def: $vgpr5
	s_branch .LBB78_1106
.LBB78_1102:
	s_or_saveexec_b32 s10, s10
	v_mov_b32_e32 v5, 0x7f800001
	s_xor_b32 exec_lo, exec_lo, s10
	s_cbranch_execz .LBB78_1084
.LBB78_1103:
	v_cmp_ne_u16_e32 vcc_lo, 0, v1
	v_mov_b32_e32 v5, 0
	s_and_not1_b32 s9, s9, exec_lo
	s_and_b32 s13, vcc_lo, exec_lo
	s_delay_alu instid0(SALU_CYCLE_1)
	s_or_b32 s9, s9, s13
	s_or_b32 exec_lo, exec_lo, s10
	s_and_saveexec_b32 s10, s9
	s_cbranch_execnz .LBB78_1085
	s_branch .LBB78_1086
.LBB78_1104:
	s_mov_b32 s1, -1
                                        ; implicit-def: $vgpr5
.LBB78_1105:
	s_mov_b32 s9, 0
.LBB78_1106:
	s_delay_alu instid0(SALU_CYCLE_1)
	s_and_b32 vcc_lo, exec_lo, s9
	s_cbranch_vccz .LBB78_1108
; %bb.1107:
	s_cmp_lg_u32 s0, 11
	s_mov_b32 s10, -1
	s_cselect_b32 s1, -1, 0
.LBB78_1108:
	s_delay_alu instid0(SALU_CYCLE_1)
	s_and_b32 vcc_lo, exec_lo, s1
	s_mov_b32 s9, s12
	s_cbranch_vccnz .LBB78_1169
; %bb.1109:
	s_and_not1_b32 vcc_lo, exec_lo, s10
	s_cbranch_vccnz .LBB78_1111
.LBB78_1110:
	global_load_u8 v1, v[2:3], off
	s_mov_b32 s13, -1
	s_wait_loadcnt 0x0
	v_cmp_ne_u16_e32 vcc_lo, 0, v1
	v_cndmask_b32_e64 v5, 0, 1.0, vcc_lo
.LBB78_1111:
	s_branch .LBB78_1040
.LBB78_1112:
	s_cmp_lt_i32 s0, 5
	s_cbranch_scc1 .LBB78_1117
; %bb.1113:
	s_cmp_lt_i32 s0, 8
	s_cbranch_scc1 .LBB78_1118
; %bb.1114:
	;; [unrolled: 3-line block ×3, first 2 shown]
	s_cmp_gt_i32 s0, 9
	s_cbranch_scc0 .LBB78_1120
; %bb.1116:
	global_load_b64 v[6:7], v[2:3], off
	s_mov_b32 s1, 0
	s_wait_loadcnt 0x0
	v_cvt_f32_f64_e32 v5, v[6:7]
	s_branch .LBB78_1121
.LBB78_1117:
                                        ; implicit-def: $vgpr5
	s_branch .LBB78_1138
.LBB78_1118:
                                        ; implicit-def: $vgpr5
	s_branch .LBB78_1127
.LBB78_1119:
	s_mov_b32 s1, -1
                                        ; implicit-def: $vgpr5
	s_branch .LBB78_1124
.LBB78_1120:
	s_mov_b32 s1, -1
                                        ; implicit-def: $vgpr5
.LBB78_1121:
	s_delay_alu instid0(SALU_CYCLE_1)
	s_and_not1_b32 vcc_lo, exec_lo, s1
	s_cbranch_vccnz .LBB78_1123
; %bb.1122:
	global_load_b32 v5, v[2:3], off
.LBB78_1123:
	s_mov_b32 s1, 0
.LBB78_1124:
	s_delay_alu instid0(SALU_CYCLE_1)
	s_and_not1_b32 vcc_lo, exec_lo, s1
	s_cbranch_vccnz .LBB78_1126
; %bb.1125:
	global_load_b32 v1, v[2:3], off
	s_wait_loadcnt 0x0
	v_cvt_f32_f16_e32 v5, v1
.LBB78_1126:
	s_cbranch_execnz .LBB78_1137
.LBB78_1127:
	s_cmp_lt_i32 s0, 6
	s_cbranch_scc1 .LBB78_1130
; %bb.1128:
	s_cmp_gt_i32 s0, 6
	s_cbranch_scc0 .LBB78_1131
; %bb.1129:
	global_load_b64 v[6:7], v[2:3], off
	s_mov_b32 s1, 0
	s_wait_loadcnt 0x0
	v_cvt_f32_f64_e32 v5, v[6:7]
	s_branch .LBB78_1132
.LBB78_1130:
	s_mov_b32 s1, -1
                                        ; implicit-def: $vgpr5
	s_branch .LBB78_1135
.LBB78_1131:
	s_mov_b32 s1, -1
                                        ; implicit-def: $vgpr5
.LBB78_1132:
	s_delay_alu instid0(SALU_CYCLE_1)
	s_and_not1_b32 vcc_lo, exec_lo, s1
	s_cbranch_vccnz .LBB78_1134
; %bb.1133:
	s_wait_loadcnt 0x0
	global_load_b32 v5, v[2:3], off
.LBB78_1134:
	s_mov_b32 s1, 0
.LBB78_1135:
	s_delay_alu instid0(SALU_CYCLE_1)
	s_and_not1_b32 vcc_lo, exec_lo, s1
	s_cbranch_vccnz .LBB78_1137
; %bb.1136:
	global_load_u16 v1, v[2:3], off
	s_wait_loadcnt 0x0
	v_cvt_f32_f16_e32 v5, v1
.LBB78_1137:
	s_cbranch_execnz .LBB78_1156
.LBB78_1138:
	s_cmp_lt_i32 s0, 2
	s_cbranch_scc1 .LBB78_1142
; %bb.1139:
	s_cmp_lt_i32 s0, 3
	s_cbranch_scc1 .LBB78_1143
; %bb.1140:
	s_cmp_gt_i32 s0, 3
	s_cbranch_scc0 .LBB78_1144
; %bb.1141:
	global_load_b64 v[6:7], v[2:3], off
	s_mov_b32 s1, 0
	s_wait_loadcnt 0x0
	v_xor_b32_e32 v1, v6, v7
	v_cls_i32_e32 v5, v7
	s_delay_alu instid0(VALU_DEP_2) | instskip(NEXT) | instid1(VALU_DEP_1)
	v_ashrrev_i32_e32 v1, 31, v1
	v_add_nc_u32_e32 v1, 32, v1
	s_delay_alu instid0(VALU_DEP_1) | instskip(NEXT) | instid1(VALU_DEP_1)
	v_add_min_u32_e64 v1, v5, -1, v1
	v_lshlrev_b64_e32 v[6:7], v1, v[6:7]
	v_sub_nc_u32_e32 v1, 32, v1
	s_delay_alu instid0(VALU_DEP_2) | instskip(NEXT) | instid1(VALU_DEP_1)
	v_min_u32_e32 v5, 1, v6
	v_or_b32_e32 v5, v7, v5
	s_delay_alu instid0(VALU_DEP_1) | instskip(NEXT) | instid1(VALU_DEP_1)
	v_cvt_f32_i32_e32 v5, v5
	v_ldexp_f32 v5, v5, v1
	s_branch .LBB78_1145
.LBB78_1142:
                                        ; implicit-def: $vgpr5
	s_branch .LBB78_1151
.LBB78_1143:
	s_mov_b32 s1, -1
                                        ; implicit-def: $vgpr5
	s_branch .LBB78_1148
.LBB78_1144:
	s_mov_b32 s1, -1
                                        ; implicit-def: $vgpr5
.LBB78_1145:
	s_delay_alu instid0(SALU_CYCLE_1)
	s_and_not1_b32 vcc_lo, exec_lo, s1
	s_cbranch_vccnz .LBB78_1147
; %bb.1146:
	global_load_b32 v1, v[2:3], off
	s_wait_loadcnt 0x0
	v_cvt_f32_i32_e32 v5, v1
.LBB78_1147:
	s_mov_b32 s1, 0
.LBB78_1148:
	s_delay_alu instid0(SALU_CYCLE_1)
	s_and_not1_b32 vcc_lo, exec_lo, s1
	s_cbranch_vccnz .LBB78_1150
; %bb.1149:
	global_load_i16 v1, v[2:3], off
	s_wait_loadcnt 0x0
	v_cvt_f32_i32_e32 v5, v1
.LBB78_1150:
	s_cbranch_execnz .LBB78_1156
.LBB78_1151:
	s_cmp_gt_i32 s0, 0
	s_mov_b32 s1, 0
	s_cbranch_scc0 .LBB78_1153
; %bb.1152:
	global_load_i8 v1, v[2:3], off
	s_wait_loadcnt 0x0
	v_cvt_f32_i32_e32 v5, v1
	s_branch .LBB78_1154
.LBB78_1153:
	s_mov_b32 s1, -1
                                        ; implicit-def: $vgpr5
.LBB78_1154:
	s_delay_alu instid0(SALU_CYCLE_1)
	s_and_not1_b32 vcc_lo, exec_lo, s1
	s_cbranch_vccnz .LBB78_1156
; %bb.1155:
	global_load_u8 v1, v[2:3], off
	s_wait_loadcnt 0x0
	v_cvt_f32_ubyte0_e32 v5, v1
.LBB78_1156:
.LBB78_1157:
	s_lshl_b32 s1, s3, 7
	s_cmp_lt_i32 s0, 11
	v_add_nc_u32_e32 v0, s1, v0
	s_delay_alu instid0(VALU_DEP_1) | instskip(SKIP_1) | instid1(VALU_DEP_1)
	v_ashrrev_i32_e32 v1, 31, v0
	s_wait_xcnt 0x0
	v_add_nc_u64_e32 v[2:3], s[6:7], v[0:1]
	s_cbranch_scc1 .LBB78_1164
; %bb.1158:
	s_cmp_gt_i32 s0, 25
	s_mov_b32 s10, 0
	s_cbranch_scc0 .LBB78_1166
; %bb.1159:
	s_cmp_gt_i32 s0, 28
	s_cbranch_scc0 .LBB78_1167
; %bb.1160:
	s_cmp_gt_i32 s0, 43
	;; [unrolled: 3-line block ×3, first 2 shown]
	s_cbranch_scc0 .LBB78_1170
; %bb.1162:
	s_cmp_eq_u32 s0, 46
	s_mov_b32 s14, 0
	s_cbranch_scc0 .LBB78_1173
; %bb.1163:
	global_load_b32 v1, v[2:3], off
	s_mov_b32 s3, 0
	s_mov_b32 s13, -1
	s_wait_loadcnt 0x0
	v_lshlrev_b32_e32 v6, 16, v1
	s_branch .LBB78_1175
.LBB78_1164:
	s_mov_b32 s13, 0
                                        ; implicit-def: $vgpr6
	s_cbranch_execnz .LBB78_1240
.LBB78_1165:
	s_and_not1_b32 vcc_lo, exec_lo, s13
	s_cbranch_vccnz .LBB78_1981
	s_branch .LBB78_1287
.LBB78_1166:
	s_mov_b32 s13, 0
	s_mov_b32 s3, 0
                                        ; implicit-def: $vgpr6
	s_cbranch_execnz .LBB78_1204
	s_branch .LBB78_1236
.LBB78_1167:
	s_mov_b32 s14, -1
	s_mov_b32 s13, 0
	s_mov_b32 s3, 0
                                        ; implicit-def: $vgpr6
	s_branch .LBB78_1185
.LBB78_1168:
	s_mov_b32 s14, -1
	s_mov_b32 s13, 0
	s_mov_b32 s3, 0
                                        ; implicit-def: $vgpr6
	s_branch .LBB78_1180
.LBB78_1169:
	s_or_b32 s9, s12, exec_lo
	s_trap 2
	s_cbranch_execz .LBB78_1110
	s_branch .LBB78_1111
.LBB78_1170:
	s_mov_b32 s14, -1
	s_mov_b32 s13, 0
	s_mov_b32 s3, 0
	s_branch .LBB78_1174
.LBB78_1171:
	s_and_not1_saveexec_b32 s20, s20
	s_cbranch_execz .LBB78_956
.LBB78_1172:
	v_add_f32_e32 v2, 0x42800000, v3
	s_and_not1_b32 s19, s19, exec_lo
	s_delay_alu instid0(VALU_DEP_1) | instskip(NEXT) | instid1(VALU_DEP_1)
	v_and_b32_e32 v2, 0xff, v2
	v_cmp_ne_u32_e32 vcc_lo, 0, v2
	s_and_b32 s21, vcc_lo, exec_lo
	s_delay_alu instid0(SALU_CYCLE_1)
	s_or_b32 s19, s19, s21
	s_or_b32 exec_lo, exec_lo, s20
	v_mov_b32_e32 v4, 0
	s_and_saveexec_b32 s20, s19
	s_cbranch_execnz .LBB78_957
	s_branch .LBB78_958
.LBB78_1173:
	s_mov_b32 s3, -1
	s_mov_b32 s13, 0
.LBB78_1174:
                                        ; implicit-def: $vgpr6
.LBB78_1175:
	s_and_b32 vcc_lo, exec_lo, s14
	s_cbranch_vccz .LBB78_1179
; %bb.1176:
	s_cmp_eq_u32 s0, 44
	s_cbranch_scc0 .LBB78_1178
; %bb.1177:
	global_load_u8 v1, v[2:3], off
	s_mov_b32 s3, 0
	s_mov_b32 s13, -1
	s_wait_loadcnt 0x0
	v_lshlrev_b32_e32 v6, 23, v1
	v_cmp_ne_u32_e32 vcc_lo, 0xff, v1
	s_delay_alu instid0(VALU_DEP_2) | instskip(SKIP_1) | instid1(VALU_DEP_2)
	v_cndmask_b32_e32 v6, 0x7f800001, v6, vcc_lo
	v_cmp_ne_u32_e32 vcc_lo, 0, v1
	v_cndmask_b32_e32 v6, 0x400000, v6, vcc_lo
	s_branch .LBB78_1179
.LBB78_1178:
	s_mov_b32 s3, -1
                                        ; implicit-def: $vgpr6
.LBB78_1179:
	s_mov_b32 s14, 0
.LBB78_1180:
	s_delay_alu instid0(SALU_CYCLE_1)
	s_and_b32 vcc_lo, exec_lo, s14
	s_cbranch_vccz .LBB78_1184
; %bb.1181:
	s_cmp_eq_u32 s0, 29
	s_cbranch_scc0 .LBB78_1183
; %bb.1182:
	global_load_b64 v[6:7], v[2:3], off
	s_mov_b32 s3, 0
	s_mov_b32 s13, -1
	s_mov_b32 s14, 0
	s_wait_loadcnt 0x0
	v_clz_i32_u32_e32 v1, v7
	s_delay_alu instid0(VALU_DEP_1) | instskip(NEXT) | instid1(VALU_DEP_1)
	v_min_u32_e32 v1, 32, v1
	v_lshlrev_b64_e32 v[6:7], v1, v[6:7]
	v_sub_nc_u32_e32 v1, 32, v1
	s_delay_alu instid0(VALU_DEP_2) | instskip(NEXT) | instid1(VALU_DEP_1)
	v_min_u32_e32 v6, 1, v6
	v_or_b32_e32 v6, v7, v6
	s_delay_alu instid0(VALU_DEP_1) | instskip(NEXT) | instid1(VALU_DEP_1)
	v_cvt_f32_u32_e32 v6, v6
	v_ldexp_f32 v6, v6, v1
	s_branch .LBB78_1185
.LBB78_1183:
	s_mov_b32 s3, -1
                                        ; implicit-def: $vgpr6
.LBB78_1184:
	s_mov_b32 s14, 0
.LBB78_1185:
	s_delay_alu instid0(SALU_CYCLE_1)
	s_and_b32 vcc_lo, exec_lo, s14
	s_cbranch_vccz .LBB78_1203
; %bb.1186:
	s_cmp_lt_i32 s0, 27
	s_cbranch_scc1 .LBB78_1189
; %bb.1187:
	s_cmp_gt_i32 s0, 27
	s_cbranch_scc0 .LBB78_1190
; %bb.1188:
	global_load_b32 v1, v[2:3], off
	s_mov_b32 s13, 0
	s_wait_loadcnt 0x0
	v_cvt_f32_u32_e32 v6, v1
	s_branch .LBB78_1191
.LBB78_1189:
	s_mov_b32 s13, -1
                                        ; implicit-def: $vgpr6
	s_branch .LBB78_1194
.LBB78_1190:
	s_mov_b32 s13, -1
                                        ; implicit-def: $vgpr6
.LBB78_1191:
	s_delay_alu instid0(SALU_CYCLE_1)
	s_and_not1_b32 vcc_lo, exec_lo, s13
	s_cbranch_vccnz .LBB78_1193
; %bb.1192:
	global_load_u16 v1, v[2:3], off
	s_wait_loadcnt 0x0
	v_cvt_f32_u32_e32 v6, v1
.LBB78_1193:
	s_mov_b32 s13, 0
.LBB78_1194:
	s_delay_alu instid0(SALU_CYCLE_1)
	s_and_not1_b32 vcc_lo, exec_lo, s13
	s_cbranch_vccnz .LBB78_1202
; %bb.1195:
	global_load_u8 v1, v[2:3], off
	s_mov_b32 s13, 0
	s_mov_b32 s14, exec_lo
	s_wait_loadcnt 0x0
	v_cmpx_lt_i16_e32 0x7f, v1
	s_xor_b32 s14, exec_lo, s14
	s_cbranch_execz .LBB78_1215
; %bb.1196:
	s_mov_b32 s13, -1
	s_mov_b32 s15, exec_lo
	v_cmpx_eq_u16_e32 0x80, v1
; %bb.1197:
	s_xor_b32 s13, exec_lo, -1
; %bb.1198:
	s_or_b32 exec_lo, exec_lo, s15
	s_delay_alu instid0(SALU_CYCLE_1)
	s_and_b32 s13, s13, exec_lo
	s_or_saveexec_b32 s14, s14
	v_mov_b32_e32 v6, 0x7f800001
	s_xor_b32 exec_lo, exec_lo, s14
	s_cbranch_execnz .LBB78_1216
.LBB78_1199:
	s_or_b32 exec_lo, exec_lo, s14
	s_and_saveexec_b32 s14, s13
	s_cbranch_execz .LBB78_1201
.LBB78_1200:
	v_and_b32_e32 v6, 0xffff, v1
	s_delay_alu instid0(VALU_DEP_1) | instskip(SKIP_1) | instid1(VALU_DEP_2)
	v_and_b32_e32 v7, 7, v6
	v_bfe_u32 v10, v6, 3, 4
	v_clz_i32_u32_e32 v8, v7
	s_delay_alu instid0(VALU_DEP_2) | instskip(NEXT) | instid1(VALU_DEP_2)
	v_cmp_eq_u32_e32 vcc_lo, 0, v10
	v_min_u32_e32 v8, 32, v8
	s_delay_alu instid0(VALU_DEP_1) | instskip(NEXT) | instid1(VALU_DEP_1)
	v_subrev_nc_u32_e32 v9, 28, v8
	v_dual_lshlrev_b32 v6, v9, v6 :: v_dual_sub_nc_u32 v8, 29, v8
	s_delay_alu instid0(VALU_DEP_1) | instskip(NEXT) | instid1(VALU_DEP_1)
	v_dual_lshlrev_b32 v1, 24, v1 :: v_dual_bitop2_b32 v6, 7, v6 bitop3:0x40
	v_dual_cndmask_b32 v8, v10, v8, vcc_lo :: v_dual_cndmask_b32 v6, v7, v6, vcc_lo
	s_delay_alu instid0(VALU_DEP_2) | instskip(NEXT) | instid1(VALU_DEP_2)
	v_and_b32_e32 v1, 0x80000000, v1
	v_lshl_add_u32 v7, v8, 23, 0x3b800000
	s_delay_alu instid0(VALU_DEP_3) | instskip(NEXT) | instid1(VALU_DEP_1)
	v_lshlrev_b32_e32 v6, 20, v6
	v_or3_b32 v6, v1, v7, v6
.LBB78_1201:
	s_or_b32 exec_lo, exec_lo, s14
.LBB78_1202:
	s_mov_b32 s13, -1
.LBB78_1203:
	s_branch .LBB78_1236
.LBB78_1204:
	s_cmp_gt_i32 s0, 22
	s_cbranch_scc0 .LBB78_1214
; %bb.1205:
	s_cmp_lt_i32 s0, 24
	s_cbranch_scc1 .LBB78_1217
; %bb.1206:
	s_cmp_gt_i32 s0, 24
	s_cbranch_scc0 .LBB78_1218
; %bb.1207:
	global_load_u8 v1, v[2:3], off
	s_mov_b32 s13, exec_lo
	s_wait_loadcnt 0x0
	v_cmpx_lt_i16_e32 0x7f, v1
	s_xor_b32 s13, exec_lo, s13
	s_cbranch_execz .LBB78_1230
; %bb.1208:
	s_mov_b32 s10, -1
	s_mov_b32 s14, exec_lo
	v_cmpx_eq_u16_e32 0x80, v1
; %bb.1209:
	s_xor_b32 s10, exec_lo, -1
; %bb.1210:
	s_or_b32 exec_lo, exec_lo, s14
	s_delay_alu instid0(SALU_CYCLE_1)
	s_and_b32 s10, s10, exec_lo
	s_or_saveexec_b32 s13, s13
	v_mov_b32_e32 v6, 0x7f800001
	s_xor_b32 exec_lo, exec_lo, s13
	s_cbranch_execnz .LBB78_1231
.LBB78_1211:
	s_or_b32 exec_lo, exec_lo, s13
	s_and_saveexec_b32 s13, s10
	s_cbranch_execz .LBB78_1213
.LBB78_1212:
	v_and_b32_e32 v6, 0xffff, v1
	s_delay_alu instid0(VALU_DEP_1) | instskip(SKIP_1) | instid1(VALU_DEP_2)
	v_and_b32_e32 v7, 3, v6
	v_bfe_u32 v10, v6, 2, 5
	v_clz_i32_u32_e32 v8, v7
	s_delay_alu instid0(VALU_DEP_2) | instskip(NEXT) | instid1(VALU_DEP_2)
	v_cmp_eq_u32_e32 vcc_lo, 0, v10
	v_min_u32_e32 v8, 32, v8
	s_delay_alu instid0(VALU_DEP_1) | instskip(NEXT) | instid1(VALU_DEP_1)
	v_subrev_nc_u32_e32 v9, 29, v8
	v_dual_lshlrev_b32 v6, v9, v6 :: v_dual_sub_nc_u32 v8, 30, v8
	s_delay_alu instid0(VALU_DEP_1) | instskip(NEXT) | instid1(VALU_DEP_1)
	v_dual_lshlrev_b32 v1, 24, v1 :: v_dual_bitop2_b32 v6, 3, v6 bitop3:0x40
	v_dual_cndmask_b32 v8, v10, v8, vcc_lo :: v_dual_cndmask_b32 v6, v7, v6, vcc_lo
	s_delay_alu instid0(VALU_DEP_2) | instskip(NEXT) | instid1(VALU_DEP_2)
	v_and_b32_e32 v1, 0x80000000, v1
	v_lshl_add_u32 v7, v8, 23, 0x37800000
	s_delay_alu instid0(VALU_DEP_3) | instskip(NEXT) | instid1(VALU_DEP_1)
	v_lshlrev_b32_e32 v6, 21, v6
	v_or3_b32 v6, v1, v7, v6
.LBB78_1213:
	s_or_b32 exec_lo, exec_lo, s13
	s_mov_b32 s10, 0
	s_branch .LBB78_1219
.LBB78_1214:
	s_mov_b32 s10, -1
                                        ; implicit-def: $vgpr6
	s_branch .LBB78_1225
.LBB78_1215:
	s_or_saveexec_b32 s14, s14
	v_mov_b32_e32 v6, 0x7f800001
	s_xor_b32 exec_lo, exec_lo, s14
	s_cbranch_execz .LBB78_1199
.LBB78_1216:
	v_cmp_ne_u16_e32 vcc_lo, 0, v1
	v_mov_b32_e32 v6, 0
	s_and_not1_b32 s13, s13, exec_lo
	s_and_b32 s15, vcc_lo, exec_lo
	s_delay_alu instid0(SALU_CYCLE_1)
	s_or_b32 s13, s13, s15
	s_or_b32 exec_lo, exec_lo, s14
	s_and_saveexec_b32 s14, s13
	s_cbranch_execnz .LBB78_1200
	s_branch .LBB78_1201
.LBB78_1217:
	s_mov_b32 s10, -1
                                        ; implicit-def: $vgpr6
	s_branch .LBB78_1222
.LBB78_1218:
	s_mov_b32 s10, -1
                                        ; implicit-def: $vgpr6
.LBB78_1219:
	s_delay_alu instid0(SALU_CYCLE_1)
	s_and_b32 vcc_lo, exec_lo, s10
	s_cbranch_vccz .LBB78_1221
; %bb.1220:
	global_load_u8 v1, v[2:3], off
	s_wait_loadcnt 0x0
	v_lshlrev_b32_e32 v1, 24, v1
	s_delay_alu instid0(VALU_DEP_1) | instskip(NEXT) | instid1(VALU_DEP_1)
	v_and_b32_e32 v6, 0x7f000000, v1
	v_clz_i32_u32_e32 v7, v6
	v_cmp_ne_u32_e32 vcc_lo, 0, v6
	v_add_nc_u32_e32 v9, 0x1000000, v6
	s_delay_alu instid0(VALU_DEP_3) | instskip(NEXT) | instid1(VALU_DEP_1)
	v_min_u32_e32 v7, 32, v7
	v_sub_nc_u32_e64 v7, v7, 4 clamp
	s_delay_alu instid0(VALU_DEP_1) | instskip(NEXT) | instid1(VALU_DEP_1)
	v_dual_lshlrev_b32 v8, v7, v6 :: v_dual_lshlrev_b32 v7, 23, v7
	v_lshrrev_b32_e32 v8, 4, v8
	s_delay_alu instid0(VALU_DEP_1) | instskip(NEXT) | instid1(VALU_DEP_1)
	v_dual_sub_nc_u32 v7, v8, v7 :: v_dual_ashrrev_i32 v8, 8, v9
	v_add_nc_u32_e32 v7, 0x3c000000, v7
	s_delay_alu instid0(VALU_DEP_1) | instskip(NEXT) | instid1(VALU_DEP_1)
	v_and_or_b32 v7, 0x7f800000, v8, v7
	v_cndmask_b32_e32 v6, 0, v7, vcc_lo
	s_delay_alu instid0(VALU_DEP_1)
	v_and_or_b32 v6, 0x80000000, v1, v6
.LBB78_1221:
	s_mov_b32 s10, 0
.LBB78_1222:
	s_delay_alu instid0(SALU_CYCLE_1)
	s_and_not1_b32 vcc_lo, exec_lo, s10
	s_cbranch_vccnz .LBB78_1224
; %bb.1223:
	global_load_u8 v1, v[2:3], off
	s_wait_loadcnt 0x0
	v_lshlrev_b32_e32 v6, 25, v1
	v_lshlrev_b16 v1, 8, v1
	s_delay_alu instid0(VALU_DEP_1) | instskip(SKIP_1) | instid1(VALU_DEP_2)
	v_and_or_b32 v8, 0x7f00, v1, 0.5
	v_bfe_i32 v1, v1, 0, 16
	v_dual_add_f32 v8, -0.5, v8 :: v_dual_lshrrev_b32 v7, 4, v6
	v_cmp_gt_u32_e32 vcc_lo, 0x8000000, v6
	s_delay_alu instid0(VALU_DEP_2) | instskip(NEXT) | instid1(VALU_DEP_1)
	v_or_b32_e32 v7, 0x70000000, v7
	v_mul_f32_e32 v7, 0x7800000, v7
	s_delay_alu instid0(VALU_DEP_1) | instskip(NEXT) | instid1(VALU_DEP_1)
	v_cndmask_b32_e32 v6, v7, v8, vcc_lo
	v_and_or_b32 v6, 0x80000000, v1, v6
.LBB78_1224:
	s_mov_b32 s10, 0
	s_mov_b32 s13, -1
.LBB78_1225:
	s_and_not1_b32 vcc_lo, exec_lo, s10
	s_mov_b32 s10, 0
	s_cbranch_vccnz .LBB78_1236
; %bb.1226:
	s_cmp_gt_i32 s0, 14
	s_cbranch_scc0 .LBB78_1229
; %bb.1227:
	s_cmp_eq_u32 s0, 15
	s_cbranch_scc0 .LBB78_1232
; %bb.1228:
	global_load_u16 v1, v[2:3], off
	s_mov_b32 s3, 0
	s_mov_b32 s13, -1
	s_wait_loadcnt 0x0
	v_lshlrev_b32_e32 v6, 16, v1
	s_branch .LBB78_1234
.LBB78_1229:
	s_mov_b32 s10, -1
	s_branch .LBB78_1233
.LBB78_1230:
	s_or_saveexec_b32 s13, s13
	v_mov_b32_e32 v6, 0x7f800001
	s_xor_b32 exec_lo, exec_lo, s13
	s_cbranch_execz .LBB78_1211
.LBB78_1231:
	v_cmp_ne_u16_e32 vcc_lo, 0, v1
	v_mov_b32_e32 v6, 0
	s_and_not1_b32 s10, s10, exec_lo
	s_and_b32 s14, vcc_lo, exec_lo
	s_delay_alu instid0(SALU_CYCLE_1)
	s_or_b32 s10, s10, s14
	s_or_b32 exec_lo, exec_lo, s13
	s_and_saveexec_b32 s13, s10
	s_cbranch_execnz .LBB78_1212
	s_branch .LBB78_1213
.LBB78_1232:
	s_mov_b32 s3, -1
.LBB78_1233:
                                        ; implicit-def: $vgpr6
.LBB78_1234:
	s_and_b32 vcc_lo, exec_lo, s10
	s_mov_b32 s10, 0
	s_cbranch_vccz .LBB78_1236
; %bb.1235:
	s_cmp_lg_u32 s0, 11
	s_mov_b32 s10, -1
	s_cselect_b32 s3, -1, 0
.LBB78_1236:
	s_delay_alu instid0(SALU_CYCLE_1)
	s_and_b32 vcc_lo, exec_lo, s3
	s_cbranch_vccnz .LBB78_1299
; %bb.1237:
	s_and_not1_b32 vcc_lo, exec_lo, s10
	s_cbranch_vccnz .LBB78_1239
.LBB78_1238:
	global_load_u8 v1, v[2:3], off
	s_mov_b32 s13, -1
	s_wait_loadcnt 0x0
	v_cmp_ne_u16_e32 vcc_lo, 0, v1
	v_cndmask_b32_e64 v6, 0, 1.0, vcc_lo
.LBB78_1239:
	s_branch .LBB78_1165
.LBB78_1240:
	s_cmp_lt_i32 s0, 5
	s_cbranch_scc1 .LBB78_1245
; %bb.1241:
	s_cmp_lt_i32 s0, 8
	s_cbranch_scc1 .LBB78_1246
; %bb.1242:
	;; [unrolled: 3-line block ×3, first 2 shown]
	s_cmp_gt_i32 s0, 9
	s_cbranch_scc0 .LBB78_1248
; %bb.1244:
	global_load_b64 v[6:7], v[2:3], off
	s_mov_b32 s3, 0
	s_wait_loadcnt 0x0
	v_cvt_f32_f64_e32 v6, v[6:7]
	s_branch .LBB78_1249
.LBB78_1245:
                                        ; implicit-def: $vgpr6
	s_branch .LBB78_1267
.LBB78_1246:
	s_mov_b32 s3, -1
                                        ; implicit-def: $vgpr6
	s_branch .LBB78_1255
.LBB78_1247:
	s_mov_b32 s3, -1
                                        ; implicit-def: $vgpr6
	s_branch .LBB78_1252
.LBB78_1248:
	s_mov_b32 s3, -1
                                        ; implicit-def: $vgpr6
.LBB78_1249:
	s_delay_alu instid0(SALU_CYCLE_1)
	s_and_not1_b32 vcc_lo, exec_lo, s3
	s_cbranch_vccnz .LBB78_1251
; %bb.1250:
	global_load_b32 v6, v[2:3], off
.LBB78_1251:
	s_mov_b32 s3, 0
.LBB78_1252:
	s_delay_alu instid0(SALU_CYCLE_1)
	s_and_not1_b32 vcc_lo, exec_lo, s3
	s_cbranch_vccnz .LBB78_1254
; %bb.1253:
	global_load_b32 v1, v[2:3], off
	s_wait_loadcnt 0x0
	v_cvt_f32_f16_e32 v6, v1
.LBB78_1254:
	s_mov_b32 s3, 0
.LBB78_1255:
	s_delay_alu instid0(SALU_CYCLE_1)
	s_and_not1_b32 vcc_lo, exec_lo, s3
	s_cbranch_vccnz .LBB78_1266
; %bb.1256:
	s_cmp_lt_i32 s0, 6
	s_cbranch_scc1 .LBB78_1259
; %bb.1257:
	s_cmp_gt_i32 s0, 6
	s_cbranch_scc0 .LBB78_1260
; %bb.1258:
	s_wait_loadcnt 0x0
	global_load_b64 v[6:7], v[2:3], off
	s_mov_b32 s3, 0
	s_wait_loadcnt 0x0
	v_cvt_f32_f64_e32 v6, v[6:7]
	s_branch .LBB78_1261
.LBB78_1259:
	s_mov_b32 s3, -1
                                        ; implicit-def: $vgpr6
	s_branch .LBB78_1264
.LBB78_1260:
	s_mov_b32 s3, -1
                                        ; implicit-def: $vgpr6
.LBB78_1261:
	s_delay_alu instid0(SALU_CYCLE_1)
	s_and_not1_b32 vcc_lo, exec_lo, s3
	s_cbranch_vccnz .LBB78_1263
; %bb.1262:
	s_wait_loadcnt 0x0
	global_load_b32 v6, v[2:3], off
.LBB78_1263:
	s_mov_b32 s3, 0
.LBB78_1264:
	s_delay_alu instid0(SALU_CYCLE_1)
	s_and_not1_b32 vcc_lo, exec_lo, s3
	s_cbranch_vccnz .LBB78_1266
; %bb.1265:
	global_load_u16 v1, v[2:3], off
	s_wait_loadcnt 0x0
	v_cvt_f32_f16_e32 v6, v1
.LBB78_1266:
	s_cbranch_execnz .LBB78_1286
.LBB78_1267:
	s_cmp_lt_i32 s0, 2
	s_cbranch_scc1 .LBB78_1271
; %bb.1268:
	s_cmp_lt_i32 s0, 3
	s_cbranch_scc1 .LBB78_1272
; %bb.1269:
	s_cmp_gt_i32 s0, 3
	s_cbranch_scc0 .LBB78_1273
; %bb.1270:
	s_wait_loadcnt 0x0
	global_load_b64 v[6:7], v[2:3], off
	s_mov_b32 s3, 0
	s_wait_loadcnt 0x0
	v_xor_b32_e32 v1, v6, v7
	v_cls_i32_e32 v8, v7
	s_delay_alu instid0(VALU_DEP_2) | instskip(NEXT) | instid1(VALU_DEP_1)
	v_ashrrev_i32_e32 v1, 31, v1
	v_add_nc_u32_e32 v1, 32, v1
	s_delay_alu instid0(VALU_DEP_1) | instskip(NEXT) | instid1(VALU_DEP_1)
	v_add_min_u32_e64 v1, v8, -1, v1
	v_lshlrev_b64_e32 v[6:7], v1, v[6:7]
	v_sub_nc_u32_e32 v1, 32, v1
	s_delay_alu instid0(VALU_DEP_2) | instskip(NEXT) | instid1(VALU_DEP_1)
	v_min_u32_e32 v6, 1, v6
	v_or_b32_e32 v6, v7, v6
	s_delay_alu instid0(VALU_DEP_1) | instskip(NEXT) | instid1(VALU_DEP_1)
	v_cvt_f32_i32_e32 v6, v6
	v_ldexp_f32 v6, v6, v1
	s_branch .LBB78_1274
.LBB78_1271:
	s_mov_b32 s3, -1
                                        ; implicit-def: $vgpr6
	s_branch .LBB78_1280
.LBB78_1272:
	s_mov_b32 s3, -1
                                        ; implicit-def: $vgpr6
	s_branch .LBB78_1277
.LBB78_1273:
	s_mov_b32 s3, -1
                                        ; implicit-def: $vgpr6
.LBB78_1274:
	s_delay_alu instid0(SALU_CYCLE_1)
	s_and_not1_b32 vcc_lo, exec_lo, s3
	s_cbranch_vccnz .LBB78_1276
; %bb.1275:
	global_load_b32 v1, v[2:3], off
	s_wait_loadcnt 0x0
	v_cvt_f32_i32_e32 v6, v1
.LBB78_1276:
	s_mov_b32 s3, 0
.LBB78_1277:
	s_delay_alu instid0(SALU_CYCLE_1)
	s_and_not1_b32 vcc_lo, exec_lo, s3
	s_cbranch_vccnz .LBB78_1279
; %bb.1278:
	global_load_i16 v1, v[2:3], off
	s_wait_loadcnt 0x0
	v_cvt_f32_i32_e32 v6, v1
.LBB78_1279:
	s_mov_b32 s3, 0
.LBB78_1280:
	s_delay_alu instid0(SALU_CYCLE_1)
	s_and_not1_b32 vcc_lo, exec_lo, s3
	s_cbranch_vccnz .LBB78_1286
; %bb.1281:
	s_cmp_gt_i32 s0, 0
	s_mov_b32 s3, 0
	s_cbranch_scc0 .LBB78_1283
; %bb.1282:
	global_load_i8 v1, v[2:3], off
	s_wait_loadcnt 0x0
	v_cvt_f32_i32_e32 v6, v1
	s_branch .LBB78_1284
.LBB78_1283:
	s_mov_b32 s3, -1
                                        ; implicit-def: $vgpr6
.LBB78_1284:
	s_delay_alu instid0(SALU_CYCLE_1)
	s_and_not1_b32 vcc_lo, exec_lo, s3
	s_cbranch_vccnz .LBB78_1286
; %bb.1285:
	global_load_u8 v1, v[2:3], off
	s_wait_loadcnt 0x0
	v_cvt_f32_ubyte0_e32 v6, v1
.LBB78_1286:
.LBB78_1287:
	v_add_nc_u32_e32 v0, s1, v0
	s_cmp_lt_i32 s0, 11
	s_delay_alu instid0(VALU_DEP_1) | instskip(SKIP_1) | instid1(VALU_DEP_1)
	v_ashrrev_i32_e32 v1, 31, v0
	s_wait_xcnt 0x0
	v_add_nc_u64_e32 v[2:3], s[6:7], v[0:1]
	s_cbranch_scc1 .LBB78_1294
; %bb.1288:
	s_cmp_gt_i32 s0, 25
	s_mov_b32 s10, 0
	s_cbranch_scc0 .LBB78_1296
; %bb.1289:
	s_cmp_gt_i32 s0, 28
	s_cbranch_scc0 .LBB78_1297
; %bb.1290:
	s_cmp_gt_i32 s0, 43
	;; [unrolled: 3-line block ×3, first 2 shown]
	s_cbranch_scc0 .LBB78_1300
; %bb.1292:
	s_cmp_eq_u32 s0, 46
	s_mov_b32 s14, 0
	s_cbranch_scc0 .LBB78_1301
; %bb.1293:
	global_load_b32 v1, v[2:3], off
	s_mov_b32 s3, 0
	s_mov_b32 s13, -1
	s_wait_loadcnt 0x0
	v_lshlrev_b32_e32 v7, 16, v1
	s_branch .LBB78_1303
.LBB78_1294:
	s_mov_b32 s13, 0
                                        ; implicit-def: $vgpr7
	s_cbranch_execnz .LBB78_1369
.LBB78_1295:
	s_and_not1_b32 vcc_lo, exec_lo, s13
	s_cbranch_vccnz .LBB78_1981
	s_branch .LBB78_1417
.LBB78_1296:
	s_mov_b32 s14, -1
	s_mov_b32 s13, 0
	s_mov_b32 s3, 0
                                        ; implicit-def: $vgpr7
	s_branch .LBB78_1332
.LBB78_1297:
	s_mov_b32 s14, -1
	s_mov_b32 s13, 0
	s_mov_b32 s3, 0
                                        ; implicit-def: $vgpr7
	s_branch .LBB78_1313
.LBB78_1298:
	s_mov_b32 s14, -1
	s_mov_b32 s13, 0
	s_mov_b32 s3, 0
                                        ; implicit-def: $vgpr7
	s_branch .LBB78_1308
.LBB78_1299:
	s_or_b32 s9, s9, exec_lo
	s_trap 2
	s_cbranch_execz .LBB78_1238
	s_branch .LBB78_1239
.LBB78_1300:
	s_mov_b32 s14, -1
	s_mov_b32 s13, 0
	s_mov_b32 s3, 0
	s_branch .LBB78_1302
.LBB78_1301:
	s_mov_b32 s3, -1
	s_mov_b32 s13, 0
.LBB78_1302:
                                        ; implicit-def: $vgpr7
.LBB78_1303:
	s_and_b32 vcc_lo, exec_lo, s14
	s_cbranch_vccz .LBB78_1307
; %bb.1304:
	s_cmp_eq_u32 s0, 44
	s_cbranch_scc0 .LBB78_1306
; %bb.1305:
	global_load_u8 v1, v[2:3], off
	s_mov_b32 s3, 0
	s_mov_b32 s13, -1
	s_wait_loadcnt 0x0
	v_lshlrev_b32_e32 v7, 23, v1
	v_cmp_ne_u32_e32 vcc_lo, 0xff, v1
	s_delay_alu instid0(VALU_DEP_2) | instskip(SKIP_1) | instid1(VALU_DEP_2)
	v_cndmask_b32_e32 v7, 0x7f800001, v7, vcc_lo
	v_cmp_ne_u32_e32 vcc_lo, 0, v1
	v_cndmask_b32_e32 v7, 0x400000, v7, vcc_lo
	s_branch .LBB78_1307
.LBB78_1306:
	s_mov_b32 s3, -1
                                        ; implicit-def: $vgpr7
.LBB78_1307:
	s_mov_b32 s14, 0
.LBB78_1308:
	s_delay_alu instid0(SALU_CYCLE_1)
	s_and_b32 vcc_lo, exec_lo, s14
	s_cbranch_vccz .LBB78_1312
; %bb.1309:
	s_cmp_eq_u32 s0, 29
	s_cbranch_scc0 .LBB78_1311
; %bb.1310:
	global_load_b64 v[8:9], v[2:3], off
	s_mov_b32 s3, 0
	s_mov_b32 s13, -1
	s_mov_b32 s14, 0
	s_wait_loadcnt 0x0
	v_clz_i32_u32_e32 v1, v9
	s_delay_alu instid0(VALU_DEP_1) | instskip(NEXT) | instid1(VALU_DEP_1)
	v_min_u32_e32 v1, 32, v1
	v_lshlrev_b64_e32 v[8:9], v1, v[8:9]
	v_sub_nc_u32_e32 v1, 32, v1
	s_delay_alu instid0(VALU_DEP_2) | instskip(NEXT) | instid1(VALU_DEP_1)
	v_min_u32_e32 v7, 1, v8
	v_or_b32_e32 v7, v9, v7
	s_delay_alu instid0(VALU_DEP_1) | instskip(NEXT) | instid1(VALU_DEP_1)
	v_cvt_f32_u32_e32 v7, v7
	v_ldexp_f32 v7, v7, v1
	s_branch .LBB78_1313
.LBB78_1311:
	s_mov_b32 s3, -1
                                        ; implicit-def: $vgpr7
.LBB78_1312:
	s_mov_b32 s14, 0
.LBB78_1313:
	s_delay_alu instid0(SALU_CYCLE_1)
	s_and_b32 vcc_lo, exec_lo, s14
	s_cbranch_vccz .LBB78_1331
; %bb.1314:
	s_cmp_lt_i32 s0, 27
	s_cbranch_scc1 .LBB78_1317
; %bb.1315:
	s_cmp_gt_i32 s0, 27
	s_cbranch_scc0 .LBB78_1318
; %bb.1316:
	global_load_b32 v1, v[2:3], off
	s_mov_b32 s13, 0
	s_wait_loadcnt 0x0
	v_cvt_f32_u32_e32 v7, v1
	s_branch .LBB78_1319
.LBB78_1317:
	s_mov_b32 s13, -1
                                        ; implicit-def: $vgpr7
	s_branch .LBB78_1322
.LBB78_1318:
	s_mov_b32 s13, -1
                                        ; implicit-def: $vgpr7
.LBB78_1319:
	s_delay_alu instid0(SALU_CYCLE_1)
	s_and_not1_b32 vcc_lo, exec_lo, s13
	s_cbranch_vccnz .LBB78_1321
; %bb.1320:
	global_load_u16 v1, v[2:3], off
	s_wait_loadcnt 0x0
	v_cvt_f32_u32_e32 v7, v1
.LBB78_1321:
	s_mov_b32 s13, 0
.LBB78_1322:
	s_delay_alu instid0(SALU_CYCLE_1)
	s_and_not1_b32 vcc_lo, exec_lo, s13
	s_cbranch_vccnz .LBB78_1330
; %bb.1323:
	global_load_u8 v1, v[2:3], off
	s_mov_b32 s13, 0
	s_mov_b32 s14, exec_lo
	s_wait_loadcnt 0x0
	v_cmpx_lt_i16_e32 0x7f, v1
	s_xor_b32 s14, exec_lo, s14
	s_cbranch_execz .LBB78_1344
; %bb.1324:
	s_mov_b32 s13, -1
	s_mov_b32 s15, exec_lo
	v_cmpx_eq_u16_e32 0x80, v1
; %bb.1325:
	s_xor_b32 s13, exec_lo, -1
; %bb.1326:
	s_or_b32 exec_lo, exec_lo, s15
	s_delay_alu instid0(SALU_CYCLE_1)
	s_and_b32 s13, s13, exec_lo
	s_or_saveexec_b32 s14, s14
	v_mov_b32_e32 v7, 0x7f800001
	s_xor_b32 exec_lo, exec_lo, s14
	s_cbranch_execnz .LBB78_1345
.LBB78_1327:
	s_or_b32 exec_lo, exec_lo, s14
	s_and_saveexec_b32 s14, s13
	s_cbranch_execz .LBB78_1329
.LBB78_1328:
	v_and_b32_e32 v7, 0xffff, v1
	s_delay_alu instid0(VALU_DEP_1) | instskip(SKIP_1) | instid1(VALU_DEP_2)
	v_and_b32_e32 v8, 7, v7
	v_bfe_u32 v11, v7, 3, 4
	v_clz_i32_u32_e32 v9, v8
	s_delay_alu instid0(VALU_DEP_2) | instskip(NEXT) | instid1(VALU_DEP_2)
	v_cmp_eq_u32_e32 vcc_lo, 0, v11
	v_min_u32_e32 v9, 32, v9
	s_delay_alu instid0(VALU_DEP_1) | instskip(NEXT) | instid1(VALU_DEP_1)
	v_subrev_nc_u32_e32 v10, 28, v9
	v_dual_lshlrev_b32 v7, v10, v7 :: v_dual_sub_nc_u32 v9, 29, v9
	s_delay_alu instid0(VALU_DEP_1) | instskip(NEXT) | instid1(VALU_DEP_1)
	v_dual_lshlrev_b32 v1, 24, v1 :: v_dual_bitop2_b32 v7, 7, v7 bitop3:0x40
	v_dual_cndmask_b32 v7, v8, v7, vcc_lo :: v_dual_cndmask_b32 v9, v11, v9, vcc_lo
	s_delay_alu instid0(VALU_DEP_2) | instskip(NEXT) | instid1(VALU_DEP_2)
	v_and_b32_e32 v1, 0x80000000, v1
	v_lshlrev_b32_e32 v7, 20, v7
	s_delay_alu instid0(VALU_DEP_3) | instskip(NEXT) | instid1(VALU_DEP_1)
	v_lshl_add_u32 v8, v9, 23, 0x3b800000
	v_or3_b32 v7, v1, v8, v7
.LBB78_1329:
	s_or_b32 exec_lo, exec_lo, s14
.LBB78_1330:
	s_mov_b32 s13, -1
.LBB78_1331:
	s_mov_b32 s14, 0
.LBB78_1332:
	s_delay_alu instid0(SALU_CYCLE_1)
	s_and_b32 vcc_lo, exec_lo, s14
	s_cbranch_vccz .LBB78_1365
; %bb.1333:
	s_cmp_gt_i32 s0, 22
	s_cbranch_scc0 .LBB78_1343
; %bb.1334:
	s_cmp_lt_i32 s0, 24
	s_cbranch_scc1 .LBB78_1346
; %bb.1335:
	s_cmp_gt_i32 s0, 24
	s_cbranch_scc0 .LBB78_1347
; %bb.1336:
	global_load_u8 v1, v[2:3], off
	s_mov_b32 s13, exec_lo
	s_wait_loadcnt 0x0
	v_cmpx_lt_i16_e32 0x7f, v1
	s_xor_b32 s13, exec_lo, s13
	s_cbranch_execz .LBB78_1359
; %bb.1337:
	s_mov_b32 s10, -1
	s_mov_b32 s14, exec_lo
	v_cmpx_eq_u16_e32 0x80, v1
; %bb.1338:
	s_xor_b32 s10, exec_lo, -1
; %bb.1339:
	s_or_b32 exec_lo, exec_lo, s14
	s_delay_alu instid0(SALU_CYCLE_1)
	s_and_b32 s10, s10, exec_lo
	s_or_saveexec_b32 s13, s13
	v_mov_b32_e32 v7, 0x7f800001
	s_xor_b32 exec_lo, exec_lo, s13
	s_cbranch_execnz .LBB78_1360
.LBB78_1340:
	s_or_b32 exec_lo, exec_lo, s13
	s_and_saveexec_b32 s13, s10
	s_cbranch_execz .LBB78_1342
.LBB78_1341:
	v_and_b32_e32 v7, 0xffff, v1
	s_delay_alu instid0(VALU_DEP_1) | instskip(SKIP_1) | instid1(VALU_DEP_2)
	v_and_b32_e32 v8, 3, v7
	v_bfe_u32 v11, v7, 2, 5
	v_clz_i32_u32_e32 v9, v8
	s_delay_alu instid0(VALU_DEP_2) | instskip(NEXT) | instid1(VALU_DEP_2)
	v_cmp_eq_u32_e32 vcc_lo, 0, v11
	v_min_u32_e32 v9, 32, v9
	s_delay_alu instid0(VALU_DEP_1) | instskip(NEXT) | instid1(VALU_DEP_1)
	v_subrev_nc_u32_e32 v10, 29, v9
	v_dual_lshlrev_b32 v7, v10, v7 :: v_dual_sub_nc_u32 v9, 30, v9
	s_delay_alu instid0(VALU_DEP_1) | instskip(NEXT) | instid1(VALU_DEP_1)
	v_dual_lshlrev_b32 v1, 24, v1 :: v_dual_bitop2_b32 v7, 3, v7 bitop3:0x40
	v_dual_cndmask_b32 v7, v8, v7, vcc_lo :: v_dual_cndmask_b32 v9, v11, v9, vcc_lo
	s_delay_alu instid0(VALU_DEP_2) | instskip(NEXT) | instid1(VALU_DEP_2)
	v_and_b32_e32 v1, 0x80000000, v1
	v_lshlrev_b32_e32 v7, 21, v7
	s_delay_alu instid0(VALU_DEP_3) | instskip(NEXT) | instid1(VALU_DEP_1)
	v_lshl_add_u32 v8, v9, 23, 0x37800000
	v_or3_b32 v7, v1, v8, v7
.LBB78_1342:
	s_or_b32 exec_lo, exec_lo, s13
	s_mov_b32 s10, 0
	s_branch .LBB78_1348
.LBB78_1343:
	s_mov_b32 s10, -1
                                        ; implicit-def: $vgpr7
	s_branch .LBB78_1354
.LBB78_1344:
	s_or_saveexec_b32 s14, s14
	v_mov_b32_e32 v7, 0x7f800001
	s_xor_b32 exec_lo, exec_lo, s14
	s_cbranch_execz .LBB78_1327
.LBB78_1345:
	v_cmp_ne_u16_e32 vcc_lo, 0, v1
	v_mov_b32_e32 v7, 0
	s_and_not1_b32 s13, s13, exec_lo
	s_and_b32 s15, vcc_lo, exec_lo
	s_delay_alu instid0(SALU_CYCLE_1)
	s_or_b32 s13, s13, s15
	s_or_b32 exec_lo, exec_lo, s14
	s_and_saveexec_b32 s14, s13
	s_cbranch_execnz .LBB78_1328
	s_branch .LBB78_1329
.LBB78_1346:
	s_mov_b32 s10, -1
                                        ; implicit-def: $vgpr7
	s_branch .LBB78_1351
.LBB78_1347:
	s_mov_b32 s10, -1
                                        ; implicit-def: $vgpr7
.LBB78_1348:
	s_delay_alu instid0(SALU_CYCLE_1)
	s_and_b32 vcc_lo, exec_lo, s10
	s_cbranch_vccz .LBB78_1350
; %bb.1349:
	global_load_u8 v1, v[2:3], off
	s_wait_loadcnt 0x0
	v_lshlrev_b32_e32 v1, 24, v1
	s_delay_alu instid0(VALU_DEP_1) | instskip(NEXT) | instid1(VALU_DEP_1)
	v_and_b32_e32 v7, 0x7f000000, v1
	v_clz_i32_u32_e32 v8, v7
	v_cmp_ne_u32_e32 vcc_lo, 0, v7
	v_add_nc_u32_e32 v10, 0x1000000, v7
	s_delay_alu instid0(VALU_DEP_3) | instskip(NEXT) | instid1(VALU_DEP_1)
	v_min_u32_e32 v8, 32, v8
	v_sub_nc_u32_e64 v8, v8, 4 clamp
	s_delay_alu instid0(VALU_DEP_1) | instskip(NEXT) | instid1(VALU_DEP_1)
	v_dual_lshlrev_b32 v9, v8, v7 :: v_dual_lshlrev_b32 v8, 23, v8
	v_lshrrev_b32_e32 v9, 4, v9
	s_delay_alu instid0(VALU_DEP_1) | instskip(NEXT) | instid1(VALU_DEP_1)
	v_dual_sub_nc_u32 v8, v9, v8 :: v_dual_ashrrev_i32 v9, 8, v10
	v_add_nc_u32_e32 v8, 0x3c000000, v8
	s_delay_alu instid0(VALU_DEP_1) | instskip(NEXT) | instid1(VALU_DEP_1)
	v_and_or_b32 v8, 0x7f800000, v9, v8
	v_cndmask_b32_e32 v7, 0, v8, vcc_lo
	s_delay_alu instid0(VALU_DEP_1)
	v_and_or_b32 v7, 0x80000000, v1, v7
.LBB78_1350:
	s_mov_b32 s10, 0
.LBB78_1351:
	s_delay_alu instid0(SALU_CYCLE_1)
	s_and_not1_b32 vcc_lo, exec_lo, s10
	s_cbranch_vccnz .LBB78_1353
; %bb.1352:
	global_load_u8 v1, v[2:3], off
	s_wait_loadcnt 0x0
	v_lshlrev_b32_e32 v7, 25, v1
	v_lshlrev_b16 v1, 8, v1
	s_delay_alu instid0(VALU_DEP_1) | instskip(NEXT) | instid1(VALU_DEP_3)
	v_and_or_b32 v9, 0x7f00, v1, 0.5
	v_lshrrev_b32_e32 v8, 4, v7
	v_bfe_i32 v1, v1, 0, 16
	s_delay_alu instid0(VALU_DEP_3) | instskip(NEXT) | instid1(VALU_DEP_3)
	v_add_f32_e32 v9, -0.5, v9
	v_or_b32_e32 v8, 0x70000000, v8
	s_delay_alu instid0(VALU_DEP_1) | instskip(SKIP_1) | instid1(VALU_DEP_2)
	v_mul_f32_e32 v8, 0x7800000, v8
	v_cmp_gt_u32_e32 vcc_lo, 0x8000000, v7
	v_cndmask_b32_e32 v7, v8, v9, vcc_lo
	s_delay_alu instid0(VALU_DEP_1)
	v_and_or_b32 v7, 0x80000000, v1, v7
.LBB78_1353:
	s_mov_b32 s10, 0
	s_mov_b32 s13, -1
.LBB78_1354:
	s_and_not1_b32 vcc_lo, exec_lo, s10
	s_mov_b32 s10, 0
	s_cbranch_vccnz .LBB78_1365
; %bb.1355:
	s_cmp_gt_i32 s0, 14
	s_cbranch_scc0 .LBB78_1358
; %bb.1356:
	s_cmp_eq_u32 s0, 15
	s_cbranch_scc0 .LBB78_1361
; %bb.1357:
	global_load_u16 v1, v[2:3], off
	s_mov_b32 s3, 0
	s_mov_b32 s13, -1
	s_wait_loadcnt 0x0
	v_lshlrev_b32_e32 v7, 16, v1
	s_branch .LBB78_1363
.LBB78_1358:
	s_mov_b32 s10, -1
	s_branch .LBB78_1362
.LBB78_1359:
	s_or_saveexec_b32 s13, s13
	v_mov_b32_e32 v7, 0x7f800001
	s_xor_b32 exec_lo, exec_lo, s13
	s_cbranch_execz .LBB78_1340
.LBB78_1360:
	v_cmp_ne_u16_e32 vcc_lo, 0, v1
	v_mov_b32_e32 v7, 0
	s_and_not1_b32 s10, s10, exec_lo
	s_and_b32 s14, vcc_lo, exec_lo
	s_delay_alu instid0(SALU_CYCLE_1)
	s_or_b32 s10, s10, s14
	s_or_b32 exec_lo, exec_lo, s13
	s_and_saveexec_b32 s13, s10
	s_cbranch_execnz .LBB78_1341
	s_branch .LBB78_1342
.LBB78_1361:
	s_mov_b32 s3, -1
.LBB78_1362:
                                        ; implicit-def: $vgpr7
.LBB78_1363:
	s_and_b32 vcc_lo, exec_lo, s10
	s_mov_b32 s10, 0
	s_cbranch_vccz .LBB78_1365
; %bb.1364:
	s_cmp_lg_u32 s0, 11
	s_mov_b32 s10, -1
	s_cselect_b32 s3, -1, 0
.LBB78_1365:
	s_delay_alu instid0(SALU_CYCLE_1)
	s_and_b32 vcc_lo, exec_lo, s3
	s_cbranch_vccnz .LBB78_1428
; %bb.1366:
	s_and_not1_b32 vcc_lo, exec_lo, s10
	s_cbranch_vccnz .LBB78_1368
.LBB78_1367:
	global_load_u8 v1, v[2:3], off
	s_mov_b32 s13, -1
	s_wait_loadcnt 0x0
	v_cmp_ne_u16_e32 vcc_lo, 0, v1
	v_cndmask_b32_e64 v7, 0, 1.0, vcc_lo
.LBB78_1368:
	s_branch .LBB78_1295
.LBB78_1369:
	s_cmp_lt_i32 s0, 5
	s_cbranch_scc1 .LBB78_1374
; %bb.1370:
	s_cmp_lt_i32 s0, 8
	s_cbranch_scc1 .LBB78_1375
; %bb.1371:
	;; [unrolled: 3-line block ×3, first 2 shown]
	s_cmp_gt_i32 s0, 9
	s_cbranch_scc0 .LBB78_1377
; %bb.1373:
	global_load_b64 v[8:9], v[2:3], off
	s_mov_b32 s3, 0
	s_wait_loadcnt 0x0
	v_cvt_f32_f64_e32 v7, v[8:9]
	s_branch .LBB78_1378
.LBB78_1374:
	s_mov_b32 s3, -1
                                        ; implicit-def: $vgpr7
	s_branch .LBB78_1396
.LBB78_1375:
	s_mov_b32 s3, -1
                                        ; implicit-def: $vgpr7
	s_branch .LBB78_1384
.LBB78_1376:
	s_mov_b32 s3, -1
                                        ; implicit-def: $vgpr7
	s_branch .LBB78_1381
.LBB78_1377:
	s_mov_b32 s3, -1
                                        ; implicit-def: $vgpr7
.LBB78_1378:
	s_delay_alu instid0(SALU_CYCLE_1)
	s_and_not1_b32 vcc_lo, exec_lo, s3
	s_cbranch_vccnz .LBB78_1380
; %bb.1379:
	global_load_b32 v7, v[2:3], off
.LBB78_1380:
	s_mov_b32 s3, 0
.LBB78_1381:
	s_delay_alu instid0(SALU_CYCLE_1)
	s_and_not1_b32 vcc_lo, exec_lo, s3
	s_cbranch_vccnz .LBB78_1383
; %bb.1382:
	global_load_b32 v1, v[2:3], off
	s_wait_loadcnt 0x0
	v_cvt_f32_f16_e32 v7, v1
.LBB78_1383:
	s_mov_b32 s3, 0
.LBB78_1384:
	s_delay_alu instid0(SALU_CYCLE_1)
	s_and_not1_b32 vcc_lo, exec_lo, s3
	s_cbranch_vccnz .LBB78_1395
; %bb.1385:
	s_cmp_lt_i32 s0, 6
	s_cbranch_scc1 .LBB78_1388
; %bb.1386:
	s_cmp_gt_i32 s0, 6
	s_cbranch_scc0 .LBB78_1389
; %bb.1387:
	global_load_b64 v[8:9], v[2:3], off
	s_mov_b32 s3, 0
	s_wait_loadcnt 0x0
	v_cvt_f32_f64_e32 v7, v[8:9]
	s_branch .LBB78_1390
.LBB78_1388:
	s_mov_b32 s3, -1
                                        ; implicit-def: $vgpr7
	s_branch .LBB78_1393
.LBB78_1389:
	s_mov_b32 s3, -1
                                        ; implicit-def: $vgpr7
.LBB78_1390:
	s_delay_alu instid0(SALU_CYCLE_1)
	s_and_not1_b32 vcc_lo, exec_lo, s3
	s_cbranch_vccnz .LBB78_1392
; %bb.1391:
	s_wait_loadcnt 0x0
	global_load_b32 v7, v[2:3], off
.LBB78_1392:
	s_mov_b32 s3, 0
.LBB78_1393:
	s_delay_alu instid0(SALU_CYCLE_1)
	s_and_not1_b32 vcc_lo, exec_lo, s3
	s_cbranch_vccnz .LBB78_1395
; %bb.1394:
	global_load_u16 v1, v[2:3], off
	s_wait_loadcnt 0x0
	v_cvt_f32_f16_e32 v7, v1
.LBB78_1395:
	s_mov_b32 s3, 0
.LBB78_1396:
	s_delay_alu instid0(SALU_CYCLE_1)
	s_and_not1_b32 vcc_lo, exec_lo, s3
	s_cbranch_vccnz .LBB78_1416
; %bb.1397:
	s_cmp_lt_i32 s0, 2
	s_cbranch_scc1 .LBB78_1401
; %bb.1398:
	s_cmp_lt_i32 s0, 3
	s_cbranch_scc1 .LBB78_1402
; %bb.1399:
	s_cmp_gt_i32 s0, 3
	s_cbranch_scc0 .LBB78_1403
; %bb.1400:
	global_load_b64 v[8:9], v[2:3], off
	s_mov_b32 s3, 0
	s_wait_loadcnt 0x0
	v_xor_b32_e32 v1, v8, v9
	v_cls_i32_e32 v7, v9
	s_delay_alu instid0(VALU_DEP_2) | instskip(NEXT) | instid1(VALU_DEP_1)
	v_ashrrev_i32_e32 v1, 31, v1
	v_add_nc_u32_e32 v1, 32, v1
	s_delay_alu instid0(VALU_DEP_1) | instskip(NEXT) | instid1(VALU_DEP_1)
	v_add_min_u32_e64 v1, v7, -1, v1
	v_lshlrev_b64_e32 v[8:9], v1, v[8:9]
	v_sub_nc_u32_e32 v1, 32, v1
	s_delay_alu instid0(VALU_DEP_2) | instskip(NEXT) | instid1(VALU_DEP_1)
	v_min_u32_e32 v7, 1, v8
	v_or_b32_e32 v7, v9, v7
	s_delay_alu instid0(VALU_DEP_1) | instskip(NEXT) | instid1(VALU_DEP_1)
	v_cvt_f32_i32_e32 v7, v7
	v_ldexp_f32 v7, v7, v1
	s_branch .LBB78_1404
.LBB78_1401:
	s_mov_b32 s3, -1
                                        ; implicit-def: $vgpr7
	s_branch .LBB78_1410
.LBB78_1402:
	s_mov_b32 s3, -1
                                        ; implicit-def: $vgpr7
	s_branch .LBB78_1407
.LBB78_1403:
	s_mov_b32 s3, -1
                                        ; implicit-def: $vgpr7
.LBB78_1404:
	s_delay_alu instid0(SALU_CYCLE_1)
	s_and_not1_b32 vcc_lo, exec_lo, s3
	s_cbranch_vccnz .LBB78_1406
; %bb.1405:
	global_load_b32 v1, v[2:3], off
	s_wait_loadcnt 0x0
	v_cvt_f32_i32_e32 v7, v1
.LBB78_1406:
	s_mov_b32 s3, 0
.LBB78_1407:
	s_delay_alu instid0(SALU_CYCLE_1)
	s_and_not1_b32 vcc_lo, exec_lo, s3
	s_cbranch_vccnz .LBB78_1409
; %bb.1408:
	global_load_i16 v1, v[2:3], off
	s_wait_loadcnt 0x0
	v_cvt_f32_i32_e32 v7, v1
.LBB78_1409:
	s_mov_b32 s3, 0
.LBB78_1410:
	s_delay_alu instid0(SALU_CYCLE_1)
	s_and_not1_b32 vcc_lo, exec_lo, s3
	s_cbranch_vccnz .LBB78_1416
; %bb.1411:
	s_cmp_gt_i32 s0, 0
	s_mov_b32 s3, 0
	s_cbranch_scc0 .LBB78_1413
; %bb.1412:
	global_load_i8 v1, v[2:3], off
	s_wait_loadcnt 0x0
	v_cvt_f32_i32_e32 v7, v1
	s_branch .LBB78_1414
.LBB78_1413:
	s_mov_b32 s3, -1
                                        ; implicit-def: $vgpr7
.LBB78_1414:
	s_delay_alu instid0(SALU_CYCLE_1)
	s_and_not1_b32 vcc_lo, exec_lo, s3
	s_cbranch_vccnz .LBB78_1416
; %bb.1415:
	global_load_u8 v1, v[2:3], off
	s_wait_loadcnt 0x0
	v_cvt_f32_ubyte0_e32 v7, v1
.LBB78_1416:
.LBB78_1417:
	v_add_nc_u32_e32 v0, s1, v0
	s_cmp_lt_i32 s0, 11
	s_delay_alu instid0(VALU_DEP_1) | instskip(NEXT) | instid1(VALU_DEP_1)
	v_ashrrev_i32_e32 v1, 31, v0
	v_add_nc_u64_e32 v[0:1], s[6:7], v[0:1]
	s_cbranch_scc1 .LBB78_1424
; %bb.1418:
	s_cmp_gt_i32 s0, 25
	s_mov_b32 s3, 0
	s_cbranch_scc0 .LBB78_1425
; %bb.1419:
	s_cmp_gt_i32 s0, 28
	s_cbranch_scc0 .LBB78_1426
; %bb.1420:
	s_cmp_gt_i32 s0, 43
	;; [unrolled: 3-line block ×3, first 2 shown]
	s_cbranch_scc0 .LBB78_1429
; %bb.1422:
	s_cmp_eq_u32 s0, 46
	s_mov_b32 s7, 0
	s_cbranch_scc0 .LBB78_1430
; %bb.1423:
	global_load_b32 v2, v[0:1], off
	s_mov_b32 s1, 0
	s_mov_b32 s6, -1
	s_wait_loadcnt 0x0
	v_lshlrev_b32_e32 v8, 16, v2
	s_branch .LBB78_1432
.LBB78_1424:
	s_mov_b32 s1, -1
	s_mov_b32 s6, 0
                                        ; implicit-def: $vgpr8
	s_branch .LBB78_1498
.LBB78_1425:
	s_mov_b32 s7, -1
	s_mov_b32 s6, 0
	s_mov_b32 s1, 0
                                        ; implicit-def: $vgpr8
	s_branch .LBB78_1461
.LBB78_1426:
	s_mov_b32 s7, -1
	s_mov_b32 s6, 0
	s_mov_b32 s1, 0
                                        ; implicit-def: $vgpr8
	s_branch .LBB78_1442
.LBB78_1427:
	s_mov_b32 s7, -1
	s_mov_b32 s6, 0
	s_mov_b32 s1, 0
                                        ; implicit-def: $vgpr8
	s_branch .LBB78_1437
.LBB78_1428:
	s_or_b32 s9, s9, exec_lo
	s_trap 2
	s_cbranch_execz .LBB78_1367
	s_branch .LBB78_1368
.LBB78_1429:
	s_mov_b32 s7, -1
	s_mov_b32 s6, 0
	s_mov_b32 s1, 0
	s_branch .LBB78_1431
.LBB78_1430:
	s_mov_b32 s1, -1
	s_mov_b32 s6, 0
.LBB78_1431:
                                        ; implicit-def: $vgpr8
.LBB78_1432:
	s_and_b32 vcc_lo, exec_lo, s7
	s_cbranch_vccz .LBB78_1436
; %bb.1433:
	s_cmp_eq_u32 s0, 44
	s_cbranch_scc0 .LBB78_1435
; %bb.1434:
	global_load_u8 v2, v[0:1], off
	s_mov_b32 s1, 0
	s_mov_b32 s6, -1
	s_wait_loadcnt 0x0
	v_lshlrev_b32_e32 v3, 23, v2
	v_cmp_ne_u32_e32 vcc_lo, 0xff, v2
	s_delay_alu instid0(VALU_DEP_2) | instskip(SKIP_1) | instid1(VALU_DEP_2)
	v_cndmask_b32_e32 v3, 0x7f800001, v3, vcc_lo
	v_cmp_ne_u32_e32 vcc_lo, 0, v2
	v_cndmask_b32_e32 v8, 0x400000, v3, vcc_lo
	s_branch .LBB78_1436
.LBB78_1435:
	s_mov_b32 s1, -1
                                        ; implicit-def: $vgpr8
.LBB78_1436:
	s_mov_b32 s7, 0
.LBB78_1437:
	s_delay_alu instid0(SALU_CYCLE_1)
	s_and_b32 vcc_lo, exec_lo, s7
	s_cbranch_vccz .LBB78_1441
; %bb.1438:
	s_cmp_eq_u32 s0, 29
	s_cbranch_scc0 .LBB78_1440
; %bb.1439:
	global_load_b64 v[2:3], v[0:1], off
	s_mov_b32 s1, 0
	s_mov_b32 s6, -1
	s_mov_b32 s7, 0
	s_wait_loadcnt 0x0
	v_clz_i32_u32_e32 v8, v3
	s_delay_alu instid0(VALU_DEP_1) | instskip(NEXT) | instid1(VALU_DEP_1)
	v_min_u32_e32 v8, 32, v8
	v_lshlrev_b64_e32 v[2:3], v8, v[2:3]
	s_delay_alu instid0(VALU_DEP_1) | instskip(NEXT) | instid1(VALU_DEP_1)
	v_min_u32_e32 v2, 1, v2
	v_dual_sub_nc_u32 v3, 32, v8 :: v_dual_bitop2_b32 v2, v3, v2 bitop3:0x54
	s_delay_alu instid0(VALU_DEP_1) | instskip(NEXT) | instid1(VALU_DEP_1)
	v_cvt_f32_u32_e32 v2, v2
	v_ldexp_f32 v8, v2, v3
	s_branch .LBB78_1442
.LBB78_1440:
	s_mov_b32 s1, -1
                                        ; implicit-def: $vgpr8
.LBB78_1441:
	s_mov_b32 s7, 0
.LBB78_1442:
	s_delay_alu instid0(SALU_CYCLE_1)
	s_and_b32 vcc_lo, exec_lo, s7
	s_cbranch_vccz .LBB78_1460
; %bb.1443:
	s_cmp_lt_i32 s0, 27
	s_cbranch_scc1 .LBB78_1446
; %bb.1444:
	s_cmp_gt_i32 s0, 27
	s_cbranch_scc0 .LBB78_1447
; %bb.1445:
	global_load_b32 v2, v[0:1], off
	s_mov_b32 s6, 0
	s_wait_loadcnt 0x0
	v_cvt_f32_u32_e32 v8, v2
	s_branch .LBB78_1448
.LBB78_1446:
	s_mov_b32 s6, -1
                                        ; implicit-def: $vgpr8
	s_branch .LBB78_1451
.LBB78_1447:
	s_mov_b32 s6, -1
                                        ; implicit-def: $vgpr8
.LBB78_1448:
	s_delay_alu instid0(SALU_CYCLE_1)
	s_and_not1_b32 vcc_lo, exec_lo, s6
	s_cbranch_vccnz .LBB78_1450
; %bb.1449:
	global_load_u16 v2, v[0:1], off
	s_wait_loadcnt 0x0
	v_cvt_f32_u32_e32 v8, v2
.LBB78_1450:
	s_mov_b32 s6, 0
.LBB78_1451:
	s_delay_alu instid0(SALU_CYCLE_1)
	s_and_not1_b32 vcc_lo, exec_lo, s6
	s_cbranch_vccnz .LBB78_1459
; %bb.1452:
	global_load_u8 v2, v[0:1], off
	s_mov_b32 s6, 0
	s_mov_b32 s7, exec_lo
	s_wait_loadcnt 0x0
	v_cmpx_lt_i16_e32 0x7f, v2
	s_xor_b32 s7, exec_lo, s7
	s_cbranch_execz .LBB78_1473
; %bb.1453:
	s_mov_b32 s6, -1
	s_mov_b32 s10, exec_lo
	v_cmpx_eq_u16_e32 0x80, v2
; %bb.1454:
	s_xor_b32 s6, exec_lo, -1
; %bb.1455:
	s_or_b32 exec_lo, exec_lo, s10
	s_delay_alu instid0(SALU_CYCLE_1)
	s_and_b32 s6, s6, exec_lo
	s_or_saveexec_b32 s7, s7
	v_mov_b32_e32 v8, 0x7f800001
	s_xor_b32 exec_lo, exec_lo, s7
	s_cbranch_execnz .LBB78_1474
.LBB78_1456:
	s_or_b32 exec_lo, exec_lo, s7
	s_and_saveexec_b32 s7, s6
	s_cbranch_execz .LBB78_1458
.LBB78_1457:
	v_and_b32_e32 v3, 0xffff, v2
	s_delay_alu instid0(VALU_DEP_1) | instskip(SKIP_1) | instid1(VALU_DEP_2)
	v_and_b32_e32 v8, 7, v3
	v_bfe_u32 v11, v3, 3, 4
	v_clz_i32_u32_e32 v9, v8
	s_delay_alu instid0(VALU_DEP_2) | instskip(NEXT) | instid1(VALU_DEP_2)
	v_cmp_eq_u32_e32 vcc_lo, 0, v11
	v_min_u32_e32 v9, 32, v9
	s_delay_alu instid0(VALU_DEP_1) | instskip(NEXT) | instid1(VALU_DEP_1)
	v_subrev_nc_u32_e32 v10, 28, v9
	v_dual_lshlrev_b32 v3, v10, v3 :: v_dual_sub_nc_u32 v9, 29, v9
	s_delay_alu instid0(VALU_DEP_1) | instskip(NEXT) | instid1(VALU_DEP_1)
	v_dual_lshlrev_b32 v2, 24, v2 :: v_dual_bitop2_b32 v3, 7, v3 bitop3:0x40
	v_dual_cndmask_b32 v9, v11, v9, vcc_lo :: v_dual_cndmask_b32 v3, v8, v3, vcc_lo
	s_delay_alu instid0(VALU_DEP_2) | instskip(NEXT) | instid1(VALU_DEP_2)
	v_and_b32_e32 v2, 0x80000000, v2
	v_lshl_add_u32 v8, v9, 23, 0x3b800000
	s_delay_alu instid0(VALU_DEP_3) | instskip(NEXT) | instid1(VALU_DEP_1)
	v_lshlrev_b32_e32 v3, 20, v3
	v_or3_b32 v8, v2, v8, v3
.LBB78_1458:
	s_or_b32 exec_lo, exec_lo, s7
.LBB78_1459:
	s_mov_b32 s6, -1
.LBB78_1460:
	s_mov_b32 s7, 0
.LBB78_1461:
	s_delay_alu instid0(SALU_CYCLE_1)
	s_and_b32 vcc_lo, exec_lo, s7
	s_cbranch_vccz .LBB78_1494
; %bb.1462:
	s_cmp_gt_i32 s0, 22
	s_cbranch_scc0 .LBB78_1472
; %bb.1463:
	s_cmp_lt_i32 s0, 24
	s_cbranch_scc1 .LBB78_1475
; %bb.1464:
	s_cmp_gt_i32 s0, 24
	s_cbranch_scc0 .LBB78_1476
; %bb.1465:
	global_load_u8 v2, v[0:1], off
	s_mov_b32 s6, exec_lo
	s_wait_loadcnt 0x0
	v_cmpx_lt_i16_e32 0x7f, v2
	s_xor_b32 s6, exec_lo, s6
	s_cbranch_execz .LBB78_1488
; %bb.1466:
	s_mov_b32 s3, -1
	s_mov_b32 s7, exec_lo
	v_cmpx_eq_u16_e32 0x80, v2
; %bb.1467:
	s_xor_b32 s3, exec_lo, -1
; %bb.1468:
	s_or_b32 exec_lo, exec_lo, s7
	s_delay_alu instid0(SALU_CYCLE_1)
	s_and_b32 s3, s3, exec_lo
	s_or_saveexec_b32 s6, s6
	v_mov_b32_e32 v8, 0x7f800001
	s_xor_b32 exec_lo, exec_lo, s6
	s_cbranch_execnz .LBB78_1489
.LBB78_1469:
	s_or_b32 exec_lo, exec_lo, s6
	s_and_saveexec_b32 s6, s3
	s_cbranch_execz .LBB78_1471
.LBB78_1470:
	v_and_b32_e32 v3, 0xffff, v2
	s_delay_alu instid0(VALU_DEP_1) | instskip(SKIP_1) | instid1(VALU_DEP_2)
	v_and_b32_e32 v8, 3, v3
	v_bfe_u32 v11, v3, 2, 5
	v_clz_i32_u32_e32 v9, v8
	s_delay_alu instid0(VALU_DEP_2) | instskip(NEXT) | instid1(VALU_DEP_2)
	v_cmp_eq_u32_e32 vcc_lo, 0, v11
	v_min_u32_e32 v9, 32, v9
	s_delay_alu instid0(VALU_DEP_1) | instskip(NEXT) | instid1(VALU_DEP_1)
	v_subrev_nc_u32_e32 v10, 29, v9
	v_dual_lshlrev_b32 v3, v10, v3 :: v_dual_sub_nc_u32 v9, 30, v9
	s_delay_alu instid0(VALU_DEP_1) | instskip(NEXT) | instid1(VALU_DEP_1)
	v_dual_lshlrev_b32 v2, 24, v2 :: v_dual_bitop2_b32 v3, 3, v3 bitop3:0x40
	v_dual_cndmask_b32 v9, v11, v9, vcc_lo :: v_dual_cndmask_b32 v3, v8, v3, vcc_lo
	s_delay_alu instid0(VALU_DEP_2) | instskip(NEXT) | instid1(VALU_DEP_2)
	v_and_b32_e32 v2, 0x80000000, v2
	v_lshl_add_u32 v8, v9, 23, 0x37800000
	s_delay_alu instid0(VALU_DEP_3) | instskip(NEXT) | instid1(VALU_DEP_1)
	v_lshlrev_b32_e32 v3, 21, v3
	v_or3_b32 v8, v2, v8, v3
.LBB78_1471:
	s_or_b32 exec_lo, exec_lo, s6
	s_mov_b32 s3, 0
	s_branch .LBB78_1477
.LBB78_1472:
	s_mov_b32 s3, -1
                                        ; implicit-def: $vgpr8
	s_branch .LBB78_1483
.LBB78_1473:
	s_or_saveexec_b32 s7, s7
	v_mov_b32_e32 v8, 0x7f800001
	s_xor_b32 exec_lo, exec_lo, s7
	s_cbranch_execz .LBB78_1456
.LBB78_1474:
	v_cmp_ne_u16_e32 vcc_lo, 0, v2
	v_mov_b32_e32 v8, 0
	s_and_not1_b32 s6, s6, exec_lo
	s_and_b32 s10, vcc_lo, exec_lo
	s_delay_alu instid0(SALU_CYCLE_1)
	s_or_b32 s6, s6, s10
	s_or_b32 exec_lo, exec_lo, s7
	s_and_saveexec_b32 s7, s6
	s_cbranch_execnz .LBB78_1457
	s_branch .LBB78_1458
.LBB78_1475:
	s_mov_b32 s3, -1
                                        ; implicit-def: $vgpr8
	s_branch .LBB78_1480
.LBB78_1476:
	s_mov_b32 s3, -1
                                        ; implicit-def: $vgpr8
.LBB78_1477:
	s_delay_alu instid0(SALU_CYCLE_1)
	s_and_b32 vcc_lo, exec_lo, s3
	s_cbranch_vccz .LBB78_1479
; %bb.1478:
	global_load_u8 v2, v[0:1], off
	s_wait_loadcnt 0x0
	v_lshlrev_b32_e32 v2, 24, v2
	s_delay_alu instid0(VALU_DEP_1) | instskip(NEXT) | instid1(VALU_DEP_1)
	v_and_b32_e32 v3, 0x7f000000, v2
	v_clz_i32_u32_e32 v8, v3
	v_cmp_ne_u32_e32 vcc_lo, 0, v3
	v_add_nc_u32_e32 v10, 0x1000000, v3
	s_delay_alu instid0(VALU_DEP_3) | instskip(NEXT) | instid1(VALU_DEP_1)
	v_min_u32_e32 v8, 32, v8
	v_sub_nc_u32_e64 v8, v8, 4 clamp
	s_delay_alu instid0(VALU_DEP_1) | instskip(NEXT) | instid1(VALU_DEP_1)
	v_dual_lshlrev_b32 v9, v8, v3 :: v_dual_lshlrev_b32 v8, 23, v8
	v_lshrrev_b32_e32 v9, 4, v9
	s_delay_alu instid0(VALU_DEP_1) | instskip(NEXT) | instid1(VALU_DEP_1)
	v_dual_sub_nc_u32 v8, v9, v8 :: v_dual_ashrrev_i32 v9, 8, v10
	v_add_nc_u32_e32 v8, 0x3c000000, v8
	s_delay_alu instid0(VALU_DEP_1) | instskip(NEXT) | instid1(VALU_DEP_1)
	v_and_or_b32 v8, 0x7f800000, v9, v8
	v_cndmask_b32_e32 v3, 0, v8, vcc_lo
	s_delay_alu instid0(VALU_DEP_1)
	v_and_or_b32 v8, 0x80000000, v2, v3
.LBB78_1479:
	s_mov_b32 s3, 0
.LBB78_1480:
	s_delay_alu instid0(SALU_CYCLE_1)
	s_and_not1_b32 vcc_lo, exec_lo, s3
	s_cbranch_vccnz .LBB78_1482
; %bb.1481:
	global_load_u8 v2, v[0:1], off
	s_wait_loadcnt 0x0
	v_lshlrev_b32_e32 v3, 25, v2
	v_lshlrev_b16 v2, 8, v2
	s_delay_alu instid0(VALU_DEP_1) | instskip(SKIP_1) | instid1(VALU_DEP_2)
	v_and_or_b32 v9, 0x7f00, v2, 0.5
	v_bfe_i32 v2, v2, 0, 16
	v_dual_add_f32 v9, -0.5, v9 :: v_dual_lshrrev_b32 v8, 4, v3
	v_cmp_gt_u32_e32 vcc_lo, 0x8000000, v3
	s_delay_alu instid0(VALU_DEP_2) | instskip(NEXT) | instid1(VALU_DEP_1)
	v_or_b32_e32 v8, 0x70000000, v8
	v_mul_f32_e32 v8, 0x7800000, v8
	s_delay_alu instid0(VALU_DEP_1) | instskip(NEXT) | instid1(VALU_DEP_1)
	v_cndmask_b32_e32 v3, v8, v9, vcc_lo
	v_and_or_b32 v8, 0x80000000, v2, v3
.LBB78_1482:
	s_mov_b32 s3, 0
	s_mov_b32 s6, -1
.LBB78_1483:
	s_and_not1_b32 vcc_lo, exec_lo, s3
	s_mov_b32 s3, 0
	s_cbranch_vccnz .LBB78_1494
; %bb.1484:
	s_cmp_gt_i32 s0, 14
	s_cbranch_scc0 .LBB78_1487
; %bb.1485:
	s_cmp_eq_u32 s0, 15
	s_cbranch_scc0 .LBB78_1490
; %bb.1486:
	global_load_u16 v2, v[0:1], off
	s_mov_b32 s1, 0
	s_mov_b32 s6, -1
	s_wait_loadcnt 0x0
	v_lshlrev_b32_e32 v8, 16, v2
	s_branch .LBB78_1492
.LBB78_1487:
	s_mov_b32 s3, -1
	s_branch .LBB78_1491
.LBB78_1488:
	s_or_saveexec_b32 s6, s6
	v_mov_b32_e32 v8, 0x7f800001
	s_xor_b32 exec_lo, exec_lo, s6
	s_cbranch_execz .LBB78_1469
.LBB78_1489:
	v_cmp_ne_u16_e32 vcc_lo, 0, v2
	v_mov_b32_e32 v8, 0
	s_and_not1_b32 s3, s3, exec_lo
	s_and_b32 s7, vcc_lo, exec_lo
	s_delay_alu instid0(SALU_CYCLE_1)
	s_or_b32 s3, s3, s7
	s_or_b32 exec_lo, exec_lo, s6
	s_and_saveexec_b32 s6, s3
	s_cbranch_execnz .LBB78_1470
	s_branch .LBB78_1471
.LBB78_1490:
	s_mov_b32 s1, -1
.LBB78_1491:
                                        ; implicit-def: $vgpr8
.LBB78_1492:
	s_and_b32 vcc_lo, exec_lo, s3
	s_mov_b32 s3, 0
	s_cbranch_vccz .LBB78_1494
; %bb.1493:
	s_cmp_lg_u32 s0, 11
	s_mov_b32 s3, -1
	s_cselect_b32 s1, -1, 0
.LBB78_1494:
	s_delay_alu instid0(SALU_CYCLE_1)
	s_and_b32 vcc_lo, exec_lo, s1
	s_cbranch_vccnz .LBB78_2027
; %bb.1495:
	s_and_not1_b32 vcc_lo, exec_lo, s3
	s_cbranch_vccnz .LBB78_1497
.LBB78_1496:
	global_load_u8 v2, v[0:1], off
	s_mov_b32 s6, -1
	s_wait_loadcnt 0x0
	v_cmp_ne_u16_e32 vcc_lo, 0, v2
	v_cndmask_b32_e64 v8, 0, 1.0, vcc_lo
.LBB78_1497:
	s_mov_b32 s1, 0
.LBB78_1498:
	s_delay_alu instid0(SALU_CYCLE_1)
	s_and_b32 vcc_lo, exec_lo, s1
	s_cbranch_vccz .LBB78_1547
; %bb.1499:
	s_cmp_lt_i32 s0, 5
	s_cbranch_scc1 .LBB78_1504
; %bb.1500:
	s_cmp_lt_i32 s0, 8
	s_cbranch_scc1 .LBB78_1505
; %bb.1501:
	s_cmp_lt_i32 s0, 9
	s_cbranch_scc1 .LBB78_1506
; %bb.1502:
	s_cmp_gt_i32 s0, 9
	s_cbranch_scc0 .LBB78_1507
; %bb.1503:
	global_load_b64 v[2:3], v[0:1], off
	s_mov_b32 s1, 0
	s_wait_loadcnt 0x0
	v_cvt_f32_f64_e32 v8, v[2:3]
	s_branch .LBB78_1508
.LBB78_1504:
	s_mov_b32 s1, -1
                                        ; implicit-def: $vgpr8
	s_branch .LBB78_1526
.LBB78_1505:
	s_mov_b32 s1, -1
                                        ; implicit-def: $vgpr8
	s_branch .LBB78_1514
.LBB78_1506:
	s_mov_b32 s1, -1
                                        ; implicit-def: $vgpr8
	s_branch .LBB78_1511
.LBB78_1507:
	s_mov_b32 s1, -1
                                        ; implicit-def: $vgpr8
.LBB78_1508:
	s_delay_alu instid0(SALU_CYCLE_1)
	s_and_not1_b32 vcc_lo, exec_lo, s1
	s_cbranch_vccnz .LBB78_1510
; %bb.1509:
	global_load_b32 v8, v[0:1], off
.LBB78_1510:
	s_mov_b32 s1, 0
.LBB78_1511:
	s_delay_alu instid0(SALU_CYCLE_1)
	s_and_not1_b32 vcc_lo, exec_lo, s1
	s_cbranch_vccnz .LBB78_1513
; %bb.1512:
	global_load_b32 v2, v[0:1], off
	s_wait_loadcnt 0x0
	v_cvt_f32_f16_e32 v8, v2
.LBB78_1513:
	s_mov_b32 s1, 0
.LBB78_1514:
	s_delay_alu instid0(SALU_CYCLE_1)
	s_and_not1_b32 vcc_lo, exec_lo, s1
	s_cbranch_vccnz .LBB78_1525
; %bb.1515:
	s_cmp_lt_i32 s0, 6
	s_cbranch_scc1 .LBB78_1518
; %bb.1516:
	s_cmp_gt_i32 s0, 6
	s_cbranch_scc0 .LBB78_1519
; %bb.1517:
	global_load_b64 v[2:3], v[0:1], off
	s_mov_b32 s1, 0
	s_wait_loadcnt 0x0
	v_cvt_f32_f64_e32 v8, v[2:3]
	s_branch .LBB78_1520
.LBB78_1518:
	s_mov_b32 s1, -1
                                        ; implicit-def: $vgpr8
	s_branch .LBB78_1523
.LBB78_1519:
	s_mov_b32 s1, -1
                                        ; implicit-def: $vgpr8
.LBB78_1520:
	s_delay_alu instid0(SALU_CYCLE_1)
	s_and_not1_b32 vcc_lo, exec_lo, s1
	s_cbranch_vccnz .LBB78_1522
; %bb.1521:
	s_wait_loadcnt 0x0
	global_load_b32 v8, v[0:1], off
.LBB78_1522:
	s_mov_b32 s1, 0
.LBB78_1523:
	s_delay_alu instid0(SALU_CYCLE_1)
	s_and_not1_b32 vcc_lo, exec_lo, s1
	s_cbranch_vccnz .LBB78_1525
; %bb.1524:
	global_load_u16 v2, v[0:1], off
	s_wait_loadcnt 0x0
	v_cvt_f32_f16_e32 v8, v2
.LBB78_1525:
	s_mov_b32 s1, 0
.LBB78_1526:
	s_delay_alu instid0(SALU_CYCLE_1)
	s_and_not1_b32 vcc_lo, exec_lo, s1
	s_cbranch_vccnz .LBB78_1546
; %bb.1527:
	s_cmp_lt_i32 s0, 2
	s_cbranch_scc1 .LBB78_1531
; %bb.1528:
	s_cmp_lt_i32 s0, 3
	s_cbranch_scc1 .LBB78_1532
; %bb.1529:
	s_cmp_gt_i32 s0, 3
	s_cbranch_scc0 .LBB78_1533
; %bb.1530:
	global_load_b64 v[2:3], v[0:1], off
	s_mov_b32 s1, 0
	s_wait_loadcnt 0x0
	v_xor_b32_e32 v8, v2, v3
	v_cls_i32_e32 v9, v3
	s_delay_alu instid0(VALU_DEP_2) | instskip(NEXT) | instid1(VALU_DEP_1)
	v_ashrrev_i32_e32 v8, 31, v8
	v_add_nc_u32_e32 v8, 32, v8
	s_delay_alu instid0(VALU_DEP_1) | instskip(NEXT) | instid1(VALU_DEP_1)
	v_add_min_u32_e64 v8, v9, -1, v8
	v_lshlrev_b64_e32 v[2:3], v8, v[2:3]
	s_delay_alu instid0(VALU_DEP_1) | instskip(NEXT) | instid1(VALU_DEP_1)
	v_min_u32_e32 v2, 1, v2
	v_dual_sub_nc_u32 v3, 32, v8 :: v_dual_bitop2_b32 v2, v3, v2 bitop3:0x54
	s_delay_alu instid0(VALU_DEP_1) | instskip(NEXT) | instid1(VALU_DEP_1)
	v_cvt_f32_i32_e32 v2, v2
	v_ldexp_f32 v8, v2, v3
	s_branch .LBB78_1534
.LBB78_1531:
	s_mov_b32 s1, -1
                                        ; implicit-def: $vgpr8
	s_branch .LBB78_1540
.LBB78_1532:
	s_mov_b32 s1, -1
                                        ; implicit-def: $vgpr8
	s_branch .LBB78_1537
.LBB78_1533:
	s_mov_b32 s1, -1
                                        ; implicit-def: $vgpr8
.LBB78_1534:
	s_delay_alu instid0(SALU_CYCLE_1)
	s_and_not1_b32 vcc_lo, exec_lo, s1
	s_cbranch_vccnz .LBB78_1536
; %bb.1535:
	global_load_b32 v2, v[0:1], off
	s_wait_loadcnt 0x0
	v_cvt_f32_i32_e32 v8, v2
.LBB78_1536:
	s_mov_b32 s1, 0
.LBB78_1537:
	s_delay_alu instid0(SALU_CYCLE_1)
	s_and_not1_b32 vcc_lo, exec_lo, s1
	s_cbranch_vccnz .LBB78_1539
; %bb.1538:
	global_load_i16 v2, v[0:1], off
	s_wait_loadcnt 0x0
	v_cvt_f32_i32_e32 v8, v2
.LBB78_1539:
	s_mov_b32 s1, 0
.LBB78_1540:
	s_delay_alu instid0(SALU_CYCLE_1)
	s_and_not1_b32 vcc_lo, exec_lo, s1
	s_cbranch_vccnz .LBB78_1546
; %bb.1541:
	s_cmp_gt_i32 s0, 0
	s_mov_b32 s0, 0
	s_cbranch_scc0 .LBB78_1543
; %bb.1542:
	global_load_i8 v2, v[0:1], off
	s_wait_loadcnt 0x0
	v_cvt_f32_i32_e32 v8, v2
	s_branch .LBB78_1544
.LBB78_1543:
	s_mov_b32 s0, -1
                                        ; implicit-def: $vgpr8
.LBB78_1544:
	s_delay_alu instid0(SALU_CYCLE_1)
	s_and_not1_b32 vcc_lo, exec_lo, s0
	s_cbranch_vccnz .LBB78_1546
; %bb.1545:
	global_load_u8 v0, v[0:1], off
	s_wait_loadcnt 0x0
	v_cvt_f32_ubyte0_e32 v8, v0
.LBB78_1546:
	s_mov_b32 s6, -1
.LBB78_1547:
	s_delay_alu instid0(SALU_CYCLE_1)
	s_and_not1_b32 vcc_lo, exec_lo, s6
	s_cbranch_vccnz .LBB78_1981
; %bb.1548:
	s_wait_xcnt 0x0
	v_mul_lo_u32 v0, s2, v4
	s_wait_loadcnt 0x0
	v_cmp_eq_f32_e64 s0, 0xff800000, v5
	s_and_b32 s13, s8, 0xff
	s_delay_alu instid0(SALU_CYCLE_1) | instskip(SKIP_1) | instid1(VALU_DEP_1)
	s_cmp_lt_i32 s13, 11
	v_ashrrev_i32_e32 v1, 31, v0
	v_add_nc_u64_e32 v[2:3], s[4:5], v[0:1]
	s_cbranch_scc1 .LBB78_1626
; %bb.1549:
	s_and_b32 s3, 0xffff, s13
	s_mov_b32 s8, -1
	s_mov_b32 s6, 0
	s_cmp_gt_i32 s3, 25
	s_mov_b32 s7, 0
	s_mov_b32 s1, 0
	s_cbranch_scc0 .LBB78_1582
; %bb.1550:
	s_cmp_gt_i32 s3, 28
	s_cbranch_scc0 .LBB78_1565
; %bb.1551:
	s_cmp_gt_i32 s3, 43
	;; [unrolled: 3-line block ×3, first 2 shown]
	s_cbranch_scc0 .LBB78_1555
; %bb.1553:
	s_mov_b32 s1, -1
	s_mov_b32 s8, 0
	s_cmp_eq_u32 s3, 46
	s_cbranch_scc0 .LBB78_1555
; %bb.1554:
	v_cndmask_b32_e64 v1, 0, 1.0, s0
	s_mov_b32 s1, 0
	s_mov_b32 s7, -1
	s_delay_alu instid0(VALU_DEP_1) | instskip(NEXT) | instid1(VALU_DEP_1)
	v_bfe_u32 v4, v1, 16, 1
	v_add3_u32 v1, v1, v4, 0x7fff
	s_delay_alu instid0(VALU_DEP_1)
	v_lshrrev_b32_e32 v1, 16, v1
	global_store_b32 v[2:3], v1, off
.LBB78_1555:
	s_and_b32 vcc_lo, exec_lo, s8
	s_cbranch_vccz .LBB78_1560
; %bb.1556:
	s_cmp_eq_u32 s3, 44
	s_mov_b32 s1, -1
	s_cbranch_scc0 .LBB78_1560
; %bb.1557:
	v_cndmask_b32_e64 v5, 0, 1.0, s0
	s_mov_b32 s7, exec_lo
	s_wait_xcnt 0x0
	s_delay_alu instid0(VALU_DEP_1) | instskip(NEXT) | instid1(VALU_DEP_1)
	v_dual_mov_b32 v4, 0xff :: v_dual_lshrrev_b32 v1, 23, v5
	v_cmpx_ne_u32_e32 0xff, v1
; %bb.1558:
	v_and_b32_e32 v4, 0x400000, v5
	v_and_or_b32 v5, 0x3fffff, v5, v1
	s_delay_alu instid0(VALU_DEP_2) | instskip(NEXT) | instid1(VALU_DEP_2)
	v_cmp_ne_u32_e32 vcc_lo, 0, v4
	v_cmp_ne_u32_e64 s1, 0, v5
	s_and_b32 s1, vcc_lo, s1
	s_delay_alu instid0(SALU_CYCLE_1) | instskip(NEXT) | instid1(VALU_DEP_1)
	v_cndmask_b32_e64 v4, 0, 1, s1
	v_add_nc_u32_e32 v4, v1, v4
; %bb.1559:
	s_or_b32 exec_lo, exec_lo, s7
	s_mov_b32 s1, 0
	s_mov_b32 s7, -1
	global_store_b8 v[2:3], v4, off
.LBB78_1560:
	s_mov_b32 s8, 0
.LBB78_1561:
	s_delay_alu instid0(SALU_CYCLE_1)
	s_and_b32 vcc_lo, exec_lo, s8
	s_cbranch_vccz .LBB78_1564
; %bb.1562:
	s_cmp_eq_u32 s3, 29
	s_mov_b32 s1, -1
	s_cbranch_scc0 .LBB78_1564
; %bb.1563:
	s_mov_b32 s1, 0
	s_wait_xcnt 0x0
	v_cndmask_b32_e64 v4, 0, 1, s0
	v_mov_b32_e32 v5, s1
	s_mov_b32 s7, -1
	global_store_b64 v[2:3], v[4:5], off
.LBB78_1564:
	s_mov_b32 s8, 0
.LBB78_1565:
	s_delay_alu instid0(SALU_CYCLE_1)
	s_and_b32 vcc_lo, exec_lo, s8
	s_cbranch_vccz .LBB78_1581
; %bb.1566:
	s_cmp_lt_i32 s3, 27
	s_mov_b32 s7, -1
	s_cbranch_scc1 .LBB78_1572
; %bb.1567:
	s_cmp_gt_i32 s3, 27
	s_cbranch_scc0 .LBB78_1569
; %bb.1568:
	s_wait_xcnt 0x0
	v_cndmask_b32_e64 v1, 0, 1, s0
	s_mov_b32 s7, 0
	global_store_b32 v[2:3], v1, off
.LBB78_1569:
	s_and_not1_b32 vcc_lo, exec_lo, s7
	s_cbranch_vccnz .LBB78_1571
; %bb.1570:
	s_wait_xcnt 0x0
	v_cndmask_b32_e64 v1, 0, 1, s0
	global_store_b16 v[2:3], v1, off
.LBB78_1571:
	s_mov_b32 s7, 0
.LBB78_1572:
	s_delay_alu instid0(SALU_CYCLE_1)
	s_and_not1_b32 vcc_lo, exec_lo, s7
	s_cbranch_vccnz .LBB78_1580
; %bb.1573:
	s_wait_xcnt 0x0
	v_cndmask_b32_e64 v4, 0, 1.0, s0
	v_mov_b32_e32 v5, 0x80
	s_mov_b32 s7, exec_lo
	s_delay_alu instid0(VALU_DEP_2)
	v_cmpx_gt_u32_e32 0x43800000, v4
	s_cbranch_execz .LBB78_1579
; %bb.1574:
	s_mov_b32 s8, 0
	s_mov_b32 s10, exec_lo
                                        ; implicit-def: $vgpr1
	v_cmpx_lt_u32_e32 0x3bffffff, v4
	s_xor_b32 s10, exec_lo, s10
	s_cbranch_execz .LBB78_2028
; %bb.1575:
	v_bfe_u32 v1, v4, 20, 1
	s_mov_b32 s8, exec_lo
	s_delay_alu instid0(VALU_DEP_1) | instskip(NEXT) | instid1(VALU_DEP_1)
	v_add3_u32 v1, v4, v1, 0x487ffff
                                        ; implicit-def: $vgpr4
	v_lshrrev_b32_e32 v1, 20, v1
	s_and_not1_saveexec_b32 s10, s10
	s_cbranch_execnz .LBB78_2029
.LBB78_1576:
	s_or_b32 exec_lo, exec_lo, s10
	v_mov_b32_e32 v5, 0
	s_and_saveexec_b32 s10, s8
.LBB78_1577:
	v_mov_b32_e32 v5, v1
.LBB78_1578:
	s_or_b32 exec_lo, exec_lo, s10
.LBB78_1579:
	s_delay_alu instid0(SALU_CYCLE_1)
	s_or_b32 exec_lo, exec_lo, s7
	global_store_b8 v[2:3], v5, off
.LBB78_1580:
	s_mov_b32 s7, -1
.LBB78_1581:
	s_mov_b32 s8, 0
.LBB78_1582:
	s_delay_alu instid0(SALU_CYCLE_1)
	s_and_b32 vcc_lo, exec_lo, s8
	s_cbranch_vccz .LBB78_1622
; %bb.1583:
	s_cmp_gt_i32 s3, 22
	s_mov_b32 s6, -1
	s_cbranch_scc0 .LBB78_1615
; %bb.1584:
	s_cmp_lt_i32 s3, 24
	s_cbranch_scc1 .LBB78_1604
; %bb.1585:
	s_cmp_gt_i32 s3, 24
	s_cbranch_scc0 .LBB78_1593
; %bb.1586:
	s_wait_xcnt 0x0
	v_cndmask_b32_e64 v4, 0, 1.0, s0
	v_mov_b32_e32 v5, 0x80
	s_mov_b32 s6, exec_lo
	s_delay_alu instid0(VALU_DEP_2)
	v_cmpx_gt_u32_e32 0x47800000, v4
	s_cbranch_execz .LBB78_1592
; %bb.1587:
	s_mov_b32 s7, 0
	s_mov_b32 s8, exec_lo
                                        ; implicit-def: $vgpr1
	v_cmpx_lt_u32_e32 0x37ffffff, v4
	s_xor_b32 s8, exec_lo, s8
	s_cbranch_execz .LBB78_2031
; %bb.1588:
	v_bfe_u32 v1, v4, 21, 1
	s_mov_b32 s7, exec_lo
	s_delay_alu instid0(VALU_DEP_1) | instskip(NEXT) | instid1(VALU_DEP_1)
	v_add3_u32 v1, v4, v1, 0x88fffff
                                        ; implicit-def: $vgpr4
	v_lshrrev_b32_e32 v1, 21, v1
	s_and_not1_saveexec_b32 s8, s8
	s_cbranch_execnz .LBB78_2032
.LBB78_1589:
	s_or_b32 exec_lo, exec_lo, s8
	v_mov_b32_e32 v5, 0
	s_and_saveexec_b32 s8, s7
.LBB78_1590:
	v_mov_b32_e32 v5, v1
.LBB78_1591:
	s_or_b32 exec_lo, exec_lo, s8
.LBB78_1592:
	s_delay_alu instid0(SALU_CYCLE_1)
	s_or_b32 exec_lo, exec_lo, s6
	s_mov_b32 s6, 0
	global_store_b8 v[2:3], v5, off
.LBB78_1593:
	s_and_b32 vcc_lo, exec_lo, s6
	s_cbranch_vccz .LBB78_1603
; %bb.1594:
	s_wait_xcnt 0x0
	v_cndmask_b32_e64 v4, 0, 1.0, s0
	s_mov_b32 s6, exec_lo
                                        ; implicit-def: $vgpr1
	s_delay_alu instid0(VALU_DEP_1)
	v_cmpx_gt_u32_e32 0x43f00000, v4
	s_xor_b32 s6, exec_lo, s6
	s_cbranch_execz .LBB78_1600
; %bb.1595:
	s_mov_b32 s7, exec_lo
                                        ; implicit-def: $vgpr1
	v_cmpx_lt_u32_e32 0x3c7fffff, v4
	s_xor_b32 s7, exec_lo, s7
; %bb.1596:
	v_bfe_u32 v1, v4, 20, 1
	s_delay_alu instid0(VALU_DEP_1) | instskip(NEXT) | instid1(VALU_DEP_1)
	v_add3_u32 v1, v4, v1, 0x407ffff
	v_and_b32_e32 v4, 0xff00000, v1
	v_lshrrev_b32_e32 v1, 20, v1
	s_delay_alu instid0(VALU_DEP_2) | instskip(NEXT) | instid1(VALU_DEP_2)
	v_cmp_ne_u32_e32 vcc_lo, 0x7f00000, v4
                                        ; implicit-def: $vgpr4
	v_cndmask_b32_e32 v1, 0x7e, v1, vcc_lo
; %bb.1597:
	s_and_not1_saveexec_b32 s7, s7
; %bb.1598:
	v_add_f32_e32 v1, 0x46800000, v4
; %bb.1599:
	s_or_b32 exec_lo, exec_lo, s7
                                        ; implicit-def: $vgpr4
.LBB78_1600:
	s_and_not1_saveexec_b32 s6, s6
; %bb.1601:
	v_mov_b32_e32 v1, 0x7f
	v_cmp_lt_u32_e32 vcc_lo, 0x7f800000, v4
	s_delay_alu instid0(VALU_DEP_2)
	v_cndmask_b32_e32 v1, 0x7e, v1, vcc_lo
; %bb.1602:
	s_or_b32 exec_lo, exec_lo, s6
	global_store_b8 v[2:3], v1, off
.LBB78_1603:
	s_mov_b32 s6, 0
.LBB78_1604:
	s_delay_alu instid0(SALU_CYCLE_1)
	s_and_not1_b32 vcc_lo, exec_lo, s6
	s_cbranch_vccnz .LBB78_1614
; %bb.1605:
	s_wait_xcnt 0x0
	v_cndmask_b32_e64 v4, 0, 1.0, s0
	s_mov_b32 s6, exec_lo
                                        ; implicit-def: $vgpr1
	s_delay_alu instid0(VALU_DEP_1)
	v_cmpx_gt_u32_e32 0x47800000, v4
	s_xor_b32 s6, exec_lo, s6
	s_cbranch_execz .LBB78_1611
; %bb.1606:
	s_mov_b32 s7, exec_lo
                                        ; implicit-def: $vgpr1
	v_cmpx_lt_u32_e32 0x387fffff, v4
	s_xor_b32 s7, exec_lo, s7
; %bb.1607:
	v_bfe_u32 v1, v4, 21, 1
	s_delay_alu instid0(VALU_DEP_1) | instskip(NEXT) | instid1(VALU_DEP_1)
	v_add3_u32 v1, v4, v1, 0x80fffff
                                        ; implicit-def: $vgpr4
	v_lshrrev_b32_e32 v1, 21, v1
; %bb.1608:
	s_and_not1_saveexec_b32 s7, s7
; %bb.1609:
	v_add_f32_e32 v1, 0x43000000, v4
; %bb.1610:
	s_or_b32 exec_lo, exec_lo, s7
                                        ; implicit-def: $vgpr4
.LBB78_1611:
	s_and_not1_saveexec_b32 s6, s6
; %bb.1612:
	v_mov_b32_e32 v1, 0x7f
	v_cmp_lt_u32_e32 vcc_lo, 0x7f800000, v4
	s_delay_alu instid0(VALU_DEP_2)
	v_cndmask_b32_e32 v1, 0x7c, v1, vcc_lo
; %bb.1613:
	s_or_b32 exec_lo, exec_lo, s6
	global_store_b8 v[2:3], v1, off
.LBB78_1614:
	s_mov_b32 s6, 0
	s_mov_b32 s7, -1
.LBB78_1615:
	s_and_not1_b32 vcc_lo, exec_lo, s6
	s_mov_b32 s6, 0
	s_cbranch_vccnz .LBB78_1622
; %bb.1616:
	s_cmp_gt_i32 s3, 14
	s_mov_b32 s6, -1
	s_cbranch_scc0 .LBB78_1620
; %bb.1617:
	s_cmp_eq_u32 s3, 15
	s_mov_b32 s1, -1
	s_cbranch_scc0 .LBB78_1619
; %bb.1618:
	s_wait_xcnt 0x0
	v_cndmask_b32_e64 v1, 0, 1.0, s0
	s_mov_b32 s1, 0
	s_mov_b32 s7, -1
	s_delay_alu instid0(VALU_DEP_1) | instskip(NEXT) | instid1(VALU_DEP_1)
	v_bfe_u32 v4, v1, 16, 1
	v_add3_u32 v1, v1, v4, 0x7fff
	global_store_d16_hi_b16 v[2:3], v1, off
.LBB78_1619:
	s_mov_b32 s6, 0
.LBB78_1620:
	s_delay_alu instid0(SALU_CYCLE_1)
	s_and_b32 vcc_lo, exec_lo, s6
	s_mov_b32 s6, 0
	s_cbranch_vccz .LBB78_1622
; %bb.1621:
	s_cmp_lg_u32 s3, 11
	s_mov_b32 s6, -1
	s_cselect_b32 s1, -1, 0
.LBB78_1622:
	s_delay_alu instid0(SALU_CYCLE_1)
	s_and_b32 vcc_lo, exec_lo, s1
	s_cbranch_vccnz .LBB78_2030
; %bb.1623:
	s_and_not1_b32 vcc_lo, exec_lo, s6
	s_cbranch_vccnz .LBB78_1625
.LBB78_1624:
	s_wait_xcnt 0x0
	v_cndmask_b32_e64 v1, 0, 1, s0
	s_mov_b32 s7, -1
	global_store_b8 v[2:3], v1, off
.LBB78_1625:
	s_mov_b32 s1, 0
	s_branch .LBB78_1627
.LBB78_1626:
	s_mov_b32 s1, -1
	s_mov_b32 s7, 0
.LBB78_1627:
	s_and_b32 vcc_lo, exec_lo, s1
	s_cbranch_vccz .LBB78_1666
; %bb.1628:
	s_and_b32 s1, 0xffff, s13
	s_mov_b32 s3, -1
	s_cmp_lt_i32 s1, 5
	s_cbranch_scc1 .LBB78_1649
; %bb.1629:
	s_cmp_lt_i32 s1, 8
	s_cbranch_scc1 .LBB78_1639
; %bb.1630:
	s_cmp_lt_i32 s1, 9
	s_cbranch_scc1 .LBB78_1636
; %bb.1631:
	s_cmp_gt_i32 s1, 9
	s_cbranch_scc0 .LBB78_1633
; %bb.1632:
	s_wait_xcnt 0x0
	v_cndmask_b32_e64 v1, 0, 1, s0
	v_mov_b32_e32 v12, 0
	s_mov_b32 s3, 0
	s_delay_alu instid0(VALU_DEP_2) | instskip(NEXT) | instid1(VALU_DEP_2)
	v_cvt_f64_u32_e32 v[10:11], v1
	v_mov_b32_e32 v13, v12
	global_store_b128 v[2:3], v[10:13], off
.LBB78_1633:
	s_and_not1_b32 vcc_lo, exec_lo, s3
	s_cbranch_vccnz .LBB78_1635
; %bb.1634:
	s_wait_xcnt 0x0
	v_cndmask_b32_e64 v4, 0, 1.0, s0
	v_mov_b32_e32 v5, 0
	global_store_b64 v[2:3], v[4:5], off
.LBB78_1635:
	s_mov_b32 s3, 0
.LBB78_1636:
	s_delay_alu instid0(SALU_CYCLE_1)
	s_and_not1_b32 vcc_lo, exec_lo, s3
	s_cbranch_vccnz .LBB78_1638
; %bb.1637:
	s_wait_xcnt 0x0
	v_cndmask_b32_e64 v1, 0, 1.0, s0
	s_delay_alu instid0(VALU_DEP_1) | instskip(NEXT) | instid1(VALU_DEP_1)
	v_cvt_f16_f32_e32 v1, v1
	v_and_b32_e32 v1, 0xffff, v1
	global_store_b32 v[2:3], v1, off
.LBB78_1638:
	s_mov_b32 s3, 0
.LBB78_1639:
	s_delay_alu instid0(SALU_CYCLE_1)
	s_and_not1_b32 vcc_lo, exec_lo, s3
	s_cbranch_vccnz .LBB78_1648
; %bb.1640:
	s_cmp_lt_i32 s1, 6
	s_mov_b32 s3, -1
	s_cbranch_scc1 .LBB78_1646
; %bb.1641:
	s_cmp_gt_i32 s1, 6
	s_cbranch_scc0 .LBB78_1643
; %bb.1642:
	s_wait_xcnt 0x0
	v_cndmask_b32_e64 v1, 0, 1, s0
	s_mov_b32 s3, 0
	s_delay_alu instid0(VALU_DEP_1)
	v_cvt_f64_u32_e32 v[4:5], v1
	global_store_b64 v[2:3], v[4:5], off
.LBB78_1643:
	s_and_not1_b32 vcc_lo, exec_lo, s3
	s_cbranch_vccnz .LBB78_1645
; %bb.1644:
	s_wait_xcnt 0x0
	v_cndmask_b32_e64 v1, 0, 1.0, s0
	global_store_b32 v[2:3], v1, off
.LBB78_1645:
	s_mov_b32 s3, 0
.LBB78_1646:
	s_delay_alu instid0(SALU_CYCLE_1)
	s_and_not1_b32 vcc_lo, exec_lo, s3
	s_cbranch_vccnz .LBB78_1648
; %bb.1647:
	s_wait_xcnt 0x0
	v_cndmask_b32_e64 v1, 0, 1.0, s0
	s_delay_alu instid0(VALU_DEP_1)
	v_cvt_f16_f32_e32 v1, v1
	global_store_b16 v[2:3], v1, off
.LBB78_1648:
	s_mov_b32 s3, 0
.LBB78_1649:
	s_delay_alu instid0(SALU_CYCLE_1)
	s_and_not1_b32 vcc_lo, exec_lo, s3
	s_cbranch_vccnz .LBB78_1665
; %bb.1650:
	s_cmp_lt_i32 s1, 2
	s_mov_b32 s3, -1
	s_cbranch_scc1 .LBB78_1660
; %bb.1651:
	s_cmp_lt_i32 s1, 3
	s_cbranch_scc1 .LBB78_1657
; %bb.1652:
	s_cmp_gt_i32 s1, 3
	s_cbranch_scc0 .LBB78_1654
; %bb.1653:
	s_mov_b32 s3, 0
	s_wait_xcnt 0x0
	v_cndmask_b32_e64 v4, 0, 1, s0
	v_mov_b32_e32 v5, s3
	global_store_b64 v[2:3], v[4:5], off
.LBB78_1654:
	s_and_not1_b32 vcc_lo, exec_lo, s3
	s_cbranch_vccnz .LBB78_1656
; %bb.1655:
	s_wait_xcnt 0x0
	v_cndmask_b32_e64 v1, 0, 1, s0
	global_store_b32 v[2:3], v1, off
.LBB78_1656:
	s_mov_b32 s3, 0
.LBB78_1657:
	s_delay_alu instid0(SALU_CYCLE_1)
	s_and_not1_b32 vcc_lo, exec_lo, s3
	s_cbranch_vccnz .LBB78_1659
; %bb.1658:
	s_wait_xcnt 0x0
	v_cndmask_b32_e64 v1, 0, 1, s0
	global_store_b16 v[2:3], v1, off
.LBB78_1659:
	s_mov_b32 s3, 0
.LBB78_1660:
	s_delay_alu instid0(SALU_CYCLE_1)
	s_and_not1_b32 vcc_lo, exec_lo, s3
	s_cbranch_vccnz .LBB78_1665
; %bb.1661:
	s_wait_xcnt 0x0
	v_cndmask_b32_e64 v1, 0, 1, s0
	s_cmp_gt_i32 s1, 0
	s_mov_b32 s0, -1
	s_cbranch_scc0 .LBB78_1663
; %bb.1662:
	s_mov_b32 s0, 0
	global_store_b8 v[2:3], v1, off
.LBB78_1663:
	s_and_not1_b32 vcc_lo, exec_lo, s0
	s_cbranch_vccnz .LBB78_1665
; %bb.1664:
	global_store_b8 v[2:3], v1, off
.LBB78_1665:
	s_mov_b32 s7, -1
.LBB78_1666:
	s_delay_alu instid0(SALU_CYCLE_1)
	s_and_not1_b32 vcc_lo, exec_lo, s7
	s_cbranch_vccnz .LBB78_1981
; %bb.1667:
	s_lshl_b32 s2, s2, 7
	v_cmp_eq_f32_e64 s0, 0xff800000, v6
	v_add_nc_u32_e32 v0, s2, v0
	s_cmp_lt_i32 s13, 11
	s_wait_xcnt 0x0
	s_delay_alu instid0(VALU_DEP_1) | instskip(NEXT) | instid1(VALU_DEP_1)
	v_ashrrev_i32_e32 v1, 31, v0
	v_add_nc_u64_e32 v[2:3], s[4:5], v[0:1]
	s_cbranch_scc1 .LBB78_1745
; %bb.1668:
	s_and_b32 s3, 0xffff, s13
	s_mov_b32 s8, -1
	s_mov_b32 s6, 0
	s_cmp_gt_i32 s3, 25
	s_mov_b32 s7, 0
	s_mov_b32 s1, 0
	s_cbranch_scc0 .LBB78_1701
; %bb.1669:
	s_cmp_gt_i32 s3, 28
	s_cbranch_scc0 .LBB78_1684
; %bb.1670:
	s_cmp_gt_i32 s3, 43
	;; [unrolled: 3-line block ×3, first 2 shown]
	s_cbranch_scc0 .LBB78_1674
; %bb.1672:
	s_mov_b32 s1, -1
	s_mov_b32 s8, 0
	s_cmp_eq_u32 s3, 46
	s_cbranch_scc0 .LBB78_1674
; %bb.1673:
	v_cndmask_b32_e64 v1, 0, 1.0, s0
	s_mov_b32 s1, 0
	s_mov_b32 s7, -1
	s_delay_alu instid0(VALU_DEP_1) | instskip(NEXT) | instid1(VALU_DEP_1)
	v_bfe_u32 v4, v1, 16, 1
	v_add3_u32 v1, v1, v4, 0x7fff
	s_delay_alu instid0(VALU_DEP_1)
	v_lshrrev_b32_e32 v1, 16, v1
	global_store_b32 v[2:3], v1, off
.LBB78_1674:
	s_and_b32 vcc_lo, exec_lo, s8
	s_cbranch_vccz .LBB78_1679
; %bb.1675:
	s_cmp_eq_u32 s3, 44
	s_mov_b32 s1, -1
	s_cbranch_scc0 .LBB78_1679
; %bb.1676:
	v_cndmask_b32_e64 v5, 0, 1.0, s0
	s_mov_b32 s7, exec_lo
	s_wait_xcnt 0x0
	s_delay_alu instid0(VALU_DEP_1) | instskip(NEXT) | instid1(VALU_DEP_1)
	v_dual_mov_b32 v4, 0xff :: v_dual_lshrrev_b32 v1, 23, v5
	v_cmpx_ne_u32_e32 0xff, v1
; %bb.1677:
	v_and_b32_e32 v4, 0x400000, v5
	v_and_or_b32 v5, 0x3fffff, v5, v1
	s_delay_alu instid0(VALU_DEP_2) | instskip(NEXT) | instid1(VALU_DEP_2)
	v_cmp_ne_u32_e32 vcc_lo, 0, v4
	v_cmp_ne_u32_e64 s1, 0, v5
	s_and_b32 s1, vcc_lo, s1
	s_delay_alu instid0(SALU_CYCLE_1) | instskip(NEXT) | instid1(VALU_DEP_1)
	v_cndmask_b32_e64 v4, 0, 1, s1
	v_add_nc_u32_e32 v4, v1, v4
; %bb.1678:
	s_or_b32 exec_lo, exec_lo, s7
	s_mov_b32 s1, 0
	s_mov_b32 s7, -1
	global_store_b8 v[2:3], v4, off
.LBB78_1679:
	s_mov_b32 s8, 0
.LBB78_1680:
	s_delay_alu instid0(SALU_CYCLE_1)
	s_and_b32 vcc_lo, exec_lo, s8
	s_cbranch_vccz .LBB78_1683
; %bb.1681:
	s_cmp_eq_u32 s3, 29
	s_mov_b32 s1, -1
	s_cbranch_scc0 .LBB78_1683
; %bb.1682:
	s_mov_b32 s1, 0
	s_wait_xcnt 0x0
	v_cndmask_b32_e64 v4, 0, 1, s0
	v_mov_b32_e32 v5, s1
	s_mov_b32 s7, -1
	global_store_b64 v[2:3], v[4:5], off
.LBB78_1683:
	s_mov_b32 s8, 0
.LBB78_1684:
	s_delay_alu instid0(SALU_CYCLE_1)
	s_and_b32 vcc_lo, exec_lo, s8
	s_cbranch_vccz .LBB78_1700
; %bb.1685:
	s_cmp_lt_i32 s3, 27
	s_mov_b32 s7, -1
	s_cbranch_scc1 .LBB78_1691
; %bb.1686:
	s_cmp_gt_i32 s3, 27
	s_cbranch_scc0 .LBB78_1688
; %bb.1687:
	s_wait_xcnt 0x0
	v_cndmask_b32_e64 v1, 0, 1, s0
	s_mov_b32 s7, 0
	global_store_b32 v[2:3], v1, off
.LBB78_1688:
	s_and_not1_b32 vcc_lo, exec_lo, s7
	s_cbranch_vccnz .LBB78_1690
; %bb.1689:
	s_wait_xcnt 0x0
	v_cndmask_b32_e64 v1, 0, 1, s0
	global_store_b16 v[2:3], v1, off
.LBB78_1690:
	s_mov_b32 s7, 0
.LBB78_1691:
	s_delay_alu instid0(SALU_CYCLE_1)
	s_and_not1_b32 vcc_lo, exec_lo, s7
	s_cbranch_vccnz .LBB78_1699
; %bb.1692:
	s_wait_xcnt 0x0
	v_cndmask_b32_e64 v4, 0, 1.0, s0
	v_mov_b32_e32 v5, 0x80
	s_mov_b32 s7, exec_lo
	s_delay_alu instid0(VALU_DEP_2)
	v_cmpx_gt_u32_e32 0x43800000, v4
	s_cbranch_execz .LBB78_1698
; %bb.1693:
	s_mov_b32 s8, 0
	s_mov_b32 s10, exec_lo
                                        ; implicit-def: $vgpr1
	v_cmpx_lt_u32_e32 0x3bffffff, v4
	s_xor_b32 s10, exec_lo, s10
	s_cbranch_execz .LBB78_2033
; %bb.1694:
	v_bfe_u32 v1, v4, 20, 1
	s_mov_b32 s8, exec_lo
	s_delay_alu instid0(VALU_DEP_1) | instskip(NEXT) | instid1(VALU_DEP_1)
	v_add3_u32 v1, v4, v1, 0x487ffff
                                        ; implicit-def: $vgpr4
	v_lshrrev_b32_e32 v1, 20, v1
	s_and_not1_saveexec_b32 s10, s10
	s_cbranch_execnz .LBB78_2034
.LBB78_1695:
	s_or_b32 exec_lo, exec_lo, s10
	v_mov_b32_e32 v5, 0
	s_and_saveexec_b32 s10, s8
.LBB78_1696:
	v_mov_b32_e32 v5, v1
.LBB78_1697:
	s_or_b32 exec_lo, exec_lo, s10
.LBB78_1698:
	s_delay_alu instid0(SALU_CYCLE_1)
	s_or_b32 exec_lo, exec_lo, s7
	global_store_b8 v[2:3], v5, off
.LBB78_1699:
	s_mov_b32 s7, -1
.LBB78_1700:
	s_mov_b32 s8, 0
.LBB78_1701:
	s_delay_alu instid0(SALU_CYCLE_1)
	s_and_b32 vcc_lo, exec_lo, s8
	s_cbranch_vccz .LBB78_1741
; %bb.1702:
	s_cmp_gt_i32 s3, 22
	s_mov_b32 s6, -1
	s_cbranch_scc0 .LBB78_1734
; %bb.1703:
	s_cmp_lt_i32 s3, 24
	s_cbranch_scc1 .LBB78_1723
; %bb.1704:
	s_cmp_gt_i32 s3, 24
	s_cbranch_scc0 .LBB78_1712
; %bb.1705:
	s_wait_xcnt 0x0
	v_cndmask_b32_e64 v4, 0, 1.0, s0
	v_mov_b32_e32 v5, 0x80
	s_mov_b32 s6, exec_lo
	s_delay_alu instid0(VALU_DEP_2)
	v_cmpx_gt_u32_e32 0x47800000, v4
	s_cbranch_execz .LBB78_1711
; %bb.1706:
	s_mov_b32 s7, 0
	s_mov_b32 s8, exec_lo
                                        ; implicit-def: $vgpr1
	v_cmpx_lt_u32_e32 0x37ffffff, v4
	s_xor_b32 s8, exec_lo, s8
	s_cbranch_execz .LBB78_2036
; %bb.1707:
	v_bfe_u32 v1, v4, 21, 1
	s_mov_b32 s7, exec_lo
	s_delay_alu instid0(VALU_DEP_1) | instskip(NEXT) | instid1(VALU_DEP_1)
	v_add3_u32 v1, v4, v1, 0x88fffff
                                        ; implicit-def: $vgpr4
	v_lshrrev_b32_e32 v1, 21, v1
	s_and_not1_saveexec_b32 s8, s8
	s_cbranch_execnz .LBB78_2037
.LBB78_1708:
	s_or_b32 exec_lo, exec_lo, s8
	v_mov_b32_e32 v5, 0
	s_and_saveexec_b32 s8, s7
.LBB78_1709:
	v_mov_b32_e32 v5, v1
.LBB78_1710:
	s_or_b32 exec_lo, exec_lo, s8
.LBB78_1711:
	s_delay_alu instid0(SALU_CYCLE_1)
	s_or_b32 exec_lo, exec_lo, s6
	s_mov_b32 s6, 0
	global_store_b8 v[2:3], v5, off
.LBB78_1712:
	s_and_b32 vcc_lo, exec_lo, s6
	s_cbranch_vccz .LBB78_1722
; %bb.1713:
	s_wait_xcnt 0x0
	v_cndmask_b32_e64 v4, 0, 1.0, s0
	s_mov_b32 s6, exec_lo
                                        ; implicit-def: $vgpr1
	s_delay_alu instid0(VALU_DEP_1)
	v_cmpx_gt_u32_e32 0x43f00000, v4
	s_xor_b32 s6, exec_lo, s6
	s_cbranch_execz .LBB78_1719
; %bb.1714:
	s_mov_b32 s7, exec_lo
                                        ; implicit-def: $vgpr1
	v_cmpx_lt_u32_e32 0x3c7fffff, v4
	s_xor_b32 s7, exec_lo, s7
; %bb.1715:
	v_bfe_u32 v1, v4, 20, 1
	s_delay_alu instid0(VALU_DEP_1) | instskip(NEXT) | instid1(VALU_DEP_1)
	v_add3_u32 v1, v4, v1, 0x407ffff
	v_and_b32_e32 v4, 0xff00000, v1
	v_lshrrev_b32_e32 v1, 20, v1
	s_delay_alu instid0(VALU_DEP_2) | instskip(NEXT) | instid1(VALU_DEP_2)
	v_cmp_ne_u32_e32 vcc_lo, 0x7f00000, v4
                                        ; implicit-def: $vgpr4
	v_cndmask_b32_e32 v1, 0x7e, v1, vcc_lo
; %bb.1716:
	s_and_not1_saveexec_b32 s7, s7
; %bb.1717:
	v_add_f32_e32 v1, 0x46800000, v4
; %bb.1718:
	s_or_b32 exec_lo, exec_lo, s7
                                        ; implicit-def: $vgpr4
.LBB78_1719:
	s_and_not1_saveexec_b32 s6, s6
; %bb.1720:
	v_mov_b32_e32 v1, 0x7f
	v_cmp_lt_u32_e32 vcc_lo, 0x7f800000, v4
	s_delay_alu instid0(VALU_DEP_2)
	v_cndmask_b32_e32 v1, 0x7e, v1, vcc_lo
; %bb.1721:
	s_or_b32 exec_lo, exec_lo, s6
	global_store_b8 v[2:3], v1, off
.LBB78_1722:
	s_mov_b32 s6, 0
.LBB78_1723:
	s_delay_alu instid0(SALU_CYCLE_1)
	s_and_not1_b32 vcc_lo, exec_lo, s6
	s_cbranch_vccnz .LBB78_1733
; %bb.1724:
	s_wait_xcnt 0x0
	v_cndmask_b32_e64 v4, 0, 1.0, s0
	s_mov_b32 s6, exec_lo
                                        ; implicit-def: $vgpr1
	s_delay_alu instid0(VALU_DEP_1)
	v_cmpx_gt_u32_e32 0x47800000, v4
	s_xor_b32 s6, exec_lo, s6
	s_cbranch_execz .LBB78_1730
; %bb.1725:
	s_mov_b32 s7, exec_lo
                                        ; implicit-def: $vgpr1
	v_cmpx_lt_u32_e32 0x387fffff, v4
	s_xor_b32 s7, exec_lo, s7
; %bb.1726:
	v_bfe_u32 v1, v4, 21, 1
	s_delay_alu instid0(VALU_DEP_1) | instskip(NEXT) | instid1(VALU_DEP_1)
	v_add3_u32 v1, v4, v1, 0x80fffff
                                        ; implicit-def: $vgpr4
	v_lshrrev_b32_e32 v1, 21, v1
; %bb.1727:
	s_and_not1_saveexec_b32 s7, s7
; %bb.1728:
	v_add_f32_e32 v1, 0x43000000, v4
; %bb.1729:
	s_or_b32 exec_lo, exec_lo, s7
                                        ; implicit-def: $vgpr4
.LBB78_1730:
	s_and_not1_saveexec_b32 s6, s6
; %bb.1731:
	v_mov_b32_e32 v1, 0x7f
	v_cmp_lt_u32_e32 vcc_lo, 0x7f800000, v4
	s_delay_alu instid0(VALU_DEP_2)
	v_cndmask_b32_e32 v1, 0x7c, v1, vcc_lo
; %bb.1732:
	s_or_b32 exec_lo, exec_lo, s6
	global_store_b8 v[2:3], v1, off
.LBB78_1733:
	s_mov_b32 s6, 0
	s_mov_b32 s7, -1
.LBB78_1734:
	s_and_not1_b32 vcc_lo, exec_lo, s6
	s_mov_b32 s6, 0
	s_cbranch_vccnz .LBB78_1741
; %bb.1735:
	s_cmp_gt_i32 s3, 14
	s_mov_b32 s6, -1
	s_cbranch_scc0 .LBB78_1739
; %bb.1736:
	s_cmp_eq_u32 s3, 15
	s_mov_b32 s1, -1
	s_cbranch_scc0 .LBB78_1738
; %bb.1737:
	s_wait_xcnt 0x0
	v_cndmask_b32_e64 v1, 0, 1.0, s0
	s_mov_b32 s1, 0
	s_mov_b32 s7, -1
	s_delay_alu instid0(VALU_DEP_1) | instskip(NEXT) | instid1(VALU_DEP_1)
	v_bfe_u32 v4, v1, 16, 1
	v_add3_u32 v1, v1, v4, 0x7fff
	global_store_d16_hi_b16 v[2:3], v1, off
.LBB78_1738:
	s_mov_b32 s6, 0
.LBB78_1739:
	s_delay_alu instid0(SALU_CYCLE_1)
	s_and_b32 vcc_lo, exec_lo, s6
	s_mov_b32 s6, 0
	s_cbranch_vccz .LBB78_1741
; %bb.1740:
	s_cmp_lg_u32 s3, 11
	s_mov_b32 s6, -1
	s_cselect_b32 s1, -1, 0
.LBB78_1741:
	s_delay_alu instid0(SALU_CYCLE_1)
	s_and_b32 vcc_lo, exec_lo, s1
	s_cbranch_vccnz .LBB78_2035
; %bb.1742:
	s_and_not1_b32 vcc_lo, exec_lo, s6
	s_cbranch_vccnz .LBB78_1744
.LBB78_1743:
	s_wait_xcnt 0x0
	v_cndmask_b32_e64 v1, 0, 1, s0
	s_mov_b32 s7, -1
	global_store_b8 v[2:3], v1, off
.LBB78_1744:
	s_mov_b32 s1, 0
	s_branch .LBB78_1746
.LBB78_1745:
	s_mov_b32 s1, -1
	s_mov_b32 s7, 0
.LBB78_1746:
	s_and_b32 vcc_lo, exec_lo, s1
	s_cbranch_vccz .LBB78_1785
; %bb.1747:
	s_and_b32 s1, 0xffff, s13
	s_mov_b32 s3, -1
	s_cmp_lt_i32 s1, 5
	s_cbranch_scc1 .LBB78_1768
; %bb.1748:
	s_cmp_lt_i32 s1, 8
	s_cbranch_scc1 .LBB78_1758
; %bb.1749:
	;; [unrolled: 3-line block ×3, first 2 shown]
	s_cmp_gt_i32 s1, 9
	s_cbranch_scc0 .LBB78_1752
; %bb.1751:
	s_wait_xcnt 0x0
	v_cndmask_b32_e64 v1, 0, 1, s0
	v_mov_b32_e32 v12, 0
	s_mov_b32 s3, 0
	s_delay_alu instid0(VALU_DEP_2) | instskip(NEXT) | instid1(VALU_DEP_2)
	v_cvt_f64_u32_e32 v[10:11], v1
	v_mov_b32_e32 v13, v12
	global_store_b128 v[2:3], v[10:13], off
.LBB78_1752:
	s_and_not1_b32 vcc_lo, exec_lo, s3
	s_cbranch_vccnz .LBB78_1754
; %bb.1753:
	s_wait_xcnt 0x0
	v_cndmask_b32_e64 v4, 0, 1.0, s0
	v_mov_b32_e32 v5, 0
	global_store_b64 v[2:3], v[4:5], off
.LBB78_1754:
	s_mov_b32 s3, 0
.LBB78_1755:
	s_delay_alu instid0(SALU_CYCLE_1)
	s_and_not1_b32 vcc_lo, exec_lo, s3
	s_cbranch_vccnz .LBB78_1757
; %bb.1756:
	s_wait_xcnt 0x0
	v_cndmask_b32_e64 v1, 0, 1.0, s0
	s_delay_alu instid0(VALU_DEP_1) | instskip(NEXT) | instid1(VALU_DEP_1)
	v_cvt_f16_f32_e32 v1, v1
	v_and_b32_e32 v1, 0xffff, v1
	global_store_b32 v[2:3], v1, off
.LBB78_1757:
	s_mov_b32 s3, 0
.LBB78_1758:
	s_delay_alu instid0(SALU_CYCLE_1)
	s_and_not1_b32 vcc_lo, exec_lo, s3
	s_cbranch_vccnz .LBB78_1767
; %bb.1759:
	s_cmp_lt_i32 s1, 6
	s_mov_b32 s3, -1
	s_cbranch_scc1 .LBB78_1765
; %bb.1760:
	s_cmp_gt_i32 s1, 6
	s_cbranch_scc0 .LBB78_1762
; %bb.1761:
	s_wait_xcnt 0x0
	v_cndmask_b32_e64 v1, 0, 1, s0
	s_mov_b32 s3, 0
	s_delay_alu instid0(VALU_DEP_1)
	v_cvt_f64_u32_e32 v[4:5], v1
	global_store_b64 v[2:3], v[4:5], off
.LBB78_1762:
	s_and_not1_b32 vcc_lo, exec_lo, s3
	s_cbranch_vccnz .LBB78_1764
; %bb.1763:
	s_wait_xcnt 0x0
	v_cndmask_b32_e64 v1, 0, 1.0, s0
	global_store_b32 v[2:3], v1, off
.LBB78_1764:
	s_mov_b32 s3, 0
.LBB78_1765:
	s_delay_alu instid0(SALU_CYCLE_1)
	s_and_not1_b32 vcc_lo, exec_lo, s3
	s_cbranch_vccnz .LBB78_1767
; %bb.1766:
	s_wait_xcnt 0x0
	v_cndmask_b32_e64 v1, 0, 1.0, s0
	s_delay_alu instid0(VALU_DEP_1)
	v_cvt_f16_f32_e32 v1, v1
	global_store_b16 v[2:3], v1, off
.LBB78_1767:
	s_mov_b32 s3, 0
.LBB78_1768:
	s_delay_alu instid0(SALU_CYCLE_1)
	s_and_not1_b32 vcc_lo, exec_lo, s3
	s_cbranch_vccnz .LBB78_1784
; %bb.1769:
	s_cmp_lt_i32 s1, 2
	s_mov_b32 s3, -1
	s_cbranch_scc1 .LBB78_1779
; %bb.1770:
	s_cmp_lt_i32 s1, 3
	s_cbranch_scc1 .LBB78_1776
; %bb.1771:
	s_cmp_gt_i32 s1, 3
	s_cbranch_scc0 .LBB78_1773
; %bb.1772:
	s_mov_b32 s3, 0
	s_wait_xcnt 0x0
	v_cndmask_b32_e64 v4, 0, 1, s0
	v_mov_b32_e32 v5, s3
	global_store_b64 v[2:3], v[4:5], off
.LBB78_1773:
	s_and_not1_b32 vcc_lo, exec_lo, s3
	s_cbranch_vccnz .LBB78_1775
; %bb.1774:
	s_wait_xcnt 0x0
	v_cndmask_b32_e64 v1, 0, 1, s0
	global_store_b32 v[2:3], v1, off
.LBB78_1775:
	s_mov_b32 s3, 0
.LBB78_1776:
	s_delay_alu instid0(SALU_CYCLE_1)
	s_and_not1_b32 vcc_lo, exec_lo, s3
	s_cbranch_vccnz .LBB78_1778
; %bb.1777:
	s_wait_xcnt 0x0
	v_cndmask_b32_e64 v1, 0, 1, s0
	global_store_b16 v[2:3], v1, off
.LBB78_1778:
	s_mov_b32 s3, 0
.LBB78_1779:
	s_delay_alu instid0(SALU_CYCLE_1)
	s_and_not1_b32 vcc_lo, exec_lo, s3
	s_cbranch_vccnz .LBB78_1784
; %bb.1780:
	s_wait_xcnt 0x0
	v_cndmask_b32_e64 v1, 0, 1, s0
	s_cmp_gt_i32 s1, 0
	s_mov_b32 s0, -1
	s_cbranch_scc0 .LBB78_1782
; %bb.1781:
	s_mov_b32 s0, 0
	global_store_b8 v[2:3], v1, off
.LBB78_1782:
	s_and_not1_b32 vcc_lo, exec_lo, s0
	s_cbranch_vccnz .LBB78_1784
; %bb.1783:
	global_store_b8 v[2:3], v1, off
.LBB78_1784:
	s_mov_b32 s7, -1
.LBB78_1785:
	s_delay_alu instid0(SALU_CYCLE_1)
	s_and_not1_b32 vcc_lo, exec_lo, s7
	s_cbranch_vccnz .LBB78_1981
; %bb.1786:
	v_add_nc_u32_e32 v0, s2, v0
	v_cmp_eq_f32_e64 s0, 0xff800000, v7
	s_cmp_lt_i32 s13, 11
	s_wait_xcnt 0x0
	v_ashrrev_i32_e32 v1, 31, v0
	s_delay_alu instid0(VALU_DEP_1)
	v_add_nc_u64_e32 v[2:3], s[4:5], v[0:1]
	s_cbranch_scc1 .LBB78_1864
; %bb.1787:
	s_and_b32 s3, 0xffff, s13
	s_mov_b32 s8, -1
	s_mov_b32 s6, 0
	s_cmp_gt_i32 s3, 25
	s_mov_b32 s7, 0
	s_mov_b32 s1, 0
	s_cbranch_scc0 .LBB78_1820
; %bb.1788:
	s_cmp_gt_i32 s3, 28
	s_cbranch_scc0 .LBB78_1803
; %bb.1789:
	s_cmp_gt_i32 s3, 43
	s_cbranch_scc0 .LBB78_1799
; %bb.1790:
	s_cmp_gt_i32 s3, 45
	s_cbranch_scc0 .LBB78_1793
; %bb.1791:
	s_mov_b32 s1, -1
	s_mov_b32 s8, 0
	s_cmp_eq_u32 s3, 46
	s_cbranch_scc0 .LBB78_1793
; %bb.1792:
	v_cndmask_b32_e64 v1, 0, 1.0, s0
	s_mov_b32 s1, 0
	s_mov_b32 s7, -1
	s_delay_alu instid0(VALU_DEP_1) | instskip(NEXT) | instid1(VALU_DEP_1)
	v_bfe_u32 v4, v1, 16, 1
	v_add3_u32 v1, v1, v4, 0x7fff
	s_delay_alu instid0(VALU_DEP_1)
	v_lshrrev_b32_e32 v1, 16, v1
	global_store_b32 v[2:3], v1, off
.LBB78_1793:
	s_and_b32 vcc_lo, exec_lo, s8
	s_cbranch_vccz .LBB78_1798
; %bb.1794:
	s_cmp_eq_u32 s3, 44
	s_mov_b32 s1, -1
	s_cbranch_scc0 .LBB78_1798
; %bb.1795:
	v_cndmask_b32_e64 v5, 0, 1.0, s0
	s_mov_b32 s7, exec_lo
	s_wait_xcnt 0x0
	s_delay_alu instid0(VALU_DEP_1) | instskip(NEXT) | instid1(VALU_DEP_1)
	v_dual_mov_b32 v4, 0xff :: v_dual_lshrrev_b32 v1, 23, v5
	v_cmpx_ne_u32_e32 0xff, v1
; %bb.1796:
	v_and_b32_e32 v4, 0x400000, v5
	v_and_or_b32 v5, 0x3fffff, v5, v1
	s_delay_alu instid0(VALU_DEP_2) | instskip(NEXT) | instid1(VALU_DEP_2)
	v_cmp_ne_u32_e32 vcc_lo, 0, v4
	v_cmp_ne_u32_e64 s1, 0, v5
	s_and_b32 s1, vcc_lo, s1
	s_delay_alu instid0(SALU_CYCLE_1) | instskip(NEXT) | instid1(VALU_DEP_1)
	v_cndmask_b32_e64 v4, 0, 1, s1
	v_add_nc_u32_e32 v4, v1, v4
; %bb.1797:
	s_or_b32 exec_lo, exec_lo, s7
	s_mov_b32 s1, 0
	s_mov_b32 s7, -1
	global_store_b8 v[2:3], v4, off
.LBB78_1798:
	s_mov_b32 s8, 0
.LBB78_1799:
	s_delay_alu instid0(SALU_CYCLE_1)
	s_and_b32 vcc_lo, exec_lo, s8
	s_cbranch_vccz .LBB78_1802
; %bb.1800:
	s_cmp_eq_u32 s3, 29
	s_mov_b32 s1, -1
	s_cbranch_scc0 .LBB78_1802
; %bb.1801:
	s_mov_b32 s1, 0
	s_wait_xcnt 0x0
	v_cndmask_b32_e64 v4, 0, 1, s0
	v_mov_b32_e32 v5, s1
	s_mov_b32 s7, -1
	global_store_b64 v[2:3], v[4:5], off
.LBB78_1802:
	s_mov_b32 s8, 0
.LBB78_1803:
	s_delay_alu instid0(SALU_CYCLE_1)
	s_and_b32 vcc_lo, exec_lo, s8
	s_cbranch_vccz .LBB78_1819
; %bb.1804:
	s_cmp_lt_i32 s3, 27
	s_mov_b32 s7, -1
	s_cbranch_scc1 .LBB78_1810
; %bb.1805:
	s_cmp_gt_i32 s3, 27
	s_cbranch_scc0 .LBB78_1807
; %bb.1806:
	s_wait_xcnt 0x0
	v_cndmask_b32_e64 v1, 0, 1, s0
	s_mov_b32 s7, 0
	global_store_b32 v[2:3], v1, off
.LBB78_1807:
	s_and_not1_b32 vcc_lo, exec_lo, s7
	s_cbranch_vccnz .LBB78_1809
; %bb.1808:
	s_wait_xcnt 0x0
	v_cndmask_b32_e64 v1, 0, 1, s0
	global_store_b16 v[2:3], v1, off
.LBB78_1809:
	s_mov_b32 s7, 0
.LBB78_1810:
	s_delay_alu instid0(SALU_CYCLE_1)
	s_and_not1_b32 vcc_lo, exec_lo, s7
	s_cbranch_vccnz .LBB78_1818
; %bb.1811:
	s_wait_xcnt 0x0
	v_cndmask_b32_e64 v4, 0, 1.0, s0
	v_mov_b32_e32 v5, 0x80
	s_mov_b32 s7, exec_lo
	s_delay_alu instid0(VALU_DEP_2)
	v_cmpx_gt_u32_e32 0x43800000, v4
	s_cbranch_execz .LBB78_1817
; %bb.1812:
	s_mov_b32 s8, 0
	s_mov_b32 s10, exec_lo
                                        ; implicit-def: $vgpr1
	v_cmpx_lt_u32_e32 0x3bffffff, v4
	s_xor_b32 s10, exec_lo, s10
	s_cbranch_execz .LBB78_2038
; %bb.1813:
	v_bfe_u32 v1, v4, 20, 1
	s_mov_b32 s8, exec_lo
	s_delay_alu instid0(VALU_DEP_1) | instskip(NEXT) | instid1(VALU_DEP_1)
	v_add3_u32 v1, v4, v1, 0x487ffff
                                        ; implicit-def: $vgpr4
	v_lshrrev_b32_e32 v1, 20, v1
	s_and_not1_saveexec_b32 s10, s10
	s_cbranch_execnz .LBB78_2039
.LBB78_1814:
	s_or_b32 exec_lo, exec_lo, s10
	v_mov_b32_e32 v5, 0
	s_and_saveexec_b32 s10, s8
.LBB78_1815:
	v_mov_b32_e32 v5, v1
.LBB78_1816:
	s_or_b32 exec_lo, exec_lo, s10
.LBB78_1817:
	s_delay_alu instid0(SALU_CYCLE_1)
	s_or_b32 exec_lo, exec_lo, s7
	global_store_b8 v[2:3], v5, off
.LBB78_1818:
	s_mov_b32 s7, -1
.LBB78_1819:
	s_mov_b32 s8, 0
.LBB78_1820:
	s_delay_alu instid0(SALU_CYCLE_1)
	s_and_b32 vcc_lo, exec_lo, s8
	s_cbranch_vccz .LBB78_1860
; %bb.1821:
	s_cmp_gt_i32 s3, 22
	s_mov_b32 s6, -1
	s_cbranch_scc0 .LBB78_1853
; %bb.1822:
	s_cmp_lt_i32 s3, 24
	s_cbranch_scc1 .LBB78_1842
; %bb.1823:
	s_cmp_gt_i32 s3, 24
	s_cbranch_scc0 .LBB78_1831
; %bb.1824:
	s_wait_xcnt 0x0
	v_cndmask_b32_e64 v4, 0, 1.0, s0
	v_mov_b32_e32 v5, 0x80
	s_mov_b32 s6, exec_lo
	s_delay_alu instid0(VALU_DEP_2)
	v_cmpx_gt_u32_e32 0x47800000, v4
	s_cbranch_execz .LBB78_1830
; %bb.1825:
	s_mov_b32 s7, 0
	s_mov_b32 s8, exec_lo
                                        ; implicit-def: $vgpr1
	v_cmpx_lt_u32_e32 0x37ffffff, v4
	s_xor_b32 s8, exec_lo, s8
	s_cbranch_execz .LBB78_2041
; %bb.1826:
	v_bfe_u32 v1, v4, 21, 1
	s_mov_b32 s7, exec_lo
	s_delay_alu instid0(VALU_DEP_1) | instskip(NEXT) | instid1(VALU_DEP_1)
	v_add3_u32 v1, v4, v1, 0x88fffff
                                        ; implicit-def: $vgpr4
	v_lshrrev_b32_e32 v1, 21, v1
	s_and_not1_saveexec_b32 s8, s8
	s_cbranch_execnz .LBB78_2042
.LBB78_1827:
	s_or_b32 exec_lo, exec_lo, s8
	v_mov_b32_e32 v5, 0
	s_and_saveexec_b32 s8, s7
.LBB78_1828:
	v_mov_b32_e32 v5, v1
.LBB78_1829:
	s_or_b32 exec_lo, exec_lo, s8
.LBB78_1830:
	s_delay_alu instid0(SALU_CYCLE_1)
	s_or_b32 exec_lo, exec_lo, s6
	s_mov_b32 s6, 0
	global_store_b8 v[2:3], v5, off
.LBB78_1831:
	s_and_b32 vcc_lo, exec_lo, s6
	s_cbranch_vccz .LBB78_1841
; %bb.1832:
	s_wait_xcnt 0x0
	v_cndmask_b32_e64 v4, 0, 1.0, s0
	s_mov_b32 s6, exec_lo
                                        ; implicit-def: $vgpr1
	s_delay_alu instid0(VALU_DEP_1)
	v_cmpx_gt_u32_e32 0x43f00000, v4
	s_xor_b32 s6, exec_lo, s6
	s_cbranch_execz .LBB78_1838
; %bb.1833:
	s_mov_b32 s7, exec_lo
                                        ; implicit-def: $vgpr1
	v_cmpx_lt_u32_e32 0x3c7fffff, v4
	s_xor_b32 s7, exec_lo, s7
; %bb.1834:
	v_bfe_u32 v1, v4, 20, 1
	s_delay_alu instid0(VALU_DEP_1) | instskip(NEXT) | instid1(VALU_DEP_1)
	v_add3_u32 v1, v4, v1, 0x407ffff
	v_and_b32_e32 v4, 0xff00000, v1
	v_lshrrev_b32_e32 v1, 20, v1
	s_delay_alu instid0(VALU_DEP_2) | instskip(NEXT) | instid1(VALU_DEP_2)
	v_cmp_ne_u32_e32 vcc_lo, 0x7f00000, v4
                                        ; implicit-def: $vgpr4
	v_cndmask_b32_e32 v1, 0x7e, v1, vcc_lo
; %bb.1835:
	s_and_not1_saveexec_b32 s7, s7
; %bb.1836:
	v_add_f32_e32 v1, 0x46800000, v4
; %bb.1837:
	s_or_b32 exec_lo, exec_lo, s7
                                        ; implicit-def: $vgpr4
.LBB78_1838:
	s_and_not1_saveexec_b32 s6, s6
; %bb.1839:
	v_mov_b32_e32 v1, 0x7f
	v_cmp_lt_u32_e32 vcc_lo, 0x7f800000, v4
	s_delay_alu instid0(VALU_DEP_2)
	v_cndmask_b32_e32 v1, 0x7e, v1, vcc_lo
; %bb.1840:
	s_or_b32 exec_lo, exec_lo, s6
	global_store_b8 v[2:3], v1, off
.LBB78_1841:
	s_mov_b32 s6, 0
.LBB78_1842:
	s_delay_alu instid0(SALU_CYCLE_1)
	s_and_not1_b32 vcc_lo, exec_lo, s6
	s_cbranch_vccnz .LBB78_1852
; %bb.1843:
	s_wait_xcnt 0x0
	v_cndmask_b32_e64 v4, 0, 1.0, s0
	s_mov_b32 s6, exec_lo
                                        ; implicit-def: $vgpr1
	s_delay_alu instid0(VALU_DEP_1)
	v_cmpx_gt_u32_e32 0x47800000, v4
	s_xor_b32 s6, exec_lo, s6
	s_cbranch_execz .LBB78_1849
; %bb.1844:
	s_mov_b32 s7, exec_lo
                                        ; implicit-def: $vgpr1
	v_cmpx_lt_u32_e32 0x387fffff, v4
	s_xor_b32 s7, exec_lo, s7
; %bb.1845:
	v_bfe_u32 v1, v4, 21, 1
	s_delay_alu instid0(VALU_DEP_1) | instskip(NEXT) | instid1(VALU_DEP_1)
	v_add3_u32 v1, v4, v1, 0x80fffff
                                        ; implicit-def: $vgpr4
	v_lshrrev_b32_e32 v1, 21, v1
; %bb.1846:
	s_and_not1_saveexec_b32 s7, s7
; %bb.1847:
	v_add_f32_e32 v1, 0x43000000, v4
; %bb.1848:
	s_or_b32 exec_lo, exec_lo, s7
                                        ; implicit-def: $vgpr4
.LBB78_1849:
	s_and_not1_saveexec_b32 s6, s6
; %bb.1850:
	v_mov_b32_e32 v1, 0x7f
	v_cmp_lt_u32_e32 vcc_lo, 0x7f800000, v4
	s_delay_alu instid0(VALU_DEP_2)
	v_cndmask_b32_e32 v1, 0x7c, v1, vcc_lo
; %bb.1851:
	s_or_b32 exec_lo, exec_lo, s6
	global_store_b8 v[2:3], v1, off
.LBB78_1852:
	s_mov_b32 s6, 0
	s_mov_b32 s7, -1
.LBB78_1853:
	s_and_not1_b32 vcc_lo, exec_lo, s6
	s_mov_b32 s6, 0
	s_cbranch_vccnz .LBB78_1860
; %bb.1854:
	s_cmp_gt_i32 s3, 14
	s_mov_b32 s6, -1
	s_cbranch_scc0 .LBB78_1858
; %bb.1855:
	s_cmp_eq_u32 s3, 15
	s_mov_b32 s1, -1
	s_cbranch_scc0 .LBB78_1857
; %bb.1856:
	s_wait_xcnt 0x0
	v_cndmask_b32_e64 v1, 0, 1.0, s0
	s_mov_b32 s1, 0
	s_mov_b32 s7, -1
	s_delay_alu instid0(VALU_DEP_1) | instskip(NEXT) | instid1(VALU_DEP_1)
	v_bfe_u32 v4, v1, 16, 1
	v_add3_u32 v1, v1, v4, 0x7fff
	global_store_d16_hi_b16 v[2:3], v1, off
.LBB78_1857:
	s_mov_b32 s6, 0
.LBB78_1858:
	s_delay_alu instid0(SALU_CYCLE_1)
	s_and_b32 vcc_lo, exec_lo, s6
	s_mov_b32 s6, 0
	s_cbranch_vccz .LBB78_1860
; %bb.1859:
	s_cmp_lg_u32 s3, 11
	s_mov_b32 s6, -1
	s_cselect_b32 s1, -1, 0
.LBB78_1860:
	s_delay_alu instid0(SALU_CYCLE_1)
	s_and_b32 vcc_lo, exec_lo, s1
	s_cbranch_vccnz .LBB78_2040
; %bb.1861:
	s_and_not1_b32 vcc_lo, exec_lo, s6
	s_cbranch_vccnz .LBB78_1863
.LBB78_1862:
	s_wait_xcnt 0x0
	v_cndmask_b32_e64 v1, 0, 1, s0
	s_mov_b32 s7, -1
	global_store_b8 v[2:3], v1, off
.LBB78_1863:
	s_mov_b32 s1, 0
	s_branch .LBB78_1865
.LBB78_1864:
	s_mov_b32 s1, -1
	s_mov_b32 s7, 0
.LBB78_1865:
	s_and_b32 vcc_lo, exec_lo, s1
	s_cbranch_vccz .LBB78_1904
; %bb.1866:
	s_and_b32 s1, 0xffff, s13
	s_mov_b32 s3, -1
	s_cmp_lt_i32 s1, 5
	s_cbranch_scc1 .LBB78_1887
; %bb.1867:
	s_cmp_lt_i32 s1, 8
	s_cbranch_scc1 .LBB78_1877
; %bb.1868:
	;; [unrolled: 3-line block ×3, first 2 shown]
	s_cmp_gt_i32 s1, 9
	s_cbranch_scc0 .LBB78_1871
; %bb.1870:
	s_wait_xcnt 0x0
	v_cndmask_b32_e64 v1, 0, 1, s0
	v_mov_b32_e32 v6, 0
	s_mov_b32 s3, 0
	s_delay_alu instid0(VALU_DEP_2) | instskip(NEXT) | instid1(VALU_DEP_2)
	v_cvt_f64_u32_e32 v[4:5], v1
	v_mov_b32_e32 v7, v6
	global_store_b128 v[2:3], v[4:7], off
.LBB78_1871:
	s_and_not1_b32 vcc_lo, exec_lo, s3
	s_cbranch_vccnz .LBB78_1873
; %bb.1872:
	s_wait_xcnt 0x0
	v_cndmask_b32_e64 v4, 0, 1.0, s0
	v_mov_b32_e32 v5, 0
	global_store_b64 v[2:3], v[4:5], off
.LBB78_1873:
	s_mov_b32 s3, 0
.LBB78_1874:
	s_delay_alu instid0(SALU_CYCLE_1)
	s_and_not1_b32 vcc_lo, exec_lo, s3
	s_cbranch_vccnz .LBB78_1876
; %bb.1875:
	s_wait_xcnt 0x0
	v_cndmask_b32_e64 v1, 0, 1.0, s0
	s_delay_alu instid0(VALU_DEP_1) | instskip(NEXT) | instid1(VALU_DEP_1)
	v_cvt_f16_f32_e32 v1, v1
	v_and_b32_e32 v1, 0xffff, v1
	global_store_b32 v[2:3], v1, off
.LBB78_1876:
	s_mov_b32 s3, 0
.LBB78_1877:
	s_delay_alu instid0(SALU_CYCLE_1)
	s_and_not1_b32 vcc_lo, exec_lo, s3
	s_cbranch_vccnz .LBB78_1886
; %bb.1878:
	s_cmp_lt_i32 s1, 6
	s_mov_b32 s3, -1
	s_cbranch_scc1 .LBB78_1884
; %bb.1879:
	s_cmp_gt_i32 s1, 6
	s_cbranch_scc0 .LBB78_1881
; %bb.1880:
	s_wait_xcnt 0x0
	v_cndmask_b32_e64 v1, 0, 1, s0
	s_mov_b32 s3, 0
	s_delay_alu instid0(VALU_DEP_1)
	v_cvt_f64_u32_e32 v[4:5], v1
	global_store_b64 v[2:3], v[4:5], off
.LBB78_1881:
	s_and_not1_b32 vcc_lo, exec_lo, s3
	s_cbranch_vccnz .LBB78_1883
; %bb.1882:
	s_wait_xcnt 0x0
	v_cndmask_b32_e64 v1, 0, 1.0, s0
	global_store_b32 v[2:3], v1, off
.LBB78_1883:
	s_mov_b32 s3, 0
.LBB78_1884:
	s_delay_alu instid0(SALU_CYCLE_1)
	s_and_not1_b32 vcc_lo, exec_lo, s3
	s_cbranch_vccnz .LBB78_1886
; %bb.1885:
	s_wait_xcnt 0x0
	v_cndmask_b32_e64 v1, 0, 1.0, s0
	s_delay_alu instid0(VALU_DEP_1)
	v_cvt_f16_f32_e32 v1, v1
	global_store_b16 v[2:3], v1, off
.LBB78_1886:
	s_mov_b32 s3, 0
.LBB78_1887:
	s_delay_alu instid0(SALU_CYCLE_1)
	s_and_not1_b32 vcc_lo, exec_lo, s3
	s_cbranch_vccnz .LBB78_1903
; %bb.1888:
	s_cmp_lt_i32 s1, 2
	s_mov_b32 s3, -1
	s_cbranch_scc1 .LBB78_1898
; %bb.1889:
	s_cmp_lt_i32 s1, 3
	s_cbranch_scc1 .LBB78_1895
; %bb.1890:
	s_cmp_gt_i32 s1, 3
	s_cbranch_scc0 .LBB78_1892
; %bb.1891:
	s_mov_b32 s3, 0
	s_wait_xcnt 0x0
	v_cndmask_b32_e64 v4, 0, 1, s0
	v_mov_b32_e32 v5, s3
	global_store_b64 v[2:3], v[4:5], off
.LBB78_1892:
	s_and_not1_b32 vcc_lo, exec_lo, s3
	s_cbranch_vccnz .LBB78_1894
; %bb.1893:
	s_wait_xcnt 0x0
	v_cndmask_b32_e64 v1, 0, 1, s0
	global_store_b32 v[2:3], v1, off
.LBB78_1894:
	s_mov_b32 s3, 0
.LBB78_1895:
	s_delay_alu instid0(SALU_CYCLE_1)
	s_and_not1_b32 vcc_lo, exec_lo, s3
	s_cbranch_vccnz .LBB78_1897
; %bb.1896:
	s_wait_xcnt 0x0
	v_cndmask_b32_e64 v1, 0, 1, s0
	global_store_b16 v[2:3], v1, off
.LBB78_1897:
	s_mov_b32 s3, 0
.LBB78_1898:
	s_delay_alu instid0(SALU_CYCLE_1)
	s_and_not1_b32 vcc_lo, exec_lo, s3
	s_cbranch_vccnz .LBB78_1903
; %bb.1899:
	s_wait_xcnt 0x0
	v_cndmask_b32_e64 v1, 0, 1, s0
	s_cmp_gt_i32 s1, 0
	s_mov_b32 s0, -1
	s_cbranch_scc0 .LBB78_1901
; %bb.1900:
	s_mov_b32 s0, 0
	global_store_b8 v[2:3], v1, off
.LBB78_1901:
	s_and_not1_b32 vcc_lo, exec_lo, s0
	s_cbranch_vccnz .LBB78_1903
; %bb.1902:
	global_store_b8 v[2:3], v1, off
.LBB78_1903:
	s_mov_b32 s7, -1
.LBB78_1904:
	s_delay_alu instid0(SALU_CYCLE_1)
	s_and_not1_b32 vcc_lo, exec_lo, s7
	s_cbranch_vccnz .LBB78_1981
; %bb.1905:
	v_add_nc_u32_e32 v0, s2, v0
	v_cmp_eq_f32_e64 s1, 0xff800000, v8
	s_cmp_lt_i32 s13, 11
	s_wait_xcnt 0x0
	v_ashrrev_i32_e32 v1, 31, v0
	s_delay_alu instid0(VALU_DEP_1)
	v_add_nc_u64_e32 v[0:1], s[4:5], v[0:1]
	s_cbranch_scc1 .LBB78_2026
; %bb.1906:
	s_and_b32 s2, 0xffff, s13
	s_mov_b32 s4, -1
	s_mov_b32 s3, 0
	s_cmp_gt_i32 s2, 25
	s_mov_b32 s0, 0
	s_cbranch_scc0 .LBB78_1939
; %bb.1907:
	s_cmp_gt_i32 s2, 28
	s_cbranch_scc0 .LBB78_1923
; %bb.1908:
	s_cmp_gt_i32 s2, 43
	;; [unrolled: 3-line block ×3, first 2 shown]
	s_cbranch_scc0 .LBB78_1913
; %bb.1910:
	s_cmp_eq_u32 s2, 46
	s_mov_b32 s0, -1
	s_cbranch_scc0 .LBB78_1912
; %bb.1911:
	v_cndmask_b32_e64 v2, 0, 1.0, s1
	s_mov_b32 s0, 0
	s_delay_alu instid0(VALU_DEP_1) | instskip(NEXT) | instid1(VALU_DEP_1)
	v_bfe_u32 v3, v2, 16, 1
	v_add3_u32 v2, v2, v3, 0x7fff
	s_delay_alu instid0(VALU_DEP_1)
	v_lshrrev_b32_e32 v2, 16, v2
	global_store_b32 v[0:1], v2, off
.LBB78_1912:
	s_mov_b32 s4, 0
.LBB78_1913:
	s_delay_alu instid0(SALU_CYCLE_1)
	s_and_b32 vcc_lo, exec_lo, s4
	s_cbranch_vccz .LBB78_1918
; %bb.1914:
	s_cmp_eq_u32 s2, 44
	s_mov_b32 s0, -1
	s_cbranch_scc0 .LBB78_1918
; %bb.1915:
	v_cndmask_b32_e64 v4, 0, 1.0, s1
	s_mov_b32 s4, exec_lo
	s_wait_xcnt 0x0
	s_delay_alu instid0(VALU_DEP_1) | instskip(NEXT) | instid1(VALU_DEP_1)
	v_dual_mov_b32 v3, 0xff :: v_dual_lshrrev_b32 v2, 23, v4
	v_cmpx_ne_u32_e32 0xff, v2
; %bb.1916:
	v_and_b32_e32 v3, 0x400000, v4
	v_and_or_b32 v4, 0x3fffff, v4, v2
	s_delay_alu instid0(VALU_DEP_2) | instskip(NEXT) | instid1(VALU_DEP_2)
	v_cmp_ne_u32_e32 vcc_lo, 0, v3
	v_cmp_ne_u32_e64 s0, 0, v4
	s_and_b32 s0, vcc_lo, s0
	s_delay_alu instid0(SALU_CYCLE_1) | instskip(NEXT) | instid1(VALU_DEP_1)
	v_cndmask_b32_e64 v3, 0, 1, s0
	v_add_nc_u32_e32 v3, v2, v3
; %bb.1917:
	s_or_b32 exec_lo, exec_lo, s4
	s_mov_b32 s0, 0
	global_store_b8 v[0:1], v3, off
.LBB78_1918:
	s_mov_b32 s4, 0
.LBB78_1919:
	s_delay_alu instid0(SALU_CYCLE_1)
	s_and_b32 vcc_lo, exec_lo, s4
	s_cbranch_vccz .LBB78_1922
; %bb.1920:
	s_cmp_eq_u32 s2, 29
	s_mov_b32 s0, -1
	s_cbranch_scc0 .LBB78_1922
; %bb.1921:
	s_mov_b32 s0, 0
	s_wait_xcnt 0x0
	v_cndmask_b32_e64 v2, 0, 1, s1
	v_mov_b32_e32 v3, s0
	global_store_b64 v[0:1], v[2:3], off
.LBB78_1922:
	s_mov_b32 s4, 0
.LBB78_1923:
	s_delay_alu instid0(SALU_CYCLE_1)
	s_and_b32 vcc_lo, exec_lo, s4
	s_cbranch_vccz .LBB78_1938
; %bb.1924:
	s_cmp_lt_i32 s2, 27
	s_mov_b32 s4, -1
	s_cbranch_scc1 .LBB78_1930
; %bb.1925:
	s_wait_xcnt 0x0
	v_cndmask_b32_e64 v2, 0, 1, s1
	s_cmp_gt_i32 s2, 27
	s_cbranch_scc0 .LBB78_1927
; %bb.1926:
	s_mov_b32 s4, 0
	global_store_b32 v[0:1], v2, off
.LBB78_1927:
	s_and_not1_b32 vcc_lo, exec_lo, s4
	s_cbranch_vccnz .LBB78_1929
; %bb.1928:
	global_store_b16 v[0:1], v2, off
.LBB78_1929:
	s_mov_b32 s4, 0
.LBB78_1930:
	s_delay_alu instid0(SALU_CYCLE_1)
	s_and_not1_b32 vcc_lo, exec_lo, s4
	s_cbranch_vccnz .LBB78_1938
; %bb.1931:
	s_wait_xcnt 0x0
	v_cndmask_b32_e64 v3, 0, 1.0, s1
	v_mov_b32_e32 v4, 0x80
	s_mov_b32 s4, exec_lo
	s_delay_alu instid0(VALU_DEP_2)
	v_cmpx_gt_u32_e32 0x43800000, v3
	s_cbranch_execz .LBB78_1937
; %bb.1932:
	s_mov_b32 s5, 0
	s_mov_b32 s6, exec_lo
                                        ; implicit-def: $vgpr2
	v_cmpx_lt_u32_e32 0x3bffffff, v3
	s_xor_b32 s6, exec_lo, s6
	s_cbranch_execz .LBB78_2043
; %bb.1933:
	v_bfe_u32 v2, v3, 20, 1
	s_mov_b32 s5, exec_lo
	s_delay_alu instid0(VALU_DEP_1) | instskip(NEXT) | instid1(VALU_DEP_1)
	v_add3_u32 v2, v3, v2, 0x487ffff
                                        ; implicit-def: $vgpr3
	v_lshrrev_b32_e32 v2, 20, v2
	s_and_not1_saveexec_b32 s6, s6
	s_cbranch_execnz .LBB78_2044
.LBB78_1934:
	s_or_b32 exec_lo, exec_lo, s6
	v_mov_b32_e32 v4, 0
	s_and_saveexec_b32 s6, s5
.LBB78_1935:
	v_mov_b32_e32 v4, v2
.LBB78_1936:
	s_or_b32 exec_lo, exec_lo, s6
.LBB78_1937:
	s_delay_alu instid0(SALU_CYCLE_1)
	s_or_b32 exec_lo, exec_lo, s4
	global_store_b8 v[0:1], v4, off
.LBB78_1938:
	s_mov_b32 s4, 0
.LBB78_1939:
	s_delay_alu instid0(SALU_CYCLE_1)
	s_and_b32 vcc_lo, exec_lo, s4
	s_cbranch_vccz .LBB78_1979
; %bb.1940:
	s_cmp_gt_i32 s2, 22
	s_mov_b32 s3, -1
	s_cbranch_scc0 .LBB78_1972
; %bb.1941:
	s_cmp_lt_i32 s2, 24
	s_cbranch_scc1 .LBB78_1961
; %bb.1942:
	s_cmp_gt_i32 s2, 24
	s_cbranch_scc0 .LBB78_1950
; %bb.1943:
	s_wait_xcnt 0x0
	v_cndmask_b32_e64 v3, 0, 1.0, s1
	v_mov_b32_e32 v4, 0x80
	s_mov_b32 s3, exec_lo
	s_delay_alu instid0(VALU_DEP_2)
	v_cmpx_gt_u32_e32 0x47800000, v3
	s_cbranch_execz .LBB78_1949
; %bb.1944:
	s_mov_b32 s4, 0
	s_mov_b32 s5, exec_lo
                                        ; implicit-def: $vgpr2
	v_cmpx_lt_u32_e32 0x37ffffff, v3
	s_xor_b32 s5, exec_lo, s5
	s_cbranch_execz .LBB78_2046
; %bb.1945:
	v_bfe_u32 v2, v3, 21, 1
	s_mov_b32 s4, exec_lo
	s_delay_alu instid0(VALU_DEP_1) | instskip(NEXT) | instid1(VALU_DEP_1)
	v_add3_u32 v2, v3, v2, 0x88fffff
                                        ; implicit-def: $vgpr3
	v_lshrrev_b32_e32 v2, 21, v2
	s_and_not1_saveexec_b32 s5, s5
	s_cbranch_execnz .LBB78_2047
.LBB78_1946:
	s_or_b32 exec_lo, exec_lo, s5
	v_mov_b32_e32 v4, 0
	s_and_saveexec_b32 s5, s4
.LBB78_1947:
	v_mov_b32_e32 v4, v2
.LBB78_1948:
	s_or_b32 exec_lo, exec_lo, s5
.LBB78_1949:
	s_delay_alu instid0(SALU_CYCLE_1)
	s_or_b32 exec_lo, exec_lo, s3
	s_mov_b32 s3, 0
	global_store_b8 v[0:1], v4, off
.LBB78_1950:
	s_and_b32 vcc_lo, exec_lo, s3
	s_cbranch_vccz .LBB78_1960
; %bb.1951:
	s_wait_xcnt 0x0
	v_cndmask_b32_e64 v3, 0, 1.0, s1
	s_mov_b32 s3, exec_lo
                                        ; implicit-def: $vgpr2
	s_delay_alu instid0(VALU_DEP_1)
	v_cmpx_gt_u32_e32 0x43f00000, v3
	s_xor_b32 s3, exec_lo, s3
	s_cbranch_execz .LBB78_1957
; %bb.1952:
	s_mov_b32 s4, exec_lo
                                        ; implicit-def: $vgpr2
	v_cmpx_lt_u32_e32 0x3c7fffff, v3
	s_xor_b32 s4, exec_lo, s4
; %bb.1953:
	v_bfe_u32 v2, v3, 20, 1
	s_delay_alu instid0(VALU_DEP_1) | instskip(NEXT) | instid1(VALU_DEP_1)
	v_add3_u32 v2, v3, v2, 0x407ffff
	v_and_b32_e32 v3, 0xff00000, v2
	v_lshrrev_b32_e32 v2, 20, v2
	s_delay_alu instid0(VALU_DEP_2) | instskip(NEXT) | instid1(VALU_DEP_2)
	v_cmp_ne_u32_e32 vcc_lo, 0x7f00000, v3
                                        ; implicit-def: $vgpr3
	v_cndmask_b32_e32 v2, 0x7e, v2, vcc_lo
; %bb.1954:
	s_and_not1_saveexec_b32 s4, s4
; %bb.1955:
	v_add_f32_e32 v2, 0x46800000, v3
; %bb.1956:
	s_or_b32 exec_lo, exec_lo, s4
                                        ; implicit-def: $vgpr3
.LBB78_1957:
	s_and_not1_saveexec_b32 s3, s3
; %bb.1958:
	v_mov_b32_e32 v2, 0x7f
	v_cmp_lt_u32_e32 vcc_lo, 0x7f800000, v3
	s_delay_alu instid0(VALU_DEP_2)
	v_cndmask_b32_e32 v2, 0x7e, v2, vcc_lo
; %bb.1959:
	s_or_b32 exec_lo, exec_lo, s3
	global_store_b8 v[0:1], v2, off
.LBB78_1960:
	s_mov_b32 s3, 0
.LBB78_1961:
	s_delay_alu instid0(SALU_CYCLE_1)
	s_and_not1_b32 vcc_lo, exec_lo, s3
	s_cbranch_vccnz .LBB78_1971
; %bb.1962:
	s_wait_xcnt 0x0
	v_cndmask_b32_e64 v3, 0, 1.0, s1
	s_mov_b32 s3, exec_lo
                                        ; implicit-def: $vgpr2
	s_delay_alu instid0(VALU_DEP_1)
	v_cmpx_gt_u32_e32 0x47800000, v3
	s_xor_b32 s3, exec_lo, s3
	s_cbranch_execz .LBB78_1968
; %bb.1963:
	s_mov_b32 s4, exec_lo
                                        ; implicit-def: $vgpr2
	v_cmpx_lt_u32_e32 0x387fffff, v3
	s_xor_b32 s4, exec_lo, s4
; %bb.1964:
	v_bfe_u32 v2, v3, 21, 1
	s_delay_alu instid0(VALU_DEP_1) | instskip(NEXT) | instid1(VALU_DEP_1)
	v_add3_u32 v2, v3, v2, 0x80fffff
                                        ; implicit-def: $vgpr3
	v_lshrrev_b32_e32 v2, 21, v2
; %bb.1965:
	s_and_not1_saveexec_b32 s4, s4
; %bb.1966:
	v_add_f32_e32 v2, 0x43000000, v3
; %bb.1967:
	s_or_b32 exec_lo, exec_lo, s4
                                        ; implicit-def: $vgpr3
.LBB78_1968:
	s_and_not1_saveexec_b32 s3, s3
; %bb.1969:
	v_mov_b32_e32 v2, 0x7f
	v_cmp_lt_u32_e32 vcc_lo, 0x7f800000, v3
	s_delay_alu instid0(VALU_DEP_2)
	v_cndmask_b32_e32 v2, 0x7c, v2, vcc_lo
; %bb.1970:
	s_or_b32 exec_lo, exec_lo, s3
	global_store_b8 v[0:1], v2, off
.LBB78_1971:
	s_mov_b32 s3, 0
.LBB78_1972:
	s_delay_alu instid0(SALU_CYCLE_1)
	s_and_not1_b32 vcc_lo, exec_lo, s3
	s_mov_b32 s3, 0
	s_cbranch_vccnz .LBB78_1979
; %bb.1973:
	s_cmp_gt_i32 s2, 14
	s_mov_b32 s3, -1
	s_cbranch_scc0 .LBB78_1977
; %bb.1974:
	s_cmp_eq_u32 s2, 15
	s_mov_b32 s0, -1
	s_cbranch_scc0 .LBB78_1976
; %bb.1975:
	s_wait_xcnt 0x0
	v_cndmask_b32_e64 v2, 0, 1.0, s1
	s_mov_b32 s0, 0
	s_delay_alu instid0(VALU_DEP_1) | instskip(NEXT) | instid1(VALU_DEP_1)
	v_bfe_u32 v3, v2, 16, 1
	v_add3_u32 v2, v2, v3, 0x7fff
	global_store_d16_hi_b16 v[0:1], v2, off
.LBB78_1976:
	s_mov_b32 s3, 0
.LBB78_1977:
	s_delay_alu instid0(SALU_CYCLE_1)
	s_and_b32 vcc_lo, exec_lo, s3
	s_mov_b32 s3, 0
	s_cbranch_vccz .LBB78_1979
; %bb.1978:
	s_cmp_lg_u32 s2, 11
	s_mov_b32 s3, -1
	s_cselect_b32 s0, -1, 0
.LBB78_1979:
	s_delay_alu instid0(SALU_CYCLE_1)
	s_and_b32 vcc_lo, exec_lo, s0
	s_cbranch_vccnz .LBB78_2045
.LBB78_1980:
	s_mov_b32 s0, 0
	s_branch .LBB78_1982
.LBB78_1981:
	s_mov_b32 s0, 0
	s_mov_b32 s3, 0
                                        ; implicit-def: $sgpr1
                                        ; implicit-def: $sgpr13
                                        ; implicit-def: $vgpr0_vgpr1
.LBB78_1982:
	s_and_not1_b32 s2, s12, exec_lo
	s_and_b32 s4, s9, exec_lo
	s_and_b32 s0, s0, exec_lo
	;; [unrolled: 1-line block ×3, first 2 shown]
	s_or_b32 s12, s2, s4
.LBB78_1983:
	s_wait_xcnt 0x0
	s_or_b32 exec_lo, exec_lo, s11
	s_and_saveexec_b32 s2, s12
	s_cbranch_execz .LBB78_1986
; %bb.1984:
	; divergent unreachable
	s_or_b32 exec_lo, exec_lo, s2
	s_and_saveexec_b32 s2, s9
	s_delay_alu instid0(SALU_CYCLE_1)
	s_xor_b32 s2, exec_lo, s2
	s_cbranch_execnz .LBB78_1987
.LBB78_1985:
	s_or_b32 exec_lo, exec_lo, s2
	s_and_saveexec_b32 s2, s0
	s_cbranch_execnz .LBB78_1988
	s_branch .LBB78_2025
.LBB78_1986:
	s_or_b32 exec_lo, exec_lo, s2
	s_and_saveexec_b32 s2, s9
	s_delay_alu instid0(SALU_CYCLE_1)
	s_xor_b32 s2, exec_lo, s2
	s_cbranch_execz .LBB78_1985
.LBB78_1987:
	s_wait_loadcnt 0x0
	v_cndmask_b32_e64 v2, 0, 1, s1
	global_store_b8 v[0:1], v2, off
	s_wait_xcnt 0x0
	s_or_b32 exec_lo, exec_lo, s2
	s_and_saveexec_b32 s2, s0
	s_cbranch_execz .LBB78_2025
.LBB78_1988:
	s_sext_i32_i16 s2, s13
	s_mov_b32 s0, -1
	s_cmp_lt_i32 s2, 5
	s_cbranch_scc1 .LBB78_2009
; %bb.1989:
	s_cmp_lt_i32 s2, 8
	s_cbranch_scc1 .LBB78_1999
; %bb.1990:
	s_cmp_lt_i32 s2, 9
	s_cbranch_scc1 .LBB78_1996
; %bb.1991:
	s_cmp_gt_i32 s2, 9
	s_cbranch_scc0 .LBB78_1993
; %bb.1992:
	s_wait_loadcnt 0x0
	v_cndmask_b32_e64 v2, 0, 1, s1
	v_mov_b32_e32 v4, 0
	s_mov_b32 s0, 0
	s_delay_alu instid0(VALU_DEP_2) | instskip(NEXT) | instid1(VALU_DEP_2)
	v_cvt_f64_u32_e32 v[2:3], v2
	v_mov_b32_e32 v5, v4
	global_store_b128 v[0:1], v[2:5], off
.LBB78_1993:
	s_and_not1_b32 vcc_lo, exec_lo, s0
	s_cbranch_vccnz .LBB78_1995
; %bb.1994:
	s_wait_loadcnt 0x0
	v_cndmask_b32_e64 v2, 0, 1.0, s1
	v_mov_b32_e32 v3, 0
	global_store_b64 v[0:1], v[2:3], off
.LBB78_1995:
	s_mov_b32 s0, 0
.LBB78_1996:
	s_delay_alu instid0(SALU_CYCLE_1)
	s_and_not1_b32 vcc_lo, exec_lo, s0
	s_cbranch_vccnz .LBB78_1998
; %bb.1997:
	s_wait_loadcnt 0x0
	v_cndmask_b32_e64 v2, 0, 1.0, s1
	s_delay_alu instid0(VALU_DEP_1) | instskip(NEXT) | instid1(VALU_DEP_1)
	v_cvt_f16_f32_e32 v2, v2
	v_and_b32_e32 v2, 0xffff, v2
	global_store_b32 v[0:1], v2, off
.LBB78_1998:
	s_mov_b32 s0, 0
.LBB78_1999:
	s_delay_alu instid0(SALU_CYCLE_1)
	s_and_not1_b32 vcc_lo, exec_lo, s0
	s_cbranch_vccnz .LBB78_2008
; %bb.2000:
	s_sext_i32_i16 s2, s13
	s_mov_b32 s0, -1
	s_cmp_lt_i32 s2, 6
	s_cbranch_scc1 .LBB78_2006
; %bb.2001:
	s_cmp_gt_i32 s2, 6
	s_cbranch_scc0 .LBB78_2003
; %bb.2002:
	s_wait_loadcnt 0x0
	v_cndmask_b32_e64 v2, 0, 1, s1
	s_mov_b32 s0, 0
	s_delay_alu instid0(VALU_DEP_1)
	v_cvt_f64_u32_e32 v[2:3], v2
	global_store_b64 v[0:1], v[2:3], off
.LBB78_2003:
	s_and_not1_b32 vcc_lo, exec_lo, s0
	s_cbranch_vccnz .LBB78_2005
; %bb.2004:
	s_wait_loadcnt 0x0
	v_cndmask_b32_e64 v2, 0, 1.0, s1
	global_store_b32 v[0:1], v2, off
.LBB78_2005:
	s_mov_b32 s0, 0
.LBB78_2006:
	s_delay_alu instid0(SALU_CYCLE_1)
	s_and_not1_b32 vcc_lo, exec_lo, s0
	s_cbranch_vccnz .LBB78_2008
; %bb.2007:
	s_wait_loadcnt 0x0
	v_cndmask_b32_e64 v2, 0, 1.0, s1
	s_delay_alu instid0(VALU_DEP_1)
	v_cvt_f16_f32_e32 v2, v2
	global_store_b16 v[0:1], v2, off
.LBB78_2008:
	s_mov_b32 s0, 0
.LBB78_2009:
	s_delay_alu instid0(SALU_CYCLE_1)
	s_and_not1_b32 vcc_lo, exec_lo, s0
	s_cbranch_vccnz .LBB78_2025
; %bb.2010:
	s_sext_i32_i16 s2, s13
	s_mov_b32 s0, -1
	s_cmp_lt_i32 s2, 2
	s_cbranch_scc1 .LBB78_2020
; %bb.2011:
	s_cmp_lt_i32 s2, 3
	s_cbranch_scc1 .LBB78_2017
; %bb.2012:
	s_cmp_gt_i32 s2, 3
	s_cbranch_scc0 .LBB78_2014
; %bb.2013:
	s_mov_b32 s0, 0
	s_wait_loadcnt 0x0
	v_cndmask_b32_e64 v2, 0, 1, s1
	v_mov_b32_e32 v3, s0
	global_store_b64 v[0:1], v[2:3], off
.LBB78_2014:
	s_and_not1_b32 vcc_lo, exec_lo, s0
	s_cbranch_vccnz .LBB78_2016
; %bb.2015:
	s_wait_loadcnt 0x0
	v_cndmask_b32_e64 v2, 0, 1, s1
	global_store_b32 v[0:1], v2, off
.LBB78_2016:
	s_mov_b32 s0, 0
.LBB78_2017:
	s_delay_alu instid0(SALU_CYCLE_1)
	s_and_not1_b32 vcc_lo, exec_lo, s0
	s_cbranch_vccnz .LBB78_2019
; %bb.2018:
	s_wait_loadcnt 0x0
	v_cndmask_b32_e64 v2, 0, 1, s1
	global_store_b16 v[0:1], v2, off
.LBB78_2019:
	s_mov_b32 s0, 0
.LBB78_2020:
	s_delay_alu instid0(SALU_CYCLE_1)
	s_and_not1_b32 vcc_lo, exec_lo, s0
	s_cbranch_vccnz .LBB78_2025
; %bb.2021:
	s_wait_loadcnt 0x0
	v_cndmask_b32_e64 v2, 0, 1, s1
	s_sext_i32_i16 s0, s13
	s_delay_alu instid0(SALU_CYCLE_1)
	s_cmp_gt_i32 s0, 0
	s_mov_b32 s0, -1
	s_cbranch_scc0 .LBB78_2023
; %bb.2022:
	s_mov_b32 s0, 0
	global_store_b8 v[0:1], v2, off
.LBB78_2023:
	s_and_not1_b32 vcc_lo, exec_lo, s0
	s_cbranch_vccnz .LBB78_2025
; %bb.2024:
	global_store_b8 v[0:1], v2, off
	s_endpgm
.LBB78_2025:
	s_endpgm
.LBB78_2026:
	s_mov_b32 s3, 0
	s_mov_b32 s0, -1
	s_branch .LBB78_1982
.LBB78_2027:
	s_or_b32 s9, s9, exec_lo
	s_trap 2
	s_cbranch_execz .LBB78_1496
	s_branch .LBB78_1497
.LBB78_2028:
	s_and_not1_saveexec_b32 s10, s10
	s_cbranch_execz .LBB78_1576
.LBB78_2029:
	v_add_f32_e32 v1, 0x46000000, v4
	s_and_not1_b32 s8, s8, exec_lo
	s_delay_alu instid0(VALU_DEP_1) | instskip(NEXT) | instid1(VALU_DEP_1)
	v_and_b32_e32 v1, 0xff, v1
	v_cmp_ne_u32_e32 vcc_lo, 0, v1
	s_and_b32 s14, vcc_lo, exec_lo
	s_delay_alu instid0(SALU_CYCLE_1)
	s_or_b32 s8, s8, s14
	s_or_b32 exec_lo, exec_lo, s10
	v_mov_b32_e32 v5, 0
	s_and_saveexec_b32 s10, s8
	s_cbranch_execnz .LBB78_1577
	s_branch .LBB78_1578
.LBB78_2030:
	s_or_b32 s9, s9, exec_lo
	s_trap 2
	s_cbranch_execz .LBB78_1624
	s_branch .LBB78_1625
.LBB78_2031:
	s_and_not1_saveexec_b32 s8, s8
	s_cbranch_execz .LBB78_1589
.LBB78_2032:
	v_add_f32_e32 v1, 0x42800000, v4
	s_and_not1_b32 s7, s7, exec_lo
	s_delay_alu instid0(VALU_DEP_1) | instskip(NEXT) | instid1(VALU_DEP_1)
	v_and_b32_e32 v1, 0xff, v1
	v_cmp_ne_u32_e32 vcc_lo, 0, v1
	s_and_b32 s10, vcc_lo, exec_lo
	s_delay_alu instid0(SALU_CYCLE_1)
	s_or_b32 s7, s7, s10
	s_or_b32 exec_lo, exec_lo, s8
	v_mov_b32_e32 v5, 0
	s_and_saveexec_b32 s8, s7
	s_cbranch_execnz .LBB78_1590
	s_branch .LBB78_1591
.LBB78_2033:
	s_and_not1_saveexec_b32 s10, s10
	s_cbranch_execz .LBB78_1695
.LBB78_2034:
	v_add_f32_e32 v1, 0x46000000, v4
	s_and_not1_b32 s8, s8, exec_lo
	s_delay_alu instid0(VALU_DEP_1) | instskip(NEXT) | instid1(VALU_DEP_1)
	v_and_b32_e32 v1, 0xff, v1
	v_cmp_ne_u32_e32 vcc_lo, 0, v1
	s_and_b32 s14, vcc_lo, exec_lo
	s_delay_alu instid0(SALU_CYCLE_1)
	s_or_b32 s8, s8, s14
	s_or_b32 exec_lo, exec_lo, s10
	v_mov_b32_e32 v5, 0
	s_and_saveexec_b32 s10, s8
	s_cbranch_execnz .LBB78_1696
	s_branch .LBB78_1697
.LBB78_2035:
	s_or_b32 s9, s9, exec_lo
	s_trap 2
	s_cbranch_execz .LBB78_1743
	s_branch .LBB78_1744
.LBB78_2036:
	s_and_not1_saveexec_b32 s8, s8
	s_cbranch_execz .LBB78_1708
.LBB78_2037:
	v_add_f32_e32 v1, 0x42800000, v4
	s_and_not1_b32 s7, s7, exec_lo
	s_delay_alu instid0(VALU_DEP_1) | instskip(NEXT) | instid1(VALU_DEP_1)
	v_and_b32_e32 v1, 0xff, v1
	v_cmp_ne_u32_e32 vcc_lo, 0, v1
	s_and_b32 s10, vcc_lo, exec_lo
	s_delay_alu instid0(SALU_CYCLE_1)
	s_or_b32 s7, s7, s10
	s_or_b32 exec_lo, exec_lo, s8
	v_mov_b32_e32 v5, 0
	s_and_saveexec_b32 s8, s7
	s_cbranch_execnz .LBB78_1709
	s_branch .LBB78_1710
.LBB78_2038:
	s_and_not1_saveexec_b32 s10, s10
	s_cbranch_execz .LBB78_1814
.LBB78_2039:
	v_add_f32_e32 v1, 0x46000000, v4
	s_and_not1_b32 s8, s8, exec_lo
	s_delay_alu instid0(VALU_DEP_1) | instskip(NEXT) | instid1(VALU_DEP_1)
	v_and_b32_e32 v1, 0xff, v1
	v_cmp_ne_u32_e32 vcc_lo, 0, v1
	s_and_b32 s14, vcc_lo, exec_lo
	s_delay_alu instid0(SALU_CYCLE_1)
	s_or_b32 s8, s8, s14
	s_or_b32 exec_lo, exec_lo, s10
	v_mov_b32_e32 v5, 0
	s_and_saveexec_b32 s10, s8
	s_cbranch_execnz .LBB78_1815
	s_branch .LBB78_1816
.LBB78_2040:
	s_or_b32 s9, s9, exec_lo
	s_trap 2
	s_cbranch_execz .LBB78_1862
	s_branch .LBB78_1863
.LBB78_2041:
	s_and_not1_saveexec_b32 s8, s8
	s_cbranch_execz .LBB78_1827
.LBB78_2042:
	v_add_f32_e32 v1, 0x42800000, v4
	s_and_not1_b32 s7, s7, exec_lo
	s_delay_alu instid0(VALU_DEP_1) | instskip(NEXT) | instid1(VALU_DEP_1)
	v_and_b32_e32 v1, 0xff, v1
	v_cmp_ne_u32_e32 vcc_lo, 0, v1
	s_and_b32 s10, vcc_lo, exec_lo
	s_delay_alu instid0(SALU_CYCLE_1)
	s_or_b32 s7, s7, s10
	s_or_b32 exec_lo, exec_lo, s8
	v_mov_b32_e32 v5, 0
	s_and_saveexec_b32 s8, s7
	s_cbranch_execnz .LBB78_1828
	s_branch .LBB78_1829
.LBB78_2043:
	s_and_not1_saveexec_b32 s6, s6
	s_cbranch_execz .LBB78_1934
.LBB78_2044:
	v_add_f32_e32 v2, 0x46000000, v3
	s_and_not1_b32 s5, s5, exec_lo
	s_delay_alu instid0(VALU_DEP_1) | instskip(NEXT) | instid1(VALU_DEP_1)
	v_and_b32_e32 v2, 0xff, v2
	v_cmp_ne_u32_e32 vcc_lo, 0, v2
	s_and_b32 s7, vcc_lo, exec_lo
	s_delay_alu instid0(SALU_CYCLE_1)
	s_or_b32 s5, s5, s7
	s_or_b32 exec_lo, exec_lo, s6
	v_mov_b32_e32 v4, 0
	s_and_saveexec_b32 s6, s5
	s_cbranch_execnz .LBB78_1935
	s_branch .LBB78_1936
.LBB78_2045:
	s_mov_b32 s3, 0
	s_or_b32 s9, s9, exec_lo
	s_trap 2
	s_branch .LBB78_1980
.LBB78_2046:
	s_and_not1_saveexec_b32 s5, s5
	s_cbranch_execz .LBB78_1946
.LBB78_2047:
	v_add_f32_e32 v2, 0x42800000, v3
	s_and_not1_b32 s4, s4, exec_lo
	s_delay_alu instid0(VALU_DEP_1) | instskip(NEXT) | instid1(VALU_DEP_1)
	v_and_b32_e32 v2, 0xff, v2
	v_cmp_ne_u32_e32 vcc_lo, 0, v2
	s_and_b32 s6, vcc_lo, exec_lo
	s_delay_alu instid0(SALU_CYCLE_1)
	s_or_b32 s4, s4, s6
	s_or_b32 exec_lo, exec_lo, s5
	v_mov_b32_e32 v4, 0
	s_and_saveexec_b32 s5, s4
	s_cbranch_execnz .LBB78_1947
	s_branch .LBB78_1948
	.section	.rodata,"a",@progbits
	.p2align	6, 0x0
	.amdhsa_kernel _ZN2at6native32elementwise_kernel_manual_unrollILi128ELi4EZNS0_15gpu_kernel_implIZZZNS0_12_GLOBAL__N_120isneginf_kernel_implERNS_18TensorIteratorBaseEENKUlvE_clEvENKUlvE0_clEvEUlfE_EEvS5_RKT_EUlibE_EEviT1_
		.amdhsa_group_segment_fixed_size 0
		.amdhsa_private_segment_fixed_size 0
		.amdhsa_kernarg_size 40
		.amdhsa_user_sgpr_count 2
		.amdhsa_user_sgpr_dispatch_ptr 0
		.amdhsa_user_sgpr_queue_ptr 0
		.amdhsa_user_sgpr_kernarg_segment_ptr 1
		.amdhsa_user_sgpr_dispatch_id 0
		.amdhsa_user_sgpr_kernarg_preload_length 0
		.amdhsa_user_sgpr_kernarg_preload_offset 0
		.amdhsa_user_sgpr_private_segment_size 0
		.amdhsa_wavefront_size32 1
		.amdhsa_uses_dynamic_stack 0
		.amdhsa_enable_private_segment 0
		.amdhsa_system_sgpr_workgroup_id_x 1
		.amdhsa_system_sgpr_workgroup_id_y 0
		.amdhsa_system_sgpr_workgroup_id_z 0
		.amdhsa_system_sgpr_workgroup_info 0
		.amdhsa_system_vgpr_workitem_id 0
		.amdhsa_next_free_vgpr 14
		.amdhsa_next_free_sgpr 27
		.amdhsa_named_barrier_count 0
		.amdhsa_reserve_vcc 1
		.amdhsa_float_round_mode_32 0
		.amdhsa_float_round_mode_16_64 0
		.amdhsa_float_denorm_mode_32 3
		.amdhsa_float_denorm_mode_16_64 3
		.amdhsa_fp16_overflow 0
		.amdhsa_memory_ordered 1
		.amdhsa_forward_progress 1
		.amdhsa_inst_pref_size 255
		.amdhsa_round_robin_scheduling 0
		.amdhsa_exception_fp_ieee_invalid_op 0
		.amdhsa_exception_fp_denorm_src 0
		.amdhsa_exception_fp_ieee_div_zero 0
		.amdhsa_exception_fp_ieee_overflow 0
		.amdhsa_exception_fp_ieee_underflow 0
		.amdhsa_exception_fp_ieee_inexact 0
		.amdhsa_exception_int_div_zero 0
	.end_amdhsa_kernel
	.section	.text._ZN2at6native32elementwise_kernel_manual_unrollILi128ELi4EZNS0_15gpu_kernel_implIZZZNS0_12_GLOBAL__N_120isneginf_kernel_implERNS_18TensorIteratorBaseEENKUlvE_clEvENKUlvE0_clEvEUlfE_EEvS5_RKT_EUlibE_EEviT1_,"axG",@progbits,_ZN2at6native32elementwise_kernel_manual_unrollILi128ELi4EZNS0_15gpu_kernel_implIZZZNS0_12_GLOBAL__N_120isneginf_kernel_implERNS_18TensorIteratorBaseEENKUlvE_clEvENKUlvE0_clEvEUlfE_EEvS5_RKT_EUlibE_EEviT1_,comdat
.Lfunc_end78:
	.size	_ZN2at6native32elementwise_kernel_manual_unrollILi128ELi4EZNS0_15gpu_kernel_implIZZZNS0_12_GLOBAL__N_120isneginf_kernel_implERNS_18TensorIteratorBaseEENKUlvE_clEvENKUlvE0_clEvEUlfE_EEvS5_RKT_EUlibE_EEviT1_, .Lfunc_end78-_ZN2at6native32elementwise_kernel_manual_unrollILi128ELi4EZNS0_15gpu_kernel_implIZZZNS0_12_GLOBAL__N_120isneginf_kernel_implERNS_18TensorIteratorBaseEENKUlvE_clEvENKUlvE0_clEvEUlfE_EEvS5_RKT_EUlibE_EEviT1_
                                        ; -- End function
	.set _ZN2at6native32elementwise_kernel_manual_unrollILi128ELi4EZNS0_15gpu_kernel_implIZZZNS0_12_GLOBAL__N_120isneginf_kernel_implERNS_18TensorIteratorBaseEENKUlvE_clEvENKUlvE0_clEvEUlfE_EEvS5_RKT_EUlibE_EEviT1_.num_vgpr, 14
	.set _ZN2at6native32elementwise_kernel_manual_unrollILi128ELi4EZNS0_15gpu_kernel_implIZZZNS0_12_GLOBAL__N_120isneginf_kernel_implERNS_18TensorIteratorBaseEENKUlvE_clEvENKUlvE0_clEvEUlfE_EEvS5_RKT_EUlibE_EEviT1_.num_agpr, 0
	.set _ZN2at6native32elementwise_kernel_manual_unrollILi128ELi4EZNS0_15gpu_kernel_implIZZZNS0_12_GLOBAL__N_120isneginf_kernel_implERNS_18TensorIteratorBaseEENKUlvE_clEvENKUlvE0_clEvEUlfE_EEvS5_RKT_EUlibE_EEviT1_.numbered_sgpr, 27
	.set _ZN2at6native32elementwise_kernel_manual_unrollILi128ELi4EZNS0_15gpu_kernel_implIZZZNS0_12_GLOBAL__N_120isneginf_kernel_implERNS_18TensorIteratorBaseEENKUlvE_clEvENKUlvE0_clEvEUlfE_EEvS5_RKT_EUlibE_EEviT1_.num_named_barrier, 0
	.set _ZN2at6native32elementwise_kernel_manual_unrollILi128ELi4EZNS0_15gpu_kernel_implIZZZNS0_12_GLOBAL__N_120isneginf_kernel_implERNS_18TensorIteratorBaseEENKUlvE_clEvENKUlvE0_clEvEUlfE_EEvS5_RKT_EUlibE_EEviT1_.private_seg_size, 0
	.set _ZN2at6native32elementwise_kernel_manual_unrollILi128ELi4EZNS0_15gpu_kernel_implIZZZNS0_12_GLOBAL__N_120isneginf_kernel_implERNS_18TensorIteratorBaseEENKUlvE_clEvENKUlvE0_clEvEUlfE_EEvS5_RKT_EUlibE_EEviT1_.uses_vcc, 1
	.set _ZN2at6native32elementwise_kernel_manual_unrollILi128ELi4EZNS0_15gpu_kernel_implIZZZNS0_12_GLOBAL__N_120isneginf_kernel_implERNS_18TensorIteratorBaseEENKUlvE_clEvENKUlvE0_clEvEUlfE_EEvS5_RKT_EUlibE_EEviT1_.uses_flat_scratch, 0
	.set _ZN2at6native32elementwise_kernel_manual_unrollILi128ELi4EZNS0_15gpu_kernel_implIZZZNS0_12_GLOBAL__N_120isneginf_kernel_implERNS_18TensorIteratorBaseEENKUlvE_clEvENKUlvE0_clEvEUlfE_EEvS5_RKT_EUlibE_EEviT1_.has_dyn_sized_stack, 0
	.set _ZN2at6native32elementwise_kernel_manual_unrollILi128ELi4EZNS0_15gpu_kernel_implIZZZNS0_12_GLOBAL__N_120isneginf_kernel_implERNS_18TensorIteratorBaseEENKUlvE_clEvENKUlvE0_clEvEUlfE_EEvS5_RKT_EUlibE_EEviT1_.has_recursion, 0
	.set _ZN2at6native32elementwise_kernel_manual_unrollILi128ELi4EZNS0_15gpu_kernel_implIZZZNS0_12_GLOBAL__N_120isneginf_kernel_implERNS_18TensorIteratorBaseEENKUlvE_clEvENKUlvE0_clEvEUlfE_EEvS5_RKT_EUlibE_EEviT1_.has_indirect_call, 0
	.section	.AMDGPU.csdata,"",@progbits
; Kernel info:
; codeLenInByte = 35804
; TotalNumSgprs: 29
; NumVgprs: 14
; ScratchSize: 0
; MemoryBound: 1
; FloatMode: 240
; IeeeMode: 1
; LDSByteSize: 0 bytes/workgroup (compile time only)
; SGPRBlocks: 0
; VGPRBlocks: 0
; NumSGPRsForWavesPerEU: 29
; NumVGPRsForWavesPerEU: 14
; NamedBarCnt: 0
; Occupancy: 16
; WaveLimiterHint : 0
; COMPUTE_PGM_RSRC2:SCRATCH_EN: 0
; COMPUTE_PGM_RSRC2:USER_SGPR: 2
; COMPUTE_PGM_RSRC2:TRAP_HANDLER: 0
; COMPUTE_PGM_RSRC2:TGID_X_EN: 1
; COMPUTE_PGM_RSRC2:TGID_Y_EN: 0
; COMPUTE_PGM_RSRC2:TGID_Z_EN: 0
; COMPUTE_PGM_RSRC2:TIDIG_COMP_CNT: 0
	.section	.text._ZN2at6native32elementwise_kernel_manual_unrollILi128ELi4EZNS0_15gpu_kernel_implIZZZNS0_12_GLOBAL__N_120isneginf_kernel_implERNS_18TensorIteratorBaseEENKUlvE_clEvENKUlvE0_clEvEUlfE_EEvS5_RKT_EUlibE0_EEviT1_,"axG",@progbits,_ZN2at6native32elementwise_kernel_manual_unrollILi128ELi4EZNS0_15gpu_kernel_implIZZZNS0_12_GLOBAL__N_120isneginf_kernel_implERNS_18TensorIteratorBaseEENKUlvE_clEvENKUlvE0_clEvEUlfE_EEvS5_RKT_EUlibE0_EEviT1_,comdat
	.globl	_ZN2at6native32elementwise_kernel_manual_unrollILi128ELi4EZNS0_15gpu_kernel_implIZZZNS0_12_GLOBAL__N_120isneginf_kernel_implERNS_18TensorIteratorBaseEENKUlvE_clEvENKUlvE0_clEvEUlfE_EEvS5_RKT_EUlibE0_EEviT1_ ; -- Begin function _ZN2at6native32elementwise_kernel_manual_unrollILi128ELi4EZNS0_15gpu_kernel_implIZZZNS0_12_GLOBAL__N_120isneginf_kernel_implERNS_18TensorIteratorBaseEENKUlvE_clEvENKUlvE0_clEvEUlfE_EEvS5_RKT_EUlibE0_EEviT1_
	.p2align	8
	.type	_ZN2at6native32elementwise_kernel_manual_unrollILi128ELi4EZNS0_15gpu_kernel_implIZZZNS0_12_GLOBAL__N_120isneginf_kernel_implERNS_18TensorIteratorBaseEENKUlvE_clEvENKUlvE0_clEvEUlfE_EEvS5_RKT_EUlibE0_EEviT1_,@function
_ZN2at6native32elementwise_kernel_manual_unrollILi128ELi4EZNS0_15gpu_kernel_implIZZZNS0_12_GLOBAL__N_120isneginf_kernel_implERNS_18TensorIteratorBaseEENKUlvE_clEvENKUlvE0_clEvEUlfE_EEvS5_RKT_EUlibE0_EEviT1_: ; @_ZN2at6native32elementwise_kernel_manual_unrollILi128ELi4EZNS0_15gpu_kernel_implIZZZNS0_12_GLOBAL__N_120isneginf_kernel_implERNS_18TensorIteratorBaseEENKUlvE_clEvENKUlvE0_clEvEUlfE_EEvS5_RKT_EUlibE0_EEviT1_
; %bb.0:
	s_clause 0x1
	s_load_b32 s28, s[0:1], 0x8
	s_load_b32 s36, s[0:1], 0x0
	s_bfe_u32 s2, ttmp6, 0x4000c
	s_and_b32 s3, ttmp6, 15
	s_add_co_i32 s2, s2, 1
	s_getreg_b32 s4, hwreg(HW_REG_IB_STS2, 6, 4)
	s_mul_i32 s2, ttmp9, s2
	s_mov_b32 s30, 0
	s_add_co_i32 s3, s3, s2
	s_cmp_eq_u32 s4, 0
	s_mov_b32 s24, -1
	s_cselect_b32 s2, ttmp9, s3
	s_mov_b32 s8, 0
	v_lshl_or_b32 v0, s2, 9, v0
	s_add_nc_u64 s[2:3], s[0:1], 8
	s_wait_xcnt 0x0
	s_mov_b32 s0, exec_lo
	s_delay_alu instid0(VALU_DEP_1) | instskip(SKIP_2) | instid1(SALU_CYCLE_1)
	v_or_b32_e32 v9, 0x180, v0
	s_wait_kmcnt 0x0
	s_add_co_i32 s29, s28, -1
	s_cmp_gt_u32 s29, 1
	s_cselect_b32 s31, -1, 0
	v_cmpx_le_i32_e64 s36, v9
	s_xor_b32 s33, exec_lo, s0
	s_cbranch_execz .LBB79_1096
; %bb.1:
	v_mov_b32_e32 v1, 0
	s_clause 0x3
	s_load_b128 s[12:15], s[2:3], 0x4
	s_load_b64 s[18:19], s[2:3], 0x14
	s_load_b128 s[8:11], s[2:3], 0xc4
	s_load_b128 s[4:7], s[2:3], 0x148
	s_cmp_lg_u32 s28, 0
	s_mov_b32 s17, 0
	s_cselect_b32 s38, -1, 0
	global_load_u16 v1, v1, s[2:3] offset:345
	s_min_u32 s37, s29, 15
	s_cmp_gt_u32 s28, 1
	s_add_nc_u64 s[22:23], s[2:3], 0xc4
	s_cselect_b32 s35, -1, 0
	s_mov_b32 s21, s17
	s_mov_b32 s39, s17
	s_mov_b32 s40, exec_lo
	s_wait_kmcnt 0x0
	s_mov_b32 s16, s13
	s_mov_b32 s20, s18
	;; [unrolled: 1-line block ×3, first 2 shown]
	s_wait_loadcnt 0x0
	v_readfirstlane_b32 s34, v1
	s_and_b32 s0, 0xffff, s34
	s_delay_alu instid0(SALU_CYCLE_1)
	s_lshr_b32 s13, s0, 8
	v_cmpx_gt_i32_e64 s36, v0
	s_cbranch_execz .LBB79_267
; %bb.2:
	s_and_not1_b32 vcc_lo, exec_lo, s31
	s_cbranch_vccnz .LBB79_8
; %bb.3:
	s_and_not1_b32 vcc_lo, exec_lo, s38
	s_cbranch_vccnz .LBB79_9
; %bb.4:
	s_add_co_i32 s1, s37, 1
	s_cmp_eq_u32 s29, 2
	s_cbranch_scc1 .LBB79_10
; %bb.5:
	v_dual_mov_b32 v2, 0 :: v_dual_mov_b32 v4, 0
	v_mov_b32_e32 v1, v0
	s_and_b32 s0, s1, 28
	s_mov_b32 s18, 0
	s_mov_b64 s[24:25], s[2:3]
	s_mov_b64 s[26:27], s[22:23]
.LBB79_6:                               ; =>This Inner Loop Header: Depth=1
	s_clause 0x1
	s_load_b256 s[44:51], s[24:25], 0x4
	s_load_b128 s[60:63], s[24:25], 0x24
	s_load_b256 s[52:59], s[26:27], 0x0
	s_add_co_i32 s18, s18, 4
	s_wait_xcnt 0x0
	s_add_nc_u64 s[24:25], s[24:25], 48
	s_cmp_lg_u32 s0, s18
	s_add_nc_u64 s[26:27], s[26:27], 32
	s_wait_kmcnt 0x0
	v_mul_hi_u32 v3, s45, v1
	s_delay_alu instid0(VALU_DEP_1) | instskip(NEXT) | instid1(VALU_DEP_1)
	v_add_nc_u32_e32 v3, v1, v3
	v_lshrrev_b32_e32 v3, s46, v3
	s_delay_alu instid0(VALU_DEP_1) | instskip(NEXT) | instid1(VALU_DEP_1)
	v_mul_hi_u32 v5, s48, v3
	v_add_nc_u32_e32 v5, v3, v5
	s_delay_alu instid0(VALU_DEP_1) | instskip(NEXT) | instid1(VALU_DEP_1)
	v_lshrrev_b32_e32 v5, s49, v5
	v_mul_hi_u32 v6, s51, v5
	s_delay_alu instid0(VALU_DEP_1) | instskip(SKIP_1) | instid1(VALU_DEP_1)
	v_add_nc_u32_e32 v6, v5, v6
	v_mul_lo_u32 v7, v3, s44
	v_sub_nc_u32_e32 v1, v1, v7
	v_mul_lo_u32 v7, v5, s47
	s_delay_alu instid0(VALU_DEP_4) | instskip(NEXT) | instid1(VALU_DEP_3)
	v_lshrrev_b32_e32 v6, s60, v6
	v_mad_u32 v4, v1, s53, v4
	v_mad_u32 v1, v1, s52, v2
	s_delay_alu instid0(VALU_DEP_4) | instskip(NEXT) | instid1(VALU_DEP_4)
	v_sub_nc_u32_e32 v2, v3, v7
	v_mul_hi_u32 v8, s62, v6
	v_mul_lo_u32 v3, v6, s50
	s_delay_alu instid0(VALU_DEP_3) | instskip(SKIP_1) | instid1(VALU_DEP_3)
	v_mad_u32 v4, v2, s55, v4
	v_mad_u32 v2, v2, s54, v1
	v_dual_add_nc_u32 v7, v6, v8 :: v_dual_sub_nc_u32 v3, v5, v3
	s_delay_alu instid0(VALU_DEP_1) | instskip(NEXT) | instid1(VALU_DEP_2)
	v_lshrrev_b32_e32 v1, s63, v7
	v_mad_u32 v4, v3, s57, v4
	s_delay_alu instid0(VALU_DEP_4) | instskip(NEXT) | instid1(VALU_DEP_3)
	v_mad_u32 v2, v3, s56, v2
	v_mul_lo_u32 v5, v1, s61
	s_delay_alu instid0(VALU_DEP_1) | instskip(NEXT) | instid1(VALU_DEP_1)
	v_sub_nc_u32_e32 v3, v6, v5
	v_mad_u32 v4, v3, s59, v4
	s_delay_alu instid0(VALU_DEP_4)
	v_mad_u32 v2, v3, s58, v2
	s_cbranch_scc1 .LBB79_6
; %bb.7:
	s_delay_alu instid0(VALU_DEP_2)
	v_mov_b32_e32 v3, v4
	s_and_b32 s18, s1, 3
	s_mov_b32 s1, 0
	s_cmp_eq_u32 s18, 0
	s_cbranch_scc0 .LBB79_11
	s_branch .LBB79_14
.LBB79_8:
                                        ; implicit-def: $vgpr4
                                        ; implicit-def: $vgpr2
	s_branch .LBB79_15
.LBB79_9:
	v_dual_mov_b32 v4, 0 :: v_dual_mov_b32 v2, 0
	s_branch .LBB79_14
.LBB79_10:
	v_mov_b64_e32 v[2:3], 0
	v_mov_b32_e32 v1, v0
	s_mov_b32 s0, 0
                                        ; implicit-def: $vgpr4
	s_and_b32 s18, s1, 3
	s_mov_b32 s1, 0
	s_cmp_eq_u32 s18, 0
	s_cbranch_scc1 .LBB79_14
.LBB79_11:
	s_lshl_b32 s24, s0, 3
	s_mov_b32 s25, s1
	s_mul_u64 s[26:27], s[0:1], 12
	s_add_nc_u64 s[24:25], s[2:3], s[24:25]
	s_delay_alu instid0(SALU_CYCLE_1)
	s_add_nc_u64 s[0:1], s[24:25], 0xc4
	s_add_nc_u64 s[24:25], s[2:3], s[26:27]
.LBB79_12:                              ; =>This Inner Loop Header: Depth=1
	s_load_b96 s[44:46], s[24:25], 0x4
	s_load_b64 s[26:27], s[0:1], 0x0
	s_add_co_i32 s18, s18, -1
	s_wait_xcnt 0x0
	s_add_nc_u64 s[24:25], s[24:25], 12
	s_cmp_lg_u32 s18, 0
	s_add_nc_u64 s[0:1], s[0:1], 8
	s_wait_kmcnt 0x0
	v_mul_hi_u32 v4, s45, v1
	s_delay_alu instid0(VALU_DEP_1) | instskip(NEXT) | instid1(VALU_DEP_1)
	v_add_nc_u32_e32 v4, v1, v4
	v_lshrrev_b32_e32 v4, s46, v4
	s_delay_alu instid0(VALU_DEP_1) | instskip(NEXT) | instid1(VALU_DEP_1)
	v_mul_lo_u32 v5, v4, s44
	v_sub_nc_u32_e32 v1, v1, v5
	s_delay_alu instid0(VALU_DEP_1)
	v_mad_u32 v3, v1, s27, v3
	v_mad_u32 v2, v1, s26, v2
	v_mov_b32_e32 v1, v4
	s_cbranch_scc1 .LBB79_12
; %bb.13:
	s_delay_alu instid0(VALU_DEP_3)
	v_mov_b32_e32 v4, v3
.LBB79_14:
	s_cbranch_execnz .LBB79_17
.LBB79_15:
	v_mov_b32_e32 v1, 0
	s_and_not1_b32 vcc_lo, exec_lo, s35
	s_delay_alu instid0(VALU_DEP_1) | instskip(NEXT) | instid1(VALU_DEP_1)
	v_mul_u64_e32 v[2:3], s[16:17], v[0:1]
	v_add_nc_u32_e32 v2, v0, v3
	s_delay_alu instid0(VALU_DEP_1) | instskip(NEXT) | instid1(VALU_DEP_1)
	v_lshrrev_b32_e32 v6, s14, v2
	v_mul_lo_u32 v2, v6, s12
	s_delay_alu instid0(VALU_DEP_1) | instskip(NEXT) | instid1(VALU_DEP_1)
	v_sub_nc_u32_e32 v2, v0, v2
	v_mul_lo_u32 v4, v2, s9
	v_mul_lo_u32 v2, v2, s8
	s_cbranch_vccnz .LBB79_17
; %bb.16:
	v_mov_b32_e32 v7, v1
	s_delay_alu instid0(VALU_DEP_1) | instskip(NEXT) | instid1(VALU_DEP_1)
	v_mul_u64_e32 v[8:9], s[20:21], v[6:7]
	v_add_nc_u32_e32 v1, v6, v9
	s_delay_alu instid0(VALU_DEP_1) | instskip(NEXT) | instid1(VALU_DEP_1)
	v_lshrrev_b32_e32 v1, s19, v1
	v_mul_lo_u32 v1, v1, s15
	s_delay_alu instid0(VALU_DEP_1) | instskip(NEXT) | instid1(VALU_DEP_1)
	v_sub_nc_u32_e32 v1, v6, v1
	v_mad_u32 v2, v1, s10, v2
	v_mad_u32 v4, v1, s11, v4
.LBB79_17:
	v_mov_b32_e32 v5, 0
	s_and_b32 s0, 0xffff, s13
	s_delay_alu instid0(SALU_CYCLE_1) | instskip(NEXT) | instid1(VALU_DEP_1)
	s_cmp_lt_i32 s0, 11
	v_add_nc_u64_e32 v[4:5], s[6:7], v[4:5]
	s_cbranch_scc1 .LBB79_24
; %bb.18:
	s_cmp_gt_i32 s0, 25
	s_cbranch_scc0 .LBB79_33
; %bb.19:
	s_cmp_gt_i32 s0, 28
	s_cbranch_scc0 .LBB79_36
	;; [unrolled: 3-line block ×4, first 2 shown]
; %bb.22:
	s_cmp_eq_u32 s0, 46
	s_mov_b32 s18, 0
	s_cbranch_scc0 .LBB79_42
; %bb.23:
	global_load_b32 v1, v[4:5], off
	s_mov_b32 s1, -1
	s_mov_b32 s24, 0
	s_wait_loadcnt 0x0
	v_lshlrev_b32_e32 v1, 16, v1
	s_branch .LBB79_44
.LBB79_24:
	s_mov_b32 s24, 0
	s_mov_b32 s1, 0
                                        ; implicit-def: $vgpr1
	s_cbranch_execnz .LBB79_217
.LBB79_25:
	s_and_not1_b32 vcc_lo, exec_lo, s1
	s_cbranch_vccnz .LBB79_264
.LBB79_26:
	v_mov_b32_e32 v3, 0
	s_wait_loadcnt 0x0
	s_delay_alu instid0(VALU_DEP_2) | instskip(SKIP_1) | instid1(SALU_CYCLE_1)
	v_cmp_eq_f32_e64 s0, 0xff800000, v1
	s_and_b32 s18, s34, 0xff
	s_cmp_lt_i32 s18, 11
	v_add_nc_u64_e32 v[2:3], s[4:5], v[2:3]
	s_cbranch_scc1 .LBB79_34
; %bb.27:
	s_and_b32 s25, 0xffff, s18
	s_delay_alu instid0(SALU_CYCLE_1)
	s_cmp_gt_i32 s25, 25
	s_cbranch_scc0 .LBB79_37
; %bb.28:
	s_cmp_gt_i32 s25, 28
	s_cbranch_scc0 .LBB79_39
; %bb.29:
	;; [unrolled: 3-line block ×4, first 2 shown]
	s_mov_b32 s27, 0
	s_mov_b32 s1, -1
	s_cmp_eq_u32 s25, 46
	s_mov_b32 s26, 0
	s_cbranch_scc0 .LBB79_48
; %bb.32:
	v_cndmask_b32_e64 v1, 0, 1.0, s0
	s_mov_b32 s26, -1
	s_mov_b32 s1, 0
	s_delay_alu instid0(VALU_DEP_1) | instskip(NEXT) | instid1(VALU_DEP_1)
	v_bfe_u32 v4, v1, 16, 1
	v_add3_u32 v1, v1, v4, 0x7fff
	s_delay_alu instid0(VALU_DEP_1)
	v_lshrrev_b32_e32 v1, 16, v1
	global_store_b32 v[2:3], v1, off
	s_branch .LBB79_48
.LBB79_33:
	s_mov_b32 s24, 0
	s_mov_b32 s1, 0
                                        ; implicit-def: $vgpr1
	s_cbranch_execnz .LBB79_182
	s_branch .LBB79_216
.LBB79_34:
	s_mov_b32 s1, 0
	s_mov_b32 s26, 0
	s_cbranch_execnz .LBB79_117
.LBB79_35:
	s_and_not1_b32 vcc_lo, exec_lo, s26
	s_cbranch_vccz .LBB79_155
	s_branch .LBB79_265
.LBB79_36:
	s_mov_b32 s18, -1
	s_mov_b32 s24, 0
	s_mov_b32 s1, 0
                                        ; implicit-def: $vgpr1
	s_branch .LBB79_163
.LBB79_37:
	s_mov_b32 s27, -1
	s_mov_b32 s1, 0
	s_mov_b32 s26, 0
	s_branch .LBB79_75
.LBB79_38:
	s_mov_b32 s18, -1
	s_mov_b32 s24, 0
	s_mov_b32 s1, 0
                                        ; implicit-def: $vgpr1
	s_branch .LBB79_158
.LBB79_39:
	s_mov_b32 s27, -1
	s_mov_b32 s1, 0
	s_mov_b32 s26, 0
	s_branch .LBB79_58
.LBB79_40:
	s_mov_b32 s18, -1
	s_mov_b32 s24, 0
	s_branch .LBB79_43
.LBB79_41:
	s_mov_b32 s27, -1
	s_mov_b32 s1, 0
	s_mov_b32 s26, 0
	s_branch .LBB79_54
.LBB79_42:
	s_mov_b32 s24, -1
.LBB79_43:
	s_mov_b32 s1, 0
                                        ; implicit-def: $vgpr1
.LBB79_44:
	s_and_b32 vcc_lo, exec_lo, s18
	s_cbranch_vccz .LBB79_157
; %bb.45:
	s_cmp_eq_u32 s0, 44
	s_cbranch_scc0 .LBB79_156
; %bb.46:
	global_load_u8 v1, v[4:5], off
	s_mov_b32 s24, 0
	s_mov_b32 s1, -1
	s_wait_loadcnt 0x0
	v_lshlrev_b32_e32 v3, 23, v1
	v_cmp_ne_u32_e32 vcc_lo, 0xff, v1
	s_delay_alu instid0(VALU_DEP_2) | instskip(SKIP_1) | instid1(VALU_DEP_2)
	v_cndmask_b32_e32 v3, 0x7f800001, v3, vcc_lo
	v_cmp_ne_u32_e32 vcc_lo, 0, v1
	v_cndmask_b32_e32 v1, 0x400000, v3, vcc_lo
	s_branch .LBB79_157
.LBB79_47:
	s_mov_b32 s27, -1
	s_mov_b32 s1, 0
	s_mov_b32 s26, 0
.LBB79_48:
	s_and_b32 vcc_lo, exec_lo, s27
	s_cbranch_vccz .LBB79_53
; %bb.49:
	s_cmp_eq_u32 s25, 44
	s_mov_b32 s1, -1
	s_cbranch_scc0 .LBB79_53
; %bb.50:
	v_cndmask_b32_e64 v5, 0, 1.0, s0
	s_mov_b32 s26, exec_lo
	s_wait_xcnt 0x0
	s_delay_alu instid0(VALU_DEP_1) | instskip(NEXT) | instid1(VALU_DEP_1)
	v_dual_mov_b32 v4, 0xff :: v_dual_lshrrev_b32 v1, 23, v5
	v_cmpx_ne_u32_e32 0xff, v1
; %bb.51:
	v_and_b32_e32 v4, 0x400000, v5
	v_and_or_b32 v5, 0x3fffff, v5, v1
	s_delay_alu instid0(VALU_DEP_2) | instskip(NEXT) | instid1(VALU_DEP_2)
	v_cmp_ne_u32_e32 vcc_lo, 0, v4
	v_cmp_ne_u32_e64 s1, 0, v5
	s_and_b32 s1, vcc_lo, s1
	s_delay_alu instid0(SALU_CYCLE_1) | instskip(NEXT) | instid1(VALU_DEP_1)
	v_cndmask_b32_e64 v4, 0, 1, s1
	v_add_nc_u32_e32 v4, v1, v4
; %bb.52:
	s_or_b32 exec_lo, exec_lo, s26
	s_mov_b32 s26, -1
	s_mov_b32 s1, 0
	global_store_b8 v[2:3], v4, off
.LBB79_53:
	s_mov_b32 s27, 0
.LBB79_54:
	s_delay_alu instid0(SALU_CYCLE_1)
	s_and_b32 vcc_lo, exec_lo, s27
	s_cbranch_vccz .LBB79_57
; %bb.55:
	s_cmp_eq_u32 s25, 29
	s_mov_b32 s1, -1
	s_cbranch_scc0 .LBB79_57
; %bb.56:
	s_mov_b32 s1, 0
	s_wait_xcnt 0x0
	v_cndmask_b32_e64 v4, 0, 1, s0
	v_mov_b32_e32 v5, s1
	s_mov_b32 s26, -1
	s_mov_b32 s27, 0
	global_store_b64 v[2:3], v[4:5], off
	s_branch .LBB79_58
.LBB79_57:
	s_mov_b32 s27, 0
.LBB79_58:
	s_delay_alu instid0(SALU_CYCLE_1)
	s_and_b32 vcc_lo, exec_lo, s27
	s_cbranch_vccz .LBB79_74
; %bb.59:
	s_cmp_lt_i32 s25, 27
	s_mov_b32 s26, -1
	s_cbranch_scc1 .LBB79_65
; %bb.60:
	s_cmp_gt_i32 s25, 27
	s_cbranch_scc0 .LBB79_62
; %bb.61:
	s_wait_xcnt 0x0
	v_cndmask_b32_e64 v1, 0, 1, s0
	s_mov_b32 s26, 0
	global_store_b32 v[2:3], v1, off
.LBB79_62:
	s_and_not1_b32 vcc_lo, exec_lo, s26
	s_cbranch_vccnz .LBB79_64
; %bb.63:
	s_wait_xcnt 0x0
	v_cndmask_b32_e64 v1, 0, 1, s0
	global_store_b16 v[2:3], v1, off
.LBB79_64:
	s_mov_b32 s26, 0
.LBB79_65:
	s_delay_alu instid0(SALU_CYCLE_1)
	s_and_not1_b32 vcc_lo, exec_lo, s26
	s_cbranch_vccnz .LBB79_73
; %bb.66:
	s_wait_xcnt 0x0
	v_cndmask_b32_e64 v4, 0, 1.0, s0
	v_mov_b32_e32 v5, 0x80
	s_mov_b32 s26, exec_lo
	s_delay_alu instid0(VALU_DEP_2)
	v_cmpx_gt_u32_e32 0x43800000, v4
	s_cbranch_execz .LBB79_72
; %bb.67:
	s_mov_b32 s27, 0
	s_mov_b32 s39, exec_lo
                                        ; implicit-def: $vgpr1
	v_cmpx_lt_u32_e32 0x3bffffff, v4
	s_xor_b32 s39, exec_lo, s39
	s_cbranch_execz .LBB79_310
; %bb.68:
	v_bfe_u32 v1, v4, 20, 1
	s_mov_b32 s27, exec_lo
	s_delay_alu instid0(VALU_DEP_1) | instskip(NEXT) | instid1(VALU_DEP_1)
	v_add3_u32 v1, v4, v1, 0x487ffff
                                        ; implicit-def: $vgpr4
	v_lshrrev_b32_e32 v1, 20, v1
	s_and_not1_saveexec_b32 s39, s39
	s_cbranch_execnz .LBB79_311
.LBB79_69:
	s_or_b32 exec_lo, exec_lo, s39
	v_mov_b32_e32 v5, 0
	s_and_saveexec_b32 s39, s27
.LBB79_70:
	v_mov_b32_e32 v5, v1
.LBB79_71:
	s_or_b32 exec_lo, exec_lo, s39
.LBB79_72:
	s_delay_alu instid0(SALU_CYCLE_1)
	s_or_b32 exec_lo, exec_lo, s26
	global_store_b8 v[2:3], v5, off
.LBB79_73:
	s_mov_b32 s26, -1
.LBB79_74:
	s_mov_b32 s27, 0
.LBB79_75:
	s_delay_alu instid0(SALU_CYCLE_1)
	s_and_b32 vcc_lo, exec_lo, s27
	s_cbranch_vccz .LBB79_116
; %bb.76:
	s_cmp_gt_i32 s25, 22
	s_mov_b32 s27, -1
	s_cbranch_scc0 .LBB79_108
; %bb.77:
	s_cmp_lt_i32 s25, 24
	s_mov_b32 s26, -1
	s_cbranch_scc1 .LBB79_97
; %bb.78:
	s_cmp_gt_i32 s25, 24
	s_cbranch_scc0 .LBB79_86
; %bb.79:
	s_wait_xcnt 0x0
	v_cndmask_b32_e64 v4, 0, 1.0, s0
	v_mov_b32_e32 v5, 0x80
	s_mov_b32 s26, exec_lo
	s_delay_alu instid0(VALU_DEP_2)
	v_cmpx_gt_u32_e32 0x47800000, v4
	s_cbranch_execz .LBB79_85
; %bb.80:
	s_mov_b32 s27, 0
	s_mov_b32 s39, exec_lo
                                        ; implicit-def: $vgpr1
	v_cmpx_lt_u32_e32 0x37ffffff, v4
	s_xor_b32 s39, exec_lo, s39
	s_cbranch_execz .LBB79_314
; %bb.81:
	v_bfe_u32 v1, v4, 21, 1
	s_mov_b32 s27, exec_lo
	s_delay_alu instid0(VALU_DEP_1) | instskip(NEXT) | instid1(VALU_DEP_1)
	v_add3_u32 v1, v4, v1, 0x88fffff
                                        ; implicit-def: $vgpr4
	v_lshrrev_b32_e32 v1, 21, v1
	s_and_not1_saveexec_b32 s39, s39
	s_cbranch_execnz .LBB79_315
.LBB79_82:
	s_or_b32 exec_lo, exec_lo, s39
	v_mov_b32_e32 v5, 0
	s_and_saveexec_b32 s39, s27
.LBB79_83:
	v_mov_b32_e32 v5, v1
.LBB79_84:
	s_or_b32 exec_lo, exec_lo, s39
.LBB79_85:
	s_delay_alu instid0(SALU_CYCLE_1)
	s_or_b32 exec_lo, exec_lo, s26
	s_mov_b32 s26, 0
	global_store_b8 v[2:3], v5, off
.LBB79_86:
	s_and_b32 vcc_lo, exec_lo, s26
	s_cbranch_vccz .LBB79_96
; %bb.87:
	s_wait_xcnt 0x0
	v_cndmask_b32_e64 v4, 0, 1.0, s0
	s_mov_b32 s26, exec_lo
                                        ; implicit-def: $vgpr1
	s_delay_alu instid0(VALU_DEP_1)
	v_cmpx_gt_u32_e32 0x43f00000, v4
	s_xor_b32 s26, exec_lo, s26
	s_cbranch_execz .LBB79_93
; %bb.88:
	s_mov_b32 s27, exec_lo
                                        ; implicit-def: $vgpr1
	v_cmpx_lt_u32_e32 0x3c7fffff, v4
	s_xor_b32 s27, exec_lo, s27
; %bb.89:
	v_bfe_u32 v1, v4, 20, 1
	s_delay_alu instid0(VALU_DEP_1) | instskip(NEXT) | instid1(VALU_DEP_1)
	v_add3_u32 v1, v4, v1, 0x407ffff
	v_and_b32_e32 v4, 0xff00000, v1
	v_lshrrev_b32_e32 v1, 20, v1
	s_delay_alu instid0(VALU_DEP_2) | instskip(NEXT) | instid1(VALU_DEP_2)
	v_cmp_ne_u32_e32 vcc_lo, 0x7f00000, v4
                                        ; implicit-def: $vgpr4
	v_cndmask_b32_e32 v1, 0x7e, v1, vcc_lo
; %bb.90:
	s_and_not1_saveexec_b32 s27, s27
; %bb.91:
	v_add_f32_e32 v1, 0x46800000, v4
; %bb.92:
	s_or_b32 exec_lo, exec_lo, s27
                                        ; implicit-def: $vgpr4
.LBB79_93:
	s_and_not1_saveexec_b32 s26, s26
; %bb.94:
	v_mov_b32_e32 v1, 0x7f
	v_cmp_lt_u32_e32 vcc_lo, 0x7f800000, v4
	s_delay_alu instid0(VALU_DEP_2)
	v_cndmask_b32_e32 v1, 0x7e, v1, vcc_lo
; %bb.95:
	s_or_b32 exec_lo, exec_lo, s26
	global_store_b8 v[2:3], v1, off
.LBB79_96:
	s_mov_b32 s26, 0
.LBB79_97:
	s_delay_alu instid0(SALU_CYCLE_1)
	s_and_not1_b32 vcc_lo, exec_lo, s26
	s_cbranch_vccnz .LBB79_107
; %bb.98:
	s_wait_xcnt 0x0
	v_cndmask_b32_e64 v4, 0, 1.0, s0
	s_mov_b32 s26, exec_lo
                                        ; implicit-def: $vgpr1
	s_delay_alu instid0(VALU_DEP_1)
	v_cmpx_gt_u32_e32 0x47800000, v4
	s_xor_b32 s26, exec_lo, s26
	s_cbranch_execz .LBB79_104
; %bb.99:
	s_mov_b32 s27, exec_lo
                                        ; implicit-def: $vgpr1
	v_cmpx_lt_u32_e32 0x387fffff, v4
	s_xor_b32 s27, exec_lo, s27
; %bb.100:
	v_bfe_u32 v1, v4, 21, 1
	s_delay_alu instid0(VALU_DEP_1) | instskip(NEXT) | instid1(VALU_DEP_1)
	v_add3_u32 v1, v4, v1, 0x80fffff
                                        ; implicit-def: $vgpr4
	v_lshrrev_b32_e32 v1, 21, v1
; %bb.101:
	s_and_not1_saveexec_b32 s27, s27
; %bb.102:
	v_add_f32_e32 v1, 0x43000000, v4
; %bb.103:
	s_or_b32 exec_lo, exec_lo, s27
                                        ; implicit-def: $vgpr4
.LBB79_104:
	s_and_not1_saveexec_b32 s26, s26
; %bb.105:
	v_mov_b32_e32 v1, 0x7f
	v_cmp_lt_u32_e32 vcc_lo, 0x7f800000, v4
	s_delay_alu instid0(VALU_DEP_2)
	v_cndmask_b32_e32 v1, 0x7c, v1, vcc_lo
; %bb.106:
	s_or_b32 exec_lo, exec_lo, s26
	global_store_b8 v[2:3], v1, off
.LBB79_107:
	s_mov_b32 s27, 0
	s_mov_b32 s26, -1
.LBB79_108:
	s_and_not1_b32 vcc_lo, exec_lo, s27
	s_cbranch_vccnz .LBB79_116
; %bb.109:
	s_cmp_gt_i32 s25, 14
	s_mov_b32 s27, -1
	s_cbranch_scc0 .LBB79_113
; %bb.110:
	s_cmp_eq_u32 s25, 15
	s_mov_b32 s1, -1
	s_cbranch_scc0 .LBB79_112
; %bb.111:
	s_wait_xcnt 0x0
	v_cndmask_b32_e64 v1, 0, 1.0, s0
	s_mov_b32 s26, -1
	s_mov_b32 s1, 0
	s_delay_alu instid0(VALU_DEP_1) | instskip(NEXT) | instid1(VALU_DEP_1)
	v_bfe_u32 v4, v1, 16, 1
	v_add3_u32 v1, v1, v4, 0x7fff
	global_store_d16_hi_b16 v[2:3], v1, off
.LBB79_112:
	s_mov_b32 s27, 0
.LBB79_113:
	s_delay_alu instid0(SALU_CYCLE_1)
	s_and_b32 vcc_lo, exec_lo, s27
	s_cbranch_vccz .LBB79_116
; %bb.114:
	s_cmp_eq_u32 s25, 11
	s_mov_b32 s1, -1
	s_cbranch_scc0 .LBB79_116
; %bb.115:
	s_wait_xcnt 0x0
	v_cndmask_b32_e64 v1, 0, 1, s0
	s_mov_b32 s26, -1
	s_mov_b32 s1, 0
	global_store_b8 v[2:3], v1, off
.LBB79_116:
	s_branch .LBB79_35
.LBB79_117:
	s_and_b32 s18, 0xffff, s18
	s_mov_b32 s25, -1
	s_cmp_lt_i32 s18, 5
	s_cbranch_scc1 .LBB79_138
; %bb.118:
	s_cmp_lt_i32 s18, 8
	s_cbranch_scc1 .LBB79_128
; %bb.119:
	;; [unrolled: 3-line block ×3, first 2 shown]
	s_cmp_gt_i32 s18, 9
	s_cbranch_scc0 .LBB79_122
; %bb.121:
	s_wait_xcnt 0x0
	v_cndmask_b32_e64 v1, 0, 1, s0
	v_mov_b32_e32 v6, 0
	s_mov_b32 s25, 0
	s_delay_alu instid0(VALU_DEP_2) | instskip(NEXT) | instid1(VALU_DEP_2)
	v_cvt_f64_u32_e32 v[4:5], v1
	v_mov_b32_e32 v7, v6
	global_store_b128 v[2:3], v[4:7], off
.LBB79_122:
	s_and_not1_b32 vcc_lo, exec_lo, s25
	s_cbranch_vccnz .LBB79_124
; %bb.123:
	s_wait_xcnt 0x0
	v_cndmask_b32_e64 v4, 0, 1.0, s0
	v_mov_b32_e32 v5, 0
	global_store_b64 v[2:3], v[4:5], off
.LBB79_124:
	s_mov_b32 s25, 0
.LBB79_125:
	s_delay_alu instid0(SALU_CYCLE_1)
	s_and_not1_b32 vcc_lo, exec_lo, s25
	s_cbranch_vccnz .LBB79_127
; %bb.126:
	s_wait_xcnt 0x0
	v_cndmask_b32_e64 v1, 0, 1.0, s0
	s_delay_alu instid0(VALU_DEP_1) | instskip(NEXT) | instid1(VALU_DEP_1)
	v_cvt_f16_f32_e32 v1, v1
	v_and_b32_e32 v1, 0xffff, v1
	global_store_b32 v[2:3], v1, off
.LBB79_127:
	s_mov_b32 s25, 0
.LBB79_128:
	s_delay_alu instid0(SALU_CYCLE_1)
	s_and_not1_b32 vcc_lo, exec_lo, s25
	s_cbranch_vccnz .LBB79_137
; %bb.129:
	s_cmp_lt_i32 s18, 6
	s_mov_b32 s25, -1
	s_cbranch_scc1 .LBB79_135
; %bb.130:
	s_cmp_gt_i32 s18, 6
	s_cbranch_scc0 .LBB79_132
; %bb.131:
	s_wait_xcnt 0x0
	v_cndmask_b32_e64 v1, 0, 1, s0
	s_mov_b32 s25, 0
	s_delay_alu instid0(VALU_DEP_1)
	v_cvt_f64_u32_e32 v[4:5], v1
	global_store_b64 v[2:3], v[4:5], off
.LBB79_132:
	s_and_not1_b32 vcc_lo, exec_lo, s25
	s_cbranch_vccnz .LBB79_134
; %bb.133:
	s_wait_xcnt 0x0
	v_cndmask_b32_e64 v1, 0, 1.0, s0
	global_store_b32 v[2:3], v1, off
.LBB79_134:
	s_mov_b32 s25, 0
.LBB79_135:
	s_delay_alu instid0(SALU_CYCLE_1)
	s_and_not1_b32 vcc_lo, exec_lo, s25
	s_cbranch_vccnz .LBB79_137
; %bb.136:
	s_wait_xcnt 0x0
	v_cndmask_b32_e64 v1, 0, 1.0, s0
	s_delay_alu instid0(VALU_DEP_1)
	v_cvt_f16_f32_e32 v1, v1
	global_store_b16 v[2:3], v1, off
.LBB79_137:
	s_mov_b32 s25, 0
.LBB79_138:
	s_delay_alu instid0(SALU_CYCLE_1)
	s_and_not1_b32 vcc_lo, exec_lo, s25
	s_cbranch_vccnz .LBB79_154
; %bb.139:
	s_cmp_lt_i32 s18, 2
	s_mov_b32 s25, -1
	s_cbranch_scc1 .LBB79_149
; %bb.140:
	s_cmp_lt_i32 s18, 3
	s_cbranch_scc1 .LBB79_146
; %bb.141:
	s_cmp_gt_i32 s18, 3
	s_cbranch_scc0 .LBB79_143
; %bb.142:
	s_mov_b32 s25, 0
	s_wait_xcnt 0x0
	v_cndmask_b32_e64 v4, 0, 1, s0
	v_mov_b32_e32 v5, s25
	global_store_b64 v[2:3], v[4:5], off
.LBB79_143:
	s_and_not1_b32 vcc_lo, exec_lo, s25
	s_cbranch_vccnz .LBB79_145
; %bb.144:
	s_wait_xcnt 0x0
	v_cndmask_b32_e64 v1, 0, 1, s0
	global_store_b32 v[2:3], v1, off
.LBB79_145:
	s_mov_b32 s25, 0
.LBB79_146:
	s_delay_alu instid0(SALU_CYCLE_1)
	s_and_not1_b32 vcc_lo, exec_lo, s25
	s_cbranch_vccnz .LBB79_148
; %bb.147:
	s_wait_xcnt 0x0
	v_cndmask_b32_e64 v1, 0, 1, s0
	global_store_b16 v[2:3], v1, off
.LBB79_148:
	s_mov_b32 s25, 0
.LBB79_149:
	s_delay_alu instid0(SALU_CYCLE_1)
	s_and_not1_b32 vcc_lo, exec_lo, s25
	s_cbranch_vccnz .LBB79_154
; %bb.150:
	s_cmp_gt_i32 s18, 0
	s_mov_b32 s18, -1
	s_cbranch_scc0 .LBB79_152
; %bb.151:
	s_wait_xcnt 0x0
	v_cndmask_b32_e64 v1, 0, 1, s0
	s_mov_b32 s18, 0
	global_store_b8 v[2:3], v1, off
.LBB79_152:
	s_and_not1_b32 vcc_lo, exec_lo, s18
	s_cbranch_vccnz .LBB79_154
; %bb.153:
	s_wait_xcnt 0x0
	v_cndmask_b32_e64 v1, 0, 1, s0
	global_store_b8 v[2:3], v1, off
.LBB79_154:
.LBB79_155:
	v_add_nc_u32_e32 v0, 0x80, v0
	s_mov_b32 s0, -1
	s_branch .LBB79_266
.LBB79_156:
	s_mov_b32 s24, -1
                                        ; implicit-def: $vgpr1
.LBB79_157:
	s_mov_b32 s18, 0
.LBB79_158:
	s_delay_alu instid0(SALU_CYCLE_1)
	s_and_b32 vcc_lo, exec_lo, s18
	s_cbranch_vccz .LBB79_162
; %bb.159:
	s_cmp_eq_u32 s0, 29
	s_cbranch_scc0 .LBB79_161
; %bb.160:
	global_load_b64 v[6:7], v[4:5], off
	s_mov_b32 s1, -1
	s_mov_b32 s24, 0
	s_mov_b32 s18, 0
	s_wait_loadcnt 0x0
	v_clz_i32_u32_e32 v1, v7
	s_delay_alu instid0(VALU_DEP_1) | instskip(NEXT) | instid1(VALU_DEP_1)
	v_min_u32_e32 v1, 32, v1
	v_lshlrev_b64_e32 v[6:7], v1, v[6:7]
	v_sub_nc_u32_e32 v1, 32, v1
	s_delay_alu instid0(VALU_DEP_2) | instskip(NEXT) | instid1(VALU_DEP_1)
	v_min_u32_e32 v3, 1, v6
	v_or_b32_e32 v3, v7, v3
	s_delay_alu instid0(VALU_DEP_1) | instskip(NEXT) | instid1(VALU_DEP_1)
	v_cvt_f32_u32_e32 v3, v3
	v_ldexp_f32 v1, v3, v1
	s_branch .LBB79_163
.LBB79_161:
	s_mov_b32 s24, -1
                                        ; implicit-def: $vgpr1
.LBB79_162:
	s_mov_b32 s18, 0
.LBB79_163:
	s_delay_alu instid0(SALU_CYCLE_1)
	s_and_b32 vcc_lo, exec_lo, s18
	s_cbranch_vccz .LBB79_181
; %bb.164:
	s_cmp_lt_i32 s0, 27
	s_cbranch_scc1 .LBB79_167
; %bb.165:
	s_cmp_gt_i32 s0, 27
	s_cbranch_scc0 .LBB79_168
; %bb.166:
	global_load_b32 v1, v[4:5], off
	s_mov_b32 s1, 0
	s_wait_loadcnt 0x0
	v_cvt_f32_u32_e32 v1, v1
	s_branch .LBB79_169
.LBB79_167:
	s_mov_b32 s1, -1
                                        ; implicit-def: $vgpr1
	s_branch .LBB79_172
.LBB79_168:
	s_mov_b32 s1, -1
                                        ; implicit-def: $vgpr1
.LBB79_169:
	s_delay_alu instid0(SALU_CYCLE_1)
	s_and_not1_b32 vcc_lo, exec_lo, s1
	s_cbranch_vccnz .LBB79_171
; %bb.170:
	global_load_u16 v1, v[4:5], off
	s_wait_loadcnt 0x0
	v_cvt_f32_u32_e32 v1, v1
.LBB79_171:
	s_mov_b32 s1, 0
.LBB79_172:
	s_delay_alu instid0(SALU_CYCLE_1)
	s_and_not1_b32 vcc_lo, exec_lo, s1
	s_cbranch_vccnz .LBB79_180
; %bb.173:
	global_load_u8 v3, v[4:5], off
	s_mov_b32 s1, 0
	s_mov_b32 s18, exec_lo
	s_wait_loadcnt 0x0
	v_cmpx_lt_i16_e32 0x7f, v3
	s_xor_b32 s18, exec_lo, s18
	s_cbranch_execz .LBB79_193
; %bb.174:
	s_mov_b32 s1, -1
	s_mov_b32 s25, exec_lo
	v_cmpx_eq_u16_e32 0x80, v3
; %bb.175:
	s_xor_b32 s1, exec_lo, -1
; %bb.176:
	s_or_b32 exec_lo, exec_lo, s25
	s_delay_alu instid0(SALU_CYCLE_1)
	s_and_b32 s1, s1, exec_lo
	s_or_saveexec_b32 s18, s18
	v_mov_b32_e32 v1, 0x7f800001
	s_xor_b32 exec_lo, exec_lo, s18
	s_cbranch_execnz .LBB79_194
.LBB79_177:
	s_or_b32 exec_lo, exec_lo, s18
	s_and_saveexec_b32 s18, s1
	s_cbranch_execz .LBB79_179
.LBB79_178:
	v_and_b32_e32 v1, 0xffff, v3
	s_delay_alu instid0(VALU_DEP_1) | instskip(SKIP_1) | instid1(VALU_DEP_2)
	v_and_b32_e32 v6, 7, v1
	v_bfe_u32 v9, v1, 3, 4
	v_clz_i32_u32_e32 v7, v6
	s_delay_alu instid0(VALU_DEP_2) | instskip(NEXT) | instid1(VALU_DEP_2)
	v_cmp_eq_u32_e32 vcc_lo, 0, v9
	v_min_u32_e32 v7, 32, v7
	s_delay_alu instid0(VALU_DEP_1) | instskip(NEXT) | instid1(VALU_DEP_1)
	v_subrev_nc_u32_e32 v8, 28, v7
	v_dual_lshlrev_b32 v1, v8, v1 :: v_dual_sub_nc_u32 v7, 29, v7
	s_delay_alu instid0(VALU_DEP_1) | instskip(NEXT) | instid1(VALU_DEP_1)
	v_dual_lshlrev_b32 v3, 24, v3 :: v_dual_bitop2_b32 v1, 7, v1 bitop3:0x40
	v_dual_cndmask_b32 v1, v6, v1, vcc_lo :: v_dual_cndmask_b32 v7, v9, v7, vcc_lo
	s_delay_alu instid0(VALU_DEP_2) | instskip(NEXT) | instid1(VALU_DEP_2)
	v_and_b32_e32 v3, 0x80000000, v3
	v_lshlrev_b32_e32 v1, 20, v1
	s_delay_alu instid0(VALU_DEP_3) | instskip(NEXT) | instid1(VALU_DEP_1)
	v_lshl_add_u32 v6, v7, 23, 0x3b800000
	v_or3_b32 v1, v3, v6, v1
.LBB79_179:
	s_or_b32 exec_lo, exec_lo, s18
.LBB79_180:
	s_mov_b32 s1, -1
.LBB79_181:
	s_branch .LBB79_216
.LBB79_182:
	s_cmp_gt_i32 s0, 22
	s_cbranch_scc0 .LBB79_192
; %bb.183:
	s_cmp_lt_i32 s0, 24
	s_cbranch_scc1 .LBB79_195
; %bb.184:
	s_cmp_gt_i32 s0, 24
	s_cbranch_scc0 .LBB79_196
; %bb.185:
	global_load_u8 v3, v[4:5], off
	s_mov_b32 s1, 0
	s_mov_b32 s18, exec_lo
	s_wait_loadcnt 0x0
	v_cmpx_lt_i16_e32 0x7f, v3
	s_xor_b32 s18, exec_lo, s18
	s_cbranch_execz .LBB79_208
; %bb.186:
	s_mov_b32 s1, -1
	s_mov_b32 s25, exec_lo
	v_cmpx_eq_u16_e32 0x80, v3
; %bb.187:
	s_xor_b32 s1, exec_lo, -1
; %bb.188:
	s_or_b32 exec_lo, exec_lo, s25
	s_delay_alu instid0(SALU_CYCLE_1)
	s_and_b32 s1, s1, exec_lo
	s_or_saveexec_b32 s18, s18
	v_mov_b32_e32 v1, 0x7f800001
	s_xor_b32 exec_lo, exec_lo, s18
	s_cbranch_execnz .LBB79_209
.LBB79_189:
	s_or_b32 exec_lo, exec_lo, s18
	s_and_saveexec_b32 s18, s1
	s_cbranch_execz .LBB79_191
.LBB79_190:
	v_and_b32_e32 v1, 0xffff, v3
	s_delay_alu instid0(VALU_DEP_1) | instskip(SKIP_1) | instid1(VALU_DEP_2)
	v_and_b32_e32 v6, 3, v1
	v_bfe_u32 v9, v1, 2, 5
	v_clz_i32_u32_e32 v7, v6
	s_delay_alu instid0(VALU_DEP_2) | instskip(NEXT) | instid1(VALU_DEP_2)
	v_cmp_eq_u32_e32 vcc_lo, 0, v9
	v_min_u32_e32 v7, 32, v7
	s_delay_alu instid0(VALU_DEP_1) | instskip(NEXT) | instid1(VALU_DEP_1)
	v_subrev_nc_u32_e32 v8, 29, v7
	v_dual_lshlrev_b32 v1, v8, v1 :: v_dual_sub_nc_u32 v7, 30, v7
	s_delay_alu instid0(VALU_DEP_1) | instskip(NEXT) | instid1(VALU_DEP_1)
	v_dual_lshlrev_b32 v3, 24, v3 :: v_dual_bitop2_b32 v1, 3, v1 bitop3:0x40
	v_dual_cndmask_b32 v1, v6, v1, vcc_lo :: v_dual_cndmask_b32 v7, v9, v7, vcc_lo
	s_delay_alu instid0(VALU_DEP_2) | instskip(NEXT) | instid1(VALU_DEP_2)
	v_and_b32_e32 v3, 0x80000000, v3
	v_lshlrev_b32_e32 v1, 21, v1
	s_delay_alu instid0(VALU_DEP_3) | instskip(NEXT) | instid1(VALU_DEP_1)
	v_lshl_add_u32 v6, v7, 23, 0x37800000
	v_or3_b32 v1, v3, v6, v1
.LBB79_191:
	s_or_b32 exec_lo, exec_lo, s18
	s_mov_b32 s1, 0
	s_branch .LBB79_197
.LBB79_192:
	s_mov_b32 s18, -1
                                        ; implicit-def: $vgpr1
	s_branch .LBB79_203
.LBB79_193:
	s_or_saveexec_b32 s18, s18
	v_mov_b32_e32 v1, 0x7f800001
	s_xor_b32 exec_lo, exec_lo, s18
	s_cbranch_execz .LBB79_177
.LBB79_194:
	v_cmp_ne_u16_e32 vcc_lo, 0, v3
	v_mov_b32_e32 v1, 0
	s_and_not1_b32 s1, s1, exec_lo
	s_and_b32 s25, vcc_lo, exec_lo
	s_delay_alu instid0(SALU_CYCLE_1)
	s_or_b32 s1, s1, s25
	s_or_b32 exec_lo, exec_lo, s18
	s_and_saveexec_b32 s18, s1
	s_cbranch_execnz .LBB79_178
	s_branch .LBB79_179
.LBB79_195:
	s_mov_b32 s1, -1
                                        ; implicit-def: $vgpr1
	s_branch .LBB79_200
.LBB79_196:
	s_mov_b32 s1, -1
                                        ; implicit-def: $vgpr1
.LBB79_197:
	s_delay_alu instid0(SALU_CYCLE_1)
	s_and_b32 vcc_lo, exec_lo, s1
	s_cbranch_vccz .LBB79_199
; %bb.198:
	global_load_u8 v1, v[4:5], off
	s_wait_loadcnt 0x0
	v_lshlrev_b32_e32 v1, 24, v1
	s_delay_alu instid0(VALU_DEP_1) | instskip(NEXT) | instid1(VALU_DEP_1)
	v_and_b32_e32 v3, 0x7f000000, v1
	v_clz_i32_u32_e32 v6, v3
	v_cmp_ne_u32_e32 vcc_lo, 0, v3
	v_add_nc_u32_e32 v8, 0x1000000, v3
	s_delay_alu instid0(VALU_DEP_3) | instskip(NEXT) | instid1(VALU_DEP_1)
	v_min_u32_e32 v6, 32, v6
	v_sub_nc_u32_e64 v6, v6, 4 clamp
	s_delay_alu instid0(VALU_DEP_1) | instskip(NEXT) | instid1(VALU_DEP_1)
	v_dual_lshlrev_b32 v7, v6, v3 :: v_dual_lshlrev_b32 v6, 23, v6
	v_lshrrev_b32_e32 v7, 4, v7
	s_delay_alu instid0(VALU_DEP_1) | instskip(NEXT) | instid1(VALU_DEP_1)
	v_dual_sub_nc_u32 v6, v7, v6 :: v_dual_ashrrev_i32 v7, 8, v8
	v_add_nc_u32_e32 v6, 0x3c000000, v6
	s_delay_alu instid0(VALU_DEP_1) | instskip(NEXT) | instid1(VALU_DEP_1)
	v_and_or_b32 v6, 0x7f800000, v7, v6
	v_cndmask_b32_e32 v3, 0, v6, vcc_lo
	s_delay_alu instid0(VALU_DEP_1)
	v_and_or_b32 v1, 0x80000000, v1, v3
.LBB79_199:
	s_mov_b32 s1, 0
.LBB79_200:
	s_delay_alu instid0(SALU_CYCLE_1)
	s_and_not1_b32 vcc_lo, exec_lo, s1
	s_cbranch_vccnz .LBB79_202
; %bb.201:
	global_load_u8 v1, v[4:5], off
	s_wait_loadcnt 0x0
	v_lshlrev_b32_e32 v3, 25, v1
	v_lshlrev_b16 v1, 8, v1
	s_delay_alu instid0(VALU_DEP_1) | instskip(SKIP_1) | instid1(VALU_DEP_2)
	v_and_or_b32 v7, 0x7f00, v1, 0.5
	v_bfe_i32 v1, v1, 0, 16
	v_add_f32_e32 v7, -0.5, v7
	v_lshrrev_b32_e32 v6, 4, v3
	v_cmp_gt_u32_e32 vcc_lo, 0x8000000, v3
	s_delay_alu instid0(VALU_DEP_2) | instskip(NEXT) | instid1(VALU_DEP_1)
	v_or_b32_e32 v6, 0x70000000, v6
	v_mul_f32_e32 v6, 0x7800000, v6
	s_delay_alu instid0(VALU_DEP_1) | instskip(NEXT) | instid1(VALU_DEP_1)
	v_cndmask_b32_e32 v3, v6, v7, vcc_lo
	v_and_or_b32 v1, 0x80000000, v1, v3
.LBB79_202:
	s_mov_b32 s18, 0
	s_mov_b32 s1, -1
.LBB79_203:
	s_and_not1_b32 vcc_lo, exec_lo, s18
	s_cbranch_vccnz .LBB79_216
; %bb.204:
	s_cmp_gt_i32 s0, 14
	s_cbranch_scc0 .LBB79_207
; %bb.205:
	s_cmp_eq_u32 s0, 15
	s_cbranch_scc0 .LBB79_210
; %bb.206:
	global_load_u16 v1, v[4:5], off
	s_mov_b32 s1, -1
	s_mov_b32 s24, 0
	s_wait_loadcnt 0x0
	v_lshlrev_b32_e32 v1, 16, v1
	s_branch .LBB79_211
.LBB79_207:
	s_mov_b32 s18, -1
                                        ; implicit-def: $vgpr1
	s_branch .LBB79_212
.LBB79_208:
	s_or_saveexec_b32 s18, s18
	v_mov_b32_e32 v1, 0x7f800001
	s_xor_b32 exec_lo, exec_lo, s18
	s_cbranch_execz .LBB79_189
.LBB79_209:
	v_cmp_ne_u16_e32 vcc_lo, 0, v3
	v_mov_b32_e32 v1, 0
	s_and_not1_b32 s1, s1, exec_lo
	s_and_b32 s25, vcc_lo, exec_lo
	s_delay_alu instid0(SALU_CYCLE_1)
	s_or_b32 s1, s1, s25
	s_or_b32 exec_lo, exec_lo, s18
	s_and_saveexec_b32 s18, s1
	s_cbranch_execnz .LBB79_190
	s_branch .LBB79_191
.LBB79_210:
	s_mov_b32 s24, -1
                                        ; implicit-def: $vgpr1
.LBB79_211:
	s_mov_b32 s18, 0
.LBB79_212:
	s_delay_alu instid0(SALU_CYCLE_1)
	s_and_b32 vcc_lo, exec_lo, s18
	s_cbranch_vccz .LBB79_216
; %bb.213:
	s_cmp_eq_u32 s0, 11
	s_cbranch_scc0 .LBB79_215
; %bb.214:
	global_load_u8 v1, v[4:5], off
	s_mov_b32 s24, 0
	s_mov_b32 s1, -1
	s_wait_loadcnt 0x0
	v_cmp_ne_u16_e32 vcc_lo, 0, v1
	v_cndmask_b32_e64 v1, 0, 1.0, vcc_lo
	s_branch .LBB79_216
.LBB79_215:
	s_mov_b32 s24, -1
                                        ; implicit-def: $vgpr1
.LBB79_216:
	s_branch .LBB79_25
.LBB79_217:
	s_cmp_lt_i32 s0, 5
	s_cbranch_scc1 .LBB79_222
; %bb.218:
	s_cmp_lt_i32 s0, 8
	s_cbranch_scc1 .LBB79_223
; %bb.219:
	;; [unrolled: 3-line block ×3, first 2 shown]
	s_cmp_gt_i32 s0, 9
	s_cbranch_scc0 .LBB79_225
; %bb.221:
	global_load_b64 v[6:7], v[4:5], off
	s_mov_b32 s1, 0
	s_wait_loadcnt 0x0
	v_cvt_f32_f64_e32 v1, v[6:7]
	s_branch .LBB79_226
.LBB79_222:
                                        ; implicit-def: $vgpr1
	s_branch .LBB79_244
.LBB79_223:
	s_mov_b32 s1, -1
                                        ; implicit-def: $vgpr1
	s_branch .LBB79_232
.LBB79_224:
	s_mov_b32 s1, -1
                                        ; implicit-def: $vgpr1
	s_branch .LBB79_229
.LBB79_225:
	s_mov_b32 s1, -1
                                        ; implicit-def: $vgpr1
.LBB79_226:
	s_delay_alu instid0(SALU_CYCLE_1)
	s_and_not1_b32 vcc_lo, exec_lo, s1
	s_cbranch_vccnz .LBB79_228
; %bb.227:
	global_load_b32 v1, v[4:5], off
.LBB79_228:
	s_mov_b32 s1, 0
.LBB79_229:
	s_delay_alu instid0(SALU_CYCLE_1)
	s_and_not1_b32 vcc_lo, exec_lo, s1
	s_cbranch_vccnz .LBB79_231
; %bb.230:
	s_wait_loadcnt 0x0
	global_load_b32 v1, v[4:5], off
	s_wait_loadcnt 0x0
	v_cvt_f32_f16_e32 v1, v1
.LBB79_231:
	s_mov_b32 s1, 0
.LBB79_232:
	s_delay_alu instid0(SALU_CYCLE_1)
	s_and_not1_b32 vcc_lo, exec_lo, s1
	s_cbranch_vccnz .LBB79_243
; %bb.233:
	s_cmp_lt_i32 s0, 6
	s_cbranch_scc1 .LBB79_236
; %bb.234:
	s_cmp_gt_i32 s0, 6
	s_cbranch_scc0 .LBB79_237
; %bb.235:
	global_load_b64 v[6:7], v[4:5], off
	s_mov_b32 s1, 0
	s_wait_loadcnt 0x0
	v_cvt_f32_f64_e32 v1, v[6:7]
	s_branch .LBB79_238
.LBB79_236:
	s_mov_b32 s1, -1
                                        ; implicit-def: $vgpr1
	s_branch .LBB79_241
.LBB79_237:
	s_mov_b32 s1, -1
                                        ; implicit-def: $vgpr1
.LBB79_238:
	s_delay_alu instid0(SALU_CYCLE_1)
	s_and_not1_b32 vcc_lo, exec_lo, s1
	s_cbranch_vccnz .LBB79_240
; %bb.239:
	s_wait_loadcnt 0x0
	global_load_b32 v1, v[4:5], off
.LBB79_240:
	s_mov_b32 s1, 0
.LBB79_241:
	s_delay_alu instid0(SALU_CYCLE_1)
	s_and_not1_b32 vcc_lo, exec_lo, s1
	s_cbranch_vccnz .LBB79_243
; %bb.242:
	s_wait_loadcnt 0x0
	global_load_u16 v1, v[4:5], off
	s_wait_loadcnt 0x0
	v_cvt_f32_f16_e32 v1, v1
.LBB79_243:
	s_cbranch_execnz .LBB79_263
.LBB79_244:
	s_cmp_lt_i32 s0, 2
	s_cbranch_scc1 .LBB79_248
; %bb.245:
	s_cmp_lt_i32 s0, 3
	s_cbranch_scc1 .LBB79_249
; %bb.246:
	s_cmp_gt_i32 s0, 3
	s_cbranch_scc0 .LBB79_250
; %bb.247:
	global_load_b64 v[6:7], v[4:5], off
	s_mov_b32 s1, 0
	s_wait_loadcnt 0x0
	v_xor_b32_e32 v1, v6, v7
	v_cls_i32_e32 v3, v7
	s_delay_alu instid0(VALU_DEP_2) | instskip(NEXT) | instid1(VALU_DEP_1)
	v_ashrrev_i32_e32 v1, 31, v1
	v_add_nc_u32_e32 v1, 32, v1
	s_delay_alu instid0(VALU_DEP_1) | instskip(NEXT) | instid1(VALU_DEP_1)
	v_add_min_u32_e64 v1, v3, -1, v1
	v_lshlrev_b64_e32 v[6:7], v1, v[6:7]
	v_sub_nc_u32_e32 v1, 32, v1
	s_delay_alu instid0(VALU_DEP_2) | instskip(NEXT) | instid1(VALU_DEP_1)
	v_min_u32_e32 v3, 1, v6
	v_or_b32_e32 v3, v7, v3
	s_delay_alu instid0(VALU_DEP_1) | instskip(NEXT) | instid1(VALU_DEP_1)
	v_cvt_f32_i32_e32 v3, v3
	v_ldexp_f32 v1, v3, v1
	s_branch .LBB79_251
.LBB79_248:
	s_mov_b32 s1, -1
                                        ; implicit-def: $vgpr1
	s_branch .LBB79_257
.LBB79_249:
	s_mov_b32 s1, -1
                                        ; implicit-def: $vgpr1
	s_branch .LBB79_254
.LBB79_250:
	s_mov_b32 s1, -1
                                        ; implicit-def: $vgpr1
.LBB79_251:
	s_delay_alu instid0(SALU_CYCLE_1)
	s_and_not1_b32 vcc_lo, exec_lo, s1
	s_cbranch_vccnz .LBB79_253
; %bb.252:
	s_wait_loadcnt 0x0
	global_load_b32 v1, v[4:5], off
	s_wait_loadcnt 0x0
	v_cvt_f32_i32_e32 v1, v1
.LBB79_253:
	s_mov_b32 s1, 0
.LBB79_254:
	s_delay_alu instid0(SALU_CYCLE_1)
	s_and_not1_b32 vcc_lo, exec_lo, s1
	s_cbranch_vccnz .LBB79_256
; %bb.255:
	s_wait_loadcnt 0x0
	global_load_i16 v1, v[4:5], off
	s_wait_loadcnt 0x0
	v_cvt_f32_i32_e32 v1, v1
.LBB79_256:
	s_mov_b32 s1, 0
.LBB79_257:
	s_delay_alu instid0(SALU_CYCLE_1)
	s_and_not1_b32 vcc_lo, exec_lo, s1
	s_cbranch_vccnz .LBB79_263
; %bb.258:
	s_cmp_gt_i32 s0, 0
	s_mov_b32 s0, 0
	s_cbranch_scc0 .LBB79_260
; %bb.259:
	s_wait_loadcnt 0x0
	global_load_i8 v1, v[4:5], off
	s_wait_loadcnt 0x0
	v_cvt_f32_i32_e32 v1, v1
	s_branch .LBB79_261
.LBB79_260:
	s_mov_b32 s0, -1
                                        ; implicit-def: $vgpr1
.LBB79_261:
	s_delay_alu instid0(SALU_CYCLE_1)
	s_and_not1_b32 vcc_lo, exec_lo, s0
	s_cbranch_vccnz .LBB79_263
; %bb.262:
	s_wait_loadcnt 0x0
	global_load_u8 v1, v[4:5], off
	s_wait_loadcnt 0x0
	v_cvt_f32_ubyte0_e32 v1, v1
.LBB79_263:
	s_branch .LBB79_26
.LBB79_264:
	s_mov_b32 s1, 0
.LBB79_265:
	s_mov_b32 s0, 0
                                        ; implicit-def: $vgpr0
.LBB79_266:
	s_and_b32 s18, s1, exec_lo
	s_and_b32 s39, s24, exec_lo
	s_or_not1_b32 s24, s0, exec_lo
.LBB79_267:
	s_wait_xcnt 0x0
	s_or_b32 exec_lo, exec_lo, s40
	s_mov_b32 s25, 0
	s_mov_b32 s0, 0
                                        ; implicit-def: $vgpr4_vgpr5
                                        ; implicit-def: $vgpr2
                                        ; implicit-def: $vgpr6
	s_and_saveexec_b32 s40, s24
	s_cbranch_execz .LBB79_275
; %bb.268:
	s_mov_b32 s0, -1
	s_mov_b32 s41, s39
	s_mov_b32 s42, s18
	s_mov_b32 s43, exec_lo
	v_cmpx_gt_i32_e64 s36, v0
	s_cbranch_execz .LBB79_546
; %bb.269:
	s_and_not1_b32 vcc_lo, exec_lo, s31
	s_cbranch_vccnz .LBB79_278
; %bb.270:
	s_and_not1_b32 vcc_lo, exec_lo, s38
	s_cbranch_vccnz .LBB79_279
; %bb.271:
	s_add_co_i32 s1, s37, 1
	s_cmp_eq_u32 s29, 2
	s_cbranch_scc1 .LBB79_280
; %bb.272:
	v_dual_mov_b32 v2, 0 :: v_dual_mov_b32 v4, 0
	s_wait_loadcnt 0x0
	v_mov_b32_e32 v1, v0
	s_and_b32 s0, s1, 28
	s_mov_b32 s41, 0
	s_mov_b64 s[24:25], s[2:3]
	s_mov_b64 s[26:27], s[22:23]
.LBB79_273:                             ; =>This Inner Loop Header: Depth=1
	s_clause 0x1
	s_load_b256 s[44:51], s[24:25], 0x4
	s_load_b128 s[60:63], s[24:25], 0x24
	s_load_b256 s[52:59], s[26:27], 0x0
	s_add_co_i32 s41, s41, 4
	s_wait_xcnt 0x0
	s_add_nc_u64 s[24:25], s[24:25], 48
	s_cmp_eq_u32 s0, s41
	s_add_nc_u64 s[26:27], s[26:27], 32
	s_wait_kmcnt 0x0
	v_mul_hi_u32 v3, s45, v1
	s_delay_alu instid0(VALU_DEP_1) | instskip(NEXT) | instid1(VALU_DEP_1)
	v_add_nc_u32_e32 v3, v1, v3
	v_lshrrev_b32_e32 v3, s46, v3
	s_delay_alu instid0(VALU_DEP_1) | instskip(NEXT) | instid1(VALU_DEP_1)
	v_mul_hi_u32 v5, s48, v3
	v_add_nc_u32_e32 v5, v3, v5
	s_delay_alu instid0(VALU_DEP_1) | instskip(NEXT) | instid1(VALU_DEP_1)
	v_lshrrev_b32_e32 v5, s49, v5
	v_mul_hi_u32 v6, s51, v5
	s_delay_alu instid0(VALU_DEP_1) | instskip(SKIP_1) | instid1(VALU_DEP_1)
	v_add_nc_u32_e32 v6, v5, v6
	v_mul_lo_u32 v7, v3, s44
	v_sub_nc_u32_e32 v1, v1, v7
	v_mul_lo_u32 v7, v5, s47
	s_delay_alu instid0(VALU_DEP_4) | instskip(NEXT) | instid1(VALU_DEP_3)
	v_lshrrev_b32_e32 v6, s60, v6
	v_mad_u32 v4, v1, s53, v4
	v_mad_u32 v1, v1, s52, v2
	s_delay_alu instid0(VALU_DEP_4) | instskip(NEXT) | instid1(VALU_DEP_4)
	v_sub_nc_u32_e32 v2, v3, v7
	v_mul_hi_u32 v8, s62, v6
	v_mul_lo_u32 v3, v6, s50
	s_delay_alu instid0(VALU_DEP_3) | instskip(SKIP_1) | instid1(VALU_DEP_3)
	v_mad_u32 v4, v2, s55, v4
	v_mad_u32 v2, v2, s54, v1
	v_dual_add_nc_u32 v7, v6, v8 :: v_dual_sub_nc_u32 v3, v5, v3
	s_delay_alu instid0(VALU_DEP_1) | instskip(NEXT) | instid1(VALU_DEP_2)
	v_lshrrev_b32_e32 v1, s63, v7
	v_mad_u32 v4, v3, s57, v4
	s_delay_alu instid0(VALU_DEP_4) | instskip(NEXT) | instid1(VALU_DEP_3)
	v_mad_u32 v2, v3, s56, v2
	v_mul_lo_u32 v5, v1, s61
	s_delay_alu instid0(VALU_DEP_1) | instskip(NEXT) | instid1(VALU_DEP_1)
	v_sub_nc_u32_e32 v3, v6, v5
	v_mad_u32 v4, v3, s59, v4
	s_delay_alu instid0(VALU_DEP_4)
	v_mad_u32 v2, v3, s58, v2
	s_cbranch_scc0 .LBB79_273
; %bb.274:
	s_delay_alu instid0(VALU_DEP_2)
	v_mov_b32_e32 v3, v4
	s_branch .LBB79_281
.LBB79_275:
	s_or_b32 exec_lo, exec_lo, s40
	s_mov_b32 s1, 0
	s_and_saveexec_b32 s6, s39
	s_cbranch_execnz .LBB79_928
.LBB79_276:
	s_or_b32 exec_lo, exec_lo, s6
	s_and_saveexec_b32 s6, s17
	s_delay_alu instid0(SALU_CYCLE_1)
	s_xor_b32 s6, exec_lo, s6
	s_cbranch_execz .LBB79_929
.LBB79_277:
	global_load_u8 v0, v[4:5], off
	s_or_b32 s0, s0, exec_lo
	s_wait_loadcnt 0x0
	v_cmp_ne_u16_e32 vcc_lo, 0, v0
	v_cndmask_b32_e64 v6, 0, 1.0, vcc_lo
	s_wait_xcnt 0x0
	s_or_b32 exec_lo, exec_lo, s6
	s_and_saveexec_b32 s6, s25
	s_cbranch_execz .LBB79_975
	s_branch .LBB79_930
.LBB79_278:
                                        ; implicit-def: $vgpr4
                                        ; implicit-def: $vgpr2
	s_and_not1_b32 vcc_lo, exec_lo, s0
	s_cbranch_vccnz .LBB79_288
	s_branch .LBB79_286
.LBB79_279:
	v_dual_mov_b32 v4, 0 :: v_dual_mov_b32 v2, 0
	s_branch .LBB79_285
.LBB79_280:
	v_mov_b64_e32 v[2:3], 0
	s_wait_loadcnt 0x0
	v_mov_b32_e32 v1, v0
	s_mov_b32 s0, 0
                                        ; implicit-def: $vgpr4
.LBB79_281:
	s_and_b32 s26, s1, 3
	s_mov_b32 s1, 0
	s_cmp_eq_u32 s26, 0
	s_cbranch_scc1 .LBB79_285
; %bb.282:
	s_lshl_b32 s24, s0, 3
	s_mov_b32 s25, s1
	s_mul_u64 s[44:45], s[0:1], 12
	s_add_nc_u64 s[24:25], s[2:3], s[24:25]
	s_delay_alu instid0(SALU_CYCLE_1)
	s_add_nc_u64 s[0:1], s[24:25], 0xc4
	s_add_nc_u64 s[24:25], s[2:3], s[44:45]
.LBB79_283:                             ; =>This Inner Loop Header: Depth=1
	s_load_b96 s[44:46], s[24:25], 0x4
	s_add_co_i32 s26, s26, -1
	s_wait_xcnt 0x0
	s_add_nc_u64 s[24:25], s[24:25], 12
	s_cmp_lg_u32 s26, 0
	s_wait_kmcnt 0x0
	v_mul_hi_u32 v4, s45, v1
	s_delay_alu instid0(VALU_DEP_1) | instskip(NEXT) | instid1(VALU_DEP_1)
	v_add_nc_u32_e32 v4, v1, v4
	v_lshrrev_b32_e32 v4, s46, v4
	s_load_b64 s[46:47], s[0:1], 0x0
	s_wait_xcnt 0x0
	s_add_nc_u64 s[0:1], s[0:1], 8
	s_delay_alu instid0(VALU_DEP_1) | instskip(NEXT) | instid1(VALU_DEP_1)
	v_mul_lo_u32 v5, v4, s44
	v_sub_nc_u32_e32 v1, v1, v5
	s_wait_kmcnt 0x0
	s_delay_alu instid0(VALU_DEP_1)
	v_mad_u32 v3, v1, s47, v3
	v_mad_u32 v2, v1, s46, v2
	v_mov_b32_e32 v1, v4
	s_cbranch_scc1 .LBB79_283
; %bb.284:
	s_delay_alu instid0(VALU_DEP_3)
	v_mov_b32_e32 v4, v3
.LBB79_285:
	s_cbranch_execnz .LBB79_288
.LBB79_286:
	s_wait_loadcnt 0x0
	v_mov_b32_e32 v1, 0
	s_and_not1_b32 vcc_lo, exec_lo, s35
	s_delay_alu instid0(VALU_DEP_1) | instskip(NEXT) | instid1(VALU_DEP_1)
	v_mul_u64_e32 v[2:3], s[16:17], v[0:1]
	v_add_nc_u32_e32 v2, v0, v3
	s_delay_alu instid0(VALU_DEP_1) | instskip(NEXT) | instid1(VALU_DEP_1)
	v_lshrrev_b32_e32 v6, s14, v2
	v_mul_lo_u32 v2, v6, s12
	s_delay_alu instid0(VALU_DEP_1) | instskip(NEXT) | instid1(VALU_DEP_1)
	v_sub_nc_u32_e32 v2, v0, v2
	v_mul_lo_u32 v4, v2, s9
	v_mul_lo_u32 v2, v2, s8
	s_cbranch_vccnz .LBB79_288
; %bb.287:
	v_mov_b32_e32 v7, v1
	s_delay_alu instid0(VALU_DEP_1) | instskip(NEXT) | instid1(VALU_DEP_1)
	v_mul_u64_e32 v[8:9], s[20:21], v[6:7]
	v_add_nc_u32_e32 v1, v6, v9
	s_delay_alu instid0(VALU_DEP_1) | instskip(NEXT) | instid1(VALU_DEP_1)
	v_lshrrev_b32_e32 v1, s19, v1
	v_mul_lo_u32 v1, v1, s15
	s_delay_alu instid0(VALU_DEP_1) | instskip(NEXT) | instid1(VALU_DEP_1)
	v_sub_nc_u32_e32 v1, v6, v1
	v_mad_u32 v2, v1, s10, v2
	v_mad_u32 v4, v1, s11, v4
.LBB79_288:
	v_mov_b32_e32 v5, 0
	s_and_b32 s0, 0xffff, s13
	s_delay_alu instid0(SALU_CYCLE_1) | instskip(NEXT) | instid1(VALU_DEP_1)
	s_cmp_lt_i32 s0, 11
	v_add_nc_u64_e32 v[4:5], s[6:7], v[4:5]
	s_cbranch_scc1 .LBB79_295
; %bb.289:
	s_cmp_gt_i32 s0, 25
	s_cbranch_scc0 .LBB79_304
; %bb.290:
	s_cmp_gt_i32 s0, 28
	s_cbranch_scc0 .LBB79_306
	;; [unrolled: 3-line block ×4, first 2 shown]
; %bb.293:
	s_cmp_eq_u32 s0, 46
	s_mov_b32 s25, 0
	s_cbranch_scc0 .LBB79_316
; %bb.294:
	s_wait_loadcnt 0x0
	global_load_b32 v1, v[4:5], off
	s_mov_b32 s1, -1
	s_mov_b32 s24, 0
	s_wait_loadcnt 0x0
	v_lshlrev_b32_e32 v1, 16, v1
	s_branch .LBB79_318
.LBB79_295:
	s_mov_b32 s1, 0
	s_mov_b32 s24, s39
                                        ; implicit-def: $vgpr1
	s_cbranch_execnz .LBB79_495
.LBB79_296:
	s_and_not1_b32 vcc_lo, exec_lo, s1
	s_cbranch_vccnz .LBB79_543
.LBB79_297:
	v_mov_b32_e32 v3, 0
	s_wait_loadcnt 0x0
	s_delay_alu instid0(VALU_DEP_2) | instskip(SKIP_1) | instid1(SALU_CYCLE_1)
	v_cmp_eq_f32_e64 s0, 0xff800000, v1
	s_and_b32 s25, s34, 0xff
	s_cmp_lt_i32 s25, 11
	v_add_nc_u64_e32 v[2:3], s[4:5], v[2:3]
	s_cbranch_scc1 .LBB79_305
; %bb.298:
	s_and_b32 s26, 0xffff, s25
	s_delay_alu instid0(SALU_CYCLE_1)
	s_cmp_gt_i32 s26, 25
	s_cbranch_scc0 .LBB79_307
; %bb.299:
	s_cmp_gt_i32 s26, 28
	s_cbranch_scc0 .LBB79_309
; %bb.300:
	;; [unrolled: 3-line block ×4, first 2 shown]
	s_mov_b32 s41, 0
	s_mov_b32 s1, -1
	s_cmp_eq_u32 s26, 46
	s_mov_b32 s27, 0
	s_cbranch_scc0 .LBB79_322
; %bb.303:
	v_cndmask_b32_e64 v1, 0, 1.0, s0
	s_mov_b32 s27, -1
	s_mov_b32 s1, 0
	s_wait_xcnt 0x0
	s_delay_alu instid0(VALU_DEP_1) | instskip(NEXT) | instid1(VALU_DEP_1)
	v_bfe_u32 v4, v1, 16, 1
	v_add3_u32 v1, v1, v4, 0x7fff
	s_delay_alu instid0(VALU_DEP_1)
	v_lshrrev_b32_e32 v1, 16, v1
	global_store_b32 v[2:3], v1, off
	s_branch .LBB79_322
.LBB79_304:
	s_mov_b32 s25, -1
	s_mov_b32 s1, 0
	s_mov_b32 s24, s39
                                        ; implicit-def: $vgpr1
	s_branch .LBB79_459
.LBB79_305:
	s_mov_b32 s26, -1
	s_mov_b32 s27, 0
	s_mov_b32 s1, s18
	s_branch .LBB79_391
.LBB79_306:
	s_mov_b32 s25, -1
	s_mov_b32 s1, 0
	s_mov_b32 s24, s39
                                        ; implicit-def: $vgpr1
	s_branch .LBB79_440
.LBB79_307:
	s_mov_b32 s41, -1
	s_mov_b32 s27, 0
	s_mov_b32 s1, s18
	s_branch .LBB79_349
.LBB79_308:
	s_mov_b32 s25, -1
	s_mov_b32 s1, 0
	s_mov_b32 s24, s39
                                        ; implicit-def: $vgpr1
	s_branch .LBB79_435
.LBB79_309:
	s_mov_b32 s41, -1
	s_mov_b32 s27, 0
	s_mov_b32 s1, s18
	s_branch .LBB79_332
.LBB79_310:
	s_and_not1_saveexec_b32 s39, s39
	s_cbranch_execz .LBB79_69
.LBB79_311:
	v_add_f32_e32 v1, 0x46000000, v4
	s_and_not1_b32 s27, s27, exec_lo
	s_delay_alu instid0(VALU_DEP_1) | instskip(NEXT) | instid1(VALU_DEP_1)
	v_and_b32_e32 v1, 0xff, v1
	v_cmp_ne_u32_e32 vcc_lo, 0, v1
	s_and_b32 s41, vcc_lo, exec_lo
	s_delay_alu instid0(SALU_CYCLE_1)
	s_or_b32 s27, s27, s41
	s_or_b32 exec_lo, exec_lo, s39
	v_mov_b32_e32 v5, 0
	s_and_saveexec_b32 s39, s27
	s_cbranch_execnz .LBB79_70
	s_branch .LBB79_71
.LBB79_312:
	s_mov_b32 s25, -1
	s_mov_b32 s1, 0
	s_mov_b32 s24, s39
	s_branch .LBB79_317
.LBB79_313:
	s_mov_b32 s41, -1
	s_mov_b32 s27, 0
	s_mov_b32 s1, s18
	s_branch .LBB79_328
.LBB79_314:
	s_and_not1_saveexec_b32 s39, s39
	s_cbranch_execz .LBB79_82
.LBB79_315:
	v_add_f32_e32 v1, 0x42800000, v4
	s_and_not1_b32 s27, s27, exec_lo
	s_delay_alu instid0(VALU_DEP_1) | instskip(NEXT) | instid1(VALU_DEP_1)
	v_and_b32_e32 v1, 0xff, v1
	v_cmp_ne_u32_e32 vcc_lo, 0, v1
	s_and_b32 s41, vcc_lo, exec_lo
	s_delay_alu instid0(SALU_CYCLE_1)
	s_or_b32 s27, s27, s41
	s_or_b32 exec_lo, exec_lo, s39
	v_mov_b32_e32 v5, 0
	s_and_saveexec_b32 s39, s27
	s_cbranch_execnz .LBB79_83
	s_branch .LBB79_84
.LBB79_316:
	s_mov_b32 s24, -1
	s_mov_b32 s1, 0
.LBB79_317:
                                        ; implicit-def: $vgpr1
.LBB79_318:
	s_and_b32 vcc_lo, exec_lo, s25
	s_cbranch_vccz .LBB79_434
; %bb.319:
	s_cmp_eq_u32 s0, 44
	s_cbranch_scc0 .LBB79_433
; %bb.320:
	s_wait_loadcnt 0x0
	global_load_u8 v1, v[4:5], off
	s_mov_b32 s24, 0
	s_mov_b32 s1, -1
	s_wait_loadcnt 0x0
	v_lshlrev_b32_e32 v3, 23, v1
	v_cmp_ne_u32_e32 vcc_lo, 0xff, v1
	s_delay_alu instid0(VALU_DEP_2) | instskip(SKIP_1) | instid1(VALU_DEP_2)
	v_cndmask_b32_e32 v3, 0x7f800001, v3, vcc_lo
	v_cmp_ne_u32_e32 vcc_lo, 0, v1
	v_cndmask_b32_e32 v1, 0x400000, v3, vcc_lo
	s_branch .LBB79_434
.LBB79_321:
	s_mov_b32 s41, -1
	s_mov_b32 s27, 0
	s_mov_b32 s1, s18
.LBB79_322:
	s_and_b32 vcc_lo, exec_lo, s41
	s_cbranch_vccz .LBB79_327
; %bb.323:
	s_cmp_eq_u32 s26, 44
	s_mov_b32 s1, -1
	s_cbranch_scc0 .LBB79_327
; %bb.324:
	s_wait_xcnt 0x0
	v_cndmask_b32_e64 v5, 0, 1.0, s0
	s_mov_b32 s27, exec_lo
	s_delay_alu instid0(VALU_DEP_1) | instskip(NEXT) | instid1(VALU_DEP_1)
	v_dual_mov_b32 v4, 0xff :: v_dual_lshrrev_b32 v1, 23, v5
	v_cmpx_ne_u32_e32 0xff, v1
; %bb.325:
	v_and_b32_e32 v4, 0x400000, v5
	v_and_or_b32 v5, 0x3fffff, v5, v1
	s_delay_alu instid0(VALU_DEP_2) | instskip(NEXT) | instid1(VALU_DEP_2)
	v_cmp_ne_u32_e32 vcc_lo, 0, v4
	v_cmp_ne_u32_e64 s1, 0, v5
	s_and_b32 s1, vcc_lo, s1
	s_delay_alu instid0(SALU_CYCLE_1) | instskip(NEXT) | instid1(VALU_DEP_1)
	v_cndmask_b32_e64 v4, 0, 1, s1
	v_add_nc_u32_e32 v4, v1, v4
; %bb.326:
	s_or_b32 exec_lo, exec_lo, s27
	s_mov_b32 s27, -1
	s_mov_b32 s1, 0
	global_store_b8 v[2:3], v4, off
.LBB79_327:
	s_mov_b32 s41, 0
.LBB79_328:
	s_delay_alu instid0(SALU_CYCLE_1)
	s_and_b32 vcc_lo, exec_lo, s41
	s_cbranch_vccz .LBB79_331
; %bb.329:
	s_cmp_eq_u32 s26, 29
	s_mov_b32 s1, -1
	s_cbranch_scc0 .LBB79_331
; %bb.330:
	s_mov_b32 s1, 0
	s_wait_xcnt 0x0
	v_cndmask_b32_e64 v4, 0, 1, s0
	v_mov_b32_e32 v5, s1
	s_mov_b32 s27, -1
	s_mov_b32 s41, 0
	global_store_b64 v[2:3], v[4:5], off
	s_branch .LBB79_332
.LBB79_331:
	s_mov_b32 s41, 0
.LBB79_332:
	s_delay_alu instid0(SALU_CYCLE_1)
	s_and_b32 vcc_lo, exec_lo, s41
	s_cbranch_vccz .LBB79_348
; %bb.333:
	s_cmp_lt_i32 s26, 27
	s_mov_b32 s27, -1
	s_cbranch_scc1 .LBB79_339
; %bb.334:
	s_cmp_gt_i32 s26, 27
	s_cbranch_scc0 .LBB79_336
; %bb.335:
	s_wait_xcnt 0x0
	v_cndmask_b32_e64 v1, 0, 1, s0
	s_mov_b32 s27, 0
	global_store_b32 v[2:3], v1, off
.LBB79_336:
	s_and_not1_b32 vcc_lo, exec_lo, s27
	s_cbranch_vccnz .LBB79_338
; %bb.337:
	s_wait_xcnt 0x0
	v_cndmask_b32_e64 v1, 0, 1, s0
	global_store_b16 v[2:3], v1, off
.LBB79_338:
	s_mov_b32 s27, 0
.LBB79_339:
	s_delay_alu instid0(SALU_CYCLE_1)
	s_and_not1_b32 vcc_lo, exec_lo, s27
	s_cbranch_vccnz .LBB79_347
; %bb.340:
	s_wait_xcnt 0x0
	v_cndmask_b32_e64 v4, 0, 1.0, s0
	v_mov_b32_e32 v5, 0x80
	s_mov_b32 s27, exec_lo
	s_delay_alu instid0(VALU_DEP_2)
	v_cmpx_gt_u32_e32 0x43800000, v4
	s_cbranch_execz .LBB79_346
; %bb.341:
	s_mov_b32 s41, 0
	s_mov_b32 s42, exec_lo
                                        ; implicit-def: $vgpr1
	v_cmpx_lt_u32_e32 0x3bffffff, v4
	s_xor_b32 s42, exec_lo, s42
	s_cbranch_execz .LBB79_576
; %bb.342:
	v_bfe_u32 v1, v4, 20, 1
	s_mov_b32 s41, exec_lo
	s_delay_alu instid0(VALU_DEP_1) | instskip(NEXT) | instid1(VALU_DEP_1)
	v_add3_u32 v1, v4, v1, 0x487ffff
                                        ; implicit-def: $vgpr4
	v_lshrrev_b32_e32 v1, 20, v1
	s_and_not1_saveexec_b32 s42, s42
	s_cbranch_execnz .LBB79_577
.LBB79_343:
	s_or_b32 exec_lo, exec_lo, s42
	v_mov_b32_e32 v5, 0
	s_and_saveexec_b32 s42, s41
.LBB79_344:
	v_mov_b32_e32 v5, v1
.LBB79_345:
	s_or_b32 exec_lo, exec_lo, s42
.LBB79_346:
	s_delay_alu instid0(SALU_CYCLE_1)
	s_or_b32 exec_lo, exec_lo, s27
	global_store_b8 v[2:3], v5, off
.LBB79_347:
	s_mov_b32 s27, -1
.LBB79_348:
	s_mov_b32 s41, 0
.LBB79_349:
	s_delay_alu instid0(SALU_CYCLE_1)
	s_and_b32 vcc_lo, exec_lo, s41
	s_cbranch_vccz .LBB79_390
; %bb.350:
	s_cmp_gt_i32 s26, 22
	s_mov_b32 s41, -1
	s_cbranch_scc0 .LBB79_382
; %bb.351:
	s_cmp_lt_i32 s26, 24
	s_mov_b32 s27, -1
	s_cbranch_scc1 .LBB79_371
; %bb.352:
	s_cmp_gt_i32 s26, 24
	s_cbranch_scc0 .LBB79_360
; %bb.353:
	s_wait_xcnt 0x0
	v_cndmask_b32_e64 v4, 0, 1.0, s0
	v_mov_b32_e32 v5, 0x80
	s_mov_b32 s27, exec_lo
	s_delay_alu instid0(VALU_DEP_2)
	v_cmpx_gt_u32_e32 0x47800000, v4
	s_cbranch_execz .LBB79_359
; %bb.354:
	s_mov_b32 s41, 0
	s_mov_b32 s42, exec_lo
                                        ; implicit-def: $vgpr1
	v_cmpx_lt_u32_e32 0x37ffffff, v4
	s_xor_b32 s42, exec_lo, s42
	s_cbranch_execz .LBB79_579
; %bb.355:
	v_bfe_u32 v1, v4, 21, 1
	s_mov_b32 s41, exec_lo
	s_delay_alu instid0(VALU_DEP_1) | instskip(NEXT) | instid1(VALU_DEP_1)
	v_add3_u32 v1, v4, v1, 0x88fffff
                                        ; implicit-def: $vgpr4
	v_lshrrev_b32_e32 v1, 21, v1
	s_and_not1_saveexec_b32 s42, s42
	s_cbranch_execnz .LBB79_580
.LBB79_356:
	s_or_b32 exec_lo, exec_lo, s42
	v_mov_b32_e32 v5, 0
	s_and_saveexec_b32 s42, s41
.LBB79_357:
	v_mov_b32_e32 v5, v1
.LBB79_358:
	s_or_b32 exec_lo, exec_lo, s42
.LBB79_359:
	s_delay_alu instid0(SALU_CYCLE_1)
	s_or_b32 exec_lo, exec_lo, s27
	s_mov_b32 s27, 0
	global_store_b8 v[2:3], v5, off
.LBB79_360:
	s_and_b32 vcc_lo, exec_lo, s27
	s_cbranch_vccz .LBB79_370
; %bb.361:
	s_wait_xcnt 0x0
	v_cndmask_b32_e64 v4, 0, 1.0, s0
	s_mov_b32 s27, exec_lo
                                        ; implicit-def: $vgpr1
	s_delay_alu instid0(VALU_DEP_1)
	v_cmpx_gt_u32_e32 0x43f00000, v4
	s_xor_b32 s27, exec_lo, s27
	s_cbranch_execz .LBB79_367
; %bb.362:
	s_mov_b32 s41, exec_lo
                                        ; implicit-def: $vgpr1
	v_cmpx_lt_u32_e32 0x3c7fffff, v4
	s_xor_b32 s41, exec_lo, s41
; %bb.363:
	v_bfe_u32 v1, v4, 20, 1
	s_delay_alu instid0(VALU_DEP_1) | instskip(NEXT) | instid1(VALU_DEP_1)
	v_add3_u32 v1, v4, v1, 0x407ffff
	v_and_b32_e32 v4, 0xff00000, v1
	v_lshrrev_b32_e32 v1, 20, v1
	s_delay_alu instid0(VALU_DEP_2) | instskip(NEXT) | instid1(VALU_DEP_2)
	v_cmp_ne_u32_e32 vcc_lo, 0x7f00000, v4
                                        ; implicit-def: $vgpr4
	v_cndmask_b32_e32 v1, 0x7e, v1, vcc_lo
; %bb.364:
	s_and_not1_saveexec_b32 s41, s41
; %bb.365:
	v_add_f32_e32 v1, 0x46800000, v4
; %bb.366:
	s_or_b32 exec_lo, exec_lo, s41
                                        ; implicit-def: $vgpr4
.LBB79_367:
	s_and_not1_saveexec_b32 s27, s27
; %bb.368:
	v_mov_b32_e32 v1, 0x7f
	v_cmp_lt_u32_e32 vcc_lo, 0x7f800000, v4
	s_delay_alu instid0(VALU_DEP_2)
	v_cndmask_b32_e32 v1, 0x7e, v1, vcc_lo
; %bb.369:
	s_or_b32 exec_lo, exec_lo, s27
	global_store_b8 v[2:3], v1, off
.LBB79_370:
	s_mov_b32 s27, 0
.LBB79_371:
	s_delay_alu instid0(SALU_CYCLE_1)
	s_and_not1_b32 vcc_lo, exec_lo, s27
	s_cbranch_vccnz .LBB79_381
; %bb.372:
	s_wait_xcnt 0x0
	v_cndmask_b32_e64 v4, 0, 1.0, s0
	s_mov_b32 s27, exec_lo
                                        ; implicit-def: $vgpr1
	s_delay_alu instid0(VALU_DEP_1)
	v_cmpx_gt_u32_e32 0x47800000, v4
	s_xor_b32 s27, exec_lo, s27
	s_cbranch_execz .LBB79_378
; %bb.373:
	s_mov_b32 s41, exec_lo
                                        ; implicit-def: $vgpr1
	v_cmpx_lt_u32_e32 0x387fffff, v4
	s_xor_b32 s41, exec_lo, s41
; %bb.374:
	v_bfe_u32 v1, v4, 21, 1
	s_delay_alu instid0(VALU_DEP_1) | instskip(NEXT) | instid1(VALU_DEP_1)
	v_add3_u32 v1, v4, v1, 0x80fffff
                                        ; implicit-def: $vgpr4
	v_lshrrev_b32_e32 v1, 21, v1
; %bb.375:
	s_and_not1_saveexec_b32 s41, s41
; %bb.376:
	v_add_f32_e32 v1, 0x43000000, v4
; %bb.377:
	s_or_b32 exec_lo, exec_lo, s41
                                        ; implicit-def: $vgpr4
.LBB79_378:
	s_and_not1_saveexec_b32 s27, s27
; %bb.379:
	v_mov_b32_e32 v1, 0x7f
	v_cmp_lt_u32_e32 vcc_lo, 0x7f800000, v4
	s_delay_alu instid0(VALU_DEP_2)
	v_cndmask_b32_e32 v1, 0x7c, v1, vcc_lo
; %bb.380:
	s_or_b32 exec_lo, exec_lo, s27
	global_store_b8 v[2:3], v1, off
.LBB79_381:
	s_mov_b32 s41, 0
	s_mov_b32 s27, -1
.LBB79_382:
	s_and_not1_b32 vcc_lo, exec_lo, s41
	s_cbranch_vccnz .LBB79_390
; %bb.383:
	s_cmp_gt_i32 s26, 14
	s_mov_b32 s41, -1
	s_cbranch_scc0 .LBB79_387
; %bb.384:
	s_cmp_eq_u32 s26, 15
	s_mov_b32 s1, -1
	s_cbranch_scc0 .LBB79_386
; %bb.385:
	s_wait_xcnt 0x0
	v_cndmask_b32_e64 v1, 0, 1.0, s0
	s_mov_b32 s27, -1
	s_mov_b32 s1, 0
	s_delay_alu instid0(VALU_DEP_1) | instskip(NEXT) | instid1(VALU_DEP_1)
	v_bfe_u32 v4, v1, 16, 1
	v_add3_u32 v1, v1, v4, 0x7fff
	global_store_d16_hi_b16 v[2:3], v1, off
.LBB79_386:
	s_mov_b32 s41, 0
.LBB79_387:
	s_delay_alu instid0(SALU_CYCLE_1)
	s_and_b32 vcc_lo, exec_lo, s41
	s_cbranch_vccz .LBB79_390
; %bb.388:
	s_cmp_eq_u32 s26, 11
	s_mov_b32 s1, -1
	s_cbranch_scc0 .LBB79_390
; %bb.389:
	s_wait_xcnt 0x0
	v_cndmask_b32_e64 v1, 0, 1, s0
	s_mov_b32 s27, -1
	s_mov_b32 s1, 0
	global_store_b8 v[2:3], v1, off
.LBB79_390:
	s_mov_b32 s26, 0
.LBB79_391:
	s_delay_alu instid0(SALU_CYCLE_1)
	s_and_b32 vcc_lo, exec_lo, s26
	s_cbranch_vccz .LBB79_430
; %bb.392:
	s_and_b32 s25, 0xffff, s25
	s_mov_b32 s26, -1
	s_cmp_lt_i32 s25, 5
	s_cbranch_scc1 .LBB79_413
; %bb.393:
	s_cmp_lt_i32 s25, 8
	s_cbranch_scc1 .LBB79_403
; %bb.394:
	;; [unrolled: 3-line block ×3, first 2 shown]
	s_cmp_gt_i32 s25, 9
	s_cbranch_scc0 .LBB79_397
; %bb.396:
	s_wait_xcnt 0x0
	v_cndmask_b32_e64 v1, 0, 1, s0
	v_mov_b32_e32 v6, 0
	s_mov_b32 s26, 0
	s_delay_alu instid0(VALU_DEP_2) | instskip(NEXT) | instid1(VALU_DEP_2)
	v_cvt_f64_u32_e32 v[4:5], v1
	v_mov_b32_e32 v7, v6
	global_store_b128 v[2:3], v[4:7], off
.LBB79_397:
	s_and_not1_b32 vcc_lo, exec_lo, s26
	s_cbranch_vccnz .LBB79_399
; %bb.398:
	s_wait_xcnt 0x0
	v_cndmask_b32_e64 v4, 0, 1.0, s0
	v_mov_b32_e32 v5, 0
	global_store_b64 v[2:3], v[4:5], off
.LBB79_399:
	s_mov_b32 s26, 0
.LBB79_400:
	s_delay_alu instid0(SALU_CYCLE_1)
	s_and_not1_b32 vcc_lo, exec_lo, s26
	s_cbranch_vccnz .LBB79_402
; %bb.401:
	s_wait_xcnt 0x0
	v_cndmask_b32_e64 v1, 0, 1.0, s0
	s_delay_alu instid0(VALU_DEP_1) | instskip(NEXT) | instid1(VALU_DEP_1)
	v_cvt_f16_f32_e32 v1, v1
	v_and_b32_e32 v1, 0xffff, v1
	global_store_b32 v[2:3], v1, off
.LBB79_402:
	s_mov_b32 s26, 0
.LBB79_403:
	s_delay_alu instid0(SALU_CYCLE_1)
	s_and_not1_b32 vcc_lo, exec_lo, s26
	s_cbranch_vccnz .LBB79_412
; %bb.404:
	s_cmp_lt_i32 s25, 6
	s_mov_b32 s26, -1
	s_cbranch_scc1 .LBB79_410
; %bb.405:
	s_cmp_gt_i32 s25, 6
	s_cbranch_scc0 .LBB79_407
; %bb.406:
	s_wait_xcnt 0x0
	v_cndmask_b32_e64 v1, 0, 1, s0
	s_mov_b32 s26, 0
	s_delay_alu instid0(VALU_DEP_1)
	v_cvt_f64_u32_e32 v[4:5], v1
	global_store_b64 v[2:3], v[4:5], off
.LBB79_407:
	s_and_not1_b32 vcc_lo, exec_lo, s26
	s_cbranch_vccnz .LBB79_409
; %bb.408:
	s_wait_xcnt 0x0
	v_cndmask_b32_e64 v1, 0, 1.0, s0
	global_store_b32 v[2:3], v1, off
.LBB79_409:
	s_mov_b32 s26, 0
.LBB79_410:
	s_delay_alu instid0(SALU_CYCLE_1)
	s_and_not1_b32 vcc_lo, exec_lo, s26
	s_cbranch_vccnz .LBB79_412
; %bb.411:
	s_wait_xcnt 0x0
	v_cndmask_b32_e64 v1, 0, 1.0, s0
	s_delay_alu instid0(VALU_DEP_1)
	v_cvt_f16_f32_e32 v1, v1
	global_store_b16 v[2:3], v1, off
.LBB79_412:
	s_mov_b32 s26, 0
.LBB79_413:
	s_delay_alu instid0(SALU_CYCLE_1)
	s_and_not1_b32 vcc_lo, exec_lo, s26
	s_cbranch_vccnz .LBB79_429
; %bb.414:
	s_cmp_lt_i32 s25, 2
	s_mov_b32 s26, -1
	s_cbranch_scc1 .LBB79_424
; %bb.415:
	s_cmp_lt_i32 s25, 3
	s_cbranch_scc1 .LBB79_421
; %bb.416:
	s_cmp_gt_i32 s25, 3
	s_cbranch_scc0 .LBB79_418
; %bb.417:
	s_mov_b32 s26, 0
	s_wait_xcnt 0x0
	v_cndmask_b32_e64 v4, 0, 1, s0
	v_mov_b32_e32 v5, s26
	global_store_b64 v[2:3], v[4:5], off
.LBB79_418:
	s_and_not1_b32 vcc_lo, exec_lo, s26
	s_cbranch_vccnz .LBB79_420
; %bb.419:
	s_wait_xcnt 0x0
	v_cndmask_b32_e64 v1, 0, 1, s0
	global_store_b32 v[2:3], v1, off
.LBB79_420:
	s_mov_b32 s26, 0
.LBB79_421:
	s_delay_alu instid0(SALU_CYCLE_1)
	s_and_not1_b32 vcc_lo, exec_lo, s26
	s_cbranch_vccnz .LBB79_423
; %bb.422:
	s_wait_xcnt 0x0
	v_cndmask_b32_e64 v1, 0, 1, s0
	global_store_b16 v[2:3], v1, off
.LBB79_423:
	s_mov_b32 s26, 0
.LBB79_424:
	s_delay_alu instid0(SALU_CYCLE_1)
	s_and_not1_b32 vcc_lo, exec_lo, s26
	s_cbranch_vccnz .LBB79_429
; %bb.425:
	s_wait_xcnt 0x0
	v_cndmask_b32_e64 v1, 0, 1, s0
	s_cmp_gt_i32 s25, 0
	s_mov_b32 s0, -1
	s_cbranch_scc0 .LBB79_427
; %bb.426:
	s_mov_b32 s0, 0
	global_store_b8 v[2:3], v1, off
.LBB79_427:
	s_and_not1_b32 vcc_lo, exec_lo, s0
	s_cbranch_vccnz .LBB79_429
; %bb.428:
	global_store_b8 v[2:3], v1, off
.LBB79_429:
	s_mov_b32 s27, -1
.LBB79_430:
	s_delay_alu instid0(SALU_CYCLE_1)
	s_and_not1_b32 vcc_lo, exec_lo, s27
	s_cbranch_vccnz .LBB79_432
; %bb.431:
	v_add_nc_u32_e32 v0, 0x80, v0
	s_mov_b32 s0, -1
	s_branch .LBB79_545
.LBB79_432:
	s_mov_b32 s0, 0
	s_branch .LBB79_544
.LBB79_433:
	s_mov_b32 s24, -1
                                        ; implicit-def: $vgpr1
.LBB79_434:
	s_mov_b32 s25, 0
.LBB79_435:
	s_delay_alu instid0(SALU_CYCLE_1)
	s_and_b32 vcc_lo, exec_lo, s25
	s_cbranch_vccz .LBB79_439
; %bb.436:
	s_cmp_eq_u32 s0, 29
	s_cbranch_scc0 .LBB79_438
; %bb.437:
	global_load_b64 v[6:7], v[4:5], off
	s_mov_b32 s1, -1
	s_mov_b32 s24, 0
	s_mov_b32 s25, 0
	s_wait_loadcnt 0x0
	v_clz_i32_u32_e32 v1, v7
	s_delay_alu instid0(VALU_DEP_1) | instskip(NEXT) | instid1(VALU_DEP_1)
	v_min_u32_e32 v1, 32, v1
	v_lshlrev_b64_e32 v[6:7], v1, v[6:7]
	v_sub_nc_u32_e32 v1, 32, v1
	s_delay_alu instid0(VALU_DEP_2) | instskip(NEXT) | instid1(VALU_DEP_1)
	v_min_u32_e32 v3, 1, v6
	v_or_b32_e32 v3, v7, v3
	s_delay_alu instid0(VALU_DEP_1) | instskip(NEXT) | instid1(VALU_DEP_1)
	v_cvt_f32_u32_e32 v3, v3
	v_ldexp_f32 v1, v3, v1
	s_branch .LBB79_440
.LBB79_438:
	s_mov_b32 s24, -1
                                        ; implicit-def: $vgpr1
.LBB79_439:
	s_mov_b32 s25, 0
.LBB79_440:
	s_delay_alu instid0(SALU_CYCLE_1)
	s_and_b32 vcc_lo, exec_lo, s25
	s_cbranch_vccz .LBB79_458
; %bb.441:
	s_cmp_lt_i32 s0, 27
	s_cbranch_scc1 .LBB79_444
; %bb.442:
	s_cmp_gt_i32 s0, 27
	s_cbranch_scc0 .LBB79_445
; %bb.443:
	s_wait_loadcnt 0x0
	global_load_b32 v1, v[4:5], off
	s_mov_b32 s1, 0
	s_wait_loadcnt 0x0
	v_cvt_f32_u32_e32 v1, v1
	s_branch .LBB79_446
.LBB79_444:
	s_mov_b32 s1, -1
                                        ; implicit-def: $vgpr1
	s_branch .LBB79_449
.LBB79_445:
	s_mov_b32 s1, -1
                                        ; implicit-def: $vgpr1
.LBB79_446:
	s_delay_alu instid0(SALU_CYCLE_1)
	s_and_not1_b32 vcc_lo, exec_lo, s1
	s_cbranch_vccnz .LBB79_448
; %bb.447:
	s_wait_loadcnt 0x0
	global_load_u16 v1, v[4:5], off
	s_wait_loadcnt 0x0
	v_cvt_f32_u32_e32 v1, v1
.LBB79_448:
	s_mov_b32 s1, 0
.LBB79_449:
	s_delay_alu instid0(SALU_CYCLE_1)
	s_and_not1_b32 vcc_lo, exec_lo, s1
	s_cbranch_vccnz .LBB79_457
; %bb.450:
	global_load_u8 v3, v[4:5], off
	s_mov_b32 s1, 0
	s_mov_b32 s25, exec_lo
	s_wait_loadcnt 0x0
	v_cmpx_lt_i16_e32 0x7f, v3
	s_xor_b32 s25, exec_lo, s25
	s_cbranch_execz .LBB79_471
; %bb.451:
	s_mov_b32 s1, -1
	s_mov_b32 s26, exec_lo
	v_cmpx_eq_u16_e32 0x80, v3
; %bb.452:
	s_xor_b32 s1, exec_lo, -1
; %bb.453:
	s_or_b32 exec_lo, exec_lo, s26
	s_delay_alu instid0(SALU_CYCLE_1)
	s_and_b32 s1, s1, exec_lo
	s_or_saveexec_b32 s25, s25
	v_mov_b32_e32 v1, 0x7f800001
	s_xor_b32 exec_lo, exec_lo, s25
	s_cbranch_execnz .LBB79_472
.LBB79_454:
	s_or_b32 exec_lo, exec_lo, s25
	s_and_saveexec_b32 s25, s1
	s_cbranch_execz .LBB79_456
.LBB79_455:
	v_and_b32_e32 v1, 0xffff, v3
	s_delay_alu instid0(VALU_DEP_1) | instskip(SKIP_1) | instid1(VALU_DEP_2)
	v_and_b32_e32 v6, 7, v1
	v_bfe_u32 v9, v1, 3, 4
	v_clz_i32_u32_e32 v7, v6
	s_delay_alu instid0(VALU_DEP_2) | instskip(NEXT) | instid1(VALU_DEP_2)
	v_cmp_eq_u32_e32 vcc_lo, 0, v9
	v_min_u32_e32 v7, 32, v7
	s_delay_alu instid0(VALU_DEP_1) | instskip(NEXT) | instid1(VALU_DEP_1)
	v_subrev_nc_u32_e32 v8, 28, v7
	v_dual_lshlrev_b32 v1, v8, v1 :: v_dual_sub_nc_u32 v7, 29, v7
	s_delay_alu instid0(VALU_DEP_1) | instskip(NEXT) | instid1(VALU_DEP_1)
	v_dual_lshlrev_b32 v3, 24, v3 :: v_dual_bitop2_b32 v1, 7, v1 bitop3:0x40
	v_dual_cndmask_b32 v1, v6, v1, vcc_lo :: v_dual_cndmask_b32 v7, v9, v7, vcc_lo
	s_delay_alu instid0(VALU_DEP_2) | instskip(NEXT) | instid1(VALU_DEP_2)
	v_and_b32_e32 v3, 0x80000000, v3
	v_lshlrev_b32_e32 v1, 20, v1
	s_delay_alu instid0(VALU_DEP_3) | instskip(NEXT) | instid1(VALU_DEP_1)
	v_lshl_add_u32 v6, v7, 23, 0x3b800000
	v_or3_b32 v1, v3, v6, v1
.LBB79_456:
	s_or_b32 exec_lo, exec_lo, s25
.LBB79_457:
	s_mov_b32 s1, -1
.LBB79_458:
	s_mov_b32 s25, 0
.LBB79_459:
	s_delay_alu instid0(SALU_CYCLE_1)
	s_and_b32 vcc_lo, exec_lo, s25
	s_cbranch_vccz .LBB79_494
; %bb.460:
	s_cmp_gt_i32 s0, 22
	s_cbranch_scc0 .LBB79_470
; %bb.461:
	s_cmp_lt_i32 s0, 24
	s_cbranch_scc1 .LBB79_473
; %bb.462:
	s_cmp_gt_i32 s0, 24
	s_cbranch_scc0 .LBB79_474
; %bb.463:
	global_load_u8 v3, v[4:5], off
	s_mov_b32 s1, 0
	s_mov_b32 s25, exec_lo
	s_wait_loadcnt 0x0
	v_cmpx_lt_i16_e32 0x7f, v3
	s_xor_b32 s25, exec_lo, s25
	s_cbranch_execz .LBB79_486
; %bb.464:
	s_mov_b32 s1, -1
	s_mov_b32 s26, exec_lo
	v_cmpx_eq_u16_e32 0x80, v3
; %bb.465:
	s_xor_b32 s1, exec_lo, -1
; %bb.466:
	s_or_b32 exec_lo, exec_lo, s26
	s_delay_alu instid0(SALU_CYCLE_1)
	s_and_b32 s1, s1, exec_lo
	s_or_saveexec_b32 s25, s25
	v_mov_b32_e32 v1, 0x7f800001
	s_xor_b32 exec_lo, exec_lo, s25
	s_cbranch_execnz .LBB79_487
.LBB79_467:
	s_or_b32 exec_lo, exec_lo, s25
	s_and_saveexec_b32 s25, s1
	s_cbranch_execz .LBB79_469
.LBB79_468:
	v_and_b32_e32 v1, 0xffff, v3
	s_delay_alu instid0(VALU_DEP_1) | instskip(SKIP_1) | instid1(VALU_DEP_2)
	v_and_b32_e32 v6, 3, v1
	v_bfe_u32 v9, v1, 2, 5
	v_clz_i32_u32_e32 v7, v6
	s_delay_alu instid0(VALU_DEP_2) | instskip(NEXT) | instid1(VALU_DEP_2)
	v_cmp_eq_u32_e32 vcc_lo, 0, v9
	v_min_u32_e32 v7, 32, v7
	s_delay_alu instid0(VALU_DEP_1) | instskip(NEXT) | instid1(VALU_DEP_1)
	v_subrev_nc_u32_e32 v8, 29, v7
	v_dual_lshlrev_b32 v1, v8, v1 :: v_dual_sub_nc_u32 v7, 30, v7
	s_delay_alu instid0(VALU_DEP_1) | instskip(NEXT) | instid1(VALU_DEP_1)
	v_dual_lshlrev_b32 v3, 24, v3 :: v_dual_bitop2_b32 v1, 3, v1 bitop3:0x40
	v_dual_cndmask_b32 v1, v6, v1, vcc_lo :: v_dual_cndmask_b32 v7, v9, v7, vcc_lo
	s_delay_alu instid0(VALU_DEP_2) | instskip(NEXT) | instid1(VALU_DEP_2)
	v_and_b32_e32 v3, 0x80000000, v3
	v_lshlrev_b32_e32 v1, 21, v1
	s_delay_alu instid0(VALU_DEP_3) | instskip(NEXT) | instid1(VALU_DEP_1)
	v_lshl_add_u32 v6, v7, 23, 0x37800000
	v_or3_b32 v1, v3, v6, v1
.LBB79_469:
	s_or_b32 exec_lo, exec_lo, s25
	s_mov_b32 s1, 0
	s_branch .LBB79_475
.LBB79_470:
	s_mov_b32 s25, -1
                                        ; implicit-def: $vgpr1
	s_branch .LBB79_481
.LBB79_471:
	s_or_saveexec_b32 s25, s25
	v_mov_b32_e32 v1, 0x7f800001
	s_xor_b32 exec_lo, exec_lo, s25
	s_cbranch_execz .LBB79_454
.LBB79_472:
	v_cmp_ne_u16_e32 vcc_lo, 0, v3
	v_mov_b32_e32 v1, 0
	s_and_not1_b32 s1, s1, exec_lo
	s_and_b32 s26, vcc_lo, exec_lo
	s_delay_alu instid0(SALU_CYCLE_1)
	s_or_b32 s1, s1, s26
	s_or_b32 exec_lo, exec_lo, s25
	s_and_saveexec_b32 s25, s1
	s_cbranch_execnz .LBB79_455
	s_branch .LBB79_456
.LBB79_473:
	s_mov_b32 s1, -1
                                        ; implicit-def: $vgpr1
	s_branch .LBB79_478
.LBB79_474:
	s_mov_b32 s1, -1
                                        ; implicit-def: $vgpr1
.LBB79_475:
	s_delay_alu instid0(SALU_CYCLE_1)
	s_and_b32 vcc_lo, exec_lo, s1
	s_cbranch_vccz .LBB79_477
; %bb.476:
	s_wait_loadcnt 0x0
	global_load_u8 v1, v[4:5], off
	s_wait_loadcnt 0x0
	v_lshlrev_b32_e32 v1, 24, v1
	s_delay_alu instid0(VALU_DEP_1) | instskip(NEXT) | instid1(VALU_DEP_1)
	v_and_b32_e32 v3, 0x7f000000, v1
	v_clz_i32_u32_e32 v6, v3
	v_cmp_ne_u32_e32 vcc_lo, 0, v3
	v_add_nc_u32_e32 v8, 0x1000000, v3
	s_delay_alu instid0(VALU_DEP_3) | instskip(NEXT) | instid1(VALU_DEP_1)
	v_min_u32_e32 v6, 32, v6
	v_sub_nc_u32_e64 v6, v6, 4 clamp
	s_delay_alu instid0(VALU_DEP_1) | instskip(NEXT) | instid1(VALU_DEP_1)
	v_dual_lshlrev_b32 v7, v6, v3 :: v_dual_lshlrev_b32 v6, 23, v6
	v_lshrrev_b32_e32 v7, 4, v7
	s_delay_alu instid0(VALU_DEP_1) | instskip(NEXT) | instid1(VALU_DEP_1)
	v_dual_sub_nc_u32 v6, v7, v6 :: v_dual_ashrrev_i32 v7, 8, v8
	v_add_nc_u32_e32 v6, 0x3c000000, v6
	s_delay_alu instid0(VALU_DEP_1) | instskip(NEXT) | instid1(VALU_DEP_1)
	v_and_or_b32 v6, 0x7f800000, v7, v6
	v_cndmask_b32_e32 v3, 0, v6, vcc_lo
	s_delay_alu instid0(VALU_DEP_1)
	v_and_or_b32 v1, 0x80000000, v1, v3
.LBB79_477:
	s_mov_b32 s1, 0
.LBB79_478:
	s_delay_alu instid0(SALU_CYCLE_1)
	s_and_not1_b32 vcc_lo, exec_lo, s1
	s_cbranch_vccnz .LBB79_480
; %bb.479:
	s_wait_loadcnt 0x0
	global_load_u8 v1, v[4:5], off
	s_wait_loadcnt 0x0
	v_lshlrev_b32_e32 v3, 25, v1
	v_lshlrev_b16 v1, 8, v1
	s_delay_alu instid0(VALU_DEP_1) | instskip(SKIP_1) | instid1(VALU_DEP_2)
	v_and_or_b32 v7, 0x7f00, v1, 0.5
	v_bfe_i32 v1, v1, 0, 16
	v_add_f32_e32 v7, -0.5, v7
	v_lshrrev_b32_e32 v6, 4, v3
	v_cmp_gt_u32_e32 vcc_lo, 0x8000000, v3
	s_delay_alu instid0(VALU_DEP_2) | instskip(NEXT) | instid1(VALU_DEP_1)
	v_or_b32_e32 v6, 0x70000000, v6
	v_mul_f32_e32 v6, 0x7800000, v6
	s_delay_alu instid0(VALU_DEP_1) | instskip(NEXT) | instid1(VALU_DEP_1)
	v_cndmask_b32_e32 v3, v6, v7, vcc_lo
	v_and_or_b32 v1, 0x80000000, v1, v3
.LBB79_480:
	s_mov_b32 s25, 0
	s_mov_b32 s1, -1
.LBB79_481:
	s_and_not1_b32 vcc_lo, exec_lo, s25
	s_cbranch_vccnz .LBB79_494
; %bb.482:
	s_cmp_gt_i32 s0, 14
	s_cbranch_scc0 .LBB79_485
; %bb.483:
	s_cmp_eq_u32 s0, 15
	s_cbranch_scc0 .LBB79_488
; %bb.484:
	s_wait_loadcnt 0x0
	global_load_u16 v1, v[4:5], off
	s_mov_b32 s1, -1
	s_mov_b32 s24, 0
	s_wait_loadcnt 0x0
	v_lshlrev_b32_e32 v1, 16, v1
	s_branch .LBB79_489
.LBB79_485:
	s_mov_b32 s25, -1
                                        ; implicit-def: $vgpr1
	s_branch .LBB79_490
.LBB79_486:
	s_or_saveexec_b32 s25, s25
	v_mov_b32_e32 v1, 0x7f800001
	s_xor_b32 exec_lo, exec_lo, s25
	s_cbranch_execz .LBB79_467
.LBB79_487:
	v_cmp_ne_u16_e32 vcc_lo, 0, v3
	v_mov_b32_e32 v1, 0
	s_and_not1_b32 s1, s1, exec_lo
	s_and_b32 s26, vcc_lo, exec_lo
	s_delay_alu instid0(SALU_CYCLE_1)
	s_or_b32 s1, s1, s26
	s_or_b32 exec_lo, exec_lo, s25
	s_and_saveexec_b32 s25, s1
	s_cbranch_execnz .LBB79_468
	s_branch .LBB79_469
.LBB79_488:
	s_mov_b32 s24, -1
                                        ; implicit-def: $vgpr1
.LBB79_489:
	s_mov_b32 s25, 0
.LBB79_490:
	s_delay_alu instid0(SALU_CYCLE_1)
	s_and_b32 vcc_lo, exec_lo, s25
	s_cbranch_vccz .LBB79_494
; %bb.491:
	s_cmp_eq_u32 s0, 11
	s_cbranch_scc0 .LBB79_493
; %bb.492:
	s_wait_loadcnt 0x0
	global_load_u8 v1, v[4:5], off
	s_mov_b32 s24, 0
	s_mov_b32 s1, -1
	s_wait_loadcnt 0x0
	v_cmp_ne_u16_e32 vcc_lo, 0, v1
	v_cndmask_b32_e64 v1, 0, 1.0, vcc_lo
	s_branch .LBB79_494
.LBB79_493:
	s_mov_b32 s24, -1
                                        ; implicit-def: $vgpr1
.LBB79_494:
	s_branch .LBB79_296
.LBB79_495:
	s_cmp_lt_i32 s0, 5
	s_cbranch_scc1 .LBB79_500
; %bb.496:
	s_cmp_lt_i32 s0, 8
	s_cbranch_scc1 .LBB79_501
; %bb.497:
	s_cmp_lt_i32 s0, 9
	s_cbranch_scc1 .LBB79_502
; %bb.498:
	s_cmp_gt_i32 s0, 9
	s_cbranch_scc0 .LBB79_503
; %bb.499:
	global_load_b64 v[6:7], v[4:5], off
	s_mov_b32 s1, 0
	s_wait_loadcnt 0x0
	v_cvt_f32_f64_e32 v1, v[6:7]
	s_branch .LBB79_504
.LBB79_500:
	s_mov_b32 s1, -1
                                        ; implicit-def: $vgpr1
	s_branch .LBB79_522
.LBB79_501:
	s_mov_b32 s1, -1
                                        ; implicit-def: $vgpr1
	s_branch .LBB79_510
.LBB79_502:
	s_mov_b32 s1, -1
                                        ; implicit-def: $vgpr1
	s_branch .LBB79_507
.LBB79_503:
	s_mov_b32 s1, -1
                                        ; implicit-def: $vgpr1
.LBB79_504:
	s_delay_alu instid0(SALU_CYCLE_1)
	s_and_not1_b32 vcc_lo, exec_lo, s1
	s_cbranch_vccnz .LBB79_506
; %bb.505:
	s_wait_loadcnt 0x0
	global_load_b32 v1, v[4:5], off
.LBB79_506:
	s_mov_b32 s1, 0
.LBB79_507:
	s_delay_alu instid0(SALU_CYCLE_1)
	s_and_not1_b32 vcc_lo, exec_lo, s1
	s_cbranch_vccnz .LBB79_509
; %bb.508:
	s_wait_loadcnt 0x0
	global_load_b32 v1, v[4:5], off
	s_wait_loadcnt 0x0
	v_cvt_f32_f16_e32 v1, v1
.LBB79_509:
	s_mov_b32 s1, 0
.LBB79_510:
	s_delay_alu instid0(SALU_CYCLE_1)
	s_and_not1_b32 vcc_lo, exec_lo, s1
	s_cbranch_vccnz .LBB79_521
; %bb.511:
	s_cmp_lt_i32 s0, 6
	s_cbranch_scc1 .LBB79_514
; %bb.512:
	s_cmp_gt_i32 s0, 6
	s_cbranch_scc0 .LBB79_515
; %bb.513:
	global_load_b64 v[6:7], v[4:5], off
	s_mov_b32 s1, 0
	s_wait_loadcnt 0x0
	v_cvt_f32_f64_e32 v1, v[6:7]
	s_branch .LBB79_516
.LBB79_514:
	s_mov_b32 s1, -1
                                        ; implicit-def: $vgpr1
	s_branch .LBB79_519
.LBB79_515:
	s_mov_b32 s1, -1
                                        ; implicit-def: $vgpr1
.LBB79_516:
	s_delay_alu instid0(SALU_CYCLE_1)
	s_and_not1_b32 vcc_lo, exec_lo, s1
	s_cbranch_vccnz .LBB79_518
; %bb.517:
	s_wait_loadcnt 0x0
	global_load_b32 v1, v[4:5], off
.LBB79_518:
	s_mov_b32 s1, 0
.LBB79_519:
	s_delay_alu instid0(SALU_CYCLE_1)
	s_and_not1_b32 vcc_lo, exec_lo, s1
	s_cbranch_vccnz .LBB79_521
; %bb.520:
	s_wait_loadcnt 0x0
	global_load_u16 v1, v[4:5], off
	s_wait_loadcnt 0x0
	v_cvt_f32_f16_e32 v1, v1
.LBB79_521:
	s_mov_b32 s1, 0
.LBB79_522:
	s_delay_alu instid0(SALU_CYCLE_1)
	s_and_not1_b32 vcc_lo, exec_lo, s1
	s_cbranch_vccnz .LBB79_542
; %bb.523:
	s_cmp_lt_i32 s0, 2
	s_cbranch_scc1 .LBB79_527
; %bb.524:
	s_cmp_lt_i32 s0, 3
	s_cbranch_scc1 .LBB79_528
; %bb.525:
	s_cmp_gt_i32 s0, 3
	s_cbranch_scc0 .LBB79_529
; %bb.526:
	global_load_b64 v[6:7], v[4:5], off
	s_mov_b32 s1, 0
	s_wait_loadcnt 0x0
	v_xor_b32_e32 v1, v6, v7
	v_cls_i32_e32 v3, v7
	s_delay_alu instid0(VALU_DEP_2) | instskip(NEXT) | instid1(VALU_DEP_1)
	v_ashrrev_i32_e32 v1, 31, v1
	v_add_nc_u32_e32 v1, 32, v1
	s_delay_alu instid0(VALU_DEP_1) | instskip(NEXT) | instid1(VALU_DEP_1)
	v_add_min_u32_e64 v1, v3, -1, v1
	v_lshlrev_b64_e32 v[6:7], v1, v[6:7]
	v_sub_nc_u32_e32 v1, 32, v1
	s_delay_alu instid0(VALU_DEP_2) | instskip(NEXT) | instid1(VALU_DEP_1)
	v_min_u32_e32 v3, 1, v6
	v_or_b32_e32 v3, v7, v3
	s_delay_alu instid0(VALU_DEP_1) | instskip(NEXT) | instid1(VALU_DEP_1)
	v_cvt_f32_i32_e32 v3, v3
	v_ldexp_f32 v1, v3, v1
	s_branch .LBB79_530
.LBB79_527:
	s_mov_b32 s1, -1
                                        ; implicit-def: $vgpr1
	s_branch .LBB79_536
.LBB79_528:
	s_mov_b32 s1, -1
                                        ; implicit-def: $vgpr1
	s_branch .LBB79_533
.LBB79_529:
	s_mov_b32 s1, -1
                                        ; implicit-def: $vgpr1
.LBB79_530:
	s_delay_alu instid0(SALU_CYCLE_1)
	s_and_not1_b32 vcc_lo, exec_lo, s1
	s_cbranch_vccnz .LBB79_532
; %bb.531:
	s_wait_loadcnt 0x0
	global_load_b32 v1, v[4:5], off
	s_wait_loadcnt 0x0
	v_cvt_f32_i32_e32 v1, v1
.LBB79_532:
	s_mov_b32 s1, 0
.LBB79_533:
	s_delay_alu instid0(SALU_CYCLE_1)
	s_and_not1_b32 vcc_lo, exec_lo, s1
	s_cbranch_vccnz .LBB79_535
; %bb.534:
	s_wait_loadcnt 0x0
	global_load_i16 v1, v[4:5], off
	s_wait_loadcnt 0x0
	v_cvt_f32_i32_e32 v1, v1
.LBB79_535:
	s_mov_b32 s1, 0
.LBB79_536:
	s_delay_alu instid0(SALU_CYCLE_1)
	s_and_not1_b32 vcc_lo, exec_lo, s1
	s_cbranch_vccnz .LBB79_542
; %bb.537:
	s_cmp_gt_i32 s0, 0
	s_mov_b32 s0, 0
	s_cbranch_scc0 .LBB79_539
; %bb.538:
	s_wait_loadcnt 0x0
	global_load_i8 v1, v[4:5], off
	s_wait_loadcnt 0x0
	v_cvt_f32_i32_e32 v1, v1
	s_branch .LBB79_540
.LBB79_539:
	s_mov_b32 s0, -1
                                        ; implicit-def: $vgpr1
.LBB79_540:
	s_delay_alu instid0(SALU_CYCLE_1)
	s_and_not1_b32 vcc_lo, exec_lo, s0
	s_cbranch_vccnz .LBB79_542
; %bb.541:
	s_wait_loadcnt 0x0
	global_load_u8 v1, v[4:5], off
	s_wait_loadcnt 0x0
	v_cvt_f32_ubyte0_e32 v1, v1
.LBB79_542:
	s_branch .LBB79_297
.LBB79_543:
	s_mov_b32 s0, 0
	s_mov_b32 s1, s18
.LBB79_544:
                                        ; implicit-def: $vgpr0
.LBB79_545:
	s_and_not1_b32 s25, s18, exec_lo
	s_and_b32 s1, s1, exec_lo
	s_and_not1_b32 s26, s39, exec_lo
	s_and_b32 s24, s24, exec_lo
	s_or_b32 s42, s25, s1
	s_or_b32 s41, s26, s24
	s_or_not1_b32 s0, s0, exec_lo
.LBB79_546:
	s_wait_xcnt 0x0
	s_or_b32 exec_lo, exec_lo, s43
	s_mov_b32 s1, 0
	s_mov_b32 s24, 0
	;; [unrolled: 1-line block ×3, first 2 shown]
                                        ; implicit-def: $vgpr4_vgpr5
                                        ; implicit-def: $vgpr2
                                        ; implicit-def: $vgpr6
	s_and_saveexec_b32 s43, s0
	s_cbranch_execz .LBB79_927
; %bb.547:
	s_mov_b32 s25, -1
	s_mov_b32 s26, s41
	s_mov_b32 s27, s42
	s_mov_b32 s44, exec_lo
	v_cmpx_gt_i32_e64 s36, v0
	s_cbranch_execz .LBB79_824
; %bb.548:
	s_and_not1_b32 vcc_lo, exec_lo, s31
	s_cbranch_vccnz .LBB79_554
; %bb.549:
	s_and_not1_b32 vcc_lo, exec_lo, s38
	s_cbranch_vccnz .LBB79_555
; %bb.550:
	s_add_co_i32 s1, s37, 1
	s_cmp_eq_u32 s29, 2
	s_cbranch_scc1 .LBB79_556
; %bb.551:
	v_dual_mov_b32 v2, 0 :: v_dual_mov_b32 v4, 0
	s_wait_loadcnt 0x0
	v_mov_b32_e32 v1, v0
	s_and_b32 s0, s1, 28
	s_mov_b32 s45, 0
	s_mov_b64 s[24:25], s[2:3]
	s_mov_b64 s[26:27], s[22:23]
.LBB79_552:                             ; =>This Inner Loop Header: Depth=1
	s_clause 0x1
	s_load_b256 s[48:55], s[24:25], 0x4
	s_load_b128 s[64:67], s[24:25], 0x24
	s_load_b256 s[56:63], s[26:27], 0x0
	s_add_co_i32 s45, s45, 4
	s_wait_xcnt 0x0
	s_add_nc_u64 s[24:25], s[24:25], 48
	s_cmp_eq_u32 s0, s45
	s_add_nc_u64 s[26:27], s[26:27], 32
	s_wait_kmcnt 0x0
	v_mul_hi_u32 v3, s49, v1
	s_delay_alu instid0(VALU_DEP_1) | instskip(NEXT) | instid1(VALU_DEP_1)
	v_add_nc_u32_e32 v3, v1, v3
	v_lshrrev_b32_e32 v3, s50, v3
	s_delay_alu instid0(VALU_DEP_1) | instskip(NEXT) | instid1(VALU_DEP_1)
	v_mul_hi_u32 v5, s52, v3
	v_add_nc_u32_e32 v5, v3, v5
	s_delay_alu instid0(VALU_DEP_1) | instskip(NEXT) | instid1(VALU_DEP_1)
	v_lshrrev_b32_e32 v5, s53, v5
	v_mul_hi_u32 v6, s55, v5
	s_delay_alu instid0(VALU_DEP_1) | instskip(SKIP_1) | instid1(VALU_DEP_1)
	v_add_nc_u32_e32 v6, v5, v6
	v_mul_lo_u32 v7, v3, s48
	v_sub_nc_u32_e32 v1, v1, v7
	v_mul_lo_u32 v7, v5, s51
	s_delay_alu instid0(VALU_DEP_4) | instskip(NEXT) | instid1(VALU_DEP_3)
	v_lshrrev_b32_e32 v6, s64, v6
	v_mad_u32 v4, v1, s57, v4
	v_mad_u32 v1, v1, s56, v2
	s_delay_alu instid0(VALU_DEP_4) | instskip(NEXT) | instid1(VALU_DEP_4)
	v_sub_nc_u32_e32 v2, v3, v7
	v_mul_hi_u32 v8, s66, v6
	v_mul_lo_u32 v3, v6, s54
	s_delay_alu instid0(VALU_DEP_3) | instskip(SKIP_1) | instid1(VALU_DEP_3)
	v_mad_u32 v4, v2, s59, v4
	v_mad_u32 v2, v2, s58, v1
	v_dual_add_nc_u32 v7, v6, v8 :: v_dual_sub_nc_u32 v3, v5, v3
	s_delay_alu instid0(VALU_DEP_1) | instskip(NEXT) | instid1(VALU_DEP_2)
	v_lshrrev_b32_e32 v1, s67, v7
	v_mad_u32 v4, v3, s61, v4
	s_delay_alu instid0(VALU_DEP_4) | instskip(NEXT) | instid1(VALU_DEP_3)
	v_mad_u32 v2, v3, s60, v2
	v_mul_lo_u32 v5, v1, s65
	s_delay_alu instid0(VALU_DEP_1) | instskip(NEXT) | instid1(VALU_DEP_1)
	v_sub_nc_u32_e32 v3, v6, v5
	v_mad_u32 v4, v3, s63, v4
	s_delay_alu instid0(VALU_DEP_4)
	v_mad_u32 v2, v3, s62, v2
	s_cbranch_scc0 .LBB79_552
; %bb.553:
	s_delay_alu instid0(VALU_DEP_2)
	v_mov_b32_e32 v3, v4
	s_branch .LBB79_557
.LBB79_554:
	s_mov_b32 s0, -1
                                        ; implicit-def: $vgpr4
                                        ; implicit-def: $vgpr2
	s_branch .LBB79_562
.LBB79_555:
	v_dual_mov_b32 v4, 0 :: v_dual_mov_b32 v2, 0
	s_branch .LBB79_561
.LBB79_556:
	v_mov_b64_e32 v[2:3], 0
	s_wait_loadcnt 0x0
	v_mov_b32_e32 v1, v0
	s_mov_b32 s0, 0
                                        ; implicit-def: $vgpr4
.LBB79_557:
	s_and_b32 s26, s1, 3
	s_mov_b32 s1, 0
	s_cmp_eq_u32 s26, 0
	s_cbranch_scc1 .LBB79_561
; %bb.558:
	s_lshl_b32 s24, s0, 3
	s_mov_b32 s25, s1
	s_mul_u64 s[46:47], s[0:1], 12
	s_add_nc_u64 s[24:25], s[2:3], s[24:25]
	s_delay_alu instid0(SALU_CYCLE_1)
	s_add_nc_u64 s[0:1], s[24:25], 0xc4
	s_add_nc_u64 s[24:25], s[2:3], s[46:47]
.LBB79_559:                             ; =>This Inner Loop Header: Depth=1
	s_load_b96 s[48:50], s[24:25], 0x4
	s_load_b64 s[46:47], s[0:1], 0x0
	s_add_co_i32 s26, s26, -1
	s_wait_xcnt 0x0
	s_add_nc_u64 s[24:25], s[24:25], 12
	s_cmp_lg_u32 s26, 0
	s_add_nc_u64 s[0:1], s[0:1], 8
	s_wait_kmcnt 0x0
	v_mul_hi_u32 v4, s49, v1
	s_delay_alu instid0(VALU_DEP_1) | instskip(NEXT) | instid1(VALU_DEP_1)
	v_add_nc_u32_e32 v4, v1, v4
	v_lshrrev_b32_e32 v4, s50, v4
	s_delay_alu instid0(VALU_DEP_1) | instskip(NEXT) | instid1(VALU_DEP_1)
	v_mul_lo_u32 v5, v4, s48
	v_sub_nc_u32_e32 v1, v1, v5
	s_delay_alu instid0(VALU_DEP_1)
	v_mad_u32 v3, v1, s47, v3
	v_mad_u32 v2, v1, s46, v2
	v_mov_b32_e32 v1, v4
	s_cbranch_scc1 .LBB79_559
; %bb.560:
	s_delay_alu instid0(VALU_DEP_3)
	v_mov_b32_e32 v4, v3
.LBB79_561:
	s_mov_b32 s0, 0
.LBB79_562:
	s_delay_alu instid0(SALU_CYCLE_1)
	s_and_not1_b32 vcc_lo, exec_lo, s0
	s_cbranch_vccnz .LBB79_565
; %bb.563:
	s_wait_loadcnt 0x0
	v_mov_b32_e32 v1, 0
	s_and_not1_b32 vcc_lo, exec_lo, s35
	s_delay_alu instid0(VALU_DEP_1) | instskip(NEXT) | instid1(VALU_DEP_1)
	v_mul_u64_e32 v[2:3], s[16:17], v[0:1]
	v_add_nc_u32_e32 v2, v0, v3
	s_delay_alu instid0(VALU_DEP_1) | instskip(NEXT) | instid1(VALU_DEP_1)
	v_lshrrev_b32_e32 v6, s14, v2
	v_mul_lo_u32 v2, v6, s12
	s_delay_alu instid0(VALU_DEP_1) | instskip(NEXT) | instid1(VALU_DEP_1)
	v_sub_nc_u32_e32 v2, v0, v2
	v_mul_lo_u32 v4, v2, s9
	v_mul_lo_u32 v2, v2, s8
	s_cbranch_vccnz .LBB79_565
; %bb.564:
	v_mov_b32_e32 v7, v1
	s_delay_alu instid0(VALU_DEP_1) | instskip(NEXT) | instid1(VALU_DEP_1)
	v_mul_u64_e32 v[8:9], s[20:21], v[6:7]
	v_add_nc_u32_e32 v1, v6, v9
	s_delay_alu instid0(VALU_DEP_1) | instskip(NEXT) | instid1(VALU_DEP_1)
	v_lshrrev_b32_e32 v1, s19, v1
	v_mul_lo_u32 v1, v1, s15
	s_delay_alu instid0(VALU_DEP_1) | instskip(NEXT) | instid1(VALU_DEP_1)
	v_sub_nc_u32_e32 v1, v6, v1
	v_mad_u32 v2, v1, s10, v2
	v_mad_u32 v4, v1, s11, v4
.LBB79_565:
	v_mov_b32_e32 v5, 0
	s_and_b32 s0, 0xffff, s13
	s_delay_alu instid0(SALU_CYCLE_1) | instskip(NEXT) | instid1(VALU_DEP_1)
	s_cmp_lt_i32 s0, 11
	v_add_nc_u64_e32 v[4:5], s[6:7], v[4:5]
	s_cbranch_scc1 .LBB79_572
; %bb.566:
	s_cmp_gt_i32 s0, 25
	s_cbranch_scc0 .LBB79_573
; %bb.567:
	s_cmp_gt_i32 s0, 28
	s_cbranch_scc0 .LBB79_574
; %bb.568:
	s_cmp_gt_i32 s0, 43
	s_cbranch_scc0 .LBB79_575
; %bb.569:
	s_cmp_gt_i32 s0, 45
	s_cbranch_scc0 .LBB79_578
; %bb.570:
	s_cmp_eq_u32 s0, 46
	s_mov_b32 s25, 0
	s_cbranch_scc0 .LBB79_581
; %bb.571:
	s_wait_loadcnt 0x0
	global_load_b32 v1, v[4:5], off
	s_mov_b32 s1, -1
	s_mov_b32 s24, 0
	s_wait_loadcnt 0x0
	v_lshlrev_b32_e32 v1, 16, v1
	s_branch .LBB79_583
.LBB79_572:
	s_mov_b32 s25, -1
	s_mov_b32 s1, 0
	s_mov_b32 s24, s41
                                        ; implicit-def: $vgpr1
	s_branch .LBB79_648
.LBB79_573:
	s_mov_b32 s25, -1
	s_mov_b32 s1, 0
	s_mov_b32 s24, s41
                                        ; implicit-def: $vgpr1
	s_branch .LBB79_612
.LBB79_574:
	s_mov_b32 s25, -1
	s_mov_b32 s1, 0
	s_mov_b32 s24, s41
                                        ; implicit-def: $vgpr1
	s_branch .LBB79_593
.LBB79_575:
	s_mov_b32 s25, -1
	s_mov_b32 s1, 0
	s_mov_b32 s24, s41
                                        ; implicit-def: $vgpr1
	s_branch .LBB79_588
.LBB79_576:
	s_and_not1_saveexec_b32 s42, s42
	s_cbranch_execz .LBB79_343
.LBB79_577:
	v_add_f32_e32 v1, 0x46000000, v4
	s_and_not1_b32 s41, s41, exec_lo
	s_delay_alu instid0(VALU_DEP_1) | instskip(NEXT) | instid1(VALU_DEP_1)
	v_and_b32_e32 v1, 0xff, v1
	v_cmp_ne_u32_e32 vcc_lo, 0, v1
	s_and_b32 s44, vcc_lo, exec_lo
	s_delay_alu instid0(SALU_CYCLE_1)
	s_or_b32 s41, s41, s44
	s_or_b32 exec_lo, exec_lo, s42
	v_mov_b32_e32 v5, 0
	s_and_saveexec_b32 s42, s41
	s_cbranch_execnz .LBB79_344
	s_branch .LBB79_345
.LBB79_578:
	s_mov_b32 s25, -1
	s_mov_b32 s1, 0
	s_mov_b32 s24, s41
	s_branch .LBB79_582
.LBB79_579:
	s_and_not1_saveexec_b32 s42, s42
	s_cbranch_execz .LBB79_356
.LBB79_580:
	v_add_f32_e32 v1, 0x42800000, v4
	s_and_not1_b32 s41, s41, exec_lo
	s_delay_alu instid0(VALU_DEP_1) | instskip(NEXT) | instid1(VALU_DEP_1)
	v_and_b32_e32 v1, 0xff, v1
	v_cmp_ne_u32_e32 vcc_lo, 0, v1
	s_and_b32 s44, vcc_lo, exec_lo
	s_delay_alu instid0(SALU_CYCLE_1)
	s_or_b32 s41, s41, s44
	s_or_b32 exec_lo, exec_lo, s42
	v_mov_b32_e32 v5, 0
	s_and_saveexec_b32 s42, s41
	s_cbranch_execnz .LBB79_357
	s_branch .LBB79_358
.LBB79_581:
	s_mov_b32 s24, -1
	s_mov_b32 s1, 0
.LBB79_582:
                                        ; implicit-def: $vgpr1
.LBB79_583:
	s_and_b32 vcc_lo, exec_lo, s25
	s_cbranch_vccz .LBB79_587
; %bb.584:
	s_cmp_eq_u32 s0, 44
	s_cbranch_scc0 .LBB79_586
; %bb.585:
	s_wait_loadcnt 0x0
	global_load_u8 v1, v[4:5], off
	s_mov_b32 s24, 0
	s_mov_b32 s1, -1
	s_wait_loadcnt 0x0
	v_lshlrev_b32_e32 v3, 23, v1
	v_cmp_ne_u32_e32 vcc_lo, 0xff, v1
	s_delay_alu instid0(VALU_DEP_2) | instskip(SKIP_1) | instid1(VALU_DEP_2)
	v_cndmask_b32_e32 v3, 0x7f800001, v3, vcc_lo
	v_cmp_ne_u32_e32 vcc_lo, 0, v1
	v_cndmask_b32_e32 v1, 0x400000, v3, vcc_lo
	s_branch .LBB79_587
.LBB79_586:
	s_mov_b32 s24, -1
                                        ; implicit-def: $vgpr1
.LBB79_587:
	s_mov_b32 s25, 0
.LBB79_588:
	s_delay_alu instid0(SALU_CYCLE_1)
	s_and_b32 vcc_lo, exec_lo, s25
	s_cbranch_vccz .LBB79_592
; %bb.589:
	s_cmp_eq_u32 s0, 29
	s_cbranch_scc0 .LBB79_591
; %bb.590:
	global_load_b64 v[6:7], v[4:5], off
	s_mov_b32 s1, -1
	s_mov_b32 s24, 0
	s_mov_b32 s25, 0
	s_wait_loadcnt 0x0
	v_clz_i32_u32_e32 v1, v7
	s_delay_alu instid0(VALU_DEP_1) | instskip(NEXT) | instid1(VALU_DEP_1)
	v_min_u32_e32 v1, 32, v1
	v_lshlrev_b64_e32 v[6:7], v1, v[6:7]
	v_sub_nc_u32_e32 v1, 32, v1
	s_delay_alu instid0(VALU_DEP_2) | instskip(NEXT) | instid1(VALU_DEP_1)
	v_min_u32_e32 v3, 1, v6
	v_or_b32_e32 v3, v7, v3
	s_delay_alu instid0(VALU_DEP_1) | instskip(NEXT) | instid1(VALU_DEP_1)
	v_cvt_f32_u32_e32 v3, v3
	v_ldexp_f32 v1, v3, v1
	s_branch .LBB79_593
.LBB79_591:
	s_mov_b32 s24, -1
                                        ; implicit-def: $vgpr1
.LBB79_592:
	s_mov_b32 s25, 0
.LBB79_593:
	s_delay_alu instid0(SALU_CYCLE_1)
	s_and_b32 vcc_lo, exec_lo, s25
	s_cbranch_vccz .LBB79_611
; %bb.594:
	s_cmp_lt_i32 s0, 27
	s_cbranch_scc1 .LBB79_597
; %bb.595:
	s_cmp_gt_i32 s0, 27
	s_cbranch_scc0 .LBB79_598
; %bb.596:
	s_wait_loadcnt 0x0
	global_load_b32 v1, v[4:5], off
	s_mov_b32 s1, 0
	s_wait_loadcnt 0x0
	v_cvt_f32_u32_e32 v1, v1
	s_branch .LBB79_599
.LBB79_597:
	s_mov_b32 s1, -1
                                        ; implicit-def: $vgpr1
	s_branch .LBB79_602
.LBB79_598:
	s_mov_b32 s1, -1
                                        ; implicit-def: $vgpr1
.LBB79_599:
	s_delay_alu instid0(SALU_CYCLE_1)
	s_and_not1_b32 vcc_lo, exec_lo, s1
	s_cbranch_vccnz .LBB79_601
; %bb.600:
	s_wait_loadcnt 0x0
	global_load_u16 v1, v[4:5], off
	s_wait_loadcnt 0x0
	v_cvt_f32_u32_e32 v1, v1
.LBB79_601:
	s_mov_b32 s1, 0
.LBB79_602:
	s_delay_alu instid0(SALU_CYCLE_1)
	s_and_not1_b32 vcc_lo, exec_lo, s1
	s_cbranch_vccnz .LBB79_610
; %bb.603:
	global_load_u8 v3, v[4:5], off
	s_mov_b32 s1, 0
	s_mov_b32 s25, exec_lo
	s_wait_loadcnt 0x0
	v_cmpx_lt_i16_e32 0x7f, v3
	s_xor_b32 s25, exec_lo, s25
	s_cbranch_execz .LBB79_624
; %bb.604:
	s_mov_b32 s1, -1
	s_mov_b32 s26, exec_lo
	v_cmpx_eq_u16_e32 0x80, v3
; %bb.605:
	s_xor_b32 s1, exec_lo, -1
; %bb.606:
	s_or_b32 exec_lo, exec_lo, s26
	s_delay_alu instid0(SALU_CYCLE_1)
	s_and_b32 s1, s1, exec_lo
	s_or_saveexec_b32 s25, s25
	v_mov_b32_e32 v1, 0x7f800001
	s_xor_b32 exec_lo, exec_lo, s25
	s_cbranch_execnz .LBB79_625
.LBB79_607:
	s_or_b32 exec_lo, exec_lo, s25
	s_and_saveexec_b32 s25, s1
	s_cbranch_execz .LBB79_609
.LBB79_608:
	v_and_b32_e32 v1, 0xffff, v3
	s_delay_alu instid0(VALU_DEP_1) | instskip(SKIP_1) | instid1(VALU_DEP_2)
	v_and_b32_e32 v6, 7, v1
	v_bfe_u32 v9, v1, 3, 4
	v_clz_i32_u32_e32 v7, v6
	s_delay_alu instid0(VALU_DEP_2) | instskip(NEXT) | instid1(VALU_DEP_2)
	v_cmp_eq_u32_e32 vcc_lo, 0, v9
	v_min_u32_e32 v7, 32, v7
	s_delay_alu instid0(VALU_DEP_1) | instskip(NEXT) | instid1(VALU_DEP_1)
	v_subrev_nc_u32_e32 v8, 28, v7
	v_dual_lshlrev_b32 v1, v8, v1 :: v_dual_sub_nc_u32 v7, 29, v7
	s_delay_alu instid0(VALU_DEP_1) | instskip(NEXT) | instid1(VALU_DEP_1)
	v_dual_lshlrev_b32 v3, 24, v3 :: v_dual_bitop2_b32 v1, 7, v1 bitop3:0x40
	v_dual_cndmask_b32 v1, v6, v1, vcc_lo :: v_dual_cndmask_b32 v7, v9, v7, vcc_lo
	s_delay_alu instid0(VALU_DEP_2) | instskip(NEXT) | instid1(VALU_DEP_2)
	v_and_b32_e32 v3, 0x80000000, v3
	v_lshlrev_b32_e32 v1, 20, v1
	s_delay_alu instid0(VALU_DEP_3) | instskip(NEXT) | instid1(VALU_DEP_1)
	v_lshl_add_u32 v6, v7, 23, 0x3b800000
	v_or3_b32 v1, v3, v6, v1
.LBB79_609:
	s_or_b32 exec_lo, exec_lo, s25
.LBB79_610:
	s_mov_b32 s1, -1
.LBB79_611:
	s_mov_b32 s25, 0
.LBB79_612:
	s_delay_alu instid0(SALU_CYCLE_1)
	s_and_b32 vcc_lo, exec_lo, s25
	s_cbranch_vccz .LBB79_647
; %bb.613:
	s_cmp_gt_i32 s0, 22
	s_cbranch_scc0 .LBB79_623
; %bb.614:
	s_cmp_lt_i32 s0, 24
	s_cbranch_scc1 .LBB79_626
; %bb.615:
	s_cmp_gt_i32 s0, 24
	s_cbranch_scc0 .LBB79_627
; %bb.616:
	global_load_u8 v3, v[4:5], off
	s_mov_b32 s1, 0
	s_mov_b32 s25, exec_lo
	s_wait_loadcnt 0x0
	v_cmpx_lt_i16_e32 0x7f, v3
	s_xor_b32 s25, exec_lo, s25
	s_cbranch_execz .LBB79_639
; %bb.617:
	s_mov_b32 s1, -1
	s_mov_b32 s26, exec_lo
	v_cmpx_eq_u16_e32 0x80, v3
; %bb.618:
	s_xor_b32 s1, exec_lo, -1
; %bb.619:
	s_or_b32 exec_lo, exec_lo, s26
	s_delay_alu instid0(SALU_CYCLE_1)
	s_and_b32 s1, s1, exec_lo
	s_or_saveexec_b32 s25, s25
	v_mov_b32_e32 v1, 0x7f800001
	s_xor_b32 exec_lo, exec_lo, s25
	s_cbranch_execnz .LBB79_640
.LBB79_620:
	s_or_b32 exec_lo, exec_lo, s25
	s_and_saveexec_b32 s25, s1
	s_cbranch_execz .LBB79_622
.LBB79_621:
	v_and_b32_e32 v1, 0xffff, v3
	s_delay_alu instid0(VALU_DEP_1) | instskip(SKIP_1) | instid1(VALU_DEP_2)
	v_and_b32_e32 v6, 3, v1
	v_bfe_u32 v9, v1, 2, 5
	v_clz_i32_u32_e32 v7, v6
	s_delay_alu instid0(VALU_DEP_2) | instskip(NEXT) | instid1(VALU_DEP_2)
	v_cmp_eq_u32_e32 vcc_lo, 0, v9
	v_min_u32_e32 v7, 32, v7
	s_delay_alu instid0(VALU_DEP_1) | instskip(NEXT) | instid1(VALU_DEP_1)
	v_subrev_nc_u32_e32 v8, 29, v7
	v_dual_lshlrev_b32 v1, v8, v1 :: v_dual_sub_nc_u32 v7, 30, v7
	s_delay_alu instid0(VALU_DEP_1) | instskip(NEXT) | instid1(VALU_DEP_1)
	v_dual_lshlrev_b32 v3, 24, v3 :: v_dual_bitop2_b32 v1, 3, v1 bitop3:0x40
	v_dual_cndmask_b32 v1, v6, v1, vcc_lo :: v_dual_cndmask_b32 v7, v9, v7, vcc_lo
	s_delay_alu instid0(VALU_DEP_2) | instskip(NEXT) | instid1(VALU_DEP_2)
	v_and_b32_e32 v3, 0x80000000, v3
	v_lshlrev_b32_e32 v1, 21, v1
	s_delay_alu instid0(VALU_DEP_3) | instskip(NEXT) | instid1(VALU_DEP_1)
	v_lshl_add_u32 v6, v7, 23, 0x37800000
	v_or3_b32 v1, v3, v6, v1
.LBB79_622:
	s_or_b32 exec_lo, exec_lo, s25
	s_mov_b32 s1, 0
	s_branch .LBB79_628
.LBB79_623:
	s_mov_b32 s25, -1
                                        ; implicit-def: $vgpr1
	s_branch .LBB79_634
.LBB79_624:
	s_or_saveexec_b32 s25, s25
	v_mov_b32_e32 v1, 0x7f800001
	s_xor_b32 exec_lo, exec_lo, s25
	s_cbranch_execz .LBB79_607
.LBB79_625:
	v_cmp_ne_u16_e32 vcc_lo, 0, v3
	v_mov_b32_e32 v1, 0
	s_and_not1_b32 s1, s1, exec_lo
	s_and_b32 s26, vcc_lo, exec_lo
	s_delay_alu instid0(SALU_CYCLE_1)
	s_or_b32 s1, s1, s26
	s_or_b32 exec_lo, exec_lo, s25
	s_and_saveexec_b32 s25, s1
	s_cbranch_execnz .LBB79_608
	s_branch .LBB79_609
.LBB79_626:
	s_mov_b32 s1, -1
                                        ; implicit-def: $vgpr1
	s_branch .LBB79_631
.LBB79_627:
	s_mov_b32 s1, -1
                                        ; implicit-def: $vgpr1
.LBB79_628:
	s_delay_alu instid0(SALU_CYCLE_1)
	s_and_b32 vcc_lo, exec_lo, s1
	s_cbranch_vccz .LBB79_630
; %bb.629:
	s_wait_loadcnt 0x0
	global_load_u8 v1, v[4:5], off
	s_wait_loadcnt 0x0
	v_lshlrev_b32_e32 v1, 24, v1
	s_delay_alu instid0(VALU_DEP_1) | instskip(NEXT) | instid1(VALU_DEP_1)
	v_and_b32_e32 v3, 0x7f000000, v1
	v_clz_i32_u32_e32 v6, v3
	v_cmp_ne_u32_e32 vcc_lo, 0, v3
	v_add_nc_u32_e32 v8, 0x1000000, v3
	s_delay_alu instid0(VALU_DEP_3) | instskip(NEXT) | instid1(VALU_DEP_1)
	v_min_u32_e32 v6, 32, v6
	v_sub_nc_u32_e64 v6, v6, 4 clamp
	s_delay_alu instid0(VALU_DEP_1) | instskip(NEXT) | instid1(VALU_DEP_1)
	v_dual_lshlrev_b32 v7, v6, v3 :: v_dual_lshlrev_b32 v6, 23, v6
	v_lshrrev_b32_e32 v7, 4, v7
	s_delay_alu instid0(VALU_DEP_1) | instskip(NEXT) | instid1(VALU_DEP_1)
	v_dual_sub_nc_u32 v6, v7, v6 :: v_dual_ashrrev_i32 v7, 8, v8
	v_add_nc_u32_e32 v6, 0x3c000000, v6
	s_delay_alu instid0(VALU_DEP_1) | instskip(NEXT) | instid1(VALU_DEP_1)
	v_and_or_b32 v6, 0x7f800000, v7, v6
	v_cndmask_b32_e32 v3, 0, v6, vcc_lo
	s_delay_alu instid0(VALU_DEP_1)
	v_and_or_b32 v1, 0x80000000, v1, v3
.LBB79_630:
	s_mov_b32 s1, 0
.LBB79_631:
	s_delay_alu instid0(SALU_CYCLE_1)
	s_and_not1_b32 vcc_lo, exec_lo, s1
	s_cbranch_vccnz .LBB79_633
; %bb.632:
	s_wait_loadcnt 0x0
	global_load_u8 v1, v[4:5], off
	s_wait_loadcnt 0x0
	v_lshlrev_b32_e32 v3, 25, v1
	v_lshlrev_b16 v1, 8, v1
	s_delay_alu instid0(VALU_DEP_1) | instskip(SKIP_1) | instid1(VALU_DEP_2)
	v_and_or_b32 v7, 0x7f00, v1, 0.5
	v_bfe_i32 v1, v1, 0, 16
	v_add_f32_e32 v7, -0.5, v7
	v_lshrrev_b32_e32 v6, 4, v3
	v_cmp_gt_u32_e32 vcc_lo, 0x8000000, v3
	s_delay_alu instid0(VALU_DEP_2) | instskip(NEXT) | instid1(VALU_DEP_1)
	v_or_b32_e32 v6, 0x70000000, v6
	v_mul_f32_e32 v6, 0x7800000, v6
	s_delay_alu instid0(VALU_DEP_1) | instskip(NEXT) | instid1(VALU_DEP_1)
	v_cndmask_b32_e32 v3, v6, v7, vcc_lo
	v_and_or_b32 v1, 0x80000000, v1, v3
.LBB79_633:
	s_mov_b32 s25, 0
	s_mov_b32 s1, -1
.LBB79_634:
	s_and_not1_b32 vcc_lo, exec_lo, s25
	s_cbranch_vccnz .LBB79_647
; %bb.635:
	s_cmp_gt_i32 s0, 14
	s_cbranch_scc0 .LBB79_638
; %bb.636:
	s_cmp_eq_u32 s0, 15
	s_cbranch_scc0 .LBB79_641
; %bb.637:
	s_wait_loadcnt 0x0
	global_load_u16 v1, v[4:5], off
	s_mov_b32 s1, -1
	s_mov_b32 s24, 0
	s_wait_loadcnt 0x0
	v_lshlrev_b32_e32 v1, 16, v1
	s_branch .LBB79_642
.LBB79_638:
	s_mov_b32 s25, -1
                                        ; implicit-def: $vgpr1
	s_branch .LBB79_643
.LBB79_639:
	s_or_saveexec_b32 s25, s25
	v_mov_b32_e32 v1, 0x7f800001
	s_xor_b32 exec_lo, exec_lo, s25
	s_cbranch_execz .LBB79_620
.LBB79_640:
	v_cmp_ne_u16_e32 vcc_lo, 0, v3
	v_mov_b32_e32 v1, 0
	s_and_not1_b32 s1, s1, exec_lo
	s_and_b32 s26, vcc_lo, exec_lo
	s_delay_alu instid0(SALU_CYCLE_1)
	s_or_b32 s1, s1, s26
	s_or_b32 exec_lo, exec_lo, s25
	s_and_saveexec_b32 s25, s1
	s_cbranch_execnz .LBB79_621
	s_branch .LBB79_622
.LBB79_641:
	s_mov_b32 s24, -1
                                        ; implicit-def: $vgpr1
.LBB79_642:
	s_mov_b32 s25, 0
.LBB79_643:
	s_delay_alu instid0(SALU_CYCLE_1)
	s_and_b32 vcc_lo, exec_lo, s25
	s_cbranch_vccz .LBB79_647
; %bb.644:
	s_cmp_eq_u32 s0, 11
	s_cbranch_scc0 .LBB79_646
; %bb.645:
	s_wait_loadcnt 0x0
	global_load_u8 v1, v[4:5], off
	s_mov_b32 s24, 0
	s_mov_b32 s1, -1
	s_wait_loadcnt 0x0
	v_cmp_ne_u16_e32 vcc_lo, 0, v1
	v_cndmask_b32_e64 v1, 0, 1.0, vcc_lo
	s_branch .LBB79_647
.LBB79_646:
	s_mov_b32 s24, -1
                                        ; implicit-def: $vgpr1
.LBB79_647:
	s_mov_b32 s25, 0
.LBB79_648:
	s_delay_alu instid0(SALU_CYCLE_1)
	s_and_b32 vcc_lo, exec_lo, s25
	s_cbranch_vccz .LBB79_697
; %bb.649:
	s_cmp_lt_i32 s0, 5
	s_cbranch_scc1 .LBB79_654
; %bb.650:
	s_cmp_lt_i32 s0, 8
	s_cbranch_scc1 .LBB79_655
	;; [unrolled: 3-line block ×3, first 2 shown]
; %bb.652:
	s_cmp_gt_i32 s0, 9
	s_cbranch_scc0 .LBB79_657
; %bb.653:
	global_load_b64 v[6:7], v[4:5], off
	s_mov_b32 s1, 0
	s_wait_loadcnt 0x0
	v_cvt_f32_f64_e32 v1, v[6:7]
	s_branch .LBB79_658
.LBB79_654:
	s_mov_b32 s1, -1
                                        ; implicit-def: $vgpr1
	s_branch .LBB79_676
.LBB79_655:
	s_mov_b32 s1, -1
                                        ; implicit-def: $vgpr1
	s_branch .LBB79_664
.LBB79_656:
	s_mov_b32 s1, -1
                                        ; implicit-def: $vgpr1
	s_branch .LBB79_661
.LBB79_657:
	s_mov_b32 s1, -1
                                        ; implicit-def: $vgpr1
.LBB79_658:
	s_delay_alu instid0(SALU_CYCLE_1)
	s_and_not1_b32 vcc_lo, exec_lo, s1
	s_cbranch_vccnz .LBB79_660
; %bb.659:
	s_wait_loadcnt 0x0
	global_load_b32 v1, v[4:5], off
.LBB79_660:
	s_mov_b32 s1, 0
.LBB79_661:
	s_delay_alu instid0(SALU_CYCLE_1)
	s_and_not1_b32 vcc_lo, exec_lo, s1
	s_cbranch_vccnz .LBB79_663
; %bb.662:
	s_wait_loadcnt 0x0
	global_load_b32 v1, v[4:5], off
	s_wait_loadcnt 0x0
	v_cvt_f32_f16_e32 v1, v1
.LBB79_663:
	s_mov_b32 s1, 0
.LBB79_664:
	s_delay_alu instid0(SALU_CYCLE_1)
	s_and_not1_b32 vcc_lo, exec_lo, s1
	s_cbranch_vccnz .LBB79_675
; %bb.665:
	s_cmp_lt_i32 s0, 6
	s_cbranch_scc1 .LBB79_668
; %bb.666:
	s_cmp_gt_i32 s0, 6
	s_cbranch_scc0 .LBB79_669
; %bb.667:
	global_load_b64 v[6:7], v[4:5], off
	s_mov_b32 s1, 0
	s_wait_loadcnt 0x0
	v_cvt_f32_f64_e32 v1, v[6:7]
	s_branch .LBB79_670
.LBB79_668:
	s_mov_b32 s1, -1
                                        ; implicit-def: $vgpr1
	s_branch .LBB79_673
.LBB79_669:
	s_mov_b32 s1, -1
                                        ; implicit-def: $vgpr1
.LBB79_670:
	s_delay_alu instid0(SALU_CYCLE_1)
	s_and_not1_b32 vcc_lo, exec_lo, s1
	s_cbranch_vccnz .LBB79_672
; %bb.671:
	s_wait_loadcnt 0x0
	global_load_b32 v1, v[4:5], off
.LBB79_672:
	s_mov_b32 s1, 0
.LBB79_673:
	s_delay_alu instid0(SALU_CYCLE_1)
	s_and_not1_b32 vcc_lo, exec_lo, s1
	s_cbranch_vccnz .LBB79_675
; %bb.674:
	s_wait_loadcnt 0x0
	global_load_u16 v1, v[4:5], off
	s_wait_loadcnt 0x0
	v_cvt_f32_f16_e32 v1, v1
.LBB79_675:
	s_mov_b32 s1, 0
.LBB79_676:
	s_delay_alu instid0(SALU_CYCLE_1)
	s_and_not1_b32 vcc_lo, exec_lo, s1
	s_cbranch_vccnz .LBB79_696
; %bb.677:
	s_cmp_lt_i32 s0, 2
	s_cbranch_scc1 .LBB79_681
; %bb.678:
	s_cmp_lt_i32 s0, 3
	s_cbranch_scc1 .LBB79_682
; %bb.679:
	s_cmp_gt_i32 s0, 3
	s_cbranch_scc0 .LBB79_683
; %bb.680:
	global_load_b64 v[6:7], v[4:5], off
	s_mov_b32 s1, 0
	s_wait_loadcnt 0x0
	v_xor_b32_e32 v1, v6, v7
	v_cls_i32_e32 v3, v7
	s_delay_alu instid0(VALU_DEP_2) | instskip(NEXT) | instid1(VALU_DEP_1)
	v_ashrrev_i32_e32 v1, 31, v1
	v_add_nc_u32_e32 v1, 32, v1
	s_delay_alu instid0(VALU_DEP_1) | instskip(NEXT) | instid1(VALU_DEP_1)
	v_add_min_u32_e64 v1, v3, -1, v1
	v_lshlrev_b64_e32 v[6:7], v1, v[6:7]
	v_sub_nc_u32_e32 v1, 32, v1
	s_delay_alu instid0(VALU_DEP_2) | instskip(NEXT) | instid1(VALU_DEP_1)
	v_min_u32_e32 v3, 1, v6
	v_or_b32_e32 v3, v7, v3
	s_delay_alu instid0(VALU_DEP_1) | instskip(NEXT) | instid1(VALU_DEP_1)
	v_cvt_f32_i32_e32 v3, v3
	v_ldexp_f32 v1, v3, v1
	s_branch .LBB79_684
.LBB79_681:
	s_mov_b32 s1, -1
                                        ; implicit-def: $vgpr1
	s_branch .LBB79_690
.LBB79_682:
	s_mov_b32 s1, -1
                                        ; implicit-def: $vgpr1
	s_branch .LBB79_687
.LBB79_683:
	s_mov_b32 s1, -1
                                        ; implicit-def: $vgpr1
.LBB79_684:
	s_delay_alu instid0(SALU_CYCLE_1)
	s_and_not1_b32 vcc_lo, exec_lo, s1
	s_cbranch_vccnz .LBB79_686
; %bb.685:
	s_wait_loadcnt 0x0
	global_load_b32 v1, v[4:5], off
	s_wait_loadcnt 0x0
	v_cvt_f32_i32_e32 v1, v1
.LBB79_686:
	s_mov_b32 s1, 0
.LBB79_687:
	s_delay_alu instid0(SALU_CYCLE_1)
	s_and_not1_b32 vcc_lo, exec_lo, s1
	s_cbranch_vccnz .LBB79_689
; %bb.688:
	s_wait_loadcnt 0x0
	global_load_i16 v1, v[4:5], off
	s_wait_loadcnt 0x0
	v_cvt_f32_i32_e32 v1, v1
.LBB79_689:
	s_mov_b32 s1, 0
.LBB79_690:
	s_delay_alu instid0(SALU_CYCLE_1)
	s_and_not1_b32 vcc_lo, exec_lo, s1
	s_cbranch_vccnz .LBB79_696
; %bb.691:
	s_cmp_gt_i32 s0, 0
	s_mov_b32 s0, 0
	s_cbranch_scc0 .LBB79_693
; %bb.692:
	s_wait_loadcnt 0x0
	global_load_i8 v1, v[4:5], off
	s_wait_loadcnt 0x0
	v_cvt_f32_i32_e32 v1, v1
	s_branch .LBB79_694
.LBB79_693:
	s_mov_b32 s0, -1
                                        ; implicit-def: $vgpr1
.LBB79_694:
	s_delay_alu instid0(SALU_CYCLE_1)
	s_and_not1_b32 vcc_lo, exec_lo, s0
	s_cbranch_vccnz .LBB79_696
; %bb.695:
	s_wait_loadcnt 0x0
	global_load_u8 v1, v[4:5], off
	s_wait_loadcnt 0x0
	v_cvt_f32_ubyte0_e32 v1, v1
.LBB79_696:
	s_mov_b32 s1, -1
.LBB79_697:
	s_delay_alu instid0(SALU_CYCLE_1)
	s_and_not1_b32 vcc_lo, exec_lo, s1
	s_cbranch_vccnz .LBB79_705
; %bb.698:
	v_mov_b32_e32 v3, 0
	s_wait_loadcnt 0x0
	s_delay_alu instid0(VALU_DEP_2) | instskip(SKIP_1) | instid1(SALU_CYCLE_1)
	v_cmp_eq_f32_e64 s0, 0xff800000, v1
	s_and_b32 s25, s34, 0xff
	s_cmp_lt_i32 s25, 11
	v_add_nc_u64_e32 v[2:3], s[4:5], v[2:3]
	s_cbranch_scc1 .LBB79_706
; %bb.699:
	s_and_b32 s26, 0xffff, s25
	s_delay_alu instid0(SALU_CYCLE_1)
	s_cmp_gt_i32 s26, 25
	s_cbranch_scc0 .LBB79_707
; %bb.700:
	s_cmp_gt_i32 s26, 28
	s_cbranch_scc0 .LBB79_708
; %bb.701:
	;; [unrolled: 3-line block ×4, first 2 shown]
	s_mov_b32 s45, 0
	s_mov_b32 s1, -1
	s_cmp_eq_u32 s26, 46
	s_mov_b32 s27, 0
	s_cbranch_scc0 .LBB79_711
; %bb.704:
	v_cndmask_b32_e64 v1, 0, 1.0, s0
	s_mov_b32 s27, -1
	s_mov_b32 s1, 0
	s_wait_xcnt 0x0
	s_delay_alu instid0(VALU_DEP_1) | instskip(NEXT) | instid1(VALU_DEP_1)
	v_bfe_u32 v4, v1, 16, 1
	v_add3_u32 v1, v1, v4, 0x7fff
	s_delay_alu instid0(VALU_DEP_1)
	v_lshrrev_b32_e32 v1, 16, v1
	global_store_b32 v[2:3], v1, off
	s_branch .LBB79_711
.LBB79_705:
	s_mov_b32 s0, 0
	s_mov_b32 s1, s42
	s_branch .LBB79_822
.LBB79_706:
	s_mov_b32 s26, -1
	s_mov_b32 s27, 0
	s_mov_b32 s1, s42
	s_branch .LBB79_780
.LBB79_707:
	s_mov_b32 s45, -1
	s_mov_b32 s27, 0
	s_mov_b32 s1, s42
	s_branch .LBB79_738
.LBB79_708:
	s_mov_b32 s45, -1
	s_mov_b32 s27, 0
	s_mov_b32 s1, s42
	s_branch .LBB79_721
.LBB79_709:
	s_mov_b32 s45, -1
	s_mov_b32 s27, 0
	s_mov_b32 s1, s42
	s_branch .LBB79_717
.LBB79_710:
	s_mov_b32 s45, -1
	s_mov_b32 s27, 0
	s_mov_b32 s1, s42
.LBB79_711:
	s_and_b32 vcc_lo, exec_lo, s45
	s_cbranch_vccz .LBB79_716
; %bb.712:
	s_cmp_eq_u32 s26, 44
	s_mov_b32 s1, -1
	s_cbranch_scc0 .LBB79_716
; %bb.713:
	s_wait_xcnt 0x0
	v_cndmask_b32_e64 v5, 0, 1.0, s0
	s_mov_b32 s27, exec_lo
	s_delay_alu instid0(VALU_DEP_1) | instskip(NEXT) | instid1(VALU_DEP_1)
	v_dual_mov_b32 v4, 0xff :: v_dual_lshrrev_b32 v1, 23, v5
	v_cmpx_ne_u32_e32 0xff, v1
; %bb.714:
	v_and_b32_e32 v4, 0x400000, v5
	v_and_or_b32 v5, 0x3fffff, v5, v1
	s_delay_alu instid0(VALU_DEP_2) | instskip(NEXT) | instid1(VALU_DEP_2)
	v_cmp_ne_u32_e32 vcc_lo, 0, v4
	v_cmp_ne_u32_e64 s1, 0, v5
	s_and_b32 s1, vcc_lo, s1
	s_delay_alu instid0(SALU_CYCLE_1) | instskip(NEXT) | instid1(VALU_DEP_1)
	v_cndmask_b32_e64 v4, 0, 1, s1
	v_add_nc_u32_e32 v4, v1, v4
; %bb.715:
	s_or_b32 exec_lo, exec_lo, s27
	s_mov_b32 s27, -1
	s_mov_b32 s1, 0
	global_store_b8 v[2:3], v4, off
.LBB79_716:
	s_mov_b32 s45, 0
.LBB79_717:
	s_delay_alu instid0(SALU_CYCLE_1)
	s_and_b32 vcc_lo, exec_lo, s45
	s_cbranch_vccz .LBB79_720
; %bb.718:
	s_cmp_eq_u32 s26, 29
	s_mov_b32 s1, -1
	s_cbranch_scc0 .LBB79_720
; %bb.719:
	s_mov_b32 s1, 0
	s_wait_xcnt 0x0
	v_cndmask_b32_e64 v4, 0, 1, s0
	v_mov_b32_e32 v5, s1
	s_mov_b32 s27, -1
	s_mov_b32 s45, 0
	global_store_b64 v[2:3], v[4:5], off
	s_branch .LBB79_721
.LBB79_720:
	s_mov_b32 s45, 0
.LBB79_721:
	s_delay_alu instid0(SALU_CYCLE_1)
	s_and_b32 vcc_lo, exec_lo, s45
	s_cbranch_vccz .LBB79_737
; %bb.722:
	s_cmp_lt_i32 s26, 27
	s_mov_b32 s27, -1
	s_cbranch_scc1 .LBB79_728
; %bb.723:
	s_cmp_gt_i32 s26, 27
	s_cbranch_scc0 .LBB79_725
; %bb.724:
	s_wait_xcnt 0x0
	v_cndmask_b32_e64 v1, 0, 1, s0
	s_mov_b32 s27, 0
	global_store_b32 v[2:3], v1, off
.LBB79_725:
	s_and_not1_b32 vcc_lo, exec_lo, s27
	s_cbranch_vccnz .LBB79_727
; %bb.726:
	s_wait_xcnt 0x0
	v_cndmask_b32_e64 v1, 0, 1, s0
	global_store_b16 v[2:3], v1, off
.LBB79_727:
	s_mov_b32 s27, 0
.LBB79_728:
	s_delay_alu instid0(SALU_CYCLE_1)
	s_and_not1_b32 vcc_lo, exec_lo, s27
	s_cbranch_vccnz .LBB79_736
; %bb.729:
	s_wait_xcnt 0x0
	v_cndmask_b32_e64 v4, 0, 1.0, s0
	v_mov_b32_e32 v5, 0x80
	s_mov_b32 s27, exec_lo
	s_delay_alu instid0(VALU_DEP_2)
	v_cmpx_gt_u32_e32 0x43800000, v4
	s_cbranch_execz .LBB79_735
; %bb.730:
	s_mov_b32 s45, 0
	s_mov_b32 s46, exec_lo
                                        ; implicit-def: $vgpr1
	v_cmpx_lt_u32_e32 0x3bffffff, v4
	s_xor_b32 s46, exec_lo, s46
	s_cbranch_execz .LBB79_854
; %bb.731:
	v_bfe_u32 v1, v4, 20, 1
	s_mov_b32 s45, exec_lo
	s_delay_alu instid0(VALU_DEP_1) | instskip(NEXT) | instid1(VALU_DEP_1)
	v_add3_u32 v1, v4, v1, 0x487ffff
                                        ; implicit-def: $vgpr4
	v_lshrrev_b32_e32 v1, 20, v1
	s_and_not1_saveexec_b32 s46, s46
	s_cbranch_execnz .LBB79_855
.LBB79_732:
	s_or_b32 exec_lo, exec_lo, s46
	v_mov_b32_e32 v5, 0
	s_and_saveexec_b32 s46, s45
.LBB79_733:
	v_mov_b32_e32 v5, v1
.LBB79_734:
	s_or_b32 exec_lo, exec_lo, s46
.LBB79_735:
	s_delay_alu instid0(SALU_CYCLE_1)
	s_or_b32 exec_lo, exec_lo, s27
	global_store_b8 v[2:3], v5, off
.LBB79_736:
	s_mov_b32 s27, -1
.LBB79_737:
	s_mov_b32 s45, 0
.LBB79_738:
	s_delay_alu instid0(SALU_CYCLE_1)
	s_and_b32 vcc_lo, exec_lo, s45
	s_cbranch_vccz .LBB79_779
; %bb.739:
	s_cmp_gt_i32 s26, 22
	s_mov_b32 s45, -1
	s_cbranch_scc0 .LBB79_771
; %bb.740:
	s_cmp_lt_i32 s26, 24
	s_mov_b32 s27, -1
	s_cbranch_scc1 .LBB79_760
; %bb.741:
	s_cmp_gt_i32 s26, 24
	s_cbranch_scc0 .LBB79_749
; %bb.742:
	s_wait_xcnt 0x0
	v_cndmask_b32_e64 v4, 0, 1.0, s0
	v_mov_b32_e32 v5, 0x80
	s_mov_b32 s27, exec_lo
	s_delay_alu instid0(VALU_DEP_2)
	v_cmpx_gt_u32_e32 0x47800000, v4
	s_cbranch_execz .LBB79_748
; %bb.743:
	s_mov_b32 s45, 0
	s_mov_b32 s46, exec_lo
                                        ; implicit-def: $vgpr1
	v_cmpx_lt_u32_e32 0x37ffffff, v4
	s_xor_b32 s46, exec_lo, s46
	s_cbranch_execz .LBB79_857
; %bb.744:
	v_bfe_u32 v1, v4, 21, 1
	s_mov_b32 s45, exec_lo
	s_delay_alu instid0(VALU_DEP_1) | instskip(NEXT) | instid1(VALU_DEP_1)
	v_add3_u32 v1, v4, v1, 0x88fffff
                                        ; implicit-def: $vgpr4
	v_lshrrev_b32_e32 v1, 21, v1
	s_and_not1_saveexec_b32 s46, s46
	s_cbranch_execnz .LBB79_858
.LBB79_745:
	s_or_b32 exec_lo, exec_lo, s46
	v_mov_b32_e32 v5, 0
	s_and_saveexec_b32 s46, s45
.LBB79_746:
	v_mov_b32_e32 v5, v1
.LBB79_747:
	s_or_b32 exec_lo, exec_lo, s46
.LBB79_748:
	s_delay_alu instid0(SALU_CYCLE_1)
	s_or_b32 exec_lo, exec_lo, s27
	s_mov_b32 s27, 0
	global_store_b8 v[2:3], v5, off
.LBB79_749:
	s_and_b32 vcc_lo, exec_lo, s27
	s_cbranch_vccz .LBB79_759
; %bb.750:
	s_wait_xcnt 0x0
	v_cndmask_b32_e64 v4, 0, 1.0, s0
	s_mov_b32 s27, exec_lo
                                        ; implicit-def: $vgpr1
	s_delay_alu instid0(VALU_DEP_1)
	v_cmpx_gt_u32_e32 0x43f00000, v4
	s_xor_b32 s27, exec_lo, s27
	s_cbranch_execz .LBB79_756
; %bb.751:
	s_mov_b32 s45, exec_lo
                                        ; implicit-def: $vgpr1
	v_cmpx_lt_u32_e32 0x3c7fffff, v4
	s_xor_b32 s45, exec_lo, s45
; %bb.752:
	v_bfe_u32 v1, v4, 20, 1
	s_delay_alu instid0(VALU_DEP_1) | instskip(NEXT) | instid1(VALU_DEP_1)
	v_add3_u32 v1, v4, v1, 0x407ffff
	v_and_b32_e32 v4, 0xff00000, v1
	v_lshrrev_b32_e32 v1, 20, v1
	s_delay_alu instid0(VALU_DEP_2) | instskip(NEXT) | instid1(VALU_DEP_2)
	v_cmp_ne_u32_e32 vcc_lo, 0x7f00000, v4
                                        ; implicit-def: $vgpr4
	v_cndmask_b32_e32 v1, 0x7e, v1, vcc_lo
; %bb.753:
	s_and_not1_saveexec_b32 s45, s45
; %bb.754:
	v_add_f32_e32 v1, 0x46800000, v4
; %bb.755:
	s_or_b32 exec_lo, exec_lo, s45
                                        ; implicit-def: $vgpr4
.LBB79_756:
	s_and_not1_saveexec_b32 s27, s27
; %bb.757:
	v_mov_b32_e32 v1, 0x7f
	v_cmp_lt_u32_e32 vcc_lo, 0x7f800000, v4
	s_delay_alu instid0(VALU_DEP_2)
	v_cndmask_b32_e32 v1, 0x7e, v1, vcc_lo
; %bb.758:
	s_or_b32 exec_lo, exec_lo, s27
	global_store_b8 v[2:3], v1, off
.LBB79_759:
	s_mov_b32 s27, 0
.LBB79_760:
	s_delay_alu instid0(SALU_CYCLE_1)
	s_and_not1_b32 vcc_lo, exec_lo, s27
	s_cbranch_vccnz .LBB79_770
; %bb.761:
	s_wait_xcnt 0x0
	v_cndmask_b32_e64 v4, 0, 1.0, s0
	s_mov_b32 s27, exec_lo
                                        ; implicit-def: $vgpr1
	s_delay_alu instid0(VALU_DEP_1)
	v_cmpx_gt_u32_e32 0x47800000, v4
	s_xor_b32 s27, exec_lo, s27
	s_cbranch_execz .LBB79_767
; %bb.762:
	s_mov_b32 s45, exec_lo
                                        ; implicit-def: $vgpr1
	v_cmpx_lt_u32_e32 0x387fffff, v4
	s_xor_b32 s45, exec_lo, s45
; %bb.763:
	v_bfe_u32 v1, v4, 21, 1
	s_delay_alu instid0(VALU_DEP_1) | instskip(NEXT) | instid1(VALU_DEP_1)
	v_add3_u32 v1, v4, v1, 0x80fffff
                                        ; implicit-def: $vgpr4
	v_lshrrev_b32_e32 v1, 21, v1
; %bb.764:
	s_and_not1_saveexec_b32 s45, s45
; %bb.765:
	v_add_f32_e32 v1, 0x43000000, v4
; %bb.766:
	s_or_b32 exec_lo, exec_lo, s45
                                        ; implicit-def: $vgpr4
.LBB79_767:
	s_and_not1_saveexec_b32 s27, s27
; %bb.768:
	v_mov_b32_e32 v1, 0x7f
	v_cmp_lt_u32_e32 vcc_lo, 0x7f800000, v4
	s_delay_alu instid0(VALU_DEP_2)
	v_cndmask_b32_e32 v1, 0x7c, v1, vcc_lo
; %bb.769:
	s_or_b32 exec_lo, exec_lo, s27
	global_store_b8 v[2:3], v1, off
.LBB79_770:
	s_mov_b32 s45, 0
	s_mov_b32 s27, -1
.LBB79_771:
	s_and_not1_b32 vcc_lo, exec_lo, s45
	s_cbranch_vccnz .LBB79_779
; %bb.772:
	s_cmp_gt_i32 s26, 14
	s_mov_b32 s45, -1
	s_cbranch_scc0 .LBB79_776
; %bb.773:
	s_cmp_eq_u32 s26, 15
	s_mov_b32 s1, -1
	s_cbranch_scc0 .LBB79_775
; %bb.774:
	s_wait_xcnt 0x0
	v_cndmask_b32_e64 v1, 0, 1.0, s0
	s_mov_b32 s27, -1
	s_mov_b32 s1, 0
	s_delay_alu instid0(VALU_DEP_1) | instskip(NEXT) | instid1(VALU_DEP_1)
	v_bfe_u32 v4, v1, 16, 1
	v_add3_u32 v1, v1, v4, 0x7fff
	global_store_d16_hi_b16 v[2:3], v1, off
.LBB79_775:
	s_mov_b32 s45, 0
.LBB79_776:
	s_delay_alu instid0(SALU_CYCLE_1)
	s_and_b32 vcc_lo, exec_lo, s45
	s_cbranch_vccz .LBB79_779
; %bb.777:
	s_cmp_eq_u32 s26, 11
	s_mov_b32 s1, -1
	s_cbranch_scc0 .LBB79_779
; %bb.778:
	s_wait_xcnt 0x0
	v_cndmask_b32_e64 v1, 0, 1, s0
	s_mov_b32 s27, -1
	s_mov_b32 s1, 0
	global_store_b8 v[2:3], v1, off
.LBB79_779:
	s_mov_b32 s26, 0
.LBB79_780:
	s_delay_alu instid0(SALU_CYCLE_1)
	s_and_b32 vcc_lo, exec_lo, s26
	s_cbranch_vccz .LBB79_819
; %bb.781:
	s_and_b32 s25, 0xffff, s25
	s_mov_b32 s26, -1
	s_cmp_lt_i32 s25, 5
	s_cbranch_scc1 .LBB79_802
; %bb.782:
	s_cmp_lt_i32 s25, 8
	s_cbranch_scc1 .LBB79_792
; %bb.783:
	;; [unrolled: 3-line block ×3, first 2 shown]
	s_cmp_gt_i32 s25, 9
	s_cbranch_scc0 .LBB79_786
; %bb.785:
	s_wait_xcnt 0x0
	v_cndmask_b32_e64 v1, 0, 1, s0
	v_mov_b32_e32 v6, 0
	s_mov_b32 s26, 0
	s_delay_alu instid0(VALU_DEP_2) | instskip(NEXT) | instid1(VALU_DEP_2)
	v_cvt_f64_u32_e32 v[4:5], v1
	v_mov_b32_e32 v7, v6
	global_store_b128 v[2:3], v[4:7], off
.LBB79_786:
	s_and_not1_b32 vcc_lo, exec_lo, s26
	s_cbranch_vccnz .LBB79_788
; %bb.787:
	s_wait_xcnt 0x0
	v_cndmask_b32_e64 v4, 0, 1.0, s0
	v_mov_b32_e32 v5, 0
	global_store_b64 v[2:3], v[4:5], off
.LBB79_788:
	s_mov_b32 s26, 0
.LBB79_789:
	s_delay_alu instid0(SALU_CYCLE_1)
	s_and_not1_b32 vcc_lo, exec_lo, s26
	s_cbranch_vccnz .LBB79_791
; %bb.790:
	s_wait_xcnt 0x0
	v_cndmask_b32_e64 v1, 0, 1.0, s0
	s_delay_alu instid0(VALU_DEP_1) | instskip(NEXT) | instid1(VALU_DEP_1)
	v_cvt_f16_f32_e32 v1, v1
	v_and_b32_e32 v1, 0xffff, v1
	global_store_b32 v[2:3], v1, off
.LBB79_791:
	s_mov_b32 s26, 0
.LBB79_792:
	s_delay_alu instid0(SALU_CYCLE_1)
	s_and_not1_b32 vcc_lo, exec_lo, s26
	s_cbranch_vccnz .LBB79_801
; %bb.793:
	s_cmp_lt_i32 s25, 6
	s_mov_b32 s26, -1
	s_cbranch_scc1 .LBB79_799
; %bb.794:
	s_cmp_gt_i32 s25, 6
	s_cbranch_scc0 .LBB79_796
; %bb.795:
	s_wait_xcnt 0x0
	v_cndmask_b32_e64 v1, 0, 1, s0
	s_mov_b32 s26, 0
	s_delay_alu instid0(VALU_DEP_1)
	v_cvt_f64_u32_e32 v[4:5], v1
	global_store_b64 v[2:3], v[4:5], off
.LBB79_796:
	s_and_not1_b32 vcc_lo, exec_lo, s26
	s_cbranch_vccnz .LBB79_798
; %bb.797:
	s_wait_xcnt 0x0
	v_cndmask_b32_e64 v1, 0, 1.0, s0
	global_store_b32 v[2:3], v1, off
.LBB79_798:
	s_mov_b32 s26, 0
.LBB79_799:
	s_delay_alu instid0(SALU_CYCLE_1)
	s_and_not1_b32 vcc_lo, exec_lo, s26
	s_cbranch_vccnz .LBB79_801
; %bb.800:
	s_wait_xcnt 0x0
	v_cndmask_b32_e64 v1, 0, 1.0, s0
	s_delay_alu instid0(VALU_DEP_1)
	v_cvt_f16_f32_e32 v1, v1
	global_store_b16 v[2:3], v1, off
.LBB79_801:
	s_mov_b32 s26, 0
.LBB79_802:
	s_delay_alu instid0(SALU_CYCLE_1)
	s_and_not1_b32 vcc_lo, exec_lo, s26
	s_cbranch_vccnz .LBB79_818
; %bb.803:
	s_cmp_lt_i32 s25, 2
	s_mov_b32 s26, -1
	s_cbranch_scc1 .LBB79_813
; %bb.804:
	s_cmp_lt_i32 s25, 3
	s_cbranch_scc1 .LBB79_810
; %bb.805:
	s_cmp_gt_i32 s25, 3
	s_cbranch_scc0 .LBB79_807
; %bb.806:
	s_mov_b32 s26, 0
	s_wait_xcnt 0x0
	v_cndmask_b32_e64 v4, 0, 1, s0
	v_mov_b32_e32 v5, s26
	global_store_b64 v[2:3], v[4:5], off
.LBB79_807:
	s_and_not1_b32 vcc_lo, exec_lo, s26
	s_cbranch_vccnz .LBB79_809
; %bb.808:
	s_wait_xcnt 0x0
	v_cndmask_b32_e64 v1, 0, 1, s0
	global_store_b32 v[2:3], v1, off
.LBB79_809:
	s_mov_b32 s26, 0
.LBB79_810:
	s_delay_alu instid0(SALU_CYCLE_1)
	s_and_not1_b32 vcc_lo, exec_lo, s26
	s_cbranch_vccnz .LBB79_812
; %bb.811:
	s_wait_xcnt 0x0
	v_cndmask_b32_e64 v1, 0, 1, s0
	global_store_b16 v[2:3], v1, off
.LBB79_812:
	s_mov_b32 s26, 0
.LBB79_813:
	s_delay_alu instid0(SALU_CYCLE_1)
	s_and_not1_b32 vcc_lo, exec_lo, s26
	s_cbranch_vccnz .LBB79_818
; %bb.814:
	s_wait_xcnt 0x0
	v_cndmask_b32_e64 v1, 0, 1, s0
	s_cmp_gt_i32 s25, 0
	s_mov_b32 s0, -1
	s_cbranch_scc0 .LBB79_816
; %bb.815:
	s_mov_b32 s0, 0
	global_store_b8 v[2:3], v1, off
.LBB79_816:
	s_and_not1_b32 vcc_lo, exec_lo, s0
	s_cbranch_vccnz .LBB79_818
; %bb.817:
	global_store_b8 v[2:3], v1, off
.LBB79_818:
	s_mov_b32 s27, -1
.LBB79_819:
	s_delay_alu instid0(SALU_CYCLE_1)
	s_and_not1_b32 vcc_lo, exec_lo, s27
	s_cbranch_vccnz .LBB79_821
; %bb.820:
	v_add_nc_u32_e32 v0, 0x80, v0
	s_mov_b32 s0, -1
	s_branch .LBB79_823
.LBB79_821:
	s_mov_b32 s0, 0
.LBB79_822:
                                        ; implicit-def: $vgpr0
.LBB79_823:
	s_and_not1_b32 s25, s42, exec_lo
	s_and_b32 s1, s1, exec_lo
	s_and_not1_b32 s26, s41, exec_lo
	s_and_b32 s24, s24, exec_lo
	s_or_b32 s27, s25, s1
	s_or_b32 s26, s26, s24
	s_or_not1_b32 s25, s0, exec_lo
.LBB79_824:
	s_wait_xcnt 0x0
	s_or_b32 exec_lo, exec_lo, s44
	s_mov_b32 s0, 0
	s_mov_b32 s1, 0
	;; [unrolled: 1-line block ×3, first 2 shown]
                                        ; implicit-def: $vgpr4_vgpr5
                                        ; implicit-def: $vgpr2
                                        ; implicit-def: $vgpr6
	s_and_saveexec_b32 s44, s25
	s_cbranch_execz .LBB79_926
; %bb.825:
	v_cmp_gt_i32_e32 vcc_lo, s36, v0
	s_mov_b32 s45, s26
	s_mov_b32 s25, 0
                                        ; implicit-def: $vgpr4_vgpr5
                                        ; implicit-def: $vgpr2
                                        ; implicit-def: $vgpr6
	s_and_saveexec_b32 s36, vcc_lo
	s_cbranch_execz .LBB79_925
; %bb.826:
	s_and_not1_b32 vcc_lo, exec_lo, s31
	s_cbranch_vccnz .LBB79_832
; %bb.827:
	s_and_not1_b32 vcc_lo, exec_lo, s38
	s_cbranch_vccnz .LBB79_833
; %bb.828:
	s_add_co_i32 s37, s37, 1
	s_cmp_eq_u32 s29, 2
	s_cbranch_scc1 .LBB79_834
; %bb.829:
	v_dual_mov_b32 v2, 0 :: v_dual_mov_b32 v4, 0
	s_wait_loadcnt 0x0
	v_mov_b32_e32 v1, v0
	s_and_b32 s0, s37, 28
	s_mov_b64 s[24:25], s[2:3]
.LBB79_830:                             ; =>This Inner Loop Header: Depth=1
	s_clause 0x1
	s_load_b256 s[48:55], s[24:25], 0x4
	s_load_b128 s[64:67], s[24:25], 0x24
	s_load_b256 s[56:63], s[22:23], 0x0
	s_add_co_i32 s1, s1, 4
	s_wait_xcnt 0x0
	s_add_nc_u64 s[24:25], s[24:25], 48
	s_cmp_eq_u32 s0, s1
	s_add_nc_u64 s[22:23], s[22:23], 32
	s_wait_kmcnt 0x0
	v_mul_hi_u32 v3, s49, v1
	s_delay_alu instid0(VALU_DEP_1) | instskip(NEXT) | instid1(VALU_DEP_1)
	v_add_nc_u32_e32 v3, v1, v3
	v_lshrrev_b32_e32 v3, s50, v3
	s_delay_alu instid0(VALU_DEP_1) | instskip(NEXT) | instid1(VALU_DEP_1)
	v_mul_hi_u32 v5, s52, v3
	v_add_nc_u32_e32 v5, v3, v5
	s_delay_alu instid0(VALU_DEP_1) | instskip(NEXT) | instid1(VALU_DEP_1)
	v_lshrrev_b32_e32 v5, s53, v5
	v_mul_hi_u32 v6, s55, v5
	s_delay_alu instid0(VALU_DEP_1) | instskip(SKIP_1) | instid1(VALU_DEP_1)
	v_add_nc_u32_e32 v6, v5, v6
	v_mul_lo_u32 v7, v3, s48
	v_sub_nc_u32_e32 v1, v1, v7
	v_mul_lo_u32 v7, v5, s51
	s_delay_alu instid0(VALU_DEP_4) | instskip(NEXT) | instid1(VALU_DEP_3)
	v_lshrrev_b32_e32 v6, s64, v6
	v_mad_u32 v4, v1, s57, v4
	v_mad_u32 v1, v1, s56, v2
	s_delay_alu instid0(VALU_DEP_4) | instskip(NEXT) | instid1(VALU_DEP_4)
	v_sub_nc_u32_e32 v2, v3, v7
	v_mul_hi_u32 v8, s66, v6
	v_mul_lo_u32 v3, v6, s54
	s_delay_alu instid0(VALU_DEP_3) | instskip(SKIP_1) | instid1(VALU_DEP_3)
	v_mad_u32 v4, v2, s59, v4
	v_mad_u32 v2, v2, s58, v1
	v_dual_add_nc_u32 v7, v6, v8 :: v_dual_sub_nc_u32 v3, v5, v3
	s_delay_alu instid0(VALU_DEP_1) | instskip(NEXT) | instid1(VALU_DEP_2)
	v_lshrrev_b32_e32 v1, s67, v7
	v_mad_u32 v4, v3, s61, v4
	s_delay_alu instid0(VALU_DEP_4) | instskip(NEXT) | instid1(VALU_DEP_3)
	v_mad_u32 v2, v3, s60, v2
	v_mul_lo_u32 v5, v1, s65
	s_delay_alu instid0(VALU_DEP_1) | instskip(NEXT) | instid1(VALU_DEP_1)
	v_sub_nc_u32_e32 v3, v6, v5
	v_mad_u32 v4, v3, s63, v4
	s_delay_alu instid0(VALU_DEP_4)
	v_mad_u32 v2, v3, s62, v2
	s_cbranch_scc0 .LBB79_830
; %bb.831:
	s_delay_alu instid0(VALU_DEP_2)
	v_mov_b32_e32 v3, v4
	s_branch .LBB79_835
.LBB79_832:
	s_mov_b32 s0, -1
                                        ; implicit-def: $vgpr4
                                        ; implicit-def: $vgpr2
	s_branch .LBB79_840
.LBB79_833:
	v_dual_mov_b32 v4, 0 :: v_dual_mov_b32 v2, 0
	s_branch .LBB79_839
.LBB79_834:
	v_mov_b64_e32 v[2:3], 0
	s_wait_loadcnt 0x0
	v_mov_b32_e32 v1, v0
                                        ; implicit-def: $vgpr4
.LBB79_835:
	s_and_b32 s24, s37, 3
	s_mov_b32 s1, 0
	s_cmp_eq_u32 s24, 0
	s_cbranch_scc1 .LBB79_839
; %bb.836:
	s_lshl_b32 s22, s0, 3
	s_mov_b32 s23, s1
	s_mul_u64 s[46:47], s[0:1], 12
	s_add_nc_u64 s[22:23], s[2:3], s[22:23]
	s_delay_alu instid0(SALU_CYCLE_1)
	s_add_nc_u64 s[0:1], s[22:23], 0xc4
	s_add_nc_u64 s[22:23], s[2:3], s[46:47]
.LBB79_837:                             ; =>This Inner Loop Header: Depth=1
	s_load_b96 s[48:50], s[22:23], 0x4
	s_load_b64 s[46:47], s[0:1], 0x0
	s_add_co_i32 s24, s24, -1
	s_wait_xcnt 0x0
	s_add_nc_u64 s[22:23], s[22:23], 12
	s_cmp_lg_u32 s24, 0
	s_add_nc_u64 s[0:1], s[0:1], 8
	s_wait_kmcnt 0x0
	v_mul_hi_u32 v4, s49, v1
	s_delay_alu instid0(VALU_DEP_1) | instskip(NEXT) | instid1(VALU_DEP_1)
	v_add_nc_u32_e32 v4, v1, v4
	v_lshrrev_b32_e32 v4, s50, v4
	s_delay_alu instid0(VALU_DEP_1) | instskip(NEXT) | instid1(VALU_DEP_1)
	v_mul_lo_u32 v5, v4, s48
	v_sub_nc_u32_e32 v1, v1, v5
	s_delay_alu instid0(VALU_DEP_1)
	v_mad_u32 v3, v1, s47, v3
	v_mad_u32 v2, v1, s46, v2
	v_mov_b32_e32 v1, v4
	s_cbranch_scc1 .LBB79_837
; %bb.838:
	s_delay_alu instid0(VALU_DEP_3)
	v_mov_b32_e32 v4, v3
.LBB79_839:
	s_mov_b32 s0, 0
.LBB79_840:
	s_delay_alu instid0(SALU_CYCLE_1)
	s_and_not1_b32 vcc_lo, exec_lo, s0
	s_cbranch_vccnz .LBB79_843
; %bb.841:
	s_wait_loadcnt 0x0
	v_mov_b32_e32 v1, 0
	s_and_not1_b32 vcc_lo, exec_lo, s35
	s_delay_alu instid0(VALU_DEP_1) | instskip(NEXT) | instid1(VALU_DEP_1)
	v_mul_u64_e32 v[2:3], s[16:17], v[0:1]
	v_add_nc_u32_e32 v2, v0, v3
	s_delay_alu instid0(VALU_DEP_1) | instskip(NEXT) | instid1(VALU_DEP_1)
	v_lshrrev_b32_e32 v6, s14, v2
	v_mul_lo_u32 v2, v6, s12
	s_delay_alu instid0(VALU_DEP_1) | instskip(NEXT) | instid1(VALU_DEP_1)
	v_sub_nc_u32_e32 v0, v0, v2
	v_mul_lo_u32 v4, v0, s9
	v_mul_lo_u32 v2, v0, s8
	s_cbranch_vccnz .LBB79_843
; %bb.842:
	v_mov_b32_e32 v7, v1
	s_delay_alu instid0(VALU_DEP_1) | instskip(NEXT) | instid1(VALU_DEP_1)
	v_mul_u64_e32 v[0:1], s[20:21], v[6:7]
	v_add_nc_u32_e32 v0, v6, v1
	s_delay_alu instid0(VALU_DEP_1) | instskip(NEXT) | instid1(VALU_DEP_1)
	v_lshrrev_b32_e32 v0, s19, v0
	v_mul_lo_u32 v0, v0, s15
	s_delay_alu instid0(VALU_DEP_1) | instskip(NEXT) | instid1(VALU_DEP_1)
	v_sub_nc_u32_e32 v0, v6, v0
	v_mad_u32 v2, v0, s10, v2
	v_mad_u32 v4, v0, s11, v4
.LBB79_843:
	v_mov_b32_e32 v5, 0
	s_and_b32 s0, 0xffff, s13
	s_delay_alu instid0(SALU_CYCLE_1) | instskip(NEXT) | instid1(VALU_DEP_1)
	s_cmp_lt_i32 s0, 11
	v_add_nc_u64_e32 v[4:5], s[6:7], v[4:5]
	s_cbranch_scc1 .LBB79_850
; %bb.844:
	s_cmp_gt_i32 s0, 25
	s_mov_b32 s6, 0
	s_cbranch_scc0 .LBB79_851
; %bb.845:
	s_cmp_gt_i32 s0, 28
	s_cbranch_scc0 .LBB79_852
; %bb.846:
	s_cmp_gt_i32 s0, 43
	;; [unrolled: 3-line block ×3, first 2 shown]
	s_cbranch_scc0 .LBB79_856
; %bb.848:
	s_cmp_eq_u32 s0, 46
	s_mov_b32 s8, 0
	s_cbranch_scc0 .LBB79_859
; %bb.849:
	global_load_b32 v0, v[4:5], off
	s_mov_b32 s1, 0
	s_mov_b32 s7, -1
	s_wait_loadcnt 0x0
	v_lshlrev_b32_e32 v6, 16, v0
	s_branch .LBB79_861
.LBB79_850:
	s_mov_b32 s0, -1
	s_mov_b32 s7, 0
	s_mov_b32 s6, 0
	;; [unrolled: 1-line block ×3, first 2 shown]
                                        ; implicit-def: $vgpr6
	s_branch .LBB79_924
.LBB79_851:
	s_mov_b32 s8, -1
	s_mov_b32 s7, 0
	s_mov_b32 s1, s26
                                        ; implicit-def: $vgpr6
	s_branch .LBB79_890
.LBB79_852:
	s_mov_b32 s8, -1
	s_mov_b32 s7, 0
	s_mov_b32 s1, s26
                                        ; implicit-def: $vgpr6
	s_branch .LBB79_871
.LBB79_853:
	s_mov_b32 s8, -1
	s_mov_b32 s7, 0
	s_mov_b32 s1, s26
                                        ; implicit-def: $vgpr6
	s_branch .LBB79_866
.LBB79_854:
	s_and_not1_saveexec_b32 s46, s46
	s_cbranch_execz .LBB79_732
.LBB79_855:
	v_add_f32_e32 v1, 0x46000000, v4
	s_and_not1_b32 s45, s45, exec_lo
	s_delay_alu instid0(VALU_DEP_1) | instskip(NEXT) | instid1(VALU_DEP_1)
	v_and_b32_e32 v1, 0xff, v1
	v_cmp_ne_u32_e32 vcc_lo, 0, v1
	s_and_b32 s47, vcc_lo, exec_lo
	s_delay_alu instid0(SALU_CYCLE_1)
	s_or_b32 s45, s45, s47
	s_or_b32 exec_lo, exec_lo, s46
	v_mov_b32_e32 v5, 0
	s_and_saveexec_b32 s46, s45
	s_cbranch_execnz .LBB79_733
	s_branch .LBB79_734
.LBB79_856:
	s_mov_b32 s8, -1
	s_mov_b32 s7, 0
	s_mov_b32 s1, s26
	s_branch .LBB79_860
.LBB79_857:
	s_and_not1_saveexec_b32 s46, s46
	s_cbranch_execz .LBB79_745
.LBB79_858:
	v_add_f32_e32 v1, 0x42800000, v4
	s_and_not1_b32 s45, s45, exec_lo
	s_delay_alu instid0(VALU_DEP_1) | instskip(NEXT) | instid1(VALU_DEP_1)
	v_and_b32_e32 v1, 0xff, v1
	v_cmp_ne_u32_e32 vcc_lo, 0, v1
	s_and_b32 s47, vcc_lo, exec_lo
	s_delay_alu instid0(SALU_CYCLE_1)
	s_or_b32 s45, s45, s47
	s_or_b32 exec_lo, exec_lo, s46
	v_mov_b32_e32 v5, 0
	s_and_saveexec_b32 s46, s45
	s_cbranch_execnz .LBB79_746
	s_branch .LBB79_747
.LBB79_859:
	s_mov_b32 s1, -1
	s_mov_b32 s7, 0
.LBB79_860:
                                        ; implicit-def: $vgpr6
.LBB79_861:
	s_and_b32 vcc_lo, exec_lo, s8
	s_cbranch_vccz .LBB79_865
; %bb.862:
	s_cmp_eq_u32 s0, 44
	s_cbranch_scc0 .LBB79_864
; %bb.863:
	global_load_u8 v0, v[4:5], off
	s_mov_b32 s1, 0
	s_mov_b32 s7, -1
	s_wait_loadcnt 0x0
	v_lshlrev_b32_e32 v1, 23, v0
	v_cmp_ne_u32_e32 vcc_lo, 0xff, v0
	s_delay_alu instid0(VALU_DEP_2) | instskip(SKIP_1) | instid1(VALU_DEP_2)
	v_cndmask_b32_e32 v1, 0x7f800001, v1, vcc_lo
	v_cmp_ne_u32_e32 vcc_lo, 0, v0
	v_cndmask_b32_e32 v6, 0x400000, v1, vcc_lo
	s_branch .LBB79_865
.LBB79_864:
	s_mov_b32 s1, -1
                                        ; implicit-def: $vgpr6
.LBB79_865:
	s_mov_b32 s8, 0
.LBB79_866:
	s_delay_alu instid0(SALU_CYCLE_1)
	s_and_b32 vcc_lo, exec_lo, s8
	s_cbranch_vccz .LBB79_870
; %bb.867:
	s_cmp_eq_u32 s0, 29
	s_cbranch_scc0 .LBB79_869
; %bb.868:
	s_wait_loadcnt 0x0
	global_load_b64 v[0:1], v[4:5], off
	s_mov_b32 s1, 0
	s_mov_b32 s7, -1
	s_mov_b32 s8, 0
	s_wait_loadcnt 0x0
	v_clz_i32_u32_e32 v3, v1
	s_delay_alu instid0(VALU_DEP_1) | instskip(NEXT) | instid1(VALU_DEP_1)
	v_min_u32_e32 v3, 32, v3
	v_lshlrev_b64_e32 v[0:1], v3, v[0:1]
	s_delay_alu instid0(VALU_DEP_1) | instskip(NEXT) | instid1(VALU_DEP_1)
	v_min_u32_e32 v0, 1, v0
	v_dual_sub_nc_u32 v1, 32, v3 :: v_dual_bitop2_b32 v0, v1, v0 bitop3:0x54
	s_delay_alu instid0(VALU_DEP_1) | instskip(NEXT) | instid1(VALU_DEP_1)
	v_cvt_f32_u32_e32 v0, v0
	v_ldexp_f32 v6, v0, v1
	s_branch .LBB79_871
.LBB79_869:
	s_mov_b32 s1, -1
                                        ; implicit-def: $vgpr6
.LBB79_870:
	s_mov_b32 s8, 0
.LBB79_871:
	s_delay_alu instid0(SALU_CYCLE_1)
	s_and_b32 vcc_lo, exec_lo, s8
	s_cbranch_vccz .LBB79_889
; %bb.872:
	s_cmp_lt_i32 s0, 27
	s_cbranch_scc1 .LBB79_875
; %bb.873:
	s_cmp_gt_i32 s0, 27
	s_cbranch_scc0 .LBB79_876
; %bb.874:
	global_load_b32 v0, v[4:5], off
	s_mov_b32 s7, 0
	s_wait_loadcnt 0x0
	v_cvt_f32_u32_e32 v6, v0
	s_branch .LBB79_877
.LBB79_875:
	s_mov_b32 s7, -1
                                        ; implicit-def: $vgpr6
	s_branch .LBB79_880
.LBB79_876:
	s_mov_b32 s7, -1
                                        ; implicit-def: $vgpr6
.LBB79_877:
	s_delay_alu instid0(SALU_CYCLE_1)
	s_and_not1_b32 vcc_lo, exec_lo, s7
	s_cbranch_vccnz .LBB79_879
; %bb.878:
	global_load_u16 v0, v[4:5], off
	s_wait_loadcnt 0x0
	v_cvt_f32_u32_e32 v6, v0
.LBB79_879:
	s_mov_b32 s7, 0
.LBB79_880:
	s_delay_alu instid0(SALU_CYCLE_1)
	s_and_not1_b32 vcc_lo, exec_lo, s7
	s_cbranch_vccnz .LBB79_888
; %bb.881:
	global_load_u8 v0, v[4:5], off
	s_mov_b32 s7, 0
	s_mov_b32 s8, exec_lo
	s_wait_loadcnt 0x0
	v_cmpx_lt_i16_e32 0x7f, v0
	s_xor_b32 s8, exec_lo, s8
	s_cbranch_execz .LBB79_902
; %bb.882:
	s_mov_b32 s7, -1
	s_mov_b32 s9, exec_lo
	v_cmpx_eq_u16_e32 0x80, v0
; %bb.883:
	s_xor_b32 s7, exec_lo, -1
; %bb.884:
	s_or_b32 exec_lo, exec_lo, s9
	s_delay_alu instid0(SALU_CYCLE_1)
	s_and_b32 s7, s7, exec_lo
	s_or_saveexec_b32 s8, s8
	v_mov_b32_e32 v6, 0x7f800001
	s_xor_b32 exec_lo, exec_lo, s8
	s_cbranch_execnz .LBB79_903
.LBB79_885:
	s_or_b32 exec_lo, exec_lo, s8
	s_and_saveexec_b32 s8, s7
	s_cbranch_execz .LBB79_887
.LBB79_886:
	v_and_b32_e32 v1, 0xffff, v0
	s_delay_alu instid0(VALU_DEP_1) | instskip(SKIP_1) | instid1(VALU_DEP_2)
	v_and_b32_e32 v3, 7, v1
	v_bfe_u32 v8, v1, 3, 4
	v_clz_i32_u32_e32 v6, v3
	s_delay_alu instid0(VALU_DEP_2) | instskip(NEXT) | instid1(VALU_DEP_2)
	v_cmp_eq_u32_e32 vcc_lo, 0, v8
	v_min_u32_e32 v6, 32, v6
	s_delay_alu instid0(VALU_DEP_1) | instskip(NEXT) | instid1(VALU_DEP_1)
	v_subrev_nc_u32_e32 v7, 28, v6
	v_dual_lshlrev_b32 v1, v7, v1 :: v_dual_sub_nc_u32 v6, 29, v6
	s_delay_alu instid0(VALU_DEP_1) | instskip(NEXT) | instid1(VALU_DEP_1)
	v_dual_lshlrev_b32 v0, 24, v0 :: v_dual_bitop2_b32 v1, 7, v1 bitop3:0x40
	v_dual_cndmask_b32 v6, v8, v6 :: v_dual_cndmask_b32 v1, v3, v1
	s_delay_alu instid0(VALU_DEP_2) | instskip(NEXT) | instid1(VALU_DEP_2)
	v_and_b32_e32 v0, 0x80000000, v0
	v_lshl_add_u32 v3, v6, 23, 0x3b800000
	s_delay_alu instid0(VALU_DEP_3) | instskip(NEXT) | instid1(VALU_DEP_1)
	v_lshlrev_b32_e32 v1, 20, v1
	v_or3_b32 v6, v0, v3, v1
.LBB79_887:
	s_or_b32 exec_lo, exec_lo, s8
.LBB79_888:
	s_mov_b32 s7, -1
.LBB79_889:
	s_mov_b32 s8, 0
.LBB79_890:
	s_delay_alu instid0(SALU_CYCLE_1)
	s_and_b32 vcc_lo, exec_lo, s8
	s_cbranch_vccz .LBB79_923
; %bb.891:
	s_cmp_gt_i32 s0, 22
	s_cbranch_scc0 .LBB79_901
; %bb.892:
	s_cmp_lt_i32 s0, 24
	s_cbranch_scc1 .LBB79_904
; %bb.893:
	s_cmp_gt_i32 s0, 24
	s_cbranch_scc0 .LBB79_905
; %bb.894:
	global_load_u8 v0, v[4:5], off
	s_mov_b32 s7, exec_lo
	s_wait_loadcnt 0x0
	v_cmpx_lt_i16_e32 0x7f, v0
	s_xor_b32 s7, exec_lo, s7
	s_cbranch_execz .LBB79_917
; %bb.895:
	s_mov_b32 s6, -1
	s_mov_b32 s8, exec_lo
	v_cmpx_eq_u16_e32 0x80, v0
; %bb.896:
	s_xor_b32 s6, exec_lo, -1
; %bb.897:
	s_or_b32 exec_lo, exec_lo, s8
	s_delay_alu instid0(SALU_CYCLE_1)
	s_and_b32 s6, s6, exec_lo
	s_or_saveexec_b32 s7, s7
	v_mov_b32_e32 v6, 0x7f800001
	s_xor_b32 exec_lo, exec_lo, s7
	s_cbranch_execnz .LBB79_918
.LBB79_898:
	s_or_b32 exec_lo, exec_lo, s7
	s_and_saveexec_b32 s7, s6
	s_cbranch_execz .LBB79_900
.LBB79_899:
	v_and_b32_e32 v1, 0xffff, v0
	s_delay_alu instid0(VALU_DEP_1) | instskip(SKIP_1) | instid1(VALU_DEP_2)
	v_and_b32_e32 v3, 3, v1
	v_bfe_u32 v8, v1, 2, 5
	v_clz_i32_u32_e32 v6, v3
	s_delay_alu instid0(VALU_DEP_2) | instskip(NEXT) | instid1(VALU_DEP_2)
	v_cmp_eq_u32_e32 vcc_lo, 0, v8
	v_min_u32_e32 v6, 32, v6
	s_delay_alu instid0(VALU_DEP_1) | instskip(NEXT) | instid1(VALU_DEP_1)
	v_subrev_nc_u32_e32 v7, 29, v6
	v_dual_lshlrev_b32 v1, v7, v1 :: v_dual_sub_nc_u32 v6, 30, v6
	s_delay_alu instid0(VALU_DEP_1) | instskip(NEXT) | instid1(VALU_DEP_1)
	v_dual_lshlrev_b32 v0, 24, v0 :: v_dual_bitop2_b32 v1, 3, v1 bitop3:0x40
	v_dual_cndmask_b32 v6, v8, v6 :: v_dual_cndmask_b32 v1, v3, v1
	s_delay_alu instid0(VALU_DEP_2) | instskip(NEXT) | instid1(VALU_DEP_2)
	v_and_b32_e32 v0, 0x80000000, v0
	v_lshl_add_u32 v3, v6, 23, 0x37800000
	s_delay_alu instid0(VALU_DEP_3) | instskip(NEXT) | instid1(VALU_DEP_1)
	v_lshlrev_b32_e32 v1, 21, v1
	v_or3_b32 v6, v0, v3, v1
.LBB79_900:
	s_or_b32 exec_lo, exec_lo, s7
	s_mov_b32 s6, 0
	s_branch .LBB79_906
.LBB79_901:
	s_mov_b32 s6, -1
                                        ; implicit-def: $vgpr6
	s_branch .LBB79_912
.LBB79_902:
	s_or_saveexec_b32 s8, s8
	v_mov_b32_e32 v6, 0x7f800001
	s_xor_b32 exec_lo, exec_lo, s8
	s_cbranch_execz .LBB79_885
.LBB79_903:
	v_cmp_ne_u16_e32 vcc_lo, 0, v0
	v_mov_b32_e32 v6, 0
	s_and_not1_b32 s7, s7, exec_lo
	s_and_b32 s9, vcc_lo, exec_lo
	s_delay_alu instid0(SALU_CYCLE_1)
	s_or_b32 s7, s7, s9
	s_or_b32 exec_lo, exec_lo, s8
	s_and_saveexec_b32 s8, s7
	s_cbranch_execnz .LBB79_886
	s_branch .LBB79_887
.LBB79_904:
	s_mov_b32 s6, -1
                                        ; implicit-def: $vgpr6
	s_branch .LBB79_909
.LBB79_905:
	s_mov_b32 s6, -1
                                        ; implicit-def: $vgpr6
.LBB79_906:
	s_delay_alu instid0(SALU_CYCLE_1)
	s_and_b32 vcc_lo, exec_lo, s6
	s_cbranch_vccz .LBB79_908
; %bb.907:
	global_load_u8 v0, v[4:5], off
	s_wait_loadcnt 0x0
	v_lshlrev_b32_e32 v0, 24, v0
	s_delay_alu instid0(VALU_DEP_1) | instskip(NEXT) | instid1(VALU_DEP_1)
	v_and_b32_e32 v1, 0x7f000000, v0
	v_clz_i32_u32_e32 v3, v1
	v_add_nc_u32_e32 v7, 0x1000000, v1
	v_cmp_ne_u32_e32 vcc_lo, 0, v1
	s_delay_alu instid0(VALU_DEP_3) | instskip(NEXT) | instid1(VALU_DEP_1)
	v_min_u32_e32 v3, 32, v3
	v_sub_nc_u32_e64 v3, v3, 4 clamp
	s_delay_alu instid0(VALU_DEP_1) | instskip(NEXT) | instid1(VALU_DEP_1)
	v_dual_lshlrev_b32 v6, v3, v1 :: v_dual_lshlrev_b32 v3, 23, v3
	v_lshrrev_b32_e32 v6, 4, v6
	s_delay_alu instid0(VALU_DEP_1) | instskip(SKIP_1) | instid1(VALU_DEP_2)
	v_sub_nc_u32_e32 v3, v6, v3
	v_ashrrev_i32_e32 v6, 8, v7
	v_add_nc_u32_e32 v3, 0x3c000000, v3
	s_delay_alu instid0(VALU_DEP_1) | instskip(NEXT) | instid1(VALU_DEP_1)
	v_and_or_b32 v3, 0x7f800000, v6, v3
	v_cndmask_b32_e32 v1, 0, v3, vcc_lo
	s_delay_alu instid0(VALU_DEP_1)
	v_and_or_b32 v6, 0x80000000, v0, v1
.LBB79_908:
	s_mov_b32 s6, 0
.LBB79_909:
	s_delay_alu instid0(SALU_CYCLE_1)
	s_and_not1_b32 vcc_lo, exec_lo, s6
	s_cbranch_vccnz .LBB79_911
; %bb.910:
	global_load_u8 v0, v[4:5], off
	s_wait_loadcnt 0x0
	v_lshlrev_b32_e32 v1, 25, v0
	v_lshlrev_b16 v0, 8, v0
	s_delay_alu instid0(VALU_DEP_1) | instskip(SKIP_1) | instid1(VALU_DEP_2)
	v_and_or_b32 v6, 0x7f00, v0, 0.5
	v_bfe_i32 v0, v0, 0, 16
	v_dual_add_f32 v6, -0.5, v6 :: v_dual_lshrrev_b32 v3, 4, v1
	v_cmp_gt_u32_e32 vcc_lo, 0x8000000, v1
	s_delay_alu instid0(VALU_DEP_2) | instskip(NEXT) | instid1(VALU_DEP_1)
	v_or_b32_e32 v3, 0x70000000, v3
	v_mul_f32_e32 v3, 0x7800000, v3
	s_delay_alu instid0(VALU_DEP_1) | instskip(NEXT) | instid1(VALU_DEP_1)
	v_cndmask_b32_e32 v1, v3, v6, vcc_lo
	v_and_or_b32 v6, 0x80000000, v0, v1
.LBB79_911:
	s_mov_b32 s6, 0
	s_mov_b32 s7, -1
.LBB79_912:
	s_and_not1_b32 vcc_lo, exec_lo, s6
	s_mov_b32 s6, 0
	s_cbranch_vccnz .LBB79_923
; %bb.913:
	s_cmp_gt_i32 s0, 14
	s_cbranch_scc0 .LBB79_916
; %bb.914:
	s_cmp_eq_u32 s0, 15
	s_cbranch_scc0 .LBB79_919
; %bb.915:
	global_load_u16 v0, v[4:5], off
	s_mov_b32 s1, 0
	s_mov_b32 s7, -1
	s_wait_loadcnt 0x0
	v_lshlrev_b32_e32 v6, 16, v0
	s_branch .LBB79_921
.LBB79_916:
	s_mov_b32 s6, -1
	s_branch .LBB79_920
.LBB79_917:
	s_or_saveexec_b32 s7, s7
	v_mov_b32_e32 v6, 0x7f800001
	s_xor_b32 exec_lo, exec_lo, s7
	s_cbranch_execz .LBB79_898
.LBB79_918:
	v_cmp_ne_u16_e32 vcc_lo, 0, v0
	v_mov_b32_e32 v6, 0
	s_and_not1_b32 s6, s6, exec_lo
	s_and_b32 s8, vcc_lo, exec_lo
	s_delay_alu instid0(SALU_CYCLE_1)
	s_or_b32 s6, s6, s8
	s_or_b32 exec_lo, exec_lo, s7
	s_and_saveexec_b32 s7, s6
	s_cbranch_execnz .LBB79_899
	s_branch .LBB79_900
.LBB79_919:
	s_mov_b32 s1, -1
.LBB79_920:
                                        ; implicit-def: $vgpr6
.LBB79_921:
	s_and_b32 vcc_lo, exec_lo, s6
	s_mov_b32 s6, 0
	s_cbranch_vccz .LBB79_923
; %bb.922:
	s_cmp_lg_u32 s0, 11
	s_mov_b32 s6, -1
	s_cselect_b32 s0, -1, 0
	s_and_not1_b32 s1, s1, exec_lo
	s_and_b32 s0, s0, exec_lo
	s_delay_alu instid0(SALU_CYCLE_1)
	s_or_b32 s1, s1, s0
.LBB79_923:
	s_mov_b32 s0, 0
.LBB79_924:
	s_and_b32 s24, s7, exec_lo
	s_and_not1_b32 s7, s26, exec_lo
	s_and_b32 s1, s1, exec_lo
	s_and_b32 s25, s0, exec_lo
	;; [unrolled: 1-line block ×3, first 2 shown]
	s_or_b32 s45, s7, s1
.LBB79_925:
	s_wait_xcnt 0x0
	s_or_b32 exec_lo, exec_lo, s36
	s_delay_alu instid0(SALU_CYCLE_1)
	s_and_not1_b32 s6, s26, exec_lo
	s_and_b32 s7, s45, exec_lo
	s_and_b32 s24, s24, exec_lo
	;; [unrolled: 1-line block ×4, first 2 shown]
	s_or_b32 s26, s6, s7
.LBB79_926:
	s_or_b32 exec_lo, exec_lo, s44
	s_delay_alu instid0(SALU_CYCLE_1)
	s_and_not1_b32 s6, s42, exec_lo
	s_and_b32 s7, s27, exec_lo
	s_and_b32 s25, s24, exec_lo
	s_or_b32 s42, s6, s7
	s_and_not1_b32 s6, s41, exec_lo
	s_and_b32 s7, s26, exec_lo
	s_and_b32 s24, s1, exec_lo
	;; [unrolled: 1-line block ×3, first 2 shown]
	s_or_b32 s41, s6, s7
.LBB79_927:
	s_or_b32 exec_lo, exec_lo, s43
	s_delay_alu instid0(SALU_CYCLE_1)
	s_and_not1_b32 s0, s18, exec_lo
	s_and_b32 s6, s42, exec_lo
	s_and_b32 s7, s41, exec_lo
	s_or_b32 s18, s0, s6
	s_and_not1_b32 s6, s39, exec_lo
	s_and_b32 s0, s25, exec_lo
	s_and_b32 s25, s24, exec_lo
	;; [unrolled: 1-line block ×3, first 2 shown]
	s_or_b32 s39, s6, s7
	s_or_b32 exec_lo, exec_lo, s40
	s_mov_b32 s1, 0
	s_and_saveexec_b32 s6, s39
	s_cbranch_execz .LBB79_276
.LBB79_928:
	s_mov_b32 s1, exec_lo
	s_and_not1_b32 s17, s17, exec_lo
	s_trap 2
	s_or_b32 exec_lo, exec_lo, s6
	s_and_saveexec_b32 s6, s17
	s_delay_alu instid0(SALU_CYCLE_1)
	s_xor_b32 s6, exec_lo, s6
	s_cbranch_execnz .LBB79_277
.LBB79_929:
	s_or_b32 exec_lo, exec_lo, s6
	s_and_saveexec_b32 s6, s25
	s_cbranch_execz .LBB79_975
.LBB79_930:
	s_sext_i32_i16 s7, s13
	s_delay_alu instid0(SALU_CYCLE_1)
	s_cmp_lt_i32 s7, 5
	s_cbranch_scc1 .LBB79_935
; %bb.931:
	s_cmp_lt_i32 s7, 8
	s_cbranch_scc1 .LBB79_936
; %bb.932:
	s_cmp_lt_i32 s7, 9
	s_cbranch_scc1 .LBB79_937
; %bb.933:
	s_cmp_gt_i32 s7, 9
	s_cbranch_scc0 .LBB79_938
; %bb.934:
	s_wait_loadcnt 0x0
	global_load_b64 v[0:1], v[4:5], off
	s_mov_b32 s7, 0
	s_wait_loadcnt 0x0
	v_cvt_f32_f64_e32 v6, v[0:1]
	s_branch .LBB79_939
.LBB79_935:
                                        ; implicit-def: $vgpr6
	s_branch .LBB79_956
.LBB79_936:
                                        ; implicit-def: $vgpr6
	s_branch .LBB79_945
.LBB79_937:
	s_mov_b32 s7, -1
                                        ; implicit-def: $vgpr6
	s_branch .LBB79_942
.LBB79_938:
	s_mov_b32 s7, -1
                                        ; implicit-def: $vgpr6
.LBB79_939:
	s_delay_alu instid0(SALU_CYCLE_1)
	s_and_not1_b32 vcc_lo, exec_lo, s7
	s_cbranch_vccnz .LBB79_941
; %bb.940:
	global_load_b32 v6, v[4:5], off
.LBB79_941:
	s_mov_b32 s7, 0
.LBB79_942:
	s_delay_alu instid0(SALU_CYCLE_1)
	s_and_not1_b32 vcc_lo, exec_lo, s7
	s_cbranch_vccnz .LBB79_944
; %bb.943:
	global_load_b32 v0, v[4:5], off
	s_wait_loadcnt 0x0
	v_cvt_f32_f16_e32 v6, v0
.LBB79_944:
	s_cbranch_execnz .LBB79_955
.LBB79_945:
	s_sext_i32_i16 s7, s13
	s_delay_alu instid0(SALU_CYCLE_1)
	s_cmp_lt_i32 s7, 6
	s_cbranch_scc1 .LBB79_948
; %bb.946:
	s_cmp_gt_i32 s7, 6
	s_cbranch_scc0 .LBB79_949
; %bb.947:
	s_wait_loadcnt 0x0
	global_load_b64 v[0:1], v[4:5], off
	s_mov_b32 s7, 0
	s_wait_loadcnt 0x0
	v_cvt_f32_f64_e32 v6, v[0:1]
	s_branch .LBB79_950
.LBB79_948:
	s_mov_b32 s7, -1
                                        ; implicit-def: $vgpr6
	s_branch .LBB79_953
.LBB79_949:
	s_mov_b32 s7, -1
                                        ; implicit-def: $vgpr6
.LBB79_950:
	s_delay_alu instid0(SALU_CYCLE_1)
	s_and_not1_b32 vcc_lo, exec_lo, s7
	s_cbranch_vccnz .LBB79_952
; %bb.951:
	s_wait_loadcnt 0x0
	global_load_b32 v6, v[4:5], off
.LBB79_952:
	s_mov_b32 s7, 0
.LBB79_953:
	s_delay_alu instid0(SALU_CYCLE_1)
	s_and_not1_b32 vcc_lo, exec_lo, s7
	s_cbranch_vccnz .LBB79_955
; %bb.954:
	global_load_u16 v0, v[4:5], off
	s_wait_loadcnt 0x0
	v_cvt_f32_f16_e32 v6, v0
.LBB79_955:
	s_cbranch_execnz .LBB79_974
.LBB79_956:
	s_sext_i32_i16 s7, s13
	s_delay_alu instid0(SALU_CYCLE_1)
	s_cmp_lt_i32 s7, 2
	s_cbranch_scc1 .LBB79_960
; %bb.957:
	s_cmp_lt_i32 s7, 3
	s_cbranch_scc1 .LBB79_961
; %bb.958:
	s_cmp_gt_i32 s7, 3
	s_cbranch_scc0 .LBB79_962
; %bb.959:
	s_wait_loadcnt 0x0
	global_load_b64 v[0:1], v[4:5], off
	s_mov_b32 s7, 0
	s_wait_loadcnt 0x0
	v_xor_b32_e32 v3, v0, v1
	v_cls_i32_e32 v6, v1
	s_delay_alu instid0(VALU_DEP_2) | instskip(NEXT) | instid1(VALU_DEP_1)
	v_ashrrev_i32_e32 v3, 31, v3
	v_add_nc_u32_e32 v3, 32, v3
	s_delay_alu instid0(VALU_DEP_1) | instskip(NEXT) | instid1(VALU_DEP_1)
	v_add_min_u32_e64 v3, v6, -1, v3
	v_lshlrev_b64_e32 v[0:1], v3, v[0:1]
	s_delay_alu instid0(VALU_DEP_1) | instskip(NEXT) | instid1(VALU_DEP_1)
	v_min_u32_e32 v0, 1, v0
	v_dual_sub_nc_u32 v1, 32, v3 :: v_dual_bitop2_b32 v0, v1, v0 bitop3:0x54
	s_delay_alu instid0(VALU_DEP_1) | instskip(NEXT) | instid1(VALU_DEP_1)
	v_cvt_f32_i32_e32 v0, v0
	v_ldexp_f32 v6, v0, v1
	s_branch .LBB79_963
.LBB79_960:
                                        ; implicit-def: $vgpr6
	s_branch .LBB79_969
.LBB79_961:
	s_mov_b32 s7, -1
                                        ; implicit-def: $vgpr6
	s_branch .LBB79_966
.LBB79_962:
	s_mov_b32 s7, -1
                                        ; implicit-def: $vgpr6
.LBB79_963:
	s_delay_alu instid0(SALU_CYCLE_1)
	s_and_not1_b32 vcc_lo, exec_lo, s7
	s_cbranch_vccnz .LBB79_965
; %bb.964:
	global_load_b32 v0, v[4:5], off
	s_wait_loadcnt 0x0
	v_cvt_f32_i32_e32 v6, v0
.LBB79_965:
	s_mov_b32 s7, 0
.LBB79_966:
	s_delay_alu instid0(SALU_CYCLE_1)
	s_and_not1_b32 vcc_lo, exec_lo, s7
	s_cbranch_vccnz .LBB79_968
; %bb.967:
	global_load_i16 v0, v[4:5], off
	s_wait_loadcnt 0x0
	v_cvt_f32_i32_e32 v6, v0
.LBB79_968:
	s_cbranch_execnz .LBB79_974
.LBB79_969:
	s_sext_i32_i16 s7, s13
	s_delay_alu instid0(SALU_CYCLE_1)
	s_cmp_gt_i32 s7, 0
	s_mov_b32 s7, 0
	s_cbranch_scc0 .LBB79_971
; %bb.970:
	global_load_i8 v0, v[4:5], off
	s_wait_loadcnt 0x0
	v_cvt_f32_i32_e32 v6, v0
	s_branch .LBB79_972
.LBB79_971:
	s_mov_b32 s7, -1
                                        ; implicit-def: $vgpr6
.LBB79_972:
	s_delay_alu instid0(SALU_CYCLE_1)
	s_and_not1_b32 vcc_lo, exec_lo, s7
	s_cbranch_vccnz .LBB79_974
; %bb.973:
	global_load_u8 v0, v[4:5], off
	s_wait_loadcnt 0x0
	v_cvt_f32_ubyte0_e32 v6, v0
.LBB79_974:
	s_or_b32 s0, s0, exec_lo
.LBB79_975:
	s_wait_xcnt 0x0
	s_or_b32 exec_lo, exec_lo, s6
	s_mov_b32 s10, 0
	s_mov_b32 s9, 0
                                        ; implicit-def: $sgpr6
                                        ; implicit-def: $sgpr7
                                        ; implicit-def: $vgpr0_vgpr1
	s_and_saveexec_b32 s8, s0
	s_cbranch_execz .LBB79_983
; %bb.976:
	v_mov_b32_e32 v3, 0
	s_wait_loadcnt 0x0
	s_delay_alu instid0(VALU_DEP_2) | instskip(SKIP_1) | instid1(SALU_CYCLE_1)
	v_cmp_eq_f32_e64 s6, 0xff800000, v6
	s_and_b32 s7, s34, 0xff
	s_cmp_lt_i32 s7, 11
	v_add_nc_u64_e32 v[0:1], s[4:5], v[2:3]
	s_cbranch_scc1 .LBB79_986
; %bb.977:
	s_and_b32 s4, 0xffff, s7
	s_mov_b32 s5, -1
	s_cmp_gt_i32 s4, 25
	s_mov_b32 s0, s18
	s_cbranch_scc0 .LBB79_1014
; %bb.978:
	s_cmp_gt_i32 s4, 28
	s_mov_b32 s0, s18
	s_cbranch_scc0 .LBB79_998
; %bb.979:
	;; [unrolled: 4-line block ×4, first 2 shown]
	s_cmp_eq_u32 s4, 46
	s_mov_b32 s0, -1
	s_cbranch_scc0 .LBB79_987
; %bb.982:
	v_cndmask_b32_e64 v2, 0, 1.0, s6
	s_mov_b32 s0, 0
	s_mov_b32 s5, 0
	s_delay_alu instid0(VALU_DEP_1) | instskip(NEXT) | instid1(VALU_DEP_1)
	v_bfe_u32 v3, v2, 16, 1
	v_add3_u32 v2, v2, v3, 0x7fff
	s_delay_alu instid0(VALU_DEP_1)
	v_lshrrev_b32_e32 v2, 16, v2
	global_store_b32 v[0:1], v2, off
	s_branch .LBB79_988
.LBB79_983:
	s_or_b32 exec_lo, exec_lo, s8
	s_and_saveexec_b32 s0, s18
	s_cbranch_execnz .LBB79_1056
.LBB79_984:
	s_or_b32 exec_lo, exec_lo, s0
	s_and_saveexec_b32 s0, s10
	s_delay_alu instid0(SALU_CYCLE_1)
	s_xor_b32 s0, exec_lo, s0
	s_cbranch_execz .LBB79_1057
.LBB79_985:
	v_cndmask_b32_e64 v2, 0, 1, s6
	s_wait_loadcnt 0x0
	global_store_b8 v[0:1], v2, off
	s_wait_xcnt 0x0
	s_or_b32 exec_lo, exec_lo, s0
	s_and_saveexec_b32 s0, s9
	s_delay_alu instid0(SALU_CYCLE_1)
	s_xor_b32 s0, exec_lo, s0
	s_cbranch_execz .LBB79_1095
	s_branch .LBB79_1058
.LBB79_986:
	s_mov_b32 s5, -1
	s_mov_b32 s0, s18
	s_branch .LBB79_1055
.LBB79_987:
	s_mov_b32 s5, 0
.LBB79_988:
	s_delay_alu instid0(SALU_CYCLE_1)
	s_and_b32 vcc_lo, exec_lo, s5
	s_cbranch_vccz .LBB79_993
; %bb.989:
	s_cmp_eq_u32 s4, 44
	s_mov_b32 s0, -1
	s_cbranch_scc0 .LBB79_993
; %bb.990:
	v_cndmask_b32_e64 v4, 0, 1.0, s6
	s_mov_b32 s5, exec_lo
	s_wait_xcnt 0x0
	s_delay_alu instid0(VALU_DEP_1) | instskip(NEXT) | instid1(VALU_DEP_1)
	v_dual_mov_b32 v3, 0xff :: v_dual_lshrrev_b32 v2, 23, v4
	v_cmpx_ne_u32_e32 0xff, v2
; %bb.991:
	v_and_b32_e32 v3, 0x400000, v4
	v_and_or_b32 v4, 0x3fffff, v4, v2
	s_delay_alu instid0(VALU_DEP_2) | instskip(NEXT) | instid1(VALU_DEP_2)
	v_cmp_ne_u32_e32 vcc_lo, 0, v3
	v_cmp_ne_u32_e64 s0, 0, v4
	s_and_b32 s0, vcc_lo, s0
	s_delay_alu instid0(SALU_CYCLE_1) | instskip(NEXT) | instid1(VALU_DEP_1)
	v_cndmask_b32_e64 v3, 0, 1, s0
	v_add_nc_u32_e32 v3, v2, v3
; %bb.992:
	s_or_b32 exec_lo, exec_lo, s5
	s_mov_b32 s0, 0
	global_store_b8 v[0:1], v3, off
.LBB79_993:
	s_mov_b32 s5, 0
.LBB79_994:
	s_delay_alu instid0(SALU_CYCLE_1)
	s_and_b32 vcc_lo, exec_lo, s5
	s_cbranch_vccz .LBB79_997
; %bb.995:
	s_cmp_eq_u32 s4, 29
	s_mov_b32 s0, -1
	s_cbranch_scc0 .LBB79_997
; %bb.996:
	s_mov_b32 s0, 0
	s_wait_xcnt 0x0
	v_cndmask_b32_e64 v2, 0, 1, s6
	v_mov_b32_e32 v3, s0
	s_mov_b32 s5, 0
	global_store_b64 v[0:1], v[2:3], off
	s_branch .LBB79_998
.LBB79_997:
	s_mov_b32 s5, 0
.LBB79_998:
	s_delay_alu instid0(SALU_CYCLE_1)
	s_and_b32 vcc_lo, exec_lo, s5
	s_cbranch_vccz .LBB79_1013
; %bb.999:
	s_cmp_lt_i32 s4, 27
	s_mov_b32 s5, -1
	s_cbranch_scc1 .LBB79_1005
; %bb.1000:
	s_cmp_gt_i32 s4, 27
	s_cbranch_scc0 .LBB79_1002
; %bb.1001:
	s_wait_xcnt 0x0
	v_cndmask_b32_e64 v2, 0, 1, s6
	s_mov_b32 s5, 0
	global_store_b32 v[0:1], v2, off
.LBB79_1002:
	s_and_not1_b32 vcc_lo, exec_lo, s5
	s_cbranch_vccnz .LBB79_1004
; %bb.1003:
	s_wait_xcnt 0x0
	v_cndmask_b32_e64 v2, 0, 1, s6
	global_store_b16 v[0:1], v2, off
.LBB79_1004:
	s_mov_b32 s5, 0
.LBB79_1005:
	s_delay_alu instid0(SALU_CYCLE_1)
	s_and_not1_b32 vcc_lo, exec_lo, s5
	s_cbranch_vccnz .LBB79_1013
; %bb.1006:
	s_wait_xcnt 0x0
	v_cndmask_b32_e64 v3, 0, 1.0, s6
	v_mov_b32_e32 v4, 0x80
	s_mov_b32 s5, exec_lo
	s_delay_alu instid0(VALU_DEP_2)
	v_cmpx_gt_u32_e32 0x43800000, v3
	s_cbranch_execz .LBB79_1012
; %bb.1007:
	s_mov_b32 s10, exec_lo
                                        ; implicit-def: $vgpr2
	v_cmpx_lt_u32_e32 0x3bffffff, v3
	s_xor_b32 s10, exec_lo, s10
	s_cbranch_execz .LBB79_1170
; %bb.1008:
	v_bfe_u32 v2, v3, 20, 1
	s_mov_b32 s9, exec_lo
	s_delay_alu instid0(VALU_DEP_1) | instskip(NEXT) | instid1(VALU_DEP_1)
	v_add3_u32 v2, v3, v2, 0x487ffff
                                        ; implicit-def: $vgpr3
	v_lshrrev_b32_e32 v2, 20, v2
	s_and_not1_saveexec_b32 s10, s10
	s_cbranch_execnz .LBB79_1171
.LBB79_1009:
	s_or_b32 exec_lo, exec_lo, s10
	v_mov_b32_e32 v4, 0
	s_and_saveexec_b32 s10, s9
.LBB79_1010:
	v_mov_b32_e32 v4, v2
.LBB79_1011:
	s_or_b32 exec_lo, exec_lo, s10
.LBB79_1012:
	s_delay_alu instid0(SALU_CYCLE_1)
	s_or_b32 exec_lo, exec_lo, s5
	global_store_b8 v[0:1], v4, off
.LBB79_1013:
	s_mov_b32 s5, 0
.LBB79_1014:
	s_delay_alu instid0(SALU_CYCLE_1)
	s_and_b32 vcc_lo, exec_lo, s5
	s_mov_b32 s5, 0
	s_cbranch_vccz .LBB79_1054
; %bb.1015:
	s_cmp_gt_i32 s4, 22
	s_mov_b32 s9, -1
	s_cbranch_scc0 .LBB79_1047
; %bb.1016:
	s_cmp_lt_i32 s4, 24
	s_cbranch_scc1 .LBB79_1036
; %bb.1017:
	s_cmp_gt_i32 s4, 24
	s_cbranch_scc0 .LBB79_1025
; %bb.1018:
	s_wait_xcnt 0x0
	v_cndmask_b32_e64 v3, 0, 1.0, s6
	v_mov_b32_e32 v4, 0x80
	s_mov_b32 s9, exec_lo
	s_delay_alu instid0(VALU_DEP_2)
	v_cmpx_gt_u32_e32 0x47800000, v3
	s_cbranch_execz .LBB79_1024
; %bb.1019:
	s_mov_b32 s10, 0
	s_mov_b32 s11, exec_lo
                                        ; implicit-def: $vgpr2
	v_cmpx_lt_u32_e32 0x37ffffff, v3
	s_xor_b32 s11, exec_lo, s11
	s_cbranch_execz .LBB79_1296
; %bb.1020:
	v_bfe_u32 v2, v3, 21, 1
	s_mov_b32 s10, exec_lo
	s_delay_alu instid0(VALU_DEP_1) | instskip(NEXT) | instid1(VALU_DEP_1)
	v_add3_u32 v2, v3, v2, 0x88fffff
                                        ; implicit-def: $vgpr3
	v_lshrrev_b32_e32 v2, 21, v2
	s_and_not1_saveexec_b32 s11, s11
	s_cbranch_execnz .LBB79_1297
.LBB79_1021:
	s_or_b32 exec_lo, exec_lo, s11
	v_mov_b32_e32 v4, 0
	s_and_saveexec_b32 s11, s10
.LBB79_1022:
	v_mov_b32_e32 v4, v2
.LBB79_1023:
	s_or_b32 exec_lo, exec_lo, s11
.LBB79_1024:
	s_delay_alu instid0(SALU_CYCLE_1)
	s_or_b32 exec_lo, exec_lo, s9
	s_mov_b32 s9, 0
	global_store_b8 v[0:1], v4, off
.LBB79_1025:
	s_and_b32 vcc_lo, exec_lo, s9
	s_cbranch_vccz .LBB79_1035
; %bb.1026:
	s_wait_xcnt 0x0
	v_cndmask_b32_e64 v3, 0, 1.0, s6
	s_mov_b32 s9, exec_lo
                                        ; implicit-def: $vgpr2
	s_delay_alu instid0(VALU_DEP_1)
	v_cmpx_gt_u32_e32 0x43f00000, v3
	s_xor_b32 s9, exec_lo, s9
	s_cbranch_execz .LBB79_1032
; %bb.1027:
	s_mov_b32 s10, exec_lo
                                        ; implicit-def: $vgpr2
	v_cmpx_lt_u32_e32 0x3c7fffff, v3
	s_xor_b32 s10, exec_lo, s10
; %bb.1028:
	v_bfe_u32 v2, v3, 20, 1
	s_delay_alu instid0(VALU_DEP_1) | instskip(NEXT) | instid1(VALU_DEP_1)
	v_add3_u32 v2, v3, v2, 0x407ffff
	v_and_b32_e32 v3, 0xff00000, v2
	v_lshrrev_b32_e32 v2, 20, v2
	s_delay_alu instid0(VALU_DEP_2) | instskip(NEXT) | instid1(VALU_DEP_2)
	v_cmp_ne_u32_e32 vcc_lo, 0x7f00000, v3
                                        ; implicit-def: $vgpr3
	v_cndmask_b32_e32 v2, 0x7e, v2, vcc_lo
; %bb.1029:
	s_and_not1_saveexec_b32 s10, s10
; %bb.1030:
	v_add_f32_e32 v2, 0x46800000, v3
; %bb.1031:
	s_or_b32 exec_lo, exec_lo, s10
                                        ; implicit-def: $vgpr3
.LBB79_1032:
	s_and_not1_saveexec_b32 s9, s9
; %bb.1033:
	v_mov_b32_e32 v2, 0x7f
	v_cmp_lt_u32_e32 vcc_lo, 0x7f800000, v3
	s_delay_alu instid0(VALU_DEP_2)
	v_cndmask_b32_e32 v2, 0x7e, v2, vcc_lo
; %bb.1034:
	s_or_b32 exec_lo, exec_lo, s9
	global_store_b8 v[0:1], v2, off
.LBB79_1035:
	s_mov_b32 s9, 0
.LBB79_1036:
	s_delay_alu instid0(SALU_CYCLE_1)
	s_and_not1_b32 vcc_lo, exec_lo, s9
	s_cbranch_vccnz .LBB79_1046
; %bb.1037:
	s_wait_xcnt 0x0
	v_cndmask_b32_e64 v3, 0, 1.0, s6
	s_mov_b32 s9, exec_lo
                                        ; implicit-def: $vgpr2
	s_delay_alu instid0(VALU_DEP_1)
	v_cmpx_gt_u32_e32 0x47800000, v3
	s_xor_b32 s9, exec_lo, s9
	s_cbranch_execz .LBB79_1043
; %bb.1038:
	s_mov_b32 s10, exec_lo
                                        ; implicit-def: $vgpr2
	v_cmpx_lt_u32_e32 0x387fffff, v3
	s_xor_b32 s10, exec_lo, s10
; %bb.1039:
	v_bfe_u32 v2, v3, 21, 1
	s_delay_alu instid0(VALU_DEP_1) | instskip(NEXT) | instid1(VALU_DEP_1)
	v_add3_u32 v2, v3, v2, 0x80fffff
                                        ; implicit-def: $vgpr3
	v_lshrrev_b32_e32 v2, 21, v2
; %bb.1040:
	s_and_not1_saveexec_b32 s10, s10
; %bb.1041:
	v_add_f32_e32 v2, 0x43000000, v3
; %bb.1042:
	s_or_b32 exec_lo, exec_lo, s10
                                        ; implicit-def: $vgpr3
.LBB79_1043:
	s_and_not1_saveexec_b32 s9, s9
; %bb.1044:
	v_mov_b32_e32 v2, 0x7f
	v_cmp_lt_u32_e32 vcc_lo, 0x7f800000, v3
	s_delay_alu instid0(VALU_DEP_2)
	v_cndmask_b32_e32 v2, 0x7c, v2, vcc_lo
; %bb.1045:
	s_or_b32 exec_lo, exec_lo, s9
	global_store_b8 v[0:1], v2, off
.LBB79_1046:
	s_mov_b32 s9, 0
.LBB79_1047:
	s_delay_alu instid0(SALU_CYCLE_1)
	s_and_not1_b32 vcc_lo, exec_lo, s9
	s_mov_b32 s10, 0
	s_cbranch_vccnz .LBB79_1055
; %bb.1048:
	s_cmp_gt_i32 s4, 14
	s_mov_b32 s9, -1
	s_cbranch_scc0 .LBB79_1052
; %bb.1049:
	s_cmp_eq_u32 s4, 15
	s_mov_b32 s0, -1
	s_cbranch_scc0 .LBB79_1051
; %bb.1050:
	s_wait_xcnt 0x0
	v_cndmask_b32_e64 v2, 0, 1.0, s6
	s_mov_b32 s0, 0
	s_delay_alu instid0(VALU_DEP_1) | instskip(NEXT) | instid1(VALU_DEP_1)
	v_bfe_u32 v3, v2, 16, 1
	v_add3_u32 v2, v2, v3, 0x7fff
	global_store_d16_hi_b16 v[0:1], v2, off
.LBB79_1051:
	s_mov_b32 s9, 0
.LBB79_1052:
	s_delay_alu instid0(SALU_CYCLE_1)
	s_and_b32 vcc_lo, exec_lo, s9
	s_cbranch_vccz .LBB79_1055
; %bb.1053:
	s_cmp_lg_u32 s4, 11
	s_mov_b32 s10, -1
	s_cselect_b32 s4, -1, 0
	s_and_not1_b32 s0, s0, exec_lo
	s_and_b32 s4, s4, exec_lo
	s_delay_alu instid0(SALU_CYCLE_1)
	s_or_b32 s0, s0, s4
	s_branch .LBB79_1055
.LBB79_1054:
	s_mov_b32 s10, 0
.LBB79_1055:
	s_and_not1_b32 s4, s18, exec_lo
	s_and_b32 s0, s0, exec_lo
	s_and_b32 s9, s5, exec_lo
	s_and_b32 s10, s10, exec_lo
	s_or_b32 s18, s4, s0
	s_wait_xcnt 0x0
	s_or_b32 exec_lo, exec_lo, s8
	s_and_saveexec_b32 s0, s18
	s_cbranch_execz .LBB79_984
.LBB79_1056:
	s_or_b32 s1, s1, exec_lo
	s_and_not1_b32 s10, s10, exec_lo
	s_trap 2
	s_or_b32 exec_lo, exec_lo, s0
	s_and_saveexec_b32 s0, s10
	s_delay_alu instid0(SALU_CYCLE_1)
	s_xor_b32 s0, exec_lo, s0
	s_cbranch_execnz .LBB79_985
.LBB79_1057:
	s_or_b32 exec_lo, exec_lo, s0
	s_and_saveexec_b32 s0, s9
	s_delay_alu instid0(SALU_CYCLE_1)
	s_xor_b32 s0, exec_lo, s0
	s_cbranch_execz .LBB79_1095
.LBB79_1058:
	s_sext_i32_i16 s5, s7
	s_mov_b32 s4, -1
	s_cmp_lt_i32 s5, 5
	s_cbranch_scc1 .LBB79_1079
; %bb.1059:
	s_cmp_lt_i32 s5, 8
	s_cbranch_scc1 .LBB79_1069
; %bb.1060:
	s_cmp_lt_i32 s5, 9
	s_cbranch_scc1 .LBB79_1066
; %bb.1061:
	s_cmp_gt_i32 s5, 9
	s_cbranch_scc0 .LBB79_1063
; %bb.1062:
	v_cndmask_b32_e64 v2, 0, 1, s6
	v_mov_b32_e32 v4, 0
	s_mov_b32 s4, 0
	s_delay_alu instid0(VALU_DEP_2) | instskip(NEXT) | instid1(VALU_DEP_2)
	v_cvt_f64_u32_e32 v[2:3], v2
	v_mov_b32_e32 v5, v4
	s_wait_loadcnt 0x0
	global_store_b128 v[0:1], v[2:5], off
.LBB79_1063:
	s_and_not1_b32 vcc_lo, exec_lo, s4
	s_cbranch_vccnz .LBB79_1065
; %bb.1064:
	s_wait_xcnt 0x0
	v_cndmask_b32_e64 v2, 0, 1.0, s6
	v_mov_b32_e32 v3, 0
	s_wait_loadcnt 0x0
	global_store_b64 v[0:1], v[2:3], off
.LBB79_1065:
	s_mov_b32 s4, 0
.LBB79_1066:
	s_delay_alu instid0(SALU_CYCLE_1)
	s_and_not1_b32 vcc_lo, exec_lo, s4
	s_cbranch_vccnz .LBB79_1068
; %bb.1067:
	s_wait_xcnt 0x0
	v_cndmask_b32_e64 v2, 0, 1.0, s6
	s_delay_alu instid0(VALU_DEP_1) | instskip(NEXT) | instid1(VALU_DEP_1)
	v_cvt_f16_f32_e32 v2, v2
	v_and_b32_e32 v2, 0xffff, v2
	s_wait_loadcnt 0x0
	global_store_b32 v[0:1], v2, off
.LBB79_1068:
	s_mov_b32 s4, 0
.LBB79_1069:
	s_delay_alu instid0(SALU_CYCLE_1)
	s_and_not1_b32 vcc_lo, exec_lo, s4
	s_cbranch_vccnz .LBB79_1078
; %bb.1070:
	s_sext_i32_i16 s5, s7
	s_mov_b32 s4, -1
	s_cmp_lt_i32 s5, 6
	s_cbranch_scc1 .LBB79_1076
; %bb.1071:
	s_cmp_gt_i32 s5, 6
	s_cbranch_scc0 .LBB79_1073
; %bb.1072:
	s_wait_xcnt 0x0
	v_cndmask_b32_e64 v2, 0, 1, s6
	s_mov_b32 s4, 0
	s_delay_alu instid0(VALU_DEP_1)
	v_cvt_f64_u32_e32 v[2:3], v2
	s_wait_loadcnt 0x0
	global_store_b64 v[0:1], v[2:3], off
.LBB79_1073:
	s_and_not1_b32 vcc_lo, exec_lo, s4
	s_cbranch_vccnz .LBB79_1075
; %bb.1074:
	s_wait_xcnt 0x0
	v_cndmask_b32_e64 v2, 0, 1.0, s6
	s_wait_loadcnt 0x0
	global_store_b32 v[0:1], v2, off
.LBB79_1075:
	s_mov_b32 s4, 0
.LBB79_1076:
	s_delay_alu instid0(SALU_CYCLE_1)
	s_and_not1_b32 vcc_lo, exec_lo, s4
	s_cbranch_vccnz .LBB79_1078
; %bb.1077:
	s_wait_xcnt 0x0
	v_cndmask_b32_e64 v2, 0, 1.0, s6
	s_delay_alu instid0(VALU_DEP_1)
	v_cvt_f16_f32_e32 v2, v2
	s_wait_loadcnt 0x0
	global_store_b16 v[0:1], v2, off
.LBB79_1078:
	s_mov_b32 s4, 0
.LBB79_1079:
	s_delay_alu instid0(SALU_CYCLE_1)
	s_and_not1_b32 vcc_lo, exec_lo, s4
	s_cbranch_vccnz .LBB79_1095
; %bb.1080:
	s_sext_i32_i16 s5, s7
	s_mov_b32 s4, -1
	s_cmp_lt_i32 s5, 2
	s_cbranch_scc1 .LBB79_1090
; %bb.1081:
	s_cmp_lt_i32 s5, 3
	s_cbranch_scc1 .LBB79_1087
; %bb.1082:
	s_cmp_gt_i32 s5, 3
	s_cbranch_scc0 .LBB79_1084
; %bb.1083:
	s_mov_b32 s4, 0
	s_wait_xcnt 0x0
	v_cndmask_b32_e64 v2, 0, 1, s6
	v_mov_b32_e32 v3, s4
	s_wait_loadcnt 0x0
	global_store_b64 v[0:1], v[2:3], off
.LBB79_1084:
	s_and_not1_b32 vcc_lo, exec_lo, s4
	s_cbranch_vccnz .LBB79_1086
; %bb.1085:
	s_wait_xcnt 0x0
	v_cndmask_b32_e64 v2, 0, 1, s6
	s_wait_loadcnt 0x0
	global_store_b32 v[0:1], v2, off
.LBB79_1086:
	s_mov_b32 s4, 0
.LBB79_1087:
	s_delay_alu instid0(SALU_CYCLE_1)
	s_and_not1_b32 vcc_lo, exec_lo, s4
	s_cbranch_vccnz .LBB79_1089
; %bb.1088:
	s_wait_xcnt 0x0
	v_cndmask_b32_e64 v2, 0, 1, s6
	s_wait_loadcnt 0x0
	global_store_b16 v[0:1], v2, off
.LBB79_1089:
	s_mov_b32 s4, 0
.LBB79_1090:
	s_delay_alu instid0(SALU_CYCLE_1)
	s_and_not1_b32 vcc_lo, exec_lo, s4
	s_cbranch_vccnz .LBB79_1095
; %bb.1091:
	s_sext_i32_i16 s4, s7
	s_delay_alu instid0(SALU_CYCLE_1)
	s_cmp_gt_i32 s4, 0
	s_mov_b32 s4, -1
	s_cbranch_scc0 .LBB79_1093
; %bb.1092:
	s_wait_xcnt 0x0
	v_cndmask_b32_e64 v2, 0, 1, s6
	s_mov_b32 s4, 0
	s_wait_loadcnt 0x0
	global_store_b8 v[0:1], v2, off
.LBB79_1093:
	s_and_not1_b32 vcc_lo, exec_lo, s4
	s_cbranch_vccnz .LBB79_1095
; %bb.1094:
	s_wait_xcnt 0x0
	v_cndmask_b32_e64 v2, 0, 1, s6
	s_wait_loadcnt 0x0
	global_store_b8 v[0:1], v2, off
.LBB79_1095:
	s_wait_xcnt 0x0
	s_or_b32 exec_lo, exec_lo, s0
	s_delay_alu instid0(SALU_CYCLE_1)
	s_and_b32 s8, s1, exec_lo
                                        ; implicit-def: $vgpr9
                                        ; implicit-def: $vgpr0
.LBB79_1096:
	s_or_saveexec_b32 s9, s33
	s_mov_b32 s0, 0
                                        ; implicit-def: $sgpr1
                                        ; implicit-def: $vgpr2_vgpr3
                                        ; implicit-def: $sgpr6
	s_xor_b32 exec_lo, exec_lo, s9
	s_cbranch_execz .LBB79_2108
; %bb.1097:
	s_wait_loadcnt 0x0
	v_cndmask_b32_e64 v1, 0, 1, s31
	s_and_not1_b32 vcc_lo, exec_lo, s31
	s_cbranch_vccnz .LBB79_1103
; %bb.1098:
	s_cmp_lg_u32 s28, 0
	s_mov_b32 s10, 0
	s_cbranch_scc0 .LBB79_1104
; %bb.1099:
	s_min_u32 s1, s29, 15
	s_delay_alu instid0(SALU_CYCLE_1)
	s_add_co_i32 s1, s1, 1
	s_cmp_eq_u32 s29, 2
	s_cbranch_scc1 .LBB79_1105
; %bb.1100:
	v_dual_mov_b32 v6, 0 :: v_dual_mov_b32 v14, 0
	v_mov_b32_e32 v2, v0
	s_and_b32 s0, s1, 28
	s_add_nc_u64 s[4:5], s[2:3], 0xc4
	s_mov_b32 s11, 0
	s_mov_b64 s[6:7], s[2:3]
.LBB79_1101:                            ; =>This Inner Loop Header: Depth=1
	s_clause 0x1
	s_load_b256 s[12:19], s[6:7], 0x4
	s_load_b128 s[36:39], s[6:7], 0x24
	s_load_b256 s[20:27], s[4:5], 0x0
	s_add_co_i32 s11, s11, 4
	s_wait_xcnt 0x0
	s_add_nc_u64 s[6:7], s[6:7], 48
	s_cmp_lg_u32 s0, s11
	s_add_nc_u64 s[4:5], s[4:5], 32
	s_wait_kmcnt 0x0
	v_mul_hi_u32 v3, s13, v2
	s_delay_alu instid0(VALU_DEP_1) | instskip(NEXT) | instid1(VALU_DEP_1)
	v_add_nc_u32_e32 v3, v2, v3
	v_lshrrev_b32_e32 v3, s14, v3
	s_delay_alu instid0(VALU_DEP_1) | instskip(NEXT) | instid1(VALU_DEP_1)
	v_mul_hi_u32 v4, s16, v3
	v_add_nc_u32_e32 v4, v3, v4
	s_delay_alu instid0(VALU_DEP_1) | instskip(NEXT) | instid1(VALU_DEP_1)
	v_lshrrev_b32_e32 v4, s17, v4
	v_mul_hi_u32 v5, s19, v4
	s_delay_alu instid0(VALU_DEP_1) | instskip(SKIP_1) | instid1(VALU_DEP_1)
	v_add_nc_u32_e32 v5, v4, v5
	v_mul_lo_u32 v7, v3, s12
	v_sub_nc_u32_e32 v2, v2, v7
	v_mul_lo_u32 v7, v4, s15
	s_delay_alu instid0(VALU_DEP_4) | instskip(NEXT) | instid1(VALU_DEP_3)
	v_lshrrev_b32_e32 v5, s36, v5
	v_mad_u32 v10, v2, s21, v14
	v_mad_u32 v2, v2, s20, v6
	s_delay_alu instid0(VALU_DEP_4) | instskip(NEXT) | instid1(VALU_DEP_4)
	v_sub_nc_u32_e32 v3, v3, v7
	v_mul_hi_u32 v8, s38, v5
	v_mul_lo_u32 v6, v5, s18
	s_delay_alu instid0(VALU_DEP_1) | instskip(NEXT) | instid1(VALU_DEP_4)
	v_dual_add_nc_u32 v7, v5, v8 :: v_dual_sub_nc_u32 v4, v4, v6
	v_mad_u32 v8, v3, s23, v10
	v_mad_u32 v3, v3, s22, v2
	s_delay_alu instid0(VALU_DEP_3) | instskip(NEXT) | instid1(VALU_DEP_1)
	v_lshrrev_b32_e32 v2, s39, v7
	v_mul_lo_u32 v6, v2, s37
	s_delay_alu instid0(VALU_DEP_4) | instskip(NEXT) | instid1(VALU_DEP_4)
	v_mad_u32 v7, v4, s25, v8
	v_mad_u32 v3, v4, s24, v3
	s_delay_alu instid0(VALU_DEP_3) | instskip(NEXT) | instid1(VALU_DEP_1)
	v_sub_nc_u32_e32 v4, v5, v6
	v_mad_u32 v14, v4, s27, v7
	s_delay_alu instid0(VALU_DEP_3)
	v_mad_u32 v6, v4, s26, v3
	s_cbranch_scc1 .LBB79_1101
; %bb.1102:
	s_delay_alu instid0(VALU_DEP_2)
	v_mov_b32_e32 v7, v14
	s_and_b32 s6, s1, 3
	s_mov_b32 s1, 0
	s_cmp_eq_u32 s6, 0
	s_cbranch_scc0 .LBB79_1106
	s_branch .LBB79_1109
.LBB79_1103:
	s_mov_b32 s10, -1
                                        ; implicit-def: $vgpr14
                                        ; implicit-def: $vgpr6
	s_branch .LBB79_1109
.LBB79_1104:
	v_dual_mov_b32 v14, 0 :: v_dual_mov_b32 v6, 0
	s_branch .LBB79_1109
.LBB79_1105:
	v_mov_b64_e32 v[6:7], 0
	v_mov_b32_e32 v2, v0
                                        ; implicit-def: $vgpr14
	s_and_b32 s6, s1, 3
	s_mov_b32 s1, 0
	s_cmp_eq_u32 s6, 0
	s_cbranch_scc1 .LBB79_1109
.LBB79_1106:
	s_lshl_b32 s4, s0, 3
	s_mov_b32 s5, s1
	s_mul_u64 s[12:13], s[0:1], 12
	s_add_nc_u64 s[4:5], s[2:3], s[4:5]
	s_delay_alu instid0(SALU_CYCLE_1)
	s_add_nc_u64 s[0:1], s[4:5], 0xc4
	s_add_nc_u64 s[4:5], s[2:3], s[12:13]
.LBB79_1107:                            ; =>This Inner Loop Header: Depth=1
	s_load_b96 s[12:14], s[4:5], 0x4
	s_add_co_i32 s6, s6, -1
	s_wait_xcnt 0x0
	s_add_nc_u64 s[4:5], s[4:5], 12
	s_cmp_lg_u32 s6, 0
	s_wait_kmcnt 0x0
	v_mul_hi_u32 v3, s13, v2
	s_delay_alu instid0(VALU_DEP_1) | instskip(NEXT) | instid1(VALU_DEP_1)
	v_add_nc_u32_e32 v3, v2, v3
	v_lshrrev_b32_e32 v3, s14, v3
	s_load_b64 s[14:15], s[0:1], 0x0
	s_wait_xcnt 0x0
	s_add_nc_u64 s[0:1], s[0:1], 8
	s_delay_alu instid0(VALU_DEP_1) | instskip(NEXT) | instid1(VALU_DEP_1)
	v_mul_lo_u32 v4, v3, s12
	v_sub_nc_u32_e32 v2, v2, v4
	s_wait_kmcnt 0x0
	s_delay_alu instid0(VALU_DEP_1)
	v_mad_u32 v7, v2, s15, v7
	v_mad_u32 v6, v2, s14, v6
	v_mov_b32_e32 v2, v3
	s_cbranch_scc1 .LBB79_1107
; %bb.1108:
	s_delay_alu instid0(VALU_DEP_3)
	v_mov_b32_e32 v14, v7
.LBB79_1109:
	s_and_not1_b32 vcc_lo, exec_lo, s10
	s_cbranch_vccnz .LBB79_1112
; %bb.1110:
	s_clause 0x1
	s_load_b96 s[4:6], s[2:3], 0x4
	s_load_b64 s[0:1], s[2:3], 0xc4
	s_cmp_lt_u32 s28, 2
	s_wait_kmcnt 0x0
	v_mul_hi_u32 v2, s5, v0
	s_delay_alu instid0(VALU_DEP_1) | instskip(NEXT) | instid1(VALU_DEP_1)
	v_add_nc_u32_e32 v2, v0, v2
	v_lshrrev_b32_e32 v2, s6, v2
	s_delay_alu instid0(VALU_DEP_1) | instskip(NEXT) | instid1(VALU_DEP_1)
	v_mul_lo_u32 v3, v2, s4
	v_sub_nc_u32_e32 v3, v0, v3
	s_delay_alu instid0(VALU_DEP_1)
	v_mul_lo_u32 v14, v3, s1
	v_mul_lo_u32 v6, v3, s0
	s_cbranch_scc1 .LBB79_1112
; %bb.1111:
	s_clause 0x1
	s_load_b96 s[4:6], s[2:3], 0x10
	s_load_b64 s[0:1], s[2:3], 0xcc
	s_wait_kmcnt 0x0
	v_mul_hi_u32 v3, s5, v2
	s_delay_alu instid0(VALU_DEP_1) | instskip(NEXT) | instid1(VALU_DEP_1)
	v_add_nc_u32_e32 v3, v2, v3
	v_lshrrev_b32_e32 v3, s6, v3
	s_delay_alu instid0(VALU_DEP_1) | instskip(NEXT) | instid1(VALU_DEP_1)
	v_mul_lo_u32 v3, v3, s4
	v_sub_nc_u32_e32 v2, v2, v3
	s_delay_alu instid0(VALU_DEP_1)
	v_mad_u32 v6, v2, s0, v6
	v_mad_u32 v14, v2, s1, v14
.LBB79_1112:
	v_cmp_ne_u32_e32 vcc_lo, 1, v1
	v_add_nc_u32_e32 v2, 0x80, v0
	s_cbranch_vccnz .LBB79_1118
; %bb.1113:
	s_cmp_lg_u32 s28, 0
	s_mov_b32 s10, 0
	s_cbranch_scc0 .LBB79_1119
; %bb.1114:
	s_min_u32 s1, s29, 15
	s_delay_alu instid0(SALU_CYCLE_1)
	s_add_co_i32 s1, s1, 1
	s_cmp_eq_u32 s29, 2
	s_cbranch_scc1 .LBB79_1120
; %bb.1115:
	v_dual_mov_b32 v4, 0 :: v_dual_mov_b32 v12, 0
	v_mov_b32_e32 v3, v2
	s_and_b32 s0, s1, 28
	s_add_nc_u64 s[4:5], s[2:3], 0xc4
	s_mov_b32 s11, 0
	s_mov_b64 s[6:7], s[2:3]
.LBB79_1116:                            ; =>This Inner Loop Header: Depth=1
	s_clause 0x1
	s_load_b256 s[12:19], s[6:7], 0x4
	s_load_b128 s[36:39], s[6:7], 0x24
	s_load_b256 s[20:27], s[4:5], 0x0
	s_add_co_i32 s11, s11, 4
	s_wait_xcnt 0x0
	s_add_nc_u64 s[6:7], s[6:7], 48
	s_cmp_lg_u32 s0, s11
	s_add_nc_u64 s[4:5], s[4:5], 32
	s_wait_kmcnt 0x0
	v_mul_hi_u32 v5, s13, v3
	s_delay_alu instid0(VALU_DEP_1) | instskip(NEXT) | instid1(VALU_DEP_1)
	v_add_nc_u32_e32 v5, v3, v5
	v_lshrrev_b32_e32 v5, s14, v5
	s_delay_alu instid0(VALU_DEP_1) | instskip(NEXT) | instid1(VALU_DEP_1)
	v_mul_hi_u32 v7, s16, v5
	v_add_nc_u32_e32 v7, v5, v7
	s_delay_alu instid0(VALU_DEP_1) | instskip(NEXT) | instid1(VALU_DEP_1)
	v_lshrrev_b32_e32 v7, s17, v7
	v_mul_hi_u32 v8, s19, v7
	s_delay_alu instid0(VALU_DEP_1) | instskip(SKIP_1) | instid1(VALU_DEP_1)
	v_add_nc_u32_e32 v8, v7, v8
	v_mul_lo_u32 v10, v5, s12
	v_sub_nc_u32_e32 v3, v3, v10
	v_mul_lo_u32 v10, v7, s15
	s_delay_alu instid0(VALU_DEP_4) | instskip(NEXT) | instid1(VALU_DEP_3)
	v_lshrrev_b32_e32 v8, s36, v8
	v_mad_u32 v12, v3, s21, v12
	v_mad_u32 v3, v3, s20, v4
	s_delay_alu instid0(VALU_DEP_4) | instskip(NEXT) | instid1(VALU_DEP_4)
	v_sub_nc_u32_e32 v4, v5, v10
	v_mul_hi_u32 v11, s38, v8
	v_mul_lo_u32 v5, v8, s18
	s_delay_alu instid0(VALU_DEP_1) | instskip(NEXT) | instid1(VALU_DEP_4)
	v_dual_add_nc_u32 v10, v8, v11 :: v_dual_sub_nc_u32 v5, v7, v5
	v_mad_u32 v11, v4, s23, v12
	v_mad_u32 v4, v4, s22, v3
	s_delay_alu instid0(VALU_DEP_3) | instskip(NEXT) | instid1(VALU_DEP_1)
	v_lshrrev_b32_e32 v3, s39, v10
	v_mul_lo_u32 v7, v3, s37
	s_delay_alu instid0(VALU_DEP_4) | instskip(NEXT) | instid1(VALU_DEP_4)
	v_mad_u32 v10, v5, s25, v11
	v_mad_u32 v4, v5, s24, v4
	s_delay_alu instid0(VALU_DEP_3) | instskip(NEXT) | instid1(VALU_DEP_1)
	v_sub_nc_u32_e32 v5, v8, v7
	v_mad_u32 v12, v5, s27, v10
	s_delay_alu instid0(VALU_DEP_3)
	v_mad_u32 v4, v5, s26, v4
	s_cbranch_scc1 .LBB79_1116
; %bb.1117:
	s_delay_alu instid0(VALU_DEP_2)
	v_mov_b32_e32 v5, v12
	s_and_b32 s6, s1, 3
	s_mov_b32 s1, 0
	s_cmp_eq_u32 s6, 0
	s_cbranch_scc0 .LBB79_1121
	s_branch .LBB79_1124
.LBB79_1118:
	s_mov_b32 s10, -1
                                        ; implicit-def: $vgpr12
                                        ; implicit-def: $vgpr4
	s_branch .LBB79_1124
.LBB79_1119:
	v_dual_mov_b32 v12, 0 :: v_dual_mov_b32 v4, 0
	s_branch .LBB79_1124
.LBB79_1120:
	v_mov_b64_e32 v[4:5], 0
	v_mov_b32_e32 v3, v2
	s_mov_b32 s0, 0
                                        ; implicit-def: $vgpr12
	s_and_b32 s6, s1, 3
	s_mov_b32 s1, 0
	s_cmp_eq_u32 s6, 0
	s_cbranch_scc1 .LBB79_1124
.LBB79_1121:
	s_lshl_b32 s4, s0, 3
	s_mov_b32 s5, s1
	s_mul_u64 s[12:13], s[0:1], 12
	s_add_nc_u64 s[4:5], s[2:3], s[4:5]
	s_delay_alu instid0(SALU_CYCLE_1)
	s_add_nc_u64 s[0:1], s[4:5], 0xc4
	s_add_nc_u64 s[4:5], s[2:3], s[12:13]
.LBB79_1122:                            ; =>This Inner Loop Header: Depth=1
	s_load_b96 s[12:14], s[4:5], 0x4
	s_add_co_i32 s6, s6, -1
	s_wait_xcnt 0x0
	s_add_nc_u64 s[4:5], s[4:5], 12
	s_cmp_lg_u32 s6, 0
	s_wait_kmcnt 0x0
	v_mul_hi_u32 v7, s13, v3
	s_delay_alu instid0(VALU_DEP_1) | instskip(NEXT) | instid1(VALU_DEP_1)
	v_add_nc_u32_e32 v7, v3, v7
	v_lshrrev_b32_e32 v7, s14, v7
	s_load_b64 s[14:15], s[0:1], 0x0
	s_wait_xcnt 0x0
	s_add_nc_u64 s[0:1], s[0:1], 8
	s_delay_alu instid0(VALU_DEP_1) | instskip(NEXT) | instid1(VALU_DEP_1)
	v_mul_lo_u32 v8, v7, s12
	v_sub_nc_u32_e32 v3, v3, v8
	s_wait_kmcnt 0x0
	s_delay_alu instid0(VALU_DEP_1)
	v_mad_u32 v5, v3, s15, v5
	v_mad_u32 v4, v3, s14, v4
	v_mov_b32_e32 v3, v7
	s_cbranch_scc1 .LBB79_1122
; %bb.1123:
	s_delay_alu instid0(VALU_DEP_3)
	v_mov_b32_e32 v12, v5
.LBB79_1124:
	s_and_not1_b32 vcc_lo, exec_lo, s10
	s_cbranch_vccnz .LBB79_1127
; %bb.1125:
	s_clause 0x1
	s_load_b96 s[4:6], s[2:3], 0x4
	s_load_b64 s[0:1], s[2:3], 0xc4
	s_cmp_lt_u32 s28, 2
	s_wait_kmcnt 0x0
	v_mul_hi_u32 v3, s5, v2
	s_delay_alu instid0(VALU_DEP_1) | instskip(NEXT) | instid1(VALU_DEP_1)
	v_add_nc_u32_e32 v3, v2, v3
	v_lshrrev_b32_e32 v3, s6, v3
	s_delay_alu instid0(VALU_DEP_1) | instskip(NEXT) | instid1(VALU_DEP_1)
	v_mul_lo_u32 v4, v3, s4
	v_sub_nc_u32_e32 v2, v2, v4
	s_delay_alu instid0(VALU_DEP_1)
	v_mul_lo_u32 v12, v2, s1
	v_mul_lo_u32 v4, v2, s0
	s_cbranch_scc1 .LBB79_1127
; %bb.1126:
	s_clause 0x1
	s_load_b96 s[4:6], s[2:3], 0x10
	s_load_b64 s[0:1], s[2:3], 0xcc
	s_wait_kmcnt 0x0
	v_mul_hi_u32 v2, s5, v3
	s_delay_alu instid0(VALU_DEP_1) | instskip(NEXT) | instid1(VALU_DEP_1)
	v_add_nc_u32_e32 v2, v3, v2
	v_lshrrev_b32_e32 v2, s6, v2
	s_delay_alu instid0(VALU_DEP_1) | instskip(NEXT) | instid1(VALU_DEP_1)
	v_mul_lo_u32 v2, v2, s4
	v_sub_nc_u32_e32 v2, v3, v2
	s_delay_alu instid0(VALU_DEP_1)
	v_mad_u32 v4, v2, s0, v4
	v_mad_u32 v12, v2, s1, v12
.LBB79_1127:
	v_cmp_ne_u32_e32 vcc_lo, 1, v1
	v_add_nc_u32_e32 v0, 0x100, v0
	s_cbranch_vccnz .LBB79_1133
; %bb.1128:
	s_cmp_lg_u32 s28, 0
	s_mov_b32 s10, 0
	s_cbranch_scc0 .LBB79_1134
; %bb.1129:
	s_min_u32 s1, s29, 15
	s_delay_alu instid0(SALU_CYCLE_1)
	s_add_co_i32 s1, s1, 1
	s_cmp_eq_u32 s29, 2
	s_cbranch_scc1 .LBB79_1135
; %bb.1130:
	v_dual_mov_b32 v2, 0 :: v_dual_mov_b32 v10, 0
	v_mov_b32_e32 v5, v0
	s_and_b32 s0, s1, 28
	s_add_nc_u64 s[4:5], s[2:3], 0xc4
	s_mov_b32 s11, 0
	s_mov_b64 s[6:7], s[2:3]
.LBB79_1131:                            ; =>This Inner Loop Header: Depth=1
	s_clause 0x1
	s_load_b256 s[12:19], s[6:7], 0x4
	s_load_b128 s[36:39], s[6:7], 0x24
	s_load_b256 s[20:27], s[4:5], 0x0
	s_add_co_i32 s11, s11, 4
	s_wait_xcnt 0x0
	s_add_nc_u64 s[6:7], s[6:7], 48
	s_cmp_lg_u32 s0, s11
	s_add_nc_u64 s[4:5], s[4:5], 32
	s_wait_kmcnt 0x0
	v_mul_hi_u32 v3, s13, v5
	s_delay_alu instid0(VALU_DEP_1) | instskip(NEXT) | instid1(VALU_DEP_1)
	v_add_nc_u32_e32 v3, v5, v3
	v_lshrrev_b32_e32 v3, s14, v3
	s_delay_alu instid0(VALU_DEP_1) | instskip(NEXT) | instid1(VALU_DEP_1)
	v_mul_hi_u32 v7, s16, v3
	v_add_nc_u32_e32 v7, v3, v7
	s_delay_alu instid0(VALU_DEP_1) | instskip(NEXT) | instid1(VALU_DEP_1)
	v_lshrrev_b32_e32 v7, s17, v7
	v_mul_hi_u32 v8, s19, v7
	s_delay_alu instid0(VALU_DEP_1) | instskip(NEXT) | instid1(VALU_DEP_1)
	v_add_nc_u32_e32 v8, v7, v8
	v_lshrrev_b32_e32 v8, s36, v8
	v_mul_lo_u32 v11, v3, s12
	s_delay_alu instid0(VALU_DEP_2) | instskip(NEXT) | instid1(VALU_DEP_2)
	v_mul_hi_u32 v13, s38, v8
	v_sub_nc_u32_e32 v5, v5, v11
	s_delay_alu instid0(VALU_DEP_1) | instskip(SKIP_1) | instid1(VALU_DEP_4)
	v_mad_u32 v10, v5, s21, v10
	v_mad_u32 v2, v5, s20, v2
	v_add_nc_u32_e32 v5, v8, v13
	s_delay_alu instid0(VALU_DEP_1) | instskip(SKIP_1) | instid1(VALU_DEP_1)
	v_lshrrev_b32_e32 v5, s39, v5
	v_mul_lo_u32 v11, v7, s15
	v_sub_nc_u32_e32 v3, v3, v11
	v_mul_lo_u32 v11, v8, s18
	s_delay_alu instid0(VALU_DEP_2) | instskip(SKIP_1) | instid1(VALU_DEP_3)
	v_mad_u32 v10, v3, s23, v10
	v_mad_u32 v2, v3, s22, v2
	v_sub_nc_u32_e32 v3, v7, v11
	v_mul_lo_u32 v7, v5, s37
	s_delay_alu instid0(VALU_DEP_2) | instskip(NEXT) | instid1(VALU_DEP_4)
	v_mad_u32 v10, v3, s25, v10
	v_mad_u32 v2, v3, s24, v2
	s_delay_alu instid0(VALU_DEP_3) | instskip(NEXT) | instid1(VALU_DEP_1)
	v_sub_nc_u32_e32 v3, v8, v7
	v_mad_u32 v10, v3, s27, v10
	s_delay_alu instid0(VALU_DEP_3)
	v_mad_u32 v2, v3, s26, v2
	s_cbranch_scc1 .LBB79_1131
; %bb.1132:
	s_delay_alu instid0(VALU_DEP_2)
	v_mov_b32_e32 v3, v10
	s_and_b32 s6, s1, 3
	s_mov_b32 s1, 0
	s_cmp_eq_u32 s6, 0
	s_cbranch_scc0 .LBB79_1136
	s_branch .LBB79_1139
.LBB79_1133:
	s_mov_b32 s10, -1
                                        ; implicit-def: $vgpr10
                                        ; implicit-def: $vgpr2
	s_branch .LBB79_1139
.LBB79_1134:
	v_dual_mov_b32 v10, 0 :: v_dual_mov_b32 v2, 0
	s_branch .LBB79_1139
.LBB79_1135:
	v_mov_b64_e32 v[2:3], 0
	v_mov_b32_e32 v5, v0
	s_mov_b32 s0, 0
                                        ; implicit-def: $vgpr10
	s_and_b32 s6, s1, 3
	s_mov_b32 s1, 0
	s_cmp_eq_u32 s6, 0
	s_cbranch_scc1 .LBB79_1139
.LBB79_1136:
	s_lshl_b32 s4, s0, 3
	s_mov_b32 s5, s1
	s_mul_u64 s[12:13], s[0:1], 12
	s_add_nc_u64 s[4:5], s[2:3], s[4:5]
	s_delay_alu instid0(SALU_CYCLE_1)
	s_add_nc_u64 s[0:1], s[4:5], 0xc4
	s_add_nc_u64 s[4:5], s[2:3], s[12:13]
.LBB79_1137:                            ; =>This Inner Loop Header: Depth=1
	s_load_b96 s[12:14], s[4:5], 0x4
	s_add_co_i32 s6, s6, -1
	s_wait_xcnt 0x0
	s_add_nc_u64 s[4:5], s[4:5], 12
	s_cmp_lg_u32 s6, 0
	s_wait_kmcnt 0x0
	v_mul_hi_u32 v7, s13, v5
	s_delay_alu instid0(VALU_DEP_1) | instskip(NEXT) | instid1(VALU_DEP_1)
	v_add_nc_u32_e32 v7, v5, v7
	v_lshrrev_b32_e32 v7, s14, v7
	s_load_b64 s[14:15], s[0:1], 0x0
	s_wait_xcnt 0x0
	s_add_nc_u64 s[0:1], s[0:1], 8
	s_delay_alu instid0(VALU_DEP_1) | instskip(NEXT) | instid1(VALU_DEP_1)
	v_mul_lo_u32 v8, v7, s12
	v_sub_nc_u32_e32 v5, v5, v8
	s_wait_kmcnt 0x0
	s_delay_alu instid0(VALU_DEP_1)
	v_mad_u32 v3, v5, s15, v3
	v_mad_u32 v2, v5, s14, v2
	v_mov_b32_e32 v5, v7
	s_cbranch_scc1 .LBB79_1137
; %bb.1138:
	s_delay_alu instid0(VALU_DEP_3)
	v_mov_b32_e32 v10, v3
.LBB79_1139:
	s_and_not1_b32 vcc_lo, exec_lo, s10
	s_cbranch_vccnz .LBB79_1142
; %bb.1140:
	s_clause 0x1
	s_load_b96 s[4:6], s[2:3], 0x4
	s_load_b64 s[0:1], s[2:3], 0xc4
	s_cmp_lt_u32 s28, 2
	s_wait_kmcnt 0x0
	v_mul_hi_u32 v2, s5, v0
	s_delay_alu instid0(VALU_DEP_1) | instskip(NEXT) | instid1(VALU_DEP_1)
	v_add_nc_u32_e32 v2, v0, v2
	v_lshrrev_b32_e32 v3, s6, v2
	s_delay_alu instid0(VALU_DEP_1) | instskip(NEXT) | instid1(VALU_DEP_1)
	v_mul_lo_u32 v2, v3, s4
	v_sub_nc_u32_e32 v0, v0, v2
	s_delay_alu instid0(VALU_DEP_1)
	v_mul_lo_u32 v10, v0, s1
	v_mul_lo_u32 v2, v0, s0
	s_cbranch_scc1 .LBB79_1142
; %bb.1141:
	s_clause 0x1
	s_load_b96 s[4:6], s[2:3], 0x10
	s_load_b64 s[0:1], s[2:3], 0xcc
	s_wait_kmcnt 0x0
	v_mul_hi_u32 v0, s5, v3
	s_delay_alu instid0(VALU_DEP_1) | instskip(NEXT) | instid1(VALU_DEP_1)
	v_add_nc_u32_e32 v0, v3, v0
	v_lshrrev_b32_e32 v0, s6, v0
	s_delay_alu instid0(VALU_DEP_1) | instskip(NEXT) | instid1(VALU_DEP_1)
	v_mul_lo_u32 v0, v0, s4
	v_sub_nc_u32_e32 v0, v3, v0
	s_delay_alu instid0(VALU_DEP_1)
	v_mad_u32 v2, v0, s0, v2
	v_mad_u32 v10, v0, s1, v10
.LBB79_1142:
	v_cmp_ne_u32_e32 vcc_lo, 1, v1
	s_cbranch_vccnz .LBB79_1148
; %bb.1143:
	s_cmp_lg_u32 s28, 0
	s_mov_b32 s10, 0
	s_cbranch_scc0 .LBB79_1149
; %bb.1144:
	s_min_u32 s1, s29, 15
	s_delay_alu instid0(SALU_CYCLE_1)
	s_add_co_i32 s1, s1, 1
	s_cmp_eq_u32 s29, 2
	s_cbranch_scc1 .LBB79_1150
; %bb.1145:
	v_dual_mov_b32 v0, 0 :: v_dual_mov_b32 v8, 0
	v_mov_b32_e32 v3, v9
	s_and_b32 s0, s1, 28
	s_add_nc_u64 s[4:5], s[2:3], 0xc4
	s_mov_b32 s11, 0
	s_mov_b64 s[6:7], s[2:3]
.LBB79_1146:                            ; =>This Inner Loop Header: Depth=1
	s_clause 0x1
	s_load_b256 s[12:19], s[6:7], 0x4
	s_load_b128 s[36:39], s[6:7], 0x24
	s_load_b256 s[20:27], s[4:5], 0x0
	s_add_co_i32 s11, s11, 4
	s_wait_xcnt 0x0
	s_add_nc_u64 s[6:7], s[6:7], 48
	s_cmp_lg_u32 s0, s11
	s_add_nc_u64 s[4:5], s[4:5], 32
	s_wait_kmcnt 0x0
	v_mul_hi_u32 v1, s13, v3
	s_delay_alu instid0(VALU_DEP_1) | instskip(NEXT) | instid1(VALU_DEP_1)
	v_add_nc_u32_e32 v1, v3, v1
	v_lshrrev_b32_e32 v1, s14, v1
	s_delay_alu instid0(VALU_DEP_1) | instskip(NEXT) | instid1(VALU_DEP_1)
	v_mul_lo_u32 v11, v1, s12
	v_sub_nc_u32_e32 v3, v3, v11
	v_mul_hi_u32 v5, s16, v1
	s_delay_alu instid0(VALU_DEP_2) | instskip(SKIP_1) | instid1(VALU_DEP_3)
	v_mad_u32 v8, v3, s21, v8
	v_mad_u32 v0, v3, s20, v0
	v_add_nc_u32_e32 v5, v1, v5
	s_delay_alu instid0(VALU_DEP_1) | instskip(NEXT) | instid1(VALU_DEP_1)
	v_lshrrev_b32_e32 v5, s17, v5
	v_mul_lo_u32 v11, v5, s15
	s_delay_alu instid0(VALU_DEP_1) | instskip(SKIP_1) | instid1(VALU_DEP_2)
	v_sub_nc_u32_e32 v1, v1, v11
	v_mul_hi_u32 v7, s19, v5
	v_mad_u32 v8, v1, s23, v8
	v_mad_u32 v0, v1, s22, v0
	s_delay_alu instid0(VALU_DEP_3) | instskip(NEXT) | instid1(VALU_DEP_1)
	v_add_nc_u32_e32 v7, v5, v7
	v_lshrrev_b32_e32 v7, s36, v7
	s_delay_alu instid0(VALU_DEP_1) | instskip(SKIP_1) | instid1(VALU_DEP_1)
	v_mul_hi_u32 v13, s38, v7
	v_mul_lo_u32 v11, v7, s18
	v_dual_add_nc_u32 v3, v7, v13 :: v_dual_sub_nc_u32 v1, v5, v11
	s_delay_alu instid0(VALU_DEP_1) | instskip(NEXT) | instid1(VALU_DEP_2)
	v_lshrrev_b32_e32 v3, s39, v3
	v_mad_u32 v8, v1, s25, v8
	v_mad_u32 v0, v1, s24, v0
	s_delay_alu instid0(VALU_DEP_3) | instskip(NEXT) | instid1(VALU_DEP_1)
	v_mul_lo_u32 v5, v3, s37
	v_sub_nc_u32_e32 v1, v7, v5
	s_delay_alu instid0(VALU_DEP_1) | instskip(NEXT) | instid1(VALU_DEP_4)
	v_mad_u32 v8, v1, s27, v8
	v_mad_u32 v0, v1, s26, v0
	s_cbranch_scc1 .LBB79_1146
; %bb.1147:
	s_delay_alu instid0(VALU_DEP_2)
	v_mov_b32_e32 v1, v8
	s_and_b32 s6, s1, 3
	s_mov_b32 s1, 0
	s_cmp_eq_u32 s6, 0
	s_cbranch_scc0 .LBB79_1151
	s_branch .LBB79_1154
.LBB79_1148:
	s_mov_b32 s10, -1
                                        ; implicit-def: $vgpr8
                                        ; implicit-def: $vgpr0
	s_branch .LBB79_1154
.LBB79_1149:
	v_dual_mov_b32 v8, 0 :: v_dual_mov_b32 v0, 0
	s_branch .LBB79_1154
.LBB79_1150:
	v_mov_b64_e32 v[0:1], 0
	v_mov_b32_e32 v3, v9
	s_mov_b32 s0, 0
                                        ; implicit-def: $vgpr8
	s_and_b32 s6, s1, 3
	s_mov_b32 s1, 0
	s_cmp_eq_u32 s6, 0
	s_cbranch_scc1 .LBB79_1154
.LBB79_1151:
	s_lshl_b32 s4, s0, 3
	s_mov_b32 s5, s1
	s_mul_u64 s[12:13], s[0:1], 12
	s_add_nc_u64 s[4:5], s[2:3], s[4:5]
	s_delay_alu instid0(SALU_CYCLE_1)
	s_add_nc_u64 s[0:1], s[4:5], 0xc4
	s_add_nc_u64 s[4:5], s[2:3], s[12:13]
.LBB79_1152:                            ; =>This Inner Loop Header: Depth=1
	s_load_b96 s[12:14], s[4:5], 0x4
	s_add_co_i32 s6, s6, -1
	s_wait_xcnt 0x0
	s_add_nc_u64 s[4:5], s[4:5], 12
	s_cmp_lg_u32 s6, 0
	s_wait_kmcnt 0x0
	v_mul_hi_u32 v5, s13, v3
	s_delay_alu instid0(VALU_DEP_1) | instskip(NEXT) | instid1(VALU_DEP_1)
	v_add_nc_u32_e32 v5, v3, v5
	v_lshrrev_b32_e32 v5, s14, v5
	s_load_b64 s[14:15], s[0:1], 0x0
	s_wait_xcnt 0x0
	s_add_nc_u64 s[0:1], s[0:1], 8
	s_delay_alu instid0(VALU_DEP_1) | instskip(NEXT) | instid1(VALU_DEP_1)
	v_mul_lo_u32 v7, v5, s12
	v_sub_nc_u32_e32 v3, v3, v7
	s_wait_kmcnt 0x0
	s_delay_alu instid0(VALU_DEP_1)
	v_mad_u32 v1, v3, s15, v1
	v_mad_u32 v0, v3, s14, v0
	v_mov_b32_e32 v3, v5
	s_cbranch_scc1 .LBB79_1152
; %bb.1153:
	s_delay_alu instid0(VALU_DEP_3)
	v_mov_b32_e32 v8, v1
.LBB79_1154:
	s_and_not1_b32 vcc_lo, exec_lo, s10
	s_cbranch_vccnz .LBB79_1157
; %bb.1155:
	s_clause 0x1
	s_load_b96 s[4:6], s[2:3], 0x4
	s_load_b64 s[0:1], s[2:3], 0xc4
	s_cmp_lt_u32 s28, 2
	s_wait_kmcnt 0x0
	v_mul_hi_u32 v0, s5, v9
	s_delay_alu instid0(VALU_DEP_1) | instskip(NEXT) | instid1(VALU_DEP_1)
	v_add_nc_u32_e32 v0, v9, v0
	v_lshrrev_b32_e32 v1, s6, v0
	s_delay_alu instid0(VALU_DEP_1) | instskip(NEXT) | instid1(VALU_DEP_1)
	v_mul_lo_u32 v0, v1, s4
	v_sub_nc_u32_e32 v0, v9, v0
	s_delay_alu instid0(VALU_DEP_1)
	v_mul_lo_u32 v8, v0, s1
	v_mul_lo_u32 v0, v0, s0
	s_cbranch_scc1 .LBB79_1157
; %bb.1156:
	s_clause 0x1
	s_load_b96 s[4:6], s[2:3], 0x10
	s_load_b64 s[0:1], s[2:3], 0xcc
	s_wait_kmcnt 0x0
	v_mul_hi_u32 v3, s5, v1
	s_delay_alu instid0(VALU_DEP_1) | instskip(NEXT) | instid1(VALU_DEP_1)
	v_add_nc_u32_e32 v3, v1, v3
	v_lshrrev_b32_e32 v3, s6, v3
	s_delay_alu instid0(VALU_DEP_1) | instskip(NEXT) | instid1(VALU_DEP_1)
	v_mul_lo_u32 v3, v3, s4
	v_sub_nc_u32_e32 v1, v1, v3
	s_delay_alu instid0(VALU_DEP_1)
	v_mad_u32 v0, v1, s0, v0
	v_mad_u32 v8, v1, s1, v8
.LBB79_1157:
	v_mov_b32_e32 v15, 0
	s_load_b128 s[4:7], s[2:3], 0x148
	global_load_u8 v1, v15, s[2:3] offset:346
	s_wait_kmcnt 0x0
	v_add_nc_u64_e32 v[14:15], s[6:7], v[14:15]
	s_wait_loadcnt 0x0
	v_and_b32_e32 v3, 0xffff, v1
	v_readfirstlane_b32 s0, v1
	s_delay_alu instid0(VALU_DEP_2)
	v_cmp_gt_i32_e32 vcc_lo, 11, v3
	s_cbranch_vccnz .LBB79_1164
; %bb.1158:
	s_and_b32 s1, 0xffff, s0
	s_mov_b32 s11, 0
	s_cmp_gt_i32 s1, 25
	s_cbranch_scc0 .LBB79_1166
; %bb.1159:
	s_cmp_gt_i32 s1, 28
	s_cbranch_scc0 .LBB79_1167
; %bb.1160:
	;; [unrolled: 3-line block ×4, first 2 shown]
	s_cmp_eq_u32 s1, 46
	s_mov_b32 s13, 0
	s_cbranch_scc0 .LBB79_1172
; %bb.1163:
	global_load_b32 v1, v[14:15], off
	s_mov_b32 s10, 0
	s_mov_b32 s12, -1
	s_wait_loadcnt 0x0
	v_lshlrev_b32_e32 v1, 16, v1
	s_branch .LBB79_1174
.LBB79_1164:
	s_mov_b32 s12, 0
	s_mov_b32 s10, s8
                                        ; implicit-def: $vgpr1
	s_cbranch_execnz .LBB79_1237
.LBB79_1165:
	s_and_not1_b32 vcc_lo, exec_lo, s12
	s_cbranch_vccz .LBB79_1282
	s_branch .LBB79_2106
.LBB79_1166:
	s_mov_b32 s12, 0
	s_mov_b32 s10, 0
                                        ; implicit-def: $vgpr1
	s_cbranch_execnz .LBB79_1202
	s_branch .LBB79_1233
.LBB79_1167:
	s_mov_b32 s13, -1
	s_mov_b32 s12, 0
	s_mov_b32 s10, 0
                                        ; implicit-def: $vgpr1
	s_branch .LBB79_1183
.LBB79_1168:
	s_mov_b32 s12, 0
	s_mov_b32 s10, 0
                                        ; implicit-def: $vgpr1
	s_cbranch_execnz .LBB79_1179
	s_branch .LBB79_1182
.LBB79_1169:
	s_mov_b32 s13, -1
	s_mov_b32 s12, 0
	s_mov_b32 s10, 0
	s_branch .LBB79_1173
.LBB79_1170:
	s_and_not1_saveexec_b32 s10, s10
	s_cbranch_execz .LBB79_1009
.LBB79_1171:
	v_add_f32_e32 v2, 0x46000000, v3
	s_and_not1_b32 s9, s9, exec_lo
	s_delay_alu instid0(VALU_DEP_1) | instskip(NEXT) | instid1(VALU_DEP_1)
	v_and_b32_e32 v2, 0xff, v2
	v_cmp_ne_u32_e32 vcc_lo, 0, v2
	s_and_b32 s11, vcc_lo, exec_lo
	s_delay_alu instid0(SALU_CYCLE_1)
	s_or_b32 s9, s9, s11
	s_or_b32 exec_lo, exec_lo, s10
	v_mov_b32_e32 v4, 0
	s_and_saveexec_b32 s10, s9
	s_cbranch_execnz .LBB79_1010
	s_branch .LBB79_1011
.LBB79_1172:
	s_mov_b32 s10, -1
	s_mov_b32 s12, 0
.LBB79_1173:
                                        ; implicit-def: $vgpr1
.LBB79_1174:
	s_and_b32 vcc_lo, exec_lo, s13
	s_cbranch_vccz .LBB79_1177
; %bb.1175:
	s_cmp_eq_u32 s1, 44
	s_cbranch_scc0 .LBB79_1178
; %bb.1176:
	global_load_u8 v1, v[14:15], off
	s_mov_b32 s10, 0
	s_mov_b32 s12, -1
	s_wait_loadcnt 0x0
	v_lshlrev_b32_e32 v3, 23, v1
	v_cmp_ne_u32_e32 vcc_lo, 0xff, v1
	s_delay_alu instid0(VALU_DEP_2) | instskip(SKIP_1) | instid1(VALU_DEP_2)
	v_cndmask_b32_e32 v3, 0x7f800001, v3, vcc_lo
	v_cmp_ne_u32_e32 vcc_lo, 0, v1
	v_cndmask_b32_e32 v1, 0x400000, v3, vcc_lo
.LBB79_1177:
	s_branch .LBB79_1182
.LBB79_1178:
	s_mov_b32 s10, -1
                                        ; implicit-def: $vgpr1
	s_branch .LBB79_1182
.LBB79_1179:
	s_cmp_eq_u32 s1, 29
	s_cbranch_scc0 .LBB79_1181
; %bb.1180:
	global_load_b64 v[16:17], v[14:15], off
	s_mov_b32 s10, 0
	s_mov_b32 s12, -1
	s_mov_b32 s13, 0
	s_wait_loadcnt 0x0
	v_clz_i32_u32_e32 v1, v17
	s_delay_alu instid0(VALU_DEP_1) | instskip(NEXT) | instid1(VALU_DEP_1)
	v_min_u32_e32 v1, 32, v1
	v_lshlrev_b64_e32 v[16:17], v1, v[16:17]
	v_sub_nc_u32_e32 v1, 32, v1
	s_delay_alu instid0(VALU_DEP_2) | instskip(NEXT) | instid1(VALU_DEP_1)
	v_min_u32_e32 v3, 1, v16
	v_or_b32_e32 v3, v17, v3
	s_delay_alu instid0(VALU_DEP_1) | instskip(NEXT) | instid1(VALU_DEP_1)
	v_cvt_f32_u32_e32 v3, v3
	v_ldexp_f32 v1, v3, v1
	s_branch .LBB79_1183
.LBB79_1181:
	s_mov_b32 s10, -1
                                        ; implicit-def: $vgpr1
.LBB79_1182:
	s_mov_b32 s13, 0
.LBB79_1183:
	s_delay_alu instid0(SALU_CYCLE_1)
	s_and_b32 vcc_lo, exec_lo, s13
	s_cbranch_vccz .LBB79_1201
; %bb.1184:
	s_cmp_lt_i32 s1, 27
	s_cbranch_scc1 .LBB79_1187
; %bb.1185:
	s_cmp_gt_i32 s1, 27
	s_cbranch_scc0 .LBB79_1188
; %bb.1186:
	global_load_b32 v1, v[14:15], off
	s_mov_b32 s12, 0
	s_wait_loadcnt 0x0
	v_cvt_f32_u32_e32 v1, v1
	s_branch .LBB79_1189
.LBB79_1187:
	s_mov_b32 s12, -1
                                        ; implicit-def: $vgpr1
	s_branch .LBB79_1192
.LBB79_1188:
	s_mov_b32 s12, -1
                                        ; implicit-def: $vgpr1
.LBB79_1189:
	s_delay_alu instid0(SALU_CYCLE_1)
	s_and_not1_b32 vcc_lo, exec_lo, s12
	s_cbranch_vccnz .LBB79_1191
; %bb.1190:
	global_load_u16 v1, v[14:15], off
	s_wait_loadcnt 0x0
	v_cvt_f32_u32_e32 v1, v1
.LBB79_1191:
	s_mov_b32 s12, 0
.LBB79_1192:
	s_delay_alu instid0(SALU_CYCLE_1)
	s_and_not1_b32 vcc_lo, exec_lo, s12
	s_cbranch_vccnz .LBB79_1200
; %bb.1193:
	global_load_u8 v3, v[14:15], off
	s_mov_b32 s12, 0
	s_mov_b32 s13, exec_lo
	s_wait_loadcnt 0x0
	v_cmpx_lt_i16_e32 0x7f, v3
	s_xor_b32 s13, exec_lo, s13
	s_cbranch_execz .LBB79_1213
; %bb.1194:
	s_mov_b32 s12, -1
	s_mov_b32 s14, exec_lo
	v_cmpx_eq_u16_e32 0x80, v3
; %bb.1195:
	s_xor_b32 s12, exec_lo, -1
; %bb.1196:
	s_or_b32 exec_lo, exec_lo, s14
	s_delay_alu instid0(SALU_CYCLE_1)
	s_and_b32 s12, s12, exec_lo
	s_or_saveexec_b32 s13, s13
	v_mov_b32_e32 v1, 0x7f800001
	s_xor_b32 exec_lo, exec_lo, s13
	s_cbranch_execnz .LBB79_1214
.LBB79_1197:
	s_or_b32 exec_lo, exec_lo, s13
	s_and_saveexec_b32 s13, s12
	s_cbranch_execz .LBB79_1199
.LBB79_1198:
	v_and_b32_e32 v1, 0xffff, v3
	s_delay_alu instid0(VALU_DEP_1) | instskip(SKIP_1) | instid1(VALU_DEP_2)
	v_and_b32_e32 v5, 7, v1
	v_bfe_u32 v11, v1, 3, 4
	v_clz_i32_u32_e32 v7, v5
	s_delay_alu instid0(VALU_DEP_2) | instskip(NEXT) | instid1(VALU_DEP_2)
	v_cmp_eq_u32_e32 vcc_lo, 0, v11
	v_min_u32_e32 v7, 32, v7
	s_delay_alu instid0(VALU_DEP_1) | instskip(NEXT) | instid1(VALU_DEP_1)
	v_subrev_nc_u32_e32 v9, 28, v7
	v_dual_lshlrev_b32 v1, v9, v1 :: v_dual_sub_nc_u32 v7, 29, v7
	s_delay_alu instid0(VALU_DEP_1) | instskip(NEXT) | instid1(VALU_DEP_1)
	v_dual_lshlrev_b32 v3, 24, v3 :: v_dual_bitop2_b32 v1, 7, v1 bitop3:0x40
	v_dual_cndmask_b32 v1, v5, v1, vcc_lo :: v_dual_cndmask_b32 v7, v11, v7, vcc_lo
	s_delay_alu instid0(VALU_DEP_2) | instskip(NEXT) | instid1(VALU_DEP_2)
	v_and_b32_e32 v3, 0x80000000, v3
	v_lshlrev_b32_e32 v1, 20, v1
	s_delay_alu instid0(VALU_DEP_3) | instskip(NEXT) | instid1(VALU_DEP_1)
	v_lshl_add_u32 v5, v7, 23, 0x3b800000
	v_or3_b32 v1, v3, v5, v1
.LBB79_1199:
	s_or_b32 exec_lo, exec_lo, s13
.LBB79_1200:
	s_mov_b32 s12, -1
.LBB79_1201:
	s_branch .LBB79_1233
.LBB79_1202:
	s_cmp_gt_i32 s1, 22
	s_cbranch_scc0 .LBB79_1212
; %bb.1203:
	s_cmp_lt_i32 s1, 24
	s_cbranch_scc1 .LBB79_1215
; %bb.1204:
	s_cmp_gt_i32 s1, 24
	s_cbranch_scc0 .LBB79_1216
; %bb.1205:
	global_load_u8 v3, v[14:15], off
	s_mov_b32 s12, exec_lo
	s_wait_loadcnt 0x0
	v_cmpx_lt_i16_e32 0x7f, v3
	s_xor_b32 s12, exec_lo, s12
	s_cbranch_execz .LBB79_1227
; %bb.1206:
	s_mov_b32 s11, -1
	s_mov_b32 s13, exec_lo
	v_cmpx_eq_u16_e32 0x80, v3
; %bb.1207:
	s_xor_b32 s11, exec_lo, -1
; %bb.1208:
	s_or_b32 exec_lo, exec_lo, s13
	s_delay_alu instid0(SALU_CYCLE_1)
	s_and_b32 s11, s11, exec_lo
	s_or_saveexec_b32 s12, s12
	v_mov_b32_e32 v1, 0x7f800001
	s_xor_b32 exec_lo, exec_lo, s12
	s_cbranch_execnz .LBB79_1228
.LBB79_1209:
	s_or_b32 exec_lo, exec_lo, s12
	s_and_saveexec_b32 s12, s11
	s_cbranch_execz .LBB79_1211
.LBB79_1210:
	v_and_b32_e32 v1, 0xffff, v3
	s_delay_alu instid0(VALU_DEP_1) | instskip(SKIP_1) | instid1(VALU_DEP_2)
	v_and_b32_e32 v5, 3, v1
	v_bfe_u32 v11, v1, 2, 5
	v_clz_i32_u32_e32 v7, v5
	s_delay_alu instid0(VALU_DEP_2) | instskip(NEXT) | instid1(VALU_DEP_2)
	v_cmp_eq_u32_e32 vcc_lo, 0, v11
	v_min_u32_e32 v7, 32, v7
	s_delay_alu instid0(VALU_DEP_1) | instskip(NEXT) | instid1(VALU_DEP_1)
	v_subrev_nc_u32_e32 v9, 29, v7
	v_dual_lshlrev_b32 v1, v9, v1 :: v_dual_sub_nc_u32 v7, 30, v7
	s_delay_alu instid0(VALU_DEP_1) | instskip(NEXT) | instid1(VALU_DEP_1)
	v_dual_lshlrev_b32 v3, 24, v3 :: v_dual_bitop2_b32 v1, 3, v1 bitop3:0x40
	v_dual_cndmask_b32 v1, v5, v1, vcc_lo :: v_dual_cndmask_b32 v7, v11, v7, vcc_lo
	s_delay_alu instid0(VALU_DEP_2) | instskip(NEXT) | instid1(VALU_DEP_2)
	v_and_b32_e32 v3, 0x80000000, v3
	v_lshlrev_b32_e32 v1, 21, v1
	s_delay_alu instid0(VALU_DEP_3) | instskip(NEXT) | instid1(VALU_DEP_1)
	v_lshl_add_u32 v5, v7, 23, 0x37800000
	v_or3_b32 v1, v3, v5, v1
.LBB79_1211:
	s_or_b32 exec_lo, exec_lo, s12
	s_mov_b32 s11, 0
	s_branch .LBB79_1217
.LBB79_1212:
                                        ; implicit-def: $vgpr1
	s_mov_b32 s11, 0
	s_branch .LBB79_1223
.LBB79_1213:
	s_or_saveexec_b32 s13, s13
	v_mov_b32_e32 v1, 0x7f800001
	s_xor_b32 exec_lo, exec_lo, s13
	s_cbranch_execz .LBB79_1197
.LBB79_1214:
	v_cmp_ne_u16_e32 vcc_lo, 0, v3
	v_mov_b32_e32 v1, 0
	s_and_not1_b32 s12, s12, exec_lo
	s_and_b32 s14, vcc_lo, exec_lo
	s_delay_alu instid0(SALU_CYCLE_1)
	s_or_b32 s12, s12, s14
	s_or_b32 exec_lo, exec_lo, s13
	s_and_saveexec_b32 s13, s12
	s_cbranch_execnz .LBB79_1198
	s_branch .LBB79_1199
.LBB79_1215:
	s_mov_b32 s11, -1
                                        ; implicit-def: $vgpr1
	s_branch .LBB79_1220
.LBB79_1216:
	s_mov_b32 s11, -1
                                        ; implicit-def: $vgpr1
.LBB79_1217:
	s_delay_alu instid0(SALU_CYCLE_1)
	s_and_b32 vcc_lo, exec_lo, s11
	s_cbranch_vccz .LBB79_1219
; %bb.1218:
	global_load_u8 v1, v[14:15], off
	s_wait_loadcnt 0x0
	v_lshlrev_b32_e32 v1, 24, v1
	s_delay_alu instid0(VALU_DEP_1) | instskip(NEXT) | instid1(VALU_DEP_1)
	v_and_b32_e32 v3, 0x7f000000, v1
	v_clz_i32_u32_e32 v5, v3
	v_add_nc_u32_e32 v9, 0x1000000, v3
	v_cmp_ne_u32_e32 vcc_lo, 0, v3
	s_delay_alu instid0(VALU_DEP_3) | instskip(NEXT) | instid1(VALU_DEP_1)
	v_min_u32_e32 v5, 32, v5
	v_sub_nc_u32_e64 v5, v5, 4 clamp
	s_delay_alu instid0(VALU_DEP_1) | instskip(NEXT) | instid1(VALU_DEP_1)
	v_dual_lshlrev_b32 v7, v5, v3 :: v_dual_lshlrev_b32 v5, 23, v5
	v_lshrrev_b32_e32 v7, 4, v7
	s_delay_alu instid0(VALU_DEP_1) | instskip(SKIP_1) | instid1(VALU_DEP_2)
	v_sub_nc_u32_e32 v5, v7, v5
	v_ashrrev_i32_e32 v7, 8, v9
	v_add_nc_u32_e32 v5, 0x3c000000, v5
	s_delay_alu instid0(VALU_DEP_1) | instskip(NEXT) | instid1(VALU_DEP_1)
	v_and_or_b32 v5, 0x7f800000, v7, v5
	v_cndmask_b32_e32 v3, 0, v5, vcc_lo
	s_delay_alu instid0(VALU_DEP_1)
	v_and_or_b32 v1, 0x80000000, v1, v3
.LBB79_1219:
	s_mov_b32 s11, 0
.LBB79_1220:
	s_delay_alu instid0(SALU_CYCLE_1)
	s_and_not1_b32 vcc_lo, exec_lo, s11
	s_cbranch_vccnz .LBB79_1222
; %bb.1221:
	global_load_u8 v1, v[14:15], off
	s_wait_loadcnt 0x0
	v_lshlrev_b32_e32 v3, 25, v1
	v_lshlrev_b16 v1, 8, v1
	s_delay_alu instid0(VALU_DEP_1) | instskip(SKIP_1) | instid1(VALU_DEP_2)
	v_and_or_b32 v7, 0x7f00, v1, 0.5
	v_bfe_i32 v1, v1, 0, 16
	v_add_f32_e32 v7, -0.5, v7
	v_lshrrev_b32_e32 v5, 4, v3
	v_cmp_gt_u32_e32 vcc_lo, 0x8000000, v3
	s_delay_alu instid0(VALU_DEP_2) | instskip(NEXT) | instid1(VALU_DEP_1)
	v_or_b32_e32 v5, 0x70000000, v5
	v_mul_f32_e32 v5, 0x7800000, v5
	s_delay_alu instid0(VALU_DEP_1) | instskip(NEXT) | instid1(VALU_DEP_1)
	v_cndmask_b32_e32 v3, v5, v7, vcc_lo
	v_and_or_b32 v1, 0x80000000, v1, v3
.LBB79_1222:
	s_mov_b32 s12, -1
	s_mov_b32 s11, 0
	s_cbranch_execnz .LBB79_1233
.LBB79_1223:
	s_cmp_gt_i32 s1, 14
	s_cbranch_scc0 .LBB79_1226
; %bb.1224:
	s_cmp_eq_u32 s1, 15
	s_cbranch_scc0 .LBB79_1229
; %bb.1225:
	global_load_u16 v1, v[14:15], off
	s_mov_b32 s10, 0
	s_mov_b32 s12, -1
	s_wait_loadcnt 0x0
	v_lshlrev_b32_e32 v1, 16, v1
	s_branch .LBB79_1231
.LBB79_1226:
	s_mov_b32 s11, -1
	s_branch .LBB79_1230
.LBB79_1227:
	s_or_saveexec_b32 s12, s12
	v_mov_b32_e32 v1, 0x7f800001
	s_xor_b32 exec_lo, exec_lo, s12
	s_cbranch_execz .LBB79_1209
.LBB79_1228:
	v_cmp_ne_u16_e32 vcc_lo, 0, v3
	v_mov_b32_e32 v1, 0
	s_and_not1_b32 s11, s11, exec_lo
	s_and_b32 s13, vcc_lo, exec_lo
	s_delay_alu instid0(SALU_CYCLE_1)
	s_or_b32 s11, s11, s13
	s_or_b32 exec_lo, exec_lo, s12
	s_and_saveexec_b32 s12, s11
	s_cbranch_execnz .LBB79_1210
	s_branch .LBB79_1211
.LBB79_1229:
	s_mov_b32 s10, -1
.LBB79_1230:
                                        ; implicit-def: $vgpr1
.LBB79_1231:
	s_and_b32 vcc_lo, exec_lo, s11
	s_mov_b32 s11, 0
	s_cbranch_vccz .LBB79_1233
; %bb.1232:
	s_cmp_lg_u32 s1, 11
	s_mov_b32 s11, -1
	s_cselect_b32 s10, -1, 0
.LBB79_1233:
	s_delay_alu instid0(SALU_CYCLE_1)
	s_and_b32 vcc_lo, exec_lo, s10
	s_mov_b32 s10, s8
	s_cbranch_vccnz .LBB79_1294
; %bb.1234:
	s_and_not1_b32 vcc_lo, exec_lo, s11
	s_cbranch_vccnz .LBB79_1236
.LBB79_1235:
	global_load_u8 v1, v[14:15], off
	s_mov_b32 s12, -1
	s_wait_loadcnt 0x0
	v_cmp_ne_u16_e32 vcc_lo, 0, v1
	v_cndmask_b32_e64 v1, 0, 1.0, vcc_lo
.LBB79_1236:
	s_branch .LBB79_1165
.LBB79_1237:
	s_and_b32 s1, 0xffff, s0
	s_delay_alu instid0(SALU_CYCLE_1)
	s_cmp_lt_i32 s1, 5
	s_cbranch_scc1 .LBB79_1242
; %bb.1238:
	s_cmp_lt_i32 s1, 8
	s_cbranch_scc1 .LBB79_1243
; %bb.1239:
	;; [unrolled: 3-line block ×3, first 2 shown]
	s_cmp_gt_i32 s1, 9
	s_cbranch_scc0 .LBB79_1245
; %bb.1241:
	global_load_b64 v[16:17], v[14:15], off
	s_mov_b32 s11, 0
	s_wait_loadcnt 0x0
	v_cvt_f32_f64_e32 v1, v[16:17]
	s_branch .LBB79_1246
.LBB79_1242:
                                        ; implicit-def: $vgpr1
	s_branch .LBB79_1263
.LBB79_1243:
                                        ; implicit-def: $vgpr1
	s_branch .LBB79_1252
.LBB79_1244:
	s_mov_b32 s11, -1
                                        ; implicit-def: $vgpr1
	s_branch .LBB79_1249
.LBB79_1245:
	s_mov_b32 s11, -1
                                        ; implicit-def: $vgpr1
.LBB79_1246:
	s_delay_alu instid0(SALU_CYCLE_1)
	s_and_not1_b32 vcc_lo, exec_lo, s11
	s_cbranch_vccnz .LBB79_1248
; %bb.1247:
	global_load_b32 v1, v[14:15], off
.LBB79_1248:
	s_mov_b32 s11, 0
.LBB79_1249:
	s_delay_alu instid0(SALU_CYCLE_1)
	s_and_not1_b32 vcc_lo, exec_lo, s11
	s_cbranch_vccnz .LBB79_1251
; %bb.1250:
	s_wait_loadcnt 0x0
	global_load_b32 v1, v[14:15], off
	s_wait_loadcnt 0x0
	v_cvt_f32_f16_e32 v1, v1
.LBB79_1251:
	s_cbranch_execnz .LBB79_1262
.LBB79_1252:
	s_cmp_lt_i32 s1, 6
	s_cbranch_scc1 .LBB79_1255
; %bb.1253:
	s_cmp_gt_i32 s1, 6
	s_cbranch_scc0 .LBB79_1256
; %bb.1254:
	global_load_b64 v[16:17], v[14:15], off
	s_mov_b32 s11, 0
	s_wait_loadcnt 0x0
	v_cvt_f32_f64_e32 v1, v[16:17]
	s_branch .LBB79_1257
.LBB79_1255:
	s_mov_b32 s11, -1
                                        ; implicit-def: $vgpr1
	s_branch .LBB79_1260
.LBB79_1256:
	s_mov_b32 s11, -1
                                        ; implicit-def: $vgpr1
.LBB79_1257:
	s_delay_alu instid0(SALU_CYCLE_1)
	s_and_not1_b32 vcc_lo, exec_lo, s11
	s_cbranch_vccnz .LBB79_1259
; %bb.1258:
	s_wait_loadcnt 0x0
	global_load_b32 v1, v[14:15], off
.LBB79_1259:
	s_mov_b32 s11, 0
.LBB79_1260:
	s_delay_alu instid0(SALU_CYCLE_1)
	s_and_not1_b32 vcc_lo, exec_lo, s11
	s_cbranch_vccnz .LBB79_1262
; %bb.1261:
	s_wait_loadcnt 0x0
	global_load_u16 v1, v[14:15], off
	s_wait_loadcnt 0x0
	v_cvt_f32_f16_e32 v1, v1
.LBB79_1262:
	s_cbranch_execnz .LBB79_1281
.LBB79_1263:
	s_cmp_lt_i32 s1, 2
	s_cbranch_scc1 .LBB79_1267
; %bb.1264:
	s_cmp_lt_i32 s1, 3
	s_cbranch_scc1 .LBB79_1268
; %bb.1265:
	s_cmp_gt_i32 s1, 3
	s_cbranch_scc0 .LBB79_1269
; %bb.1266:
	global_load_b64 v[16:17], v[14:15], off
	s_mov_b32 s11, 0
	s_wait_loadcnt 0x0
	v_xor_b32_e32 v1, v16, v17
	v_cls_i32_e32 v3, v17
	s_delay_alu instid0(VALU_DEP_2) | instskip(NEXT) | instid1(VALU_DEP_1)
	v_ashrrev_i32_e32 v1, 31, v1
	v_add_nc_u32_e32 v1, 32, v1
	s_delay_alu instid0(VALU_DEP_1) | instskip(NEXT) | instid1(VALU_DEP_1)
	v_add_min_u32_e64 v1, v3, -1, v1
	v_lshlrev_b64_e32 v[16:17], v1, v[16:17]
	v_sub_nc_u32_e32 v1, 32, v1
	s_delay_alu instid0(VALU_DEP_2) | instskip(NEXT) | instid1(VALU_DEP_1)
	v_min_u32_e32 v3, 1, v16
	v_or_b32_e32 v3, v17, v3
	s_delay_alu instid0(VALU_DEP_1) | instskip(NEXT) | instid1(VALU_DEP_1)
	v_cvt_f32_i32_e32 v3, v3
	v_ldexp_f32 v1, v3, v1
	s_branch .LBB79_1270
.LBB79_1267:
                                        ; implicit-def: $vgpr1
	s_branch .LBB79_1276
.LBB79_1268:
	s_mov_b32 s11, -1
                                        ; implicit-def: $vgpr1
	s_branch .LBB79_1273
.LBB79_1269:
	s_mov_b32 s11, -1
                                        ; implicit-def: $vgpr1
.LBB79_1270:
	s_delay_alu instid0(SALU_CYCLE_1)
	s_and_not1_b32 vcc_lo, exec_lo, s11
	s_cbranch_vccnz .LBB79_1272
; %bb.1271:
	s_wait_loadcnt 0x0
	global_load_b32 v1, v[14:15], off
	s_wait_loadcnt 0x0
	v_cvt_f32_i32_e32 v1, v1
.LBB79_1272:
	s_mov_b32 s11, 0
.LBB79_1273:
	s_delay_alu instid0(SALU_CYCLE_1)
	s_and_not1_b32 vcc_lo, exec_lo, s11
	s_cbranch_vccnz .LBB79_1275
; %bb.1274:
	s_wait_loadcnt 0x0
	global_load_i16 v1, v[14:15], off
	s_wait_loadcnt 0x0
	v_cvt_f32_i32_e32 v1, v1
.LBB79_1275:
	s_cbranch_execnz .LBB79_1281
.LBB79_1276:
	s_cmp_gt_i32 s1, 0
	s_mov_b32 s1, 0
	s_cbranch_scc0 .LBB79_1278
; %bb.1277:
	s_wait_loadcnt 0x0
	global_load_i8 v1, v[14:15], off
	s_wait_loadcnt 0x0
	v_cvt_f32_i32_e32 v1, v1
	s_branch .LBB79_1279
.LBB79_1278:
	s_mov_b32 s1, -1
                                        ; implicit-def: $vgpr1
.LBB79_1279:
	s_delay_alu instid0(SALU_CYCLE_1)
	s_and_not1_b32 vcc_lo, exec_lo, s1
	s_cbranch_vccnz .LBB79_1281
; %bb.1280:
	s_wait_loadcnt 0x0
	global_load_u8 v1, v[14:15], off
	s_wait_loadcnt 0x0
	v_cvt_f32_ubyte0_e32 v1, v1
.LBB79_1281:
.LBB79_1282:
	v_mov_b32_e32 v13, 0
	s_and_b32 s0, 0xffff, s0
	s_delay_alu instid0(SALU_CYCLE_1) | instskip(NEXT) | instid1(VALU_DEP_1)
	s_cmp_lt_i32 s0, 11
	v_add_nc_u64_e32 v[12:13], s[6:7], v[12:13]
	s_cbranch_scc1 .LBB79_1289
; %bb.1283:
	s_cmp_gt_i32 s0, 25
	s_mov_b32 s11, 0
	s_cbranch_scc0 .LBB79_1291
; %bb.1284:
	s_cmp_gt_i32 s0, 28
	s_cbranch_scc0 .LBB79_1292
; %bb.1285:
	s_cmp_gt_i32 s0, 43
	s_cbranch_scc0 .LBB79_1293
; %bb.1286:
	s_cmp_gt_i32 s0, 45
	s_cbranch_scc0 .LBB79_1295
; %bb.1287:
	s_cmp_eq_u32 s0, 46
	s_mov_b32 s13, 0
	s_cbranch_scc0 .LBB79_1298
; %bb.1288:
	global_load_b32 v3, v[12:13], off
	s_mov_b32 s1, 0
	s_mov_b32 s12, -1
	s_wait_loadcnt 0x0
	v_lshlrev_b32_e32 v3, 16, v3
	s_branch .LBB79_1300
.LBB79_1289:
	s_mov_b32 s12, 0
                                        ; implicit-def: $vgpr3
	s_cbranch_execnz .LBB79_1365
.LBB79_1290:
	s_and_not1_b32 vcc_lo, exec_lo, s12
	s_cbranch_vccnz .LBB79_2106
	s_branch .LBB79_1412
.LBB79_1291:
	s_mov_b32 s12, 0
	s_mov_b32 s1, 0
                                        ; implicit-def: $vgpr3
	s_cbranch_execnz .LBB79_1329
	s_branch .LBB79_1361
.LBB79_1292:
	s_mov_b32 s13, -1
	s_mov_b32 s12, 0
	s_mov_b32 s1, 0
                                        ; implicit-def: $vgpr3
	s_branch .LBB79_1310
.LBB79_1293:
	s_mov_b32 s13, -1
	s_mov_b32 s12, 0
	s_mov_b32 s1, 0
                                        ; implicit-def: $vgpr3
	s_branch .LBB79_1305
.LBB79_1294:
	s_or_b32 s10, s8, exec_lo
	s_trap 2
	s_cbranch_execz .LBB79_1235
	s_branch .LBB79_1236
.LBB79_1295:
	s_mov_b32 s13, -1
	s_mov_b32 s12, 0
	s_mov_b32 s1, 0
	s_branch .LBB79_1299
.LBB79_1296:
	s_and_not1_saveexec_b32 s11, s11
	s_cbranch_execz .LBB79_1021
.LBB79_1297:
	v_add_f32_e32 v2, 0x42800000, v3
	s_and_not1_b32 s10, s10, exec_lo
	s_delay_alu instid0(VALU_DEP_1) | instskip(NEXT) | instid1(VALU_DEP_1)
	v_and_b32_e32 v2, 0xff, v2
	v_cmp_ne_u32_e32 vcc_lo, 0, v2
	s_and_b32 s12, vcc_lo, exec_lo
	s_delay_alu instid0(SALU_CYCLE_1)
	s_or_b32 s10, s10, s12
	s_or_b32 exec_lo, exec_lo, s11
	v_mov_b32_e32 v4, 0
	s_and_saveexec_b32 s11, s10
	s_cbranch_execnz .LBB79_1022
	s_branch .LBB79_1023
.LBB79_1298:
	s_mov_b32 s1, -1
	s_mov_b32 s12, 0
.LBB79_1299:
                                        ; implicit-def: $vgpr3
.LBB79_1300:
	s_and_b32 vcc_lo, exec_lo, s13
	s_cbranch_vccz .LBB79_1304
; %bb.1301:
	s_cmp_eq_u32 s0, 44
	s_cbranch_scc0 .LBB79_1303
; %bb.1302:
	global_load_u8 v3, v[12:13], off
	s_mov_b32 s1, 0
	s_mov_b32 s12, -1
	s_wait_loadcnt 0x0
	v_lshlrev_b32_e32 v5, 23, v3
	v_cmp_ne_u32_e32 vcc_lo, 0xff, v3
	s_delay_alu instid0(VALU_DEP_2) | instskip(SKIP_1) | instid1(VALU_DEP_2)
	v_cndmask_b32_e32 v5, 0x7f800001, v5, vcc_lo
	v_cmp_ne_u32_e32 vcc_lo, 0, v3
	v_cndmask_b32_e32 v3, 0x400000, v5, vcc_lo
	s_branch .LBB79_1304
.LBB79_1303:
	s_mov_b32 s1, -1
                                        ; implicit-def: $vgpr3
.LBB79_1304:
	s_mov_b32 s13, 0
.LBB79_1305:
	s_delay_alu instid0(SALU_CYCLE_1)
	s_and_b32 vcc_lo, exec_lo, s13
	s_cbranch_vccz .LBB79_1309
; %bb.1306:
	s_cmp_eq_u32 s0, 29
	s_cbranch_scc0 .LBB79_1308
; %bb.1307:
	global_load_b64 v[14:15], v[12:13], off
	s_mov_b32 s1, 0
	s_mov_b32 s12, -1
	s_mov_b32 s13, 0
	s_wait_loadcnt 0x0
	v_clz_i32_u32_e32 v3, v15
	s_delay_alu instid0(VALU_DEP_1) | instskip(NEXT) | instid1(VALU_DEP_1)
	v_min_u32_e32 v3, 32, v3
	v_lshlrev_b64_e32 v[14:15], v3, v[14:15]
	v_sub_nc_u32_e32 v3, 32, v3
	s_delay_alu instid0(VALU_DEP_2) | instskip(NEXT) | instid1(VALU_DEP_1)
	v_min_u32_e32 v5, 1, v14
	v_or_b32_e32 v5, v15, v5
	s_delay_alu instid0(VALU_DEP_1) | instskip(NEXT) | instid1(VALU_DEP_1)
	v_cvt_f32_u32_e32 v5, v5
	v_ldexp_f32 v3, v5, v3
	s_branch .LBB79_1310
.LBB79_1308:
	s_mov_b32 s1, -1
                                        ; implicit-def: $vgpr3
.LBB79_1309:
	s_mov_b32 s13, 0
.LBB79_1310:
	s_delay_alu instid0(SALU_CYCLE_1)
	s_and_b32 vcc_lo, exec_lo, s13
	s_cbranch_vccz .LBB79_1328
; %bb.1311:
	s_cmp_lt_i32 s0, 27
	s_cbranch_scc1 .LBB79_1314
; %bb.1312:
	s_cmp_gt_i32 s0, 27
	s_cbranch_scc0 .LBB79_1315
; %bb.1313:
	global_load_b32 v3, v[12:13], off
	s_mov_b32 s12, 0
	s_wait_loadcnt 0x0
	v_cvt_f32_u32_e32 v3, v3
	s_branch .LBB79_1316
.LBB79_1314:
	s_mov_b32 s12, -1
                                        ; implicit-def: $vgpr3
	s_branch .LBB79_1319
.LBB79_1315:
	s_mov_b32 s12, -1
                                        ; implicit-def: $vgpr3
.LBB79_1316:
	s_delay_alu instid0(SALU_CYCLE_1)
	s_and_not1_b32 vcc_lo, exec_lo, s12
	s_cbranch_vccnz .LBB79_1318
; %bb.1317:
	global_load_u16 v3, v[12:13], off
	s_wait_loadcnt 0x0
	v_cvt_f32_u32_e32 v3, v3
.LBB79_1318:
	s_mov_b32 s12, 0
.LBB79_1319:
	s_delay_alu instid0(SALU_CYCLE_1)
	s_and_not1_b32 vcc_lo, exec_lo, s12
	s_cbranch_vccnz .LBB79_1327
; %bb.1320:
	global_load_u8 v5, v[12:13], off
	s_mov_b32 s12, 0
	s_mov_b32 s13, exec_lo
	s_wait_loadcnt 0x0
	v_cmpx_lt_i16_e32 0x7f, v5
	s_xor_b32 s13, exec_lo, s13
	s_cbranch_execz .LBB79_1340
; %bb.1321:
	s_mov_b32 s12, -1
	s_mov_b32 s14, exec_lo
	v_cmpx_eq_u16_e32 0x80, v5
; %bb.1322:
	s_xor_b32 s12, exec_lo, -1
; %bb.1323:
	s_or_b32 exec_lo, exec_lo, s14
	s_delay_alu instid0(SALU_CYCLE_1)
	s_and_b32 s12, s12, exec_lo
	s_or_saveexec_b32 s13, s13
	v_mov_b32_e32 v3, 0x7f800001
	s_xor_b32 exec_lo, exec_lo, s13
	s_cbranch_execnz .LBB79_1341
.LBB79_1324:
	s_or_b32 exec_lo, exec_lo, s13
	s_and_saveexec_b32 s13, s12
	s_cbranch_execz .LBB79_1326
.LBB79_1325:
	v_and_b32_e32 v3, 0xffff, v5
	s_delay_alu instid0(VALU_DEP_1) | instskip(SKIP_1) | instid1(VALU_DEP_2)
	v_and_b32_e32 v7, 7, v3
	v_bfe_u32 v14, v3, 3, 4
	v_clz_i32_u32_e32 v9, v7
	s_delay_alu instid0(VALU_DEP_2) | instskip(NEXT) | instid1(VALU_DEP_2)
	v_cmp_eq_u32_e32 vcc_lo, 0, v14
	v_min_u32_e32 v9, 32, v9
	s_delay_alu instid0(VALU_DEP_1) | instskip(NEXT) | instid1(VALU_DEP_1)
	v_subrev_nc_u32_e32 v11, 28, v9
	v_dual_lshlrev_b32 v3, v11, v3 :: v_dual_sub_nc_u32 v9, 29, v9
	s_delay_alu instid0(VALU_DEP_1) | instskip(NEXT) | instid1(VALU_DEP_1)
	v_dual_lshlrev_b32 v5, 24, v5 :: v_dual_bitop2_b32 v3, 7, v3 bitop3:0x40
	v_dual_cndmask_b32 v3, v7, v3, vcc_lo :: v_dual_cndmask_b32 v9, v14, v9, vcc_lo
	s_delay_alu instid0(VALU_DEP_2) | instskip(NEXT) | instid1(VALU_DEP_2)
	v_and_b32_e32 v5, 0x80000000, v5
	v_lshlrev_b32_e32 v3, 20, v3
	s_delay_alu instid0(VALU_DEP_3) | instskip(NEXT) | instid1(VALU_DEP_1)
	v_lshl_add_u32 v7, v9, 23, 0x3b800000
	v_or3_b32 v3, v5, v7, v3
.LBB79_1326:
	s_or_b32 exec_lo, exec_lo, s13
.LBB79_1327:
	s_mov_b32 s12, -1
.LBB79_1328:
	s_branch .LBB79_1361
.LBB79_1329:
	s_cmp_gt_i32 s0, 22
	s_cbranch_scc0 .LBB79_1339
; %bb.1330:
	s_cmp_lt_i32 s0, 24
	s_cbranch_scc1 .LBB79_1342
; %bb.1331:
	s_cmp_gt_i32 s0, 24
	s_cbranch_scc0 .LBB79_1343
; %bb.1332:
	global_load_u8 v5, v[12:13], off
	s_mov_b32 s12, exec_lo
	s_wait_loadcnt 0x0
	v_cmpx_lt_i16_e32 0x7f, v5
	s_xor_b32 s12, exec_lo, s12
	s_cbranch_execz .LBB79_1355
; %bb.1333:
	s_mov_b32 s11, -1
	s_mov_b32 s13, exec_lo
	v_cmpx_eq_u16_e32 0x80, v5
; %bb.1334:
	s_xor_b32 s11, exec_lo, -1
; %bb.1335:
	s_or_b32 exec_lo, exec_lo, s13
	s_delay_alu instid0(SALU_CYCLE_1)
	s_and_b32 s11, s11, exec_lo
	s_or_saveexec_b32 s12, s12
	v_mov_b32_e32 v3, 0x7f800001
	s_xor_b32 exec_lo, exec_lo, s12
	s_cbranch_execnz .LBB79_1356
.LBB79_1336:
	s_or_b32 exec_lo, exec_lo, s12
	s_and_saveexec_b32 s12, s11
	s_cbranch_execz .LBB79_1338
.LBB79_1337:
	v_and_b32_e32 v3, 0xffff, v5
	s_delay_alu instid0(VALU_DEP_1) | instskip(SKIP_1) | instid1(VALU_DEP_2)
	v_and_b32_e32 v7, 3, v3
	v_bfe_u32 v14, v3, 2, 5
	v_clz_i32_u32_e32 v9, v7
	s_delay_alu instid0(VALU_DEP_2) | instskip(NEXT) | instid1(VALU_DEP_2)
	v_cmp_eq_u32_e32 vcc_lo, 0, v14
	v_min_u32_e32 v9, 32, v9
	s_delay_alu instid0(VALU_DEP_1) | instskip(NEXT) | instid1(VALU_DEP_1)
	v_subrev_nc_u32_e32 v11, 29, v9
	v_dual_lshlrev_b32 v3, v11, v3 :: v_dual_sub_nc_u32 v9, 30, v9
	s_delay_alu instid0(VALU_DEP_1) | instskip(NEXT) | instid1(VALU_DEP_1)
	v_dual_lshlrev_b32 v5, 24, v5 :: v_dual_bitop2_b32 v3, 3, v3 bitop3:0x40
	v_dual_cndmask_b32 v3, v7, v3, vcc_lo :: v_dual_cndmask_b32 v9, v14, v9, vcc_lo
	s_delay_alu instid0(VALU_DEP_2) | instskip(NEXT) | instid1(VALU_DEP_2)
	v_and_b32_e32 v5, 0x80000000, v5
	v_lshlrev_b32_e32 v3, 21, v3
	s_delay_alu instid0(VALU_DEP_3) | instskip(NEXT) | instid1(VALU_DEP_1)
	v_lshl_add_u32 v7, v9, 23, 0x37800000
	v_or3_b32 v3, v5, v7, v3
.LBB79_1338:
	s_or_b32 exec_lo, exec_lo, s12
	s_mov_b32 s11, 0
	s_branch .LBB79_1344
.LBB79_1339:
	s_mov_b32 s11, -1
                                        ; implicit-def: $vgpr3
	s_branch .LBB79_1350
.LBB79_1340:
	s_or_saveexec_b32 s13, s13
	v_mov_b32_e32 v3, 0x7f800001
	s_xor_b32 exec_lo, exec_lo, s13
	s_cbranch_execz .LBB79_1324
.LBB79_1341:
	v_cmp_ne_u16_e32 vcc_lo, 0, v5
	v_mov_b32_e32 v3, 0
	s_and_not1_b32 s12, s12, exec_lo
	s_and_b32 s14, vcc_lo, exec_lo
	s_delay_alu instid0(SALU_CYCLE_1)
	s_or_b32 s12, s12, s14
	s_or_b32 exec_lo, exec_lo, s13
	s_and_saveexec_b32 s13, s12
	s_cbranch_execnz .LBB79_1325
	s_branch .LBB79_1326
.LBB79_1342:
	s_mov_b32 s11, -1
                                        ; implicit-def: $vgpr3
	s_branch .LBB79_1347
.LBB79_1343:
	s_mov_b32 s11, -1
                                        ; implicit-def: $vgpr3
.LBB79_1344:
	s_delay_alu instid0(SALU_CYCLE_1)
	s_and_b32 vcc_lo, exec_lo, s11
	s_cbranch_vccz .LBB79_1346
; %bb.1345:
	global_load_u8 v3, v[12:13], off
	s_wait_loadcnt 0x0
	v_lshlrev_b32_e32 v3, 24, v3
	s_delay_alu instid0(VALU_DEP_1) | instskip(NEXT) | instid1(VALU_DEP_1)
	v_and_b32_e32 v5, 0x7f000000, v3
	v_clz_i32_u32_e32 v7, v5
	v_add_nc_u32_e32 v11, 0x1000000, v5
	v_cmp_ne_u32_e32 vcc_lo, 0, v5
	s_delay_alu instid0(VALU_DEP_3) | instskip(NEXT) | instid1(VALU_DEP_1)
	v_min_u32_e32 v7, 32, v7
	v_sub_nc_u32_e64 v7, v7, 4 clamp
	s_delay_alu instid0(VALU_DEP_1) | instskip(NEXT) | instid1(VALU_DEP_1)
	v_dual_lshlrev_b32 v9, v7, v5 :: v_dual_lshlrev_b32 v7, 23, v7
	v_lshrrev_b32_e32 v9, 4, v9
	s_delay_alu instid0(VALU_DEP_1) | instskip(SKIP_1) | instid1(VALU_DEP_2)
	v_sub_nc_u32_e32 v7, v9, v7
	v_ashrrev_i32_e32 v9, 8, v11
	v_add_nc_u32_e32 v7, 0x3c000000, v7
	s_delay_alu instid0(VALU_DEP_1) | instskip(NEXT) | instid1(VALU_DEP_1)
	v_and_or_b32 v7, 0x7f800000, v9, v7
	v_cndmask_b32_e32 v5, 0, v7, vcc_lo
	s_delay_alu instid0(VALU_DEP_1)
	v_and_or_b32 v3, 0x80000000, v3, v5
.LBB79_1346:
	s_mov_b32 s11, 0
.LBB79_1347:
	s_delay_alu instid0(SALU_CYCLE_1)
	s_and_not1_b32 vcc_lo, exec_lo, s11
	s_cbranch_vccnz .LBB79_1349
; %bb.1348:
	global_load_u8 v3, v[12:13], off
	s_wait_loadcnt 0x0
	v_lshlrev_b32_e32 v5, 25, v3
	v_lshlrev_b16 v3, 8, v3
	s_delay_alu instid0(VALU_DEP_1) | instskip(SKIP_1) | instid1(VALU_DEP_2)
	v_and_or_b32 v9, 0x7f00, v3, 0.5
	v_bfe_i32 v3, v3, 0, 16
	v_add_f32_e32 v9, -0.5, v9
	v_lshrrev_b32_e32 v7, 4, v5
	v_cmp_gt_u32_e32 vcc_lo, 0x8000000, v5
	s_delay_alu instid0(VALU_DEP_2) | instskip(NEXT) | instid1(VALU_DEP_1)
	v_or_b32_e32 v7, 0x70000000, v7
	v_mul_f32_e32 v7, 0x7800000, v7
	s_delay_alu instid0(VALU_DEP_1) | instskip(NEXT) | instid1(VALU_DEP_1)
	v_cndmask_b32_e32 v5, v7, v9, vcc_lo
	v_and_or_b32 v3, 0x80000000, v3, v5
.LBB79_1349:
	s_mov_b32 s11, 0
	s_mov_b32 s12, -1
.LBB79_1350:
	s_and_not1_b32 vcc_lo, exec_lo, s11
	s_mov_b32 s11, 0
	s_cbranch_vccnz .LBB79_1361
; %bb.1351:
	s_cmp_gt_i32 s0, 14
	s_cbranch_scc0 .LBB79_1354
; %bb.1352:
	s_cmp_eq_u32 s0, 15
	s_cbranch_scc0 .LBB79_1357
; %bb.1353:
	global_load_u16 v3, v[12:13], off
	s_mov_b32 s1, 0
	s_mov_b32 s12, -1
	s_wait_loadcnt 0x0
	v_lshlrev_b32_e32 v3, 16, v3
	s_branch .LBB79_1359
.LBB79_1354:
	s_mov_b32 s11, -1
	s_branch .LBB79_1358
.LBB79_1355:
	s_or_saveexec_b32 s12, s12
	v_mov_b32_e32 v3, 0x7f800001
	s_xor_b32 exec_lo, exec_lo, s12
	s_cbranch_execz .LBB79_1336
.LBB79_1356:
	v_cmp_ne_u16_e32 vcc_lo, 0, v5
	v_mov_b32_e32 v3, 0
	s_and_not1_b32 s11, s11, exec_lo
	s_and_b32 s13, vcc_lo, exec_lo
	s_delay_alu instid0(SALU_CYCLE_1)
	s_or_b32 s11, s11, s13
	s_or_b32 exec_lo, exec_lo, s12
	s_and_saveexec_b32 s12, s11
	s_cbranch_execnz .LBB79_1337
	s_branch .LBB79_1338
.LBB79_1357:
	s_mov_b32 s1, -1
.LBB79_1358:
                                        ; implicit-def: $vgpr3
.LBB79_1359:
	s_and_b32 vcc_lo, exec_lo, s11
	s_mov_b32 s11, 0
	s_cbranch_vccz .LBB79_1361
; %bb.1360:
	s_cmp_lg_u32 s0, 11
	s_mov_b32 s11, -1
	s_cselect_b32 s1, -1, 0
.LBB79_1361:
	s_delay_alu instid0(SALU_CYCLE_1)
	s_and_b32 vcc_lo, exec_lo, s1
	s_cbranch_vccnz .LBB79_1424
; %bb.1362:
	s_and_not1_b32 vcc_lo, exec_lo, s11
	s_cbranch_vccnz .LBB79_1364
.LBB79_1363:
	global_load_u8 v3, v[12:13], off
	s_mov_b32 s12, -1
	s_wait_loadcnt 0x0
	v_cmp_ne_u16_e32 vcc_lo, 0, v3
	v_cndmask_b32_e64 v3, 0, 1.0, vcc_lo
.LBB79_1364:
	s_branch .LBB79_1290
.LBB79_1365:
	s_cmp_lt_i32 s0, 5
	s_cbranch_scc1 .LBB79_1370
; %bb.1366:
	s_cmp_lt_i32 s0, 8
	s_cbranch_scc1 .LBB79_1371
; %bb.1367:
	;; [unrolled: 3-line block ×3, first 2 shown]
	s_cmp_gt_i32 s0, 9
	s_cbranch_scc0 .LBB79_1373
; %bb.1369:
	global_load_b64 v[14:15], v[12:13], off
	s_mov_b32 s1, 0
	s_wait_loadcnt 0x0
	v_cvt_f32_f64_e32 v3, v[14:15]
	s_branch .LBB79_1374
.LBB79_1370:
                                        ; implicit-def: $vgpr3
	s_branch .LBB79_1392
.LBB79_1371:
	s_mov_b32 s1, -1
                                        ; implicit-def: $vgpr3
	s_branch .LBB79_1380
.LBB79_1372:
	s_mov_b32 s1, -1
                                        ; implicit-def: $vgpr3
	s_branch .LBB79_1377
.LBB79_1373:
	s_mov_b32 s1, -1
                                        ; implicit-def: $vgpr3
.LBB79_1374:
	s_delay_alu instid0(SALU_CYCLE_1)
	s_and_not1_b32 vcc_lo, exec_lo, s1
	s_cbranch_vccnz .LBB79_1376
; %bb.1375:
	global_load_b32 v3, v[12:13], off
.LBB79_1376:
	s_mov_b32 s1, 0
.LBB79_1377:
	s_delay_alu instid0(SALU_CYCLE_1)
	s_and_not1_b32 vcc_lo, exec_lo, s1
	s_cbranch_vccnz .LBB79_1379
; %bb.1378:
	s_wait_loadcnt 0x0
	global_load_b32 v3, v[12:13], off
	s_wait_loadcnt 0x0
	v_cvt_f32_f16_e32 v3, v3
.LBB79_1379:
	s_mov_b32 s1, 0
.LBB79_1380:
	s_delay_alu instid0(SALU_CYCLE_1)
	s_and_not1_b32 vcc_lo, exec_lo, s1
	s_cbranch_vccnz .LBB79_1391
; %bb.1381:
	s_cmp_lt_i32 s0, 6
	s_cbranch_scc1 .LBB79_1384
; %bb.1382:
	s_cmp_gt_i32 s0, 6
	s_cbranch_scc0 .LBB79_1385
; %bb.1383:
	global_load_b64 v[14:15], v[12:13], off
	s_mov_b32 s1, 0
	s_wait_loadcnt 0x0
	v_cvt_f32_f64_e32 v3, v[14:15]
	s_branch .LBB79_1386
.LBB79_1384:
	s_mov_b32 s1, -1
                                        ; implicit-def: $vgpr3
	s_branch .LBB79_1389
.LBB79_1385:
	s_mov_b32 s1, -1
                                        ; implicit-def: $vgpr3
.LBB79_1386:
	s_delay_alu instid0(SALU_CYCLE_1)
	s_and_not1_b32 vcc_lo, exec_lo, s1
	s_cbranch_vccnz .LBB79_1388
; %bb.1387:
	s_wait_loadcnt 0x0
	global_load_b32 v3, v[12:13], off
.LBB79_1388:
	s_mov_b32 s1, 0
.LBB79_1389:
	s_delay_alu instid0(SALU_CYCLE_1)
	s_and_not1_b32 vcc_lo, exec_lo, s1
	s_cbranch_vccnz .LBB79_1391
; %bb.1390:
	s_wait_loadcnt 0x0
	global_load_u16 v3, v[12:13], off
	s_wait_loadcnt 0x0
	v_cvt_f32_f16_e32 v3, v3
.LBB79_1391:
	s_cbranch_execnz .LBB79_1411
.LBB79_1392:
	s_cmp_lt_i32 s0, 2
	s_cbranch_scc1 .LBB79_1396
; %bb.1393:
	s_cmp_lt_i32 s0, 3
	s_cbranch_scc1 .LBB79_1397
; %bb.1394:
	s_cmp_gt_i32 s0, 3
	s_cbranch_scc0 .LBB79_1398
; %bb.1395:
	global_load_b64 v[14:15], v[12:13], off
	s_mov_b32 s1, 0
	s_wait_loadcnt 0x0
	v_xor_b32_e32 v3, v14, v15
	v_cls_i32_e32 v5, v15
	s_delay_alu instid0(VALU_DEP_2) | instskip(NEXT) | instid1(VALU_DEP_1)
	v_ashrrev_i32_e32 v3, 31, v3
	v_add_nc_u32_e32 v3, 32, v3
	s_delay_alu instid0(VALU_DEP_1) | instskip(NEXT) | instid1(VALU_DEP_1)
	v_add_min_u32_e64 v3, v5, -1, v3
	v_lshlrev_b64_e32 v[14:15], v3, v[14:15]
	v_sub_nc_u32_e32 v3, 32, v3
	s_delay_alu instid0(VALU_DEP_2) | instskip(NEXT) | instid1(VALU_DEP_1)
	v_min_u32_e32 v5, 1, v14
	v_or_b32_e32 v5, v15, v5
	s_delay_alu instid0(VALU_DEP_1) | instskip(NEXT) | instid1(VALU_DEP_1)
	v_cvt_f32_i32_e32 v5, v5
	v_ldexp_f32 v3, v5, v3
	s_branch .LBB79_1399
.LBB79_1396:
	s_mov_b32 s1, -1
                                        ; implicit-def: $vgpr3
	s_branch .LBB79_1405
.LBB79_1397:
	s_mov_b32 s1, -1
                                        ; implicit-def: $vgpr3
	s_branch .LBB79_1402
.LBB79_1398:
	s_mov_b32 s1, -1
                                        ; implicit-def: $vgpr3
.LBB79_1399:
	s_delay_alu instid0(SALU_CYCLE_1)
	s_and_not1_b32 vcc_lo, exec_lo, s1
	s_cbranch_vccnz .LBB79_1401
; %bb.1400:
	s_wait_loadcnt 0x0
	global_load_b32 v3, v[12:13], off
	s_wait_loadcnt 0x0
	v_cvt_f32_i32_e32 v3, v3
.LBB79_1401:
	s_mov_b32 s1, 0
.LBB79_1402:
	s_delay_alu instid0(SALU_CYCLE_1)
	s_and_not1_b32 vcc_lo, exec_lo, s1
	s_cbranch_vccnz .LBB79_1404
; %bb.1403:
	s_wait_loadcnt 0x0
	global_load_i16 v3, v[12:13], off
	s_wait_loadcnt 0x0
	v_cvt_f32_i32_e32 v3, v3
.LBB79_1404:
	s_mov_b32 s1, 0
.LBB79_1405:
	s_delay_alu instid0(SALU_CYCLE_1)
	s_and_not1_b32 vcc_lo, exec_lo, s1
	s_cbranch_vccnz .LBB79_1411
; %bb.1406:
	s_cmp_gt_i32 s0, 0
	s_mov_b32 s1, 0
	s_cbranch_scc0 .LBB79_1408
; %bb.1407:
	s_wait_loadcnt 0x0
	global_load_i8 v3, v[12:13], off
	s_wait_loadcnt 0x0
	v_cvt_f32_i32_e32 v3, v3
	s_branch .LBB79_1409
.LBB79_1408:
	s_mov_b32 s1, -1
                                        ; implicit-def: $vgpr3
.LBB79_1409:
	s_delay_alu instid0(SALU_CYCLE_1)
	s_and_not1_b32 vcc_lo, exec_lo, s1
	s_cbranch_vccnz .LBB79_1411
; %bb.1410:
	s_wait_loadcnt 0x0
	global_load_u8 v3, v[12:13], off
	s_wait_loadcnt 0x0
	v_cvt_f32_ubyte0_e32 v3, v3
.LBB79_1411:
.LBB79_1412:
	v_mov_b32_e32 v11, 0
	s_cmp_lt_i32 s0, 11
	s_delay_alu instid0(VALU_DEP_1)
	v_add_nc_u64_e32 v[10:11], s[6:7], v[10:11]
	s_cbranch_scc1 .LBB79_1419
; %bb.1413:
	s_cmp_gt_i32 s0, 25
	s_mov_b32 s11, 0
	s_cbranch_scc0 .LBB79_1421
; %bb.1414:
	s_cmp_gt_i32 s0, 28
	s_cbranch_scc0 .LBB79_1422
; %bb.1415:
	s_cmp_gt_i32 s0, 43
	;; [unrolled: 3-line block ×3, first 2 shown]
	s_cbranch_scc0 .LBB79_1425
; %bb.1417:
	s_cmp_eq_u32 s0, 46
	s_mov_b32 s13, 0
	s_cbranch_scc0 .LBB79_1426
; %bb.1418:
	global_load_b32 v5, v[10:11], off
	s_mov_b32 s1, 0
	s_mov_b32 s12, -1
	s_wait_loadcnt 0x0
	s_wait_xcnt 0x1
	v_lshlrev_b32_e32 v12, 16, v5
	s_branch .LBB79_1428
.LBB79_1419:
	s_mov_b32 s12, 0
                                        ; implicit-def: $vgpr12
	s_cbranch_execnz .LBB79_1494
.LBB79_1420:
	s_and_not1_b32 vcc_lo, exec_lo, s12
	s_cbranch_vccnz .LBB79_2106
	s_branch .LBB79_1542
.LBB79_1421:
	s_mov_b32 s13, -1
	s_mov_b32 s12, 0
	s_mov_b32 s1, 0
                                        ; implicit-def: $vgpr12
	s_branch .LBB79_1457
.LBB79_1422:
	s_mov_b32 s13, -1
	s_mov_b32 s12, 0
	s_mov_b32 s1, 0
                                        ; implicit-def: $vgpr12
	s_branch .LBB79_1438
.LBB79_1423:
	s_mov_b32 s13, -1
	s_mov_b32 s12, 0
	s_mov_b32 s1, 0
                                        ; implicit-def: $vgpr12
	s_branch .LBB79_1433
.LBB79_1424:
	s_or_b32 s10, s10, exec_lo
	s_trap 2
	s_cbranch_execz .LBB79_1363
	s_branch .LBB79_1364
.LBB79_1425:
	s_mov_b32 s13, -1
	s_mov_b32 s12, 0
	s_mov_b32 s1, 0
	s_branch .LBB79_1427
.LBB79_1426:
	s_mov_b32 s1, -1
	s_mov_b32 s12, 0
.LBB79_1427:
                                        ; implicit-def: $vgpr12
.LBB79_1428:
	s_and_b32 vcc_lo, exec_lo, s13
	s_cbranch_vccz .LBB79_1432
; %bb.1429:
	s_cmp_eq_u32 s0, 44
	s_cbranch_scc0 .LBB79_1431
; %bb.1430:
	global_load_u8 v5, v[10:11], off
	s_mov_b32 s1, 0
	s_mov_b32 s12, -1
	s_wait_loadcnt 0x0
	v_lshlrev_b32_e32 v7, 23, v5
	v_cmp_ne_u32_e32 vcc_lo, 0xff, v5
	s_delay_alu instid0(VALU_DEP_2) | instskip(SKIP_2) | instid1(VALU_DEP_2)
	v_cndmask_b32_e32 v7, 0x7f800001, v7, vcc_lo
	v_cmp_ne_u32_e32 vcc_lo, 0, v5
	s_wait_xcnt 0x1
	v_cndmask_b32_e32 v12, 0x400000, v7, vcc_lo
	s_branch .LBB79_1432
.LBB79_1431:
	s_mov_b32 s1, -1
                                        ; implicit-def: $vgpr12
.LBB79_1432:
	s_mov_b32 s13, 0
.LBB79_1433:
	s_delay_alu instid0(SALU_CYCLE_1)
	s_and_b32 vcc_lo, exec_lo, s13
	s_cbranch_vccz .LBB79_1437
; %bb.1434:
	s_cmp_eq_u32 s0, 29
	s_cbranch_scc0 .LBB79_1436
; %bb.1435:
	global_load_b64 v[12:13], v[10:11], off
	s_mov_b32 s1, 0
	s_mov_b32 s12, -1
	s_mov_b32 s13, 0
	s_wait_loadcnt 0x0
	v_clz_i32_u32_e32 v5, v13
	s_delay_alu instid0(VALU_DEP_1) | instskip(NEXT) | instid1(VALU_DEP_1)
	v_min_u32_e32 v5, 32, v5
	v_lshlrev_b64_e32 v[12:13], v5, v[12:13]
	v_sub_nc_u32_e32 v5, 32, v5
	s_delay_alu instid0(VALU_DEP_2) | instskip(NEXT) | instid1(VALU_DEP_1)
	v_min_u32_e32 v7, 1, v12
	v_or_b32_e32 v7, v13, v7
	s_delay_alu instid0(VALU_DEP_1) | instskip(NEXT) | instid1(VALU_DEP_1)
	v_cvt_f32_u32_e32 v7, v7
	v_ldexp_f32 v12, v7, v5
	s_branch .LBB79_1438
.LBB79_1436:
	s_mov_b32 s1, -1
                                        ; implicit-def: $vgpr12
.LBB79_1437:
	s_mov_b32 s13, 0
.LBB79_1438:
	s_delay_alu instid0(SALU_CYCLE_1)
	s_and_b32 vcc_lo, exec_lo, s13
	s_cbranch_vccz .LBB79_1456
; %bb.1439:
	s_cmp_lt_i32 s0, 27
	s_cbranch_scc1 .LBB79_1442
; %bb.1440:
	s_cmp_gt_i32 s0, 27
	s_cbranch_scc0 .LBB79_1443
; %bb.1441:
	global_load_b32 v5, v[10:11], off
	s_mov_b32 s12, 0
	s_wait_loadcnt 0x0
	s_wait_xcnt 0x1
	v_cvt_f32_u32_e32 v12, v5
	s_branch .LBB79_1444
.LBB79_1442:
	s_mov_b32 s12, -1
                                        ; implicit-def: $vgpr12
	s_branch .LBB79_1447
.LBB79_1443:
	s_mov_b32 s12, -1
                                        ; implicit-def: $vgpr12
.LBB79_1444:
	s_delay_alu instid0(SALU_CYCLE_1)
	s_and_not1_b32 vcc_lo, exec_lo, s12
	s_cbranch_vccnz .LBB79_1446
; %bb.1445:
	global_load_u16 v5, v[10:11], off
	s_wait_loadcnt 0x0
	s_wait_xcnt 0x1
	v_cvt_f32_u32_e32 v12, v5
.LBB79_1446:
	s_mov_b32 s12, 0
.LBB79_1447:
	s_delay_alu instid0(SALU_CYCLE_1)
	s_and_not1_b32 vcc_lo, exec_lo, s12
	s_cbranch_vccnz .LBB79_1455
; %bb.1448:
	global_load_u8 v5, v[10:11], off
	s_mov_b32 s12, 0
	s_mov_b32 s13, exec_lo
	s_wait_loadcnt 0x0
	v_cmpx_lt_i16_e32 0x7f, v5
	s_xor_b32 s13, exec_lo, s13
	s_cbranch_execz .LBB79_1469
; %bb.1449:
	s_mov_b32 s12, -1
	s_mov_b32 s14, exec_lo
	v_cmpx_eq_u16_e32 0x80, v5
; %bb.1450:
	s_xor_b32 s12, exec_lo, -1
; %bb.1451:
	s_or_b32 exec_lo, exec_lo, s14
	s_delay_alu instid0(SALU_CYCLE_1)
	s_and_b32 s12, s12, exec_lo
	s_or_saveexec_b32 s13, s13
	v_mov_b32_e32 v12, 0x7f800001
	s_xor_b32 exec_lo, exec_lo, s13
	s_cbranch_execnz .LBB79_1470
.LBB79_1452:
	s_or_b32 exec_lo, exec_lo, s13
	s_and_saveexec_b32 s13, s12
	s_cbranch_execz .LBB79_1454
.LBB79_1453:
	v_and_b32_e32 v7, 0xffff, v5
	s_delay_alu instid0(VALU_DEP_1) | instskip(SKIP_1) | instid1(VALU_DEP_2)
	v_and_b32_e32 v9, 7, v7
	v_bfe_u32 v14, v7, 3, 4
	v_clz_i32_u32_e32 v12, v9
	s_delay_alu instid0(VALU_DEP_2) | instskip(NEXT) | instid1(VALU_DEP_2)
	v_cmp_eq_u32_e32 vcc_lo, 0, v14
	v_min_u32_e32 v12, 32, v12
	s_delay_alu instid0(VALU_DEP_1) | instskip(NEXT) | instid1(VALU_DEP_1)
	v_subrev_nc_u32_e32 v13, 28, v12
	v_dual_lshlrev_b32 v7, v13, v7 :: v_dual_sub_nc_u32 v12, 29, v12
	s_delay_alu instid0(VALU_DEP_1) | instskip(NEXT) | instid1(VALU_DEP_1)
	v_dual_lshlrev_b32 v5, 24, v5 :: v_dual_bitop2_b32 v7, 7, v7 bitop3:0x40
	v_dual_cndmask_b32 v12, v14, v12 :: v_dual_cndmask_b32 v7, v9, v7
	s_delay_alu instid0(VALU_DEP_2) | instskip(NEXT) | instid1(VALU_DEP_2)
	v_and_b32_e32 v5, 0x80000000, v5
	v_lshl_add_u32 v9, v12, 23, 0x3b800000
	s_delay_alu instid0(VALU_DEP_3) | instskip(NEXT) | instid1(VALU_DEP_1)
	v_lshlrev_b32_e32 v7, 20, v7
	v_or3_b32 v12, v5, v9, v7
.LBB79_1454:
	s_or_b32 exec_lo, exec_lo, s13
.LBB79_1455:
	s_mov_b32 s12, -1
.LBB79_1456:
	s_mov_b32 s13, 0
.LBB79_1457:
	s_delay_alu instid0(SALU_CYCLE_1)
	s_and_b32 vcc_lo, exec_lo, s13
	s_cbranch_vccz .LBB79_1490
; %bb.1458:
	s_cmp_gt_i32 s0, 22
	s_cbranch_scc0 .LBB79_1468
; %bb.1459:
	s_cmp_lt_i32 s0, 24
	s_cbranch_scc1 .LBB79_1471
; %bb.1460:
	s_cmp_gt_i32 s0, 24
	s_cbranch_scc0 .LBB79_1472
; %bb.1461:
	global_load_u8 v5, v[10:11], off
	s_mov_b32 s12, exec_lo
	s_wait_loadcnt 0x0
	v_cmpx_lt_i16_e32 0x7f, v5
	s_xor_b32 s12, exec_lo, s12
	s_cbranch_execz .LBB79_1484
; %bb.1462:
	s_mov_b32 s11, -1
	s_mov_b32 s13, exec_lo
	v_cmpx_eq_u16_e32 0x80, v5
; %bb.1463:
	s_xor_b32 s11, exec_lo, -1
; %bb.1464:
	s_or_b32 exec_lo, exec_lo, s13
	s_delay_alu instid0(SALU_CYCLE_1)
	s_and_b32 s11, s11, exec_lo
	s_or_saveexec_b32 s12, s12
	v_mov_b32_e32 v12, 0x7f800001
	s_xor_b32 exec_lo, exec_lo, s12
	s_cbranch_execnz .LBB79_1485
.LBB79_1465:
	s_or_b32 exec_lo, exec_lo, s12
	s_and_saveexec_b32 s12, s11
	s_cbranch_execz .LBB79_1467
.LBB79_1466:
	v_and_b32_e32 v7, 0xffff, v5
	s_delay_alu instid0(VALU_DEP_1) | instskip(SKIP_1) | instid1(VALU_DEP_2)
	v_and_b32_e32 v9, 3, v7
	v_bfe_u32 v14, v7, 2, 5
	v_clz_i32_u32_e32 v12, v9
	s_delay_alu instid0(VALU_DEP_2) | instskip(NEXT) | instid1(VALU_DEP_2)
	v_cmp_eq_u32_e32 vcc_lo, 0, v14
	v_min_u32_e32 v12, 32, v12
	s_delay_alu instid0(VALU_DEP_1) | instskip(NEXT) | instid1(VALU_DEP_1)
	v_subrev_nc_u32_e32 v13, 29, v12
	v_dual_lshlrev_b32 v7, v13, v7 :: v_dual_sub_nc_u32 v12, 30, v12
	s_delay_alu instid0(VALU_DEP_1) | instskip(NEXT) | instid1(VALU_DEP_1)
	v_dual_lshlrev_b32 v5, 24, v5 :: v_dual_bitop2_b32 v7, 3, v7 bitop3:0x40
	v_dual_cndmask_b32 v12, v14, v12 :: v_dual_cndmask_b32 v7, v9, v7
	s_delay_alu instid0(VALU_DEP_2) | instskip(NEXT) | instid1(VALU_DEP_2)
	v_and_b32_e32 v5, 0x80000000, v5
	v_lshl_add_u32 v9, v12, 23, 0x37800000
	s_delay_alu instid0(VALU_DEP_3) | instskip(NEXT) | instid1(VALU_DEP_1)
	v_lshlrev_b32_e32 v7, 21, v7
	v_or3_b32 v12, v5, v9, v7
.LBB79_1467:
	s_or_b32 exec_lo, exec_lo, s12
	s_mov_b32 s11, 0
	s_branch .LBB79_1473
.LBB79_1468:
	s_mov_b32 s11, -1
                                        ; implicit-def: $vgpr12
	s_branch .LBB79_1479
.LBB79_1469:
	s_or_saveexec_b32 s13, s13
	v_mov_b32_e32 v12, 0x7f800001
	s_xor_b32 exec_lo, exec_lo, s13
	s_cbranch_execz .LBB79_1452
.LBB79_1470:
	v_cmp_ne_u16_e32 vcc_lo, 0, v5
	v_mov_b32_e32 v12, 0
	s_and_not1_b32 s12, s12, exec_lo
	s_and_b32 s14, vcc_lo, exec_lo
	s_delay_alu instid0(SALU_CYCLE_1)
	s_or_b32 s12, s12, s14
	s_or_b32 exec_lo, exec_lo, s13
	s_and_saveexec_b32 s13, s12
	s_cbranch_execnz .LBB79_1453
	s_branch .LBB79_1454
.LBB79_1471:
	s_mov_b32 s11, -1
                                        ; implicit-def: $vgpr12
	s_branch .LBB79_1476
.LBB79_1472:
	s_mov_b32 s11, -1
                                        ; implicit-def: $vgpr12
.LBB79_1473:
	s_delay_alu instid0(SALU_CYCLE_1)
	s_and_b32 vcc_lo, exec_lo, s11
	s_cbranch_vccz .LBB79_1475
; %bb.1474:
	global_load_u8 v5, v[10:11], off
	s_wait_loadcnt 0x0
	v_lshlrev_b32_e32 v5, 24, v5
	s_delay_alu instid0(VALU_DEP_1) | instskip(NEXT) | instid1(VALU_DEP_1)
	v_and_b32_e32 v7, 0x7f000000, v5
	v_clz_i32_u32_e32 v9, v7
	s_wait_xcnt 0x1
	v_add_nc_u32_e32 v13, 0x1000000, v7
	v_cmp_ne_u32_e32 vcc_lo, 0, v7
	s_delay_alu instid0(VALU_DEP_3) | instskip(NEXT) | instid1(VALU_DEP_1)
	v_min_u32_e32 v9, 32, v9
	v_sub_nc_u32_e64 v9, v9, 4 clamp
	s_delay_alu instid0(VALU_DEP_1) | instskip(NEXT) | instid1(VALU_DEP_1)
	v_dual_lshlrev_b32 v12, v9, v7 :: v_dual_lshlrev_b32 v9, 23, v9
	v_lshrrev_b32_e32 v12, 4, v12
	s_delay_alu instid0(VALU_DEP_1) | instskip(SKIP_1) | instid1(VALU_DEP_2)
	v_sub_nc_u32_e32 v9, v12, v9
	v_ashrrev_i32_e32 v12, 8, v13
	v_add_nc_u32_e32 v9, 0x3c000000, v9
	s_delay_alu instid0(VALU_DEP_1) | instskip(NEXT) | instid1(VALU_DEP_1)
	v_and_or_b32 v9, 0x7f800000, v12, v9
	v_cndmask_b32_e32 v7, 0, v9, vcc_lo
	s_delay_alu instid0(VALU_DEP_1)
	v_and_or_b32 v12, 0x80000000, v5, v7
.LBB79_1475:
	s_mov_b32 s11, 0
.LBB79_1476:
	s_delay_alu instid0(SALU_CYCLE_1)
	s_and_not1_b32 vcc_lo, exec_lo, s11
	s_cbranch_vccnz .LBB79_1478
; %bb.1477:
	global_load_u8 v5, v[10:11], off
	s_wait_loadcnt 0x0
	v_lshlrev_b32_e32 v7, 25, v5
	v_lshlrev_b16 v5, 8, v5
	s_wait_xcnt 0x1
	s_delay_alu instid0(VALU_DEP_1) | instskip(SKIP_1) | instid1(VALU_DEP_2)
	v_and_or_b32 v12, 0x7f00, v5, 0.5
	v_bfe_i32 v5, v5, 0, 16
	v_dual_add_f32 v12, -0.5, v12 :: v_dual_lshrrev_b32 v9, 4, v7
	v_cmp_gt_u32_e32 vcc_lo, 0x8000000, v7
	s_delay_alu instid0(VALU_DEP_2) | instskip(NEXT) | instid1(VALU_DEP_1)
	v_or_b32_e32 v9, 0x70000000, v9
	v_mul_f32_e32 v9, 0x7800000, v9
	s_delay_alu instid0(VALU_DEP_1) | instskip(NEXT) | instid1(VALU_DEP_1)
	v_cndmask_b32_e32 v7, v9, v12, vcc_lo
	v_and_or_b32 v12, 0x80000000, v5, v7
.LBB79_1478:
	s_mov_b32 s11, 0
	s_mov_b32 s12, -1
.LBB79_1479:
	s_and_not1_b32 vcc_lo, exec_lo, s11
	s_mov_b32 s11, 0
	s_cbranch_vccnz .LBB79_1490
; %bb.1480:
	s_cmp_gt_i32 s0, 14
	s_cbranch_scc0 .LBB79_1483
; %bb.1481:
	s_cmp_eq_u32 s0, 15
	s_cbranch_scc0 .LBB79_1486
; %bb.1482:
	global_load_u16 v5, v[10:11], off
	s_mov_b32 s1, 0
	s_mov_b32 s12, -1
	s_wait_loadcnt 0x0
	s_wait_xcnt 0x1
	v_lshlrev_b32_e32 v12, 16, v5
	s_branch .LBB79_1488
.LBB79_1483:
	s_mov_b32 s11, -1
	s_branch .LBB79_1487
.LBB79_1484:
	s_or_saveexec_b32 s12, s12
	v_mov_b32_e32 v12, 0x7f800001
	s_xor_b32 exec_lo, exec_lo, s12
	s_cbranch_execz .LBB79_1465
.LBB79_1485:
	v_cmp_ne_u16_e32 vcc_lo, 0, v5
	v_mov_b32_e32 v12, 0
	s_and_not1_b32 s11, s11, exec_lo
	s_and_b32 s13, vcc_lo, exec_lo
	s_delay_alu instid0(SALU_CYCLE_1)
	s_or_b32 s11, s11, s13
	s_or_b32 exec_lo, exec_lo, s12
	s_and_saveexec_b32 s12, s11
	s_cbranch_execnz .LBB79_1466
	s_branch .LBB79_1467
.LBB79_1486:
	s_mov_b32 s1, -1
.LBB79_1487:
                                        ; implicit-def: $vgpr12
.LBB79_1488:
	s_and_b32 vcc_lo, exec_lo, s11
	s_mov_b32 s11, 0
	s_cbranch_vccz .LBB79_1490
; %bb.1489:
	s_cmp_lg_u32 s0, 11
	s_mov_b32 s11, -1
	s_cselect_b32 s1, -1, 0
.LBB79_1490:
	s_delay_alu instid0(SALU_CYCLE_1)
	s_and_b32 vcc_lo, exec_lo, s1
	s_cbranch_vccnz .LBB79_1553
; %bb.1491:
	s_and_not1_b32 vcc_lo, exec_lo, s11
	s_cbranch_vccnz .LBB79_1493
.LBB79_1492:
	global_load_u8 v5, v[10:11], off
	s_mov_b32 s12, -1
	s_wait_loadcnt 0x0
	v_cmp_ne_u16_e32 vcc_lo, 0, v5
	s_wait_xcnt 0x1
	v_cndmask_b32_e64 v12, 0, 1.0, vcc_lo
.LBB79_1493:
	s_branch .LBB79_1420
.LBB79_1494:
	s_cmp_lt_i32 s0, 5
	s_cbranch_scc1 .LBB79_1499
; %bb.1495:
	s_cmp_lt_i32 s0, 8
	s_cbranch_scc1 .LBB79_1500
; %bb.1496:
	;; [unrolled: 3-line block ×3, first 2 shown]
	s_cmp_gt_i32 s0, 9
	s_cbranch_scc0 .LBB79_1502
; %bb.1498:
	global_load_b64 v[12:13], v[10:11], off
	s_mov_b32 s1, 0
	s_wait_loadcnt 0x0
	v_cvt_f32_f64_e32 v12, v[12:13]
	s_branch .LBB79_1503
.LBB79_1499:
	s_mov_b32 s1, -1
                                        ; implicit-def: $vgpr12
	s_branch .LBB79_1521
.LBB79_1500:
	s_mov_b32 s1, -1
                                        ; implicit-def: $vgpr12
	s_branch .LBB79_1509
.LBB79_1501:
	s_mov_b32 s1, -1
                                        ; implicit-def: $vgpr12
	s_branch .LBB79_1506
.LBB79_1502:
	s_mov_b32 s1, -1
                                        ; implicit-def: $vgpr12
.LBB79_1503:
	s_delay_alu instid0(SALU_CYCLE_1)
	s_and_not1_b32 vcc_lo, exec_lo, s1
	s_cbranch_vccnz .LBB79_1505
; %bb.1504:
	global_load_b32 v12, v[10:11], off
.LBB79_1505:
	s_mov_b32 s1, 0
.LBB79_1506:
	s_delay_alu instid0(SALU_CYCLE_1)
	s_and_not1_b32 vcc_lo, exec_lo, s1
	s_cbranch_vccnz .LBB79_1508
; %bb.1507:
	global_load_b32 v5, v[10:11], off
	s_wait_loadcnt 0x0
	s_wait_xcnt 0x1
	v_cvt_f32_f16_e32 v12, v5
.LBB79_1508:
	s_mov_b32 s1, 0
.LBB79_1509:
	s_delay_alu instid0(SALU_CYCLE_1)
	s_and_not1_b32 vcc_lo, exec_lo, s1
	s_cbranch_vccnz .LBB79_1520
; %bb.1510:
	s_cmp_lt_i32 s0, 6
	s_cbranch_scc1 .LBB79_1513
; %bb.1511:
	s_cmp_gt_i32 s0, 6
	s_cbranch_scc0 .LBB79_1514
; %bb.1512:
	s_wait_loadcnt 0x0
	global_load_b64 v[12:13], v[10:11], off
	s_mov_b32 s1, 0
	s_wait_loadcnt 0x0
	v_cvt_f32_f64_e32 v12, v[12:13]
	s_branch .LBB79_1515
.LBB79_1513:
	s_mov_b32 s1, -1
                                        ; implicit-def: $vgpr12
	s_branch .LBB79_1518
.LBB79_1514:
	s_mov_b32 s1, -1
                                        ; implicit-def: $vgpr12
.LBB79_1515:
	s_delay_alu instid0(SALU_CYCLE_1)
	s_and_not1_b32 vcc_lo, exec_lo, s1
	s_cbranch_vccnz .LBB79_1517
; %bb.1516:
	s_wait_loadcnt 0x0
	global_load_b32 v12, v[10:11], off
.LBB79_1517:
	s_mov_b32 s1, 0
.LBB79_1518:
	s_delay_alu instid0(SALU_CYCLE_1)
	s_and_not1_b32 vcc_lo, exec_lo, s1
	s_cbranch_vccnz .LBB79_1520
; %bb.1519:
	global_load_u16 v5, v[10:11], off
	s_wait_loadcnt 0x0
	s_wait_xcnt 0x1
	v_cvt_f32_f16_e32 v12, v5
.LBB79_1520:
	s_mov_b32 s1, 0
.LBB79_1521:
	s_delay_alu instid0(SALU_CYCLE_1)
	s_and_not1_b32 vcc_lo, exec_lo, s1
	s_cbranch_vccnz .LBB79_1541
; %bb.1522:
	s_cmp_lt_i32 s0, 2
	s_cbranch_scc1 .LBB79_1526
; %bb.1523:
	s_cmp_lt_i32 s0, 3
	s_cbranch_scc1 .LBB79_1527
; %bb.1524:
	s_cmp_gt_i32 s0, 3
	s_cbranch_scc0 .LBB79_1528
; %bb.1525:
	s_wait_loadcnt 0x0
	global_load_b64 v[12:13], v[10:11], off
	s_mov_b32 s1, 0
	s_wait_loadcnt 0x0
	v_xor_b32_e32 v5, v12, v13
	v_cls_i32_e32 v7, v13
	s_delay_alu instid0(VALU_DEP_2) | instskip(NEXT) | instid1(VALU_DEP_1)
	v_ashrrev_i32_e32 v5, 31, v5
	v_add_nc_u32_e32 v5, 32, v5
	s_delay_alu instid0(VALU_DEP_1) | instskip(NEXT) | instid1(VALU_DEP_1)
	v_add_min_u32_e64 v5, v7, -1, v5
	v_lshlrev_b64_e32 v[12:13], v5, v[12:13]
	v_sub_nc_u32_e32 v5, 32, v5
	s_delay_alu instid0(VALU_DEP_2) | instskip(NEXT) | instid1(VALU_DEP_1)
	v_min_u32_e32 v7, 1, v12
	v_or_b32_e32 v7, v13, v7
	s_delay_alu instid0(VALU_DEP_1) | instskip(NEXT) | instid1(VALU_DEP_1)
	v_cvt_f32_i32_e32 v7, v7
	v_ldexp_f32 v12, v7, v5
	s_branch .LBB79_1529
.LBB79_1526:
	s_mov_b32 s1, -1
                                        ; implicit-def: $vgpr12
	s_branch .LBB79_1535
.LBB79_1527:
	s_mov_b32 s1, -1
                                        ; implicit-def: $vgpr12
	s_branch .LBB79_1532
.LBB79_1528:
	s_mov_b32 s1, -1
                                        ; implicit-def: $vgpr12
.LBB79_1529:
	s_delay_alu instid0(SALU_CYCLE_1)
	s_and_not1_b32 vcc_lo, exec_lo, s1
	s_cbranch_vccnz .LBB79_1531
; %bb.1530:
	global_load_b32 v5, v[10:11], off
	s_wait_loadcnt 0x0
	s_wait_xcnt 0x1
	v_cvt_f32_i32_e32 v12, v5
.LBB79_1531:
	s_mov_b32 s1, 0
.LBB79_1532:
	s_delay_alu instid0(SALU_CYCLE_1)
	s_and_not1_b32 vcc_lo, exec_lo, s1
	s_cbranch_vccnz .LBB79_1534
; %bb.1533:
	global_load_i16 v5, v[10:11], off
	s_wait_loadcnt 0x0
	s_wait_xcnt 0x1
	v_cvt_f32_i32_e32 v12, v5
.LBB79_1534:
	s_mov_b32 s1, 0
.LBB79_1535:
	s_delay_alu instid0(SALU_CYCLE_1)
	s_and_not1_b32 vcc_lo, exec_lo, s1
	s_cbranch_vccnz .LBB79_1541
; %bb.1536:
	s_cmp_gt_i32 s0, 0
	s_mov_b32 s1, 0
	s_cbranch_scc0 .LBB79_1538
; %bb.1537:
	global_load_i8 v5, v[10:11], off
	s_wait_loadcnt 0x0
	s_wait_xcnt 0x1
	v_cvt_f32_i32_e32 v12, v5
	s_branch .LBB79_1539
.LBB79_1538:
	s_mov_b32 s1, -1
                                        ; implicit-def: $vgpr12
.LBB79_1539:
	s_delay_alu instid0(SALU_CYCLE_1)
	s_and_not1_b32 vcc_lo, exec_lo, s1
	s_cbranch_vccnz .LBB79_1541
; %bb.1540:
	global_load_u8 v5, v[10:11], off
	s_wait_loadcnt 0x0
	s_wait_xcnt 0x1
	v_cvt_f32_ubyte0_e32 v12, v5
.LBB79_1541:
.LBB79_1542:
	v_mov_b32_e32 v9, 0
	s_cmp_lt_i32 s0, 11
	s_delay_alu instid0(VALU_DEP_1)
	v_add_nc_u64_e32 v[8:9], s[6:7], v[8:9]
	s_cbranch_scc1 .LBB79_1549
; %bb.1543:
	s_cmp_gt_i32 s0, 25
	s_mov_b32 s6, 0
	s_cbranch_scc0 .LBB79_1550
; %bb.1544:
	s_cmp_gt_i32 s0, 28
	s_cbranch_scc0 .LBB79_1551
; %bb.1545:
	s_cmp_gt_i32 s0, 43
	;; [unrolled: 3-line block ×3, first 2 shown]
	s_cbranch_scc0 .LBB79_1554
; %bb.1547:
	s_cmp_eq_u32 s0, 46
	s_mov_b32 s11, 0
	s_cbranch_scc0 .LBB79_1555
; %bb.1548:
	global_load_b32 v5, v[8:9], off
	s_mov_b32 s1, 0
	s_mov_b32 s7, -1
	s_wait_loadcnt 0x0
	s_wait_xcnt 0x1
	v_lshlrev_b32_e32 v10, 16, v5
	s_branch .LBB79_1557
.LBB79_1549:
	s_mov_b32 s1, -1
	s_mov_b32 s7, 0
                                        ; implicit-def: $vgpr10
	s_branch .LBB79_1623
.LBB79_1550:
	s_mov_b32 s11, -1
	s_mov_b32 s7, 0
	s_mov_b32 s1, 0
                                        ; implicit-def: $vgpr10
	s_branch .LBB79_1586
.LBB79_1551:
	s_mov_b32 s11, -1
	s_mov_b32 s7, 0
	s_mov_b32 s1, 0
                                        ; implicit-def: $vgpr10
	s_branch .LBB79_1567
.LBB79_1552:
	s_mov_b32 s11, -1
	s_mov_b32 s7, 0
	s_mov_b32 s1, 0
                                        ; implicit-def: $vgpr10
	s_branch .LBB79_1562
.LBB79_1553:
	s_or_b32 s10, s10, exec_lo
	s_trap 2
	s_cbranch_execz .LBB79_1492
	s_branch .LBB79_1493
.LBB79_1554:
	s_mov_b32 s11, -1
	s_mov_b32 s7, 0
	s_mov_b32 s1, 0
	s_branch .LBB79_1556
.LBB79_1555:
	s_mov_b32 s1, -1
	s_mov_b32 s7, 0
.LBB79_1556:
                                        ; implicit-def: $vgpr10
.LBB79_1557:
	s_and_b32 vcc_lo, exec_lo, s11
	s_cbranch_vccz .LBB79_1561
; %bb.1558:
	s_cmp_eq_u32 s0, 44
	s_cbranch_scc0 .LBB79_1560
; %bb.1559:
	global_load_u8 v5, v[8:9], off
	s_mov_b32 s1, 0
	s_mov_b32 s7, -1
	s_wait_loadcnt 0x0
	v_lshlrev_b32_e32 v7, 23, v5
	v_cmp_ne_u32_e32 vcc_lo, 0xff, v5
	s_delay_alu instid0(VALU_DEP_2) | instskip(SKIP_2) | instid1(VALU_DEP_2)
	v_cndmask_b32_e32 v7, 0x7f800001, v7, vcc_lo
	v_cmp_ne_u32_e32 vcc_lo, 0, v5
	s_wait_xcnt 0x1
	v_cndmask_b32_e32 v10, 0x400000, v7, vcc_lo
	s_branch .LBB79_1561
.LBB79_1560:
	s_mov_b32 s1, -1
                                        ; implicit-def: $vgpr10
.LBB79_1561:
	s_mov_b32 s11, 0
.LBB79_1562:
	s_delay_alu instid0(SALU_CYCLE_1)
	s_and_b32 vcc_lo, exec_lo, s11
	s_cbranch_vccz .LBB79_1566
; %bb.1563:
	s_cmp_eq_u32 s0, 29
	s_cbranch_scc0 .LBB79_1565
; %bb.1564:
	global_load_b64 v[10:11], v[8:9], off
	s_mov_b32 s1, 0
	s_mov_b32 s7, -1
	s_mov_b32 s11, 0
	s_wait_loadcnt 0x0
	v_clz_i32_u32_e32 v5, v11
	s_delay_alu instid0(VALU_DEP_1) | instskip(NEXT) | instid1(VALU_DEP_1)
	v_min_u32_e32 v5, 32, v5
	v_lshlrev_b64_e32 v[10:11], v5, v[10:11]
	v_sub_nc_u32_e32 v5, 32, v5
	s_delay_alu instid0(VALU_DEP_2) | instskip(NEXT) | instid1(VALU_DEP_1)
	v_min_u32_e32 v7, 1, v10
	v_or_b32_e32 v7, v11, v7
	s_delay_alu instid0(VALU_DEP_1) | instskip(NEXT) | instid1(VALU_DEP_1)
	v_cvt_f32_u32_e32 v7, v7
	v_ldexp_f32 v10, v7, v5
	s_branch .LBB79_1567
.LBB79_1565:
	s_mov_b32 s1, -1
                                        ; implicit-def: $vgpr10
.LBB79_1566:
	s_mov_b32 s11, 0
.LBB79_1567:
	s_delay_alu instid0(SALU_CYCLE_1)
	s_and_b32 vcc_lo, exec_lo, s11
	s_cbranch_vccz .LBB79_1585
; %bb.1568:
	s_cmp_lt_i32 s0, 27
	s_cbranch_scc1 .LBB79_1571
; %bb.1569:
	s_cmp_gt_i32 s0, 27
	s_cbranch_scc0 .LBB79_1572
; %bb.1570:
	global_load_b32 v5, v[8:9], off
	s_mov_b32 s7, 0
	s_wait_loadcnt 0x0
	s_wait_xcnt 0x1
	v_cvt_f32_u32_e32 v10, v5
	s_branch .LBB79_1573
.LBB79_1571:
	s_mov_b32 s7, -1
                                        ; implicit-def: $vgpr10
	s_branch .LBB79_1576
.LBB79_1572:
	s_mov_b32 s7, -1
                                        ; implicit-def: $vgpr10
.LBB79_1573:
	s_delay_alu instid0(SALU_CYCLE_1)
	s_and_not1_b32 vcc_lo, exec_lo, s7
	s_cbranch_vccnz .LBB79_1575
; %bb.1574:
	global_load_u16 v5, v[8:9], off
	s_wait_loadcnt 0x0
	s_wait_xcnt 0x1
	v_cvt_f32_u32_e32 v10, v5
.LBB79_1575:
	s_mov_b32 s7, 0
.LBB79_1576:
	s_delay_alu instid0(SALU_CYCLE_1)
	s_and_not1_b32 vcc_lo, exec_lo, s7
	s_cbranch_vccnz .LBB79_1584
; %bb.1577:
	global_load_u8 v5, v[8:9], off
	s_mov_b32 s7, 0
	s_mov_b32 s11, exec_lo
	s_wait_loadcnt 0x0
	v_cmpx_lt_i16_e32 0x7f, v5
	s_xor_b32 s11, exec_lo, s11
	s_cbranch_execz .LBB79_1598
; %bb.1578:
	s_mov_b32 s7, -1
	s_mov_b32 s12, exec_lo
	v_cmpx_eq_u16_e32 0x80, v5
; %bb.1579:
	s_xor_b32 s7, exec_lo, -1
; %bb.1580:
	s_or_b32 exec_lo, exec_lo, s12
	s_delay_alu instid0(SALU_CYCLE_1)
	s_and_b32 s7, s7, exec_lo
	s_or_saveexec_b32 s11, s11
	v_mov_b32_e32 v10, 0x7f800001
	s_xor_b32 exec_lo, exec_lo, s11
	s_cbranch_execnz .LBB79_1599
.LBB79_1581:
	s_or_b32 exec_lo, exec_lo, s11
	s_and_saveexec_b32 s11, s7
	s_cbranch_execz .LBB79_1583
.LBB79_1582:
	v_and_b32_e32 v7, 0xffff, v5
	s_delay_alu instid0(VALU_DEP_1) | instskip(SKIP_1) | instid1(VALU_DEP_2)
	v_dual_lshlrev_b32 v5, 24, v5 :: v_dual_bitop2_b32 v10, 7, v7 bitop3:0x40
	v_bfe_u32 v14, v7, 3, 4
	v_and_b32_e32 v5, 0x80000000, v5
	s_delay_alu instid0(VALU_DEP_3) | instskip(NEXT) | instid1(VALU_DEP_3)
	v_clz_i32_u32_e32 v11, v10
	v_cmp_eq_u32_e32 vcc_lo, 0, v14
	s_delay_alu instid0(VALU_DEP_2) | instskip(NEXT) | instid1(VALU_DEP_1)
	v_min_u32_e32 v11, 32, v11
	v_subrev_nc_u32_e32 v13, 28, v11
	v_sub_nc_u32_e32 v11, 29, v11
	s_delay_alu instid0(VALU_DEP_2) | instskip(NEXT) | instid1(VALU_DEP_2)
	v_lshlrev_b32_e32 v7, v13, v7
	v_cndmask_b32_e32 v11, v14, v11, vcc_lo
	s_delay_alu instid0(VALU_DEP_2) | instskip(NEXT) | instid1(VALU_DEP_1)
	v_and_b32_e32 v7, 7, v7
	v_cndmask_b32_e32 v7, v10, v7, vcc_lo
	s_delay_alu instid0(VALU_DEP_3) | instskip(NEXT) | instid1(VALU_DEP_2)
	v_lshl_add_u32 v10, v11, 23, 0x3b800000
	v_lshlrev_b32_e32 v7, 20, v7
	s_delay_alu instid0(VALU_DEP_1)
	v_or3_b32 v10, v5, v10, v7
.LBB79_1583:
	s_or_b32 exec_lo, exec_lo, s11
.LBB79_1584:
	s_mov_b32 s7, -1
.LBB79_1585:
	s_mov_b32 s11, 0
.LBB79_1586:
	s_delay_alu instid0(SALU_CYCLE_1)
	s_and_b32 vcc_lo, exec_lo, s11
	s_cbranch_vccz .LBB79_1619
; %bb.1587:
	s_cmp_gt_i32 s0, 22
	s_cbranch_scc0 .LBB79_1597
; %bb.1588:
	s_cmp_lt_i32 s0, 24
	s_cbranch_scc1 .LBB79_1600
; %bb.1589:
	s_cmp_gt_i32 s0, 24
	s_cbranch_scc0 .LBB79_1601
; %bb.1590:
	global_load_u8 v5, v[8:9], off
	s_mov_b32 s7, exec_lo
	s_wait_loadcnt 0x0
	v_cmpx_lt_i16_e32 0x7f, v5
	s_xor_b32 s7, exec_lo, s7
	s_cbranch_execz .LBB79_1613
; %bb.1591:
	s_mov_b32 s6, -1
	s_mov_b32 s11, exec_lo
	v_cmpx_eq_u16_e32 0x80, v5
; %bb.1592:
	s_xor_b32 s6, exec_lo, -1
; %bb.1593:
	s_or_b32 exec_lo, exec_lo, s11
	s_delay_alu instid0(SALU_CYCLE_1)
	s_and_b32 s6, s6, exec_lo
	s_or_saveexec_b32 s7, s7
	v_mov_b32_e32 v10, 0x7f800001
	s_xor_b32 exec_lo, exec_lo, s7
	s_cbranch_execnz .LBB79_1614
.LBB79_1594:
	s_or_b32 exec_lo, exec_lo, s7
	s_and_saveexec_b32 s7, s6
	s_cbranch_execz .LBB79_1596
.LBB79_1595:
	v_and_b32_e32 v7, 0xffff, v5
	s_delay_alu instid0(VALU_DEP_1) | instskip(SKIP_1) | instid1(VALU_DEP_2)
	v_dual_lshlrev_b32 v5, 24, v5 :: v_dual_bitop2_b32 v10, 3, v7 bitop3:0x40
	v_bfe_u32 v14, v7, 2, 5
	v_and_b32_e32 v5, 0x80000000, v5
	s_delay_alu instid0(VALU_DEP_3) | instskip(NEXT) | instid1(VALU_DEP_3)
	v_clz_i32_u32_e32 v11, v10
	v_cmp_eq_u32_e32 vcc_lo, 0, v14
	s_delay_alu instid0(VALU_DEP_2) | instskip(NEXT) | instid1(VALU_DEP_1)
	v_min_u32_e32 v11, 32, v11
	v_subrev_nc_u32_e32 v13, 29, v11
	v_sub_nc_u32_e32 v11, 30, v11
	s_delay_alu instid0(VALU_DEP_2) | instskip(NEXT) | instid1(VALU_DEP_2)
	v_lshlrev_b32_e32 v7, v13, v7
	v_cndmask_b32_e32 v11, v14, v11, vcc_lo
	s_delay_alu instid0(VALU_DEP_2) | instskip(NEXT) | instid1(VALU_DEP_1)
	v_and_b32_e32 v7, 3, v7
	v_cndmask_b32_e32 v7, v10, v7, vcc_lo
	s_delay_alu instid0(VALU_DEP_3) | instskip(NEXT) | instid1(VALU_DEP_2)
	v_lshl_add_u32 v10, v11, 23, 0x37800000
	v_lshlrev_b32_e32 v7, 21, v7
	s_delay_alu instid0(VALU_DEP_1)
	v_or3_b32 v10, v5, v10, v7
.LBB79_1596:
	s_or_b32 exec_lo, exec_lo, s7
	s_mov_b32 s6, 0
	s_branch .LBB79_1602
.LBB79_1597:
	s_mov_b32 s6, -1
                                        ; implicit-def: $vgpr10
	s_branch .LBB79_1608
.LBB79_1598:
	s_or_saveexec_b32 s11, s11
	v_mov_b32_e32 v10, 0x7f800001
	s_xor_b32 exec_lo, exec_lo, s11
	s_cbranch_execz .LBB79_1581
.LBB79_1599:
	v_cmp_ne_u16_e32 vcc_lo, 0, v5
	v_mov_b32_e32 v10, 0
	s_and_not1_b32 s7, s7, exec_lo
	s_and_b32 s12, vcc_lo, exec_lo
	s_delay_alu instid0(SALU_CYCLE_1)
	s_or_b32 s7, s7, s12
	s_or_b32 exec_lo, exec_lo, s11
	s_and_saveexec_b32 s11, s7
	s_cbranch_execnz .LBB79_1582
	s_branch .LBB79_1583
.LBB79_1600:
	s_mov_b32 s6, -1
                                        ; implicit-def: $vgpr10
	s_branch .LBB79_1605
.LBB79_1601:
	s_mov_b32 s6, -1
                                        ; implicit-def: $vgpr10
.LBB79_1602:
	s_delay_alu instid0(SALU_CYCLE_1)
	s_and_b32 vcc_lo, exec_lo, s6
	s_cbranch_vccz .LBB79_1604
; %bb.1603:
	global_load_u8 v5, v[8:9], off
	s_wait_loadcnt 0x0
	v_lshlrev_b32_e32 v5, 24, v5
	s_delay_alu instid0(VALU_DEP_1) | instskip(SKIP_1) | instid1(VALU_DEP_1)
	v_and_b32_e32 v7, 0x7f000000, v5
	s_wait_xcnt 0x1
	v_clz_i32_u32_e32 v10, v7
	v_add_nc_u32_e32 v13, 0x1000000, v7
	v_cmp_ne_u32_e32 vcc_lo, 0, v7
	s_delay_alu instid0(VALU_DEP_3) | instskip(NEXT) | instid1(VALU_DEP_1)
	v_min_u32_e32 v10, 32, v10
	v_sub_nc_u32_e64 v10, v10, 4 clamp
	s_delay_alu instid0(VALU_DEP_1) | instskip(NEXT) | instid1(VALU_DEP_1)
	v_dual_lshlrev_b32 v11, v10, v7 :: v_dual_lshlrev_b32 v10, 23, v10
	v_lshrrev_b32_e32 v11, 4, v11
	s_delay_alu instid0(VALU_DEP_1) | instskip(NEXT) | instid1(VALU_DEP_1)
	v_dual_sub_nc_u32 v10, v11, v10 :: v_dual_ashrrev_i32 v11, 8, v13
	v_add_nc_u32_e32 v10, 0x3c000000, v10
	s_delay_alu instid0(VALU_DEP_1) | instskip(NEXT) | instid1(VALU_DEP_1)
	v_and_or_b32 v10, 0x7f800000, v11, v10
	v_cndmask_b32_e32 v7, 0, v10, vcc_lo
	s_delay_alu instid0(VALU_DEP_1)
	v_and_or_b32 v10, 0x80000000, v5, v7
.LBB79_1604:
	s_mov_b32 s6, 0
.LBB79_1605:
	s_delay_alu instid0(SALU_CYCLE_1)
	s_and_not1_b32 vcc_lo, exec_lo, s6
	s_cbranch_vccnz .LBB79_1607
; %bb.1606:
	global_load_u8 v5, v[8:9], off
	s_wait_loadcnt 0x0
	v_lshlrev_b32_e32 v7, 25, v5
	v_lshlrev_b16 v5, 8, v5
	s_wait_xcnt 0x1
	s_delay_alu instid0(VALU_DEP_1) | instskip(SKIP_1) | instid1(VALU_DEP_2)
	v_and_or_b32 v11, 0x7f00, v5, 0.5
	v_bfe_i32 v5, v5, 0, 16
	v_add_f32_e32 v11, -0.5, v11
	v_lshrrev_b32_e32 v10, 4, v7
	v_cmp_gt_u32_e32 vcc_lo, 0x8000000, v7
	s_delay_alu instid0(VALU_DEP_2) | instskip(NEXT) | instid1(VALU_DEP_1)
	v_or_b32_e32 v10, 0x70000000, v10
	v_mul_f32_e32 v10, 0x7800000, v10
	s_delay_alu instid0(VALU_DEP_1) | instskip(NEXT) | instid1(VALU_DEP_1)
	v_cndmask_b32_e32 v7, v10, v11, vcc_lo
	v_and_or_b32 v10, 0x80000000, v5, v7
.LBB79_1607:
	s_mov_b32 s6, 0
	s_mov_b32 s7, -1
.LBB79_1608:
	s_and_not1_b32 vcc_lo, exec_lo, s6
	s_mov_b32 s6, 0
	s_cbranch_vccnz .LBB79_1619
; %bb.1609:
	s_cmp_gt_i32 s0, 14
	s_cbranch_scc0 .LBB79_1612
; %bb.1610:
	s_cmp_eq_u32 s0, 15
	s_cbranch_scc0 .LBB79_1615
; %bb.1611:
	global_load_u16 v5, v[8:9], off
	s_mov_b32 s1, 0
	s_mov_b32 s7, -1
	s_wait_loadcnt 0x0
	s_wait_xcnt 0x1
	v_lshlrev_b32_e32 v10, 16, v5
	s_branch .LBB79_1617
.LBB79_1612:
	s_mov_b32 s6, -1
	s_branch .LBB79_1616
.LBB79_1613:
	s_or_saveexec_b32 s7, s7
	v_mov_b32_e32 v10, 0x7f800001
	s_xor_b32 exec_lo, exec_lo, s7
	s_cbranch_execz .LBB79_1594
.LBB79_1614:
	v_cmp_ne_u16_e32 vcc_lo, 0, v5
	v_mov_b32_e32 v10, 0
	s_and_not1_b32 s6, s6, exec_lo
	s_and_b32 s11, vcc_lo, exec_lo
	s_delay_alu instid0(SALU_CYCLE_1)
	s_or_b32 s6, s6, s11
	s_or_b32 exec_lo, exec_lo, s7
	s_and_saveexec_b32 s7, s6
	s_cbranch_execnz .LBB79_1595
	s_branch .LBB79_1596
.LBB79_1615:
	s_mov_b32 s1, -1
.LBB79_1616:
                                        ; implicit-def: $vgpr10
.LBB79_1617:
	s_and_b32 vcc_lo, exec_lo, s6
	s_mov_b32 s6, 0
	s_cbranch_vccz .LBB79_1619
; %bb.1618:
	s_cmp_lg_u32 s0, 11
	s_mov_b32 s6, -1
	s_cselect_b32 s1, -1, 0
.LBB79_1619:
	s_delay_alu instid0(SALU_CYCLE_1)
	s_and_b32 vcc_lo, exec_lo, s1
	s_cbranch_vccnz .LBB79_2152
; %bb.1620:
	s_and_not1_b32 vcc_lo, exec_lo, s6
	s_cbranch_vccnz .LBB79_1622
.LBB79_1621:
	global_load_u8 v5, v[8:9], off
	s_mov_b32 s7, -1
	s_wait_loadcnt 0x0
	v_cmp_ne_u16_e32 vcc_lo, 0, v5
	s_wait_xcnt 0x1
	v_cndmask_b32_e64 v10, 0, 1.0, vcc_lo
.LBB79_1622:
	s_mov_b32 s1, 0
.LBB79_1623:
	s_delay_alu instid0(SALU_CYCLE_1)
	s_and_b32 vcc_lo, exec_lo, s1
	s_cbranch_vccz .LBB79_1672
; %bb.1624:
	s_cmp_lt_i32 s0, 5
	s_cbranch_scc1 .LBB79_1629
; %bb.1625:
	s_cmp_lt_i32 s0, 8
	s_cbranch_scc1 .LBB79_1630
	;; [unrolled: 3-line block ×3, first 2 shown]
; %bb.1627:
	s_cmp_gt_i32 s0, 9
	s_cbranch_scc0 .LBB79_1632
; %bb.1628:
	global_load_b64 v[10:11], v[8:9], off
	s_mov_b32 s1, 0
	s_wait_loadcnt 0x0
	v_cvt_f32_f64_e32 v10, v[10:11]
	s_branch .LBB79_1633
.LBB79_1629:
	s_mov_b32 s1, -1
                                        ; implicit-def: $vgpr10
	s_branch .LBB79_1651
.LBB79_1630:
	s_mov_b32 s1, -1
                                        ; implicit-def: $vgpr10
	s_branch .LBB79_1639
.LBB79_1631:
	s_mov_b32 s1, -1
                                        ; implicit-def: $vgpr10
	s_branch .LBB79_1636
.LBB79_1632:
	s_mov_b32 s1, -1
                                        ; implicit-def: $vgpr10
.LBB79_1633:
	s_delay_alu instid0(SALU_CYCLE_1)
	s_and_not1_b32 vcc_lo, exec_lo, s1
	s_cbranch_vccnz .LBB79_1635
; %bb.1634:
	global_load_b32 v10, v[8:9], off
.LBB79_1635:
	s_mov_b32 s1, 0
.LBB79_1636:
	s_delay_alu instid0(SALU_CYCLE_1)
	s_and_not1_b32 vcc_lo, exec_lo, s1
	s_cbranch_vccnz .LBB79_1638
; %bb.1637:
	global_load_b32 v5, v[8:9], off
	s_wait_loadcnt 0x0
	s_wait_xcnt 0x1
	v_cvt_f32_f16_e32 v10, v5
.LBB79_1638:
	s_mov_b32 s1, 0
.LBB79_1639:
	s_delay_alu instid0(SALU_CYCLE_1)
	s_and_not1_b32 vcc_lo, exec_lo, s1
	s_cbranch_vccnz .LBB79_1650
; %bb.1640:
	s_cmp_lt_i32 s0, 6
	s_cbranch_scc1 .LBB79_1643
; %bb.1641:
	s_cmp_gt_i32 s0, 6
	s_cbranch_scc0 .LBB79_1644
; %bb.1642:
	s_wait_loadcnt 0x0
	global_load_b64 v[10:11], v[8:9], off
	s_mov_b32 s1, 0
	s_wait_loadcnt 0x0
	v_cvt_f32_f64_e32 v10, v[10:11]
	s_branch .LBB79_1645
.LBB79_1643:
	s_mov_b32 s1, -1
                                        ; implicit-def: $vgpr10
	s_branch .LBB79_1648
.LBB79_1644:
	s_mov_b32 s1, -1
                                        ; implicit-def: $vgpr10
.LBB79_1645:
	s_delay_alu instid0(SALU_CYCLE_1)
	s_and_not1_b32 vcc_lo, exec_lo, s1
	s_cbranch_vccnz .LBB79_1647
; %bb.1646:
	s_wait_loadcnt 0x0
	global_load_b32 v10, v[8:9], off
.LBB79_1647:
	s_mov_b32 s1, 0
.LBB79_1648:
	s_delay_alu instid0(SALU_CYCLE_1)
	s_and_not1_b32 vcc_lo, exec_lo, s1
	s_cbranch_vccnz .LBB79_1650
; %bb.1649:
	global_load_u16 v5, v[8:9], off
	s_wait_loadcnt 0x0
	s_wait_xcnt 0x1
	v_cvt_f32_f16_e32 v10, v5
.LBB79_1650:
	s_mov_b32 s1, 0
.LBB79_1651:
	s_delay_alu instid0(SALU_CYCLE_1)
	s_and_not1_b32 vcc_lo, exec_lo, s1
	s_cbranch_vccnz .LBB79_1671
; %bb.1652:
	s_cmp_lt_i32 s0, 2
	s_cbranch_scc1 .LBB79_1656
; %bb.1653:
	s_cmp_lt_i32 s0, 3
	s_cbranch_scc1 .LBB79_1657
; %bb.1654:
	s_cmp_gt_i32 s0, 3
	s_cbranch_scc0 .LBB79_1658
; %bb.1655:
	s_wait_loadcnt 0x0
	global_load_b64 v[10:11], v[8:9], off
	s_mov_b32 s1, 0
	s_wait_loadcnt 0x0
	v_xor_b32_e32 v5, v10, v11
	v_cls_i32_e32 v7, v11
	s_delay_alu instid0(VALU_DEP_2) | instskip(NEXT) | instid1(VALU_DEP_1)
	v_ashrrev_i32_e32 v5, 31, v5
	v_add_nc_u32_e32 v5, 32, v5
	s_delay_alu instid0(VALU_DEP_1) | instskip(NEXT) | instid1(VALU_DEP_1)
	v_add_min_u32_e64 v5, v7, -1, v5
	v_lshlrev_b64_e32 v[10:11], v5, v[10:11]
	v_sub_nc_u32_e32 v5, 32, v5
	s_delay_alu instid0(VALU_DEP_2) | instskip(NEXT) | instid1(VALU_DEP_1)
	v_min_u32_e32 v7, 1, v10
	v_or_b32_e32 v7, v11, v7
	s_delay_alu instid0(VALU_DEP_1) | instskip(NEXT) | instid1(VALU_DEP_1)
	v_cvt_f32_i32_e32 v7, v7
	v_ldexp_f32 v10, v7, v5
	s_branch .LBB79_1659
.LBB79_1656:
	s_mov_b32 s1, -1
                                        ; implicit-def: $vgpr10
	s_branch .LBB79_1665
.LBB79_1657:
	s_mov_b32 s1, -1
                                        ; implicit-def: $vgpr10
	s_branch .LBB79_1662
.LBB79_1658:
	s_mov_b32 s1, -1
                                        ; implicit-def: $vgpr10
.LBB79_1659:
	s_delay_alu instid0(SALU_CYCLE_1)
	s_and_not1_b32 vcc_lo, exec_lo, s1
	s_cbranch_vccnz .LBB79_1661
; %bb.1660:
	global_load_b32 v5, v[8:9], off
	s_wait_loadcnt 0x0
	s_wait_xcnt 0x1
	v_cvt_f32_i32_e32 v10, v5
.LBB79_1661:
	s_mov_b32 s1, 0
.LBB79_1662:
	s_delay_alu instid0(SALU_CYCLE_1)
	s_and_not1_b32 vcc_lo, exec_lo, s1
	s_cbranch_vccnz .LBB79_1664
; %bb.1663:
	global_load_i16 v5, v[8:9], off
	s_wait_loadcnt 0x0
	s_wait_xcnt 0x1
	v_cvt_f32_i32_e32 v10, v5
.LBB79_1664:
	s_mov_b32 s1, 0
.LBB79_1665:
	s_delay_alu instid0(SALU_CYCLE_1)
	s_and_not1_b32 vcc_lo, exec_lo, s1
	s_cbranch_vccnz .LBB79_1671
; %bb.1666:
	s_cmp_gt_i32 s0, 0
	s_mov_b32 s0, 0
	s_cbranch_scc0 .LBB79_1668
; %bb.1667:
	global_load_i8 v5, v[8:9], off
	s_wait_loadcnt 0x0
	s_wait_xcnt 0x1
	v_cvt_f32_i32_e32 v10, v5
	s_branch .LBB79_1669
.LBB79_1668:
	s_mov_b32 s0, -1
                                        ; implicit-def: $vgpr10
.LBB79_1669:
	s_delay_alu instid0(SALU_CYCLE_1)
	s_and_not1_b32 vcc_lo, exec_lo, s0
	s_cbranch_vccnz .LBB79_1671
; %bb.1670:
	global_load_u8 v5, v[8:9], off
	s_wait_loadcnt 0x0
	s_wait_xcnt 0x1
	v_cvt_f32_ubyte0_e32 v10, v5
.LBB79_1671:
	s_mov_b32 s7, -1
.LBB79_1672:
	s_delay_alu instid0(SALU_CYCLE_1)
	s_and_not1_b32 vcc_lo, exec_lo, s7
	s_cbranch_vccnz .LBB79_2106
; %bb.1673:
	v_mov_b32_e32 v7, 0
	s_wait_loadcnt 0x0
	v_cmp_eq_f32_e64 s0, 0xff800000, v1
	global_load_u8 v5, v7, s[2:3] offset:345
	s_wait_xcnt 0x0
	v_add_nc_u64_e32 v[6:7], s[4:5], v[6:7]
	s_wait_loadcnt 0x0
	v_and_b32_e32 v8, 0xffff, v5
	v_readfirstlane_b32 s6, v5
	s_delay_alu instid0(VALU_DEP_2)
	v_cmp_gt_i32_e32 vcc_lo, 11, v8
	s_cbranch_vccnz .LBB79_1751
; %bb.1674:
	s_and_b32 s2, 0xffff, s6
	s_mov_b32 s11, -1
	s_mov_b32 s3, 0
	s_cmp_gt_i32 s2, 25
	s_mov_b32 s7, 0
	s_mov_b32 s1, 0
	s_cbranch_scc0 .LBB79_1707
; %bb.1675:
	s_cmp_gt_i32 s2, 28
	s_cbranch_scc0 .LBB79_1690
; %bb.1676:
	s_cmp_gt_i32 s2, 43
	;; [unrolled: 3-line block ×3, first 2 shown]
	s_cbranch_scc0 .LBB79_1680
; %bb.1678:
	s_mov_b32 s1, -1
	s_mov_b32 s11, 0
	s_cmp_eq_u32 s2, 46
	s_cbranch_scc0 .LBB79_1680
; %bb.1679:
	v_cndmask_b32_e64 v1, 0, 1.0, s0
	s_mov_b32 s1, 0
	s_mov_b32 s7, -1
	s_delay_alu instid0(VALU_DEP_1) | instskip(NEXT) | instid1(VALU_DEP_1)
	v_bfe_u32 v5, v1, 16, 1
	v_add3_u32 v1, v1, v5, 0x7fff
	s_delay_alu instid0(VALU_DEP_1)
	v_lshrrev_b32_e32 v1, 16, v1
	global_store_b32 v[6:7], v1, off
.LBB79_1680:
	s_and_b32 vcc_lo, exec_lo, s11
	s_cbranch_vccz .LBB79_1685
; %bb.1681:
	s_cmp_eq_u32 s2, 44
	s_mov_b32 s1, -1
	s_cbranch_scc0 .LBB79_1685
; %bb.1682:
	v_cndmask_b32_e64 v8, 0, 1.0, s0
	v_mov_b32_e32 v5, 0xff
	s_mov_b32 s7, exec_lo
	s_wait_xcnt 0x0
	s_delay_alu instid0(VALU_DEP_2) | instskip(NEXT) | instid1(VALU_DEP_1)
	v_lshrrev_b32_e32 v1, 23, v8
	v_cmpx_ne_u32_e32 0xff, v1
; %bb.1683:
	v_and_b32_e32 v5, 0x400000, v8
	v_and_or_b32 v8, 0x3fffff, v8, v1
	s_delay_alu instid0(VALU_DEP_2) | instskip(NEXT) | instid1(VALU_DEP_2)
	v_cmp_ne_u32_e32 vcc_lo, 0, v5
	v_cmp_ne_u32_e64 s1, 0, v8
	s_and_b32 s1, vcc_lo, s1
	s_delay_alu instid0(SALU_CYCLE_1) | instskip(NEXT) | instid1(VALU_DEP_1)
	v_cndmask_b32_e64 v5, 0, 1, s1
	v_add_nc_u32_e32 v5, v1, v5
; %bb.1684:
	s_or_b32 exec_lo, exec_lo, s7
	s_mov_b32 s1, 0
	s_mov_b32 s7, -1
	global_store_b8 v[6:7], v5, off
.LBB79_1685:
	s_mov_b32 s11, 0
.LBB79_1686:
	s_delay_alu instid0(SALU_CYCLE_1)
	s_and_b32 vcc_lo, exec_lo, s11
	s_cbranch_vccz .LBB79_1689
; %bb.1687:
	s_cmp_eq_u32 s2, 29
	s_mov_b32 s1, -1
	s_cbranch_scc0 .LBB79_1689
; %bb.1688:
	s_mov_b32 s1, 0
	v_cndmask_b32_e64 v8, 0, 1, s0
	v_mov_b32_e32 v9, s1
	s_mov_b32 s7, -1
	global_store_b64 v[6:7], v[8:9], off
.LBB79_1689:
	s_mov_b32 s11, 0
.LBB79_1690:
	s_delay_alu instid0(SALU_CYCLE_1)
	s_and_b32 vcc_lo, exec_lo, s11
	s_cbranch_vccz .LBB79_1706
; %bb.1691:
	s_cmp_lt_i32 s2, 27
	s_mov_b32 s7, -1
	s_cbranch_scc1 .LBB79_1697
; %bb.1692:
	s_cmp_gt_i32 s2, 27
	s_cbranch_scc0 .LBB79_1694
; %bb.1693:
	s_wait_xcnt 0x0
	v_cndmask_b32_e64 v1, 0, 1, s0
	s_mov_b32 s7, 0
	global_store_b32 v[6:7], v1, off
.LBB79_1694:
	s_and_not1_b32 vcc_lo, exec_lo, s7
	s_cbranch_vccnz .LBB79_1696
; %bb.1695:
	s_wait_xcnt 0x0
	v_cndmask_b32_e64 v1, 0, 1, s0
	global_store_b16 v[6:7], v1, off
.LBB79_1696:
	s_mov_b32 s7, 0
.LBB79_1697:
	s_delay_alu instid0(SALU_CYCLE_1)
	s_and_not1_b32 vcc_lo, exec_lo, s7
	s_cbranch_vccnz .LBB79_1705
; %bb.1698:
	s_wait_xcnt 0x0
	v_cndmask_b32_e64 v5, 0, 1.0, s0
	v_mov_b32_e32 v8, 0x80
	s_mov_b32 s7, exec_lo
	s_delay_alu instid0(VALU_DEP_2)
	v_cmpx_gt_u32_e32 0x43800000, v5
	s_cbranch_execz .LBB79_1704
; %bb.1699:
	s_mov_b32 s11, 0
	s_mov_b32 s12, exec_lo
                                        ; implicit-def: $vgpr1
	v_cmpx_lt_u32_e32 0x3bffffff, v5
	s_xor_b32 s12, exec_lo, s12
	s_cbranch_execz .LBB79_2153
; %bb.1700:
	v_bfe_u32 v1, v5, 20, 1
	s_mov_b32 s11, exec_lo
	s_delay_alu instid0(VALU_DEP_1) | instskip(NEXT) | instid1(VALU_DEP_1)
	v_add3_u32 v1, v5, v1, 0x487ffff
                                        ; implicit-def: $vgpr5
	v_lshrrev_b32_e32 v1, 20, v1
	s_and_not1_saveexec_b32 s12, s12
	s_cbranch_execnz .LBB79_2154
.LBB79_1701:
	s_or_b32 exec_lo, exec_lo, s12
	v_mov_b32_e32 v8, 0
	s_and_saveexec_b32 s12, s11
.LBB79_1702:
	v_mov_b32_e32 v8, v1
.LBB79_1703:
	s_or_b32 exec_lo, exec_lo, s12
.LBB79_1704:
	s_delay_alu instid0(SALU_CYCLE_1)
	s_or_b32 exec_lo, exec_lo, s7
	global_store_b8 v[6:7], v8, off
.LBB79_1705:
	s_mov_b32 s7, -1
.LBB79_1706:
	s_mov_b32 s11, 0
.LBB79_1707:
	s_delay_alu instid0(SALU_CYCLE_1)
	s_and_b32 vcc_lo, exec_lo, s11
	s_cbranch_vccz .LBB79_1747
; %bb.1708:
	s_cmp_gt_i32 s2, 22
	s_mov_b32 s3, -1
	s_cbranch_scc0 .LBB79_1740
; %bb.1709:
	s_cmp_lt_i32 s2, 24
	s_cbranch_scc1 .LBB79_1729
; %bb.1710:
	s_cmp_gt_i32 s2, 24
	s_cbranch_scc0 .LBB79_1718
; %bb.1711:
	s_wait_xcnt 0x0
	v_cndmask_b32_e64 v5, 0, 1.0, s0
	v_mov_b32_e32 v8, 0x80
	s_mov_b32 s3, exec_lo
	s_delay_alu instid0(VALU_DEP_2)
	v_cmpx_gt_u32_e32 0x47800000, v5
	s_cbranch_execz .LBB79_1717
; %bb.1712:
	s_mov_b32 s7, 0
	s_mov_b32 s11, exec_lo
                                        ; implicit-def: $vgpr1
	v_cmpx_lt_u32_e32 0x37ffffff, v5
	s_xor_b32 s11, exec_lo, s11
	s_cbranch_execz .LBB79_2156
; %bb.1713:
	v_bfe_u32 v1, v5, 21, 1
	s_mov_b32 s7, exec_lo
	s_delay_alu instid0(VALU_DEP_1) | instskip(NEXT) | instid1(VALU_DEP_1)
	v_add3_u32 v1, v5, v1, 0x88fffff
                                        ; implicit-def: $vgpr5
	v_lshrrev_b32_e32 v1, 21, v1
	s_and_not1_saveexec_b32 s11, s11
	s_cbranch_execnz .LBB79_2157
.LBB79_1714:
	s_or_b32 exec_lo, exec_lo, s11
	v_mov_b32_e32 v8, 0
	s_and_saveexec_b32 s11, s7
.LBB79_1715:
	v_mov_b32_e32 v8, v1
.LBB79_1716:
	s_or_b32 exec_lo, exec_lo, s11
.LBB79_1717:
	s_delay_alu instid0(SALU_CYCLE_1)
	s_or_b32 exec_lo, exec_lo, s3
	s_mov_b32 s3, 0
	global_store_b8 v[6:7], v8, off
.LBB79_1718:
	s_and_b32 vcc_lo, exec_lo, s3
	s_cbranch_vccz .LBB79_1728
; %bb.1719:
	s_wait_xcnt 0x0
	v_cndmask_b32_e64 v5, 0, 1.0, s0
	s_mov_b32 s3, exec_lo
                                        ; implicit-def: $vgpr1
	s_delay_alu instid0(VALU_DEP_1)
	v_cmpx_gt_u32_e32 0x43f00000, v5
	s_xor_b32 s3, exec_lo, s3
	s_cbranch_execz .LBB79_1725
; %bb.1720:
	s_mov_b32 s7, exec_lo
                                        ; implicit-def: $vgpr1
	v_cmpx_lt_u32_e32 0x3c7fffff, v5
	s_xor_b32 s7, exec_lo, s7
; %bb.1721:
	v_bfe_u32 v1, v5, 20, 1
	s_delay_alu instid0(VALU_DEP_1) | instskip(NEXT) | instid1(VALU_DEP_1)
	v_add3_u32 v1, v5, v1, 0x407ffff
	v_and_b32_e32 v5, 0xff00000, v1
	v_lshrrev_b32_e32 v1, 20, v1
	s_delay_alu instid0(VALU_DEP_2) | instskip(NEXT) | instid1(VALU_DEP_2)
	v_cmp_ne_u32_e32 vcc_lo, 0x7f00000, v5
                                        ; implicit-def: $vgpr5
	v_cndmask_b32_e32 v1, 0x7e, v1, vcc_lo
; %bb.1722:
	s_and_not1_saveexec_b32 s7, s7
; %bb.1723:
	v_add_f32_e32 v1, 0x46800000, v5
; %bb.1724:
	s_or_b32 exec_lo, exec_lo, s7
                                        ; implicit-def: $vgpr5
.LBB79_1725:
	s_and_not1_saveexec_b32 s3, s3
; %bb.1726:
	v_mov_b32_e32 v1, 0x7f
	v_cmp_lt_u32_e32 vcc_lo, 0x7f800000, v5
	s_delay_alu instid0(VALU_DEP_2)
	v_cndmask_b32_e32 v1, 0x7e, v1, vcc_lo
; %bb.1727:
	s_or_b32 exec_lo, exec_lo, s3
	global_store_b8 v[6:7], v1, off
.LBB79_1728:
	s_mov_b32 s3, 0
.LBB79_1729:
	s_delay_alu instid0(SALU_CYCLE_1)
	s_and_not1_b32 vcc_lo, exec_lo, s3
	s_cbranch_vccnz .LBB79_1739
; %bb.1730:
	s_wait_xcnt 0x0
	v_cndmask_b32_e64 v5, 0, 1.0, s0
	s_mov_b32 s3, exec_lo
                                        ; implicit-def: $vgpr1
	s_delay_alu instid0(VALU_DEP_1)
	v_cmpx_gt_u32_e32 0x47800000, v5
	s_xor_b32 s3, exec_lo, s3
	s_cbranch_execz .LBB79_1736
; %bb.1731:
	s_mov_b32 s7, exec_lo
                                        ; implicit-def: $vgpr1
	v_cmpx_lt_u32_e32 0x387fffff, v5
	s_xor_b32 s7, exec_lo, s7
; %bb.1732:
	v_bfe_u32 v1, v5, 21, 1
	s_delay_alu instid0(VALU_DEP_1) | instskip(NEXT) | instid1(VALU_DEP_1)
	v_add3_u32 v1, v5, v1, 0x80fffff
                                        ; implicit-def: $vgpr5
	v_lshrrev_b32_e32 v1, 21, v1
; %bb.1733:
	s_and_not1_saveexec_b32 s7, s7
; %bb.1734:
	v_add_f32_e32 v1, 0x43000000, v5
; %bb.1735:
	s_or_b32 exec_lo, exec_lo, s7
                                        ; implicit-def: $vgpr5
.LBB79_1736:
	s_and_not1_saveexec_b32 s3, s3
; %bb.1737:
	v_mov_b32_e32 v1, 0x7f
	v_cmp_lt_u32_e32 vcc_lo, 0x7f800000, v5
	s_delay_alu instid0(VALU_DEP_2)
	v_cndmask_b32_e32 v1, 0x7c, v1, vcc_lo
; %bb.1738:
	s_or_b32 exec_lo, exec_lo, s3
	global_store_b8 v[6:7], v1, off
.LBB79_1739:
	s_mov_b32 s3, 0
	s_mov_b32 s7, -1
.LBB79_1740:
	s_and_not1_b32 vcc_lo, exec_lo, s3
	s_mov_b32 s3, 0
	s_cbranch_vccnz .LBB79_1747
; %bb.1741:
	s_cmp_gt_i32 s2, 14
	s_mov_b32 s3, -1
	s_cbranch_scc0 .LBB79_1745
; %bb.1742:
	s_cmp_eq_u32 s2, 15
	s_mov_b32 s1, -1
	s_cbranch_scc0 .LBB79_1744
; %bb.1743:
	s_wait_xcnt 0x0
	v_cndmask_b32_e64 v1, 0, 1.0, s0
	s_mov_b32 s1, 0
	s_mov_b32 s7, -1
	s_delay_alu instid0(VALU_DEP_1) | instskip(NEXT) | instid1(VALU_DEP_1)
	v_bfe_u32 v5, v1, 16, 1
	v_add3_u32 v1, v1, v5, 0x7fff
	global_store_d16_hi_b16 v[6:7], v1, off
.LBB79_1744:
	s_mov_b32 s3, 0
.LBB79_1745:
	s_delay_alu instid0(SALU_CYCLE_1)
	s_and_b32 vcc_lo, exec_lo, s3
	s_mov_b32 s3, 0
	s_cbranch_vccz .LBB79_1747
; %bb.1746:
	s_cmp_lg_u32 s2, 11
	s_mov_b32 s3, -1
	s_cselect_b32 s1, -1, 0
.LBB79_1747:
	s_delay_alu instid0(SALU_CYCLE_1)
	s_and_b32 vcc_lo, exec_lo, s1
	s_cbranch_vccnz .LBB79_2155
; %bb.1748:
	s_and_not1_b32 vcc_lo, exec_lo, s3
	s_cbranch_vccnz .LBB79_1750
.LBB79_1749:
	s_wait_xcnt 0x0
	v_cndmask_b32_e64 v1, 0, 1, s0
	s_mov_b32 s7, -1
	global_store_b8 v[6:7], v1, off
.LBB79_1750:
	s_mov_b32 s1, 0
	s_branch .LBB79_1752
.LBB79_1751:
	s_mov_b32 s1, -1
	s_mov_b32 s7, 0
.LBB79_1752:
	s_and_b32 vcc_lo, exec_lo, s1
	s_cbranch_vccz .LBB79_1791
; %bb.1753:
	s_and_b32 s1, 0xffff, s6
	s_mov_b32 s2, -1
	s_cmp_lt_i32 s1, 5
	s_cbranch_scc1 .LBB79_1774
; %bb.1754:
	s_cmp_lt_i32 s1, 8
	s_cbranch_scc1 .LBB79_1764
; %bb.1755:
	;; [unrolled: 3-line block ×3, first 2 shown]
	s_cmp_gt_i32 s1, 9
	s_cbranch_scc0 .LBB79_1758
; %bb.1757:
	s_wait_xcnt 0x0
	v_cndmask_b32_e64 v1, 0, 1, s0
	v_mov_b32_e32 v16, 0
	s_mov_b32 s2, 0
	s_delay_alu instid0(VALU_DEP_2) | instskip(NEXT) | instid1(VALU_DEP_2)
	v_cvt_f64_u32_e32 v[14:15], v1
	v_mov_b32_e32 v17, v16
	global_store_b128 v[6:7], v[14:17], off
.LBB79_1758:
	s_and_not1_b32 vcc_lo, exec_lo, s2
	s_cbranch_vccnz .LBB79_1760
; %bb.1759:
	s_wait_xcnt 0x0
	v_cndmask_b32_e64 v8, 0, 1.0, s0
	v_mov_b32_e32 v9, 0
	global_store_b64 v[6:7], v[8:9], off
.LBB79_1760:
	s_mov_b32 s2, 0
.LBB79_1761:
	s_delay_alu instid0(SALU_CYCLE_1)
	s_and_not1_b32 vcc_lo, exec_lo, s2
	s_cbranch_vccnz .LBB79_1763
; %bb.1762:
	s_wait_xcnt 0x0
	v_cndmask_b32_e64 v1, 0, 1.0, s0
	s_delay_alu instid0(VALU_DEP_1) | instskip(NEXT) | instid1(VALU_DEP_1)
	v_cvt_f16_f32_e32 v1, v1
	v_and_b32_e32 v1, 0xffff, v1
	global_store_b32 v[6:7], v1, off
.LBB79_1763:
	s_mov_b32 s2, 0
.LBB79_1764:
	s_delay_alu instid0(SALU_CYCLE_1)
	s_and_not1_b32 vcc_lo, exec_lo, s2
	s_cbranch_vccnz .LBB79_1773
; %bb.1765:
	s_cmp_lt_i32 s1, 6
	s_mov_b32 s2, -1
	s_cbranch_scc1 .LBB79_1771
; %bb.1766:
	s_cmp_gt_i32 s1, 6
	s_cbranch_scc0 .LBB79_1768
; %bb.1767:
	s_wait_xcnt 0x0
	v_cndmask_b32_e64 v1, 0, 1, s0
	s_mov_b32 s2, 0
	s_delay_alu instid0(VALU_DEP_1)
	v_cvt_f64_u32_e32 v[8:9], v1
	global_store_b64 v[6:7], v[8:9], off
.LBB79_1768:
	s_and_not1_b32 vcc_lo, exec_lo, s2
	s_cbranch_vccnz .LBB79_1770
; %bb.1769:
	s_wait_xcnt 0x0
	v_cndmask_b32_e64 v1, 0, 1.0, s0
	global_store_b32 v[6:7], v1, off
.LBB79_1770:
	s_mov_b32 s2, 0
.LBB79_1771:
	s_delay_alu instid0(SALU_CYCLE_1)
	s_and_not1_b32 vcc_lo, exec_lo, s2
	s_cbranch_vccnz .LBB79_1773
; %bb.1772:
	s_wait_xcnt 0x0
	v_cndmask_b32_e64 v1, 0, 1.0, s0
	s_delay_alu instid0(VALU_DEP_1)
	v_cvt_f16_f32_e32 v1, v1
	global_store_b16 v[6:7], v1, off
.LBB79_1773:
	s_mov_b32 s2, 0
.LBB79_1774:
	s_delay_alu instid0(SALU_CYCLE_1)
	s_and_not1_b32 vcc_lo, exec_lo, s2
	s_cbranch_vccnz .LBB79_1790
; %bb.1775:
	s_cmp_lt_i32 s1, 2
	s_mov_b32 s2, -1
	s_cbranch_scc1 .LBB79_1785
; %bb.1776:
	s_cmp_lt_i32 s1, 3
	s_cbranch_scc1 .LBB79_1782
; %bb.1777:
	s_cmp_gt_i32 s1, 3
	s_cbranch_scc0 .LBB79_1779
; %bb.1778:
	s_mov_b32 s2, 0
	s_wait_xcnt 0x0
	v_cndmask_b32_e64 v8, 0, 1, s0
	v_mov_b32_e32 v9, s2
	global_store_b64 v[6:7], v[8:9], off
.LBB79_1779:
	s_and_not1_b32 vcc_lo, exec_lo, s2
	s_cbranch_vccnz .LBB79_1781
; %bb.1780:
	s_wait_xcnt 0x0
	v_cndmask_b32_e64 v1, 0, 1, s0
	global_store_b32 v[6:7], v1, off
.LBB79_1781:
	s_mov_b32 s2, 0
.LBB79_1782:
	s_delay_alu instid0(SALU_CYCLE_1)
	s_and_not1_b32 vcc_lo, exec_lo, s2
	s_cbranch_vccnz .LBB79_1784
; %bb.1783:
	s_wait_xcnt 0x0
	v_cndmask_b32_e64 v1, 0, 1, s0
	global_store_b16 v[6:7], v1, off
.LBB79_1784:
	s_mov_b32 s2, 0
.LBB79_1785:
	s_delay_alu instid0(SALU_CYCLE_1)
	s_and_not1_b32 vcc_lo, exec_lo, s2
	s_cbranch_vccnz .LBB79_1790
; %bb.1786:
	s_wait_xcnt 0x0
	v_cndmask_b32_e64 v1, 0, 1, s0
	s_cmp_gt_i32 s1, 0
	s_mov_b32 s0, -1
	s_cbranch_scc0 .LBB79_1788
; %bb.1787:
	s_mov_b32 s0, 0
	global_store_b8 v[6:7], v1, off
.LBB79_1788:
	s_and_not1_b32 vcc_lo, exec_lo, s0
	s_cbranch_vccnz .LBB79_1790
; %bb.1789:
	global_store_b8 v[6:7], v1, off
.LBB79_1790:
	s_mov_b32 s7, -1
.LBB79_1791:
	s_delay_alu instid0(SALU_CYCLE_1)
	s_and_not1_b32 vcc_lo, exec_lo, s7
	s_cbranch_vccnz .LBB79_2106
; %bb.1792:
	s_wait_xcnt 0x0
	v_mov_b32_e32 v5, 0
	v_cmp_eq_f32_e64 s0, 0xff800000, v3
	s_and_b32 s2, 0xffff, s6
	s_delay_alu instid0(SALU_CYCLE_1)
	s_cmp_lt_i32 s2, 11
	v_add_nc_u64_e32 v[4:5], s[4:5], v[4:5]
	s_cbranch_scc1 .LBB79_1870
; %bb.1793:
	s_mov_b32 s11, -1
	s_mov_b32 s3, 0
	s_cmp_gt_i32 s2, 25
	s_mov_b32 s7, 0
	s_mov_b32 s1, 0
	s_cbranch_scc0 .LBB79_1826
; %bb.1794:
	s_cmp_gt_i32 s2, 28
	s_cbranch_scc0 .LBB79_1809
; %bb.1795:
	s_cmp_gt_i32 s2, 43
	;; [unrolled: 3-line block ×3, first 2 shown]
	s_cbranch_scc0 .LBB79_1799
; %bb.1797:
	s_mov_b32 s1, -1
	s_mov_b32 s11, 0
	s_cmp_eq_u32 s2, 46
	s_cbranch_scc0 .LBB79_1799
; %bb.1798:
	v_cndmask_b32_e64 v1, 0, 1.0, s0
	s_mov_b32 s1, 0
	s_mov_b32 s7, -1
	s_delay_alu instid0(VALU_DEP_1) | instskip(NEXT) | instid1(VALU_DEP_1)
	v_bfe_u32 v3, v1, 16, 1
	v_add3_u32 v1, v1, v3, 0x7fff
	s_delay_alu instid0(VALU_DEP_1)
	v_lshrrev_b32_e32 v1, 16, v1
	global_store_b32 v[4:5], v1, off
.LBB79_1799:
	s_and_b32 vcc_lo, exec_lo, s11
	s_cbranch_vccz .LBB79_1804
; %bb.1800:
	s_cmp_eq_u32 s2, 44
	s_mov_b32 s1, -1
	s_cbranch_scc0 .LBB79_1804
; %bb.1801:
	v_cndmask_b32_e64 v6, 0, 1.0, s0
	v_mov_b32_e32 v3, 0xff
	s_mov_b32 s7, exec_lo
	s_wait_xcnt 0x0
	s_delay_alu instid0(VALU_DEP_2) | instskip(NEXT) | instid1(VALU_DEP_1)
	v_lshrrev_b32_e32 v1, 23, v6
	v_cmpx_ne_u32_e32 0xff, v1
; %bb.1802:
	v_and_b32_e32 v3, 0x400000, v6
	v_and_or_b32 v6, 0x3fffff, v6, v1
	s_delay_alu instid0(VALU_DEP_2) | instskip(NEXT) | instid1(VALU_DEP_2)
	v_cmp_ne_u32_e32 vcc_lo, 0, v3
	v_cmp_ne_u32_e64 s1, 0, v6
	s_and_b32 s1, vcc_lo, s1
	s_delay_alu instid0(SALU_CYCLE_1) | instskip(NEXT) | instid1(VALU_DEP_1)
	v_cndmask_b32_e64 v3, 0, 1, s1
	v_add_nc_u32_e32 v3, v1, v3
; %bb.1803:
	s_or_b32 exec_lo, exec_lo, s7
	s_mov_b32 s1, 0
	s_mov_b32 s7, -1
	global_store_b8 v[4:5], v3, off
.LBB79_1804:
	s_mov_b32 s11, 0
.LBB79_1805:
	s_delay_alu instid0(SALU_CYCLE_1)
	s_and_b32 vcc_lo, exec_lo, s11
	s_cbranch_vccz .LBB79_1808
; %bb.1806:
	s_cmp_eq_u32 s2, 29
	s_mov_b32 s1, -1
	s_cbranch_scc0 .LBB79_1808
; %bb.1807:
	s_mov_b32 s1, 0
	v_cndmask_b32_e64 v6, 0, 1, s0
	v_mov_b32_e32 v7, s1
	s_mov_b32 s7, -1
	global_store_b64 v[4:5], v[6:7], off
.LBB79_1808:
	s_mov_b32 s11, 0
.LBB79_1809:
	s_delay_alu instid0(SALU_CYCLE_1)
	s_and_b32 vcc_lo, exec_lo, s11
	s_cbranch_vccz .LBB79_1825
; %bb.1810:
	s_cmp_lt_i32 s2, 27
	s_mov_b32 s7, -1
	s_cbranch_scc1 .LBB79_1816
; %bb.1811:
	s_cmp_gt_i32 s2, 27
	s_cbranch_scc0 .LBB79_1813
; %bb.1812:
	s_wait_xcnt 0x0
	v_cndmask_b32_e64 v1, 0, 1, s0
	s_mov_b32 s7, 0
	global_store_b32 v[4:5], v1, off
.LBB79_1813:
	s_and_not1_b32 vcc_lo, exec_lo, s7
	s_cbranch_vccnz .LBB79_1815
; %bb.1814:
	s_wait_xcnt 0x0
	v_cndmask_b32_e64 v1, 0, 1, s0
	global_store_b16 v[4:5], v1, off
.LBB79_1815:
	s_mov_b32 s7, 0
.LBB79_1816:
	s_delay_alu instid0(SALU_CYCLE_1)
	s_and_not1_b32 vcc_lo, exec_lo, s7
	s_cbranch_vccnz .LBB79_1824
; %bb.1817:
	s_wait_xcnt 0x0
	v_cndmask_b32_e64 v3, 0, 1.0, s0
	v_mov_b32_e32 v6, 0x80
	s_mov_b32 s7, exec_lo
	s_delay_alu instid0(VALU_DEP_2)
	v_cmpx_gt_u32_e32 0x43800000, v3
	s_cbranch_execz .LBB79_1823
; %bb.1818:
	s_mov_b32 s11, 0
	s_mov_b32 s12, exec_lo
                                        ; implicit-def: $vgpr1
	v_cmpx_lt_u32_e32 0x3bffffff, v3
	s_xor_b32 s12, exec_lo, s12
	s_cbranch_execz .LBB79_2158
; %bb.1819:
	v_bfe_u32 v1, v3, 20, 1
	s_mov_b32 s11, exec_lo
	s_delay_alu instid0(VALU_DEP_1) | instskip(NEXT) | instid1(VALU_DEP_1)
	v_add3_u32 v1, v3, v1, 0x487ffff
                                        ; implicit-def: $vgpr3
	v_lshrrev_b32_e32 v1, 20, v1
	s_and_not1_saveexec_b32 s12, s12
	s_cbranch_execnz .LBB79_2159
.LBB79_1820:
	s_or_b32 exec_lo, exec_lo, s12
	v_mov_b32_e32 v6, 0
	s_and_saveexec_b32 s12, s11
.LBB79_1821:
	v_mov_b32_e32 v6, v1
.LBB79_1822:
	s_or_b32 exec_lo, exec_lo, s12
.LBB79_1823:
	s_delay_alu instid0(SALU_CYCLE_1)
	s_or_b32 exec_lo, exec_lo, s7
	global_store_b8 v[4:5], v6, off
.LBB79_1824:
	s_mov_b32 s7, -1
.LBB79_1825:
	s_mov_b32 s11, 0
.LBB79_1826:
	s_delay_alu instid0(SALU_CYCLE_1)
	s_and_b32 vcc_lo, exec_lo, s11
	s_cbranch_vccz .LBB79_1866
; %bb.1827:
	s_cmp_gt_i32 s2, 22
	s_mov_b32 s3, -1
	s_cbranch_scc0 .LBB79_1859
; %bb.1828:
	s_cmp_lt_i32 s2, 24
	s_cbranch_scc1 .LBB79_1848
; %bb.1829:
	s_cmp_gt_i32 s2, 24
	s_cbranch_scc0 .LBB79_1837
; %bb.1830:
	s_wait_xcnt 0x0
	v_cndmask_b32_e64 v3, 0, 1.0, s0
	v_mov_b32_e32 v6, 0x80
	s_mov_b32 s3, exec_lo
	s_delay_alu instid0(VALU_DEP_2)
	v_cmpx_gt_u32_e32 0x47800000, v3
	s_cbranch_execz .LBB79_1836
; %bb.1831:
	s_mov_b32 s7, 0
	s_mov_b32 s11, exec_lo
                                        ; implicit-def: $vgpr1
	v_cmpx_lt_u32_e32 0x37ffffff, v3
	s_xor_b32 s11, exec_lo, s11
	s_cbranch_execz .LBB79_2161
; %bb.1832:
	v_bfe_u32 v1, v3, 21, 1
	s_mov_b32 s7, exec_lo
	s_delay_alu instid0(VALU_DEP_1) | instskip(NEXT) | instid1(VALU_DEP_1)
	v_add3_u32 v1, v3, v1, 0x88fffff
                                        ; implicit-def: $vgpr3
	v_lshrrev_b32_e32 v1, 21, v1
	s_and_not1_saveexec_b32 s11, s11
	s_cbranch_execnz .LBB79_2162
.LBB79_1833:
	s_or_b32 exec_lo, exec_lo, s11
	v_mov_b32_e32 v6, 0
	s_and_saveexec_b32 s11, s7
.LBB79_1834:
	v_mov_b32_e32 v6, v1
.LBB79_1835:
	s_or_b32 exec_lo, exec_lo, s11
.LBB79_1836:
	s_delay_alu instid0(SALU_CYCLE_1)
	s_or_b32 exec_lo, exec_lo, s3
	s_mov_b32 s3, 0
	global_store_b8 v[4:5], v6, off
.LBB79_1837:
	s_and_b32 vcc_lo, exec_lo, s3
	s_cbranch_vccz .LBB79_1847
; %bb.1838:
	s_wait_xcnt 0x0
	v_cndmask_b32_e64 v3, 0, 1.0, s0
	s_mov_b32 s3, exec_lo
                                        ; implicit-def: $vgpr1
	s_delay_alu instid0(VALU_DEP_1)
	v_cmpx_gt_u32_e32 0x43f00000, v3
	s_xor_b32 s3, exec_lo, s3
	s_cbranch_execz .LBB79_1844
; %bb.1839:
	s_mov_b32 s7, exec_lo
                                        ; implicit-def: $vgpr1
	v_cmpx_lt_u32_e32 0x3c7fffff, v3
	s_xor_b32 s7, exec_lo, s7
; %bb.1840:
	v_bfe_u32 v1, v3, 20, 1
	s_delay_alu instid0(VALU_DEP_1) | instskip(NEXT) | instid1(VALU_DEP_1)
	v_add3_u32 v1, v3, v1, 0x407ffff
	v_and_b32_e32 v3, 0xff00000, v1
	v_lshrrev_b32_e32 v1, 20, v1
	s_delay_alu instid0(VALU_DEP_2) | instskip(NEXT) | instid1(VALU_DEP_2)
	v_cmp_ne_u32_e32 vcc_lo, 0x7f00000, v3
                                        ; implicit-def: $vgpr3
	v_cndmask_b32_e32 v1, 0x7e, v1, vcc_lo
; %bb.1841:
	s_and_not1_saveexec_b32 s7, s7
; %bb.1842:
	v_add_f32_e32 v1, 0x46800000, v3
; %bb.1843:
	s_or_b32 exec_lo, exec_lo, s7
                                        ; implicit-def: $vgpr3
.LBB79_1844:
	s_and_not1_saveexec_b32 s3, s3
; %bb.1845:
	v_mov_b32_e32 v1, 0x7f
	v_cmp_lt_u32_e32 vcc_lo, 0x7f800000, v3
	s_delay_alu instid0(VALU_DEP_2)
	v_cndmask_b32_e32 v1, 0x7e, v1, vcc_lo
; %bb.1846:
	s_or_b32 exec_lo, exec_lo, s3
	global_store_b8 v[4:5], v1, off
.LBB79_1847:
	s_mov_b32 s3, 0
.LBB79_1848:
	s_delay_alu instid0(SALU_CYCLE_1)
	s_and_not1_b32 vcc_lo, exec_lo, s3
	s_cbranch_vccnz .LBB79_1858
; %bb.1849:
	s_wait_xcnt 0x0
	v_cndmask_b32_e64 v3, 0, 1.0, s0
	s_mov_b32 s3, exec_lo
                                        ; implicit-def: $vgpr1
	s_delay_alu instid0(VALU_DEP_1)
	v_cmpx_gt_u32_e32 0x47800000, v3
	s_xor_b32 s3, exec_lo, s3
	s_cbranch_execz .LBB79_1855
; %bb.1850:
	s_mov_b32 s7, exec_lo
                                        ; implicit-def: $vgpr1
	v_cmpx_lt_u32_e32 0x387fffff, v3
	s_xor_b32 s7, exec_lo, s7
; %bb.1851:
	v_bfe_u32 v1, v3, 21, 1
	s_delay_alu instid0(VALU_DEP_1) | instskip(NEXT) | instid1(VALU_DEP_1)
	v_add3_u32 v1, v3, v1, 0x80fffff
                                        ; implicit-def: $vgpr3
	v_lshrrev_b32_e32 v1, 21, v1
; %bb.1852:
	s_and_not1_saveexec_b32 s7, s7
; %bb.1853:
	v_add_f32_e32 v1, 0x43000000, v3
; %bb.1854:
	s_or_b32 exec_lo, exec_lo, s7
                                        ; implicit-def: $vgpr3
.LBB79_1855:
	s_and_not1_saveexec_b32 s3, s3
; %bb.1856:
	v_mov_b32_e32 v1, 0x7f
	v_cmp_lt_u32_e32 vcc_lo, 0x7f800000, v3
	s_delay_alu instid0(VALU_DEP_2)
	v_cndmask_b32_e32 v1, 0x7c, v1, vcc_lo
; %bb.1857:
	s_or_b32 exec_lo, exec_lo, s3
	global_store_b8 v[4:5], v1, off
.LBB79_1858:
	s_mov_b32 s3, 0
	s_mov_b32 s7, -1
.LBB79_1859:
	s_and_not1_b32 vcc_lo, exec_lo, s3
	s_mov_b32 s3, 0
	s_cbranch_vccnz .LBB79_1866
; %bb.1860:
	s_cmp_gt_i32 s2, 14
	s_mov_b32 s3, -1
	s_cbranch_scc0 .LBB79_1864
; %bb.1861:
	s_cmp_eq_u32 s2, 15
	s_mov_b32 s1, -1
	s_cbranch_scc0 .LBB79_1863
; %bb.1862:
	s_wait_xcnt 0x0
	v_cndmask_b32_e64 v1, 0, 1.0, s0
	s_mov_b32 s1, 0
	s_mov_b32 s7, -1
	s_delay_alu instid0(VALU_DEP_1) | instskip(NEXT) | instid1(VALU_DEP_1)
	v_bfe_u32 v3, v1, 16, 1
	v_add3_u32 v1, v1, v3, 0x7fff
	global_store_d16_hi_b16 v[4:5], v1, off
.LBB79_1863:
	s_mov_b32 s3, 0
.LBB79_1864:
	s_delay_alu instid0(SALU_CYCLE_1)
	s_and_b32 vcc_lo, exec_lo, s3
	s_mov_b32 s3, 0
	s_cbranch_vccz .LBB79_1866
; %bb.1865:
	s_cmp_lg_u32 s2, 11
	s_mov_b32 s3, -1
	s_cselect_b32 s1, -1, 0
.LBB79_1866:
	s_delay_alu instid0(SALU_CYCLE_1)
	s_and_b32 vcc_lo, exec_lo, s1
	s_cbranch_vccnz .LBB79_2160
; %bb.1867:
	s_and_not1_b32 vcc_lo, exec_lo, s3
	s_cbranch_vccnz .LBB79_1869
.LBB79_1868:
	s_wait_xcnt 0x0
	v_cndmask_b32_e64 v1, 0, 1, s0
	s_mov_b32 s7, -1
	global_store_b8 v[4:5], v1, off
.LBB79_1869:
	s_mov_b32 s1, 0
	s_branch .LBB79_1871
.LBB79_1870:
	s_mov_b32 s1, -1
	s_mov_b32 s7, 0
.LBB79_1871:
	s_and_b32 vcc_lo, exec_lo, s1
	s_cbranch_vccz .LBB79_1910
; %bb.1872:
	s_cmp_lt_i32 s2, 5
	s_mov_b32 s1, -1
	s_cbranch_scc1 .LBB79_1893
; %bb.1873:
	s_cmp_lt_i32 s2, 8
	s_cbranch_scc1 .LBB79_1883
; %bb.1874:
	s_cmp_lt_i32 s2, 9
	s_cbranch_scc1 .LBB79_1880
; %bb.1875:
	s_cmp_gt_i32 s2, 9
	s_cbranch_scc0 .LBB79_1877
; %bb.1876:
	s_wait_xcnt 0x0
	v_cndmask_b32_e64 v1, 0, 1, s0
	v_mov_b32_e32 v8, 0
	s_mov_b32 s1, 0
	s_delay_alu instid0(VALU_DEP_2) | instskip(NEXT) | instid1(VALU_DEP_2)
	v_cvt_f64_u32_e32 v[6:7], v1
	v_mov_b32_e32 v9, v8
	global_store_b128 v[4:5], v[6:9], off
.LBB79_1877:
	s_and_not1_b32 vcc_lo, exec_lo, s1
	s_cbranch_vccnz .LBB79_1879
; %bb.1878:
	s_wait_xcnt 0x0
	v_cndmask_b32_e64 v6, 0, 1.0, s0
	v_mov_b32_e32 v7, 0
	global_store_b64 v[4:5], v[6:7], off
.LBB79_1879:
	s_mov_b32 s1, 0
.LBB79_1880:
	s_delay_alu instid0(SALU_CYCLE_1)
	s_and_not1_b32 vcc_lo, exec_lo, s1
	s_cbranch_vccnz .LBB79_1882
; %bb.1881:
	s_wait_xcnt 0x0
	v_cndmask_b32_e64 v1, 0, 1.0, s0
	s_delay_alu instid0(VALU_DEP_1) | instskip(NEXT) | instid1(VALU_DEP_1)
	v_cvt_f16_f32_e32 v1, v1
	v_and_b32_e32 v1, 0xffff, v1
	global_store_b32 v[4:5], v1, off
.LBB79_1882:
	s_mov_b32 s1, 0
.LBB79_1883:
	s_delay_alu instid0(SALU_CYCLE_1)
	s_and_not1_b32 vcc_lo, exec_lo, s1
	s_cbranch_vccnz .LBB79_1892
; %bb.1884:
	s_cmp_lt_i32 s2, 6
	s_mov_b32 s1, -1
	s_cbranch_scc1 .LBB79_1890
; %bb.1885:
	s_cmp_gt_i32 s2, 6
	s_cbranch_scc0 .LBB79_1887
; %bb.1886:
	s_wait_xcnt 0x0
	v_cndmask_b32_e64 v1, 0, 1, s0
	s_mov_b32 s1, 0
	s_delay_alu instid0(VALU_DEP_1)
	v_cvt_f64_u32_e32 v[6:7], v1
	global_store_b64 v[4:5], v[6:7], off
.LBB79_1887:
	s_and_not1_b32 vcc_lo, exec_lo, s1
	s_cbranch_vccnz .LBB79_1889
; %bb.1888:
	s_wait_xcnt 0x0
	v_cndmask_b32_e64 v1, 0, 1.0, s0
	global_store_b32 v[4:5], v1, off
.LBB79_1889:
	s_mov_b32 s1, 0
.LBB79_1890:
	s_delay_alu instid0(SALU_CYCLE_1)
	s_and_not1_b32 vcc_lo, exec_lo, s1
	s_cbranch_vccnz .LBB79_1892
; %bb.1891:
	s_wait_xcnt 0x0
	v_cndmask_b32_e64 v1, 0, 1.0, s0
	s_delay_alu instid0(VALU_DEP_1)
	v_cvt_f16_f32_e32 v1, v1
	global_store_b16 v[4:5], v1, off
.LBB79_1892:
	s_mov_b32 s1, 0
.LBB79_1893:
	s_delay_alu instid0(SALU_CYCLE_1)
	s_and_not1_b32 vcc_lo, exec_lo, s1
	s_cbranch_vccnz .LBB79_1909
; %bb.1894:
	s_cmp_lt_i32 s2, 2
	s_mov_b32 s1, -1
	s_cbranch_scc1 .LBB79_1904
; %bb.1895:
	s_cmp_lt_i32 s2, 3
	s_cbranch_scc1 .LBB79_1901
; %bb.1896:
	s_cmp_gt_i32 s2, 3
	s_cbranch_scc0 .LBB79_1898
; %bb.1897:
	s_mov_b32 s1, 0
	s_wait_xcnt 0x0
	v_cndmask_b32_e64 v6, 0, 1, s0
	v_mov_b32_e32 v7, s1
	global_store_b64 v[4:5], v[6:7], off
.LBB79_1898:
	s_and_not1_b32 vcc_lo, exec_lo, s1
	s_cbranch_vccnz .LBB79_1900
; %bb.1899:
	s_wait_xcnt 0x0
	v_cndmask_b32_e64 v1, 0, 1, s0
	global_store_b32 v[4:5], v1, off
.LBB79_1900:
	s_mov_b32 s1, 0
.LBB79_1901:
	s_delay_alu instid0(SALU_CYCLE_1)
	s_and_not1_b32 vcc_lo, exec_lo, s1
	s_cbranch_vccnz .LBB79_1903
; %bb.1902:
	s_wait_xcnt 0x0
	v_cndmask_b32_e64 v1, 0, 1, s0
	global_store_b16 v[4:5], v1, off
.LBB79_1903:
	s_mov_b32 s1, 0
.LBB79_1904:
	s_delay_alu instid0(SALU_CYCLE_1)
	s_and_not1_b32 vcc_lo, exec_lo, s1
	s_cbranch_vccnz .LBB79_1909
; %bb.1905:
	s_wait_xcnt 0x0
	v_cndmask_b32_e64 v1, 0, 1, s0
	s_cmp_gt_i32 s2, 0
	s_mov_b32 s0, -1
	s_cbranch_scc0 .LBB79_1907
; %bb.1906:
	s_mov_b32 s0, 0
	global_store_b8 v[4:5], v1, off
.LBB79_1907:
	s_and_not1_b32 vcc_lo, exec_lo, s0
	s_cbranch_vccnz .LBB79_1909
; %bb.1908:
	global_store_b8 v[4:5], v1, off
.LBB79_1909:
	s_mov_b32 s7, -1
.LBB79_1910:
	s_delay_alu instid0(SALU_CYCLE_1)
	s_and_not1_b32 vcc_lo, exec_lo, s7
	s_cbranch_vccnz .LBB79_2106
; %bb.1911:
	s_wait_xcnt 0x0
	v_mov_b32_e32 v3, 0
	v_cmp_eq_f32_e64 s0, 0xff800000, v12
	s_cmp_lt_i32 s2, 11
	v_add_nc_u64_e32 v[2:3], s[4:5], v[2:3]
	s_cbranch_scc1 .LBB79_1989
; %bb.1912:
	s_mov_b32 s11, -1
	s_mov_b32 s3, 0
	s_cmp_gt_i32 s2, 25
	s_mov_b32 s7, 0
	s_mov_b32 s1, 0
	s_cbranch_scc0 .LBB79_1945
; %bb.1913:
	s_cmp_gt_i32 s2, 28
	s_cbranch_scc0 .LBB79_1928
; %bb.1914:
	s_cmp_gt_i32 s2, 43
	;; [unrolled: 3-line block ×3, first 2 shown]
	s_cbranch_scc0 .LBB79_1918
; %bb.1916:
	s_mov_b32 s1, -1
	s_mov_b32 s11, 0
	s_cmp_eq_u32 s2, 46
	s_cbranch_scc0 .LBB79_1918
; %bb.1917:
	v_cndmask_b32_e64 v1, 0, 1.0, s0
	s_mov_b32 s1, 0
	s_mov_b32 s7, -1
	s_delay_alu instid0(VALU_DEP_1) | instskip(NEXT) | instid1(VALU_DEP_1)
	v_bfe_u32 v4, v1, 16, 1
	v_add3_u32 v1, v1, v4, 0x7fff
	s_delay_alu instid0(VALU_DEP_1)
	v_lshrrev_b32_e32 v1, 16, v1
	global_store_b32 v[2:3], v1, off
.LBB79_1918:
	s_and_b32 vcc_lo, exec_lo, s11
	s_cbranch_vccz .LBB79_1923
; %bb.1919:
	s_cmp_eq_u32 s2, 44
	s_mov_b32 s1, -1
	s_cbranch_scc0 .LBB79_1923
; %bb.1920:
	v_cndmask_b32_e64 v5, 0, 1.0, s0
	s_mov_b32 s7, exec_lo
	s_wait_xcnt 0x0
	s_delay_alu instid0(VALU_DEP_1) | instskip(NEXT) | instid1(VALU_DEP_1)
	v_dual_mov_b32 v4, 0xff :: v_dual_lshrrev_b32 v1, 23, v5
	v_cmpx_ne_u32_e32 0xff, v1
; %bb.1921:
	v_and_b32_e32 v4, 0x400000, v5
	v_and_or_b32 v5, 0x3fffff, v5, v1
	s_delay_alu instid0(VALU_DEP_2) | instskip(NEXT) | instid1(VALU_DEP_2)
	v_cmp_ne_u32_e32 vcc_lo, 0, v4
	v_cmp_ne_u32_e64 s1, 0, v5
	s_and_b32 s1, vcc_lo, s1
	s_delay_alu instid0(SALU_CYCLE_1) | instskip(NEXT) | instid1(VALU_DEP_1)
	v_cndmask_b32_e64 v4, 0, 1, s1
	v_add_nc_u32_e32 v4, v1, v4
; %bb.1922:
	s_or_b32 exec_lo, exec_lo, s7
	s_mov_b32 s1, 0
	s_mov_b32 s7, -1
	global_store_b8 v[2:3], v4, off
.LBB79_1923:
	s_mov_b32 s11, 0
.LBB79_1924:
	s_delay_alu instid0(SALU_CYCLE_1)
	s_and_b32 vcc_lo, exec_lo, s11
	s_cbranch_vccz .LBB79_1927
; %bb.1925:
	s_cmp_eq_u32 s2, 29
	s_mov_b32 s1, -1
	s_cbranch_scc0 .LBB79_1927
; %bb.1926:
	s_mov_b32 s1, 0
	s_wait_xcnt 0x0
	v_cndmask_b32_e64 v4, 0, 1, s0
	v_mov_b32_e32 v5, s1
	s_mov_b32 s7, -1
	global_store_b64 v[2:3], v[4:5], off
.LBB79_1927:
	s_mov_b32 s11, 0
.LBB79_1928:
	s_delay_alu instid0(SALU_CYCLE_1)
	s_and_b32 vcc_lo, exec_lo, s11
	s_cbranch_vccz .LBB79_1944
; %bb.1929:
	s_cmp_lt_i32 s2, 27
	s_mov_b32 s7, -1
	s_cbranch_scc1 .LBB79_1935
; %bb.1930:
	s_cmp_gt_i32 s2, 27
	s_cbranch_scc0 .LBB79_1932
; %bb.1931:
	s_wait_xcnt 0x0
	v_cndmask_b32_e64 v1, 0, 1, s0
	s_mov_b32 s7, 0
	global_store_b32 v[2:3], v1, off
.LBB79_1932:
	s_and_not1_b32 vcc_lo, exec_lo, s7
	s_cbranch_vccnz .LBB79_1934
; %bb.1933:
	s_wait_xcnt 0x0
	v_cndmask_b32_e64 v1, 0, 1, s0
	global_store_b16 v[2:3], v1, off
.LBB79_1934:
	s_mov_b32 s7, 0
.LBB79_1935:
	s_delay_alu instid0(SALU_CYCLE_1)
	s_and_not1_b32 vcc_lo, exec_lo, s7
	s_cbranch_vccnz .LBB79_1943
; %bb.1936:
	s_wait_xcnt 0x0
	v_cndmask_b32_e64 v4, 0, 1.0, s0
	v_mov_b32_e32 v5, 0x80
	s_mov_b32 s7, exec_lo
	s_delay_alu instid0(VALU_DEP_2)
	v_cmpx_gt_u32_e32 0x43800000, v4
	s_cbranch_execz .LBB79_1942
; %bb.1937:
	s_mov_b32 s11, 0
	s_mov_b32 s12, exec_lo
                                        ; implicit-def: $vgpr1
	v_cmpx_lt_u32_e32 0x3bffffff, v4
	s_xor_b32 s12, exec_lo, s12
	s_cbranch_execz .LBB79_2163
; %bb.1938:
	v_bfe_u32 v1, v4, 20, 1
	s_mov_b32 s11, exec_lo
	s_delay_alu instid0(VALU_DEP_1) | instskip(NEXT) | instid1(VALU_DEP_1)
	v_add3_u32 v1, v4, v1, 0x487ffff
                                        ; implicit-def: $vgpr4
	v_lshrrev_b32_e32 v1, 20, v1
	s_and_not1_saveexec_b32 s12, s12
	s_cbranch_execnz .LBB79_2164
.LBB79_1939:
	s_or_b32 exec_lo, exec_lo, s12
	v_mov_b32_e32 v5, 0
	s_and_saveexec_b32 s12, s11
.LBB79_1940:
	v_mov_b32_e32 v5, v1
.LBB79_1941:
	s_or_b32 exec_lo, exec_lo, s12
.LBB79_1942:
	s_delay_alu instid0(SALU_CYCLE_1)
	s_or_b32 exec_lo, exec_lo, s7
	global_store_b8 v[2:3], v5, off
.LBB79_1943:
	s_mov_b32 s7, -1
.LBB79_1944:
	s_mov_b32 s11, 0
.LBB79_1945:
	s_delay_alu instid0(SALU_CYCLE_1)
	s_and_b32 vcc_lo, exec_lo, s11
	s_cbranch_vccz .LBB79_1985
; %bb.1946:
	s_cmp_gt_i32 s2, 22
	s_mov_b32 s3, -1
	s_cbranch_scc0 .LBB79_1978
; %bb.1947:
	s_cmp_lt_i32 s2, 24
	s_cbranch_scc1 .LBB79_1967
; %bb.1948:
	s_cmp_gt_i32 s2, 24
	s_cbranch_scc0 .LBB79_1956
; %bb.1949:
	s_wait_xcnt 0x0
	v_cndmask_b32_e64 v4, 0, 1.0, s0
	v_mov_b32_e32 v5, 0x80
	s_mov_b32 s3, exec_lo
	s_delay_alu instid0(VALU_DEP_2)
	v_cmpx_gt_u32_e32 0x47800000, v4
	s_cbranch_execz .LBB79_1955
; %bb.1950:
	s_mov_b32 s7, 0
	s_mov_b32 s11, exec_lo
                                        ; implicit-def: $vgpr1
	v_cmpx_lt_u32_e32 0x37ffffff, v4
	s_xor_b32 s11, exec_lo, s11
	s_cbranch_execz .LBB79_2166
; %bb.1951:
	v_bfe_u32 v1, v4, 21, 1
	s_mov_b32 s7, exec_lo
	s_delay_alu instid0(VALU_DEP_1) | instskip(NEXT) | instid1(VALU_DEP_1)
	v_add3_u32 v1, v4, v1, 0x88fffff
                                        ; implicit-def: $vgpr4
	v_lshrrev_b32_e32 v1, 21, v1
	s_and_not1_saveexec_b32 s11, s11
	s_cbranch_execnz .LBB79_2167
.LBB79_1952:
	s_or_b32 exec_lo, exec_lo, s11
	v_mov_b32_e32 v5, 0
	s_and_saveexec_b32 s11, s7
.LBB79_1953:
	v_mov_b32_e32 v5, v1
.LBB79_1954:
	s_or_b32 exec_lo, exec_lo, s11
.LBB79_1955:
	s_delay_alu instid0(SALU_CYCLE_1)
	s_or_b32 exec_lo, exec_lo, s3
	s_mov_b32 s3, 0
	global_store_b8 v[2:3], v5, off
.LBB79_1956:
	s_and_b32 vcc_lo, exec_lo, s3
	s_cbranch_vccz .LBB79_1966
; %bb.1957:
	s_wait_xcnt 0x0
	v_cndmask_b32_e64 v4, 0, 1.0, s0
	s_mov_b32 s3, exec_lo
                                        ; implicit-def: $vgpr1
	s_delay_alu instid0(VALU_DEP_1)
	v_cmpx_gt_u32_e32 0x43f00000, v4
	s_xor_b32 s3, exec_lo, s3
	s_cbranch_execz .LBB79_1963
; %bb.1958:
	s_mov_b32 s7, exec_lo
                                        ; implicit-def: $vgpr1
	v_cmpx_lt_u32_e32 0x3c7fffff, v4
	s_xor_b32 s7, exec_lo, s7
; %bb.1959:
	v_bfe_u32 v1, v4, 20, 1
	s_delay_alu instid0(VALU_DEP_1) | instskip(NEXT) | instid1(VALU_DEP_1)
	v_add3_u32 v1, v4, v1, 0x407ffff
	v_and_b32_e32 v4, 0xff00000, v1
	v_lshrrev_b32_e32 v1, 20, v1
	s_delay_alu instid0(VALU_DEP_2) | instskip(NEXT) | instid1(VALU_DEP_2)
	v_cmp_ne_u32_e32 vcc_lo, 0x7f00000, v4
                                        ; implicit-def: $vgpr4
	v_cndmask_b32_e32 v1, 0x7e, v1, vcc_lo
; %bb.1960:
	s_and_not1_saveexec_b32 s7, s7
; %bb.1961:
	v_add_f32_e32 v1, 0x46800000, v4
; %bb.1962:
	s_or_b32 exec_lo, exec_lo, s7
                                        ; implicit-def: $vgpr4
.LBB79_1963:
	s_and_not1_saveexec_b32 s3, s3
; %bb.1964:
	v_mov_b32_e32 v1, 0x7f
	v_cmp_lt_u32_e32 vcc_lo, 0x7f800000, v4
	s_delay_alu instid0(VALU_DEP_2)
	v_cndmask_b32_e32 v1, 0x7e, v1, vcc_lo
; %bb.1965:
	s_or_b32 exec_lo, exec_lo, s3
	global_store_b8 v[2:3], v1, off
.LBB79_1966:
	s_mov_b32 s3, 0
.LBB79_1967:
	s_delay_alu instid0(SALU_CYCLE_1)
	s_and_not1_b32 vcc_lo, exec_lo, s3
	s_cbranch_vccnz .LBB79_1977
; %bb.1968:
	s_wait_xcnt 0x0
	v_cndmask_b32_e64 v4, 0, 1.0, s0
	s_mov_b32 s3, exec_lo
                                        ; implicit-def: $vgpr1
	s_delay_alu instid0(VALU_DEP_1)
	v_cmpx_gt_u32_e32 0x47800000, v4
	s_xor_b32 s3, exec_lo, s3
	s_cbranch_execz .LBB79_1974
; %bb.1969:
	s_mov_b32 s7, exec_lo
                                        ; implicit-def: $vgpr1
	v_cmpx_lt_u32_e32 0x387fffff, v4
	s_xor_b32 s7, exec_lo, s7
; %bb.1970:
	v_bfe_u32 v1, v4, 21, 1
	s_delay_alu instid0(VALU_DEP_1) | instskip(NEXT) | instid1(VALU_DEP_1)
	v_add3_u32 v1, v4, v1, 0x80fffff
                                        ; implicit-def: $vgpr4
	v_lshrrev_b32_e32 v1, 21, v1
; %bb.1971:
	s_and_not1_saveexec_b32 s7, s7
; %bb.1972:
	v_add_f32_e32 v1, 0x43000000, v4
; %bb.1973:
	s_or_b32 exec_lo, exec_lo, s7
                                        ; implicit-def: $vgpr4
.LBB79_1974:
	s_and_not1_saveexec_b32 s3, s3
; %bb.1975:
	v_mov_b32_e32 v1, 0x7f
	v_cmp_lt_u32_e32 vcc_lo, 0x7f800000, v4
	s_delay_alu instid0(VALU_DEP_2)
	v_cndmask_b32_e32 v1, 0x7c, v1, vcc_lo
; %bb.1976:
	s_or_b32 exec_lo, exec_lo, s3
	global_store_b8 v[2:3], v1, off
.LBB79_1977:
	s_mov_b32 s3, 0
	s_mov_b32 s7, -1
.LBB79_1978:
	s_and_not1_b32 vcc_lo, exec_lo, s3
	s_mov_b32 s3, 0
	s_cbranch_vccnz .LBB79_1985
; %bb.1979:
	s_cmp_gt_i32 s2, 14
	s_mov_b32 s3, -1
	s_cbranch_scc0 .LBB79_1983
; %bb.1980:
	s_cmp_eq_u32 s2, 15
	s_mov_b32 s1, -1
	s_cbranch_scc0 .LBB79_1982
; %bb.1981:
	s_wait_xcnt 0x0
	v_cndmask_b32_e64 v1, 0, 1.0, s0
	s_mov_b32 s1, 0
	s_mov_b32 s7, -1
	s_delay_alu instid0(VALU_DEP_1) | instskip(NEXT) | instid1(VALU_DEP_1)
	v_bfe_u32 v4, v1, 16, 1
	v_add3_u32 v1, v1, v4, 0x7fff
	global_store_d16_hi_b16 v[2:3], v1, off
.LBB79_1982:
	s_mov_b32 s3, 0
.LBB79_1983:
	s_delay_alu instid0(SALU_CYCLE_1)
	s_and_b32 vcc_lo, exec_lo, s3
	s_mov_b32 s3, 0
	s_cbranch_vccz .LBB79_1985
; %bb.1984:
	s_cmp_lg_u32 s2, 11
	s_mov_b32 s3, -1
	s_cselect_b32 s1, -1, 0
.LBB79_1985:
	s_delay_alu instid0(SALU_CYCLE_1)
	s_and_b32 vcc_lo, exec_lo, s1
	s_cbranch_vccnz .LBB79_2165
; %bb.1986:
	s_and_not1_b32 vcc_lo, exec_lo, s3
	s_cbranch_vccnz .LBB79_1988
.LBB79_1987:
	s_wait_xcnt 0x0
	v_cndmask_b32_e64 v1, 0, 1, s0
	s_mov_b32 s7, -1
	global_store_b8 v[2:3], v1, off
.LBB79_1988:
	s_mov_b32 s1, 0
	s_branch .LBB79_1990
.LBB79_1989:
	s_mov_b32 s1, -1
	s_mov_b32 s7, 0
.LBB79_1990:
	s_and_b32 vcc_lo, exec_lo, s1
	s_cbranch_vccz .LBB79_2029
; %bb.1991:
	s_cmp_lt_i32 s2, 5
	s_mov_b32 s1, -1
	s_cbranch_scc1 .LBB79_2012
; %bb.1992:
	s_cmp_lt_i32 s2, 8
	s_cbranch_scc1 .LBB79_2002
; %bb.1993:
	s_cmp_lt_i32 s2, 9
	s_cbranch_scc1 .LBB79_1999
; %bb.1994:
	s_cmp_gt_i32 s2, 9
	s_cbranch_scc0 .LBB79_1996
; %bb.1995:
	s_wait_xcnt 0x0
	v_cndmask_b32_e64 v1, 0, 1, s0
	v_mov_b32_e32 v6, 0
	s_mov_b32 s1, 0
	s_delay_alu instid0(VALU_DEP_2) | instskip(NEXT) | instid1(VALU_DEP_2)
	v_cvt_f64_u32_e32 v[4:5], v1
	v_mov_b32_e32 v7, v6
	global_store_b128 v[2:3], v[4:7], off
.LBB79_1996:
	s_and_not1_b32 vcc_lo, exec_lo, s1
	s_cbranch_vccnz .LBB79_1998
; %bb.1997:
	s_wait_xcnt 0x0
	v_cndmask_b32_e64 v4, 0, 1.0, s0
	v_mov_b32_e32 v5, 0
	global_store_b64 v[2:3], v[4:5], off
.LBB79_1998:
	s_mov_b32 s1, 0
.LBB79_1999:
	s_delay_alu instid0(SALU_CYCLE_1)
	s_and_not1_b32 vcc_lo, exec_lo, s1
	s_cbranch_vccnz .LBB79_2001
; %bb.2000:
	s_wait_xcnt 0x0
	v_cndmask_b32_e64 v1, 0, 1.0, s0
	s_delay_alu instid0(VALU_DEP_1) | instskip(NEXT) | instid1(VALU_DEP_1)
	v_cvt_f16_f32_e32 v1, v1
	v_and_b32_e32 v1, 0xffff, v1
	global_store_b32 v[2:3], v1, off
.LBB79_2001:
	s_mov_b32 s1, 0
.LBB79_2002:
	s_delay_alu instid0(SALU_CYCLE_1)
	s_and_not1_b32 vcc_lo, exec_lo, s1
	s_cbranch_vccnz .LBB79_2011
; %bb.2003:
	s_cmp_lt_i32 s2, 6
	s_mov_b32 s1, -1
	s_cbranch_scc1 .LBB79_2009
; %bb.2004:
	s_cmp_gt_i32 s2, 6
	s_cbranch_scc0 .LBB79_2006
; %bb.2005:
	s_wait_xcnt 0x0
	v_cndmask_b32_e64 v1, 0, 1, s0
	s_mov_b32 s1, 0
	s_delay_alu instid0(VALU_DEP_1)
	v_cvt_f64_u32_e32 v[4:5], v1
	global_store_b64 v[2:3], v[4:5], off
.LBB79_2006:
	s_and_not1_b32 vcc_lo, exec_lo, s1
	s_cbranch_vccnz .LBB79_2008
; %bb.2007:
	s_wait_xcnt 0x0
	v_cndmask_b32_e64 v1, 0, 1.0, s0
	global_store_b32 v[2:3], v1, off
.LBB79_2008:
	s_mov_b32 s1, 0
.LBB79_2009:
	s_delay_alu instid0(SALU_CYCLE_1)
	s_and_not1_b32 vcc_lo, exec_lo, s1
	s_cbranch_vccnz .LBB79_2011
; %bb.2010:
	s_wait_xcnt 0x0
	v_cndmask_b32_e64 v1, 0, 1.0, s0
	s_delay_alu instid0(VALU_DEP_1)
	v_cvt_f16_f32_e32 v1, v1
	global_store_b16 v[2:3], v1, off
.LBB79_2011:
	s_mov_b32 s1, 0
.LBB79_2012:
	s_delay_alu instid0(SALU_CYCLE_1)
	s_and_not1_b32 vcc_lo, exec_lo, s1
	s_cbranch_vccnz .LBB79_2028
; %bb.2013:
	s_cmp_lt_i32 s2, 2
	s_mov_b32 s1, -1
	s_cbranch_scc1 .LBB79_2023
; %bb.2014:
	s_cmp_lt_i32 s2, 3
	s_cbranch_scc1 .LBB79_2020
; %bb.2015:
	s_cmp_gt_i32 s2, 3
	s_cbranch_scc0 .LBB79_2017
; %bb.2016:
	s_mov_b32 s1, 0
	s_wait_xcnt 0x0
	v_cndmask_b32_e64 v4, 0, 1, s0
	v_mov_b32_e32 v5, s1
	global_store_b64 v[2:3], v[4:5], off
.LBB79_2017:
	s_and_not1_b32 vcc_lo, exec_lo, s1
	s_cbranch_vccnz .LBB79_2019
; %bb.2018:
	s_wait_xcnt 0x0
	v_cndmask_b32_e64 v1, 0, 1, s0
	global_store_b32 v[2:3], v1, off
.LBB79_2019:
	s_mov_b32 s1, 0
.LBB79_2020:
	s_delay_alu instid0(SALU_CYCLE_1)
	s_and_not1_b32 vcc_lo, exec_lo, s1
	s_cbranch_vccnz .LBB79_2022
; %bb.2021:
	s_wait_xcnt 0x0
	v_cndmask_b32_e64 v1, 0, 1, s0
	global_store_b16 v[2:3], v1, off
.LBB79_2022:
	s_mov_b32 s1, 0
.LBB79_2023:
	s_delay_alu instid0(SALU_CYCLE_1)
	s_and_not1_b32 vcc_lo, exec_lo, s1
	s_cbranch_vccnz .LBB79_2028
; %bb.2024:
	s_cmp_gt_i32 s2, 0
	s_mov_b32 s1, -1
	s_cbranch_scc0 .LBB79_2026
; %bb.2025:
	s_wait_xcnt 0x0
	v_cndmask_b32_e64 v1, 0, 1, s0
	s_mov_b32 s1, 0
	global_store_b8 v[2:3], v1, off
.LBB79_2026:
	s_and_not1_b32 vcc_lo, exec_lo, s1
	s_cbranch_vccnz .LBB79_2028
; %bb.2027:
	s_wait_xcnt 0x0
	v_cndmask_b32_e64 v1, 0, 1, s0
	global_store_b8 v[2:3], v1, off
.LBB79_2028:
	s_mov_b32 s7, -1
.LBB79_2029:
	s_delay_alu instid0(SALU_CYCLE_1)
	s_and_not1_b32 vcc_lo, exec_lo, s7
	s_cbranch_vccnz .LBB79_2106
; %bb.2030:
	s_wait_xcnt 0x0
	v_mov_b32_e32 v1, 0
	v_cmp_eq_f32_e64 s1, 0xff800000, v10
	s_cmp_lt_i32 s2, 11
	v_add_nc_u64_e32 v[2:3], s[4:5], v[0:1]
	s_cbranch_scc1 .LBB79_2151
; %bb.2031:
	s_mov_b32 s4, -1
	s_mov_b32 s3, 0
	s_cmp_gt_i32 s2, 25
	s_mov_b32 s0, 0
	s_cbranch_scc0 .LBB79_2064
; %bb.2032:
	s_cmp_gt_i32 s2, 28
	s_cbranch_scc0 .LBB79_2048
; %bb.2033:
	s_cmp_gt_i32 s2, 43
	;; [unrolled: 3-line block ×3, first 2 shown]
	s_cbranch_scc0 .LBB79_2038
; %bb.2035:
	s_cmp_eq_u32 s2, 46
	s_mov_b32 s0, -1
	s_cbranch_scc0 .LBB79_2037
; %bb.2036:
	v_cndmask_b32_e64 v0, 0, 1.0, s1
	s_mov_b32 s0, 0
	s_delay_alu instid0(VALU_DEP_1) | instskip(NEXT) | instid1(VALU_DEP_1)
	v_bfe_u32 v1, v0, 16, 1
	v_add3_u32 v0, v0, v1, 0x7fff
	s_delay_alu instid0(VALU_DEP_1)
	v_lshrrev_b32_e32 v0, 16, v0
	global_store_b32 v[2:3], v0, off
.LBB79_2037:
	s_mov_b32 s4, 0
.LBB79_2038:
	s_delay_alu instid0(SALU_CYCLE_1)
	s_and_b32 vcc_lo, exec_lo, s4
	s_cbranch_vccz .LBB79_2043
; %bb.2039:
	s_cmp_eq_u32 s2, 44
	s_mov_b32 s0, -1
	s_cbranch_scc0 .LBB79_2043
; %bb.2040:
	v_cndmask_b32_e64 v4, 0, 1.0, s1
	s_mov_b32 s4, exec_lo
	s_wait_xcnt 0x0
	s_delay_alu instid0(VALU_DEP_1) | instskip(NEXT) | instid1(VALU_DEP_1)
	v_dual_mov_b32 v1, 0xff :: v_dual_lshrrev_b32 v0, 23, v4
	v_cmpx_ne_u32_e32 0xff, v0
; %bb.2041:
	v_and_b32_e32 v1, 0x400000, v4
	v_and_or_b32 v4, 0x3fffff, v4, v0
	s_delay_alu instid0(VALU_DEP_2) | instskip(NEXT) | instid1(VALU_DEP_2)
	v_cmp_ne_u32_e32 vcc_lo, 0, v1
	v_cmp_ne_u32_e64 s0, 0, v4
	s_and_b32 s0, vcc_lo, s0
	s_delay_alu instid0(SALU_CYCLE_1) | instskip(NEXT) | instid1(VALU_DEP_1)
	v_cndmask_b32_e64 v1, 0, 1, s0
	v_add_nc_u32_e32 v1, v0, v1
; %bb.2042:
	s_or_b32 exec_lo, exec_lo, s4
	s_mov_b32 s0, 0
	global_store_b8 v[2:3], v1, off
.LBB79_2043:
	s_mov_b32 s4, 0
.LBB79_2044:
	s_delay_alu instid0(SALU_CYCLE_1)
	s_and_b32 vcc_lo, exec_lo, s4
	s_cbranch_vccz .LBB79_2047
; %bb.2045:
	s_cmp_eq_u32 s2, 29
	s_mov_b32 s0, -1
	s_cbranch_scc0 .LBB79_2047
; %bb.2046:
	s_mov_b32 s0, 0
	s_wait_xcnt 0x0
	v_cndmask_b32_e64 v0, 0, 1, s1
	v_mov_b32_e32 v1, s0
	global_store_b64 v[2:3], v[0:1], off
.LBB79_2047:
	s_mov_b32 s4, 0
.LBB79_2048:
	s_delay_alu instid0(SALU_CYCLE_1)
	s_and_b32 vcc_lo, exec_lo, s4
	s_cbranch_vccz .LBB79_2063
; %bb.2049:
	s_cmp_lt_i32 s2, 27
	s_mov_b32 s4, -1
	s_cbranch_scc1 .LBB79_2055
; %bb.2050:
	s_cmp_gt_i32 s2, 27
	s_cbranch_scc0 .LBB79_2052
; %bb.2051:
	s_wait_xcnt 0x0
	v_cndmask_b32_e64 v0, 0, 1, s1
	s_mov_b32 s4, 0
	global_store_b32 v[2:3], v0, off
.LBB79_2052:
	s_and_not1_b32 vcc_lo, exec_lo, s4
	s_cbranch_vccnz .LBB79_2054
; %bb.2053:
	s_wait_xcnt 0x0
	v_cndmask_b32_e64 v0, 0, 1, s1
	global_store_b16 v[2:3], v0, off
.LBB79_2054:
	s_mov_b32 s4, 0
.LBB79_2055:
	s_delay_alu instid0(SALU_CYCLE_1)
	s_and_not1_b32 vcc_lo, exec_lo, s4
	s_cbranch_vccnz .LBB79_2063
; %bb.2056:
	s_wait_xcnt 0x0
	v_cndmask_b32_e64 v1, 0, 1.0, s1
	v_mov_b32_e32 v4, 0x80
	s_mov_b32 s4, exec_lo
	s_delay_alu instid0(VALU_DEP_2)
	v_cmpx_gt_u32_e32 0x43800000, v1
	s_cbranch_execz .LBB79_2062
; %bb.2057:
	s_mov_b32 s5, 0
	s_mov_b32 s7, exec_lo
                                        ; implicit-def: $vgpr0
	v_cmpx_lt_u32_e32 0x3bffffff, v1
	s_xor_b32 s7, exec_lo, s7
	s_cbranch_execz .LBB79_2168
; %bb.2058:
	v_bfe_u32 v0, v1, 20, 1
	s_mov_b32 s5, exec_lo
	s_delay_alu instid0(VALU_DEP_1) | instskip(NEXT) | instid1(VALU_DEP_1)
	v_add3_u32 v0, v1, v0, 0x487ffff
                                        ; implicit-def: $vgpr1
	v_lshrrev_b32_e32 v0, 20, v0
	s_and_not1_saveexec_b32 s7, s7
	s_cbranch_execnz .LBB79_2169
.LBB79_2059:
	s_or_b32 exec_lo, exec_lo, s7
	v_mov_b32_e32 v4, 0
	s_and_saveexec_b32 s7, s5
.LBB79_2060:
	v_mov_b32_e32 v4, v0
.LBB79_2061:
	s_or_b32 exec_lo, exec_lo, s7
.LBB79_2062:
	s_delay_alu instid0(SALU_CYCLE_1)
	s_or_b32 exec_lo, exec_lo, s4
	global_store_b8 v[2:3], v4, off
.LBB79_2063:
	s_mov_b32 s4, 0
.LBB79_2064:
	s_delay_alu instid0(SALU_CYCLE_1)
	s_and_b32 vcc_lo, exec_lo, s4
	s_cbranch_vccz .LBB79_2104
; %bb.2065:
	s_cmp_gt_i32 s2, 22
	s_mov_b32 s3, -1
	s_cbranch_scc0 .LBB79_2097
; %bb.2066:
	s_cmp_lt_i32 s2, 24
	s_cbranch_scc1 .LBB79_2086
; %bb.2067:
	s_cmp_gt_i32 s2, 24
	s_cbranch_scc0 .LBB79_2075
; %bb.2068:
	s_wait_xcnt 0x0
	v_cndmask_b32_e64 v1, 0, 1.0, s1
	v_mov_b32_e32 v4, 0x80
	s_mov_b32 s3, exec_lo
	s_delay_alu instid0(VALU_DEP_2)
	v_cmpx_gt_u32_e32 0x47800000, v1
	s_cbranch_execz .LBB79_2074
; %bb.2069:
	s_mov_b32 s4, 0
	s_mov_b32 s5, exec_lo
                                        ; implicit-def: $vgpr0
	v_cmpx_lt_u32_e32 0x37ffffff, v1
	s_xor_b32 s5, exec_lo, s5
	s_cbranch_execz .LBB79_2171
; %bb.2070:
	v_bfe_u32 v0, v1, 21, 1
	s_mov_b32 s4, exec_lo
	s_delay_alu instid0(VALU_DEP_1) | instskip(NEXT) | instid1(VALU_DEP_1)
	v_add3_u32 v0, v1, v0, 0x88fffff
                                        ; implicit-def: $vgpr1
	v_lshrrev_b32_e32 v0, 21, v0
	s_and_not1_saveexec_b32 s5, s5
	s_cbranch_execnz .LBB79_2172
.LBB79_2071:
	s_or_b32 exec_lo, exec_lo, s5
	v_mov_b32_e32 v4, 0
	s_and_saveexec_b32 s5, s4
.LBB79_2072:
	v_mov_b32_e32 v4, v0
.LBB79_2073:
	s_or_b32 exec_lo, exec_lo, s5
.LBB79_2074:
	s_delay_alu instid0(SALU_CYCLE_1)
	s_or_b32 exec_lo, exec_lo, s3
	s_mov_b32 s3, 0
	global_store_b8 v[2:3], v4, off
.LBB79_2075:
	s_and_b32 vcc_lo, exec_lo, s3
	s_cbranch_vccz .LBB79_2085
; %bb.2076:
	s_wait_xcnt 0x0
	v_cndmask_b32_e64 v1, 0, 1.0, s1
	s_mov_b32 s3, exec_lo
                                        ; implicit-def: $vgpr0
	s_delay_alu instid0(VALU_DEP_1)
	v_cmpx_gt_u32_e32 0x43f00000, v1
	s_xor_b32 s3, exec_lo, s3
	s_cbranch_execz .LBB79_2082
; %bb.2077:
	s_mov_b32 s4, exec_lo
                                        ; implicit-def: $vgpr0
	v_cmpx_lt_u32_e32 0x3c7fffff, v1
	s_xor_b32 s4, exec_lo, s4
; %bb.2078:
	v_bfe_u32 v0, v1, 20, 1
	s_delay_alu instid0(VALU_DEP_1) | instskip(NEXT) | instid1(VALU_DEP_1)
	v_add3_u32 v0, v1, v0, 0x407ffff
	v_and_b32_e32 v1, 0xff00000, v0
	v_lshrrev_b32_e32 v0, 20, v0
	s_delay_alu instid0(VALU_DEP_2) | instskip(NEXT) | instid1(VALU_DEP_2)
	v_cmp_ne_u32_e32 vcc_lo, 0x7f00000, v1
                                        ; implicit-def: $vgpr1
	v_cndmask_b32_e32 v0, 0x7e, v0, vcc_lo
; %bb.2079:
	s_and_not1_saveexec_b32 s4, s4
; %bb.2080:
	v_add_f32_e32 v0, 0x46800000, v1
; %bb.2081:
	s_or_b32 exec_lo, exec_lo, s4
                                        ; implicit-def: $vgpr1
.LBB79_2082:
	s_and_not1_saveexec_b32 s3, s3
; %bb.2083:
	v_mov_b32_e32 v0, 0x7f
	v_cmp_lt_u32_e32 vcc_lo, 0x7f800000, v1
	s_delay_alu instid0(VALU_DEP_2)
	v_cndmask_b32_e32 v0, 0x7e, v0, vcc_lo
; %bb.2084:
	s_or_b32 exec_lo, exec_lo, s3
	global_store_b8 v[2:3], v0, off
.LBB79_2085:
	s_mov_b32 s3, 0
.LBB79_2086:
	s_delay_alu instid0(SALU_CYCLE_1)
	s_and_not1_b32 vcc_lo, exec_lo, s3
	s_cbranch_vccnz .LBB79_2096
; %bb.2087:
	s_wait_xcnt 0x0
	v_cndmask_b32_e64 v1, 0, 1.0, s1
	s_mov_b32 s3, exec_lo
                                        ; implicit-def: $vgpr0
	s_delay_alu instid0(VALU_DEP_1)
	v_cmpx_gt_u32_e32 0x47800000, v1
	s_xor_b32 s3, exec_lo, s3
	s_cbranch_execz .LBB79_2093
; %bb.2088:
	s_mov_b32 s4, exec_lo
                                        ; implicit-def: $vgpr0
	v_cmpx_lt_u32_e32 0x387fffff, v1
	s_xor_b32 s4, exec_lo, s4
; %bb.2089:
	v_bfe_u32 v0, v1, 21, 1
	s_delay_alu instid0(VALU_DEP_1) | instskip(NEXT) | instid1(VALU_DEP_1)
	v_add3_u32 v0, v1, v0, 0x80fffff
                                        ; implicit-def: $vgpr1
	v_lshrrev_b32_e32 v0, 21, v0
; %bb.2090:
	s_and_not1_saveexec_b32 s4, s4
; %bb.2091:
	v_add_f32_e32 v0, 0x43000000, v1
; %bb.2092:
	s_or_b32 exec_lo, exec_lo, s4
                                        ; implicit-def: $vgpr1
.LBB79_2093:
	s_and_not1_saveexec_b32 s3, s3
; %bb.2094:
	v_mov_b32_e32 v0, 0x7f
	v_cmp_lt_u32_e32 vcc_lo, 0x7f800000, v1
	s_delay_alu instid0(VALU_DEP_2)
	v_cndmask_b32_e32 v0, 0x7c, v0, vcc_lo
; %bb.2095:
	s_or_b32 exec_lo, exec_lo, s3
	global_store_b8 v[2:3], v0, off
.LBB79_2096:
	s_mov_b32 s3, 0
.LBB79_2097:
	s_delay_alu instid0(SALU_CYCLE_1)
	s_and_not1_b32 vcc_lo, exec_lo, s3
	s_mov_b32 s3, 0
	s_cbranch_vccnz .LBB79_2104
; %bb.2098:
	s_cmp_gt_i32 s2, 14
	s_mov_b32 s3, -1
	s_cbranch_scc0 .LBB79_2102
; %bb.2099:
	s_cmp_eq_u32 s2, 15
	s_mov_b32 s0, -1
	s_cbranch_scc0 .LBB79_2101
; %bb.2100:
	s_wait_xcnt 0x0
	v_cndmask_b32_e64 v0, 0, 1.0, s1
	s_mov_b32 s0, 0
	s_delay_alu instid0(VALU_DEP_1) | instskip(NEXT) | instid1(VALU_DEP_1)
	v_bfe_u32 v1, v0, 16, 1
	v_add3_u32 v0, v0, v1, 0x7fff
	global_store_d16_hi_b16 v[2:3], v0, off
.LBB79_2101:
	s_mov_b32 s3, 0
.LBB79_2102:
	s_delay_alu instid0(SALU_CYCLE_1)
	s_and_b32 vcc_lo, exec_lo, s3
	s_mov_b32 s3, 0
	s_cbranch_vccz .LBB79_2104
; %bb.2103:
	s_cmp_lg_u32 s2, 11
	s_mov_b32 s3, -1
	s_cselect_b32 s0, -1, 0
.LBB79_2104:
	s_delay_alu instid0(SALU_CYCLE_1)
	s_and_b32 vcc_lo, exec_lo, s0
	s_cbranch_vccnz .LBB79_2170
.LBB79_2105:
	s_mov_b32 s0, 0
	s_branch .LBB79_2107
.LBB79_2106:
	s_mov_b32 s0, 0
	s_mov_b32 s3, 0
                                        ; implicit-def: $sgpr1
                                        ; implicit-def: $vgpr2_vgpr3
                                        ; implicit-def: $sgpr6
.LBB79_2107:
	s_and_not1_b32 s2, s8, exec_lo
	s_and_b32 s4, s10, exec_lo
	s_and_b32 s0, s0, exec_lo
	;; [unrolled: 1-line block ×3, first 2 shown]
	s_or_b32 s8, s2, s4
.LBB79_2108:
	s_wait_xcnt 0x0
	s_or_b32 exec_lo, exec_lo, s9
	s_and_saveexec_b32 s2, s8
	s_cbranch_execz .LBB79_2111
; %bb.2109:
	; divergent unreachable
	s_or_b32 exec_lo, exec_lo, s2
	s_and_saveexec_b32 s2, s30
	s_delay_alu instid0(SALU_CYCLE_1)
	s_xor_b32 s2, exec_lo, s2
	s_cbranch_execnz .LBB79_2112
.LBB79_2110:
	s_or_b32 exec_lo, exec_lo, s2
	s_and_saveexec_b32 s2, s0
	s_cbranch_execnz .LBB79_2113
	s_branch .LBB79_2150
.LBB79_2111:
	s_or_b32 exec_lo, exec_lo, s2
	s_and_saveexec_b32 s2, s30
	s_delay_alu instid0(SALU_CYCLE_1)
	s_xor_b32 s2, exec_lo, s2
	s_cbranch_execz .LBB79_2110
.LBB79_2112:
	v_cndmask_b32_e64 v0, 0, 1, s1
	s_wait_loadcnt 0x0
	global_store_b8 v[2:3], v0, off
	s_wait_xcnt 0x0
	s_or_b32 exec_lo, exec_lo, s2
	s_and_saveexec_b32 s2, s0
	s_cbranch_execz .LBB79_2150
.LBB79_2113:
	s_sext_i32_i16 s2, s6
	s_mov_b32 s0, -1
	s_cmp_lt_i32 s2, 5
	s_cbranch_scc1 .LBB79_2134
; %bb.2114:
	s_cmp_lt_i32 s2, 8
	s_cbranch_scc1 .LBB79_2124
; %bb.2115:
	;; [unrolled: 3-line block ×3, first 2 shown]
	s_cmp_gt_i32 s2, 9
	s_cbranch_scc0 .LBB79_2118
; %bb.2117:
	v_cndmask_b32_e64 v0, 0, 1, s1
	s_wait_loadcnt 0x0
	v_mov_b32_e32 v6, 0
	s_mov_b32 s0, 0
	s_delay_alu instid0(VALU_DEP_2) | instskip(NEXT) | instid1(VALU_DEP_2)
	v_cvt_f64_u32_e32 v[4:5], v0
	v_mov_b32_e32 v7, v6
	global_store_b128 v[2:3], v[4:7], off
.LBB79_2118:
	s_and_not1_b32 vcc_lo, exec_lo, s0
	s_cbranch_vccnz .LBB79_2120
; %bb.2119:
	v_cndmask_b32_e64 v0, 0, 1.0, s1
	s_wait_loadcnt 0x0
	v_mov_b32_e32 v1, 0
	global_store_b64 v[2:3], v[0:1], off
.LBB79_2120:
	s_mov_b32 s0, 0
.LBB79_2121:
	s_delay_alu instid0(SALU_CYCLE_1)
	s_and_not1_b32 vcc_lo, exec_lo, s0
	s_cbranch_vccnz .LBB79_2123
; %bb.2122:
	s_wait_xcnt 0x0
	v_cndmask_b32_e64 v0, 0, 1.0, s1
	s_delay_alu instid0(VALU_DEP_1) | instskip(NEXT) | instid1(VALU_DEP_1)
	v_cvt_f16_f32_e32 v0, v0
	v_and_b32_e32 v0, 0xffff, v0
	s_wait_loadcnt 0x0
	global_store_b32 v[2:3], v0, off
.LBB79_2123:
	s_mov_b32 s0, 0
.LBB79_2124:
	s_delay_alu instid0(SALU_CYCLE_1)
	s_and_not1_b32 vcc_lo, exec_lo, s0
	s_cbranch_vccnz .LBB79_2133
; %bb.2125:
	s_sext_i32_i16 s2, s6
	s_mov_b32 s0, -1
	s_cmp_lt_i32 s2, 6
	s_cbranch_scc1 .LBB79_2131
; %bb.2126:
	s_cmp_gt_i32 s2, 6
	s_cbranch_scc0 .LBB79_2128
; %bb.2127:
	s_wait_xcnt 0x0
	v_cndmask_b32_e64 v0, 0, 1, s1
	s_mov_b32 s0, 0
	s_wait_loadcnt 0x0
	s_delay_alu instid0(VALU_DEP_1)
	v_cvt_f64_u32_e32 v[0:1], v0
	global_store_b64 v[2:3], v[0:1], off
.LBB79_2128:
	s_and_not1_b32 vcc_lo, exec_lo, s0
	s_cbranch_vccnz .LBB79_2130
; %bb.2129:
	s_wait_xcnt 0x0
	v_cndmask_b32_e64 v0, 0, 1.0, s1
	s_wait_loadcnt 0x0
	global_store_b32 v[2:3], v0, off
.LBB79_2130:
	s_mov_b32 s0, 0
.LBB79_2131:
	s_delay_alu instid0(SALU_CYCLE_1)
	s_and_not1_b32 vcc_lo, exec_lo, s0
	s_cbranch_vccnz .LBB79_2133
; %bb.2132:
	s_wait_xcnt 0x0
	v_cndmask_b32_e64 v0, 0, 1.0, s1
	s_delay_alu instid0(VALU_DEP_1)
	v_cvt_f16_f32_e32 v0, v0
	s_wait_loadcnt 0x0
	global_store_b16 v[2:3], v0, off
.LBB79_2133:
	s_mov_b32 s0, 0
.LBB79_2134:
	s_delay_alu instid0(SALU_CYCLE_1)
	s_and_not1_b32 vcc_lo, exec_lo, s0
	s_cbranch_vccnz .LBB79_2150
; %bb.2135:
	s_sext_i32_i16 s2, s6
	s_mov_b32 s0, -1
	s_cmp_lt_i32 s2, 2
	s_cbranch_scc1 .LBB79_2145
; %bb.2136:
	s_cmp_lt_i32 s2, 3
	s_cbranch_scc1 .LBB79_2142
; %bb.2137:
	s_cmp_gt_i32 s2, 3
	s_cbranch_scc0 .LBB79_2139
; %bb.2138:
	s_mov_b32 s0, 0
	s_wait_xcnt 0x0
	v_cndmask_b32_e64 v0, 0, 1, s1
	s_wait_loadcnt 0x0
	v_mov_b32_e32 v1, s0
	global_store_b64 v[2:3], v[0:1], off
.LBB79_2139:
	s_and_not1_b32 vcc_lo, exec_lo, s0
	s_cbranch_vccnz .LBB79_2141
; %bb.2140:
	s_wait_xcnt 0x0
	v_cndmask_b32_e64 v0, 0, 1, s1
	s_wait_loadcnt 0x0
	global_store_b32 v[2:3], v0, off
.LBB79_2141:
	s_mov_b32 s0, 0
.LBB79_2142:
	s_delay_alu instid0(SALU_CYCLE_1)
	s_and_not1_b32 vcc_lo, exec_lo, s0
	s_cbranch_vccnz .LBB79_2144
; %bb.2143:
	s_wait_xcnt 0x0
	v_cndmask_b32_e64 v0, 0, 1, s1
	s_wait_loadcnt 0x0
	global_store_b16 v[2:3], v0, off
.LBB79_2144:
	s_mov_b32 s0, 0
.LBB79_2145:
	s_delay_alu instid0(SALU_CYCLE_1)
	s_and_not1_b32 vcc_lo, exec_lo, s0
	s_cbranch_vccnz .LBB79_2150
; %bb.2146:
	s_sext_i32_i16 s0, s6
	s_delay_alu instid0(SALU_CYCLE_1)
	s_cmp_gt_i32 s0, 0
	s_mov_b32 s0, -1
	s_cbranch_scc0 .LBB79_2148
; %bb.2147:
	s_wait_xcnt 0x0
	v_cndmask_b32_e64 v0, 0, 1, s1
	s_mov_b32 s0, 0
	s_wait_loadcnt 0x0
	global_store_b8 v[2:3], v0, off
.LBB79_2148:
	s_and_not1_b32 vcc_lo, exec_lo, s0
	s_cbranch_vccnz .LBB79_2150
; %bb.2149:
	s_wait_xcnt 0x0
	v_cndmask_b32_e64 v0, 0, 1, s1
	s_wait_loadcnt 0x0
	global_store_b8 v[2:3], v0, off
	s_endpgm
.LBB79_2150:
	s_endpgm
.LBB79_2151:
	s_mov_b32 s3, 0
	s_mov_b32 s0, -1
	s_branch .LBB79_2107
.LBB79_2152:
	s_or_b32 s10, s10, exec_lo
	s_trap 2
	s_cbranch_execz .LBB79_1621
	s_branch .LBB79_1622
.LBB79_2153:
	s_and_not1_saveexec_b32 s12, s12
	s_cbranch_execz .LBB79_1701
.LBB79_2154:
	v_add_f32_e32 v1, 0x46000000, v5
	s_and_not1_b32 s11, s11, exec_lo
	s_delay_alu instid0(VALU_DEP_1) | instskip(NEXT) | instid1(VALU_DEP_1)
	v_and_b32_e32 v1, 0xff, v1
	v_cmp_ne_u32_e32 vcc_lo, 0, v1
	s_and_b32 s13, vcc_lo, exec_lo
	s_delay_alu instid0(SALU_CYCLE_1)
	s_or_b32 s11, s11, s13
	s_or_b32 exec_lo, exec_lo, s12
	v_mov_b32_e32 v8, 0
	s_and_saveexec_b32 s12, s11
	s_cbranch_execnz .LBB79_1702
	s_branch .LBB79_1703
.LBB79_2155:
	s_or_b32 s10, s10, exec_lo
	s_trap 2
	s_cbranch_execz .LBB79_1749
	s_branch .LBB79_1750
.LBB79_2156:
	s_and_not1_saveexec_b32 s11, s11
	s_cbranch_execz .LBB79_1714
.LBB79_2157:
	v_add_f32_e32 v1, 0x42800000, v5
	s_and_not1_b32 s7, s7, exec_lo
	s_delay_alu instid0(VALU_DEP_1) | instskip(NEXT) | instid1(VALU_DEP_1)
	v_and_b32_e32 v1, 0xff, v1
	v_cmp_ne_u32_e32 vcc_lo, 0, v1
	s_and_b32 s12, vcc_lo, exec_lo
	s_delay_alu instid0(SALU_CYCLE_1)
	s_or_b32 s7, s7, s12
	s_or_b32 exec_lo, exec_lo, s11
	v_mov_b32_e32 v8, 0
	s_and_saveexec_b32 s11, s7
	s_cbranch_execnz .LBB79_1715
	s_branch .LBB79_1716
.LBB79_2158:
	s_and_not1_saveexec_b32 s12, s12
	s_cbranch_execz .LBB79_1820
.LBB79_2159:
	v_add_f32_e32 v1, 0x46000000, v3
	s_and_not1_b32 s11, s11, exec_lo
	s_delay_alu instid0(VALU_DEP_1) | instskip(NEXT) | instid1(VALU_DEP_1)
	v_and_b32_e32 v1, 0xff, v1
	v_cmp_ne_u32_e32 vcc_lo, 0, v1
	s_and_b32 s13, vcc_lo, exec_lo
	s_delay_alu instid0(SALU_CYCLE_1)
	s_or_b32 s11, s11, s13
	s_or_b32 exec_lo, exec_lo, s12
	v_mov_b32_e32 v6, 0
	s_and_saveexec_b32 s12, s11
	s_cbranch_execnz .LBB79_1821
	s_branch .LBB79_1822
.LBB79_2160:
	s_or_b32 s10, s10, exec_lo
	s_trap 2
	s_cbranch_execz .LBB79_1868
	s_branch .LBB79_1869
.LBB79_2161:
	s_and_not1_saveexec_b32 s11, s11
	s_cbranch_execz .LBB79_1833
.LBB79_2162:
	v_add_f32_e32 v1, 0x42800000, v3
	s_and_not1_b32 s7, s7, exec_lo
	s_delay_alu instid0(VALU_DEP_1) | instskip(NEXT) | instid1(VALU_DEP_1)
	v_and_b32_e32 v1, 0xff, v1
	v_cmp_ne_u32_e32 vcc_lo, 0, v1
	s_and_b32 s12, vcc_lo, exec_lo
	s_delay_alu instid0(SALU_CYCLE_1)
	s_or_b32 s7, s7, s12
	s_or_b32 exec_lo, exec_lo, s11
	v_mov_b32_e32 v6, 0
	s_and_saveexec_b32 s11, s7
	s_cbranch_execnz .LBB79_1834
	s_branch .LBB79_1835
.LBB79_2163:
	s_and_not1_saveexec_b32 s12, s12
	s_cbranch_execz .LBB79_1939
.LBB79_2164:
	v_add_f32_e32 v1, 0x46000000, v4
	s_and_not1_b32 s11, s11, exec_lo
	s_delay_alu instid0(VALU_DEP_1) | instskip(NEXT) | instid1(VALU_DEP_1)
	v_and_b32_e32 v1, 0xff, v1
	v_cmp_ne_u32_e32 vcc_lo, 0, v1
	s_and_b32 s13, vcc_lo, exec_lo
	s_delay_alu instid0(SALU_CYCLE_1)
	s_or_b32 s11, s11, s13
	s_or_b32 exec_lo, exec_lo, s12
	v_mov_b32_e32 v5, 0
	s_and_saveexec_b32 s12, s11
	s_cbranch_execnz .LBB79_1940
	s_branch .LBB79_1941
.LBB79_2165:
	s_or_b32 s10, s10, exec_lo
	s_trap 2
	s_cbranch_execz .LBB79_1987
	s_branch .LBB79_1988
.LBB79_2166:
	s_and_not1_saveexec_b32 s11, s11
	s_cbranch_execz .LBB79_1952
.LBB79_2167:
	v_add_f32_e32 v1, 0x42800000, v4
	s_and_not1_b32 s7, s7, exec_lo
	s_delay_alu instid0(VALU_DEP_1) | instskip(NEXT) | instid1(VALU_DEP_1)
	v_and_b32_e32 v1, 0xff, v1
	v_cmp_ne_u32_e32 vcc_lo, 0, v1
	s_and_b32 s12, vcc_lo, exec_lo
	s_delay_alu instid0(SALU_CYCLE_1)
	s_or_b32 s7, s7, s12
	s_or_b32 exec_lo, exec_lo, s11
	v_mov_b32_e32 v5, 0
	s_and_saveexec_b32 s11, s7
	s_cbranch_execnz .LBB79_1953
	s_branch .LBB79_1954
.LBB79_2168:
	s_and_not1_saveexec_b32 s7, s7
	s_cbranch_execz .LBB79_2059
.LBB79_2169:
	v_add_f32_e32 v0, 0x46000000, v1
	s_and_not1_b32 s5, s5, exec_lo
	s_delay_alu instid0(VALU_DEP_1) | instskip(NEXT) | instid1(VALU_DEP_1)
	v_and_b32_e32 v0, 0xff, v0
	v_cmp_ne_u32_e32 vcc_lo, 0, v0
	s_and_b32 s11, vcc_lo, exec_lo
	s_delay_alu instid0(SALU_CYCLE_1)
	s_or_b32 s5, s5, s11
	s_or_b32 exec_lo, exec_lo, s7
	v_mov_b32_e32 v4, 0
	s_and_saveexec_b32 s7, s5
	s_cbranch_execnz .LBB79_2060
	s_branch .LBB79_2061
.LBB79_2170:
	s_mov_b32 s3, 0
	s_or_b32 s10, s10, exec_lo
	s_trap 2
	s_branch .LBB79_2105
.LBB79_2171:
	s_and_not1_saveexec_b32 s5, s5
	s_cbranch_execz .LBB79_2071
.LBB79_2172:
	v_add_f32_e32 v0, 0x42800000, v1
	s_and_not1_b32 s4, s4, exec_lo
	s_delay_alu instid0(VALU_DEP_1) | instskip(NEXT) | instid1(VALU_DEP_1)
	v_and_b32_e32 v0, 0xff, v0
	v_cmp_ne_u32_e32 vcc_lo, 0, v0
	s_and_b32 s7, vcc_lo, exec_lo
	s_delay_alu instid0(SALU_CYCLE_1)
	s_or_b32 s4, s4, s7
	s_or_b32 exec_lo, exec_lo, s5
	v_mov_b32_e32 v4, 0
	s_and_saveexec_b32 s5, s4
	s_cbranch_execnz .LBB79_2072
	s_branch .LBB79_2073
	.section	.rodata,"a",@progbits
	.p2align	6, 0x0
	.amdhsa_kernel _ZN2at6native32elementwise_kernel_manual_unrollILi128ELi4EZNS0_15gpu_kernel_implIZZZNS0_12_GLOBAL__N_120isneginf_kernel_implERNS_18TensorIteratorBaseEENKUlvE_clEvENKUlvE0_clEvEUlfE_EEvS5_RKT_EUlibE0_EEviT1_
		.amdhsa_group_segment_fixed_size 0
		.amdhsa_private_segment_fixed_size 0
		.amdhsa_kernarg_size 360
		.amdhsa_user_sgpr_count 2
		.amdhsa_user_sgpr_dispatch_ptr 0
		.amdhsa_user_sgpr_queue_ptr 0
		.amdhsa_user_sgpr_kernarg_segment_ptr 1
		.amdhsa_user_sgpr_dispatch_id 0
		.amdhsa_user_sgpr_kernarg_preload_length 0
		.amdhsa_user_sgpr_kernarg_preload_offset 0
		.amdhsa_user_sgpr_private_segment_size 0
		.amdhsa_wavefront_size32 1
		.amdhsa_uses_dynamic_stack 0
		.amdhsa_enable_private_segment 0
		.amdhsa_system_sgpr_workgroup_id_x 1
		.amdhsa_system_sgpr_workgroup_id_y 0
		.amdhsa_system_sgpr_workgroup_id_z 0
		.amdhsa_system_sgpr_workgroup_info 0
		.amdhsa_system_vgpr_workitem_id 0
		.amdhsa_next_free_vgpr 18
		.amdhsa_next_free_sgpr 68
		.amdhsa_named_barrier_count 0
		.amdhsa_reserve_vcc 1
		.amdhsa_float_round_mode_32 0
		.amdhsa_float_round_mode_16_64 0
		.amdhsa_float_denorm_mode_32 3
		.amdhsa_float_denorm_mode_16_64 3
		.amdhsa_fp16_overflow 0
		.amdhsa_memory_ordered 1
		.amdhsa_forward_progress 1
		.amdhsa_inst_pref_size 255
		.amdhsa_round_robin_scheduling 0
		.amdhsa_exception_fp_ieee_invalid_op 0
		.amdhsa_exception_fp_denorm_src 0
		.amdhsa_exception_fp_ieee_div_zero 0
		.amdhsa_exception_fp_ieee_overflow 0
		.amdhsa_exception_fp_ieee_underflow 0
		.amdhsa_exception_fp_ieee_inexact 0
		.amdhsa_exception_int_div_zero 0
	.end_amdhsa_kernel
	.section	.text._ZN2at6native32elementwise_kernel_manual_unrollILi128ELi4EZNS0_15gpu_kernel_implIZZZNS0_12_GLOBAL__N_120isneginf_kernel_implERNS_18TensorIteratorBaseEENKUlvE_clEvENKUlvE0_clEvEUlfE_EEvS5_RKT_EUlibE0_EEviT1_,"axG",@progbits,_ZN2at6native32elementwise_kernel_manual_unrollILi128ELi4EZNS0_15gpu_kernel_implIZZZNS0_12_GLOBAL__N_120isneginf_kernel_implERNS_18TensorIteratorBaseEENKUlvE_clEvENKUlvE0_clEvEUlfE_EEvS5_RKT_EUlibE0_EEviT1_,comdat
.Lfunc_end79:
	.size	_ZN2at6native32elementwise_kernel_manual_unrollILi128ELi4EZNS0_15gpu_kernel_implIZZZNS0_12_GLOBAL__N_120isneginf_kernel_implERNS_18TensorIteratorBaseEENKUlvE_clEvENKUlvE0_clEvEUlfE_EEvS5_RKT_EUlibE0_EEviT1_, .Lfunc_end79-_ZN2at6native32elementwise_kernel_manual_unrollILi128ELi4EZNS0_15gpu_kernel_implIZZZNS0_12_GLOBAL__N_120isneginf_kernel_implERNS_18TensorIteratorBaseEENKUlvE_clEvENKUlvE0_clEvEUlfE_EEvS5_RKT_EUlibE0_EEviT1_
                                        ; -- End function
	.set _ZN2at6native32elementwise_kernel_manual_unrollILi128ELi4EZNS0_15gpu_kernel_implIZZZNS0_12_GLOBAL__N_120isneginf_kernel_implERNS_18TensorIteratorBaseEENKUlvE_clEvENKUlvE0_clEvEUlfE_EEvS5_RKT_EUlibE0_EEviT1_.num_vgpr, 18
	.set _ZN2at6native32elementwise_kernel_manual_unrollILi128ELi4EZNS0_15gpu_kernel_implIZZZNS0_12_GLOBAL__N_120isneginf_kernel_implERNS_18TensorIteratorBaseEENKUlvE_clEvENKUlvE0_clEvEUlfE_EEvS5_RKT_EUlibE0_EEviT1_.num_agpr, 0
	.set _ZN2at6native32elementwise_kernel_manual_unrollILi128ELi4EZNS0_15gpu_kernel_implIZZZNS0_12_GLOBAL__N_120isneginf_kernel_implERNS_18TensorIteratorBaseEENKUlvE_clEvENKUlvE0_clEvEUlfE_EEvS5_RKT_EUlibE0_EEviT1_.numbered_sgpr, 68
	.set _ZN2at6native32elementwise_kernel_manual_unrollILi128ELi4EZNS0_15gpu_kernel_implIZZZNS0_12_GLOBAL__N_120isneginf_kernel_implERNS_18TensorIteratorBaseEENKUlvE_clEvENKUlvE0_clEvEUlfE_EEvS5_RKT_EUlibE0_EEviT1_.num_named_barrier, 0
	.set _ZN2at6native32elementwise_kernel_manual_unrollILi128ELi4EZNS0_15gpu_kernel_implIZZZNS0_12_GLOBAL__N_120isneginf_kernel_implERNS_18TensorIteratorBaseEENKUlvE_clEvENKUlvE0_clEvEUlfE_EEvS5_RKT_EUlibE0_EEviT1_.private_seg_size, 0
	.set _ZN2at6native32elementwise_kernel_manual_unrollILi128ELi4EZNS0_15gpu_kernel_implIZZZNS0_12_GLOBAL__N_120isneginf_kernel_implERNS_18TensorIteratorBaseEENKUlvE_clEvENKUlvE0_clEvEUlfE_EEvS5_RKT_EUlibE0_EEviT1_.uses_vcc, 1
	.set _ZN2at6native32elementwise_kernel_manual_unrollILi128ELi4EZNS0_15gpu_kernel_implIZZZNS0_12_GLOBAL__N_120isneginf_kernel_implERNS_18TensorIteratorBaseEENKUlvE_clEvENKUlvE0_clEvEUlfE_EEvS5_RKT_EUlibE0_EEviT1_.uses_flat_scratch, 0
	.set _ZN2at6native32elementwise_kernel_manual_unrollILi128ELi4EZNS0_15gpu_kernel_implIZZZNS0_12_GLOBAL__N_120isneginf_kernel_implERNS_18TensorIteratorBaseEENKUlvE_clEvENKUlvE0_clEvEUlfE_EEvS5_RKT_EUlibE0_EEviT1_.has_dyn_sized_stack, 0
	.set _ZN2at6native32elementwise_kernel_manual_unrollILi128ELi4EZNS0_15gpu_kernel_implIZZZNS0_12_GLOBAL__N_120isneginf_kernel_implERNS_18TensorIteratorBaseEENKUlvE_clEvENKUlvE0_clEvEUlfE_EEvS5_RKT_EUlibE0_EEviT1_.has_recursion, 0
	.set _ZN2at6native32elementwise_kernel_manual_unrollILi128ELi4EZNS0_15gpu_kernel_implIZZZNS0_12_GLOBAL__N_120isneginf_kernel_implERNS_18TensorIteratorBaseEENKUlvE_clEvENKUlvE0_clEvEUlfE_EEvS5_RKT_EUlibE0_EEviT1_.has_indirect_call, 0
	.section	.AMDGPU.csdata,"",@progbits
; Kernel info:
; codeLenInByte = 41820
; TotalNumSgprs: 70
; NumVgprs: 18
; ScratchSize: 0
; MemoryBound: 1
; FloatMode: 240
; IeeeMode: 1
; LDSByteSize: 0 bytes/workgroup (compile time only)
; SGPRBlocks: 0
; VGPRBlocks: 1
; NumSGPRsForWavesPerEU: 70
; NumVGPRsForWavesPerEU: 18
; NamedBarCnt: 0
; Occupancy: 16
; WaveLimiterHint : 1
; COMPUTE_PGM_RSRC2:SCRATCH_EN: 0
; COMPUTE_PGM_RSRC2:USER_SGPR: 2
; COMPUTE_PGM_RSRC2:TRAP_HANDLER: 0
; COMPUTE_PGM_RSRC2:TGID_X_EN: 1
; COMPUTE_PGM_RSRC2:TGID_Y_EN: 0
; COMPUTE_PGM_RSRC2:TGID_Z_EN: 0
; COMPUTE_PGM_RSRC2:TIDIG_COMP_CNT: 0
	.section	.text._ZN2at6native29vectorized_elementwise_kernelILi16EZZZNS0_12_GLOBAL__N_120isneginf_kernel_implERNS_18TensorIteratorBaseEENKUlvE_clEvENKUlvE1_clEvEUlN3c104HalfEE_St5arrayIPcLm2EEEEviT0_T1_,"axG",@progbits,_ZN2at6native29vectorized_elementwise_kernelILi16EZZZNS0_12_GLOBAL__N_120isneginf_kernel_implERNS_18TensorIteratorBaseEENKUlvE_clEvENKUlvE1_clEvEUlN3c104HalfEE_St5arrayIPcLm2EEEEviT0_T1_,comdat
	.globl	_ZN2at6native29vectorized_elementwise_kernelILi16EZZZNS0_12_GLOBAL__N_120isneginf_kernel_implERNS_18TensorIteratorBaseEENKUlvE_clEvENKUlvE1_clEvEUlN3c104HalfEE_St5arrayIPcLm2EEEEviT0_T1_ ; -- Begin function _ZN2at6native29vectorized_elementwise_kernelILi16EZZZNS0_12_GLOBAL__N_120isneginf_kernel_implERNS_18TensorIteratorBaseEENKUlvE_clEvENKUlvE1_clEvEUlN3c104HalfEE_St5arrayIPcLm2EEEEviT0_T1_
	.p2align	8
	.type	_ZN2at6native29vectorized_elementwise_kernelILi16EZZZNS0_12_GLOBAL__N_120isneginf_kernel_implERNS_18TensorIteratorBaseEENKUlvE_clEvENKUlvE1_clEvEUlN3c104HalfEE_St5arrayIPcLm2EEEEviT0_T1_,@function
_ZN2at6native29vectorized_elementwise_kernelILi16EZZZNS0_12_GLOBAL__N_120isneginf_kernel_implERNS_18TensorIteratorBaseEENKUlvE_clEvENKUlvE1_clEvEUlN3c104HalfEE_St5arrayIPcLm2EEEEviT0_T1_: ; @_ZN2at6native29vectorized_elementwise_kernelILi16EZZZNS0_12_GLOBAL__N_120isneginf_kernel_implERNS_18TensorIteratorBaseEENKUlvE_clEvENKUlvE1_clEvEUlN3c104HalfEE_St5arrayIPcLm2EEEEviT0_T1_
; %bb.0:
	s_clause 0x1
	s_load_b32 s3, s[0:1], 0x0
	s_load_b128 s[4:7], s[0:1], 0x8
	s_wait_xcnt 0x0
	s_bfe_u32 s0, ttmp6, 0x4000c
	s_and_b32 s1, ttmp6, 15
	s_add_co_i32 s0, s0, 1
	s_getreg_b32 s2, hwreg(HW_REG_IB_STS2, 6, 4)
	s_mul_i32 s0, ttmp9, s0
	s_delay_alu instid0(SALU_CYCLE_1) | instskip(SKIP_2) | instid1(SALU_CYCLE_1)
	s_add_co_i32 s1, s1, s0
	s_cmp_eq_u32 s2, 0
	s_cselect_b32 s0, ttmp9, s1
	s_lshl_b32 s2, s0, 12
	s_mov_b32 s0, -1
	s_wait_kmcnt 0x0
	s_sub_co_i32 s1, s3, s2
	s_delay_alu instid0(SALU_CYCLE_1)
	s_cmp_gt_i32 s1, 0xfff
	s_cbranch_scc0 .LBB80_2
; %bb.1:
	s_ashr_i32 s3, s2, 31
	v_lshlrev_b32_e32 v1, 5, v0
	s_lshl_b64 s[8:9], s[2:3], 1
	s_mov_b32 s0, 0
	s_add_nc_u64 s[8:9], s[6:7], s[8:9]
	s_clause 0x1
	global_load_b128 v[2:5], v1, s[8:9]
	global_load_b128 v[6:9], v1, s[8:9] offset:16
	s_wait_xcnt 0x0
	s_add_nc_u64 s[8:9], s[4:5], s[2:3]
	s_wait_loadcnt 0x1
	v_cmp_eq_f16_e32 vcc_lo, 0xfc00, v4
	s_wait_loadcnt 0x0
	v_dual_lshrrev_b32 v12, 16, v4 :: v_dual_lshrrev_b32 v13, 16, v7
	v_dual_lshrrev_b32 v1, 16, v3 :: v_dual_lshrrev_b32 v11, 16, v5
	v_cndmask_b32_e64 v4, 0, 1, vcc_lo
	v_cmp_eq_f16_e32 vcc_lo, 0xfc00, v5
	v_lshrrev_b32_e32 v10, 16, v2
	v_dual_lshrrev_b32 v14, 16, v6 :: v_dual_lshrrev_b32 v15, 16, v9
	v_cndmask_b32_e64 v5, 0, 1, vcc_lo
	v_cmp_eq_f16_e32 vcc_lo, 0xfc00, v2
	v_lshrrev_b32_e32 v16, 16, v8
	v_cndmask_b32_e64 v2, 0, 1, vcc_lo
	v_cmp_eq_f16_e32 vcc_lo, 0xfc00, v3
	v_cndmask_b32_e64 v3, 0, 1, vcc_lo
	v_cmp_eq_f16_e32 vcc_lo, 0xfc00, v8
	;; [unrolled: 2-line block ×7, first 2 shown]
	s_delay_alu instid0(VALU_DEP_2) | instskip(SKIP_2) | instid1(VALU_DEP_2)
	v_lshlrev_b16 v12, 8, v12
	v_cndmask_b32_e64 v11, 0, 1, vcc_lo
	v_cmp_eq_f16_e32 vcc_lo, 0xfc00, v10
	v_lshlrev_b16 v11, 8, v11
	v_cndmask_b32_e64 v10, 0, 1, vcc_lo
	v_cmp_eq_f16_e32 vcc_lo, 0xfc00, v1
	s_delay_alu instid0(VALU_DEP_3) | instskip(NEXT) | instid1(VALU_DEP_3)
	v_or_b32_e32 v5, v5, v11
	v_lshlrev_b16 v10, 8, v10
	v_cndmask_b32_e64 v1, 0, 1, vcc_lo
	v_cmp_eq_f16_e32 vcc_lo, 0xfc00, v16
	s_delay_alu instid0(VALU_DEP_4) | instskip(NEXT) | instid1(VALU_DEP_3)
	v_dual_lshlrev_b32 v5, 16, v5 :: v_dual_bitop2_b32 v4, v4, v12 bitop3:0x54
	v_lshlrev_b16 v1, 8, v1
	v_cndmask_b32_e64 v16, 0, 1, vcc_lo
	v_cmp_eq_f16_e32 vcc_lo, 0xfc00, v15
	s_delay_alu instid0(VALU_DEP_4) | instskip(NEXT) | instid1(VALU_DEP_4)
	v_and_b32_e32 v4, 0xffff, v4
	v_or_b32_e32 v1, v3, v1
	s_delay_alu instid0(VALU_DEP_4) | instskip(SKIP_2) | instid1(VALU_DEP_2)
	v_lshlrev_b16 v16, 8, v16
	v_cndmask_b32_e64 v15, 0, 1, vcc_lo
	v_cmp_eq_f16_e32 vcc_lo, 0xfc00, v14
	v_lshlrev_b16 v15, 8, v15
	v_cndmask_b32_e64 v14, 0, 1, vcc_lo
	v_cmp_eq_f16_e32 vcc_lo, 0xfc00, v13
	s_delay_alu instid0(VALU_DEP_2) | instskip(SKIP_1) | instid1(VALU_DEP_2)
	v_lshlrev_b16 v14, 8, v14
	v_cndmask_b32_e64 v13, 0, 1, vcc_lo
	v_or_b32_e32 v6, v6, v14
	s_delay_alu instid0(VALU_DEP_2) | instskip(NEXT) | instid1(VALU_DEP_2)
	v_lshlrev_b16 v13, 8, v13
	v_and_b32_e32 v6, 0xffff, v6
	s_delay_alu instid0(VALU_DEP_2) | instskip(SKIP_2) | instid1(VALU_DEP_3)
	v_or_b32_e32 v7, v7, v13
	v_or_b32_e32 v3, v8, v16
	;; [unrolled: 1-line block ×3, first 2 shown]
	v_lshlrev_b32_e32 v7, 16, v7
	s_delay_alu instid0(VALU_DEP_3) | instskip(NEXT) | instid1(VALU_DEP_3)
	v_and_b32_e32 v9, 0xffff, v3
	v_dual_lshlrev_b32 v8, 16, v8 :: v_dual_bitop2_b32 v2, v2, v10 bitop3:0x54
	v_lshlrev_b32_e32 v1, 16, v1
	v_or_b32_e32 v3, v4, v5
	v_or_b32_e32 v4, v6, v7
	s_delay_alu instid0(VALU_DEP_4) | instskip(SKIP_1) | instid1(VALU_DEP_1)
	v_or_b32_e32 v5, v9, v8
	v_and_b32_e32 v2, 0xffff, v2
	v_or_b32_e32 v2, v2, v1
	global_store_b128 v0, v[2:5], s[8:9] scale_offset
.LBB80_2:
	s_and_not1_b32 vcc_lo, exec_lo, s0
	s_cbranch_vccnz .LBB80_52
; %bb.3:
	v_cmp_gt_i32_e32 vcc_lo, s1, v0
	s_wait_xcnt 0x0
	v_dual_mov_b32 v3, v0 :: v_dual_bitop2_b32 v1, s2, v0 bitop3:0x54
	v_or_b32_e32 v2, 0x100, v0
	s_mov_b32 s8, 0
	s_mov_b32 s9, 0
	s_and_saveexec_b32 s3, vcc_lo
	s_cbranch_execz .LBB80_5
; %bb.4:
	global_load_u16 v3, v1, s[6:7] scale_offset
	s_wait_loadcnt 0x0
	v_cmp_eq_f16_e64 s0, 0xfc00, v3
	v_or_b32_e32 v3, 0x100, v0
	s_and_b32 s9, s0, exec_lo
.LBB80_5:
	s_wait_xcnt 0x0
	s_or_b32 exec_lo, exec_lo, s3
	s_delay_alu instid0(SALU_CYCLE_1)
	s_mov_b32 s3, exec_lo
	v_cmpx_gt_i32_e64 s1, v3
	s_cbranch_execz .LBB80_7
; %bb.6:
	v_add_nc_u32_e32 v4, s2, v3
	v_add_nc_u32_e32 v3, 0x100, v3
	global_load_u16 v4, v4, s[6:7] scale_offset
	s_wait_loadcnt 0x0
	v_cmp_eq_f16_e64 s0, 0xfc00, v4
	s_and_b32 s8, s0, exec_lo
.LBB80_7:
	s_wait_xcnt 0x0
	s_or_b32 exec_lo, exec_lo, s3
	s_mov_b32 s10, 0
	s_mov_b32 s11, 0
	s_mov_b32 s3, exec_lo
	v_cmpx_gt_i32_e64 s1, v3
	s_cbranch_execz .LBB80_9
; %bb.8:
	v_add_nc_u32_e32 v4, s2, v3
	v_add_nc_u32_e32 v3, 0x100, v3
	global_load_u16 v4, v4, s[6:7] scale_offset
	s_wait_loadcnt 0x0
	v_cmp_eq_f16_e64 s0, 0xfc00, v4
	s_and_b32 s11, s0, exec_lo
.LBB80_9:
	s_wait_xcnt 0x0
	s_or_b32 exec_lo, exec_lo, s3
	s_delay_alu instid0(SALU_CYCLE_1)
	s_mov_b32 s3, exec_lo
	v_cmpx_gt_i32_e64 s1, v3
	s_cbranch_execz .LBB80_11
; %bb.10:
	v_add_nc_u32_e32 v4, s2, v3
	v_add_nc_u32_e32 v3, 0x100, v3
	global_load_u16 v4, v4, s[6:7] scale_offset
	s_wait_loadcnt 0x0
	v_cmp_eq_f16_e64 s0, 0xfc00, v4
	s_and_b32 s10, s0, exec_lo
.LBB80_11:
	s_wait_xcnt 0x0
	s_or_b32 exec_lo, exec_lo, s3
	s_mov_b32 s12, 0
	s_mov_b32 s14, 0
	s_mov_b32 s3, exec_lo
	v_cmpx_gt_i32_e64 s1, v3
	s_cbranch_execz .LBB80_13
; %bb.12:
	v_add_nc_u32_e32 v4, s2, v3
	v_add_nc_u32_e32 v3, 0x100, v3
	global_load_u16 v4, v4, s[6:7] scale_offset
	s_wait_loadcnt 0x0
	v_cmp_eq_f16_e64 s0, 0xfc00, v4
	s_and_b32 s14, s0, exec_lo
.LBB80_13:
	;; [unrolled: 29-line block ×7, first 2 shown]
	s_wait_xcnt 0x0
	s_or_b32 exec_lo, exec_lo, s23
	s_delay_alu instid0(SALU_CYCLE_1)
	s_mov_b32 s23, exec_lo
	v_cmpx_gt_i32_e64 s1, v3
	s_cbranch_execz .LBB80_35
; %bb.34:
	v_add_nc_u32_e32 v3, s2, v3
	global_load_u16 v3, v3, s[6:7] scale_offset
	s_wait_loadcnt 0x0
	v_cmp_eq_f16_e64 s0, 0xfc00, v3
	s_and_b32 s19, s0, exec_lo
.LBB80_35:
	s_wait_xcnt 0x0
	s_or_b32 exec_lo, exec_lo, s23
	v_cndmask_b32_e64 v5, 0, 1, s14
	v_cndmask_b32_e64 v3, 0, 1, s9
	v_cndmask_b32_e64 v4, 0, 1, s8
	v_or_b32_e32 v10, 0x400, v0
	v_cndmask_b32_e64 v9, 0, 1, s12
	v_bitop3_b16 v5, v5, 0, 0xff00 bitop3:0xf8
	v_or_b32_e32 v6, 0x200, v0
	v_lshlrev_b16 v4, 8, v4
	v_cmp_gt_i32_e64 s0, s1, v10
	v_lshlrev_b16 v9, 8, v9
	v_and_b32_e32 v5, 0xffff, v5
	v_cndmask_b32_e32 v3, 0, v3, vcc_lo
	v_cndmask_b32_e64 v7, 0, 1, s11
	v_or_b32_e32 v10, 0xc00, v0
	v_or_b32_e32 v11, 0x500, v0
	s_delay_alu instid0(VALU_DEP_4) | instskip(SKIP_3) | instid1(VALU_DEP_4)
	v_dual_cndmask_b32 v5, 0, v5, s0 :: v_dual_bitop2_b32 v4, v3, v4 bitop3:0x54
	v_cmp_gt_i32_e64 s0, s1, v2
	v_cndmask_b32_e64 v12, 0, 1, s21
	v_cndmask_b32_e64 v8, 0, 1, s10
	v_bitop3_b16 v9, v5, v9, 0xff bitop3:0xec
	v_and_b32_e32 v4, 0xffff, v4
	v_cndmask_b32_e64 v13, 0, 1, s20
	v_cndmask_b32_e64 v14, 0, 1, s18
	v_lshlrev_b16 v8, 8, v8
	v_and_b32_e32 v9, 0xffff, v9
	v_cndmask_b32_e64 v3, v3, v4, s0
	v_cmp_gt_i32_e64 s0, s1, v6
	v_cndmask_b32_e64 v4, 0, 1, s17
	s_delay_alu instid0(VALU_DEP_3) | instskip(NEXT) | instid1(VALU_DEP_1)
	v_lshl_or_b32 v7, v7, 16, v3
	v_cndmask_b32_e64 v3, v3, v7, s0
	v_cmp_gt_i32_e64 s0, s1, v10
	v_lshlrev_b16 v7, 8, v13
	v_or_b32_e32 v10, 0x800, v0
	v_or_b32_e32 v13, 0xd00, v0
	s_delay_alu instid0(VALU_DEP_4) | instskip(SKIP_2) | instid1(VALU_DEP_2)
	v_cndmask_b32_e64 v6, 0, v12, s0
	v_cmp_gt_i32_e64 s0, s1, v11
	v_cndmask_b32_e64 v11, 0, 1, s15
	v_dual_cndmask_b32 v5, v5, v9, s0 :: v_dual_lshrrev_b32 v9, 16, v3
	s_delay_alu instid0(VALU_DEP_4) | instskip(SKIP_1) | instid1(VALU_DEP_3)
	v_bitop3_b16 v7, v6, v7, 0xff bitop3:0xec
	v_cmp_gt_i32_e64 s0, s1, v10
	v_bitop3_b16 v8, v9, v8, 0xff bitop3:0xec
	s_delay_alu instid0(VALU_DEP_4) | instskip(NEXT) | instid1(VALU_DEP_4)
	v_lshrrev_b32_e32 v12, 16, v5
	v_and_b32_e32 v7, 0xffff, v7
	v_cndmask_b32_e64 v9, 0, 1, s13
	s_delay_alu instid0(VALU_DEP_4) | instskip(NEXT) | instid1(VALU_DEP_4)
	v_lshlrev_b32_e32 v8, 16, v8
	v_bitop3_b16 v4, v4, v12, 0xff00 bitop3:0xf8
	v_cndmask_b32_e64 v10, 0, v11, s0
	v_cmp_gt_i32_e64 s0, s1, v13
	v_lshlrev_b16 v9, 8, v9
	v_or_b32_e32 v11, 0x900, v0
	v_lshlrev_b32_e32 v4, 16, v4
	v_cndmask_b32_e64 v13, 0, 1, s22
	v_and_or_b32 v8, 0xffff, v3, v8
	s_delay_alu instid0(VALU_DEP_3) | instskip(SKIP_2) | instid1(VALU_DEP_1)
	v_and_or_b32 v4, 0xffff, v5, v4
	v_cndmask_b32_e64 v6, v6, v7, s0
	v_or_b32_e32 v7, 0x600, v0
	v_cmp_gt_i32_e64 s0, s1, v7
	s_delay_alu instid0(VALU_DEP_1) | instskip(NEXT) | instid1(VALU_DEP_4)
	v_dual_cndmask_b32 v4, v5, v4, s0 :: v_dual_bitop2_b32 v9, v10, v9 bitop3:0x54
	v_lshrrev_b32_e32 v12, 16, v6
	v_cmp_gt_i32_e64 s0, s1, v11
	s_delay_alu instid0(VALU_DEP_3) | instskip(NEXT) | instid1(VALU_DEP_3)
	v_and_b32_e32 v9, 0xffff, v9
	v_bitop3_b16 v5, v13, v12, 0xff00 bitop3:0xf8
	v_or_b32_e32 v12, 0xa00, v0
	v_lshrrev_b32_e32 v11, 16, v4
	v_or_b32_e32 v13, 0xe00, v0
	v_dual_cndmask_b32 v7, v10, v9, s0 :: v_dual_lshlrev_b32 v9, 16, v14
	v_lshlrev_b32_e32 v5, 16, v5
	v_cmp_gt_i32_e64 s0, s1, v12
	v_cndmask_b32_e64 v10, 0, 1, s3
	s_delay_alu instid0(VALU_DEP_4) | instskip(NEXT) | instid1(VALU_DEP_4)
	v_and_or_b32 v9, 0x1ff, v7, v9
	v_and_or_b32 v5, 0xffff, v6, v5
	s_delay_alu instid0(VALU_DEP_3) | instskip(NEXT) | instid1(VALU_DEP_3)
	v_lshlrev_b16 v10, 8, v10
	v_cndmask_b32_e64 v7, v7, v9, s0
	v_cmp_gt_i32_e64 s0, s1, v13
	v_cndmask_b32_e64 v9, 0, 1, s16
	v_or_b32_e32 v13, 0x300, v0
	s_delay_alu instid0(VALU_DEP_3)
	v_cndmask_b32_e64 v12, v6, v5, s0
	v_cndmask_b32_e64 v5, 0, 1, s19
	v_bitop3_b16 v6, v11, v10, 0xff bitop3:0xec
	v_lshlrev_b16 v9, 8, v9
	v_cmp_gt_i32_e64 s0, s1, v13
	v_dual_lshrrev_b32 v11, 16, v12 :: v_dual_lshrrev_b32 v10, 16, v7
	v_lshlrev_b16 v5, 8, v5
	s_delay_alu instid0(VALU_DEP_2) | instskip(NEXT) | instid1(VALU_DEP_4)
	v_bitop3_b16 v9, v10, v9, 0xff bitop3:0xec
	v_dual_lshlrev_b32 v10, 16, v6 :: v_dual_cndmask_b32 v6, v3, v8, s0
	s_delay_alu instid0(VALU_DEP_3) | instskip(SKIP_2) | instid1(VALU_DEP_3)
	v_bitop3_b16 v5, v11, v5, 0xff bitop3:0xec
	v_or_b32_e32 v8, 0x700, v0
	v_or_b32_e32 v11, 0xf00, v0
	v_lshlrev_b32_e32 v5, 16, v5
	s_delay_alu instid0(VALU_DEP_3) | instskip(SKIP_4) | instid1(VALU_DEP_3)
	v_cmp_gt_i32_e64 s0, s1, v8
	v_lshlrev_b32_e32 v3, 16, v9
	v_and_or_b32 v9, 0xffff, v4, v10
	v_or_b32_e32 v10, 0xb00, v0
	v_and_or_b32 v13, 0xffff, v12, v5
	v_cndmask_b32_e64 v5, v4, v9, s0
	v_and_or_b32 v3, 0xffff, v7, v3
	s_delay_alu instid0(VALU_DEP_4) | instskip(NEXT) | instid1(VALU_DEP_1)
	v_cmp_gt_i32_e64 s0, s1, v10
	v_cndmask_b32_e64 v4, v7, v3, s0
	v_cmp_gt_i32_e64 s0, s1, v11
	s_delay_alu instid0(VALU_DEP_1)
	v_cndmask_b32_e64 v3, v12, v13, s0
	s_and_saveexec_b32 s0, vcc_lo
	s_cbranch_execnz .LBB80_53
; %bb.36:
	s_or_b32 exec_lo, exec_lo, s0
	s_delay_alu instid0(SALU_CYCLE_1)
	s_mov_b32 s0, exec_lo
	v_cmpx_gt_i32_e64 s1, v0
	s_cbranch_execnz .LBB80_54
.LBB80_37:
	s_or_b32 exec_lo, exec_lo, s0
	s_delay_alu instid0(SALU_CYCLE_1)
	s_mov_b32 s0, exec_lo
	v_cmpx_gt_i32_e64 s1, v0
	s_cbranch_execnz .LBB80_55
.LBB80_38:
	s_or_b32 exec_lo, exec_lo, s0
	s_delay_alu instid0(SALU_CYCLE_1)
	s_mov_b32 s0, exec_lo
	v_cmpx_gt_i32_e64 s1, v0
	s_cbranch_execnz .LBB80_56
.LBB80_39:
	s_or_b32 exec_lo, exec_lo, s0
	s_delay_alu instid0(SALU_CYCLE_1)
	s_mov_b32 s0, exec_lo
	v_cmpx_gt_i32_e64 s1, v0
	s_cbranch_execnz .LBB80_57
.LBB80_40:
	s_or_b32 exec_lo, exec_lo, s0
	s_delay_alu instid0(SALU_CYCLE_1)
	s_mov_b32 s0, exec_lo
	v_cmpx_gt_i32_e64 s1, v0
	s_cbranch_execnz .LBB80_58
.LBB80_41:
	s_or_b32 exec_lo, exec_lo, s0
	s_delay_alu instid0(SALU_CYCLE_1)
	s_mov_b32 s0, exec_lo
	v_cmpx_gt_i32_e64 s1, v0
	s_cbranch_execnz .LBB80_59
.LBB80_42:
	s_or_b32 exec_lo, exec_lo, s0
	s_delay_alu instid0(SALU_CYCLE_1)
	s_mov_b32 s0, exec_lo
	v_cmpx_gt_i32_e64 s1, v0
	s_cbranch_execnz .LBB80_60
.LBB80_43:
	s_or_b32 exec_lo, exec_lo, s0
	s_delay_alu instid0(SALU_CYCLE_1)
	s_mov_b32 s0, exec_lo
	v_cmpx_gt_i32_e64 s1, v0
	s_cbranch_execnz .LBB80_61
.LBB80_44:
	s_or_b32 exec_lo, exec_lo, s0
	s_delay_alu instid0(SALU_CYCLE_1)
	s_mov_b32 s0, exec_lo
	v_cmpx_gt_i32_e64 s1, v0
	s_cbranch_execnz .LBB80_62
.LBB80_45:
	s_or_b32 exec_lo, exec_lo, s0
	s_delay_alu instid0(SALU_CYCLE_1)
	s_mov_b32 s0, exec_lo
	v_cmpx_gt_i32_e64 s1, v0
	s_cbranch_execnz .LBB80_63
.LBB80_46:
	s_or_b32 exec_lo, exec_lo, s0
	s_delay_alu instid0(SALU_CYCLE_1)
	s_mov_b32 s0, exec_lo
	v_cmpx_gt_i32_e64 s1, v0
	s_cbranch_execnz .LBB80_64
.LBB80_47:
	s_or_b32 exec_lo, exec_lo, s0
	s_delay_alu instid0(SALU_CYCLE_1)
	s_mov_b32 s0, exec_lo
	v_cmpx_gt_i32_e64 s1, v0
	s_cbranch_execnz .LBB80_65
.LBB80_48:
	s_or_b32 exec_lo, exec_lo, s0
	s_delay_alu instid0(SALU_CYCLE_1)
	s_mov_b32 s0, exec_lo
	v_cmpx_gt_i32_e64 s1, v0
	s_cbranch_execnz .LBB80_66
.LBB80_49:
	s_or_b32 exec_lo, exec_lo, s0
	s_delay_alu instid0(SALU_CYCLE_1)
	s_mov_b32 s0, exec_lo
	v_cmpx_gt_i32_e64 s1, v0
	s_cbranch_execnz .LBB80_67
.LBB80_50:
	s_or_b32 exec_lo, exec_lo, s0
	s_delay_alu instid0(SALU_CYCLE_1)
	s_mov_b32 s0, exec_lo
	v_cmpx_gt_i32_e64 s1, v0
	s_cbranch_execz .LBB80_52
.LBB80_51:
	v_dual_lshrrev_b32 v1, 24, v3 :: v_dual_add_nc_u32 v0, s2, v0
	global_store_b8 v0, v1, s[4:5]
.LBB80_52:
	s_endpgm
.LBB80_53:
	v_mov_b32_e32 v0, v2
	global_store_b8 v1, v6, s[4:5]
	s_wait_xcnt 0x0
	s_or_b32 exec_lo, exec_lo, s0
	s_delay_alu instid0(SALU_CYCLE_1)
	s_mov_b32 s0, exec_lo
	v_cmpx_gt_i32_e64 s1, v0
	s_cbranch_execz .LBB80_37
.LBB80_54:
	v_dual_lshrrev_b32 v1, 8, v6 :: v_dual_add_nc_u32 v2, s2, v0
	v_add_nc_u32_e32 v0, 0x100, v0
	global_store_b8 v2, v1, s[4:5]
	s_wait_xcnt 0x0
	s_or_b32 exec_lo, exec_lo, s0
	s_delay_alu instid0(SALU_CYCLE_1)
	s_mov_b32 s0, exec_lo
	v_cmpx_gt_i32_e64 s1, v0
	s_cbranch_execz .LBB80_38
.LBB80_55:
	v_add_nc_u32_e32 v1, s2, v0
	v_add_nc_u32_e32 v0, 0x100, v0
	global_store_d16_hi_b8 v1, v6, s[4:5]
	s_wait_xcnt 0x0
	s_or_b32 exec_lo, exec_lo, s0
	s_delay_alu instid0(SALU_CYCLE_1)
	s_mov_b32 s0, exec_lo
	v_cmpx_gt_i32_e64 s1, v0
	s_cbranch_execz .LBB80_39
.LBB80_56:
	v_dual_lshrrev_b32 v1, 24, v6 :: v_dual_add_nc_u32 v2, s2, v0
	v_add_nc_u32_e32 v0, 0x100, v0
	global_store_b8 v2, v1, s[4:5]
	s_wait_xcnt 0x0
	s_or_b32 exec_lo, exec_lo, s0
	s_delay_alu instid0(SALU_CYCLE_1)
	s_mov_b32 s0, exec_lo
	v_cmpx_gt_i32_e64 s1, v0
	s_cbranch_execz .LBB80_40
.LBB80_57:
	v_add_nc_u32_e32 v1, s2, v0
	v_add_nc_u32_e32 v0, 0x100, v0
	global_store_b8 v1, v5, s[4:5]
	s_wait_xcnt 0x0
	s_or_b32 exec_lo, exec_lo, s0
	s_delay_alu instid0(SALU_CYCLE_1)
	s_mov_b32 s0, exec_lo
	v_cmpx_gt_i32_e64 s1, v0
	s_cbranch_execz .LBB80_41
.LBB80_58:
	v_dual_lshrrev_b32 v1, 8, v5 :: v_dual_add_nc_u32 v2, s2, v0
	v_add_nc_u32_e32 v0, 0x100, v0
	global_store_b8 v2, v1, s[4:5]
	s_wait_xcnt 0x0
	s_or_b32 exec_lo, exec_lo, s0
	s_delay_alu instid0(SALU_CYCLE_1)
	s_mov_b32 s0, exec_lo
	v_cmpx_gt_i32_e64 s1, v0
	s_cbranch_execz .LBB80_42
.LBB80_59:
	v_add_nc_u32_e32 v1, s2, v0
	v_add_nc_u32_e32 v0, 0x100, v0
	global_store_d16_hi_b8 v1, v5, s[4:5]
	s_wait_xcnt 0x0
	s_or_b32 exec_lo, exec_lo, s0
	s_delay_alu instid0(SALU_CYCLE_1)
	s_mov_b32 s0, exec_lo
	v_cmpx_gt_i32_e64 s1, v0
	s_cbranch_execz .LBB80_43
.LBB80_60:
	v_dual_lshrrev_b32 v1, 24, v5 :: v_dual_add_nc_u32 v2, s2, v0
	v_add_nc_u32_e32 v0, 0x100, v0
	global_store_b8 v2, v1, s[4:5]
	s_wait_xcnt 0x0
	s_or_b32 exec_lo, exec_lo, s0
	s_delay_alu instid0(SALU_CYCLE_1)
	s_mov_b32 s0, exec_lo
	v_cmpx_gt_i32_e64 s1, v0
	s_cbranch_execz .LBB80_44
.LBB80_61:
	v_add_nc_u32_e32 v1, s2, v0
	v_add_nc_u32_e32 v0, 0x100, v0
	global_store_b8 v1, v4, s[4:5]
	s_wait_xcnt 0x0
	s_or_b32 exec_lo, exec_lo, s0
	s_delay_alu instid0(SALU_CYCLE_1)
	s_mov_b32 s0, exec_lo
	v_cmpx_gt_i32_e64 s1, v0
	s_cbranch_execz .LBB80_45
.LBB80_62:
	v_lshrrev_b32_e32 v1, 8, v4
	v_add_nc_u32_e32 v2, s2, v0
	v_add_nc_u32_e32 v0, 0x100, v0
	global_store_b8 v2, v1, s[4:5]
	s_wait_xcnt 0x0
	s_or_b32 exec_lo, exec_lo, s0
	s_delay_alu instid0(SALU_CYCLE_1)
	s_mov_b32 s0, exec_lo
	v_cmpx_gt_i32_e64 s1, v0
	s_cbranch_execz .LBB80_46
.LBB80_63:
	v_add_nc_u32_e32 v1, s2, v0
	v_add_nc_u32_e32 v0, 0x100, v0
	global_store_d16_hi_b8 v1, v4, s[4:5]
	s_wait_xcnt 0x0
	s_or_b32 exec_lo, exec_lo, s0
	s_delay_alu instid0(SALU_CYCLE_1)
	s_mov_b32 s0, exec_lo
	v_cmpx_gt_i32_e64 s1, v0
	s_cbranch_execz .LBB80_47
.LBB80_64:
	v_lshrrev_b32_e32 v1, 24, v4
	v_add_nc_u32_e32 v2, s2, v0
	v_add_nc_u32_e32 v0, 0x100, v0
	global_store_b8 v2, v1, s[4:5]
	s_wait_xcnt 0x0
	s_or_b32 exec_lo, exec_lo, s0
	s_delay_alu instid0(SALU_CYCLE_1)
	s_mov_b32 s0, exec_lo
	v_cmpx_gt_i32_e64 s1, v0
	s_cbranch_execz .LBB80_48
.LBB80_65:
	v_add_nc_u32_e32 v1, s2, v0
	v_add_nc_u32_e32 v0, 0x100, v0
	global_store_b8 v1, v3, s[4:5]
	s_wait_xcnt 0x0
	s_or_b32 exec_lo, exec_lo, s0
	s_delay_alu instid0(SALU_CYCLE_1)
	s_mov_b32 s0, exec_lo
	v_cmpx_gt_i32_e64 s1, v0
	s_cbranch_execz .LBB80_49
.LBB80_66:
	v_dual_lshrrev_b32 v1, 8, v3 :: v_dual_add_nc_u32 v2, s2, v0
	v_add_nc_u32_e32 v0, 0x100, v0
	global_store_b8 v2, v1, s[4:5]
	s_wait_xcnt 0x0
	s_or_b32 exec_lo, exec_lo, s0
	s_delay_alu instid0(SALU_CYCLE_1)
	s_mov_b32 s0, exec_lo
	v_cmpx_gt_i32_e64 s1, v0
	s_cbranch_execz .LBB80_50
.LBB80_67:
	v_add_nc_u32_e32 v1, s2, v0
	v_add_nc_u32_e32 v0, 0x100, v0
	global_store_d16_hi_b8 v1, v3, s[4:5]
	s_wait_xcnt 0x0
	s_or_b32 exec_lo, exec_lo, s0
	s_delay_alu instid0(SALU_CYCLE_1)
	s_mov_b32 s0, exec_lo
	v_cmpx_gt_i32_e64 s1, v0
	s_cbranch_execnz .LBB80_51
	s_branch .LBB80_52
	.section	.rodata,"a",@progbits
	.p2align	6, 0x0
	.amdhsa_kernel _ZN2at6native29vectorized_elementwise_kernelILi16EZZZNS0_12_GLOBAL__N_120isneginf_kernel_implERNS_18TensorIteratorBaseEENKUlvE_clEvENKUlvE1_clEvEUlN3c104HalfEE_St5arrayIPcLm2EEEEviT0_T1_
		.amdhsa_group_segment_fixed_size 0
		.amdhsa_private_segment_fixed_size 0
		.amdhsa_kernarg_size 24
		.amdhsa_user_sgpr_count 2
		.amdhsa_user_sgpr_dispatch_ptr 0
		.amdhsa_user_sgpr_queue_ptr 0
		.amdhsa_user_sgpr_kernarg_segment_ptr 1
		.amdhsa_user_sgpr_dispatch_id 0
		.amdhsa_user_sgpr_kernarg_preload_length 0
		.amdhsa_user_sgpr_kernarg_preload_offset 0
		.amdhsa_user_sgpr_private_segment_size 0
		.amdhsa_wavefront_size32 1
		.amdhsa_uses_dynamic_stack 0
		.amdhsa_enable_private_segment 0
		.amdhsa_system_sgpr_workgroup_id_x 1
		.amdhsa_system_sgpr_workgroup_id_y 0
		.amdhsa_system_sgpr_workgroup_id_z 0
		.amdhsa_system_sgpr_workgroup_info 0
		.amdhsa_system_vgpr_workitem_id 0
		.amdhsa_next_free_vgpr 17
		.amdhsa_next_free_sgpr 24
		.amdhsa_named_barrier_count 0
		.amdhsa_reserve_vcc 1
		.amdhsa_float_round_mode_32 0
		.amdhsa_float_round_mode_16_64 0
		.amdhsa_float_denorm_mode_32 3
		.amdhsa_float_denorm_mode_16_64 3
		.amdhsa_fp16_overflow 0
		.amdhsa_memory_ordered 1
		.amdhsa_forward_progress 1
		.amdhsa_inst_pref_size 32
		.amdhsa_round_robin_scheduling 0
		.amdhsa_exception_fp_ieee_invalid_op 0
		.amdhsa_exception_fp_denorm_src 0
		.amdhsa_exception_fp_ieee_div_zero 0
		.amdhsa_exception_fp_ieee_overflow 0
		.amdhsa_exception_fp_ieee_underflow 0
		.amdhsa_exception_fp_ieee_inexact 0
		.amdhsa_exception_int_div_zero 0
	.end_amdhsa_kernel
	.section	.text._ZN2at6native29vectorized_elementwise_kernelILi16EZZZNS0_12_GLOBAL__N_120isneginf_kernel_implERNS_18TensorIteratorBaseEENKUlvE_clEvENKUlvE1_clEvEUlN3c104HalfEE_St5arrayIPcLm2EEEEviT0_T1_,"axG",@progbits,_ZN2at6native29vectorized_elementwise_kernelILi16EZZZNS0_12_GLOBAL__N_120isneginf_kernel_implERNS_18TensorIteratorBaseEENKUlvE_clEvENKUlvE1_clEvEUlN3c104HalfEE_St5arrayIPcLm2EEEEviT0_T1_,comdat
.Lfunc_end80:
	.size	_ZN2at6native29vectorized_elementwise_kernelILi16EZZZNS0_12_GLOBAL__N_120isneginf_kernel_implERNS_18TensorIteratorBaseEENKUlvE_clEvENKUlvE1_clEvEUlN3c104HalfEE_St5arrayIPcLm2EEEEviT0_T1_, .Lfunc_end80-_ZN2at6native29vectorized_elementwise_kernelILi16EZZZNS0_12_GLOBAL__N_120isneginf_kernel_implERNS_18TensorIteratorBaseEENKUlvE_clEvENKUlvE1_clEvEUlN3c104HalfEE_St5arrayIPcLm2EEEEviT0_T1_
                                        ; -- End function
	.set _ZN2at6native29vectorized_elementwise_kernelILi16EZZZNS0_12_GLOBAL__N_120isneginf_kernel_implERNS_18TensorIteratorBaseEENKUlvE_clEvENKUlvE1_clEvEUlN3c104HalfEE_St5arrayIPcLm2EEEEviT0_T1_.num_vgpr, 17
	.set _ZN2at6native29vectorized_elementwise_kernelILi16EZZZNS0_12_GLOBAL__N_120isneginf_kernel_implERNS_18TensorIteratorBaseEENKUlvE_clEvENKUlvE1_clEvEUlN3c104HalfEE_St5arrayIPcLm2EEEEviT0_T1_.num_agpr, 0
	.set _ZN2at6native29vectorized_elementwise_kernelILi16EZZZNS0_12_GLOBAL__N_120isneginf_kernel_implERNS_18TensorIteratorBaseEENKUlvE_clEvENKUlvE1_clEvEUlN3c104HalfEE_St5arrayIPcLm2EEEEviT0_T1_.numbered_sgpr, 24
	.set _ZN2at6native29vectorized_elementwise_kernelILi16EZZZNS0_12_GLOBAL__N_120isneginf_kernel_implERNS_18TensorIteratorBaseEENKUlvE_clEvENKUlvE1_clEvEUlN3c104HalfEE_St5arrayIPcLm2EEEEviT0_T1_.num_named_barrier, 0
	.set _ZN2at6native29vectorized_elementwise_kernelILi16EZZZNS0_12_GLOBAL__N_120isneginf_kernel_implERNS_18TensorIteratorBaseEENKUlvE_clEvENKUlvE1_clEvEUlN3c104HalfEE_St5arrayIPcLm2EEEEviT0_T1_.private_seg_size, 0
	.set _ZN2at6native29vectorized_elementwise_kernelILi16EZZZNS0_12_GLOBAL__N_120isneginf_kernel_implERNS_18TensorIteratorBaseEENKUlvE_clEvENKUlvE1_clEvEUlN3c104HalfEE_St5arrayIPcLm2EEEEviT0_T1_.uses_vcc, 1
	.set _ZN2at6native29vectorized_elementwise_kernelILi16EZZZNS0_12_GLOBAL__N_120isneginf_kernel_implERNS_18TensorIteratorBaseEENKUlvE_clEvENKUlvE1_clEvEUlN3c104HalfEE_St5arrayIPcLm2EEEEviT0_T1_.uses_flat_scratch, 0
	.set _ZN2at6native29vectorized_elementwise_kernelILi16EZZZNS0_12_GLOBAL__N_120isneginf_kernel_implERNS_18TensorIteratorBaseEENKUlvE_clEvENKUlvE1_clEvEUlN3c104HalfEE_St5arrayIPcLm2EEEEviT0_T1_.has_dyn_sized_stack, 0
	.set _ZN2at6native29vectorized_elementwise_kernelILi16EZZZNS0_12_GLOBAL__N_120isneginf_kernel_implERNS_18TensorIteratorBaseEENKUlvE_clEvENKUlvE1_clEvEUlN3c104HalfEE_St5arrayIPcLm2EEEEviT0_T1_.has_recursion, 0
	.set _ZN2at6native29vectorized_elementwise_kernelILi16EZZZNS0_12_GLOBAL__N_120isneginf_kernel_implERNS_18TensorIteratorBaseEENKUlvE_clEvENKUlvE1_clEvEUlN3c104HalfEE_St5arrayIPcLm2EEEEviT0_T1_.has_indirect_call, 0
	.section	.AMDGPU.csdata,"",@progbits
; Kernel info:
; codeLenInByte = 4020
; TotalNumSgprs: 26
; NumVgprs: 17
; ScratchSize: 0
; MemoryBound: 0
; FloatMode: 240
; IeeeMode: 1
; LDSByteSize: 0 bytes/workgroup (compile time only)
; SGPRBlocks: 0
; VGPRBlocks: 1
; NumSGPRsForWavesPerEU: 26
; NumVGPRsForWavesPerEU: 17
; NamedBarCnt: 0
; Occupancy: 16
; WaveLimiterHint : 0
; COMPUTE_PGM_RSRC2:SCRATCH_EN: 0
; COMPUTE_PGM_RSRC2:USER_SGPR: 2
; COMPUTE_PGM_RSRC2:TRAP_HANDLER: 0
; COMPUTE_PGM_RSRC2:TGID_X_EN: 1
; COMPUTE_PGM_RSRC2:TGID_Y_EN: 0
; COMPUTE_PGM_RSRC2:TGID_Z_EN: 0
; COMPUTE_PGM_RSRC2:TIDIG_COMP_CNT: 0
	.section	.text._ZN2at6native29vectorized_elementwise_kernelILi8EZZZNS0_12_GLOBAL__N_120isneginf_kernel_implERNS_18TensorIteratorBaseEENKUlvE_clEvENKUlvE1_clEvEUlN3c104HalfEE_St5arrayIPcLm2EEEEviT0_T1_,"axG",@progbits,_ZN2at6native29vectorized_elementwise_kernelILi8EZZZNS0_12_GLOBAL__N_120isneginf_kernel_implERNS_18TensorIteratorBaseEENKUlvE_clEvENKUlvE1_clEvEUlN3c104HalfEE_St5arrayIPcLm2EEEEviT0_T1_,comdat
	.globl	_ZN2at6native29vectorized_elementwise_kernelILi8EZZZNS0_12_GLOBAL__N_120isneginf_kernel_implERNS_18TensorIteratorBaseEENKUlvE_clEvENKUlvE1_clEvEUlN3c104HalfEE_St5arrayIPcLm2EEEEviT0_T1_ ; -- Begin function _ZN2at6native29vectorized_elementwise_kernelILi8EZZZNS0_12_GLOBAL__N_120isneginf_kernel_implERNS_18TensorIteratorBaseEENKUlvE_clEvENKUlvE1_clEvEUlN3c104HalfEE_St5arrayIPcLm2EEEEviT0_T1_
	.p2align	8
	.type	_ZN2at6native29vectorized_elementwise_kernelILi8EZZZNS0_12_GLOBAL__N_120isneginf_kernel_implERNS_18TensorIteratorBaseEENKUlvE_clEvENKUlvE1_clEvEUlN3c104HalfEE_St5arrayIPcLm2EEEEviT0_T1_,@function
_ZN2at6native29vectorized_elementwise_kernelILi8EZZZNS0_12_GLOBAL__N_120isneginf_kernel_implERNS_18TensorIteratorBaseEENKUlvE_clEvENKUlvE1_clEvEUlN3c104HalfEE_St5arrayIPcLm2EEEEviT0_T1_: ; @_ZN2at6native29vectorized_elementwise_kernelILi8EZZZNS0_12_GLOBAL__N_120isneginf_kernel_implERNS_18TensorIteratorBaseEENKUlvE_clEvENKUlvE1_clEvEUlN3c104HalfEE_St5arrayIPcLm2EEEEviT0_T1_
; %bb.0:
	s_clause 0x1
	s_load_b32 s3, s[0:1], 0x0
	s_load_b128 s[4:7], s[0:1], 0x8
	s_wait_xcnt 0x0
	s_bfe_u32 s0, ttmp6, 0x4000c
	s_and_b32 s1, ttmp6, 15
	s_add_co_i32 s0, s0, 1
	s_getreg_b32 s2, hwreg(HW_REG_IB_STS2, 6, 4)
	s_mul_i32 s0, ttmp9, s0
	s_delay_alu instid0(SALU_CYCLE_1) | instskip(SKIP_2) | instid1(SALU_CYCLE_1)
	s_add_co_i32 s1, s1, s0
	s_cmp_eq_u32 s2, 0
	s_cselect_b32 s0, ttmp9, s1
	s_lshl_b32 s2, s0, 12
	s_mov_b32 s0, -1
	s_wait_kmcnt 0x0
	s_sub_co_i32 s1, s3, s2
	s_delay_alu instid0(SALU_CYCLE_1)
	s_cmp_gt_i32 s1, 0xfff
	s_cbranch_scc0 .LBB81_2
; %bb.1:
	s_ashr_i32 s3, s2, 31
	s_mov_b32 s0, 0
	s_lshl_b64 s[8:9], s[2:3], 1
	s_delay_alu instid0(SALU_CYCLE_1)
	s_add_nc_u64 s[8:9], s[6:7], s[8:9]
	s_clause 0x1
	global_load_b128 v[2:5], v0, s[8:9] scale_offset
	global_load_b128 v[6:9], v0, s[8:9] offset:4096 scale_offset
	s_wait_xcnt 0x0
	s_add_nc_u64 s[8:9], s[4:5], s[2:3]
	s_wait_loadcnt 0x1
	v_cmp_eq_f16_e32 vcc_lo, 0xfc00, v2
	s_wait_loadcnt 0x0
	v_dual_lshrrev_b32 v11, 16, v9 :: v_dual_lshrrev_b32 v12, 16, v2
	v_dual_lshrrev_b32 v13, 16, v3 :: v_dual_lshrrev_b32 v14, 16, v4
	v_cndmask_b32_e64 v2, 0, 1, vcc_lo
	v_cmp_eq_f16_e32 vcc_lo, 0xfc00, v3
	v_dual_lshrrev_b32 v1, 16, v5 :: v_dual_lshrrev_b32 v10, 16, v7
	v_dual_lshrrev_b32 v15, 16, v6 :: v_dual_lshrrev_b32 v16, 16, v8
	v_cndmask_b32_e64 v3, 0, 1, vcc_lo
	v_cmp_eq_f16_e32 vcc_lo, 0xfc00, v4
	v_cndmask_b32_e64 v4, 0, 1, vcc_lo
	v_cmp_eq_f16_e32 vcc_lo, 0xfc00, v5
	;; [unrolled: 2-line block ×8, first 2 shown]
	s_delay_alu instid0(VALU_DEP_2) | instskip(SKIP_2) | instid1(VALU_DEP_2)
	v_lshlrev_b16 v12, 8, v12
	v_cndmask_b32_e64 v13, 0, 1, vcc_lo
	v_cmp_eq_f16_e32 vcc_lo, 0xfc00, v14
	v_lshlrev_b16 v13, 8, v13
	v_cndmask_b32_e64 v14, 0, 1, vcc_lo
	v_cmp_eq_f16_e32 vcc_lo, 0xfc00, v1
	s_delay_alu instid0(VALU_DEP_2) | instskip(SKIP_2) | instid1(VALU_DEP_2)
	v_lshlrev_b16 v14, 8, v14
	v_cndmask_b32_e64 v1, 0, 1, vcc_lo
	v_cmp_eq_f16_e32 vcc_lo, 0xfc00, v15
	v_lshlrev_b16 v1, 8, v1
	v_cndmask_b32_e64 v15, 0, 1, vcc_lo
	v_cmp_eq_f16_e32 vcc_lo, 0xfc00, v10
	s_delay_alu instid0(VALU_DEP_3) | instskip(NEXT) | instid1(VALU_DEP_3)
	v_or_b32_e32 v1, v5, v1
	v_lshlrev_b16 v15, 8, v15
	v_cndmask_b32_e64 v10, 0, 1, vcc_lo
	v_cmp_eq_f16_e32 vcc_lo, 0xfc00, v16
	s_delay_alu instid0(VALU_DEP_3) | instskip(NEXT) | instid1(VALU_DEP_3)
	v_or_b32_e32 v5, v6, v15
	v_lshlrev_b16 v10, 8, v10
	v_cndmask_b32_e64 v16, 0, 1, vcc_lo
	v_cmp_eq_f16_e32 vcc_lo, 0xfc00, v11
	s_delay_alu instid0(VALU_DEP_4) | instskip(NEXT) | instid1(VALU_DEP_4)
	v_and_b32_e32 v5, 0xffff, v5
	v_or_b32_e32 v6, v7, v10
	s_delay_alu instid0(VALU_DEP_4) | instskip(SKIP_1) | instid1(VALU_DEP_3)
	v_lshlrev_b16 v16, 8, v16
	v_cndmask_b32_e64 v11, 0, 1, vcc_lo
	v_dual_lshlrev_b32 v6, 16, v6 :: v_dual_bitop2_b32 v3, v3, v13 bitop3:0x54
	s_delay_alu instid0(VALU_DEP_3) | instskip(NEXT) | instid1(VALU_DEP_3)
	v_or_b32_e32 v7, v8, v16
	v_lshlrev_b16 v11, 8, v11
	s_delay_alu instid0(VALU_DEP_3) | instskip(NEXT) | instid1(VALU_DEP_3)
	v_dual_lshlrev_b32 v3, 16, v3 :: v_dual_bitop2_b32 v2, v2, v12 bitop3:0x54
	v_and_b32_e32 v7, 0xffff, v7
	s_delay_alu instid0(VALU_DEP_3) | instskip(NEXT) | instid1(VALU_DEP_3)
	v_or_b32_e32 v8, v9, v11
	v_and_b32_e32 v2, 0xffff, v2
	s_delay_alu instid0(VALU_DEP_2) | instskip(NEXT) | instid1(VALU_DEP_2)
	v_dual_lshlrev_b32 v8, 16, v8 :: v_dual_bitop2_b32 v4, v4, v14 bitop3:0x54
	v_dual_lshlrev_b32 v1, 16, v1 :: v_dual_bitop2_b32 v2, v2, v3 bitop3:0x54
	s_delay_alu instid0(VALU_DEP_2) | instskip(NEXT) | instid1(VALU_DEP_1)
	v_and_b32_e32 v4, 0xffff, v4
	v_or_b32_e32 v3, v4, v1
	v_or_b32_e32 v4, v5, v6
	;; [unrolled: 1-line block ×3, first 2 shown]
	s_clause 0x1
	global_store_b64 v0, v[2:3], s[8:9] scale_offset
	global_store_b64 v0, v[4:5], s[8:9] offset:2048 scale_offset
.LBB81_2:
	s_and_not1_b32 vcc_lo, exec_lo, s0
	s_cbranch_vccnz .LBB81_52
; %bb.3:
	v_cmp_gt_i32_e32 vcc_lo, s1, v0
	s_wait_xcnt 0x1
	v_dual_mov_b32 v3, v0 :: v_dual_bitop2_b32 v1, s2, v0 bitop3:0x54
	v_or_b32_e32 v2, 0x100, v0
	s_wait_xcnt 0x0
	s_mov_b32 s8, 0
	s_mov_b32 s9, 0
	s_and_saveexec_b32 s3, vcc_lo
	s_cbranch_execz .LBB81_5
; %bb.4:
	global_load_u16 v3, v1, s[6:7] scale_offset
	s_wait_loadcnt 0x0
	v_cmp_eq_f16_e64 s0, 0xfc00, v3
	v_or_b32_e32 v3, 0x100, v0
	s_and_b32 s9, s0, exec_lo
.LBB81_5:
	s_wait_xcnt 0x0
	s_or_b32 exec_lo, exec_lo, s3
	s_delay_alu instid0(SALU_CYCLE_1)
	s_mov_b32 s3, exec_lo
	v_cmpx_gt_i32_e64 s1, v3
	s_cbranch_execz .LBB81_7
; %bb.6:
	v_add_nc_u32_e32 v4, s2, v3
	v_add_nc_u32_e32 v3, 0x100, v3
	global_load_u16 v4, v4, s[6:7] scale_offset
	s_wait_loadcnt 0x0
	v_cmp_eq_f16_e64 s0, 0xfc00, v4
	s_and_b32 s8, s0, exec_lo
.LBB81_7:
	s_wait_xcnt 0x0
	s_or_b32 exec_lo, exec_lo, s3
	s_mov_b32 s10, 0
	s_mov_b32 s11, 0
	s_mov_b32 s3, exec_lo
	v_cmpx_gt_i32_e64 s1, v3
	s_cbranch_execz .LBB81_9
; %bb.8:
	v_add_nc_u32_e32 v4, s2, v3
	v_add_nc_u32_e32 v3, 0x100, v3
	global_load_u16 v4, v4, s[6:7] scale_offset
	s_wait_loadcnt 0x0
	v_cmp_eq_f16_e64 s0, 0xfc00, v4
	s_and_b32 s11, s0, exec_lo
.LBB81_9:
	s_wait_xcnt 0x0
	s_or_b32 exec_lo, exec_lo, s3
	s_delay_alu instid0(SALU_CYCLE_1)
	s_mov_b32 s3, exec_lo
	v_cmpx_gt_i32_e64 s1, v3
	s_cbranch_execz .LBB81_11
; %bb.10:
	v_add_nc_u32_e32 v4, s2, v3
	v_add_nc_u32_e32 v3, 0x100, v3
	global_load_u16 v4, v4, s[6:7] scale_offset
	s_wait_loadcnt 0x0
	v_cmp_eq_f16_e64 s0, 0xfc00, v4
	s_and_b32 s10, s0, exec_lo
.LBB81_11:
	s_wait_xcnt 0x0
	s_or_b32 exec_lo, exec_lo, s3
	s_mov_b32 s12, 0
	s_mov_b32 s14, 0
	s_mov_b32 s3, exec_lo
	v_cmpx_gt_i32_e64 s1, v3
	s_cbranch_execz .LBB81_13
; %bb.12:
	v_add_nc_u32_e32 v4, s2, v3
	v_add_nc_u32_e32 v3, 0x100, v3
	global_load_u16 v4, v4, s[6:7] scale_offset
	s_wait_loadcnt 0x0
	v_cmp_eq_f16_e64 s0, 0xfc00, v4
	s_and_b32 s14, s0, exec_lo
.LBB81_13:
	;; [unrolled: 29-line block ×7, first 2 shown]
	s_wait_xcnt 0x0
	s_or_b32 exec_lo, exec_lo, s23
	s_delay_alu instid0(SALU_CYCLE_1)
	s_mov_b32 s23, exec_lo
	v_cmpx_gt_i32_e64 s1, v3
	s_cbranch_execz .LBB81_35
; %bb.34:
	v_add_nc_u32_e32 v3, s2, v3
	global_load_u16 v3, v3, s[6:7] scale_offset
	s_wait_loadcnt 0x0
	v_cmp_eq_f16_e64 s0, 0xfc00, v3
	s_and_b32 s19, s0, exec_lo
.LBB81_35:
	s_wait_xcnt 0x0
	s_or_b32 exec_lo, exec_lo, s23
	v_cndmask_b32_e64 v5, 0, 1, s14
	v_cndmask_b32_e64 v3, 0, 1, s9
	;; [unrolled: 1-line block ×3, first 2 shown]
	v_or_b32_e32 v10, 0x400, v0
	v_cndmask_b32_e64 v9, 0, 1, s12
	v_bitop3_b16 v5, v5, 0, 0xff00 bitop3:0xf8
	v_or_b32_e32 v6, 0x200, v0
	v_lshlrev_b16 v4, 8, v4
	v_cmp_gt_i32_e64 s0, s1, v10
	v_lshlrev_b16 v9, 8, v9
	v_and_b32_e32 v5, 0xffff, v5
	v_cndmask_b32_e32 v3, 0, v3, vcc_lo
	v_cndmask_b32_e64 v7, 0, 1, s11
	v_or_b32_e32 v10, 0xc00, v0
	v_or_b32_e32 v11, 0x500, v0
	s_delay_alu instid0(VALU_DEP_4) | instskip(SKIP_3) | instid1(VALU_DEP_4)
	v_dual_cndmask_b32 v5, 0, v5, s0 :: v_dual_bitop2_b32 v4, v3, v4 bitop3:0x54
	v_cmp_gt_i32_e64 s0, s1, v2
	v_cndmask_b32_e64 v12, 0, 1, s21
	v_cndmask_b32_e64 v8, 0, 1, s10
	v_bitop3_b16 v9, v5, v9, 0xff bitop3:0xec
	v_and_b32_e32 v4, 0xffff, v4
	v_cndmask_b32_e64 v13, 0, 1, s20
	v_cndmask_b32_e64 v14, 0, 1, s18
	v_lshlrev_b16 v8, 8, v8
	v_and_b32_e32 v9, 0xffff, v9
	v_cndmask_b32_e64 v3, v3, v4, s0
	v_cmp_gt_i32_e64 s0, s1, v6
	v_cndmask_b32_e64 v4, 0, 1, s17
	s_delay_alu instid0(VALU_DEP_3) | instskip(NEXT) | instid1(VALU_DEP_1)
	v_lshl_or_b32 v7, v7, 16, v3
	v_cndmask_b32_e64 v3, v3, v7, s0
	v_cmp_gt_i32_e64 s0, s1, v10
	v_lshlrev_b16 v7, 8, v13
	v_or_b32_e32 v10, 0x800, v0
	v_or_b32_e32 v13, 0xd00, v0
	s_delay_alu instid0(VALU_DEP_4) | instskip(SKIP_2) | instid1(VALU_DEP_2)
	v_cndmask_b32_e64 v6, 0, v12, s0
	v_cmp_gt_i32_e64 s0, s1, v11
	v_cndmask_b32_e64 v11, 0, 1, s15
	v_dual_cndmask_b32 v5, v5, v9, s0 :: v_dual_lshrrev_b32 v9, 16, v3
	s_delay_alu instid0(VALU_DEP_4) | instskip(SKIP_1) | instid1(VALU_DEP_3)
	v_bitop3_b16 v7, v6, v7, 0xff bitop3:0xec
	v_cmp_gt_i32_e64 s0, s1, v10
	v_bitop3_b16 v8, v9, v8, 0xff bitop3:0xec
	s_delay_alu instid0(VALU_DEP_4) | instskip(NEXT) | instid1(VALU_DEP_4)
	v_lshrrev_b32_e32 v12, 16, v5
	v_and_b32_e32 v7, 0xffff, v7
	v_cndmask_b32_e64 v9, 0, 1, s13
	s_delay_alu instid0(VALU_DEP_4) | instskip(NEXT) | instid1(VALU_DEP_4)
	v_lshlrev_b32_e32 v8, 16, v8
	v_bitop3_b16 v4, v4, v12, 0xff00 bitop3:0xf8
	v_cndmask_b32_e64 v10, 0, v11, s0
	v_cmp_gt_i32_e64 s0, s1, v13
	v_lshlrev_b16 v9, 8, v9
	v_or_b32_e32 v11, 0x900, v0
	v_lshlrev_b32_e32 v4, 16, v4
	v_cndmask_b32_e64 v13, 0, 1, s22
	v_and_or_b32 v8, 0xffff, v3, v8
	s_delay_alu instid0(VALU_DEP_3) | instskip(SKIP_2) | instid1(VALU_DEP_1)
	v_and_or_b32 v4, 0xffff, v5, v4
	v_cndmask_b32_e64 v6, v6, v7, s0
	v_or_b32_e32 v7, 0x600, v0
	v_cmp_gt_i32_e64 s0, s1, v7
	s_delay_alu instid0(VALU_DEP_1) | instskip(NEXT) | instid1(VALU_DEP_4)
	v_dual_cndmask_b32 v4, v5, v4, s0 :: v_dual_bitop2_b32 v9, v10, v9 bitop3:0x54
	v_lshrrev_b32_e32 v12, 16, v6
	v_cmp_gt_i32_e64 s0, s1, v11
	s_delay_alu instid0(VALU_DEP_3) | instskip(NEXT) | instid1(VALU_DEP_3)
	v_and_b32_e32 v9, 0xffff, v9
	v_bitop3_b16 v5, v13, v12, 0xff00 bitop3:0xf8
	v_or_b32_e32 v12, 0xa00, v0
	v_lshrrev_b32_e32 v11, 16, v4
	v_or_b32_e32 v13, 0xe00, v0
	v_dual_cndmask_b32 v7, v10, v9, s0 :: v_dual_lshlrev_b32 v9, 16, v14
	v_lshlrev_b32_e32 v5, 16, v5
	v_cmp_gt_i32_e64 s0, s1, v12
	v_cndmask_b32_e64 v10, 0, 1, s3
	s_delay_alu instid0(VALU_DEP_4) | instskip(NEXT) | instid1(VALU_DEP_4)
	v_and_or_b32 v9, 0x1ff, v7, v9
	v_and_or_b32 v5, 0xffff, v6, v5
	s_delay_alu instid0(VALU_DEP_3) | instskip(NEXT) | instid1(VALU_DEP_3)
	v_lshlrev_b16 v10, 8, v10
	v_cndmask_b32_e64 v7, v7, v9, s0
	v_cmp_gt_i32_e64 s0, s1, v13
	v_cndmask_b32_e64 v9, 0, 1, s16
	v_or_b32_e32 v13, 0x300, v0
	s_delay_alu instid0(VALU_DEP_3)
	v_cndmask_b32_e64 v12, v6, v5, s0
	v_cndmask_b32_e64 v5, 0, 1, s19
	v_bitop3_b16 v6, v11, v10, 0xff bitop3:0xec
	v_lshlrev_b16 v9, 8, v9
	v_cmp_gt_i32_e64 s0, s1, v13
	v_dual_lshrrev_b32 v11, 16, v12 :: v_dual_lshrrev_b32 v10, 16, v7
	v_lshlrev_b16 v5, 8, v5
	s_delay_alu instid0(VALU_DEP_2) | instskip(NEXT) | instid1(VALU_DEP_4)
	v_bitop3_b16 v9, v10, v9, 0xff bitop3:0xec
	v_dual_lshlrev_b32 v10, 16, v6 :: v_dual_cndmask_b32 v6, v3, v8, s0
	s_delay_alu instid0(VALU_DEP_3) | instskip(SKIP_2) | instid1(VALU_DEP_3)
	v_bitop3_b16 v5, v11, v5, 0xff bitop3:0xec
	v_or_b32_e32 v8, 0x700, v0
	v_or_b32_e32 v11, 0xf00, v0
	v_lshlrev_b32_e32 v5, 16, v5
	s_delay_alu instid0(VALU_DEP_3) | instskip(SKIP_4) | instid1(VALU_DEP_3)
	v_cmp_gt_i32_e64 s0, s1, v8
	v_lshlrev_b32_e32 v3, 16, v9
	v_and_or_b32 v9, 0xffff, v4, v10
	v_or_b32_e32 v10, 0xb00, v0
	v_and_or_b32 v13, 0xffff, v12, v5
	v_cndmask_b32_e64 v5, v4, v9, s0
	v_and_or_b32 v3, 0xffff, v7, v3
	s_delay_alu instid0(VALU_DEP_4) | instskip(NEXT) | instid1(VALU_DEP_1)
	v_cmp_gt_i32_e64 s0, s1, v10
	v_cndmask_b32_e64 v4, v7, v3, s0
	v_cmp_gt_i32_e64 s0, s1, v11
	s_delay_alu instid0(VALU_DEP_1)
	v_cndmask_b32_e64 v3, v12, v13, s0
	s_and_saveexec_b32 s0, vcc_lo
	s_cbranch_execnz .LBB81_53
; %bb.36:
	s_or_b32 exec_lo, exec_lo, s0
	s_delay_alu instid0(SALU_CYCLE_1)
	s_mov_b32 s0, exec_lo
	v_cmpx_gt_i32_e64 s1, v0
	s_cbranch_execnz .LBB81_54
.LBB81_37:
	s_or_b32 exec_lo, exec_lo, s0
	s_delay_alu instid0(SALU_CYCLE_1)
	s_mov_b32 s0, exec_lo
	v_cmpx_gt_i32_e64 s1, v0
	s_cbranch_execnz .LBB81_55
.LBB81_38:
	s_or_b32 exec_lo, exec_lo, s0
	s_delay_alu instid0(SALU_CYCLE_1)
	s_mov_b32 s0, exec_lo
	v_cmpx_gt_i32_e64 s1, v0
	s_cbranch_execnz .LBB81_56
.LBB81_39:
	s_or_b32 exec_lo, exec_lo, s0
	s_delay_alu instid0(SALU_CYCLE_1)
	s_mov_b32 s0, exec_lo
	v_cmpx_gt_i32_e64 s1, v0
	s_cbranch_execnz .LBB81_57
.LBB81_40:
	s_or_b32 exec_lo, exec_lo, s0
	s_delay_alu instid0(SALU_CYCLE_1)
	s_mov_b32 s0, exec_lo
	v_cmpx_gt_i32_e64 s1, v0
	s_cbranch_execnz .LBB81_58
.LBB81_41:
	s_or_b32 exec_lo, exec_lo, s0
	s_delay_alu instid0(SALU_CYCLE_1)
	s_mov_b32 s0, exec_lo
	v_cmpx_gt_i32_e64 s1, v0
	s_cbranch_execnz .LBB81_59
.LBB81_42:
	s_or_b32 exec_lo, exec_lo, s0
	s_delay_alu instid0(SALU_CYCLE_1)
	s_mov_b32 s0, exec_lo
	v_cmpx_gt_i32_e64 s1, v0
	s_cbranch_execnz .LBB81_60
.LBB81_43:
	s_or_b32 exec_lo, exec_lo, s0
	s_delay_alu instid0(SALU_CYCLE_1)
	s_mov_b32 s0, exec_lo
	v_cmpx_gt_i32_e64 s1, v0
	s_cbranch_execnz .LBB81_61
.LBB81_44:
	s_or_b32 exec_lo, exec_lo, s0
	s_delay_alu instid0(SALU_CYCLE_1)
	s_mov_b32 s0, exec_lo
	v_cmpx_gt_i32_e64 s1, v0
	s_cbranch_execnz .LBB81_62
.LBB81_45:
	s_or_b32 exec_lo, exec_lo, s0
	s_delay_alu instid0(SALU_CYCLE_1)
	s_mov_b32 s0, exec_lo
	v_cmpx_gt_i32_e64 s1, v0
	s_cbranch_execnz .LBB81_63
.LBB81_46:
	s_or_b32 exec_lo, exec_lo, s0
	s_delay_alu instid0(SALU_CYCLE_1)
	s_mov_b32 s0, exec_lo
	v_cmpx_gt_i32_e64 s1, v0
	s_cbranch_execnz .LBB81_64
.LBB81_47:
	s_or_b32 exec_lo, exec_lo, s0
	s_delay_alu instid0(SALU_CYCLE_1)
	s_mov_b32 s0, exec_lo
	v_cmpx_gt_i32_e64 s1, v0
	s_cbranch_execnz .LBB81_65
.LBB81_48:
	s_or_b32 exec_lo, exec_lo, s0
	s_delay_alu instid0(SALU_CYCLE_1)
	s_mov_b32 s0, exec_lo
	v_cmpx_gt_i32_e64 s1, v0
	s_cbranch_execnz .LBB81_66
.LBB81_49:
	s_or_b32 exec_lo, exec_lo, s0
	s_delay_alu instid0(SALU_CYCLE_1)
	s_mov_b32 s0, exec_lo
	v_cmpx_gt_i32_e64 s1, v0
	s_cbranch_execnz .LBB81_67
.LBB81_50:
	s_or_b32 exec_lo, exec_lo, s0
	s_delay_alu instid0(SALU_CYCLE_1)
	s_mov_b32 s0, exec_lo
	v_cmpx_gt_i32_e64 s1, v0
	s_cbranch_execz .LBB81_52
.LBB81_51:
	v_dual_lshrrev_b32 v1, 24, v3 :: v_dual_add_nc_u32 v0, s2, v0
	global_store_b8 v0, v1, s[4:5]
.LBB81_52:
	s_endpgm
.LBB81_53:
	v_mov_b32_e32 v0, v2
	global_store_b8 v1, v6, s[4:5]
	s_wait_xcnt 0x0
	s_or_b32 exec_lo, exec_lo, s0
	s_delay_alu instid0(SALU_CYCLE_1)
	s_mov_b32 s0, exec_lo
	v_cmpx_gt_i32_e64 s1, v0
	s_cbranch_execz .LBB81_37
.LBB81_54:
	v_dual_lshrrev_b32 v1, 8, v6 :: v_dual_add_nc_u32 v2, s2, v0
	v_add_nc_u32_e32 v0, 0x100, v0
	global_store_b8 v2, v1, s[4:5]
	s_wait_xcnt 0x0
	s_or_b32 exec_lo, exec_lo, s0
	s_delay_alu instid0(SALU_CYCLE_1)
	s_mov_b32 s0, exec_lo
	v_cmpx_gt_i32_e64 s1, v0
	s_cbranch_execz .LBB81_38
.LBB81_55:
	v_add_nc_u32_e32 v1, s2, v0
	v_add_nc_u32_e32 v0, 0x100, v0
	global_store_d16_hi_b8 v1, v6, s[4:5]
	s_wait_xcnt 0x0
	s_or_b32 exec_lo, exec_lo, s0
	s_delay_alu instid0(SALU_CYCLE_1)
	s_mov_b32 s0, exec_lo
	v_cmpx_gt_i32_e64 s1, v0
	s_cbranch_execz .LBB81_39
.LBB81_56:
	v_dual_lshrrev_b32 v1, 24, v6 :: v_dual_add_nc_u32 v2, s2, v0
	v_add_nc_u32_e32 v0, 0x100, v0
	global_store_b8 v2, v1, s[4:5]
	s_wait_xcnt 0x0
	s_or_b32 exec_lo, exec_lo, s0
	s_delay_alu instid0(SALU_CYCLE_1)
	s_mov_b32 s0, exec_lo
	v_cmpx_gt_i32_e64 s1, v0
	s_cbranch_execz .LBB81_40
.LBB81_57:
	v_add_nc_u32_e32 v1, s2, v0
	v_add_nc_u32_e32 v0, 0x100, v0
	global_store_b8 v1, v5, s[4:5]
	s_wait_xcnt 0x0
	s_or_b32 exec_lo, exec_lo, s0
	s_delay_alu instid0(SALU_CYCLE_1)
	s_mov_b32 s0, exec_lo
	v_cmpx_gt_i32_e64 s1, v0
	s_cbranch_execz .LBB81_41
.LBB81_58:
	v_dual_lshrrev_b32 v1, 8, v5 :: v_dual_add_nc_u32 v2, s2, v0
	v_add_nc_u32_e32 v0, 0x100, v0
	global_store_b8 v2, v1, s[4:5]
	s_wait_xcnt 0x0
	s_or_b32 exec_lo, exec_lo, s0
	s_delay_alu instid0(SALU_CYCLE_1)
	s_mov_b32 s0, exec_lo
	v_cmpx_gt_i32_e64 s1, v0
	s_cbranch_execz .LBB81_42
.LBB81_59:
	v_add_nc_u32_e32 v1, s2, v0
	v_add_nc_u32_e32 v0, 0x100, v0
	global_store_d16_hi_b8 v1, v5, s[4:5]
	s_wait_xcnt 0x0
	s_or_b32 exec_lo, exec_lo, s0
	s_delay_alu instid0(SALU_CYCLE_1)
	s_mov_b32 s0, exec_lo
	v_cmpx_gt_i32_e64 s1, v0
	s_cbranch_execz .LBB81_43
.LBB81_60:
	v_dual_lshrrev_b32 v1, 24, v5 :: v_dual_add_nc_u32 v2, s2, v0
	v_add_nc_u32_e32 v0, 0x100, v0
	global_store_b8 v2, v1, s[4:5]
	s_wait_xcnt 0x0
	s_or_b32 exec_lo, exec_lo, s0
	s_delay_alu instid0(SALU_CYCLE_1)
	s_mov_b32 s0, exec_lo
	v_cmpx_gt_i32_e64 s1, v0
	s_cbranch_execz .LBB81_44
.LBB81_61:
	v_add_nc_u32_e32 v1, s2, v0
	v_add_nc_u32_e32 v0, 0x100, v0
	global_store_b8 v1, v4, s[4:5]
	s_wait_xcnt 0x0
	s_or_b32 exec_lo, exec_lo, s0
	s_delay_alu instid0(SALU_CYCLE_1)
	s_mov_b32 s0, exec_lo
	v_cmpx_gt_i32_e64 s1, v0
	s_cbranch_execz .LBB81_45
.LBB81_62:
	v_lshrrev_b32_e32 v1, 8, v4
	v_add_nc_u32_e32 v2, s2, v0
	v_add_nc_u32_e32 v0, 0x100, v0
	global_store_b8 v2, v1, s[4:5]
	s_wait_xcnt 0x0
	s_or_b32 exec_lo, exec_lo, s0
	s_delay_alu instid0(SALU_CYCLE_1)
	s_mov_b32 s0, exec_lo
	v_cmpx_gt_i32_e64 s1, v0
	s_cbranch_execz .LBB81_46
.LBB81_63:
	v_add_nc_u32_e32 v1, s2, v0
	v_add_nc_u32_e32 v0, 0x100, v0
	global_store_d16_hi_b8 v1, v4, s[4:5]
	s_wait_xcnt 0x0
	s_or_b32 exec_lo, exec_lo, s0
	s_delay_alu instid0(SALU_CYCLE_1)
	s_mov_b32 s0, exec_lo
	v_cmpx_gt_i32_e64 s1, v0
	s_cbranch_execz .LBB81_47
.LBB81_64:
	v_lshrrev_b32_e32 v1, 24, v4
	v_add_nc_u32_e32 v2, s2, v0
	v_add_nc_u32_e32 v0, 0x100, v0
	global_store_b8 v2, v1, s[4:5]
	s_wait_xcnt 0x0
	s_or_b32 exec_lo, exec_lo, s0
	s_delay_alu instid0(SALU_CYCLE_1)
	s_mov_b32 s0, exec_lo
	v_cmpx_gt_i32_e64 s1, v0
	s_cbranch_execz .LBB81_48
.LBB81_65:
	v_add_nc_u32_e32 v1, s2, v0
	v_add_nc_u32_e32 v0, 0x100, v0
	global_store_b8 v1, v3, s[4:5]
	s_wait_xcnt 0x0
	s_or_b32 exec_lo, exec_lo, s0
	s_delay_alu instid0(SALU_CYCLE_1)
	s_mov_b32 s0, exec_lo
	v_cmpx_gt_i32_e64 s1, v0
	s_cbranch_execz .LBB81_49
.LBB81_66:
	v_dual_lshrrev_b32 v1, 8, v3 :: v_dual_add_nc_u32 v2, s2, v0
	v_add_nc_u32_e32 v0, 0x100, v0
	global_store_b8 v2, v1, s[4:5]
	s_wait_xcnt 0x0
	s_or_b32 exec_lo, exec_lo, s0
	s_delay_alu instid0(SALU_CYCLE_1)
	s_mov_b32 s0, exec_lo
	v_cmpx_gt_i32_e64 s1, v0
	s_cbranch_execz .LBB81_50
.LBB81_67:
	v_add_nc_u32_e32 v1, s2, v0
	v_add_nc_u32_e32 v0, 0x100, v0
	global_store_d16_hi_b8 v1, v3, s[4:5]
	s_wait_xcnt 0x0
	s_or_b32 exec_lo, exec_lo, s0
	s_delay_alu instid0(SALU_CYCLE_1)
	s_mov_b32 s0, exec_lo
	v_cmpx_gt_i32_e64 s1, v0
	s_cbranch_execnz .LBB81_51
	s_branch .LBB81_52
	.section	.rodata,"a",@progbits
	.p2align	6, 0x0
	.amdhsa_kernel _ZN2at6native29vectorized_elementwise_kernelILi8EZZZNS0_12_GLOBAL__N_120isneginf_kernel_implERNS_18TensorIteratorBaseEENKUlvE_clEvENKUlvE1_clEvEUlN3c104HalfEE_St5arrayIPcLm2EEEEviT0_T1_
		.amdhsa_group_segment_fixed_size 0
		.amdhsa_private_segment_fixed_size 0
		.amdhsa_kernarg_size 24
		.amdhsa_user_sgpr_count 2
		.amdhsa_user_sgpr_dispatch_ptr 0
		.amdhsa_user_sgpr_queue_ptr 0
		.amdhsa_user_sgpr_kernarg_segment_ptr 1
		.amdhsa_user_sgpr_dispatch_id 0
		.amdhsa_user_sgpr_kernarg_preload_length 0
		.amdhsa_user_sgpr_kernarg_preload_offset 0
		.amdhsa_user_sgpr_private_segment_size 0
		.amdhsa_wavefront_size32 1
		.amdhsa_uses_dynamic_stack 0
		.amdhsa_enable_private_segment 0
		.amdhsa_system_sgpr_workgroup_id_x 1
		.amdhsa_system_sgpr_workgroup_id_y 0
		.amdhsa_system_sgpr_workgroup_id_z 0
		.amdhsa_system_sgpr_workgroup_info 0
		.amdhsa_system_vgpr_workitem_id 0
		.amdhsa_next_free_vgpr 17
		.amdhsa_next_free_sgpr 24
		.amdhsa_named_barrier_count 0
		.amdhsa_reserve_vcc 1
		.amdhsa_float_round_mode_32 0
		.amdhsa_float_round_mode_16_64 0
		.amdhsa_float_denorm_mode_32 3
		.amdhsa_float_denorm_mode_16_64 3
		.amdhsa_fp16_overflow 0
		.amdhsa_memory_ordered 1
		.amdhsa_forward_progress 1
		.amdhsa_inst_pref_size 32
		.amdhsa_round_robin_scheduling 0
		.amdhsa_exception_fp_ieee_invalid_op 0
		.amdhsa_exception_fp_denorm_src 0
		.amdhsa_exception_fp_ieee_div_zero 0
		.amdhsa_exception_fp_ieee_overflow 0
		.amdhsa_exception_fp_ieee_underflow 0
		.amdhsa_exception_fp_ieee_inexact 0
		.amdhsa_exception_int_div_zero 0
	.end_amdhsa_kernel
	.section	.text._ZN2at6native29vectorized_elementwise_kernelILi8EZZZNS0_12_GLOBAL__N_120isneginf_kernel_implERNS_18TensorIteratorBaseEENKUlvE_clEvENKUlvE1_clEvEUlN3c104HalfEE_St5arrayIPcLm2EEEEviT0_T1_,"axG",@progbits,_ZN2at6native29vectorized_elementwise_kernelILi8EZZZNS0_12_GLOBAL__N_120isneginf_kernel_implERNS_18TensorIteratorBaseEENKUlvE_clEvENKUlvE1_clEvEUlN3c104HalfEE_St5arrayIPcLm2EEEEviT0_T1_,comdat
.Lfunc_end81:
	.size	_ZN2at6native29vectorized_elementwise_kernelILi8EZZZNS0_12_GLOBAL__N_120isneginf_kernel_implERNS_18TensorIteratorBaseEENKUlvE_clEvENKUlvE1_clEvEUlN3c104HalfEE_St5arrayIPcLm2EEEEviT0_T1_, .Lfunc_end81-_ZN2at6native29vectorized_elementwise_kernelILi8EZZZNS0_12_GLOBAL__N_120isneginf_kernel_implERNS_18TensorIteratorBaseEENKUlvE_clEvENKUlvE1_clEvEUlN3c104HalfEE_St5arrayIPcLm2EEEEviT0_T1_
                                        ; -- End function
	.set _ZN2at6native29vectorized_elementwise_kernelILi8EZZZNS0_12_GLOBAL__N_120isneginf_kernel_implERNS_18TensorIteratorBaseEENKUlvE_clEvENKUlvE1_clEvEUlN3c104HalfEE_St5arrayIPcLm2EEEEviT0_T1_.num_vgpr, 17
	.set _ZN2at6native29vectorized_elementwise_kernelILi8EZZZNS0_12_GLOBAL__N_120isneginf_kernel_implERNS_18TensorIteratorBaseEENKUlvE_clEvENKUlvE1_clEvEUlN3c104HalfEE_St5arrayIPcLm2EEEEviT0_T1_.num_agpr, 0
	.set _ZN2at6native29vectorized_elementwise_kernelILi8EZZZNS0_12_GLOBAL__N_120isneginf_kernel_implERNS_18TensorIteratorBaseEENKUlvE_clEvENKUlvE1_clEvEUlN3c104HalfEE_St5arrayIPcLm2EEEEviT0_T1_.numbered_sgpr, 24
	.set _ZN2at6native29vectorized_elementwise_kernelILi8EZZZNS0_12_GLOBAL__N_120isneginf_kernel_implERNS_18TensorIteratorBaseEENKUlvE_clEvENKUlvE1_clEvEUlN3c104HalfEE_St5arrayIPcLm2EEEEviT0_T1_.num_named_barrier, 0
	.set _ZN2at6native29vectorized_elementwise_kernelILi8EZZZNS0_12_GLOBAL__N_120isneginf_kernel_implERNS_18TensorIteratorBaseEENKUlvE_clEvENKUlvE1_clEvEUlN3c104HalfEE_St5arrayIPcLm2EEEEviT0_T1_.private_seg_size, 0
	.set _ZN2at6native29vectorized_elementwise_kernelILi8EZZZNS0_12_GLOBAL__N_120isneginf_kernel_implERNS_18TensorIteratorBaseEENKUlvE_clEvENKUlvE1_clEvEUlN3c104HalfEE_St5arrayIPcLm2EEEEviT0_T1_.uses_vcc, 1
	.set _ZN2at6native29vectorized_elementwise_kernelILi8EZZZNS0_12_GLOBAL__N_120isneginf_kernel_implERNS_18TensorIteratorBaseEENKUlvE_clEvENKUlvE1_clEvEUlN3c104HalfEE_St5arrayIPcLm2EEEEviT0_T1_.uses_flat_scratch, 0
	.set _ZN2at6native29vectorized_elementwise_kernelILi8EZZZNS0_12_GLOBAL__N_120isneginf_kernel_implERNS_18TensorIteratorBaseEENKUlvE_clEvENKUlvE1_clEvEUlN3c104HalfEE_St5arrayIPcLm2EEEEviT0_T1_.has_dyn_sized_stack, 0
	.set _ZN2at6native29vectorized_elementwise_kernelILi8EZZZNS0_12_GLOBAL__N_120isneginf_kernel_implERNS_18TensorIteratorBaseEENKUlvE_clEvENKUlvE1_clEvEUlN3c104HalfEE_St5arrayIPcLm2EEEEviT0_T1_.has_recursion, 0
	.set _ZN2at6native29vectorized_elementwise_kernelILi8EZZZNS0_12_GLOBAL__N_120isneginf_kernel_implERNS_18TensorIteratorBaseEENKUlvE_clEvENKUlvE1_clEvEUlN3c104HalfEE_St5arrayIPcLm2EEEEviT0_T1_.has_indirect_call, 0
	.section	.AMDGPU.csdata,"",@progbits
; Kernel info:
; codeLenInByte = 4056
; TotalNumSgprs: 26
; NumVgprs: 17
; ScratchSize: 0
; MemoryBound: 0
; FloatMode: 240
; IeeeMode: 1
; LDSByteSize: 0 bytes/workgroup (compile time only)
; SGPRBlocks: 0
; VGPRBlocks: 1
; NumSGPRsForWavesPerEU: 26
; NumVGPRsForWavesPerEU: 17
; NamedBarCnt: 0
; Occupancy: 16
; WaveLimiterHint : 1
; COMPUTE_PGM_RSRC2:SCRATCH_EN: 0
; COMPUTE_PGM_RSRC2:USER_SGPR: 2
; COMPUTE_PGM_RSRC2:TRAP_HANDLER: 0
; COMPUTE_PGM_RSRC2:TGID_X_EN: 1
; COMPUTE_PGM_RSRC2:TGID_Y_EN: 0
; COMPUTE_PGM_RSRC2:TGID_Z_EN: 0
; COMPUTE_PGM_RSRC2:TIDIG_COMP_CNT: 0
	.section	.text._ZN2at6native29vectorized_elementwise_kernelILi4EZZZNS0_12_GLOBAL__N_120isneginf_kernel_implERNS_18TensorIteratorBaseEENKUlvE_clEvENKUlvE1_clEvEUlN3c104HalfEE_St5arrayIPcLm2EEEEviT0_T1_,"axG",@progbits,_ZN2at6native29vectorized_elementwise_kernelILi4EZZZNS0_12_GLOBAL__N_120isneginf_kernel_implERNS_18TensorIteratorBaseEENKUlvE_clEvENKUlvE1_clEvEUlN3c104HalfEE_St5arrayIPcLm2EEEEviT0_T1_,comdat
	.globl	_ZN2at6native29vectorized_elementwise_kernelILi4EZZZNS0_12_GLOBAL__N_120isneginf_kernel_implERNS_18TensorIteratorBaseEENKUlvE_clEvENKUlvE1_clEvEUlN3c104HalfEE_St5arrayIPcLm2EEEEviT0_T1_ ; -- Begin function _ZN2at6native29vectorized_elementwise_kernelILi4EZZZNS0_12_GLOBAL__N_120isneginf_kernel_implERNS_18TensorIteratorBaseEENKUlvE_clEvENKUlvE1_clEvEUlN3c104HalfEE_St5arrayIPcLm2EEEEviT0_T1_
	.p2align	8
	.type	_ZN2at6native29vectorized_elementwise_kernelILi4EZZZNS0_12_GLOBAL__N_120isneginf_kernel_implERNS_18TensorIteratorBaseEENKUlvE_clEvENKUlvE1_clEvEUlN3c104HalfEE_St5arrayIPcLm2EEEEviT0_T1_,@function
_ZN2at6native29vectorized_elementwise_kernelILi4EZZZNS0_12_GLOBAL__N_120isneginf_kernel_implERNS_18TensorIteratorBaseEENKUlvE_clEvENKUlvE1_clEvEUlN3c104HalfEE_St5arrayIPcLm2EEEEviT0_T1_: ; @_ZN2at6native29vectorized_elementwise_kernelILi4EZZZNS0_12_GLOBAL__N_120isneginf_kernel_implERNS_18TensorIteratorBaseEENKUlvE_clEvENKUlvE1_clEvEUlN3c104HalfEE_St5arrayIPcLm2EEEEviT0_T1_
; %bb.0:
	s_clause 0x1
	s_load_b32 s3, s[0:1], 0x0
	s_load_b128 s[4:7], s[0:1], 0x8
	s_wait_xcnt 0x0
	s_bfe_u32 s0, ttmp6, 0x4000c
	s_and_b32 s1, ttmp6, 15
	s_add_co_i32 s0, s0, 1
	s_getreg_b32 s2, hwreg(HW_REG_IB_STS2, 6, 4)
	s_mul_i32 s0, ttmp9, s0
	s_delay_alu instid0(SALU_CYCLE_1) | instskip(SKIP_2) | instid1(SALU_CYCLE_1)
	s_add_co_i32 s1, s1, s0
	s_cmp_eq_u32 s2, 0
	s_cselect_b32 s0, ttmp9, s1
	s_lshl_b32 s2, s0, 12
	s_mov_b32 s0, -1
	s_wait_kmcnt 0x0
	s_sub_co_i32 s1, s3, s2
	s_delay_alu instid0(SALU_CYCLE_1)
	s_cmp_gt_i32 s1, 0xfff
	s_cbranch_scc0 .LBB82_2
; %bb.1:
	s_ashr_i32 s3, s2, 31
	s_mov_b32 s0, 0
	s_lshl_b64 s[8:9], s[2:3], 1
	s_delay_alu instid0(SALU_CYCLE_1)
	s_add_nc_u64 s[8:9], s[6:7], s[8:9]
	s_clause 0x3
	global_load_b64 v[2:3], v0, s[8:9] offset:2048 scale_offset
	global_load_b64 v[4:5], v0, s[8:9] offset:4096 scale_offset
	;; [unrolled: 1-line block ×3, first 2 shown]
	global_load_b64 v[8:9], v0, s[8:9] scale_offset
	s_wait_xcnt 0x0
	s_add_nc_u64 s[8:9], s[4:5], s[2:3]
	s_wait_loadcnt 0x2
	v_dual_lshrrev_b32 v1, 16, v3 :: v_dual_lshrrev_b32 v10, 16, v5
	s_wait_loadcnt 0x0
	v_dual_lshrrev_b32 v11, 16, v7 :: v_dual_lshrrev_b32 v12, 16, v8
	v_cmp_eq_f16_e32 vcc_lo, 0xfc00, v8
	v_dual_lshrrev_b32 v13, 16, v9 :: v_dual_lshrrev_b32 v14, 16, v2
	v_dual_lshrrev_b32 v15, 16, v4 :: v_dual_lshrrev_b32 v16, 16, v6
	v_cndmask_b32_e64 v8, 0, 1, vcc_lo
	v_cmp_eq_f16_e32 vcc_lo, 0xfc00, v9
	v_cndmask_b32_e64 v9, 0, 1, vcc_lo
	v_cmp_eq_f16_e32 vcc_lo, 0xfc00, v2
	v_cndmask_b32_e64 v2, 0, 1, vcc_lo
	v_cmp_eq_f16_e32 vcc_lo, 0xfc00, v3
	v_cndmask_b32_e64 v3, 0, 1, vcc_lo
	v_cmp_eq_f16_e32 vcc_lo, 0xfc00, v4
	v_cndmask_b32_e64 v4, 0, 1, vcc_lo
	v_cmp_eq_f16_e32 vcc_lo, 0xfc00, v5
	v_cndmask_b32_e64 v5, 0, 1, vcc_lo
	v_cmp_eq_f16_e32 vcc_lo, 0xfc00, v6
	v_cndmask_b32_e64 v6, 0, 1, vcc_lo
	v_cmp_eq_f16_e32 vcc_lo, 0xfc00, v7
	v_cndmask_b32_e64 v7, 0, 1, vcc_lo
	v_cmp_eq_f16_e32 vcc_lo, 0xfc00, v12
	v_cndmask_b32_e64 v12, 0, 1, vcc_lo
	v_cmp_eq_f16_e32 vcc_lo, 0xfc00, v13
	s_delay_alu instid0(VALU_DEP_2) | instskip(SKIP_2) | instid1(VALU_DEP_2)
	v_lshlrev_b16 v12, 8, v12
	v_cndmask_b32_e64 v13, 0, 1, vcc_lo
	v_cmp_eq_f16_e32 vcc_lo, 0xfc00, v14
	v_lshlrev_b16 v13, 8, v13
	v_cndmask_b32_e64 v14, 0, 1, vcc_lo
	v_cmp_eq_f16_e32 vcc_lo, 0xfc00, v1
	s_delay_alu instid0(VALU_DEP_2) | instskip(SKIP_2) | instid1(VALU_DEP_2)
	v_lshlrev_b16 v14, 8, v14
	v_cndmask_b32_e64 v1, 0, 1, vcc_lo
	v_cmp_eq_f16_e32 vcc_lo, 0xfc00, v15
	v_lshlrev_b16 v1, 8, v1
	v_cndmask_b32_e64 v15, 0, 1, vcc_lo
	v_cmp_eq_f16_e32 vcc_lo, 0xfc00, v10
	s_delay_alu instid0(VALU_DEP_3) | instskip(NEXT) | instid1(VALU_DEP_3)
	v_or_b32_e32 v1, v3, v1
	v_lshlrev_b16 v15, 8, v15
	v_cndmask_b32_e64 v10, 0, 1, vcc_lo
	v_cmp_eq_f16_e32 vcc_lo, 0xfc00, v16
	s_delay_alu instid0(VALU_DEP_3) | instskip(NEXT) | instid1(VALU_DEP_3)
	v_or_b32_e32 v3, v4, v15
	v_lshlrev_b16 v10, 8, v10
	v_cndmask_b32_e64 v16, 0, 1, vcc_lo
	v_cmp_eq_f16_e32 vcc_lo, 0xfc00, v11
	s_delay_alu instid0(VALU_DEP_4) | instskip(NEXT) | instid1(VALU_DEP_4)
	v_and_b32_e32 v3, 0xffff, v3
	v_or_b32_e32 v4, v5, v10
	s_delay_alu instid0(VALU_DEP_4) | instskip(SKIP_1) | instid1(VALU_DEP_3)
	v_lshlrev_b16 v16, 8, v16
	v_cndmask_b32_e64 v11, 0, 1, vcc_lo
	v_dual_lshlrev_b32 v4, 16, v4 :: v_dual_bitop2_b32 v9, v9, v13 bitop3:0x54
	s_delay_alu instid0(VALU_DEP_3) | instskip(NEXT) | instid1(VALU_DEP_3)
	v_or_b32_e32 v5, v6, v16
	v_lshlrev_b16 v11, 8, v11
	v_or_b32_e32 v2, v2, v14
	s_delay_alu instid0(VALU_DEP_3) | instskip(NEXT) | instid1(VALU_DEP_3)
	v_and_b32_e32 v5, 0xffff, v5
	v_or_b32_e32 v6, v7, v11
	s_delay_alu instid0(VALU_DEP_1) | instskip(SKIP_1) | instid1(VALU_DEP_2)
	v_dual_lshlrev_b32 v6, 16, v6 :: v_dual_bitop2_b32 v8, v8, v12 bitop3:0x54
	v_lshlrev_b32_e32 v1, 16, v1
	v_and_b32_e32 v7, 0xffff, v8
	v_lshlrev_b32_e32 v8, 16, v9
	v_and_b32_e32 v2, 0xffff, v2
	s_delay_alu instid0(VALU_DEP_2) | instskip(NEXT) | instid1(VALU_DEP_2)
	v_or_b32_e32 v7, v7, v8
	v_or_b32_e32 v1, v2, v1
	;; [unrolled: 1-line block ×4, first 2 shown]
	s_clause 0x3
	global_store_b32 v0, v7, s[8:9] scale_offset
	global_store_b32 v0, v1, s[8:9] offset:1024 scale_offset
	global_store_b32 v0, v2, s[8:9] offset:2048 scale_offset
	;; [unrolled: 1-line block ×3, first 2 shown]
.LBB82_2:
	s_and_not1_b32 vcc_lo, exec_lo, s0
	s_cbranch_vccnz .LBB82_52
; %bb.3:
	v_cmp_gt_i32_e32 vcc_lo, s1, v0
	s_wait_xcnt 0x0
	v_dual_mov_b32 v3, v0 :: v_dual_bitop2_b32 v1, s2, v0 bitop3:0x54
	v_or_b32_e32 v2, 0x100, v0
	s_mov_b32 s8, 0
	s_mov_b32 s9, 0
	s_and_saveexec_b32 s3, vcc_lo
	s_cbranch_execz .LBB82_5
; %bb.4:
	global_load_u16 v3, v1, s[6:7] scale_offset
	s_wait_loadcnt 0x0
	v_cmp_eq_f16_e64 s0, 0xfc00, v3
	v_or_b32_e32 v3, 0x100, v0
	s_and_b32 s9, s0, exec_lo
.LBB82_5:
	s_wait_xcnt 0x0
	s_or_b32 exec_lo, exec_lo, s3
	s_delay_alu instid0(SALU_CYCLE_1)
	s_mov_b32 s3, exec_lo
	v_cmpx_gt_i32_e64 s1, v3
	s_cbranch_execz .LBB82_7
; %bb.6:
	v_add_nc_u32_e32 v4, s2, v3
	v_add_nc_u32_e32 v3, 0x100, v3
	global_load_u16 v4, v4, s[6:7] scale_offset
	s_wait_loadcnt 0x0
	v_cmp_eq_f16_e64 s0, 0xfc00, v4
	s_and_b32 s8, s0, exec_lo
.LBB82_7:
	s_wait_xcnt 0x0
	s_or_b32 exec_lo, exec_lo, s3
	s_mov_b32 s10, 0
	s_mov_b32 s11, 0
	s_mov_b32 s3, exec_lo
	v_cmpx_gt_i32_e64 s1, v3
	s_cbranch_execz .LBB82_9
; %bb.8:
	v_add_nc_u32_e32 v4, s2, v3
	v_add_nc_u32_e32 v3, 0x100, v3
	global_load_u16 v4, v4, s[6:7] scale_offset
	s_wait_loadcnt 0x0
	v_cmp_eq_f16_e64 s0, 0xfc00, v4
	s_and_b32 s11, s0, exec_lo
.LBB82_9:
	s_wait_xcnt 0x0
	s_or_b32 exec_lo, exec_lo, s3
	s_delay_alu instid0(SALU_CYCLE_1)
	s_mov_b32 s3, exec_lo
	v_cmpx_gt_i32_e64 s1, v3
	s_cbranch_execz .LBB82_11
; %bb.10:
	v_add_nc_u32_e32 v4, s2, v3
	v_add_nc_u32_e32 v3, 0x100, v3
	global_load_u16 v4, v4, s[6:7] scale_offset
	s_wait_loadcnt 0x0
	v_cmp_eq_f16_e64 s0, 0xfc00, v4
	s_and_b32 s10, s0, exec_lo
.LBB82_11:
	s_wait_xcnt 0x0
	s_or_b32 exec_lo, exec_lo, s3
	s_mov_b32 s12, 0
	s_mov_b32 s14, 0
	s_mov_b32 s3, exec_lo
	v_cmpx_gt_i32_e64 s1, v3
	s_cbranch_execz .LBB82_13
; %bb.12:
	v_add_nc_u32_e32 v4, s2, v3
	v_add_nc_u32_e32 v3, 0x100, v3
	global_load_u16 v4, v4, s[6:7] scale_offset
	s_wait_loadcnt 0x0
	v_cmp_eq_f16_e64 s0, 0xfc00, v4
	s_and_b32 s14, s0, exec_lo
.LBB82_13:
	;; [unrolled: 29-line block ×7, first 2 shown]
	s_wait_xcnt 0x0
	s_or_b32 exec_lo, exec_lo, s23
	s_delay_alu instid0(SALU_CYCLE_1)
	s_mov_b32 s23, exec_lo
	v_cmpx_gt_i32_e64 s1, v3
	s_cbranch_execz .LBB82_35
; %bb.34:
	v_add_nc_u32_e32 v3, s2, v3
	global_load_u16 v3, v3, s[6:7] scale_offset
	s_wait_loadcnt 0x0
	v_cmp_eq_f16_e64 s0, 0xfc00, v3
	s_and_b32 s19, s0, exec_lo
.LBB82_35:
	s_wait_xcnt 0x0
	s_or_b32 exec_lo, exec_lo, s23
	v_cndmask_b32_e64 v5, 0, 1, s14
	v_cndmask_b32_e64 v3, 0, 1, s9
	;; [unrolled: 1-line block ×3, first 2 shown]
	v_or_b32_e32 v10, 0x400, v0
	v_cndmask_b32_e64 v9, 0, 1, s12
	v_bitop3_b16 v5, v5, 0, 0xff00 bitop3:0xf8
	v_or_b32_e32 v6, 0x200, v0
	v_lshlrev_b16 v4, 8, v4
	v_cmp_gt_i32_e64 s0, s1, v10
	v_lshlrev_b16 v9, 8, v9
	v_and_b32_e32 v5, 0xffff, v5
	v_cndmask_b32_e32 v3, 0, v3, vcc_lo
	v_cndmask_b32_e64 v7, 0, 1, s11
	v_or_b32_e32 v10, 0xc00, v0
	v_or_b32_e32 v11, 0x500, v0
	s_delay_alu instid0(VALU_DEP_4) | instskip(SKIP_3) | instid1(VALU_DEP_4)
	v_dual_cndmask_b32 v5, 0, v5, s0 :: v_dual_bitop2_b32 v4, v3, v4 bitop3:0x54
	v_cmp_gt_i32_e64 s0, s1, v2
	v_cndmask_b32_e64 v12, 0, 1, s21
	v_cndmask_b32_e64 v8, 0, 1, s10
	v_bitop3_b16 v9, v5, v9, 0xff bitop3:0xec
	v_and_b32_e32 v4, 0xffff, v4
	v_cndmask_b32_e64 v13, 0, 1, s20
	v_cndmask_b32_e64 v14, 0, 1, s18
	v_lshlrev_b16 v8, 8, v8
	v_and_b32_e32 v9, 0xffff, v9
	v_cndmask_b32_e64 v3, v3, v4, s0
	v_cmp_gt_i32_e64 s0, s1, v6
	v_cndmask_b32_e64 v4, 0, 1, s17
	s_delay_alu instid0(VALU_DEP_3) | instskip(NEXT) | instid1(VALU_DEP_1)
	v_lshl_or_b32 v7, v7, 16, v3
	v_cndmask_b32_e64 v3, v3, v7, s0
	v_cmp_gt_i32_e64 s0, s1, v10
	v_lshlrev_b16 v7, 8, v13
	v_or_b32_e32 v10, 0x800, v0
	v_or_b32_e32 v13, 0xd00, v0
	s_delay_alu instid0(VALU_DEP_4) | instskip(SKIP_2) | instid1(VALU_DEP_2)
	v_cndmask_b32_e64 v6, 0, v12, s0
	v_cmp_gt_i32_e64 s0, s1, v11
	v_cndmask_b32_e64 v11, 0, 1, s15
	v_dual_cndmask_b32 v5, v5, v9, s0 :: v_dual_lshrrev_b32 v9, 16, v3
	s_delay_alu instid0(VALU_DEP_4) | instskip(SKIP_1) | instid1(VALU_DEP_3)
	v_bitop3_b16 v7, v6, v7, 0xff bitop3:0xec
	v_cmp_gt_i32_e64 s0, s1, v10
	v_bitop3_b16 v8, v9, v8, 0xff bitop3:0xec
	s_delay_alu instid0(VALU_DEP_4) | instskip(NEXT) | instid1(VALU_DEP_4)
	v_lshrrev_b32_e32 v12, 16, v5
	v_and_b32_e32 v7, 0xffff, v7
	v_cndmask_b32_e64 v9, 0, 1, s13
	s_delay_alu instid0(VALU_DEP_4) | instskip(NEXT) | instid1(VALU_DEP_4)
	v_lshlrev_b32_e32 v8, 16, v8
	v_bitop3_b16 v4, v4, v12, 0xff00 bitop3:0xf8
	v_cndmask_b32_e64 v10, 0, v11, s0
	v_cmp_gt_i32_e64 s0, s1, v13
	v_lshlrev_b16 v9, 8, v9
	v_or_b32_e32 v11, 0x900, v0
	v_lshlrev_b32_e32 v4, 16, v4
	v_cndmask_b32_e64 v13, 0, 1, s22
	v_and_or_b32 v8, 0xffff, v3, v8
	s_delay_alu instid0(VALU_DEP_3) | instskip(SKIP_2) | instid1(VALU_DEP_1)
	v_and_or_b32 v4, 0xffff, v5, v4
	v_cndmask_b32_e64 v6, v6, v7, s0
	v_or_b32_e32 v7, 0x600, v0
	v_cmp_gt_i32_e64 s0, s1, v7
	s_delay_alu instid0(VALU_DEP_1) | instskip(NEXT) | instid1(VALU_DEP_4)
	v_dual_cndmask_b32 v4, v5, v4, s0 :: v_dual_bitop2_b32 v9, v10, v9 bitop3:0x54
	v_lshrrev_b32_e32 v12, 16, v6
	v_cmp_gt_i32_e64 s0, s1, v11
	s_delay_alu instid0(VALU_DEP_3) | instskip(NEXT) | instid1(VALU_DEP_3)
	v_and_b32_e32 v9, 0xffff, v9
	v_bitop3_b16 v5, v13, v12, 0xff00 bitop3:0xf8
	v_or_b32_e32 v12, 0xa00, v0
	v_lshrrev_b32_e32 v11, 16, v4
	v_or_b32_e32 v13, 0xe00, v0
	v_dual_cndmask_b32 v7, v10, v9, s0 :: v_dual_lshlrev_b32 v9, 16, v14
	v_lshlrev_b32_e32 v5, 16, v5
	v_cmp_gt_i32_e64 s0, s1, v12
	v_cndmask_b32_e64 v10, 0, 1, s3
	s_delay_alu instid0(VALU_DEP_4) | instskip(NEXT) | instid1(VALU_DEP_4)
	v_and_or_b32 v9, 0x1ff, v7, v9
	v_and_or_b32 v5, 0xffff, v6, v5
	s_delay_alu instid0(VALU_DEP_3) | instskip(NEXT) | instid1(VALU_DEP_3)
	v_lshlrev_b16 v10, 8, v10
	v_cndmask_b32_e64 v7, v7, v9, s0
	v_cmp_gt_i32_e64 s0, s1, v13
	v_cndmask_b32_e64 v9, 0, 1, s16
	v_or_b32_e32 v13, 0x300, v0
	s_delay_alu instid0(VALU_DEP_3)
	v_cndmask_b32_e64 v12, v6, v5, s0
	v_cndmask_b32_e64 v5, 0, 1, s19
	v_bitop3_b16 v6, v11, v10, 0xff bitop3:0xec
	v_lshlrev_b16 v9, 8, v9
	v_cmp_gt_i32_e64 s0, s1, v13
	v_dual_lshrrev_b32 v11, 16, v12 :: v_dual_lshrrev_b32 v10, 16, v7
	v_lshlrev_b16 v5, 8, v5
	s_delay_alu instid0(VALU_DEP_2) | instskip(NEXT) | instid1(VALU_DEP_4)
	v_bitop3_b16 v9, v10, v9, 0xff bitop3:0xec
	v_dual_lshlrev_b32 v10, 16, v6 :: v_dual_cndmask_b32 v6, v3, v8, s0
	s_delay_alu instid0(VALU_DEP_3) | instskip(SKIP_2) | instid1(VALU_DEP_3)
	v_bitop3_b16 v5, v11, v5, 0xff bitop3:0xec
	v_or_b32_e32 v8, 0x700, v0
	v_or_b32_e32 v11, 0xf00, v0
	v_lshlrev_b32_e32 v5, 16, v5
	s_delay_alu instid0(VALU_DEP_3) | instskip(SKIP_4) | instid1(VALU_DEP_3)
	v_cmp_gt_i32_e64 s0, s1, v8
	v_lshlrev_b32_e32 v3, 16, v9
	v_and_or_b32 v9, 0xffff, v4, v10
	v_or_b32_e32 v10, 0xb00, v0
	v_and_or_b32 v13, 0xffff, v12, v5
	v_cndmask_b32_e64 v5, v4, v9, s0
	v_and_or_b32 v3, 0xffff, v7, v3
	s_delay_alu instid0(VALU_DEP_4) | instskip(NEXT) | instid1(VALU_DEP_1)
	v_cmp_gt_i32_e64 s0, s1, v10
	v_cndmask_b32_e64 v4, v7, v3, s0
	v_cmp_gt_i32_e64 s0, s1, v11
	s_delay_alu instid0(VALU_DEP_1)
	v_cndmask_b32_e64 v3, v12, v13, s0
	s_and_saveexec_b32 s0, vcc_lo
	s_cbranch_execnz .LBB82_53
; %bb.36:
	s_or_b32 exec_lo, exec_lo, s0
	s_delay_alu instid0(SALU_CYCLE_1)
	s_mov_b32 s0, exec_lo
	v_cmpx_gt_i32_e64 s1, v0
	s_cbranch_execnz .LBB82_54
.LBB82_37:
	s_or_b32 exec_lo, exec_lo, s0
	s_delay_alu instid0(SALU_CYCLE_1)
	s_mov_b32 s0, exec_lo
	v_cmpx_gt_i32_e64 s1, v0
	s_cbranch_execnz .LBB82_55
.LBB82_38:
	s_or_b32 exec_lo, exec_lo, s0
	s_delay_alu instid0(SALU_CYCLE_1)
	s_mov_b32 s0, exec_lo
	v_cmpx_gt_i32_e64 s1, v0
	s_cbranch_execnz .LBB82_56
.LBB82_39:
	s_or_b32 exec_lo, exec_lo, s0
	s_delay_alu instid0(SALU_CYCLE_1)
	s_mov_b32 s0, exec_lo
	v_cmpx_gt_i32_e64 s1, v0
	s_cbranch_execnz .LBB82_57
.LBB82_40:
	s_or_b32 exec_lo, exec_lo, s0
	s_delay_alu instid0(SALU_CYCLE_1)
	s_mov_b32 s0, exec_lo
	v_cmpx_gt_i32_e64 s1, v0
	s_cbranch_execnz .LBB82_58
.LBB82_41:
	s_or_b32 exec_lo, exec_lo, s0
	s_delay_alu instid0(SALU_CYCLE_1)
	s_mov_b32 s0, exec_lo
	v_cmpx_gt_i32_e64 s1, v0
	s_cbranch_execnz .LBB82_59
.LBB82_42:
	s_or_b32 exec_lo, exec_lo, s0
	s_delay_alu instid0(SALU_CYCLE_1)
	s_mov_b32 s0, exec_lo
	v_cmpx_gt_i32_e64 s1, v0
	s_cbranch_execnz .LBB82_60
.LBB82_43:
	s_or_b32 exec_lo, exec_lo, s0
	s_delay_alu instid0(SALU_CYCLE_1)
	s_mov_b32 s0, exec_lo
	v_cmpx_gt_i32_e64 s1, v0
	s_cbranch_execnz .LBB82_61
.LBB82_44:
	s_or_b32 exec_lo, exec_lo, s0
	s_delay_alu instid0(SALU_CYCLE_1)
	s_mov_b32 s0, exec_lo
	v_cmpx_gt_i32_e64 s1, v0
	s_cbranch_execnz .LBB82_62
.LBB82_45:
	s_or_b32 exec_lo, exec_lo, s0
	s_delay_alu instid0(SALU_CYCLE_1)
	s_mov_b32 s0, exec_lo
	v_cmpx_gt_i32_e64 s1, v0
	s_cbranch_execnz .LBB82_63
.LBB82_46:
	s_or_b32 exec_lo, exec_lo, s0
	s_delay_alu instid0(SALU_CYCLE_1)
	s_mov_b32 s0, exec_lo
	v_cmpx_gt_i32_e64 s1, v0
	s_cbranch_execnz .LBB82_64
.LBB82_47:
	s_or_b32 exec_lo, exec_lo, s0
	s_delay_alu instid0(SALU_CYCLE_1)
	s_mov_b32 s0, exec_lo
	v_cmpx_gt_i32_e64 s1, v0
	s_cbranch_execnz .LBB82_65
.LBB82_48:
	s_or_b32 exec_lo, exec_lo, s0
	s_delay_alu instid0(SALU_CYCLE_1)
	s_mov_b32 s0, exec_lo
	v_cmpx_gt_i32_e64 s1, v0
	s_cbranch_execnz .LBB82_66
.LBB82_49:
	s_or_b32 exec_lo, exec_lo, s0
	s_delay_alu instid0(SALU_CYCLE_1)
	s_mov_b32 s0, exec_lo
	v_cmpx_gt_i32_e64 s1, v0
	s_cbranch_execnz .LBB82_67
.LBB82_50:
	s_or_b32 exec_lo, exec_lo, s0
	s_delay_alu instid0(SALU_CYCLE_1)
	s_mov_b32 s0, exec_lo
	v_cmpx_gt_i32_e64 s1, v0
	s_cbranch_execz .LBB82_52
.LBB82_51:
	v_dual_lshrrev_b32 v1, 24, v3 :: v_dual_add_nc_u32 v0, s2, v0
	global_store_b8 v0, v1, s[4:5]
.LBB82_52:
	s_endpgm
.LBB82_53:
	v_mov_b32_e32 v0, v2
	global_store_b8 v1, v6, s[4:5]
	s_wait_xcnt 0x0
	s_or_b32 exec_lo, exec_lo, s0
	s_delay_alu instid0(SALU_CYCLE_1)
	s_mov_b32 s0, exec_lo
	v_cmpx_gt_i32_e64 s1, v0
	s_cbranch_execz .LBB82_37
.LBB82_54:
	v_dual_lshrrev_b32 v1, 8, v6 :: v_dual_add_nc_u32 v2, s2, v0
	v_add_nc_u32_e32 v0, 0x100, v0
	global_store_b8 v2, v1, s[4:5]
	s_wait_xcnt 0x0
	s_or_b32 exec_lo, exec_lo, s0
	s_delay_alu instid0(SALU_CYCLE_1)
	s_mov_b32 s0, exec_lo
	v_cmpx_gt_i32_e64 s1, v0
	s_cbranch_execz .LBB82_38
.LBB82_55:
	v_add_nc_u32_e32 v1, s2, v0
	v_add_nc_u32_e32 v0, 0x100, v0
	global_store_d16_hi_b8 v1, v6, s[4:5]
	s_wait_xcnt 0x0
	s_or_b32 exec_lo, exec_lo, s0
	s_delay_alu instid0(SALU_CYCLE_1)
	s_mov_b32 s0, exec_lo
	v_cmpx_gt_i32_e64 s1, v0
	s_cbranch_execz .LBB82_39
.LBB82_56:
	v_dual_lshrrev_b32 v1, 24, v6 :: v_dual_add_nc_u32 v2, s2, v0
	v_add_nc_u32_e32 v0, 0x100, v0
	global_store_b8 v2, v1, s[4:5]
	s_wait_xcnt 0x0
	s_or_b32 exec_lo, exec_lo, s0
	s_delay_alu instid0(SALU_CYCLE_1)
	s_mov_b32 s0, exec_lo
	v_cmpx_gt_i32_e64 s1, v0
	s_cbranch_execz .LBB82_40
.LBB82_57:
	v_add_nc_u32_e32 v1, s2, v0
	v_add_nc_u32_e32 v0, 0x100, v0
	global_store_b8 v1, v5, s[4:5]
	s_wait_xcnt 0x0
	s_or_b32 exec_lo, exec_lo, s0
	s_delay_alu instid0(SALU_CYCLE_1)
	s_mov_b32 s0, exec_lo
	v_cmpx_gt_i32_e64 s1, v0
	s_cbranch_execz .LBB82_41
.LBB82_58:
	v_dual_lshrrev_b32 v1, 8, v5 :: v_dual_add_nc_u32 v2, s2, v0
	v_add_nc_u32_e32 v0, 0x100, v0
	global_store_b8 v2, v1, s[4:5]
	s_wait_xcnt 0x0
	s_or_b32 exec_lo, exec_lo, s0
	s_delay_alu instid0(SALU_CYCLE_1)
	s_mov_b32 s0, exec_lo
	v_cmpx_gt_i32_e64 s1, v0
	s_cbranch_execz .LBB82_42
.LBB82_59:
	v_add_nc_u32_e32 v1, s2, v0
	v_add_nc_u32_e32 v0, 0x100, v0
	global_store_d16_hi_b8 v1, v5, s[4:5]
	s_wait_xcnt 0x0
	s_or_b32 exec_lo, exec_lo, s0
	s_delay_alu instid0(SALU_CYCLE_1)
	s_mov_b32 s0, exec_lo
	v_cmpx_gt_i32_e64 s1, v0
	s_cbranch_execz .LBB82_43
.LBB82_60:
	v_dual_lshrrev_b32 v1, 24, v5 :: v_dual_add_nc_u32 v2, s2, v0
	v_add_nc_u32_e32 v0, 0x100, v0
	global_store_b8 v2, v1, s[4:5]
	s_wait_xcnt 0x0
	s_or_b32 exec_lo, exec_lo, s0
	s_delay_alu instid0(SALU_CYCLE_1)
	s_mov_b32 s0, exec_lo
	v_cmpx_gt_i32_e64 s1, v0
	s_cbranch_execz .LBB82_44
.LBB82_61:
	v_add_nc_u32_e32 v1, s2, v0
	v_add_nc_u32_e32 v0, 0x100, v0
	global_store_b8 v1, v4, s[4:5]
	s_wait_xcnt 0x0
	s_or_b32 exec_lo, exec_lo, s0
	s_delay_alu instid0(SALU_CYCLE_1)
	s_mov_b32 s0, exec_lo
	v_cmpx_gt_i32_e64 s1, v0
	s_cbranch_execz .LBB82_45
.LBB82_62:
	v_lshrrev_b32_e32 v1, 8, v4
	v_add_nc_u32_e32 v2, s2, v0
	v_add_nc_u32_e32 v0, 0x100, v0
	global_store_b8 v2, v1, s[4:5]
	s_wait_xcnt 0x0
	s_or_b32 exec_lo, exec_lo, s0
	s_delay_alu instid0(SALU_CYCLE_1)
	s_mov_b32 s0, exec_lo
	v_cmpx_gt_i32_e64 s1, v0
	s_cbranch_execz .LBB82_46
.LBB82_63:
	v_add_nc_u32_e32 v1, s2, v0
	v_add_nc_u32_e32 v0, 0x100, v0
	global_store_d16_hi_b8 v1, v4, s[4:5]
	s_wait_xcnt 0x0
	s_or_b32 exec_lo, exec_lo, s0
	s_delay_alu instid0(SALU_CYCLE_1)
	s_mov_b32 s0, exec_lo
	v_cmpx_gt_i32_e64 s1, v0
	s_cbranch_execz .LBB82_47
.LBB82_64:
	v_lshrrev_b32_e32 v1, 24, v4
	v_add_nc_u32_e32 v2, s2, v0
	v_add_nc_u32_e32 v0, 0x100, v0
	global_store_b8 v2, v1, s[4:5]
	s_wait_xcnt 0x0
	s_or_b32 exec_lo, exec_lo, s0
	s_delay_alu instid0(SALU_CYCLE_1)
	s_mov_b32 s0, exec_lo
	v_cmpx_gt_i32_e64 s1, v0
	s_cbranch_execz .LBB82_48
.LBB82_65:
	v_add_nc_u32_e32 v1, s2, v0
	v_add_nc_u32_e32 v0, 0x100, v0
	global_store_b8 v1, v3, s[4:5]
	s_wait_xcnt 0x0
	s_or_b32 exec_lo, exec_lo, s0
	s_delay_alu instid0(SALU_CYCLE_1)
	s_mov_b32 s0, exec_lo
	v_cmpx_gt_i32_e64 s1, v0
	s_cbranch_execz .LBB82_49
.LBB82_66:
	v_dual_lshrrev_b32 v1, 8, v3 :: v_dual_add_nc_u32 v2, s2, v0
	v_add_nc_u32_e32 v0, 0x100, v0
	global_store_b8 v2, v1, s[4:5]
	s_wait_xcnt 0x0
	s_or_b32 exec_lo, exec_lo, s0
	s_delay_alu instid0(SALU_CYCLE_1)
	s_mov_b32 s0, exec_lo
	v_cmpx_gt_i32_e64 s1, v0
	s_cbranch_execz .LBB82_50
.LBB82_67:
	v_add_nc_u32_e32 v1, s2, v0
	v_add_nc_u32_e32 v0, 0x100, v0
	global_store_d16_hi_b8 v1, v3, s[4:5]
	s_wait_xcnt 0x0
	s_or_b32 exec_lo, exec_lo, s0
	s_delay_alu instid0(SALU_CYCLE_1)
	s_mov_b32 s0, exec_lo
	v_cmpx_gt_i32_e64 s1, v0
	s_cbranch_execnz .LBB82_51
	s_branch .LBB82_52
	.section	.rodata,"a",@progbits
	.p2align	6, 0x0
	.amdhsa_kernel _ZN2at6native29vectorized_elementwise_kernelILi4EZZZNS0_12_GLOBAL__N_120isneginf_kernel_implERNS_18TensorIteratorBaseEENKUlvE_clEvENKUlvE1_clEvEUlN3c104HalfEE_St5arrayIPcLm2EEEEviT0_T1_
		.amdhsa_group_segment_fixed_size 0
		.amdhsa_private_segment_fixed_size 0
		.amdhsa_kernarg_size 24
		.amdhsa_user_sgpr_count 2
		.amdhsa_user_sgpr_dispatch_ptr 0
		.amdhsa_user_sgpr_queue_ptr 0
		.amdhsa_user_sgpr_kernarg_segment_ptr 1
		.amdhsa_user_sgpr_dispatch_id 0
		.amdhsa_user_sgpr_kernarg_preload_length 0
		.amdhsa_user_sgpr_kernarg_preload_offset 0
		.amdhsa_user_sgpr_private_segment_size 0
		.amdhsa_wavefront_size32 1
		.amdhsa_uses_dynamic_stack 0
		.amdhsa_enable_private_segment 0
		.amdhsa_system_sgpr_workgroup_id_x 1
		.amdhsa_system_sgpr_workgroup_id_y 0
		.amdhsa_system_sgpr_workgroup_id_z 0
		.amdhsa_system_sgpr_workgroup_info 0
		.amdhsa_system_vgpr_workitem_id 0
		.amdhsa_next_free_vgpr 17
		.amdhsa_next_free_sgpr 24
		.amdhsa_named_barrier_count 0
		.amdhsa_reserve_vcc 1
		.amdhsa_float_round_mode_32 0
		.amdhsa_float_round_mode_16_64 0
		.amdhsa_float_denorm_mode_32 3
		.amdhsa_float_denorm_mode_16_64 3
		.amdhsa_fp16_overflow 0
		.amdhsa_memory_ordered 1
		.amdhsa_forward_progress 1
		.amdhsa_inst_pref_size 32
		.amdhsa_round_robin_scheduling 0
		.amdhsa_exception_fp_ieee_invalid_op 0
		.amdhsa_exception_fp_denorm_src 0
		.amdhsa_exception_fp_ieee_div_zero 0
		.amdhsa_exception_fp_ieee_overflow 0
		.amdhsa_exception_fp_ieee_underflow 0
		.amdhsa_exception_fp_ieee_inexact 0
		.amdhsa_exception_int_div_zero 0
	.end_amdhsa_kernel
	.section	.text._ZN2at6native29vectorized_elementwise_kernelILi4EZZZNS0_12_GLOBAL__N_120isneginf_kernel_implERNS_18TensorIteratorBaseEENKUlvE_clEvENKUlvE1_clEvEUlN3c104HalfEE_St5arrayIPcLm2EEEEviT0_T1_,"axG",@progbits,_ZN2at6native29vectorized_elementwise_kernelILi4EZZZNS0_12_GLOBAL__N_120isneginf_kernel_implERNS_18TensorIteratorBaseEENKUlvE_clEvENKUlvE1_clEvEUlN3c104HalfEE_St5arrayIPcLm2EEEEviT0_T1_,comdat
.Lfunc_end82:
	.size	_ZN2at6native29vectorized_elementwise_kernelILi4EZZZNS0_12_GLOBAL__N_120isneginf_kernel_implERNS_18TensorIteratorBaseEENKUlvE_clEvENKUlvE1_clEvEUlN3c104HalfEE_St5arrayIPcLm2EEEEviT0_T1_, .Lfunc_end82-_ZN2at6native29vectorized_elementwise_kernelILi4EZZZNS0_12_GLOBAL__N_120isneginf_kernel_implERNS_18TensorIteratorBaseEENKUlvE_clEvENKUlvE1_clEvEUlN3c104HalfEE_St5arrayIPcLm2EEEEviT0_T1_
                                        ; -- End function
	.set _ZN2at6native29vectorized_elementwise_kernelILi4EZZZNS0_12_GLOBAL__N_120isneginf_kernel_implERNS_18TensorIteratorBaseEENKUlvE_clEvENKUlvE1_clEvEUlN3c104HalfEE_St5arrayIPcLm2EEEEviT0_T1_.num_vgpr, 17
	.set _ZN2at6native29vectorized_elementwise_kernelILi4EZZZNS0_12_GLOBAL__N_120isneginf_kernel_implERNS_18TensorIteratorBaseEENKUlvE_clEvENKUlvE1_clEvEUlN3c104HalfEE_St5arrayIPcLm2EEEEviT0_T1_.num_agpr, 0
	.set _ZN2at6native29vectorized_elementwise_kernelILi4EZZZNS0_12_GLOBAL__N_120isneginf_kernel_implERNS_18TensorIteratorBaseEENKUlvE_clEvENKUlvE1_clEvEUlN3c104HalfEE_St5arrayIPcLm2EEEEviT0_T1_.numbered_sgpr, 24
	.set _ZN2at6native29vectorized_elementwise_kernelILi4EZZZNS0_12_GLOBAL__N_120isneginf_kernel_implERNS_18TensorIteratorBaseEENKUlvE_clEvENKUlvE1_clEvEUlN3c104HalfEE_St5arrayIPcLm2EEEEviT0_T1_.num_named_barrier, 0
	.set _ZN2at6native29vectorized_elementwise_kernelILi4EZZZNS0_12_GLOBAL__N_120isneginf_kernel_implERNS_18TensorIteratorBaseEENKUlvE_clEvENKUlvE1_clEvEUlN3c104HalfEE_St5arrayIPcLm2EEEEviT0_T1_.private_seg_size, 0
	.set _ZN2at6native29vectorized_elementwise_kernelILi4EZZZNS0_12_GLOBAL__N_120isneginf_kernel_implERNS_18TensorIteratorBaseEENKUlvE_clEvENKUlvE1_clEvEUlN3c104HalfEE_St5arrayIPcLm2EEEEviT0_T1_.uses_vcc, 1
	.set _ZN2at6native29vectorized_elementwise_kernelILi4EZZZNS0_12_GLOBAL__N_120isneginf_kernel_implERNS_18TensorIteratorBaseEENKUlvE_clEvENKUlvE1_clEvEUlN3c104HalfEE_St5arrayIPcLm2EEEEviT0_T1_.uses_flat_scratch, 0
	.set _ZN2at6native29vectorized_elementwise_kernelILi4EZZZNS0_12_GLOBAL__N_120isneginf_kernel_implERNS_18TensorIteratorBaseEENKUlvE_clEvENKUlvE1_clEvEUlN3c104HalfEE_St5arrayIPcLm2EEEEviT0_T1_.has_dyn_sized_stack, 0
	.set _ZN2at6native29vectorized_elementwise_kernelILi4EZZZNS0_12_GLOBAL__N_120isneginf_kernel_implERNS_18TensorIteratorBaseEENKUlvE_clEvENKUlvE1_clEvEUlN3c104HalfEE_St5arrayIPcLm2EEEEviT0_T1_.has_recursion, 0
	.set _ZN2at6native29vectorized_elementwise_kernelILi4EZZZNS0_12_GLOBAL__N_120isneginf_kernel_implERNS_18TensorIteratorBaseEENKUlvE_clEvENKUlvE1_clEvEUlN3c104HalfEE_St5arrayIPcLm2EEEEviT0_T1_.has_indirect_call, 0
	.section	.AMDGPU.csdata,"",@progbits
; Kernel info:
; codeLenInByte = 4088
; TotalNumSgprs: 26
; NumVgprs: 17
; ScratchSize: 0
; MemoryBound: 0
; FloatMode: 240
; IeeeMode: 1
; LDSByteSize: 0 bytes/workgroup (compile time only)
; SGPRBlocks: 0
; VGPRBlocks: 1
; NumSGPRsForWavesPerEU: 26
; NumVGPRsForWavesPerEU: 17
; NamedBarCnt: 0
; Occupancy: 16
; WaveLimiterHint : 1
; COMPUTE_PGM_RSRC2:SCRATCH_EN: 0
; COMPUTE_PGM_RSRC2:USER_SGPR: 2
; COMPUTE_PGM_RSRC2:TRAP_HANDLER: 0
; COMPUTE_PGM_RSRC2:TGID_X_EN: 1
; COMPUTE_PGM_RSRC2:TGID_Y_EN: 0
; COMPUTE_PGM_RSRC2:TGID_Z_EN: 0
; COMPUTE_PGM_RSRC2:TIDIG_COMP_CNT: 0
	.section	.text._ZN2at6native29vectorized_elementwise_kernelILi2EZZZNS0_12_GLOBAL__N_120isneginf_kernel_implERNS_18TensorIteratorBaseEENKUlvE_clEvENKUlvE1_clEvEUlN3c104HalfEE_St5arrayIPcLm2EEEEviT0_T1_,"axG",@progbits,_ZN2at6native29vectorized_elementwise_kernelILi2EZZZNS0_12_GLOBAL__N_120isneginf_kernel_implERNS_18TensorIteratorBaseEENKUlvE_clEvENKUlvE1_clEvEUlN3c104HalfEE_St5arrayIPcLm2EEEEviT0_T1_,comdat
	.globl	_ZN2at6native29vectorized_elementwise_kernelILi2EZZZNS0_12_GLOBAL__N_120isneginf_kernel_implERNS_18TensorIteratorBaseEENKUlvE_clEvENKUlvE1_clEvEUlN3c104HalfEE_St5arrayIPcLm2EEEEviT0_T1_ ; -- Begin function _ZN2at6native29vectorized_elementwise_kernelILi2EZZZNS0_12_GLOBAL__N_120isneginf_kernel_implERNS_18TensorIteratorBaseEENKUlvE_clEvENKUlvE1_clEvEUlN3c104HalfEE_St5arrayIPcLm2EEEEviT0_T1_
	.p2align	8
	.type	_ZN2at6native29vectorized_elementwise_kernelILi2EZZZNS0_12_GLOBAL__N_120isneginf_kernel_implERNS_18TensorIteratorBaseEENKUlvE_clEvENKUlvE1_clEvEUlN3c104HalfEE_St5arrayIPcLm2EEEEviT0_T1_,@function
_ZN2at6native29vectorized_elementwise_kernelILi2EZZZNS0_12_GLOBAL__N_120isneginf_kernel_implERNS_18TensorIteratorBaseEENKUlvE_clEvENKUlvE1_clEvEUlN3c104HalfEE_St5arrayIPcLm2EEEEviT0_T1_: ; @_ZN2at6native29vectorized_elementwise_kernelILi2EZZZNS0_12_GLOBAL__N_120isneginf_kernel_implERNS_18TensorIteratorBaseEENKUlvE_clEvENKUlvE1_clEvEUlN3c104HalfEE_St5arrayIPcLm2EEEEviT0_T1_
; %bb.0:
	s_clause 0x1
	s_load_b32 s3, s[0:1], 0x0
	s_load_b128 s[4:7], s[0:1], 0x8
	s_wait_xcnt 0x0
	s_bfe_u32 s0, ttmp6, 0x4000c
	s_and_b32 s1, ttmp6, 15
	s_add_co_i32 s0, s0, 1
	s_getreg_b32 s2, hwreg(HW_REG_IB_STS2, 6, 4)
	s_mul_i32 s0, ttmp9, s0
	s_delay_alu instid0(SALU_CYCLE_1) | instskip(SKIP_2) | instid1(SALU_CYCLE_1)
	s_add_co_i32 s1, s1, s0
	s_cmp_eq_u32 s2, 0
	s_cselect_b32 s0, ttmp9, s1
	s_lshl_b32 s2, s0, 12
	s_mov_b32 s0, -1
	s_wait_kmcnt 0x0
	s_sub_co_i32 s1, s3, s2
	s_delay_alu instid0(SALU_CYCLE_1)
	s_cmp_gt_i32 s1, 0xfff
	s_cbranch_scc0 .LBB83_2
; %bb.1:
	s_ashr_i32 s3, s2, 31
	s_mov_b32 s0, 0
	s_lshl_b64 s[8:9], s[2:3], 1
	s_delay_alu instid0(SALU_CYCLE_1)
	s_add_nc_u64 s[8:9], s[6:7], s[8:9]
	s_clause 0x7
	global_load_b32 v1, v0, s[8:9] offset:3072 scale_offset
	global_load_b32 v2, v0, s[8:9] offset:5120 scale_offset
	;; [unrolled: 1-line block ×3, first 2 shown]
	global_load_b32 v4, v0, s[8:9] scale_offset
	global_load_b32 v5, v0, s[8:9] offset:1024 scale_offset
	global_load_b32 v6, v0, s[8:9] offset:6144 scale_offset
	;; [unrolled: 1-line block ×4, first 2 shown]
	s_wait_xcnt 0x0
	s_add_nc_u64 s[8:9], s[4:5], s[2:3]
	s_wait_loadcnt 0x6
	v_dual_lshrrev_b32 v9, 16, v1 :: v_dual_lshrrev_b32 v10, 16, v2
	s_wait_loadcnt 0x4
	v_dual_lshrrev_b32 v11, 16, v3 :: v_dual_lshrrev_b32 v12, 16, v4
	v_cmp_eq_f16_e32 vcc_lo, 0xfc00, v4
	s_wait_loadcnt 0x1
	v_dual_lshrrev_b32 v13, 16, v5 :: v_dual_lshrrev_b32 v15, 16, v7
	s_wait_loadcnt 0x0
	v_dual_lshrrev_b32 v16, 16, v6 :: v_dual_lshrrev_b32 v14, 16, v8
	v_cndmask_b32_e64 v4, 0, 1, vcc_lo
	v_cmp_eq_f16_e32 vcc_lo, 0xfc00, v5
	v_cndmask_b32_e64 v5, 0, 1, vcc_lo
	v_cmp_eq_f16_e32 vcc_lo, 0xfc00, v8
	;; [unrolled: 2-line block ×9, first 2 shown]
	s_delay_alu instid0(VALU_DEP_2) | instskip(SKIP_2) | instid1(VALU_DEP_3)
	v_lshlrev_b16 v12, 8, v12
	v_cndmask_b32_e64 v13, 0, 1, vcc_lo
	v_cmp_eq_f16_e32 vcc_lo, 0xfc00, v14
	v_or_b32_e32 v4, v4, v12
	s_delay_alu instid0(VALU_DEP_3) | instskip(SKIP_2) | instid1(VALU_DEP_3)
	v_lshlrev_b16 v13, 8, v13
	v_cndmask_b32_e64 v14, 0, 1, vcc_lo
	v_cmp_eq_f16_e32 vcc_lo, 0xfc00, v9
	v_or_b32_e32 v5, v5, v13
	s_delay_alu instid0(VALU_DEP_3) | instskip(SKIP_2) | instid1(VALU_DEP_3)
	;; [unrolled: 5-line block ×5, first 2 shown]
	v_lshlrev_b16 v10, 8, v10
	v_cndmask_b32_e64 v16, 0, 1, vcc_lo
	v_cmp_eq_f16_e32 vcc_lo, 0xfc00, v11
	v_or_b32_e32 v2, v2, v10
	s_delay_alu instid0(VALU_DEP_3) | instskip(SKIP_1) | instid1(VALU_DEP_2)
	v_lshlrev_b16 v16, 8, v16
	v_cndmask_b32_e64 v11, 0, 1, vcc_lo
	v_or_b32_e32 v6, v6, v16
	s_delay_alu instid0(VALU_DEP_2) | instskip(NEXT) | instid1(VALU_DEP_1)
	v_lshlrev_b16 v11, 8, v11
	v_or_b32_e32 v3, v3, v11
	s_clause 0x7
	global_store_b16 v0, v4, s[8:9] scale_offset
	global_store_b16 v0, v5, s[8:9] offset:512 scale_offset
	global_store_b16 v0, v8, s[8:9] offset:1024 scale_offset
	;; [unrolled: 1-line block ×7, first 2 shown]
.LBB83_2:
	s_and_not1_b32 vcc_lo, exec_lo, s0
	s_cbranch_vccnz .LBB83_52
; %bb.3:
	v_cmp_gt_i32_e32 vcc_lo, s1, v0
	s_wait_xcnt 0x0
	v_dual_mov_b32 v3, v0 :: v_dual_bitop2_b32 v1, s2, v0 bitop3:0x54
	v_or_b32_e32 v2, 0x100, v0
	s_mov_b32 s8, 0
	s_mov_b32 s9, 0
	s_and_saveexec_b32 s3, vcc_lo
	s_cbranch_execz .LBB83_5
; %bb.4:
	global_load_u16 v3, v1, s[6:7] scale_offset
	s_wait_loadcnt 0x0
	v_cmp_eq_f16_e64 s0, 0xfc00, v3
	v_or_b32_e32 v3, 0x100, v0
	s_and_b32 s9, s0, exec_lo
.LBB83_5:
	s_wait_xcnt 0x0
	s_or_b32 exec_lo, exec_lo, s3
	s_delay_alu instid0(SALU_CYCLE_1)
	s_mov_b32 s3, exec_lo
	v_cmpx_gt_i32_e64 s1, v3
	s_cbranch_execz .LBB83_7
; %bb.6:
	v_add_nc_u32_e32 v4, s2, v3
	v_add_nc_u32_e32 v3, 0x100, v3
	global_load_u16 v4, v4, s[6:7] scale_offset
	s_wait_loadcnt 0x0
	v_cmp_eq_f16_e64 s0, 0xfc00, v4
	s_and_b32 s8, s0, exec_lo
.LBB83_7:
	s_wait_xcnt 0x0
	s_or_b32 exec_lo, exec_lo, s3
	s_mov_b32 s10, 0
	s_mov_b32 s11, 0
	s_mov_b32 s3, exec_lo
	v_cmpx_gt_i32_e64 s1, v3
	s_cbranch_execz .LBB83_9
; %bb.8:
	v_add_nc_u32_e32 v4, s2, v3
	v_add_nc_u32_e32 v3, 0x100, v3
	global_load_u16 v4, v4, s[6:7] scale_offset
	s_wait_loadcnt 0x0
	v_cmp_eq_f16_e64 s0, 0xfc00, v4
	s_and_b32 s11, s0, exec_lo
.LBB83_9:
	s_wait_xcnt 0x0
	s_or_b32 exec_lo, exec_lo, s3
	s_delay_alu instid0(SALU_CYCLE_1)
	s_mov_b32 s3, exec_lo
	v_cmpx_gt_i32_e64 s1, v3
	s_cbranch_execz .LBB83_11
; %bb.10:
	v_add_nc_u32_e32 v4, s2, v3
	v_add_nc_u32_e32 v3, 0x100, v3
	global_load_u16 v4, v4, s[6:7] scale_offset
	s_wait_loadcnt 0x0
	v_cmp_eq_f16_e64 s0, 0xfc00, v4
	s_and_b32 s10, s0, exec_lo
.LBB83_11:
	s_wait_xcnt 0x0
	s_or_b32 exec_lo, exec_lo, s3
	s_mov_b32 s12, 0
	s_mov_b32 s14, 0
	s_mov_b32 s3, exec_lo
	v_cmpx_gt_i32_e64 s1, v3
	s_cbranch_execz .LBB83_13
; %bb.12:
	v_add_nc_u32_e32 v4, s2, v3
	v_add_nc_u32_e32 v3, 0x100, v3
	global_load_u16 v4, v4, s[6:7] scale_offset
	s_wait_loadcnt 0x0
	v_cmp_eq_f16_e64 s0, 0xfc00, v4
	s_and_b32 s14, s0, exec_lo
.LBB83_13:
	;; [unrolled: 29-line block ×7, first 2 shown]
	s_wait_xcnt 0x0
	s_or_b32 exec_lo, exec_lo, s23
	s_delay_alu instid0(SALU_CYCLE_1)
	s_mov_b32 s23, exec_lo
	v_cmpx_gt_i32_e64 s1, v3
	s_cbranch_execz .LBB83_35
; %bb.34:
	v_add_nc_u32_e32 v3, s2, v3
	global_load_u16 v3, v3, s[6:7] scale_offset
	s_wait_loadcnt 0x0
	v_cmp_eq_f16_e64 s0, 0xfc00, v3
	s_and_b32 s19, s0, exec_lo
.LBB83_35:
	s_wait_xcnt 0x0
	s_or_b32 exec_lo, exec_lo, s23
	v_cndmask_b32_e64 v5, 0, 1, s14
	v_cndmask_b32_e64 v3, 0, 1, s9
	;; [unrolled: 1-line block ×3, first 2 shown]
	v_or_b32_e32 v10, 0x400, v0
	v_cndmask_b32_e64 v9, 0, 1, s12
	v_bitop3_b16 v5, v5, 0, 0xff00 bitop3:0xf8
	v_or_b32_e32 v6, 0x200, v0
	v_lshlrev_b16 v4, 8, v4
	v_cmp_gt_i32_e64 s0, s1, v10
	v_lshlrev_b16 v9, 8, v9
	v_and_b32_e32 v5, 0xffff, v5
	v_cndmask_b32_e32 v3, 0, v3, vcc_lo
	v_cndmask_b32_e64 v7, 0, 1, s11
	v_or_b32_e32 v10, 0xc00, v0
	v_or_b32_e32 v11, 0x500, v0
	s_delay_alu instid0(VALU_DEP_4) | instskip(SKIP_3) | instid1(VALU_DEP_4)
	v_dual_cndmask_b32 v5, 0, v5, s0 :: v_dual_bitop2_b32 v4, v3, v4 bitop3:0x54
	v_cmp_gt_i32_e64 s0, s1, v2
	v_cndmask_b32_e64 v12, 0, 1, s21
	v_cndmask_b32_e64 v8, 0, 1, s10
	v_bitop3_b16 v9, v5, v9, 0xff bitop3:0xec
	v_and_b32_e32 v4, 0xffff, v4
	v_cndmask_b32_e64 v13, 0, 1, s20
	v_cndmask_b32_e64 v14, 0, 1, s18
	v_lshlrev_b16 v8, 8, v8
	v_and_b32_e32 v9, 0xffff, v9
	v_cndmask_b32_e64 v3, v3, v4, s0
	v_cmp_gt_i32_e64 s0, s1, v6
	v_cndmask_b32_e64 v4, 0, 1, s17
	s_delay_alu instid0(VALU_DEP_3) | instskip(NEXT) | instid1(VALU_DEP_1)
	v_lshl_or_b32 v7, v7, 16, v3
	v_cndmask_b32_e64 v3, v3, v7, s0
	v_cmp_gt_i32_e64 s0, s1, v10
	v_lshlrev_b16 v7, 8, v13
	v_or_b32_e32 v10, 0x800, v0
	v_or_b32_e32 v13, 0xd00, v0
	s_delay_alu instid0(VALU_DEP_4) | instskip(SKIP_2) | instid1(VALU_DEP_2)
	v_cndmask_b32_e64 v6, 0, v12, s0
	v_cmp_gt_i32_e64 s0, s1, v11
	v_cndmask_b32_e64 v11, 0, 1, s15
	v_dual_cndmask_b32 v5, v5, v9, s0 :: v_dual_lshrrev_b32 v9, 16, v3
	s_delay_alu instid0(VALU_DEP_4) | instskip(SKIP_1) | instid1(VALU_DEP_3)
	v_bitop3_b16 v7, v6, v7, 0xff bitop3:0xec
	v_cmp_gt_i32_e64 s0, s1, v10
	v_bitop3_b16 v8, v9, v8, 0xff bitop3:0xec
	s_delay_alu instid0(VALU_DEP_4) | instskip(NEXT) | instid1(VALU_DEP_4)
	v_lshrrev_b32_e32 v12, 16, v5
	v_and_b32_e32 v7, 0xffff, v7
	v_cndmask_b32_e64 v9, 0, 1, s13
	s_delay_alu instid0(VALU_DEP_4) | instskip(NEXT) | instid1(VALU_DEP_4)
	v_lshlrev_b32_e32 v8, 16, v8
	v_bitop3_b16 v4, v4, v12, 0xff00 bitop3:0xf8
	v_cndmask_b32_e64 v10, 0, v11, s0
	v_cmp_gt_i32_e64 s0, s1, v13
	v_lshlrev_b16 v9, 8, v9
	v_or_b32_e32 v11, 0x900, v0
	v_lshlrev_b32_e32 v4, 16, v4
	v_cndmask_b32_e64 v13, 0, 1, s22
	v_and_or_b32 v8, 0xffff, v3, v8
	s_delay_alu instid0(VALU_DEP_3) | instskip(SKIP_2) | instid1(VALU_DEP_1)
	v_and_or_b32 v4, 0xffff, v5, v4
	v_cndmask_b32_e64 v6, v6, v7, s0
	v_or_b32_e32 v7, 0x600, v0
	v_cmp_gt_i32_e64 s0, s1, v7
	s_delay_alu instid0(VALU_DEP_1) | instskip(NEXT) | instid1(VALU_DEP_4)
	v_dual_cndmask_b32 v4, v5, v4, s0 :: v_dual_bitop2_b32 v9, v10, v9 bitop3:0x54
	v_lshrrev_b32_e32 v12, 16, v6
	v_cmp_gt_i32_e64 s0, s1, v11
	s_delay_alu instid0(VALU_DEP_3) | instskip(NEXT) | instid1(VALU_DEP_3)
	v_and_b32_e32 v9, 0xffff, v9
	v_bitop3_b16 v5, v13, v12, 0xff00 bitop3:0xf8
	v_or_b32_e32 v12, 0xa00, v0
	v_lshrrev_b32_e32 v11, 16, v4
	v_or_b32_e32 v13, 0xe00, v0
	v_dual_cndmask_b32 v7, v10, v9, s0 :: v_dual_lshlrev_b32 v9, 16, v14
	v_lshlrev_b32_e32 v5, 16, v5
	v_cmp_gt_i32_e64 s0, s1, v12
	v_cndmask_b32_e64 v10, 0, 1, s3
	s_delay_alu instid0(VALU_DEP_4) | instskip(NEXT) | instid1(VALU_DEP_4)
	v_and_or_b32 v9, 0x1ff, v7, v9
	v_and_or_b32 v5, 0xffff, v6, v5
	s_delay_alu instid0(VALU_DEP_3) | instskip(NEXT) | instid1(VALU_DEP_3)
	v_lshlrev_b16 v10, 8, v10
	v_cndmask_b32_e64 v7, v7, v9, s0
	v_cmp_gt_i32_e64 s0, s1, v13
	v_cndmask_b32_e64 v9, 0, 1, s16
	v_or_b32_e32 v13, 0x300, v0
	s_delay_alu instid0(VALU_DEP_3)
	v_cndmask_b32_e64 v12, v6, v5, s0
	v_cndmask_b32_e64 v5, 0, 1, s19
	v_bitop3_b16 v6, v11, v10, 0xff bitop3:0xec
	v_lshlrev_b16 v9, 8, v9
	v_cmp_gt_i32_e64 s0, s1, v13
	v_dual_lshrrev_b32 v11, 16, v12 :: v_dual_lshrrev_b32 v10, 16, v7
	v_lshlrev_b16 v5, 8, v5
	s_delay_alu instid0(VALU_DEP_2) | instskip(NEXT) | instid1(VALU_DEP_4)
	v_bitop3_b16 v9, v10, v9, 0xff bitop3:0xec
	v_dual_lshlrev_b32 v10, 16, v6 :: v_dual_cndmask_b32 v6, v3, v8, s0
	s_delay_alu instid0(VALU_DEP_3) | instskip(SKIP_2) | instid1(VALU_DEP_3)
	v_bitop3_b16 v5, v11, v5, 0xff bitop3:0xec
	v_or_b32_e32 v8, 0x700, v0
	v_or_b32_e32 v11, 0xf00, v0
	v_lshlrev_b32_e32 v5, 16, v5
	s_delay_alu instid0(VALU_DEP_3) | instskip(SKIP_4) | instid1(VALU_DEP_3)
	v_cmp_gt_i32_e64 s0, s1, v8
	v_lshlrev_b32_e32 v3, 16, v9
	v_and_or_b32 v9, 0xffff, v4, v10
	v_or_b32_e32 v10, 0xb00, v0
	v_and_or_b32 v13, 0xffff, v12, v5
	v_cndmask_b32_e64 v5, v4, v9, s0
	v_and_or_b32 v3, 0xffff, v7, v3
	s_delay_alu instid0(VALU_DEP_4) | instskip(NEXT) | instid1(VALU_DEP_1)
	v_cmp_gt_i32_e64 s0, s1, v10
	v_cndmask_b32_e64 v4, v7, v3, s0
	v_cmp_gt_i32_e64 s0, s1, v11
	s_delay_alu instid0(VALU_DEP_1)
	v_cndmask_b32_e64 v3, v12, v13, s0
	s_and_saveexec_b32 s0, vcc_lo
	s_cbranch_execnz .LBB83_53
; %bb.36:
	s_or_b32 exec_lo, exec_lo, s0
	s_delay_alu instid0(SALU_CYCLE_1)
	s_mov_b32 s0, exec_lo
	v_cmpx_gt_i32_e64 s1, v0
	s_cbranch_execnz .LBB83_54
.LBB83_37:
	s_or_b32 exec_lo, exec_lo, s0
	s_delay_alu instid0(SALU_CYCLE_1)
	s_mov_b32 s0, exec_lo
	v_cmpx_gt_i32_e64 s1, v0
	s_cbranch_execnz .LBB83_55
.LBB83_38:
	s_or_b32 exec_lo, exec_lo, s0
	s_delay_alu instid0(SALU_CYCLE_1)
	s_mov_b32 s0, exec_lo
	v_cmpx_gt_i32_e64 s1, v0
	s_cbranch_execnz .LBB83_56
.LBB83_39:
	s_or_b32 exec_lo, exec_lo, s0
	s_delay_alu instid0(SALU_CYCLE_1)
	s_mov_b32 s0, exec_lo
	v_cmpx_gt_i32_e64 s1, v0
	s_cbranch_execnz .LBB83_57
.LBB83_40:
	s_or_b32 exec_lo, exec_lo, s0
	s_delay_alu instid0(SALU_CYCLE_1)
	s_mov_b32 s0, exec_lo
	v_cmpx_gt_i32_e64 s1, v0
	s_cbranch_execnz .LBB83_58
.LBB83_41:
	s_or_b32 exec_lo, exec_lo, s0
	s_delay_alu instid0(SALU_CYCLE_1)
	s_mov_b32 s0, exec_lo
	v_cmpx_gt_i32_e64 s1, v0
	s_cbranch_execnz .LBB83_59
.LBB83_42:
	s_or_b32 exec_lo, exec_lo, s0
	s_delay_alu instid0(SALU_CYCLE_1)
	s_mov_b32 s0, exec_lo
	v_cmpx_gt_i32_e64 s1, v0
	s_cbranch_execnz .LBB83_60
.LBB83_43:
	s_or_b32 exec_lo, exec_lo, s0
	s_delay_alu instid0(SALU_CYCLE_1)
	s_mov_b32 s0, exec_lo
	v_cmpx_gt_i32_e64 s1, v0
	s_cbranch_execnz .LBB83_61
.LBB83_44:
	s_or_b32 exec_lo, exec_lo, s0
	s_delay_alu instid0(SALU_CYCLE_1)
	s_mov_b32 s0, exec_lo
	v_cmpx_gt_i32_e64 s1, v0
	s_cbranch_execnz .LBB83_62
.LBB83_45:
	s_or_b32 exec_lo, exec_lo, s0
	s_delay_alu instid0(SALU_CYCLE_1)
	s_mov_b32 s0, exec_lo
	v_cmpx_gt_i32_e64 s1, v0
	s_cbranch_execnz .LBB83_63
.LBB83_46:
	s_or_b32 exec_lo, exec_lo, s0
	s_delay_alu instid0(SALU_CYCLE_1)
	s_mov_b32 s0, exec_lo
	v_cmpx_gt_i32_e64 s1, v0
	s_cbranch_execnz .LBB83_64
.LBB83_47:
	s_or_b32 exec_lo, exec_lo, s0
	s_delay_alu instid0(SALU_CYCLE_1)
	s_mov_b32 s0, exec_lo
	v_cmpx_gt_i32_e64 s1, v0
	s_cbranch_execnz .LBB83_65
.LBB83_48:
	s_or_b32 exec_lo, exec_lo, s0
	s_delay_alu instid0(SALU_CYCLE_1)
	s_mov_b32 s0, exec_lo
	v_cmpx_gt_i32_e64 s1, v0
	s_cbranch_execnz .LBB83_66
.LBB83_49:
	s_or_b32 exec_lo, exec_lo, s0
	s_delay_alu instid0(SALU_CYCLE_1)
	s_mov_b32 s0, exec_lo
	v_cmpx_gt_i32_e64 s1, v0
	s_cbranch_execnz .LBB83_67
.LBB83_50:
	s_or_b32 exec_lo, exec_lo, s0
	s_delay_alu instid0(SALU_CYCLE_1)
	s_mov_b32 s0, exec_lo
	v_cmpx_gt_i32_e64 s1, v0
	s_cbranch_execz .LBB83_52
.LBB83_51:
	v_dual_lshrrev_b32 v1, 24, v3 :: v_dual_add_nc_u32 v0, s2, v0
	global_store_b8 v0, v1, s[4:5]
.LBB83_52:
	s_endpgm
.LBB83_53:
	v_mov_b32_e32 v0, v2
	global_store_b8 v1, v6, s[4:5]
	s_wait_xcnt 0x0
	s_or_b32 exec_lo, exec_lo, s0
	s_delay_alu instid0(SALU_CYCLE_1)
	s_mov_b32 s0, exec_lo
	v_cmpx_gt_i32_e64 s1, v0
	s_cbranch_execz .LBB83_37
.LBB83_54:
	v_dual_lshrrev_b32 v1, 8, v6 :: v_dual_add_nc_u32 v2, s2, v0
	v_add_nc_u32_e32 v0, 0x100, v0
	global_store_b8 v2, v1, s[4:5]
	s_wait_xcnt 0x0
	s_or_b32 exec_lo, exec_lo, s0
	s_delay_alu instid0(SALU_CYCLE_1)
	s_mov_b32 s0, exec_lo
	v_cmpx_gt_i32_e64 s1, v0
	s_cbranch_execz .LBB83_38
.LBB83_55:
	v_add_nc_u32_e32 v1, s2, v0
	v_add_nc_u32_e32 v0, 0x100, v0
	global_store_d16_hi_b8 v1, v6, s[4:5]
	s_wait_xcnt 0x0
	s_or_b32 exec_lo, exec_lo, s0
	s_delay_alu instid0(SALU_CYCLE_1)
	s_mov_b32 s0, exec_lo
	v_cmpx_gt_i32_e64 s1, v0
	s_cbranch_execz .LBB83_39
.LBB83_56:
	v_dual_lshrrev_b32 v1, 24, v6 :: v_dual_add_nc_u32 v2, s2, v0
	v_add_nc_u32_e32 v0, 0x100, v0
	global_store_b8 v2, v1, s[4:5]
	s_wait_xcnt 0x0
	s_or_b32 exec_lo, exec_lo, s0
	s_delay_alu instid0(SALU_CYCLE_1)
	s_mov_b32 s0, exec_lo
	v_cmpx_gt_i32_e64 s1, v0
	s_cbranch_execz .LBB83_40
.LBB83_57:
	v_add_nc_u32_e32 v1, s2, v0
	v_add_nc_u32_e32 v0, 0x100, v0
	global_store_b8 v1, v5, s[4:5]
	s_wait_xcnt 0x0
	s_or_b32 exec_lo, exec_lo, s0
	s_delay_alu instid0(SALU_CYCLE_1)
	s_mov_b32 s0, exec_lo
	v_cmpx_gt_i32_e64 s1, v0
	s_cbranch_execz .LBB83_41
.LBB83_58:
	v_dual_lshrrev_b32 v1, 8, v5 :: v_dual_add_nc_u32 v2, s2, v0
	v_add_nc_u32_e32 v0, 0x100, v0
	global_store_b8 v2, v1, s[4:5]
	s_wait_xcnt 0x0
	s_or_b32 exec_lo, exec_lo, s0
	s_delay_alu instid0(SALU_CYCLE_1)
	s_mov_b32 s0, exec_lo
	v_cmpx_gt_i32_e64 s1, v0
	s_cbranch_execz .LBB83_42
.LBB83_59:
	v_add_nc_u32_e32 v1, s2, v0
	v_add_nc_u32_e32 v0, 0x100, v0
	global_store_d16_hi_b8 v1, v5, s[4:5]
	s_wait_xcnt 0x0
	s_or_b32 exec_lo, exec_lo, s0
	s_delay_alu instid0(SALU_CYCLE_1)
	s_mov_b32 s0, exec_lo
	v_cmpx_gt_i32_e64 s1, v0
	s_cbranch_execz .LBB83_43
.LBB83_60:
	v_dual_lshrrev_b32 v1, 24, v5 :: v_dual_add_nc_u32 v2, s2, v0
	v_add_nc_u32_e32 v0, 0x100, v0
	global_store_b8 v2, v1, s[4:5]
	s_wait_xcnt 0x0
	s_or_b32 exec_lo, exec_lo, s0
	s_delay_alu instid0(SALU_CYCLE_1)
	s_mov_b32 s0, exec_lo
	v_cmpx_gt_i32_e64 s1, v0
	s_cbranch_execz .LBB83_44
.LBB83_61:
	v_add_nc_u32_e32 v1, s2, v0
	v_add_nc_u32_e32 v0, 0x100, v0
	global_store_b8 v1, v4, s[4:5]
	s_wait_xcnt 0x0
	s_or_b32 exec_lo, exec_lo, s0
	s_delay_alu instid0(SALU_CYCLE_1)
	s_mov_b32 s0, exec_lo
	v_cmpx_gt_i32_e64 s1, v0
	s_cbranch_execz .LBB83_45
.LBB83_62:
	v_lshrrev_b32_e32 v1, 8, v4
	v_add_nc_u32_e32 v2, s2, v0
	v_add_nc_u32_e32 v0, 0x100, v0
	global_store_b8 v2, v1, s[4:5]
	s_wait_xcnt 0x0
	s_or_b32 exec_lo, exec_lo, s0
	s_delay_alu instid0(SALU_CYCLE_1)
	s_mov_b32 s0, exec_lo
	v_cmpx_gt_i32_e64 s1, v0
	s_cbranch_execz .LBB83_46
.LBB83_63:
	v_add_nc_u32_e32 v1, s2, v0
	v_add_nc_u32_e32 v0, 0x100, v0
	global_store_d16_hi_b8 v1, v4, s[4:5]
	s_wait_xcnt 0x0
	s_or_b32 exec_lo, exec_lo, s0
	s_delay_alu instid0(SALU_CYCLE_1)
	s_mov_b32 s0, exec_lo
	v_cmpx_gt_i32_e64 s1, v0
	s_cbranch_execz .LBB83_47
.LBB83_64:
	v_lshrrev_b32_e32 v1, 24, v4
	v_add_nc_u32_e32 v2, s2, v0
	v_add_nc_u32_e32 v0, 0x100, v0
	global_store_b8 v2, v1, s[4:5]
	s_wait_xcnt 0x0
	s_or_b32 exec_lo, exec_lo, s0
	s_delay_alu instid0(SALU_CYCLE_1)
	s_mov_b32 s0, exec_lo
	v_cmpx_gt_i32_e64 s1, v0
	s_cbranch_execz .LBB83_48
.LBB83_65:
	v_add_nc_u32_e32 v1, s2, v0
	v_add_nc_u32_e32 v0, 0x100, v0
	global_store_b8 v1, v3, s[4:5]
	s_wait_xcnt 0x0
	s_or_b32 exec_lo, exec_lo, s0
	s_delay_alu instid0(SALU_CYCLE_1)
	s_mov_b32 s0, exec_lo
	v_cmpx_gt_i32_e64 s1, v0
	s_cbranch_execz .LBB83_49
.LBB83_66:
	v_dual_lshrrev_b32 v1, 8, v3 :: v_dual_add_nc_u32 v2, s2, v0
	v_add_nc_u32_e32 v0, 0x100, v0
	global_store_b8 v2, v1, s[4:5]
	s_wait_xcnt 0x0
	s_or_b32 exec_lo, exec_lo, s0
	s_delay_alu instid0(SALU_CYCLE_1)
	s_mov_b32 s0, exec_lo
	v_cmpx_gt_i32_e64 s1, v0
	s_cbranch_execz .LBB83_50
.LBB83_67:
	v_add_nc_u32_e32 v1, s2, v0
	v_add_nc_u32_e32 v0, 0x100, v0
	global_store_d16_hi_b8 v1, v3, s[4:5]
	s_wait_xcnt 0x0
	s_or_b32 exec_lo, exec_lo, s0
	s_delay_alu instid0(SALU_CYCLE_1)
	s_mov_b32 s0, exec_lo
	v_cmpx_gt_i32_e64 s1, v0
	s_cbranch_execnz .LBB83_51
	s_branch .LBB83_52
	.section	.rodata,"a",@progbits
	.p2align	6, 0x0
	.amdhsa_kernel _ZN2at6native29vectorized_elementwise_kernelILi2EZZZNS0_12_GLOBAL__N_120isneginf_kernel_implERNS_18TensorIteratorBaseEENKUlvE_clEvENKUlvE1_clEvEUlN3c104HalfEE_St5arrayIPcLm2EEEEviT0_T1_
		.amdhsa_group_segment_fixed_size 0
		.amdhsa_private_segment_fixed_size 0
		.amdhsa_kernarg_size 24
		.amdhsa_user_sgpr_count 2
		.amdhsa_user_sgpr_dispatch_ptr 0
		.amdhsa_user_sgpr_queue_ptr 0
		.amdhsa_user_sgpr_kernarg_segment_ptr 1
		.amdhsa_user_sgpr_dispatch_id 0
		.amdhsa_user_sgpr_kernarg_preload_length 0
		.amdhsa_user_sgpr_kernarg_preload_offset 0
		.amdhsa_user_sgpr_private_segment_size 0
		.amdhsa_wavefront_size32 1
		.amdhsa_uses_dynamic_stack 0
		.amdhsa_enable_private_segment 0
		.amdhsa_system_sgpr_workgroup_id_x 1
		.amdhsa_system_sgpr_workgroup_id_y 0
		.amdhsa_system_sgpr_workgroup_id_z 0
		.amdhsa_system_sgpr_workgroup_info 0
		.amdhsa_system_vgpr_workitem_id 0
		.amdhsa_next_free_vgpr 17
		.amdhsa_next_free_sgpr 24
		.amdhsa_named_barrier_count 0
		.amdhsa_reserve_vcc 1
		.amdhsa_float_round_mode_32 0
		.amdhsa_float_round_mode_16_64 0
		.amdhsa_float_denorm_mode_32 3
		.amdhsa_float_denorm_mode_16_64 3
		.amdhsa_fp16_overflow 0
		.amdhsa_memory_ordered 1
		.amdhsa_forward_progress 1
		.amdhsa_inst_pref_size 33
		.amdhsa_round_robin_scheduling 0
		.amdhsa_exception_fp_ieee_invalid_op 0
		.amdhsa_exception_fp_denorm_src 0
		.amdhsa_exception_fp_ieee_div_zero 0
		.amdhsa_exception_fp_ieee_overflow 0
		.amdhsa_exception_fp_ieee_underflow 0
		.amdhsa_exception_fp_ieee_inexact 0
		.amdhsa_exception_int_div_zero 0
	.end_amdhsa_kernel
	.section	.text._ZN2at6native29vectorized_elementwise_kernelILi2EZZZNS0_12_GLOBAL__N_120isneginf_kernel_implERNS_18TensorIteratorBaseEENKUlvE_clEvENKUlvE1_clEvEUlN3c104HalfEE_St5arrayIPcLm2EEEEviT0_T1_,"axG",@progbits,_ZN2at6native29vectorized_elementwise_kernelILi2EZZZNS0_12_GLOBAL__N_120isneginf_kernel_implERNS_18TensorIteratorBaseEENKUlvE_clEvENKUlvE1_clEvEUlN3c104HalfEE_St5arrayIPcLm2EEEEviT0_T1_,comdat
.Lfunc_end83:
	.size	_ZN2at6native29vectorized_elementwise_kernelILi2EZZZNS0_12_GLOBAL__N_120isneginf_kernel_implERNS_18TensorIteratorBaseEENKUlvE_clEvENKUlvE1_clEvEUlN3c104HalfEE_St5arrayIPcLm2EEEEviT0_T1_, .Lfunc_end83-_ZN2at6native29vectorized_elementwise_kernelILi2EZZZNS0_12_GLOBAL__N_120isneginf_kernel_implERNS_18TensorIteratorBaseEENKUlvE_clEvENKUlvE1_clEvEUlN3c104HalfEE_St5arrayIPcLm2EEEEviT0_T1_
                                        ; -- End function
	.set _ZN2at6native29vectorized_elementwise_kernelILi2EZZZNS0_12_GLOBAL__N_120isneginf_kernel_implERNS_18TensorIteratorBaseEENKUlvE_clEvENKUlvE1_clEvEUlN3c104HalfEE_St5arrayIPcLm2EEEEviT0_T1_.num_vgpr, 17
	.set _ZN2at6native29vectorized_elementwise_kernelILi2EZZZNS0_12_GLOBAL__N_120isneginf_kernel_implERNS_18TensorIteratorBaseEENKUlvE_clEvENKUlvE1_clEvEUlN3c104HalfEE_St5arrayIPcLm2EEEEviT0_T1_.num_agpr, 0
	.set _ZN2at6native29vectorized_elementwise_kernelILi2EZZZNS0_12_GLOBAL__N_120isneginf_kernel_implERNS_18TensorIteratorBaseEENKUlvE_clEvENKUlvE1_clEvEUlN3c104HalfEE_St5arrayIPcLm2EEEEviT0_T1_.numbered_sgpr, 24
	.set _ZN2at6native29vectorized_elementwise_kernelILi2EZZZNS0_12_GLOBAL__N_120isneginf_kernel_implERNS_18TensorIteratorBaseEENKUlvE_clEvENKUlvE1_clEvEUlN3c104HalfEE_St5arrayIPcLm2EEEEviT0_T1_.num_named_barrier, 0
	.set _ZN2at6native29vectorized_elementwise_kernelILi2EZZZNS0_12_GLOBAL__N_120isneginf_kernel_implERNS_18TensorIteratorBaseEENKUlvE_clEvENKUlvE1_clEvEUlN3c104HalfEE_St5arrayIPcLm2EEEEviT0_T1_.private_seg_size, 0
	.set _ZN2at6native29vectorized_elementwise_kernelILi2EZZZNS0_12_GLOBAL__N_120isneginf_kernel_implERNS_18TensorIteratorBaseEENKUlvE_clEvENKUlvE1_clEvEUlN3c104HalfEE_St5arrayIPcLm2EEEEviT0_T1_.uses_vcc, 1
	.set _ZN2at6native29vectorized_elementwise_kernelILi2EZZZNS0_12_GLOBAL__N_120isneginf_kernel_implERNS_18TensorIteratorBaseEENKUlvE_clEvENKUlvE1_clEvEUlN3c104HalfEE_St5arrayIPcLm2EEEEviT0_T1_.uses_flat_scratch, 0
	.set _ZN2at6native29vectorized_elementwise_kernelILi2EZZZNS0_12_GLOBAL__N_120isneginf_kernel_implERNS_18TensorIteratorBaseEENKUlvE_clEvENKUlvE1_clEvEUlN3c104HalfEE_St5arrayIPcLm2EEEEviT0_T1_.has_dyn_sized_stack, 0
	.set _ZN2at6native29vectorized_elementwise_kernelILi2EZZZNS0_12_GLOBAL__N_120isneginf_kernel_implERNS_18TensorIteratorBaseEENKUlvE_clEvENKUlvE1_clEvEUlN3c104HalfEE_St5arrayIPcLm2EEEEviT0_T1_.has_recursion, 0
	.set _ZN2at6native29vectorized_elementwise_kernelILi2EZZZNS0_12_GLOBAL__N_120isneginf_kernel_implERNS_18TensorIteratorBaseEENKUlvE_clEvENKUlvE1_clEvEUlN3c104HalfEE_St5arrayIPcLm2EEEEviT0_T1_.has_indirect_call, 0
	.section	.AMDGPU.csdata,"",@progbits
; Kernel info:
; codeLenInByte = 4112
; TotalNumSgprs: 26
; NumVgprs: 17
; ScratchSize: 0
; MemoryBound: 0
; FloatMode: 240
; IeeeMode: 1
; LDSByteSize: 0 bytes/workgroup (compile time only)
; SGPRBlocks: 0
; VGPRBlocks: 1
; NumSGPRsForWavesPerEU: 26
; NumVGPRsForWavesPerEU: 17
; NamedBarCnt: 0
; Occupancy: 16
; WaveLimiterHint : 1
; COMPUTE_PGM_RSRC2:SCRATCH_EN: 0
; COMPUTE_PGM_RSRC2:USER_SGPR: 2
; COMPUTE_PGM_RSRC2:TRAP_HANDLER: 0
; COMPUTE_PGM_RSRC2:TGID_X_EN: 1
; COMPUTE_PGM_RSRC2:TGID_Y_EN: 0
; COMPUTE_PGM_RSRC2:TGID_Z_EN: 0
; COMPUTE_PGM_RSRC2:TIDIG_COMP_CNT: 0
	.section	.text._ZN2at6native27unrolled_elementwise_kernelIZZZNS0_12_GLOBAL__N_120isneginf_kernel_implERNS_18TensorIteratorBaseEENKUlvE_clEvENKUlvE1_clEvEUlN3c104HalfEE_St5arrayIPcLm2EELi4E23TrivialOffsetCalculatorILi1EjESE_NS0_6memory15LoadWithoutCastENSF_16StoreWithoutCastEEEviT_T0_T2_T3_T4_T5_,"axG",@progbits,_ZN2at6native27unrolled_elementwise_kernelIZZZNS0_12_GLOBAL__N_120isneginf_kernel_implERNS_18TensorIteratorBaseEENKUlvE_clEvENKUlvE1_clEvEUlN3c104HalfEE_St5arrayIPcLm2EELi4E23TrivialOffsetCalculatorILi1EjESE_NS0_6memory15LoadWithoutCastENSF_16StoreWithoutCastEEEviT_T0_T2_T3_T4_T5_,comdat
	.globl	_ZN2at6native27unrolled_elementwise_kernelIZZZNS0_12_GLOBAL__N_120isneginf_kernel_implERNS_18TensorIteratorBaseEENKUlvE_clEvENKUlvE1_clEvEUlN3c104HalfEE_St5arrayIPcLm2EELi4E23TrivialOffsetCalculatorILi1EjESE_NS0_6memory15LoadWithoutCastENSF_16StoreWithoutCastEEEviT_T0_T2_T3_T4_T5_ ; -- Begin function _ZN2at6native27unrolled_elementwise_kernelIZZZNS0_12_GLOBAL__N_120isneginf_kernel_implERNS_18TensorIteratorBaseEENKUlvE_clEvENKUlvE1_clEvEUlN3c104HalfEE_St5arrayIPcLm2EELi4E23TrivialOffsetCalculatorILi1EjESE_NS0_6memory15LoadWithoutCastENSF_16StoreWithoutCastEEEviT_T0_T2_T3_T4_T5_
	.p2align	8
	.type	_ZN2at6native27unrolled_elementwise_kernelIZZZNS0_12_GLOBAL__N_120isneginf_kernel_implERNS_18TensorIteratorBaseEENKUlvE_clEvENKUlvE1_clEvEUlN3c104HalfEE_St5arrayIPcLm2EELi4E23TrivialOffsetCalculatorILi1EjESE_NS0_6memory15LoadWithoutCastENSF_16StoreWithoutCastEEEviT_T0_T2_T3_T4_T5_,@function
_ZN2at6native27unrolled_elementwise_kernelIZZZNS0_12_GLOBAL__N_120isneginf_kernel_implERNS_18TensorIteratorBaseEENKUlvE_clEvENKUlvE1_clEvEUlN3c104HalfEE_St5arrayIPcLm2EELi4E23TrivialOffsetCalculatorILi1EjESE_NS0_6memory15LoadWithoutCastENSF_16StoreWithoutCastEEEviT_T0_T2_T3_T4_T5_: ; @_ZN2at6native27unrolled_elementwise_kernelIZZZNS0_12_GLOBAL__N_120isneginf_kernel_implERNS_18TensorIteratorBaseEENKUlvE_clEvENKUlvE1_clEvEUlN3c104HalfEE_St5arrayIPcLm2EELi4E23TrivialOffsetCalculatorILi1EjESE_NS0_6memory15LoadWithoutCastENSF_16StoreWithoutCastEEEviT_T0_T2_T3_T4_T5_
; %bb.0:
	s_clause 0x1
	s_load_b32 s2, s[0:1], 0x0
	s_load_b128 s[4:7], s[0:1], 0x8
	s_bfe_u32 s3, ttmp6, 0x4000c
	s_wait_xcnt 0x0
	s_and_b32 s0, ttmp6, 15
	s_add_co_i32 s3, s3, 1
	v_or_b32_e32 v1, 0x100, v0
	s_mul_i32 s1, ttmp9, s3
	s_getreg_b32 s3, hwreg(HW_REG_IB_STS2, 6, 4)
	s_add_co_i32 s0, s0, s1
	s_cmp_eq_u32 s3, 0
	s_mov_b32 s8, 0
	s_cselect_b32 s0, ttmp9, s0
	s_mov_b32 s3, 0
	s_lshl_b32 s1, s0, 10
	s_delay_alu instid0(SALU_CYCLE_1) | instskip(SKIP_2) | instid1(SALU_CYCLE_1)
	v_dual_mov_b32 v3, v0 :: v_dual_bitop2_b32 v2, s1, v0 bitop3:0x54
	s_wait_kmcnt 0x0
	s_sub_co_i32 s2, s2, s1
	v_cmp_gt_i32_e32 vcc_lo, s2, v0
	s_and_saveexec_b32 s9, vcc_lo
	s_cbranch_execz .LBB84_2
; %bb.1:
	global_load_u16 v3, v2, s[6:7] scale_offset
	s_wait_loadcnt 0x0
	v_cmp_eq_f16_e64 s0, 0xfc00, v3
	v_or_b32_e32 v3, 0x100, v0
	s_and_b32 s3, s0, exec_lo
.LBB84_2:
	s_or_b32 exec_lo, exec_lo, s9
	s_delay_alu instid0(SALU_CYCLE_1) | instskip(NEXT) | instid1(VALU_DEP_1)
	s_mov_b32 s9, exec_lo
	v_cmpx_gt_i32_e64 s2, v3
	s_cbranch_execz .LBB84_4
; %bb.3:
	v_add_nc_u32_e32 v4, s1, v3
	v_add_nc_u32_e32 v3, 0x100, v3
	global_load_u16 v4, v4, s[6:7] scale_offset
	s_wait_loadcnt 0x0
	v_cmp_eq_f16_e64 s0, 0xfc00, v4
	s_and_b32 s8, s0, exec_lo
.LBB84_4:
	s_or_b32 exec_lo, exec_lo, s9
	s_mov_b32 s9, 0
	s_mov_b32 s10, 0
	s_mov_b32 s11, exec_lo
	v_cmpx_gt_i32_e64 s2, v3
	s_cbranch_execz .LBB84_6
; %bb.5:
	v_add_nc_u32_e32 v4, s1, v3
	v_add_nc_u32_e32 v3, 0x100, v3
	global_load_u16 v4, v4, s[6:7] scale_offset
	s_wait_loadcnt 0x0
	v_cmp_eq_f16_e64 s0, 0xfc00, v4
	s_and_b32 s10, s0, exec_lo
.LBB84_6:
	s_or_b32 exec_lo, exec_lo, s11
	s_delay_alu instid0(SALU_CYCLE_1)
	s_mov_b32 s11, exec_lo
	v_cmpx_gt_i32_e64 s2, v3
	s_cbranch_execz .LBB84_8
; %bb.7:
	v_add_nc_u32_e32 v3, s1, v3
	global_load_u16 v3, v3, s[6:7] scale_offset
	s_wait_loadcnt 0x0
	v_cmp_eq_f16_e64 s0, 0xfc00, v3
	s_and_b32 s9, s0, exec_lo
.LBB84_8:
	s_or_b32 exec_lo, exec_lo, s11
	v_cndmask_b32_e64 v3, 0, 1, s3
	v_cndmask_b32_e64 v4, 0, 1, s8
	v_cndmask_b32_e64 v5, 0, 1, s10
	v_cmp_gt_i32_e64 s0, s2, v1
	s_delay_alu instid0(VALU_DEP_4) | instskip(NEXT) | instid1(VALU_DEP_4)
	v_cndmask_b32_e32 v3, 0, v3, vcc_lo
	v_lshlrev_b16 v4, 8, v4
	s_delay_alu instid0(VALU_DEP_1) | instskip(NEXT) | instid1(VALU_DEP_1)
	v_dual_lshlrev_b32 v5, 16, v5 :: v_dual_bitop2_b32 v4, v3, v4 bitop3:0x54
	v_and_b32_e32 v4, 0xffff, v4
	s_delay_alu instid0(VALU_DEP_1) | instskip(SKIP_1) | instid1(VALU_DEP_2)
	v_cndmask_b32_e64 v3, v3, v4, s0
	v_or_b32_e32 v4, 0x200, v0
	v_or_b32_e32 v5, v3, v5
	s_delay_alu instid0(VALU_DEP_2) | instskip(SKIP_1) | instid1(VALU_DEP_2)
	v_cmp_gt_i32_e64 s0, s2, v4
	v_cndmask_b32_e64 v4, 0, 1, s9
	v_cndmask_b32_e64 v3, v3, v5, s0
	s_delay_alu instid0(VALU_DEP_2) | instskip(NEXT) | instid1(VALU_DEP_2)
	v_lshlrev_b16 v4, 8, v4
	v_lshrrev_b32_e32 v5, 16, v3
	s_delay_alu instid0(VALU_DEP_1) | instskip(SKIP_1) | instid1(VALU_DEP_2)
	v_bitop3_b16 v4, v5, v4, 0xff bitop3:0xec
	v_or_b32_e32 v5, 0x300, v0
	v_lshlrev_b32_e32 v4, 16, v4
	s_delay_alu instid0(VALU_DEP_2) | instskip(NEXT) | instid1(VALU_DEP_2)
	v_cmp_gt_i32_e64 s0, s2, v5
	v_and_or_b32 v4, 0xffff, v3, v4
	s_delay_alu instid0(VALU_DEP_1)
	v_cndmask_b32_e64 v3, v3, v4, s0
	s_and_saveexec_b32 s0, vcc_lo
	s_cbranch_execnz .LBB84_13
; %bb.9:
	s_or_b32 exec_lo, exec_lo, s0
	s_delay_alu instid0(SALU_CYCLE_1)
	s_mov_b32 s0, exec_lo
	v_cmpx_gt_i32_e64 s2, v0
	s_cbranch_execnz .LBB84_14
.LBB84_10:
	s_or_b32 exec_lo, exec_lo, s0
	s_delay_alu instid0(SALU_CYCLE_1)
	s_mov_b32 s0, exec_lo
	v_cmpx_gt_i32_e64 s2, v0
	s_cbranch_execnz .LBB84_15
.LBB84_11:
	s_or_b32 exec_lo, exec_lo, s0
	s_delay_alu instid0(SALU_CYCLE_1)
	s_mov_b32 s0, exec_lo
	v_cmpx_gt_i32_e64 s2, v0
	s_cbranch_execnz .LBB84_16
.LBB84_12:
	s_endpgm
.LBB84_13:
	v_mov_b32_e32 v0, v1
	global_store_b8 v2, v3, s[4:5]
	s_wait_xcnt 0x0
	s_or_b32 exec_lo, exec_lo, s0
	s_delay_alu instid0(SALU_CYCLE_1)
	s_mov_b32 s0, exec_lo
	v_cmpx_gt_i32_e64 s2, v0
	s_cbranch_execz .LBB84_10
.LBB84_14:
	v_add_nc_u32_e32 v1, 0x100, v0
	v_dual_add_nc_u32 v2, s1, v0 :: v_dual_lshrrev_b32 v4, 8, v3
	s_delay_alu instid0(VALU_DEP_2) | instskip(SKIP_3) | instid1(SALU_CYCLE_1)
	v_mov_b32_e32 v0, v1
	global_store_b8 v2, v4, s[4:5]
	s_wait_xcnt 0x0
	s_or_b32 exec_lo, exec_lo, s0
	s_mov_b32 s0, exec_lo
	v_cmpx_gt_i32_e64 s2, v0
	s_cbranch_execz .LBB84_11
.LBB84_15:
	v_add_nc_u32_e32 v1, 0x100, v0
	s_delay_alu instid0(VALU_DEP_1) | instskip(SKIP_3) | instid1(SALU_CYCLE_1)
	v_dual_add_nc_u32 v2, s1, v0 :: v_dual_mov_b32 v0, v1
	global_store_d16_hi_b8 v2, v3, s[4:5]
	s_wait_xcnt 0x0
	s_or_b32 exec_lo, exec_lo, s0
	s_mov_b32 s0, exec_lo
	v_cmpx_gt_i32_e64 s2, v0
	s_cbranch_execz .LBB84_12
.LBB84_16:
	v_dual_add_nc_u32 v0, s1, v0 :: v_dual_lshrrev_b32 v1, 24, v3
	global_store_b8 v0, v1, s[4:5]
	s_endpgm
	.section	.rodata,"a",@progbits
	.p2align	6, 0x0
	.amdhsa_kernel _ZN2at6native27unrolled_elementwise_kernelIZZZNS0_12_GLOBAL__N_120isneginf_kernel_implERNS_18TensorIteratorBaseEENKUlvE_clEvENKUlvE1_clEvEUlN3c104HalfEE_St5arrayIPcLm2EELi4E23TrivialOffsetCalculatorILi1EjESE_NS0_6memory15LoadWithoutCastENSF_16StoreWithoutCastEEEviT_T0_T2_T3_T4_T5_
		.amdhsa_group_segment_fixed_size 0
		.amdhsa_private_segment_fixed_size 0
		.amdhsa_kernarg_size 28
		.amdhsa_user_sgpr_count 2
		.amdhsa_user_sgpr_dispatch_ptr 0
		.amdhsa_user_sgpr_queue_ptr 0
		.amdhsa_user_sgpr_kernarg_segment_ptr 1
		.amdhsa_user_sgpr_dispatch_id 0
		.amdhsa_user_sgpr_kernarg_preload_length 0
		.amdhsa_user_sgpr_kernarg_preload_offset 0
		.amdhsa_user_sgpr_private_segment_size 0
		.amdhsa_wavefront_size32 1
		.amdhsa_uses_dynamic_stack 0
		.amdhsa_enable_private_segment 0
		.amdhsa_system_sgpr_workgroup_id_x 1
		.amdhsa_system_sgpr_workgroup_id_y 0
		.amdhsa_system_sgpr_workgroup_id_z 0
		.amdhsa_system_sgpr_workgroup_info 0
		.amdhsa_system_vgpr_workitem_id 0
		.amdhsa_next_free_vgpr 6
		.amdhsa_next_free_sgpr 12
		.amdhsa_named_barrier_count 0
		.amdhsa_reserve_vcc 1
		.amdhsa_float_round_mode_32 0
		.amdhsa_float_round_mode_16_64 0
		.amdhsa_float_denorm_mode_32 3
		.amdhsa_float_denorm_mode_16_64 3
		.amdhsa_fp16_overflow 0
		.amdhsa_memory_ordered 1
		.amdhsa_forward_progress 1
		.amdhsa_inst_pref_size 7
		.amdhsa_round_robin_scheduling 0
		.amdhsa_exception_fp_ieee_invalid_op 0
		.amdhsa_exception_fp_denorm_src 0
		.amdhsa_exception_fp_ieee_div_zero 0
		.amdhsa_exception_fp_ieee_overflow 0
		.amdhsa_exception_fp_ieee_underflow 0
		.amdhsa_exception_fp_ieee_inexact 0
		.amdhsa_exception_int_div_zero 0
	.end_amdhsa_kernel
	.section	.text._ZN2at6native27unrolled_elementwise_kernelIZZZNS0_12_GLOBAL__N_120isneginf_kernel_implERNS_18TensorIteratorBaseEENKUlvE_clEvENKUlvE1_clEvEUlN3c104HalfEE_St5arrayIPcLm2EELi4E23TrivialOffsetCalculatorILi1EjESE_NS0_6memory15LoadWithoutCastENSF_16StoreWithoutCastEEEviT_T0_T2_T3_T4_T5_,"axG",@progbits,_ZN2at6native27unrolled_elementwise_kernelIZZZNS0_12_GLOBAL__N_120isneginf_kernel_implERNS_18TensorIteratorBaseEENKUlvE_clEvENKUlvE1_clEvEUlN3c104HalfEE_St5arrayIPcLm2EELi4E23TrivialOffsetCalculatorILi1EjESE_NS0_6memory15LoadWithoutCastENSF_16StoreWithoutCastEEEviT_T0_T2_T3_T4_T5_,comdat
.Lfunc_end84:
	.size	_ZN2at6native27unrolled_elementwise_kernelIZZZNS0_12_GLOBAL__N_120isneginf_kernel_implERNS_18TensorIteratorBaseEENKUlvE_clEvENKUlvE1_clEvEUlN3c104HalfEE_St5arrayIPcLm2EELi4E23TrivialOffsetCalculatorILi1EjESE_NS0_6memory15LoadWithoutCastENSF_16StoreWithoutCastEEEviT_T0_T2_T3_T4_T5_, .Lfunc_end84-_ZN2at6native27unrolled_elementwise_kernelIZZZNS0_12_GLOBAL__N_120isneginf_kernel_implERNS_18TensorIteratorBaseEENKUlvE_clEvENKUlvE1_clEvEUlN3c104HalfEE_St5arrayIPcLm2EELi4E23TrivialOffsetCalculatorILi1EjESE_NS0_6memory15LoadWithoutCastENSF_16StoreWithoutCastEEEviT_T0_T2_T3_T4_T5_
                                        ; -- End function
	.set _ZN2at6native27unrolled_elementwise_kernelIZZZNS0_12_GLOBAL__N_120isneginf_kernel_implERNS_18TensorIteratorBaseEENKUlvE_clEvENKUlvE1_clEvEUlN3c104HalfEE_St5arrayIPcLm2EELi4E23TrivialOffsetCalculatorILi1EjESE_NS0_6memory15LoadWithoutCastENSF_16StoreWithoutCastEEEviT_T0_T2_T3_T4_T5_.num_vgpr, 6
	.set _ZN2at6native27unrolled_elementwise_kernelIZZZNS0_12_GLOBAL__N_120isneginf_kernel_implERNS_18TensorIteratorBaseEENKUlvE_clEvENKUlvE1_clEvEUlN3c104HalfEE_St5arrayIPcLm2EELi4E23TrivialOffsetCalculatorILi1EjESE_NS0_6memory15LoadWithoutCastENSF_16StoreWithoutCastEEEviT_T0_T2_T3_T4_T5_.num_agpr, 0
	.set _ZN2at6native27unrolled_elementwise_kernelIZZZNS0_12_GLOBAL__N_120isneginf_kernel_implERNS_18TensorIteratorBaseEENKUlvE_clEvENKUlvE1_clEvEUlN3c104HalfEE_St5arrayIPcLm2EELi4E23TrivialOffsetCalculatorILi1EjESE_NS0_6memory15LoadWithoutCastENSF_16StoreWithoutCastEEEviT_T0_T2_T3_T4_T5_.numbered_sgpr, 12
	.set _ZN2at6native27unrolled_elementwise_kernelIZZZNS0_12_GLOBAL__N_120isneginf_kernel_implERNS_18TensorIteratorBaseEENKUlvE_clEvENKUlvE1_clEvEUlN3c104HalfEE_St5arrayIPcLm2EELi4E23TrivialOffsetCalculatorILi1EjESE_NS0_6memory15LoadWithoutCastENSF_16StoreWithoutCastEEEviT_T0_T2_T3_T4_T5_.num_named_barrier, 0
	.set _ZN2at6native27unrolled_elementwise_kernelIZZZNS0_12_GLOBAL__N_120isneginf_kernel_implERNS_18TensorIteratorBaseEENKUlvE_clEvENKUlvE1_clEvEUlN3c104HalfEE_St5arrayIPcLm2EELi4E23TrivialOffsetCalculatorILi1EjESE_NS0_6memory15LoadWithoutCastENSF_16StoreWithoutCastEEEviT_T0_T2_T3_T4_T5_.private_seg_size, 0
	.set _ZN2at6native27unrolled_elementwise_kernelIZZZNS0_12_GLOBAL__N_120isneginf_kernel_implERNS_18TensorIteratorBaseEENKUlvE_clEvENKUlvE1_clEvEUlN3c104HalfEE_St5arrayIPcLm2EELi4E23TrivialOffsetCalculatorILi1EjESE_NS0_6memory15LoadWithoutCastENSF_16StoreWithoutCastEEEviT_T0_T2_T3_T4_T5_.uses_vcc, 1
	.set _ZN2at6native27unrolled_elementwise_kernelIZZZNS0_12_GLOBAL__N_120isneginf_kernel_implERNS_18TensorIteratorBaseEENKUlvE_clEvENKUlvE1_clEvEUlN3c104HalfEE_St5arrayIPcLm2EELi4E23TrivialOffsetCalculatorILi1EjESE_NS0_6memory15LoadWithoutCastENSF_16StoreWithoutCastEEEviT_T0_T2_T3_T4_T5_.uses_flat_scratch, 0
	.set _ZN2at6native27unrolled_elementwise_kernelIZZZNS0_12_GLOBAL__N_120isneginf_kernel_implERNS_18TensorIteratorBaseEENKUlvE_clEvENKUlvE1_clEvEUlN3c104HalfEE_St5arrayIPcLm2EELi4E23TrivialOffsetCalculatorILi1EjESE_NS0_6memory15LoadWithoutCastENSF_16StoreWithoutCastEEEviT_T0_T2_T3_T4_T5_.has_dyn_sized_stack, 0
	.set _ZN2at6native27unrolled_elementwise_kernelIZZZNS0_12_GLOBAL__N_120isneginf_kernel_implERNS_18TensorIteratorBaseEENKUlvE_clEvENKUlvE1_clEvEUlN3c104HalfEE_St5arrayIPcLm2EELi4E23TrivialOffsetCalculatorILi1EjESE_NS0_6memory15LoadWithoutCastENSF_16StoreWithoutCastEEEviT_T0_T2_T3_T4_T5_.has_recursion, 0
	.set _ZN2at6native27unrolled_elementwise_kernelIZZZNS0_12_GLOBAL__N_120isneginf_kernel_implERNS_18TensorIteratorBaseEENKUlvE_clEvENKUlvE1_clEvEUlN3c104HalfEE_St5arrayIPcLm2EELi4E23TrivialOffsetCalculatorILi1EjESE_NS0_6memory15LoadWithoutCastENSF_16StoreWithoutCastEEEviT_T0_T2_T3_T4_T5_.has_indirect_call, 0
	.section	.AMDGPU.csdata,"",@progbits
; Kernel info:
; codeLenInByte = 844
; TotalNumSgprs: 14
; NumVgprs: 6
; ScratchSize: 0
; MemoryBound: 0
; FloatMode: 240
; IeeeMode: 1
; LDSByteSize: 0 bytes/workgroup (compile time only)
; SGPRBlocks: 0
; VGPRBlocks: 0
; NumSGPRsForWavesPerEU: 14
; NumVGPRsForWavesPerEU: 6
; NamedBarCnt: 0
; Occupancy: 16
; WaveLimiterHint : 0
; COMPUTE_PGM_RSRC2:SCRATCH_EN: 0
; COMPUTE_PGM_RSRC2:USER_SGPR: 2
; COMPUTE_PGM_RSRC2:TRAP_HANDLER: 0
; COMPUTE_PGM_RSRC2:TGID_X_EN: 1
; COMPUTE_PGM_RSRC2:TGID_Y_EN: 0
; COMPUTE_PGM_RSRC2:TGID_Z_EN: 0
; COMPUTE_PGM_RSRC2:TIDIG_COMP_CNT: 0
	.section	.text._ZN2at6native32elementwise_kernel_manual_unrollILi128ELi8EZNS0_22gpu_kernel_impl_nocastIZZZNS0_12_GLOBAL__N_120isneginf_kernel_implERNS_18TensorIteratorBaseEENKUlvE_clEvENKUlvE1_clEvEUlN3c104HalfEE_EEvS5_RKT_EUlibE_EEviT1_,"axG",@progbits,_ZN2at6native32elementwise_kernel_manual_unrollILi128ELi8EZNS0_22gpu_kernel_impl_nocastIZZZNS0_12_GLOBAL__N_120isneginf_kernel_implERNS_18TensorIteratorBaseEENKUlvE_clEvENKUlvE1_clEvEUlN3c104HalfEE_EEvS5_RKT_EUlibE_EEviT1_,comdat
	.globl	_ZN2at6native32elementwise_kernel_manual_unrollILi128ELi8EZNS0_22gpu_kernel_impl_nocastIZZZNS0_12_GLOBAL__N_120isneginf_kernel_implERNS_18TensorIteratorBaseEENKUlvE_clEvENKUlvE1_clEvEUlN3c104HalfEE_EEvS5_RKT_EUlibE_EEviT1_ ; -- Begin function _ZN2at6native32elementwise_kernel_manual_unrollILi128ELi8EZNS0_22gpu_kernel_impl_nocastIZZZNS0_12_GLOBAL__N_120isneginf_kernel_implERNS_18TensorIteratorBaseEENKUlvE_clEvENKUlvE1_clEvEUlN3c104HalfEE_EEvS5_RKT_EUlibE_EEviT1_
	.p2align	8
	.type	_ZN2at6native32elementwise_kernel_manual_unrollILi128ELi8EZNS0_22gpu_kernel_impl_nocastIZZZNS0_12_GLOBAL__N_120isneginf_kernel_implERNS_18TensorIteratorBaseEENKUlvE_clEvENKUlvE1_clEvEUlN3c104HalfEE_EEvS5_RKT_EUlibE_EEviT1_,@function
_ZN2at6native32elementwise_kernel_manual_unrollILi128ELi8EZNS0_22gpu_kernel_impl_nocastIZZZNS0_12_GLOBAL__N_120isneginf_kernel_implERNS_18TensorIteratorBaseEENKUlvE_clEvENKUlvE1_clEvEUlN3c104HalfEE_EEvS5_RKT_EUlibE_EEviT1_: ; @_ZN2at6native32elementwise_kernel_manual_unrollILi128ELi8EZNS0_22gpu_kernel_impl_nocastIZZZNS0_12_GLOBAL__N_120isneginf_kernel_implERNS_18TensorIteratorBaseEENKUlvE_clEvENKUlvE1_clEvEUlN3c104HalfEE_EEvS5_RKT_EUlibE_EEviT1_
; %bb.0:
	s_clause 0x1
	s_load_b32 s28, s[0:1], 0x8
	s_load_b32 s34, s[0:1], 0x0
	s_bfe_u32 s2, ttmp6, 0x4000c
	s_and_b32 s3, ttmp6, 15
	s_add_co_i32 s2, s2, 1
	s_getreg_b32 s4, hwreg(HW_REG_IB_STS2, 6, 4)
	s_mul_i32 s2, ttmp9, s2
	s_add_nc_u64 s[12:13], s[0:1], 8
	s_add_co_i32 s3, s3, s2
	s_cmp_eq_u32 s4, 0
	s_mov_b32 s17, 0
	s_cselect_b32 s2, ttmp9, s3
	s_wait_xcnt 0x0
	s_mov_b32 s0, exec_lo
	v_lshl_or_b32 v0, s2, 10, v0
	s_delay_alu instid0(VALU_DEP_1) | instskip(SKIP_2) | instid1(SALU_CYCLE_1)
	v_or_b32_e32 v16, 0x380, v0
	s_wait_kmcnt 0x0
	s_add_co_i32 s29, s28, -1
	s_cmp_gt_u32 s29, 1
	s_cselect_b32 s30, -1, 0
	v_cmpx_le_i32_e64 s34, v16
	s_xor_b32 s31, exec_lo, s0
	s_cbranch_execz .LBB85_7
; %bb.1:
	s_clause 0x3
	s_load_b128 s[4:7], s[12:13], 0x4
	s_load_b64 s[14:15], s[12:13], 0x14
	s_load_b128 s[8:11], s[12:13], 0xc4
	s_load_b128 s[0:3], s[12:13], 0x148
	s_cmp_lg_u32 s28, 0
	s_add_nc_u64 s[20:21], s[12:13], 0xc4
	s_cselect_b32 s36, -1, 0
	s_min_u32 s35, s29, 15
	s_cmp_gt_u32 s28, 1
	s_mov_b32 s19, s17
	s_cselect_b32 s33, -1, 0
	s_wait_kmcnt 0x0
	s_mov_b32 s16, s5
	s_mov_b32 s18, s14
	s_mov_b32 s5, exec_lo
	v_cmpx_gt_i32_e64 s34, v0
	s_cbranch_execz .LBB85_14
; %bb.2:
	s_and_not1_b32 vcc_lo, exec_lo, s30
	s_cbranch_vccnz .LBB85_21
; %bb.3:
	s_and_not1_b32 vcc_lo, exec_lo, s36
	s_cbranch_vccnz .LBB85_129
; %bb.4:
	s_add_co_i32 s14, s35, 1
	s_cmp_eq_u32 s29, 2
	s_cbranch_scc1 .LBB85_131
; %bb.5:
	v_dual_mov_b32 v2, 0 :: v_dual_mov_b32 v3, 0
	v_mov_b32_e32 v1, v0
	s_and_b32 s22, s14, 28
	s_mov_b32 s23, 0
	s_mov_b64 s[24:25], s[12:13]
	s_mov_b64 s[26:27], s[20:21]
.LBB85_6:                               ; =>This Inner Loop Header: Depth=1
	s_clause 0x1
	s_load_b256 s[40:47], s[24:25], 0x4
	s_load_b128 s[56:59], s[24:25], 0x24
	s_load_b256 s[48:55], s[26:27], 0x0
	s_add_co_i32 s23, s23, 4
	s_wait_xcnt 0x0
	s_add_nc_u64 s[24:25], s[24:25], 48
	s_cmp_lg_u32 s22, s23
	s_add_nc_u64 s[26:27], s[26:27], 32
	s_wait_kmcnt 0x0
	v_mul_hi_u32 v4, s41, v1
	s_delay_alu instid0(VALU_DEP_1) | instskip(NEXT) | instid1(VALU_DEP_1)
	v_add_nc_u32_e32 v4, v1, v4
	v_lshrrev_b32_e32 v4, s42, v4
	s_delay_alu instid0(VALU_DEP_1) | instskip(NEXT) | instid1(VALU_DEP_1)
	v_mul_hi_u32 v5, s44, v4
	v_add_nc_u32_e32 v5, v4, v5
	s_delay_alu instid0(VALU_DEP_1) | instskip(NEXT) | instid1(VALU_DEP_1)
	v_lshrrev_b32_e32 v5, s45, v5
	v_mul_hi_u32 v6, s47, v5
	s_delay_alu instid0(VALU_DEP_1) | instskip(SKIP_1) | instid1(VALU_DEP_1)
	v_add_nc_u32_e32 v6, v5, v6
	v_mul_lo_u32 v7, v4, s40
	v_sub_nc_u32_e32 v1, v1, v7
	v_mul_lo_u32 v7, v5, s43
	s_delay_alu instid0(VALU_DEP_4) | instskip(NEXT) | instid1(VALU_DEP_3)
	v_lshrrev_b32_e32 v6, s56, v6
	v_mad_u32 v3, v1, s49, v3
	v_mad_u32 v1, v1, s48, v2
	s_delay_alu instid0(VALU_DEP_4) | instskip(NEXT) | instid1(VALU_DEP_4)
	v_sub_nc_u32_e32 v2, v4, v7
	v_mul_hi_u32 v8, s58, v6
	v_mul_lo_u32 v4, v6, s46
	s_delay_alu instid0(VALU_DEP_3) | instskip(SKIP_1) | instid1(VALU_DEP_4)
	v_mad_u32 v3, v2, s51, v3
	v_mad_u32 v2, v2, s50, v1
	v_add_nc_u32_e32 v7, v6, v8
	s_delay_alu instid0(VALU_DEP_1) | instskip(NEXT) | instid1(VALU_DEP_1)
	v_dual_sub_nc_u32 v4, v5, v4 :: v_dual_lshrrev_b32 v1, s59, v7
	v_mad_u32 v3, v4, s53, v3
	s_delay_alu instid0(VALU_DEP_4) | instskip(NEXT) | instid1(VALU_DEP_3)
	v_mad_u32 v2, v4, s52, v2
	v_mul_lo_u32 v5, v1, s57
	s_delay_alu instid0(VALU_DEP_1) | instskip(NEXT) | instid1(VALU_DEP_1)
	v_sub_nc_u32_e32 v4, v6, v5
	v_mad_u32 v3, v4, s55, v3
	s_delay_alu instid0(VALU_DEP_4)
	v_mad_u32 v2, v4, s54, v2
	s_cbranch_scc1 .LBB85_6
	s_branch .LBB85_132
.LBB85_7:
	s_and_not1_saveexec_b32 s0, s31
	s_cbranch_execz .LBB85_221
.LBB85_8:
	v_cndmask_b32_e64 v14, 0, 1, s30
	s_and_not1_b32 vcc_lo, exec_lo, s30
	s_cbranch_vccnz .LBB85_20
; %bb.9:
	s_cmp_lg_u32 s28, 0
	s_mov_b32 s6, 0
	s_cbranch_scc0 .LBB85_23
; %bb.10:
	s_min_u32 s1, s29, 15
	s_delay_alu instid0(SALU_CYCLE_1)
	s_add_co_i32 s1, s1, 1
	s_cmp_eq_u32 s29, 2
	s_cbranch_scc1 .LBB85_24
; %bb.11:
	v_dual_mov_b32 v2, 0 :: v_dual_mov_b32 v3, 0
	v_mov_b32_e32 v1, v0
	s_and_b32 s0, s1, 28
	s_add_nc_u64 s[2:3], s[12:13], 0xc4
	s_mov_b32 s7, 0
	s_mov_b64 s[4:5], s[12:13]
.LBB85_12:                              ; =>This Inner Loop Header: Depth=1
	s_clause 0x1
	s_load_b256 s[16:23], s[4:5], 0x4
	s_load_b128 s[8:11], s[4:5], 0x24
	s_load_b256 s[36:43], s[2:3], 0x0
	s_add_co_i32 s7, s7, 4
	s_wait_xcnt 0x0
	s_add_nc_u64 s[4:5], s[4:5], 48
	s_cmp_lg_u32 s0, s7
	s_add_nc_u64 s[2:3], s[2:3], 32
	s_wait_kmcnt 0x0
	v_mul_hi_u32 v4, s17, v1
	s_delay_alu instid0(VALU_DEP_1) | instskip(NEXT) | instid1(VALU_DEP_1)
	v_add_nc_u32_e32 v4, v1, v4
	v_lshrrev_b32_e32 v4, s18, v4
	s_delay_alu instid0(VALU_DEP_1) | instskip(NEXT) | instid1(VALU_DEP_1)
	v_mul_hi_u32 v5, s20, v4
	v_add_nc_u32_e32 v5, v4, v5
	s_delay_alu instid0(VALU_DEP_1) | instskip(NEXT) | instid1(VALU_DEP_1)
	v_lshrrev_b32_e32 v5, s21, v5
	v_mul_hi_u32 v6, s23, v5
	s_delay_alu instid0(VALU_DEP_1) | instskip(SKIP_1) | instid1(VALU_DEP_1)
	v_add_nc_u32_e32 v6, v5, v6
	v_mul_lo_u32 v7, v4, s16
	v_sub_nc_u32_e32 v1, v1, v7
	v_mul_lo_u32 v7, v5, s19
	s_delay_alu instid0(VALU_DEP_4) | instskip(NEXT) | instid1(VALU_DEP_3)
	v_lshrrev_b32_e32 v6, s8, v6
	v_mad_u32 v3, v1, s37, v3
	v_mad_u32 v1, v1, s36, v2
	s_delay_alu instid0(VALU_DEP_4) | instskip(NEXT) | instid1(VALU_DEP_4)
	v_sub_nc_u32_e32 v2, v4, v7
	v_mul_hi_u32 v8, s10, v6
	v_mul_lo_u32 v4, v6, s22
	s_delay_alu instid0(VALU_DEP_3) | instskip(SKIP_1) | instid1(VALU_DEP_4)
	v_mad_u32 v3, v2, s39, v3
	v_mad_u32 v2, v2, s38, v1
	v_add_nc_u32_e32 v7, v6, v8
	s_delay_alu instid0(VALU_DEP_1) | instskip(NEXT) | instid1(VALU_DEP_1)
	v_dual_sub_nc_u32 v4, v5, v4 :: v_dual_lshrrev_b32 v1, s11, v7
	v_mad_u32 v3, v4, s41, v3
	s_delay_alu instid0(VALU_DEP_4) | instskip(NEXT) | instid1(VALU_DEP_3)
	v_mad_u32 v2, v4, s40, v2
	v_mul_lo_u32 v5, v1, s9
	s_delay_alu instid0(VALU_DEP_1) | instskip(NEXT) | instid1(VALU_DEP_1)
	v_sub_nc_u32_e32 v4, v6, v5
	v_mad_u32 v3, v4, s43, v3
	s_delay_alu instid0(VALU_DEP_4)
	v_mad_u32 v2, v4, s42, v2
	s_cbranch_scc1 .LBB85_12
; %bb.13:
	s_and_b32 s4, s1, 3
	s_mov_b32 s1, 0
	s_cmp_eq_u32 s4, 0
	s_cbranch_scc0 .LBB85_25
	s_branch .LBB85_27
.LBB85_14:
	s_or_b32 exec_lo, exec_lo, s5
	s_delay_alu instid0(SALU_CYCLE_1)
	s_mov_b32 s5, exec_lo
	v_cmpx_gt_i32_e64 s34, v0
	s_cbranch_execz .LBB85_139
.LBB85_15:
	s_and_not1_b32 vcc_lo, exec_lo, s30
	s_cbranch_vccnz .LBB85_22
; %bb.16:
	s_and_not1_b32 vcc_lo, exec_lo, s36
	s_cbranch_vccnz .LBB85_130
; %bb.17:
	s_add_co_i32 s14, s35, 1
	s_cmp_eq_u32 s29, 2
	s_cbranch_scc1 .LBB85_147
; %bb.18:
	v_dual_mov_b32 v2, 0 :: v_dual_mov_b32 v3, 0
	v_mov_b32_e32 v1, v0
	s_and_b32 s22, s14, 28
	s_mov_b32 s23, 0
	s_mov_b64 s[24:25], s[12:13]
	s_mov_b64 s[26:27], s[20:21]
.LBB85_19:                              ; =>This Inner Loop Header: Depth=1
	s_clause 0x1
	s_load_b256 s[40:47], s[24:25], 0x4
	s_load_b128 s[56:59], s[24:25], 0x24
	s_load_b256 s[48:55], s[26:27], 0x0
	s_add_co_i32 s23, s23, 4
	s_wait_xcnt 0x0
	s_add_nc_u64 s[24:25], s[24:25], 48
	s_cmp_eq_u32 s22, s23
	s_add_nc_u64 s[26:27], s[26:27], 32
	s_wait_kmcnt 0x0
	v_mul_hi_u32 v4, s41, v1
	s_delay_alu instid0(VALU_DEP_1) | instskip(NEXT) | instid1(VALU_DEP_1)
	v_add_nc_u32_e32 v4, v1, v4
	v_lshrrev_b32_e32 v4, s42, v4
	s_delay_alu instid0(VALU_DEP_1) | instskip(NEXT) | instid1(VALU_DEP_1)
	v_mul_hi_u32 v5, s44, v4
	v_add_nc_u32_e32 v5, v4, v5
	s_delay_alu instid0(VALU_DEP_1) | instskip(NEXT) | instid1(VALU_DEP_1)
	v_lshrrev_b32_e32 v5, s45, v5
	v_mul_hi_u32 v6, s47, v5
	s_delay_alu instid0(VALU_DEP_1) | instskip(SKIP_1) | instid1(VALU_DEP_1)
	v_add_nc_u32_e32 v6, v5, v6
	v_mul_lo_u32 v7, v4, s40
	v_sub_nc_u32_e32 v1, v1, v7
	v_mul_lo_u32 v7, v5, s43
	s_delay_alu instid0(VALU_DEP_4) | instskip(NEXT) | instid1(VALU_DEP_3)
	v_lshrrev_b32_e32 v6, s56, v6
	v_mad_u32 v3, v1, s49, v3
	v_mad_u32 v1, v1, s48, v2
	s_delay_alu instid0(VALU_DEP_4) | instskip(NEXT) | instid1(VALU_DEP_4)
	v_sub_nc_u32_e32 v2, v4, v7
	v_mul_hi_u32 v8, s58, v6
	v_mul_lo_u32 v4, v6, s46
	s_delay_alu instid0(VALU_DEP_3) | instskip(SKIP_1) | instid1(VALU_DEP_4)
	v_mad_u32 v3, v2, s51, v3
	v_mad_u32 v2, v2, s50, v1
	v_add_nc_u32_e32 v7, v6, v8
	s_delay_alu instid0(VALU_DEP_1) | instskip(NEXT) | instid1(VALU_DEP_1)
	v_dual_sub_nc_u32 v4, v5, v4 :: v_dual_lshrrev_b32 v1, s59, v7
	v_mad_u32 v3, v4, s53, v3
	s_delay_alu instid0(VALU_DEP_4) | instskip(NEXT) | instid1(VALU_DEP_3)
	v_mad_u32 v2, v4, s52, v2
	v_mul_lo_u32 v5, v1, s57
	s_delay_alu instid0(VALU_DEP_1) | instskip(NEXT) | instid1(VALU_DEP_1)
	v_sub_nc_u32_e32 v4, v6, v5
	v_mad_u32 v3, v4, s55, v3
	s_delay_alu instid0(VALU_DEP_4)
	v_mad_u32 v2, v4, s54, v2
	s_cbranch_scc0 .LBB85_19
	s_branch .LBB85_148
.LBB85_20:
	s_mov_b32 s6, -1
                                        ; implicit-def: $vgpr3
	s_branch .LBB85_27
.LBB85_21:
                                        ; implicit-def: $vgpr3
	s_branch .LBB85_136
.LBB85_22:
                                        ; implicit-def: $vgpr3
	s_branch .LBB85_152
.LBB85_23:
	v_dual_mov_b32 v3, 0 :: v_dual_mov_b32 v2, 0
	s_branch .LBB85_27
.LBB85_24:
	v_mov_b64_e32 v[2:3], 0
	v_mov_b32_e32 v1, v0
	s_mov_b32 s0, 0
	s_and_b32 s4, s1, 3
	s_mov_b32 s1, 0
	s_cmp_eq_u32 s4, 0
	s_cbranch_scc1 .LBB85_27
.LBB85_25:
	s_lshl_b32 s2, s0, 3
	s_mov_b32 s3, s1
	s_mul_u64 s[8:9], s[0:1], 12
	s_add_nc_u64 s[2:3], s[12:13], s[2:3]
	s_delay_alu instid0(SALU_CYCLE_1)
	s_add_nc_u64 s[0:1], s[2:3], 0xc4
	s_add_nc_u64 s[2:3], s[12:13], s[8:9]
.LBB85_26:                              ; =>This Inner Loop Header: Depth=1
	s_load_b96 s[8:10], s[2:3], 0x4
	s_add_co_i32 s4, s4, -1
	s_wait_xcnt 0x0
	s_add_nc_u64 s[2:3], s[2:3], 12
	s_cmp_lg_u32 s4, 0
	s_wait_kmcnt 0x0
	v_mul_hi_u32 v4, s9, v1
	s_delay_alu instid0(VALU_DEP_1) | instskip(NEXT) | instid1(VALU_DEP_1)
	v_add_nc_u32_e32 v4, v1, v4
	v_lshrrev_b32_e32 v4, s10, v4
	s_load_b64 s[10:11], s[0:1], 0x0
	s_wait_xcnt 0x0
	s_add_nc_u64 s[0:1], s[0:1], 8
	s_delay_alu instid0(VALU_DEP_1) | instskip(NEXT) | instid1(VALU_DEP_1)
	v_mul_lo_u32 v5, v4, s8
	v_sub_nc_u32_e32 v1, v1, v5
	s_wait_kmcnt 0x0
	s_delay_alu instid0(VALU_DEP_1)
	v_mad_u32 v3, v1, s11, v3
	v_mad_u32 v2, v1, s10, v2
	v_mov_b32_e32 v1, v4
	s_cbranch_scc1 .LBB85_26
.LBB85_27:
	s_and_not1_b32 vcc_lo, exec_lo, s6
	s_cbranch_vccnz .LBB85_30
; %bb.28:
	s_clause 0x1
	s_load_b96 s[0:2], s[12:13], 0x4
	s_load_b64 s[4:5], s[12:13], 0xc4
	s_cmp_lt_u32 s28, 2
	s_wait_kmcnt 0x0
	v_mul_hi_u32 v1, s1, v0
	s_delay_alu instid0(VALU_DEP_1) | instskip(NEXT) | instid1(VALU_DEP_1)
	v_add_nc_u32_e32 v1, v0, v1
	v_lshrrev_b32_e32 v1, s2, v1
	s_delay_alu instid0(VALU_DEP_1) | instskip(NEXT) | instid1(VALU_DEP_1)
	v_mul_lo_u32 v2, v1, s0
	v_sub_nc_u32_e32 v2, v0, v2
	s_delay_alu instid0(VALU_DEP_1)
	v_mul_lo_u32 v3, v2, s5
	v_mul_lo_u32 v2, v2, s4
	s_cbranch_scc1 .LBB85_30
; %bb.29:
	s_clause 0x1
	s_load_b96 s[0:2], s[12:13], 0x10
	s_load_b64 s[4:5], s[12:13], 0xcc
	s_wait_kmcnt 0x0
	v_mul_hi_u32 v4, s1, v1
	s_delay_alu instid0(VALU_DEP_1) | instskip(NEXT) | instid1(VALU_DEP_1)
	v_add_nc_u32_e32 v4, v1, v4
	v_lshrrev_b32_e32 v4, s2, v4
	s_delay_alu instid0(VALU_DEP_1) | instskip(NEXT) | instid1(VALU_DEP_1)
	v_mul_lo_u32 v4, v4, s0
	v_sub_nc_u32_e32 v1, v1, v4
	s_delay_alu instid0(VALU_DEP_1)
	v_mad_u32 v2, v1, s4, v2
	v_mad_u32 v3, v1, s5, v3
.LBB85_30:
	v_cmp_ne_u32_e32 vcc_lo, 1, v14
	v_add_nc_u32_e32 v1, 0x80, v0
	s_cbranch_vccnz .LBB85_36
; %bb.31:
	s_cmp_lg_u32 s28, 0
	s_mov_b32 s6, 0
	s_cbranch_scc0 .LBB85_37
; %bb.32:
	s_min_u32 s1, s29, 15
	s_delay_alu instid0(SALU_CYCLE_1)
	s_add_co_i32 s1, s1, 1
	s_cmp_eq_u32 s29, 2
	s_cbranch_scc1 .LBB85_38
; %bb.33:
	v_dual_mov_b32 v4, 0 :: v_dual_mov_b32 v5, 0
	v_mov_b32_e32 v6, v1
	s_and_b32 s0, s1, 28
	s_add_nc_u64 s[2:3], s[12:13], 0xc4
	s_mov_b32 s7, 0
	s_mov_b64 s[4:5], s[12:13]
.LBB85_34:                              ; =>This Inner Loop Header: Depth=1
	s_clause 0x1
	s_load_b256 s[16:23], s[4:5], 0x4
	s_load_b128 s[8:11], s[4:5], 0x24
	s_load_b256 s[36:43], s[2:3], 0x0
	s_add_co_i32 s7, s7, 4
	s_wait_xcnt 0x0
	s_add_nc_u64 s[4:5], s[4:5], 48
	s_cmp_lg_u32 s0, s7
	s_add_nc_u64 s[2:3], s[2:3], 32
	s_wait_kmcnt 0x0
	v_mul_hi_u32 v7, s17, v6
	s_delay_alu instid0(VALU_DEP_1) | instskip(NEXT) | instid1(VALU_DEP_1)
	v_add_nc_u32_e32 v7, v6, v7
	v_lshrrev_b32_e32 v7, s18, v7
	s_delay_alu instid0(VALU_DEP_1) | instskip(NEXT) | instid1(VALU_DEP_1)
	v_mul_hi_u32 v8, s20, v7
	v_add_nc_u32_e32 v8, v7, v8
	s_delay_alu instid0(VALU_DEP_1) | instskip(NEXT) | instid1(VALU_DEP_1)
	v_lshrrev_b32_e32 v8, s21, v8
	v_mul_hi_u32 v9, s23, v8
	s_delay_alu instid0(VALU_DEP_1) | instskip(SKIP_1) | instid1(VALU_DEP_1)
	v_add_nc_u32_e32 v9, v8, v9
	v_mul_lo_u32 v10, v7, s16
	v_sub_nc_u32_e32 v6, v6, v10
	v_mul_lo_u32 v10, v8, s19
	s_delay_alu instid0(VALU_DEP_4) | instskip(NEXT) | instid1(VALU_DEP_3)
	v_lshrrev_b32_e32 v9, s8, v9
	v_mad_u32 v5, v6, s37, v5
	v_mad_u32 v4, v6, s36, v4
	s_delay_alu instid0(VALU_DEP_4) | instskip(NEXT) | instid1(VALU_DEP_4)
	v_sub_nc_u32_e32 v6, v7, v10
	v_mul_hi_u32 v11, s10, v9
	v_mul_lo_u32 v7, v9, s22
	s_delay_alu instid0(VALU_DEP_3) | instskip(SKIP_1) | instid1(VALU_DEP_4)
	v_mad_u32 v5, v6, s39, v5
	v_mad_u32 v4, v6, s38, v4
	v_add_nc_u32_e32 v10, v9, v11
	s_delay_alu instid0(VALU_DEP_1) | instskip(NEXT) | instid1(VALU_DEP_1)
	v_dual_sub_nc_u32 v7, v8, v7 :: v_dual_lshrrev_b32 v6, s11, v10
	v_mad_u32 v5, v7, s41, v5
	s_delay_alu instid0(VALU_DEP_4) | instskip(NEXT) | instid1(VALU_DEP_3)
	v_mad_u32 v4, v7, s40, v4
	v_mul_lo_u32 v8, v6, s9
	s_delay_alu instid0(VALU_DEP_1) | instskip(NEXT) | instid1(VALU_DEP_1)
	v_sub_nc_u32_e32 v7, v9, v8
	v_mad_u32 v5, v7, s43, v5
	s_delay_alu instid0(VALU_DEP_4)
	v_mad_u32 v4, v7, s42, v4
	s_cbranch_scc1 .LBB85_34
; %bb.35:
	s_and_b32 s4, s1, 3
	s_mov_b32 s1, 0
	s_cmp_eq_u32 s4, 0
	s_cbranch_scc0 .LBB85_39
	s_branch .LBB85_41
.LBB85_36:
	s_mov_b32 s6, -1
                                        ; implicit-def: $vgpr5
	s_branch .LBB85_41
.LBB85_37:
	v_dual_mov_b32 v5, 0 :: v_dual_mov_b32 v4, 0
	s_branch .LBB85_41
.LBB85_38:
	v_mov_b64_e32 v[4:5], 0
	v_mov_b32_e32 v6, v1
	s_mov_b32 s0, 0
	s_and_b32 s4, s1, 3
	s_mov_b32 s1, 0
	s_cmp_eq_u32 s4, 0
	s_cbranch_scc1 .LBB85_41
.LBB85_39:
	s_lshl_b32 s2, s0, 3
	s_mov_b32 s3, s1
	s_mul_u64 s[8:9], s[0:1], 12
	s_add_nc_u64 s[2:3], s[12:13], s[2:3]
	s_delay_alu instid0(SALU_CYCLE_1)
	s_add_nc_u64 s[0:1], s[2:3], 0xc4
	s_add_nc_u64 s[2:3], s[12:13], s[8:9]
.LBB85_40:                              ; =>This Inner Loop Header: Depth=1
	s_load_b96 s[8:10], s[2:3], 0x4
	s_add_co_i32 s4, s4, -1
	s_wait_xcnt 0x0
	s_add_nc_u64 s[2:3], s[2:3], 12
	s_cmp_lg_u32 s4, 0
	s_wait_kmcnt 0x0
	v_mul_hi_u32 v7, s9, v6
	s_delay_alu instid0(VALU_DEP_1) | instskip(NEXT) | instid1(VALU_DEP_1)
	v_add_nc_u32_e32 v7, v6, v7
	v_lshrrev_b32_e32 v7, s10, v7
	s_load_b64 s[10:11], s[0:1], 0x0
	s_wait_xcnt 0x0
	s_add_nc_u64 s[0:1], s[0:1], 8
	s_delay_alu instid0(VALU_DEP_1) | instskip(NEXT) | instid1(VALU_DEP_1)
	v_mul_lo_u32 v8, v7, s8
	v_sub_nc_u32_e32 v6, v6, v8
	s_wait_kmcnt 0x0
	s_delay_alu instid0(VALU_DEP_1)
	v_mad_u32 v5, v6, s11, v5
	v_mad_u32 v4, v6, s10, v4
	v_mov_b32_e32 v6, v7
	s_cbranch_scc1 .LBB85_40
.LBB85_41:
	s_and_not1_b32 vcc_lo, exec_lo, s6
	s_cbranch_vccnz .LBB85_44
; %bb.42:
	s_clause 0x1
	s_load_b96 s[0:2], s[12:13], 0x4
	s_load_b64 s[4:5], s[12:13], 0xc4
	s_cmp_lt_u32 s28, 2
	s_wait_kmcnt 0x0
	v_mul_hi_u32 v4, s1, v1
	s_delay_alu instid0(VALU_DEP_1) | instskip(NEXT) | instid1(VALU_DEP_1)
	v_add_nc_u32_e32 v4, v1, v4
	v_lshrrev_b32_e32 v6, s2, v4
	s_delay_alu instid0(VALU_DEP_1) | instskip(NEXT) | instid1(VALU_DEP_1)
	v_mul_lo_u32 v4, v6, s0
	v_sub_nc_u32_e32 v1, v1, v4
	s_delay_alu instid0(VALU_DEP_1)
	v_mul_lo_u32 v5, v1, s5
	v_mul_lo_u32 v4, v1, s4
	s_cbranch_scc1 .LBB85_44
; %bb.43:
	s_clause 0x1
	s_load_b96 s[0:2], s[12:13], 0x10
	s_load_b64 s[4:5], s[12:13], 0xcc
	s_wait_kmcnt 0x0
	v_mul_hi_u32 v1, s1, v6
	s_delay_alu instid0(VALU_DEP_1) | instskip(NEXT) | instid1(VALU_DEP_1)
	v_add_nc_u32_e32 v1, v6, v1
	v_lshrrev_b32_e32 v1, s2, v1
	s_delay_alu instid0(VALU_DEP_1) | instskip(NEXT) | instid1(VALU_DEP_1)
	v_mul_lo_u32 v1, v1, s0
	v_sub_nc_u32_e32 v1, v6, v1
	s_delay_alu instid0(VALU_DEP_1)
	v_mad_u32 v4, v1, s4, v4
	v_mad_u32 v5, v1, s5, v5
.LBB85_44:
	v_cmp_ne_u32_e32 vcc_lo, 1, v14
	v_add_nc_u32_e32 v1, 0x100, v0
	s_cbranch_vccnz .LBB85_50
; %bb.45:
	s_cmp_lg_u32 s28, 0
	s_mov_b32 s6, 0
	s_cbranch_scc0 .LBB85_51
; %bb.46:
	s_min_u32 s1, s29, 15
	s_delay_alu instid0(SALU_CYCLE_1)
	s_add_co_i32 s1, s1, 1
	s_cmp_eq_u32 s29, 2
	s_cbranch_scc1 .LBB85_52
; %bb.47:
	v_dual_mov_b32 v6, 0 :: v_dual_mov_b32 v7, 0
	v_mov_b32_e32 v8, v1
	s_and_b32 s0, s1, 28
	s_add_nc_u64 s[2:3], s[12:13], 0xc4
	s_mov_b32 s7, 0
	s_mov_b64 s[4:5], s[12:13]
.LBB85_48:                              ; =>This Inner Loop Header: Depth=1
	s_clause 0x1
	s_load_b256 s[16:23], s[4:5], 0x4
	s_load_b128 s[8:11], s[4:5], 0x24
	s_load_b256 s[36:43], s[2:3], 0x0
	s_add_co_i32 s7, s7, 4
	s_wait_xcnt 0x0
	s_add_nc_u64 s[4:5], s[4:5], 48
	s_cmp_lg_u32 s0, s7
	s_add_nc_u64 s[2:3], s[2:3], 32
	s_wait_kmcnt 0x0
	v_mul_hi_u32 v9, s17, v8
	s_delay_alu instid0(VALU_DEP_1) | instskip(NEXT) | instid1(VALU_DEP_1)
	v_add_nc_u32_e32 v9, v8, v9
	v_lshrrev_b32_e32 v9, s18, v9
	s_delay_alu instid0(VALU_DEP_1) | instskip(NEXT) | instid1(VALU_DEP_1)
	v_mul_hi_u32 v10, s20, v9
	v_add_nc_u32_e32 v10, v9, v10
	s_delay_alu instid0(VALU_DEP_1) | instskip(NEXT) | instid1(VALU_DEP_1)
	v_lshrrev_b32_e32 v10, s21, v10
	v_mul_hi_u32 v11, s23, v10
	s_delay_alu instid0(VALU_DEP_1) | instskip(SKIP_1) | instid1(VALU_DEP_1)
	v_add_nc_u32_e32 v11, v10, v11
	v_mul_lo_u32 v12, v9, s16
	v_sub_nc_u32_e32 v8, v8, v12
	v_mul_lo_u32 v12, v10, s19
	s_delay_alu instid0(VALU_DEP_4) | instskip(NEXT) | instid1(VALU_DEP_3)
	v_lshrrev_b32_e32 v11, s8, v11
	v_mad_u32 v7, v8, s37, v7
	v_mad_u32 v6, v8, s36, v6
	s_delay_alu instid0(VALU_DEP_4) | instskip(NEXT) | instid1(VALU_DEP_4)
	v_sub_nc_u32_e32 v8, v9, v12
	v_mul_hi_u32 v13, s10, v11
	v_mul_lo_u32 v9, v11, s22
	s_delay_alu instid0(VALU_DEP_3) | instskip(SKIP_1) | instid1(VALU_DEP_4)
	v_mad_u32 v7, v8, s39, v7
	v_mad_u32 v6, v8, s38, v6
	v_add_nc_u32_e32 v12, v11, v13
	s_delay_alu instid0(VALU_DEP_1) | instskip(NEXT) | instid1(VALU_DEP_1)
	v_dual_sub_nc_u32 v9, v10, v9 :: v_dual_lshrrev_b32 v8, s11, v12
	v_mad_u32 v7, v9, s41, v7
	s_delay_alu instid0(VALU_DEP_4) | instskip(NEXT) | instid1(VALU_DEP_3)
	v_mad_u32 v6, v9, s40, v6
	v_mul_lo_u32 v10, v8, s9
	s_delay_alu instid0(VALU_DEP_1) | instskip(NEXT) | instid1(VALU_DEP_1)
	v_sub_nc_u32_e32 v9, v11, v10
	v_mad_u32 v7, v9, s43, v7
	s_delay_alu instid0(VALU_DEP_4)
	v_mad_u32 v6, v9, s42, v6
	s_cbranch_scc1 .LBB85_48
; %bb.49:
	s_and_b32 s4, s1, 3
	s_mov_b32 s1, 0
	s_cmp_eq_u32 s4, 0
	s_cbranch_scc0 .LBB85_53
	s_branch .LBB85_55
.LBB85_50:
	s_mov_b32 s6, -1
                                        ; implicit-def: $vgpr7
	s_branch .LBB85_55
.LBB85_51:
	v_dual_mov_b32 v7, 0 :: v_dual_mov_b32 v6, 0
	s_branch .LBB85_55
.LBB85_52:
	v_mov_b64_e32 v[6:7], 0
	v_mov_b32_e32 v8, v1
	s_mov_b32 s0, 0
	s_and_b32 s4, s1, 3
	s_mov_b32 s1, 0
	s_cmp_eq_u32 s4, 0
	s_cbranch_scc1 .LBB85_55
.LBB85_53:
	s_lshl_b32 s2, s0, 3
	s_mov_b32 s3, s1
	s_mul_u64 s[8:9], s[0:1], 12
	s_add_nc_u64 s[2:3], s[12:13], s[2:3]
	s_delay_alu instid0(SALU_CYCLE_1)
	s_add_nc_u64 s[0:1], s[2:3], 0xc4
	s_add_nc_u64 s[2:3], s[12:13], s[8:9]
.LBB85_54:                              ; =>This Inner Loop Header: Depth=1
	s_load_b96 s[8:10], s[2:3], 0x4
	s_add_co_i32 s4, s4, -1
	s_wait_xcnt 0x0
	s_add_nc_u64 s[2:3], s[2:3], 12
	s_cmp_lg_u32 s4, 0
	s_wait_kmcnt 0x0
	v_mul_hi_u32 v9, s9, v8
	s_delay_alu instid0(VALU_DEP_1) | instskip(NEXT) | instid1(VALU_DEP_1)
	v_add_nc_u32_e32 v9, v8, v9
	v_lshrrev_b32_e32 v9, s10, v9
	s_load_b64 s[10:11], s[0:1], 0x0
	s_wait_xcnt 0x0
	s_add_nc_u64 s[0:1], s[0:1], 8
	s_delay_alu instid0(VALU_DEP_1) | instskip(NEXT) | instid1(VALU_DEP_1)
	v_mul_lo_u32 v10, v9, s8
	v_sub_nc_u32_e32 v8, v8, v10
	s_wait_kmcnt 0x0
	s_delay_alu instid0(VALU_DEP_1)
	v_mad_u32 v7, v8, s11, v7
	v_mad_u32 v6, v8, s10, v6
	v_mov_b32_e32 v8, v9
	s_cbranch_scc1 .LBB85_54
.LBB85_55:
	s_and_not1_b32 vcc_lo, exec_lo, s6
	s_cbranch_vccnz .LBB85_58
; %bb.56:
	s_clause 0x1
	s_load_b96 s[0:2], s[12:13], 0x4
	s_load_b64 s[4:5], s[12:13], 0xc4
	s_cmp_lt_u32 s28, 2
	s_wait_kmcnt 0x0
	v_mul_hi_u32 v6, s1, v1
	s_delay_alu instid0(VALU_DEP_1) | instskip(NEXT) | instid1(VALU_DEP_1)
	v_add_nc_u32_e32 v6, v1, v6
	v_lshrrev_b32_e32 v8, s2, v6
	s_delay_alu instid0(VALU_DEP_1) | instskip(NEXT) | instid1(VALU_DEP_1)
	v_mul_lo_u32 v6, v8, s0
	v_sub_nc_u32_e32 v1, v1, v6
	s_delay_alu instid0(VALU_DEP_1)
	v_mul_lo_u32 v7, v1, s5
	v_mul_lo_u32 v6, v1, s4
	s_cbranch_scc1 .LBB85_58
; %bb.57:
	s_clause 0x1
	s_load_b96 s[0:2], s[12:13], 0x10
	s_load_b64 s[4:5], s[12:13], 0xcc
	s_wait_kmcnt 0x0
	v_mul_hi_u32 v1, s1, v8
	s_delay_alu instid0(VALU_DEP_1) | instskip(NEXT) | instid1(VALU_DEP_1)
	v_add_nc_u32_e32 v1, v8, v1
	v_lshrrev_b32_e32 v1, s2, v1
	s_delay_alu instid0(VALU_DEP_1) | instskip(NEXT) | instid1(VALU_DEP_1)
	v_mul_lo_u32 v1, v1, s0
	v_sub_nc_u32_e32 v1, v8, v1
	s_delay_alu instid0(VALU_DEP_1)
	v_mad_u32 v6, v1, s4, v6
	v_mad_u32 v7, v1, s5, v7
.LBB85_58:
	v_cmp_ne_u32_e32 vcc_lo, 1, v14
	v_add_nc_u32_e32 v1, 0x180, v0
	s_cbranch_vccnz .LBB85_64
; %bb.59:
	s_cmp_lg_u32 s28, 0
	s_mov_b32 s6, 0
	s_cbranch_scc0 .LBB85_65
; %bb.60:
	s_min_u32 s1, s29, 15
	s_delay_alu instid0(SALU_CYCLE_1)
	s_add_co_i32 s1, s1, 1
	s_cmp_eq_u32 s29, 2
	s_cbranch_scc1 .LBB85_66
; %bb.61:
	v_dual_mov_b32 v8, 0 :: v_dual_mov_b32 v9, 0
	v_mov_b32_e32 v10, v1
	s_and_b32 s0, s1, 28
	s_add_nc_u64 s[2:3], s[12:13], 0xc4
	s_mov_b32 s7, 0
	s_mov_b64 s[4:5], s[12:13]
.LBB85_62:                              ; =>This Inner Loop Header: Depth=1
	s_clause 0x1
	s_load_b256 s[16:23], s[4:5], 0x4
	s_load_b128 s[8:11], s[4:5], 0x24
	s_load_b256 s[36:43], s[2:3], 0x0
	s_add_co_i32 s7, s7, 4
	s_wait_xcnt 0x0
	s_add_nc_u64 s[4:5], s[4:5], 48
	s_cmp_lg_u32 s0, s7
	s_add_nc_u64 s[2:3], s[2:3], 32
	s_wait_kmcnt 0x0
	v_mul_hi_u32 v11, s17, v10
	s_delay_alu instid0(VALU_DEP_1) | instskip(NEXT) | instid1(VALU_DEP_1)
	v_add_nc_u32_e32 v11, v10, v11
	v_lshrrev_b32_e32 v11, s18, v11
	s_delay_alu instid0(VALU_DEP_1) | instskip(NEXT) | instid1(VALU_DEP_1)
	v_mul_hi_u32 v12, s20, v11
	v_add_nc_u32_e32 v12, v11, v12
	s_delay_alu instid0(VALU_DEP_1) | instskip(NEXT) | instid1(VALU_DEP_1)
	v_lshrrev_b32_e32 v12, s21, v12
	v_mul_hi_u32 v13, s23, v12
	s_delay_alu instid0(VALU_DEP_1) | instskip(SKIP_1) | instid1(VALU_DEP_1)
	v_add_nc_u32_e32 v13, v12, v13
	v_mul_lo_u32 v15, v11, s16
	v_sub_nc_u32_e32 v10, v10, v15
	v_mul_lo_u32 v15, v12, s19
	s_delay_alu instid0(VALU_DEP_4) | instskip(NEXT) | instid1(VALU_DEP_3)
	v_lshrrev_b32_e32 v13, s8, v13
	v_mad_u32 v9, v10, s37, v9
	v_mad_u32 v8, v10, s36, v8
	s_delay_alu instid0(VALU_DEP_4) | instskip(NEXT) | instid1(VALU_DEP_4)
	v_sub_nc_u32_e32 v10, v11, v15
	v_mul_hi_u32 v17, s10, v13
	v_mul_lo_u32 v11, v13, s22
	s_delay_alu instid0(VALU_DEP_3) | instskip(SKIP_1) | instid1(VALU_DEP_3)
	v_mad_u32 v9, v10, s39, v9
	v_mad_u32 v8, v10, s38, v8
	v_dual_add_nc_u32 v15, v13, v17 :: v_dual_sub_nc_u32 v11, v12, v11
	s_delay_alu instid0(VALU_DEP_1) | instskip(NEXT) | instid1(VALU_DEP_2)
	v_lshrrev_b32_e32 v10, s11, v15
	v_mad_u32 v9, v11, s41, v9
	s_delay_alu instid0(VALU_DEP_4) | instskip(NEXT) | instid1(VALU_DEP_3)
	v_mad_u32 v8, v11, s40, v8
	v_mul_lo_u32 v12, v10, s9
	s_delay_alu instid0(VALU_DEP_1) | instskip(NEXT) | instid1(VALU_DEP_1)
	v_sub_nc_u32_e32 v11, v13, v12
	v_mad_u32 v9, v11, s43, v9
	s_delay_alu instid0(VALU_DEP_4)
	v_mad_u32 v8, v11, s42, v8
	s_cbranch_scc1 .LBB85_62
; %bb.63:
	s_and_b32 s4, s1, 3
	s_mov_b32 s1, 0
	s_cmp_eq_u32 s4, 0
	s_cbranch_scc0 .LBB85_67
	s_branch .LBB85_69
.LBB85_64:
	s_mov_b32 s6, -1
                                        ; implicit-def: $vgpr9
	s_branch .LBB85_69
.LBB85_65:
	v_dual_mov_b32 v9, 0 :: v_dual_mov_b32 v8, 0
	s_branch .LBB85_69
.LBB85_66:
	v_mov_b64_e32 v[8:9], 0
	v_mov_b32_e32 v10, v1
	s_mov_b32 s0, 0
	s_and_b32 s4, s1, 3
	s_mov_b32 s1, 0
	s_cmp_eq_u32 s4, 0
	s_cbranch_scc1 .LBB85_69
.LBB85_67:
	s_lshl_b32 s2, s0, 3
	s_mov_b32 s3, s1
	s_mul_u64 s[8:9], s[0:1], 12
	s_add_nc_u64 s[2:3], s[12:13], s[2:3]
	s_delay_alu instid0(SALU_CYCLE_1)
	s_add_nc_u64 s[0:1], s[2:3], 0xc4
	s_add_nc_u64 s[2:3], s[12:13], s[8:9]
.LBB85_68:                              ; =>This Inner Loop Header: Depth=1
	s_load_b96 s[8:10], s[2:3], 0x4
	s_add_co_i32 s4, s4, -1
	s_wait_xcnt 0x0
	s_add_nc_u64 s[2:3], s[2:3], 12
	s_cmp_lg_u32 s4, 0
	s_wait_kmcnt 0x0
	v_mul_hi_u32 v11, s9, v10
	s_delay_alu instid0(VALU_DEP_1) | instskip(NEXT) | instid1(VALU_DEP_1)
	v_add_nc_u32_e32 v11, v10, v11
	v_lshrrev_b32_e32 v11, s10, v11
	s_load_b64 s[10:11], s[0:1], 0x0
	s_wait_xcnt 0x0
	s_add_nc_u64 s[0:1], s[0:1], 8
	s_delay_alu instid0(VALU_DEP_1) | instskip(NEXT) | instid1(VALU_DEP_1)
	v_mul_lo_u32 v12, v11, s8
	v_sub_nc_u32_e32 v10, v10, v12
	s_wait_kmcnt 0x0
	s_delay_alu instid0(VALU_DEP_1)
	v_mad_u32 v9, v10, s11, v9
	v_mad_u32 v8, v10, s10, v8
	v_mov_b32_e32 v10, v11
	s_cbranch_scc1 .LBB85_68
.LBB85_69:
	s_and_not1_b32 vcc_lo, exec_lo, s6
	s_cbranch_vccnz .LBB85_72
; %bb.70:
	s_clause 0x1
	s_load_b96 s[0:2], s[12:13], 0x4
	s_load_b64 s[4:5], s[12:13], 0xc4
	s_cmp_lt_u32 s28, 2
	s_wait_kmcnt 0x0
	v_mul_hi_u32 v8, s1, v1
	s_delay_alu instid0(VALU_DEP_1) | instskip(NEXT) | instid1(VALU_DEP_1)
	v_add_nc_u32_e32 v8, v1, v8
	v_lshrrev_b32_e32 v10, s2, v8
	s_delay_alu instid0(VALU_DEP_1) | instskip(NEXT) | instid1(VALU_DEP_1)
	v_mul_lo_u32 v8, v10, s0
	v_sub_nc_u32_e32 v1, v1, v8
	s_delay_alu instid0(VALU_DEP_1)
	v_mul_lo_u32 v9, v1, s5
	v_mul_lo_u32 v8, v1, s4
	s_cbranch_scc1 .LBB85_72
; %bb.71:
	s_clause 0x1
	s_load_b96 s[0:2], s[12:13], 0x10
	s_load_b64 s[4:5], s[12:13], 0xcc
	s_wait_kmcnt 0x0
	v_mul_hi_u32 v1, s1, v10
	s_delay_alu instid0(VALU_DEP_1) | instskip(NEXT) | instid1(VALU_DEP_1)
	v_add_nc_u32_e32 v1, v10, v1
	v_lshrrev_b32_e32 v1, s2, v1
	s_delay_alu instid0(VALU_DEP_1) | instskip(NEXT) | instid1(VALU_DEP_1)
	v_mul_lo_u32 v1, v1, s0
	v_sub_nc_u32_e32 v1, v10, v1
	s_delay_alu instid0(VALU_DEP_1)
	v_mad_u32 v8, v1, s4, v8
	v_mad_u32 v9, v1, s5, v9
.LBB85_72:
	v_cmp_ne_u32_e32 vcc_lo, 1, v14
	v_add_nc_u32_e32 v1, 0x200, v0
	s_cbranch_vccnz .LBB85_78
; %bb.73:
	s_cmp_lg_u32 s28, 0
	s_mov_b32 s6, 0
	s_cbranch_scc0 .LBB85_79
; %bb.74:
	s_min_u32 s1, s29, 15
	s_delay_alu instid0(SALU_CYCLE_1)
	s_add_co_i32 s1, s1, 1
	s_cmp_eq_u32 s29, 2
	s_cbranch_scc1 .LBB85_80
; %bb.75:
	v_dual_mov_b32 v10, 0 :: v_dual_mov_b32 v11, 0
	v_mov_b32_e32 v12, v1
	s_and_b32 s0, s1, 28
	s_add_nc_u64 s[2:3], s[12:13], 0xc4
	s_mov_b32 s7, 0
	s_mov_b64 s[4:5], s[12:13]
.LBB85_76:                              ; =>This Inner Loop Header: Depth=1
	s_clause 0x1
	s_load_b256 s[16:23], s[4:5], 0x4
	s_load_b128 s[8:11], s[4:5], 0x24
	s_load_b256 s[36:43], s[2:3], 0x0
	s_add_co_i32 s7, s7, 4
	s_wait_xcnt 0x0
	s_add_nc_u64 s[4:5], s[4:5], 48
	s_cmp_lg_u32 s0, s7
	s_add_nc_u64 s[2:3], s[2:3], 32
	s_wait_kmcnt 0x0
	v_mul_hi_u32 v13, s17, v12
	s_delay_alu instid0(VALU_DEP_1) | instskip(NEXT) | instid1(VALU_DEP_1)
	v_add_nc_u32_e32 v13, v12, v13
	v_lshrrev_b32_e32 v13, s18, v13
	s_delay_alu instid0(VALU_DEP_1) | instskip(NEXT) | instid1(VALU_DEP_1)
	v_mul_lo_u32 v18, v13, s16
	v_sub_nc_u32_e32 v12, v12, v18
	v_mul_hi_u32 v15, s20, v13
	s_delay_alu instid0(VALU_DEP_2) | instskip(SKIP_1) | instid1(VALU_DEP_3)
	v_mad_u32 v11, v12, s37, v11
	v_mad_u32 v10, v12, s36, v10
	v_add_nc_u32_e32 v15, v13, v15
	s_delay_alu instid0(VALU_DEP_1) | instskip(NEXT) | instid1(VALU_DEP_1)
	v_lshrrev_b32_e32 v15, s21, v15
	v_mul_hi_u32 v17, s23, v15
	v_mul_lo_u32 v18, v15, s19
	s_delay_alu instid0(VALU_DEP_1) | instskip(NEXT) | instid1(VALU_DEP_1)
	v_dual_add_nc_u32 v17, v15, v17 :: v_dual_sub_nc_u32 v12, v13, v18
	v_lshrrev_b32_e32 v17, s8, v17
	s_delay_alu instid0(VALU_DEP_2) | instskip(SKIP_1) | instid1(VALU_DEP_3)
	v_mad_u32 v11, v12, s39, v11
	v_mad_u32 v10, v12, s38, v10
	v_mul_hi_u32 v19, s10, v17
	v_mul_lo_u32 v13, v17, s22
	s_delay_alu instid0(VALU_DEP_1) | instskip(NEXT) | instid1(VALU_DEP_1)
	v_dual_add_nc_u32 v18, v17, v19 :: v_dual_sub_nc_u32 v13, v15, v13
	v_lshrrev_b32_e32 v12, s11, v18
	s_delay_alu instid0(VALU_DEP_2) | instskip(SKIP_1) | instid1(VALU_DEP_3)
	v_mad_u32 v11, v13, s41, v11
	v_mad_u32 v10, v13, s40, v10
	v_mul_lo_u32 v15, v12, s9
	s_delay_alu instid0(VALU_DEP_1) | instskip(NEXT) | instid1(VALU_DEP_1)
	v_sub_nc_u32_e32 v13, v17, v15
	v_mad_u32 v11, v13, s43, v11
	s_delay_alu instid0(VALU_DEP_4)
	v_mad_u32 v10, v13, s42, v10
	s_cbranch_scc1 .LBB85_76
; %bb.77:
	s_and_b32 s4, s1, 3
	s_mov_b32 s1, 0
	s_cmp_eq_u32 s4, 0
	s_cbranch_scc0 .LBB85_81
	s_branch .LBB85_83
.LBB85_78:
	s_mov_b32 s6, -1
                                        ; implicit-def: $vgpr11
	s_branch .LBB85_83
.LBB85_79:
	v_dual_mov_b32 v11, 0 :: v_dual_mov_b32 v10, 0
	s_branch .LBB85_83
.LBB85_80:
	v_mov_b64_e32 v[10:11], 0
	v_mov_b32_e32 v12, v1
	s_mov_b32 s0, 0
	s_and_b32 s4, s1, 3
	s_mov_b32 s1, 0
	s_cmp_eq_u32 s4, 0
	s_cbranch_scc1 .LBB85_83
.LBB85_81:
	s_lshl_b32 s2, s0, 3
	s_mov_b32 s3, s1
	s_mul_u64 s[8:9], s[0:1], 12
	s_add_nc_u64 s[2:3], s[12:13], s[2:3]
	s_delay_alu instid0(SALU_CYCLE_1)
	s_add_nc_u64 s[0:1], s[2:3], 0xc4
	s_add_nc_u64 s[2:3], s[12:13], s[8:9]
.LBB85_82:                              ; =>This Inner Loop Header: Depth=1
	s_load_b96 s[8:10], s[2:3], 0x4
	s_add_co_i32 s4, s4, -1
	s_wait_xcnt 0x0
	s_add_nc_u64 s[2:3], s[2:3], 12
	s_cmp_lg_u32 s4, 0
	s_wait_kmcnt 0x0
	v_mul_hi_u32 v13, s9, v12
	s_delay_alu instid0(VALU_DEP_1) | instskip(NEXT) | instid1(VALU_DEP_1)
	v_add_nc_u32_e32 v13, v12, v13
	v_lshrrev_b32_e32 v13, s10, v13
	s_load_b64 s[10:11], s[0:1], 0x0
	s_wait_xcnt 0x0
	s_add_nc_u64 s[0:1], s[0:1], 8
	s_delay_alu instid0(VALU_DEP_1) | instskip(NEXT) | instid1(VALU_DEP_1)
	v_mul_lo_u32 v15, v13, s8
	v_sub_nc_u32_e32 v12, v12, v15
	s_wait_kmcnt 0x0
	s_delay_alu instid0(VALU_DEP_1)
	v_mad_u32 v11, v12, s11, v11
	v_mad_u32 v10, v12, s10, v10
	v_mov_b32_e32 v12, v13
	s_cbranch_scc1 .LBB85_82
.LBB85_83:
	s_and_not1_b32 vcc_lo, exec_lo, s6
	s_cbranch_vccnz .LBB85_86
; %bb.84:
	s_clause 0x1
	s_load_b96 s[0:2], s[12:13], 0x4
	s_load_b64 s[4:5], s[12:13], 0xc4
	s_cmp_lt_u32 s28, 2
	s_wait_kmcnt 0x0
	v_mul_hi_u32 v10, s1, v1
	s_delay_alu instid0(VALU_DEP_1) | instskip(NEXT) | instid1(VALU_DEP_1)
	v_add_nc_u32_e32 v10, v1, v10
	v_lshrrev_b32_e32 v12, s2, v10
	s_delay_alu instid0(VALU_DEP_1) | instskip(NEXT) | instid1(VALU_DEP_1)
	v_mul_lo_u32 v10, v12, s0
	v_sub_nc_u32_e32 v1, v1, v10
	s_delay_alu instid0(VALU_DEP_1)
	v_mul_lo_u32 v11, v1, s5
	v_mul_lo_u32 v10, v1, s4
	s_cbranch_scc1 .LBB85_86
; %bb.85:
	s_clause 0x1
	s_load_b96 s[0:2], s[12:13], 0x10
	s_load_b64 s[4:5], s[12:13], 0xcc
	s_wait_kmcnt 0x0
	v_mul_hi_u32 v1, s1, v12
	s_delay_alu instid0(VALU_DEP_1) | instskip(NEXT) | instid1(VALU_DEP_1)
	v_add_nc_u32_e32 v1, v12, v1
	v_lshrrev_b32_e32 v1, s2, v1
	s_delay_alu instid0(VALU_DEP_1) | instskip(NEXT) | instid1(VALU_DEP_1)
	v_mul_lo_u32 v1, v1, s0
	v_sub_nc_u32_e32 v1, v12, v1
	s_delay_alu instid0(VALU_DEP_1)
	v_mad_u32 v10, v1, s4, v10
	v_mad_u32 v11, v1, s5, v11
.LBB85_86:
	v_cmp_ne_u32_e32 vcc_lo, 1, v14
	v_add_nc_u32_e32 v1, 0x280, v0
	s_cbranch_vccnz .LBB85_92
; %bb.87:
	s_cmp_lg_u32 s28, 0
	s_mov_b32 s6, 0
	s_cbranch_scc0 .LBB85_93
; %bb.88:
	s_min_u32 s1, s29, 15
	s_delay_alu instid0(SALU_CYCLE_1)
	s_add_co_i32 s1, s1, 1
	s_cmp_eq_u32 s29, 2
	s_cbranch_scc1 .LBB85_94
; %bb.89:
	v_dual_mov_b32 v12, 0 :: v_dual_mov_b32 v13, 0
	v_mov_b32_e32 v15, v1
	s_and_b32 s0, s1, 28
	s_add_nc_u64 s[2:3], s[12:13], 0xc4
	s_mov_b32 s7, 0
	s_mov_b64 s[4:5], s[12:13]
.LBB85_90:                              ; =>This Inner Loop Header: Depth=1
	s_clause 0x1
	s_load_b256 s[16:23], s[4:5], 0x4
	s_load_b128 s[8:11], s[4:5], 0x24
	s_load_b256 s[36:43], s[2:3], 0x0
	s_add_co_i32 s7, s7, 4
	s_wait_xcnt 0x0
	s_add_nc_u64 s[4:5], s[4:5], 48
	s_cmp_lg_u32 s0, s7
	s_add_nc_u64 s[2:3], s[2:3], 32
	s_wait_kmcnt 0x0
	v_mul_hi_u32 v17, s17, v15
	s_delay_alu instid0(VALU_DEP_1) | instskip(NEXT) | instid1(VALU_DEP_1)
	v_add_nc_u32_e32 v17, v15, v17
	v_lshrrev_b32_e32 v17, s18, v17
	s_delay_alu instid0(VALU_DEP_1) | instskip(NEXT) | instid1(VALU_DEP_1)
	v_mul_hi_u32 v18, s20, v17
	v_add_nc_u32_e32 v18, v17, v18
	s_delay_alu instid0(VALU_DEP_1) | instskip(NEXT) | instid1(VALU_DEP_1)
	v_lshrrev_b32_e32 v18, s21, v18
	v_mul_hi_u32 v19, s23, v18
	s_delay_alu instid0(VALU_DEP_1) | instskip(SKIP_1) | instid1(VALU_DEP_1)
	v_add_nc_u32_e32 v19, v18, v19
	v_mul_lo_u32 v20, v17, s16
	v_sub_nc_u32_e32 v15, v15, v20
	v_mul_lo_u32 v20, v18, s19
	s_delay_alu instid0(VALU_DEP_4) | instskip(NEXT) | instid1(VALU_DEP_3)
	v_lshrrev_b32_e32 v19, s8, v19
	v_mad_u32 v13, v15, s37, v13
	v_mad_u32 v12, v15, s36, v12
	s_delay_alu instid0(VALU_DEP_4) | instskip(NEXT) | instid1(VALU_DEP_4)
	v_sub_nc_u32_e32 v15, v17, v20
	v_mul_hi_u32 v21, s10, v19
	v_mul_lo_u32 v17, v19, s22
	s_delay_alu instid0(VALU_DEP_3) | instskip(SKIP_1) | instid1(VALU_DEP_4)
	v_mad_u32 v13, v15, s39, v13
	v_mad_u32 v12, v15, s38, v12
	v_add_nc_u32_e32 v20, v19, v21
	s_delay_alu instid0(VALU_DEP_1) | instskip(NEXT) | instid1(VALU_DEP_1)
	v_dual_sub_nc_u32 v17, v18, v17 :: v_dual_lshrrev_b32 v15, s11, v20
	v_mad_u32 v13, v17, s41, v13
	s_delay_alu instid0(VALU_DEP_4) | instskip(NEXT) | instid1(VALU_DEP_3)
	v_mad_u32 v12, v17, s40, v12
	v_mul_lo_u32 v18, v15, s9
	s_delay_alu instid0(VALU_DEP_1) | instskip(NEXT) | instid1(VALU_DEP_1)
	v_sub_nc_u32_e32 v17, v19, v18
	v_mad_u32 v13, v17, s43, v13
	s_delay_alu instid0(VALU_DEP_4)
	v_mad_u32 v12, v17, s42, v12
	s_cbranch_scc1 .LBB85_90
; %bb.91:
	s_and_b32 s4, s1, 3
	s_mov_b32 s1, 0
	s_cmp_eq_u32 s4, 0
	s_cbranch_scc0 .LBB85_95
	s_branch .LBB85_97
.LBB85_92:
	s_mov_b32 s6, -1
                                        ; implicit-def: $vgpr13
	s_branch .LBB85_97
.LBB85_93:
	v_dual_mov_b32 v13, 0 :: v_dual_mov_b32 v12, 0
	s_branch .LBB85_97
.LBB85_94:
	v_mov_b64_e32 v[12:13], 0
	v_mov_b32_e32 v15, v1
	s_mov_b32 s0, 0
	s_and_b32 s4, s1, 3
	s_mov_b32 s1, 0
	s_cmp_eq_u32 s4, 0
	s_cbranch_scc1 .LBB85_97
.LBB85_95:
	s_lshl_b32 s2, s0, 3
	s_mov_b32 s3, s1
	s_mul_u64 s[8:9], s[0:1], 12
	s_add_nc_u64 s[2:3], s[12:13], s[2:3]
	s_delay_alu instid0(SALU_CYCLE_1)
	s_add_nc_u64 s[0:1], s[2:3], 0xc4
	s_add_nc_u64 s[2:3], s[12:13], s[8:9]
.LBB85_96:                              ; =>This Inner Loop Header: Depth=1
	s_load_b96 s[8:10], s[2:3], 0x4
	s_add_co_i32 s4, s4, -1
	s_wait_xcnt 0x0
	s_add_nc_u64 s[2:3], s[2:3], 12
	s_cmp_lg_u32 s4, 0
	s_wait_kmcnt 0x0
	v_mul_hi_u32 v17, s9, v15
	s_delay_alu instid0(VALU_DEP_1) | instskip(NEXT) | instid1(VALU_DEP_1)
	v_add_nc_u32_e32 v17, v15, v17
	v_lshrrev_b32_e32 v17, s10, v17
	s_load_b64 s[10:11], s[0:1], 0x0
	s_wait_xcnt 0x0
	s_add_nc_u64 s[0:1], s[0:1], 8
	s_delay_alu instid0(VALU_DEP_1) | instskip(NEXT) | instid1(VALU_DEP_1)
	v_mul_lo_u32 v18, v17, s8
	v_sub_nc_u32_e32 v15, v15, v18
	s_wait_kmcnt 0x0
	s_delay_alu instid0(VALU_DEP_1)
	v_mad_u32 v13, v15, s11, v13
	v_mad_u32 v12, v15, s10, v12
	v_mov_b32_e32 v15, v17
	s_cbranch_scc1 .LBB85_96
.LBB85_97:
	s_and_not1_b32 vcc_lo, exec_lo, s6
	s_cbranch_vccnz .LBB85_100
; %bb.98:
	s_clause 0x1
	s_load_b96 s[0:2], s[12:13], 0x4
	s_load_b64 s[4:5], s[12:13], 0xc4
	s_cmp_lt_u32 s28, 2
	s_wait_kmcnt 0x0
	v_mul_hi_u32 v12, s1, v1
	s_delay_alu instid0(VALU_DEP_1) | instskip(NEXT) | instid1(VALU_DEP_1)
	v_add_nc_u32_e32 v12, v1, v12
	v_lshrrev_b32_e32 v15, s2, v12
	s_delay_alu instid0(VALU_DEP_1) | instskip(NEXT) | instid1(VALU_DEP_1)
	v_mul_lo_u32 v12, v15, s0
	v_sub_nc_u32_e32 v1, v1, v12
	s_delay_alu instid0(VALU_DEP_1)
	v_mul_lo_u32 v13, v1, s5
	v_mul_lo_u32 v12, v1, s4
	s_cbranch_scc1 .LBB85_100
; %bb.99:
	s_clause 0x1
	s_load_b96 s[0:2], s[12:13], 0x10
	s_load_b64 s[4:5], s[12:13], 0xcc
	s_wait_kmcnt 0x0
	v_mul_hi_u32 v1, s1, v15
	s_delay_alu instid0(VALU_DEP_1) | instskip(NEXT) | instid1(VALU_DEP_1)
	v_add_nc_u32_e32 v1, v15, v1
	v_lshrrev_b32_e32 v1, s2, v1
	s_delay_alu instid0(VALU_DEP_1) | instskip(NEXT) | instid1(VALU_DEP_1)
	v_mul_lo_u32 v1, v1, s0
	v_sub_nc_u32_e32 v1, v15, v1
	s_delay_alu instid0(VALU_DEP_1)
	v_mad_u32 v12, v1, s4, v12
	v_mad_u32 v13, v1, s5, v13
.LBB85_100:
	v_cmp_ne_u32_e32 vcc_lo, 1, v14
	v_add_nc_u32_e32 v15, 0x300, v0
	s_cbranch_vccnz .LBB85_106
; %bb.101:
	s_cmp_lg_u32 s28, 0
	s_mov_b32 s6, 0
	s_cbranch_scc0 .LBB85_107
; %bb.102:
	s_min_u32 s1, s29, 15
	s_delay_alu instid0(SALU_CYCLE_1)
	s_add_co_i32 s1, s1, 1
	s_cmp_eq_u32 s29, 2
	s_cbranch_scc1 .LBB85_108
; %bb.103:
	v_dual_mov_b32 v0, 0 :: v_dual_mov_b32 v1, 0
	v_mov_b32_e32 v17, v15
	s_and_b32 s0, s1, 28
	s_add_nc_u64 s[2:3], s[12:13], 0xc4
	s_mov_b32 s7, 0
	s_mov_b64 s[4:5], s[12:13]
.LBB85_104:                             ; =>This Inner Loop Header: Depth=1
	s_clause 0x1
	s_load_b256 s[16:23], s[4:5], 0x4
	s_load_b128 s[8:11], s[4:5], 0x24
	s_load_b256 s[36:43], s[2:3], 0x0
	s_add_co_i32 s7, s7, 4
	s_wait_xcnt 0x0
	s_add_nc_u64 s[4:5], s[4:5], 48
	s_cmp_lg_u32 s0, s7
	s_add_nc_u64 s[2:3], s[2:3], 32
	s_wait_kmcnt 0x0
	v_mul_hi_u32 v18, s17, v17
	s_delay_alu instid0(VALU_DEP_1) | instskip(NEXT) | instid1(VALU_DEP_1)
	v_add_nc_u32_e32 v18, v17, v18
	v_lshrrev_b32_e32 v18, s18, v18
	s_delay_alu instid0(VALU_DEP_1) | instskip(NEXT) | instid1(VALU_DEP_1)
	v_mul_hi_u32 v19, s20, v18
	v_add_nc_u32_e32 v19, v18, v19
	s_delay_alu instid0(VALU_DEP_1) | instskip(NEXT) | instid1(VALU_DEP_1)
	v_lshrrev_b32_e32 v19, s21, v19
	v_mul_hi_u32 v20, s23, v19
	s_delay_alu instid0(VALU_DEP_1) | instskip(SKIP_1) | instid1(VALU_DEP_1)
	v_add_nc_u32_e32 v20, v19, v20
	v_mul_lo_u32 v21, v18, s16
	v_sub_nc_u32_e32 v17, v17, v21
	v_mul_lo_u32 v21, v19, s19
	s_delay_alu instid0(VALU_DEP_4) | instskip(NEXT) | instid1(VALU_DEP_3)
	v_lshrrev_b32_e32 v20, s8, v20
	v_mad_u32 v1, v17, s37, v1
	v_mad_u32 v0, v17, s36, v0
	s_delay_alu instid0(VALU_DEP_4) | instskip(NEXT) | instid1(VALU_DEP_4)
	v_sub_nc_u32_e32 v17, v18, v21
	v_mul_hi_u32 v22, s10, v20
	v_mul_lo_u32 v18, v20, s22
	s_delay_alu instid0(VALU_DEP_3) | instskip(SKIP_1) | instid1(VALU_DEP_4)
	v_mad_u32 v1, v17, s39, v1
	v_mad_u32 v0, v17, s38, v0
	v_add_nc_u32_e32 v21, v20, v22
	s_delay_alu instid0(VALU_DEP_1) | instskip(NEXT) | instid1(VALU_DEP_1)
	v_dual_sub_nc_u32 v18, v19, v18 :: v_dual_lshrrev_b32 v17, s11, v21
	v_mad_u32 v1, v18, s41, v1
	s_delay_alu instid0(VALU_DEP_4) | instskip(NEXT) | instid1(VALU_DEP_3)
	v_mad_u32 v0, v18, s40, v0
	v_mul_lo_u32 v19, v17, s9
	s_delay_alu instid0(VALU_DEP_1) | instskip(NEXT) | instid1(VALU_DEP_1)
	v_sub_nc_u32_e32 v18, v20, v19
	v_mad_u32 v1, v18, s43, v1
	s_delay_alu instid0(VALU_DEP_4)
	v_mad_u32 v0, v18, s42, v0
	s_cbranch_scc1 .LBB85_104
; %bb.105:
	s_and_b32 s4, s1, 3
	s_mov_b32 s1, 0
	s_cmp_eq_u32 s4, 0
	s_cbranch_scc0 .LBB85_109
	s_branch .LBB85_111
.LBB85_106:
	s_mov_b32 s6, -1
                                        ; implicit-def: $vgpr1
	s_branch .LBB85_111
.LBB85_107:
	v_dual_mov_b32 v1, 0 :: v_dual_mov_b32 v0, 0
	s_branch .LBB85_111
.LBB85_108:
	v_mov_b64_e32 v[0:1], 0
	v_mov_b32_e32 v17, v15
	s_mov_b32 s0, 0
	s_and_b32 s4, s1, 3
	s_mov_b32 s1, 0
	s_cmp_eq_u32 s4, 0
	s_cbranch_scc1 .LBB85_111
.LBB85_109:
	s_lshl_b32 s2, s0, 3
	s_mov_b32 s3, s1
	s_mul_u64 s[8:9], s[0:1], 12
	s_add_nc_u64 s[2:3], s[12:13], s[2:3]
	s_delay_alu instid0(SALU_CYCLE_1)
	s_add_nc_u64 s[0:1], s[2:3], 0xc4
	s_add_nc_u64 s[2:3], s[12:13], s[8:9]
.LBB85_110:                             ; =>This Inner Loop Header: Depth=1
	s_load_b96 s[8:10], s[2:3], 0x4
	s_add_co_i32 s4, s4, -1
	s_wait_xcnt 0x0
	s_add_nc_u64 s[2:3], s[2:3], 12
	s_cmp_lg_u32 s4, 0
	s_wait_kmcnt 0x0
	v_mul_hi_u32 v18, s9, v17
	s_delay_alu instid0(VALU_DEP_1) | instskip(NEXT) | instid1(VALU_DEP_1)
	v_add_nc_u32_e32 v18, v17, v18
	v_lshrrev_b32_e32 v18, s10, v18
	s_load_b64 s[10:11], s[0:1], 0x0
	s_wait_xcnt 0x0
	s_add_nc_u64 s[0:1], s[0:1], 8
	s_delay_alu instid0(VALU_DEP_1) | instskip(NEXT) | instid1(VALU_DEP_1)
	v_mul_lo_u32 v19, v18, s8
	v_sub_nc_u32_e32 v17, v17, v19
	s_wait_kmcnt 0x0
	s_delay_alu instid0(VALU_DEP_1)
	v_mad_u32 v1, v17, s11, v1
	v_mad_u32 v0, v17, s10, v0
	v_mov_b32_e32 v17, v18
	s_cbranch_scc1 .LBB85_110
.LBB85_111:
	s_and_not1_b32 vcc_lo, exec_lo, s6
	s_cbranch_vccnz .LBB85_114
; %bb.112:
	s_clause 0x1
	s_load_b96 s[0:2], s[12:13], 0x4
	s_load_b64 s[4:5], s[12:13], 0xc4
	s_cmp_lt_u32 s28, 2
	s_wait_kmcnt 0x0
	v_mul_hi_u32 v0, s1, v15
	s_delay_alu instid0(VALU_DEP_1) | instskip(NEXT) | instid1(VALU_DEP_1)
	v_add_nc_u32_e32 v0, v15, v0
	v_lshrrev_b32_e32 v17, s2, v0
	s_delay_alu instid0(VALU_DEP_1) | instskip(NEXT) | instid1(VALU_DEP_1)
	v_mul_lo_u32 v0, v17, s0
	v_sub_nc_u32_e32 v0, v15, v0
	s_delay_alu instid0(VALU_DEP_1)
	v_mul_lo_u32 v1, v0, s5
	v_mul_lo_u32 v0, v0, s4
	s_cbranch_scc1 .LBB85_114
; %bb.113:
	s_clause 0x1
	s_load_b96 s[0:2], s[12:13], 0x10
	s_load_b64 s[4:5], s[12:13], 0xcc
	s_wait_kmcnt 0x0
	v_mul_hi_u32 v15, s1, v17
	s_delay_alu instid0(VALU_DEP_1) | instskip(NEXT) | instid1(VALU_DEP_1)
	v_add_nc_u32_e32 v15, v17, v15
	v_lshrrev_b32_e32 v15, s2, v15
	s_delay_alu instid0(VALU_DEP_1) | instskip(NEXT) | instid1(VALU_DEP_1)
	v_mul_lo_u32 v15, v15, s0
	v_sub_nc_u32_e32 v15, v17, v15
	s_delay_alu instid0(VALU_DEP_1)
	v_mad_u32 v0, v15, s4, v0
	v_mad_u32 v1, v15, s5, v1
.LBB85_114:
	v_cmp_ne_u32_e32 vcc_lo, 1, v14
	s_cbranch_vccnz .LBB85_120
; %bb.115:
	s_cmp_lg_u32 s28, 0
	s_mov_b32 s6, 0
	s_cbranch_scc0 .LBB85_121
; %bb.116:
	s_min_u32 s1, s29, 15
	s_delay_alu instid0(SALU_CYCLE_1)
	s_add_co_i32 s1, s1, 1
	s_cmp_eq_u32 s29, 2
	s_cbranch_scc1 .LBB85_122
; %bb.117:
	v_dual_mov_b32 v14, 0 :: v_dual_mov_b32 v15, 0
	v_mov_b32_e32 v17, v16
	s_and_b32 s0, s1, 28
	s_add_nc_u64 s[2:3], s[12:13], 0xc4
	s_mov_b32 s7, 0
	s_mov_b64 s[4:5], s[12:13]
.LBB85_118:                             ; =>This Inner Loop Header: Depth=1
	s_clause 0x1
	s_load_b256 s[16:23], s[4:5], 0x4
	s_load_b128 s[8:11], s[4:5], 0x24
	s_load_b256 s[36:43], s[2:3], 0x0
	s_add_co_i32 s7, s7, 4
	s_wait_xcnt 0x0
	s_add_nc_u64 s[4:5], s[4:5], 48
	s_cmp_lg_u32 s0, s7
	s_add_nc_u64 s[2:3], s[2:3], 32
	s_wait_kmcnt 0x0
	v_mul_hi_u32 v18, s17, v17
	s_delay_alu instid0(VALU_DEP_1) | instskip(NEXT) | instid1(VALU_DEP_1)
	v_add_nc_u32_e32 v18, v17, v18
	v_lshrrev_b32_e32 v18, s18, v18
	s_delay_alu instid0(VALU_DEP_1) | instskip(NEXT) | instid1(VALU_DEP_1)
	v_mul_hi_u32 v19, s20, v18
	v_add_nc_u32_e32 v19, v18, v19
	s_delay_alu instid0(VALU_DEP_1) | instskip(NEXT) | instid1(VALU_DEP_1)
	v_lshrrev_b32_e32 v19, s21, v19
	v_mul_hi_u32 v20, s23, v19
	s_delay_alu instid0(VALU_DEP_1) | instskip(SKIP_1) | instid1(VALU_DEP_1)
	v_add_nc_u32_e32 v20, v19, v20
	v_mul_lo_u32 v21, v18, s16
	v_sub_nc_u32_e32 v17, v17, v21
	v_mul_lo_u32 v21, v19, s19
	s_delay_alu instid0(VALU_DEP_4) | instskip(NEXT) | instid1(VALU_DEP_3)
	v_lshrrev_b32_e32 v20, s8, v20
	v_mad_u32 v15, v17, s37, v15
	v_mad_u32 v14, v17, s36, v14
	s_delay_alu instid0(VALU_DEP_4) | instskip(NEXT) | instid1(VALU_DEP_4)
	v_sub_nc_u32_e32 v17, v18, v21
	v_mul_hi_u32 v22, s10, v20
	v_mul_lo_u32 v18, v20, s22
	s_delay_alu instid0(VALU_DEP_3) | instskip(SKIP_1) | instid1(VALU_DEP_4)
	v_mad_u32 v15, v17, s39, v15
	v_mad_u32 v14, v17, s38, v14
	v_add_nc_u32_e32 v21, v20, v22
	s_delay_alu instid0(VALU_DEP_1) | instskip(NEXT) | instid1(VALU_DEP_1)
	v_dual_sub_nc_u32 v18, v19, v18 :: v_dual_lshrrev_b32 v17, s11, v21
	v_mad_u32 v15, v18, s41, v15
	s_delay_alu instid0(VALU_DEP_4) | instskip(NEXT) | instid1(VALU_DEP_3)
	v_mad_u32 v14, v18, s40, v14
	v_mul_lo_u32 v19, v17, s9
	s_delay_alu instid0(VALU_DEP_1) | instskip(NEXT) | instid1(VALU_DEP_1)
	v_sub_nc_u32_e32 v18, v20, v19
	v_mad_u32 v15, v18, s43, v15
	s_delay_alu instid0(VALU_DEP_4)
	v_mad_u32 v14, v18, s42, v14
	s_cbranch_scc1 .LBB85_118
; %bb.119:
	s_and_b32 s4, s1, 3
	s_mov_b32 s1, 0
	s_cmp_eq_u32 s4, 0
	s_cbranch_scc0 .LBB85_123
	s_branch .LBB85_125
.LBB85_120:
	s_mov_b32 s6, -1
                                        ; implicit-def: $vgpr15
	s_branch .LBB85_125
.LBB85_121:
	v_dual_mov_b32 v15, 0 :: v_dual_mov_b32 v14, 0
	s_branch .LBB85_125
.LBB85_122:
	v_mov_b64_e32 v[14:15], 0
	v_mov_b32_e32 v17, v16
	s_mov_b32 s0, 0
	s_and_b32 s4, s1, 3
	s_mov_b32 s1, 0
	s_cmp_eq_u32 s4, 0
	s_cbranch_scc1 .LBB85_125
.LBB85_123:
	s_lshl_b32 s2, s0, 3
	s_mov_b32 s3, s1
	s_mul_u64 s[8:9], s[0:1], 12
	s_add_nc_u64 s[2:3], s[12:13], s[2:3]
	s_delay_alu instid0(SALU_CYCLE_1)
	s_add_nc_u64 s[0:1], s[2:3], 0xc4
	s_add_nc_u64 s[2:3], s[12:13], s[8:9]
.LBB85_124:                             ; =>This Inner Loop Header: Depth=1
	s_load_b96 s[8:10], s[2:3], 0x4
	s_add_co_i32 s4, s4, -1
	s_wait_xcnt 0x0
	s_add_nc_u64 s[2:3], s[2:3], 12
	s_cmp_lg_u32 s4, 0
	s_wait_kmcnt 0x0
	v_mul_hi_u32 v18, s9, v17
	s_delay_alu instid0(VALU_DEP_1) | instskip(NEXT) | instid1(VALU_DEP_1)
	v_add_nc_u32_e32 v18, v17, v18
	v_lshrrev_b32_e32 v18, s10, v18
	s_load_b64 s[10:11], s[0:1], 0x0
	s_wait_xcnt 0x0
	s_add_nc_u64 s[0:1], s[0:1], 8
	s_delay_alu instid0(VALU_DEP_1) | instskip(NEXT) | instid1(VALU_DEP_1)
	v_mul_lo_u32 v19, v18, s8
	v_sub_nc_u32_e32 v17, v17, v19
	s_wait_kmcnt 0x0
	s_delay_alu instid0(VALU_DEP_1)
	v_mad_u32 v15, v17, s11, v15
	v_mad_u32 v14, v17, s10, v14
	v_mov_b32_e32 v17, v18
	s_cbranch_scc1 .LBB85_124
.LBB85_125:
	s_and_not1_b32 vcc_lo, exec_lo, s6
	s_cbranch_vccnz .LBB85_128
; %bb.126:
	s_clause 0x1
	s_load_b96 s[0:2], s[12:13], 0x4
	s_load_b64 s[4:5], s[12:13], 0xc4
	s_cmp_lt_u32 s28, 2
	s_wait_kmcnt 0x0
	v_mul_hi_u32 v14, s1, v16
	s_delay_alu instid0(VALU_DEP_1) | instskip(NEXT) | instid1(VALU_DEP_1)
	v_add_nc_u32_e32 v14, v16, v14
	v_lshrrev_b32_e32 v17, s2, v14
	s_delay_alu instid0(VALU_DEP_1) | instskip(NEXT) | instid1(VALU_DEP_1)
	v_mul_lo_u32 v14, v17, s0
	v_sub_nc_u32_e32 v14, v16, v14
	s_delay_alu instid0(VALU_DEP_1)
	v_mul_lo_u32 v15, v14, s5
	v_mul_lo_u32 v14, v14, s4
	s_cbranch_scc1 .LBB85_128
; %bb.127:
	s_clause 0x1
	s_load_b96 s[0:2], s[12:13], 0x10
	s_load_b64 s[4:5], s[12:13], 0xcc
	s_wait_kmcnt 0x0
	v_mul_hi_u32 v16, s1, v17
	s_delay_alu instid0(VALU_DEP_1) | instskip(NEXT) | instid1(VALU_DEP_1)
	v_add_nc_u32_e32 v16, v17, v16
	v_lshrrev_b32_e32 v16, s2, v16
	s_delay_alu instid0(VALU_DEP_1) | instskip(NEXT) | instid1(VALU_DEP_1)
	v_mul_lo_u32 v16, v16, s0
	v_sub_nc_u32_e32 v16, v17, v16
	s_delay_alu instid0(VALU_DEP_1)
	v_mad_u32 v14, v16, s4, v14
	v_mad_u32 v15, v16, s5, v15
.LBB85_128:
	s_load_b128 s[0:3], s[12:13], 0x148
	s_wait_kmcnt 0x0
	s_clause 0x7
	global_load_u16 v16, v3, s[2:3]
	global_load_u16 v17, v5, s[2:3]
	;; [unrolled: 1-line block ×8, first 2 shown]
	s_wait_loadcnt 0x7
	v_cmp_eq_f16_e32 vcc_lo, 0xfc00, v16
	s_wait_xcnt 0x1
	v_cndmask_b32_e64 v1, 0, 1, vcc_lo
	s_wait_loadcnt 0x6
	v_cmp_eq_f16_e32 vcc_lo, 0xfc00, v17
	v_cndmask_b32_e64 v3, 0, 1, vcc_lo
	s_wait_loadcnt 0x5
	v_cmp_eq_f16_e32 vcc_lo, 0xfc00, v18
	;; [unrolled: 3-line block ×7, first 2 shown]
	s_wait_xcnt 0x0
	v_cndmask_b32_e64 v15, 0, 1, vcc_lo
	s_clause 0x7
	global_store_b8 v2, v1, s[0:1]
	global_store_b8 v4, v3, s[0:1]
	;; [unrolled: 1-line block ×8, first 2 shown]
	s_endpgm
.LBB85_129:
	v_dual_mov_b32 v3, 0 :: v_dual_mov_b32 v2, 0
	s_branch .LBB85_135
.LBB85_130:
	v_dual_mov_b32 v3, 0 :: v_dual_mov_b32 v2, 0
	s_branch .LBB85_151
.LBB85_131:
	v_mov_b64_e32 v[2:3], 0
	v_mov_b32_e32 v1, v0
	s_mov_b32 s22, 0
.LBB85_132:
	s_and_b32 s14, s14, 3
	s_mov_b32 s23, 0
	s_cmp_eq_u32 s14, 0
	s_cbranch_scc1 .LBB85_135
; %bb.133:
	s_lshl_b32 s24, s22, 3
	s_mov_b32 s25, s23
	s_mul_u64 s[26:27], s[22:23], 12
	s_add_nc_u64 s[24:25], s[12:13], s[24:25]
	s_delay_alu instid0(SALU_CYCLE_1)
	s_add_nc_u64 s[22:23], s[24:25], 0xc4
	s_add_nc_u64 s[24:25], s[12:13], s[26:27]
.LBB85_134:                             ; =>This Inner Loop Header: Depth=1
	s_load_b96 s[40:42], s[24:25], 0x4
	s_load_b64 s[26:27], s[22:23], 0x0
	s_add_co_i32 s14, s14, -1
	s_wait_xcnt 0x0
	s_add_nc_u64 s[24:25], s[24:25], 12
	s_cmp_lg_u32 s14, 0
	s_add_nc_u64 s[22:23], s[22:23], 8
	s_wait_kmcnt 0x0
	v_mul_hi_u32 v4, s41, v1
	s_delay_alu instid0(VALU_DEP_1) | instskip(NEXT) | instid1(VALU_DEP_1)
	v_add_nc_u32_e32 v4, v1, v4
	v_lshrrev_b32_e32 v4, s42, v4
	s_delay_alu instid0(VALU_DEP_1) | instskip(NEXT) | instid1(VALU_DEP_1)
	v_mul_lo_u32 v5, v4, s40
	v_sub_nc_u32_e32 v1, v1, v5
	s_delay_alu instid0(VALU_DEP_1)
	v_mad_u32 v3, v1, s27, v3
	v_mad_u32 v2, v1, s26, v2
	v_mov_b32_e32 v1, v4
	s_cbranch_scc1 .LBB85_134
.LBB85_135:
	s_cbranch_execnz .LBB85_138
.LBB85_136:
	v_mov_b32_e32 v1, 0
	s_and_not1_b32 vcc_lo, exec_lo, s33
	s_delay_alu instid0(VALU_DEP_1) | instskip(NEXT) | instid1(VALU_DEP_1)
	v_mul_u64_e32 v[2:3], s[16:17], v[0:1]
	v_add_nc_u32_e32 v2, v0, v3
	s_delay_alu instid0(VALU_DEP_1) | instskip(NEXT) | instid1(VALU_DEP_1)
	v_lshrrev_b32_e32 v4, s6, v2
	v_mul_lo_u32 v2, v4, s4
	s_delay_alu instid0(VALU_DEP_1) | instskip(NEXT) | instid1(VALU_DEP_1)
	v_sub_nc_u32_e32 v2, v0, v2
	v_mul_lo_u32 v3, v2, s9
	v_mul_lo_u32 v2, v2, s8
	s_cbranch_vccnz .LBB85_138
; %bb.137:
	v_mov_b32_e32 v5, v1
	s_delay_alu instid0(VALU_DEP_1) | instskip(NEXT) | instid1(VALU_DEP_1)
	v_mul_u64_e32 v[6:7], s[18:19], v[4:5]
	v_add_nc_u32_e32 v1, v4, v7
	s_delay_alu instid0(VALU_DEP_1) | instskip(NEXT) | instid1(VALU_DEP_1)
	v_lshrrev_b32_e32 v1, s15, v1
	v_mul_lo_u32 v1, v1, s7
	s_delay_alu instid0(VALU_DEP_1) | instskip(NEXT) | instid1(VALU_DEP_1)
	v_sub_nc_u32_e32 v1, v4, v1
	v_mad_u32 v2, v1, s10, v2
	v_mad_u32 v3, v1, s11, v3
.LBB85_138:
	global_load_u16 v1, v3, s[2:3]
	v_add_nc_u32_e32 v0, 0x80, v0
	s_wait_loadcnt 0x0
	v_cmp_eq_f16_e32 vcc_lo, 0xfc00, v1
	v_cndmask_b32_e64 v1, 0, 1, vcc_lo
	global_store_b8 v2, v1, s[0:1]
	s_wait_xcnt 0x0
	s_or_b32 exec_lo, exec_lo, s5
	s_delay_alu instid0(SALU_CYCLE_1)
	s_mov_b32 s5, exec_lo
	v_cmpx_gt_i32_e64 s34, v0
	s_cbranch_execnz .LBB85_15
.LBB85_139:
	s_or_b32 exec_lo, exec_lo, s5
	s_delay_alu instid0(SALU_CYCLE_1)
	s_mov_b32 s5, exec_lo
	v_cmpx_gt_i32_e64 s34, v0
	s_cbranch_execz .LBB85_155
.LBB85_140:
	s_and_not1_b32 vcc_lo, exec_lo, s30
	s_cbranch_vccnz .LBB85_145
; %bb.141:
	s_and_not1_b32 vcc_lo, exec_lo, s36
	s_cbranch_vccnz .LBB85_146
; %bb.142:
	s_add_co_i32 s14, s35, 1
	s_cmp_eq_u32 s29, 2
	s_cbranch_scc1 .LBB85_163
; %bb.143:
	v_dual_mov_b32 v2, 0 :: v_dual_mov_b32 v3, 0
	v_mov_b32_e32 v1, v0
	s_and_b32 s22, s14, 28
	s_mov_b32 s23, 0
	s_mov_b64 s[24:25], s[12:13]
	s_mov_b64 s[26:27], s[20:21]
.LBB85_144:                             ; =>This Inner Loop Header: Depth=1
	s_clause 0x1
	s_load_b256 s[40:47], s[24:25], 0x4
	s_load_b128 s[56:59], s[24:25], 0x24
	s_load_b256 s[48:55], s[26:27], 0x0
	s_add_co_i32 s23, s23, 4
	s_wait_xcnt 0x0
	s_add_nc_u64 s[24:25], s[24:25], 48
	s_cmp_eq_u32 s22, s23
	s_add_nc_u64 s[26:27], s[26:27], 32
	s_wait_kmcnt 0x0
	v_mul_hi_u32 v4, s41, v1
	s_delay_alu instid0(VALU_DEP_1) | instskip(NEXT) | instid1(VALU_DEP_1)
	v_add_nc_u32_e32 v4, v1, v4
	v_lshrrev_b32_e32 v4, s42, v4
	s_delay_alu instid0(VALU_DEP_1) | instskip(NEXT) | instid1(VALU_DEP_1)
	v_mul_hi_u32 v5, s44, v4
	v_add_nc_u32_e32 v5, v4, v5
	s_delay_alu instid0(VALU_DEP_1) | instskip(NEXT) | instid1(VALU_DEP_1)
	v_lshrrev_b32_e32 v5, s45, v5
	v_mul_hi_u32 v6, s47, v5
	s_delay_alu instid0(VALU_DEP_1) | instskip(SKIP_1) | instid1(VALU_DEP_1)
	v_add_nc_u32_e32 v6, v5, v6
	v_mul_lo_u32 v7, v4, s40
	v_sub_nc_u32_e32 v1, v1, v7
	v_mul_lo_u32 v7, v5, s43
	s_delay_alu instid0(VALU_DEP_4) | instskip(NEXT) | instid1(VALU_DEP_3)
	v_lshrrev_b32_e32 v6, s56, v6
	v_mad_u32 v3, v1, s49, v3
	v_mad_u32 v1, v1, s48, v2
	s_delay_alu instid0(VALU_DEP_4) | instskip(NEXT) | instid1(VALU_DEP_4)
	v_sub_nc_u32_e32 v2, v4, v7
	v_mul_hi_u32 v8, s58, v6
	v_mul_lo_u32 v4, v6, s46
	s_delay_alu instid0(VALU_DEP_3) | instskip(SKIP_1) | instid1(VALU_DEP_4)
	v_mad_u32 v3, v2, s51, v3
	v_mad_u32 v2, v2, s50, v1
	v_add_nc_u32_e32 v7, v6, v8
	s_delay_alu instid0(VALU_DEP_1) | instskip(NEXT) | instid1(VALU_DEP_1)
	v_dual_sub_nc_u32 v4, v5, v4 :: v_dual_lshrrev_b32 v1, s59, v7
	v_mad_u32 v3, v4, s53, v3
	s_delay_alu instid0(VALU_DEP_4) | instskip(NEXT) | instid1(VALU_DEP_3)
	v_mad_u32 v2, v4, s52, v2
	v_mul_lo_u32 v5, v1, s57
	s_delay_alu instid0(VALU_DEP_1) | instskip(NEXT) | instid1(VALU_DEP_1)
	v_sub_nc_u32_e32 v4, v6, v5
	v_mad_u32 v3, v4, s55, v3
	s_delay_alu instid0(VALU_DEP_4)
	v_mad_u32 v2, v4, s54, v2
	s_cbranch_scc0 .LBB85_144
	s_branch .LBB85_164
.LBB85_145:
                                        ; implicit-def: $vgpr3
	s_branch .LBB85_168
.LBB85_146:
	v_dual_mov_b32 v3, 0 :: v_dual_mov_b32 v2, 0
	s_branch .LBB85_167
.LBB85_147:
	v_mov_b64_e32 v[2:3], 0
	v_mov_b32_e32 v1, v0
	s_mov_b32 s22, 0
.LBB85_148:
	s_and_b32 s14, s14, 3
	s_mov_b32 s23, 0
	s_cmp_eq_u32 s14, 0
	s_cbranch_scc1 .LBB85_151
; %bb.149:
	s_lshl_b32 s24, s22, 3
	s_mov_b32 s25, s23
	s_mul_u64 s[26:27], s[22:23], 12
	s_add_nc_u64 s[24:25], s[12:13], s[24:25]
	s_delay_alu instid0(SALU_CYCLE_1)
	s_add_nc_u64 s[22:23], s[24:25], 0xc4
	s_add_nc_u64 s[24:25], s[12:13], s[26:27]
.LBB85_150:                             ; =>This Inner Loop Header: Depth=1
	s_load_b96 s[40:42], s[24:25], 0x4
	s_load_b64 s[26:27], s[22:23], 0x0
	s_add_co_i32 s14, s14, -1
	s_wait_xcnt 0x0
	s_add_nc_u64 s[24:25], s[24:25], 12
	s_cmp_lg_u32 s14, 0
	s_add_nc_u64 s[22:23], s[22:23], 8
	s_wait_kmcnt 0x0
	v_mul_hi_u32 v4, s41, v1
	s_delay_alu instid0(VALU_DEP_1) | instskip(NEXT) | instid1(VALU_DEP_1)
	v_add_nc_u32_e32 v4, v1, v4
	v_lshrrev_b32_e32 v4, s42, v4
	s_delay_alu instid0(VALU_DEP_1) | instskip(NEXT) | instid1(VALU_DEP_1)
	v_mul_lo_u32 v5, v4, s40
	v_sub_nc_u32_e32 v1, v1, v5
	s_delay_alu instid0(VALU_DEP_1)
	v_mad_u32 v3, v1, s27, v3
	v_mad_u32 v2, v1, s26, v2
	v_mov_b32_e32 v1, v4
	s_cbranch_scc1 .LBB85_150
.LBB85_151:
	s_cbranch_execnz .LBB85_154
.LBB85_152:
	v_mov_b32_e32 v1, 0
	s_and_not1_b32 vcc_lo, exec_lo, s33
	s_delay_alu instid0(VALU_DEP_1) | instskip(NEXT) | instid1(VALU_DEP_1)
	v_mul_u64_e32 v[2:3], s[16:17], v[0:1]
	v_add_nc_u32_e32 v2, v0, v3
	s_delay_alu instid0(VALU_DEP_1) | instskip(NEXT) | instid1(VALU_DEP_1)
	v_lshrrev_b32_e32 v4, s6, v2
	v_mul_lo_u32 v2, v4, s4
	s_delay_alu instid0(VALU_DEP_1) | instskip(NEXT) | instid1(VALU_DEP_1)
	v_sub_nc_u32_e32 v2, v0, v2
	v_mul_lo_u32 v3, v2, s9
	v_mul_lo_u32 v2, v2, s8
	s_cbranch_vccnz .LBB85_154
; %bb.153:
	v_mov_b32_e32 v5, v1
	s_delay_alu instid0(VALU_DEP_1) | instskip(NEXT) | instid1(VALU_DEP_1)
	v_mul_u64_e32 v[6:7], s[18:19], v[4:5]
	v_add_nc_u32_e32 v1, v4, v7
	s_delay_alu instid0(VALU_DEP_1) | instskip(NEXT) | instid1(VALU_DEP_1)
	v_lshrrev_b32_e32 v1, s15, v1
	v_mul_lo_u32 v1, v1, s7
	s_delay_alu instid0(VALU_DEP_1) | instskip(NEXT) | instid1(VALU_DEP_1)
	v_sub_nc_u32_e32 v1, v4, v1
	v_mad_u32 v2, v1, s10, v2
	v_mad_u32 v3, v1, s11, v3
.LBB85_154:
	global_load_u16 v1, v3, s[2:3]
	v_add_nc_u32_e32 v0, 0x80, v0
	s_wait_loadcnt 0x0
	v_cmp_eq_f16_e32 vcc_lo, 0xfc00, v1
	v_cndmask_b32_e64 v1, 0, 1, vcc_lo
	global_store_b8 v2, v1, s[0:1]
	s_wait_xcnt 0x0
	s_or_b32 exec_lo, exec_lo, s5
	s_delay_alu instid0(SALU_CYCLE_1)
	s_mov_b32 s5, exec_lo
	v_cmpx_gt_i32_e64 s34, v0
	s_cbranch_execnz .LBB85_140
.LBB85_155:
	s_or_b32 exec_lo, exec_lo, s5
	s_delay_alu instid0(SALU_CYCLE_1)
	s_mov_b32 s5, exec_lo
	v_cmpx_gt_i32_e64 s34, v0
	s_cbranch_execz .LBB85_171
.LBB85_156:
	s_and_not1_b32 vcc_lo, exec_lo, s30
	s_cbranch_vccnz .LBB85_161
; %bb.157:
	s_and_not1_b32 vcc_lo, exec_lo, s36
	s_cbranch_vccnz .LBB85_162
; %bb.158:
	s_add_co_i32 s14, s35, 1
	s_cmp_eq_u32 s29, 2
	s_cbranch_scc1 .LBB85_179
; %bb.159:
	v_dual_mov_b32 v2, 0 :: v_dual_mov_b32 v3, 0
	v_mov_b32_e32 v1, v0
	s_and_b32 s22, s14, 28
	s_mov_b32 s23, 0
	s_mov_b64 s[24:25], s[12:13]
	s_mov_b64 s[26:27], s[20:21]
.LBB85_160:                             ; =>This Inner Loop Header: Depth=1
	s_clause 0x1
	s_load_b256 s[40:47], s[24:25], 0x4
	s_load_b128 s[56:59], s[24:25], 0x24
	s_load_b256 s[48:55], s[26:27], 0x0
	s_add_co_i32 s23, s23, 4
	s_wait_xcnt 0x0
	s_add_nc_u64 s[24:25], s[24:25], 48
	s_cmp_eq_u32 s22, s23
	s_add_nc_u64 s[26:27], s[26:27], 32
	s_wait_kmcnt 0x0
	v_mul_hi_u32 v4, s41, v1
	s_delay_alu instid0(VALU_DEP_1) | instskip(NEXT) | instid1(VALU_DEP_1)
	v_add_nc_u32_e32 v4, v1, v4
	v_lshrrev_b32_e32 v4, s42, v4
	s_delay_alu instid0(VALU_DEP_1) | instskip(NEXT) | instid1(VALU_DEP_1)
	v_mul_hi_u32 v5, s44, v4
	v_add_nc_u32_e32 v5, v4, v5
	s_delay_alu instid0(VALU_DEP_1) | instskip(NEXT) | instid1(VALU_DEP_1)
	v_lshrrev_b32_e32 v5, s45, v5
	v_mul_hi_u32 v6, s47, v5
	s_delay_alu instid0(VALU_DEP_1) | instskip(SKIP_1) | instid1(VALU_DEP_1)
	v_add_nc_u32_e32 v6, v5, v6
	v_mul_lo_u32 v7, v4, s40
	v_sub_nc_u32_e32 v1, v1, v7
	v_mul_lo_u32 v7, v5, s43
	s_delay_alu instid0(VALU_DEP_4) | instskip(NEXT) | instid1(VALU_DEP_3)
	v_lshrrev_b32_e32 v6, s56, v6
	v_mad_u32 v3, v1, s49, v3
	v_mad_u32 v1, v1, s48, v2
	s_delay_alu instid0(VALU_DEP_4) | instskip(NEXT) | instid1(VALU_DEP_4)
	v_sub_nc_u32_e32 v2, v4, v7
	v_mul_hi_u32 v8, s58, v6
	v_mul_lo_u32 v4, v6, s46
	s_delay_alu instid0(VALU_DEP_3) | instskip(SKIP_1) | instid1(VALU_DEP_4)
	v_mad_u32 v3, v2, s51, v3
	v_mad_u32 v2, v2, s50, v1
	v_add_nc_u32_e32 v7, v6, v8
	s_delay_alu instid0(VALU_DEP_1) | instskip(NEXT) | instid1(VALU_DEP_1)
	v_dual_sub_nc_u32 v4, v5, v4 :: v_dual_lshrrev_b32 v1, s59, v7
	v_mad_u32 v3, v4, s53, v3
	s_delay_alu instid0(VALU_DEP_4) | instskip(NEXT) | instid1(VALU_DEP_3)
	v_mad_u32 v2, v4, s52, v2
	v_mul_lo_u32 v5, v1, s57
	s_delay_alu instid0(VALU_DEP_1) | instskip(NEXT) | instid1(VALU_DEP_1)
	v_sub_nc_u32_e32 v4, v6, v5
	v_mad_u32 v3, v4, s55, v3
	s_delay_alu instid0(VALU_DEP_4)
	v_mad_u32 v2, v4, s54, v2
	s_cbranch_scc0 .LBB85_160
	s_branch .LBB85_180
.LBB85_161:
                                        ; implicit-def: $vgpr3
	s_branch .LBB85_184
.LBB85_162:
	v_dual_mov_b32 v3, 0 :: v_dual_mov_b32 v2, 0
	s_branch .LBB85_183
.LBB85_163:
	v_mov_b64_e32 v[2:3], 0
	v_mov_b32_e32 v1, v0
	s_mov_b32 s22, 0
.LBB85_164:
	s_and_b32 s14, s14, 3
	s_mov_b32 s23, 0
	s_cmp_eq_u32 s14, 0
	s_cbranch_scc1 .LBB85_167
; %bb.165:
	s_lshl_b32 s24, s22, 3
	s_mov_b32 s25, s23
	s_mul_u64 s[26:27], s[22:23], 12
	s_add_nc_u64 s[24:25], s[12:13], s[24:25]
	s_delay_alu instid0(SALU_CYCLE_1)
	s_add_nc_u64 s[22:23], s[24:25], 0xc4
	s_add_nc_u64 s[24:25], s[12:13], s[26:27]
.LBB85_166:                             ; =>This Inner Loop Header: Depth=1
	s_load_b96 s[40:42], s[24:25], 0x4
	s_load_b64 s[26:27], s[22:23], 0x0
	s_add_co_i32 s14, s14, -1
	s_wait_xcnt 0x0
	s_add_nc_u64 s[24:25], s[24:25], 12
	s_cmp_lg_u32 s14, 0
	s_add_nc_u64 s[22:23], s[22:23], 8
	s_wait_kmcnt 0x0
	v_mul_hi_u32 v4, s41, v1
	s_delay_alu instid0(VALU_DEP_1) | instskip(NEXT) | instid1(VALU_DEP_1)
	v_add_nc_u32_e32 v4, v1, v4
	v_lshrrev_b32_e32 v4, s42, v4
	s_delay_alu instid0(VALU_DEP_1) | instskip(NEXT) | instid1(VALU_DEP_1)
	v_mul_lo_u32 v5, v4, s40
	v_sub_nc_u32_e32 v1, v1, v5
	s_delay_alu instid0(VALU_DEP_1)
	v_mad_u32 v3, v1, s27, v3
	v_mad_u32 v2, v1, s26, v2
	v_mov_b32_e32 v1, v4
	s_cbranch_scc1 .LBB85_166
.LBB85_167:
	s_cbranch_execnz .LBB85_170
.LBB85_168:
	v_mov_b32_e32 v1, 0
	s_and_not1_b32 vcc_lo, exec_lo, s33
	s_delay_alu instid0(VALU_DEP_1) | instskip(NEXT) | instid1(VALU_DEP_1)
	v_mul_u64_e32 v[2:3], s[16:17], v[0:1]
	v_add_nc_u32_e32 v2, v0, v3
	s_delay_alu instid0(VALU_DEP_1) | instskip(NEXT) | instid1(VALU_DEP_1)
	v_lshrrev_b32_e32 v4, s6, v2
	v_mul_lo_u32 v2, v4, s4
	s_delay_alu instid0(VALU_DEP_1) | instskip(NEXT) | instid1(VALU_DEP_1)
	v_sub_nc_u32_e32 v2, v0, v2
	v_mul_lo_u32 v3, v2, s9
	v_mul_lo_u32 v2, v2, s8
	s_cbranch_vccnz .LBB85_170
; %bb.169:
	v_mov_b32_e32 v5, v1
	s_delay_alu instid0(VALU_DEP_1) | instskip(NEXT) | instid1(VALU_DEP_1)
	v_mul_u64_e32 v[6:7], s[18:19], v[4:5]
	v_add_nc_u32_e32 v1, v4, v7
	s_delay_alu instid0(VALU_DEP_1) | instskip(NEXT) | instid1(VALU_DEP_1)
	v_lshrrev_b32_e32 v1, s15, v1
	v_mul_lo_u32 v1, v1, s7
	s_delay_alu instid0(VALU_DEP_1) | instskip(NEXT) | instid1(VALU_DEP_1)
	v_sub_nc_u32_e32 v1, v4, v1
	v_mad_u32 v2, v1, s10, v2
	v_mad_u32 v3, v1, s11, v3
.LBB85_170:
	global_load_u16 v1, v3, s[2:3]
	v_add_nc_u32_e32 v0, 0x80, v0
	s_wait_loadcnt 0x0
	v_cmp_eq_f16_e32 vcc_lo, 0xfc00, v1
	v_cndmask_b32_e64 v1, 0, 1, vcc_lo
	global_store_b8 v2, v1, s[0:1]
	s_wait_xcnt 0x0
	s_or_b32 exec_lo, exec_lo, s5
	s_delay_alu instid0(SALU_CYCLE_1)
	s_mov_b32 s5, exec_lo
	v_cmpx_gt_i32_e64 s34, v0
	s_cbranch_execnz .LBB85_156
.LBB85_171:
	s_or_b32 exec_lo, exec_lo, s5
	s_delay_alu instid0(SALU_CYCLE_1)
	s_mov_b32 s5, exec_lo
	v_cmpx_gt_i32_e64 s34, v0
	s_cbranch_execz .LBB85_187
.LBB85_172:
	s_and_not1_b32 vcc_lo, exec_lo, s30
	s_cbranch_vccnz .LBB85_177
; %bb.173:
	s_and_not1_b32 vcc_lo, exec_lo, s36
	s_cbranch_vccnz .LBB85_178
; %bb.174:
	s_add_co_i32 s14, s35, 1
	s_cmp_eq_u32 s29, 2
	s_cbranch_scc1 .LBB85_195
; %bb.175:
	v_dual_mov_b32 v2, 0 :: v_dual_mov_b32 v3, 0
	v_mov_b32_e32 v1, v0
	s_and_b32 s22, s14, 28
	s_mov_b32 s23, 0
	s_mov_b64 s[24:25], s[12:13]
	s_mov_b64 s[26:27], s[20:21]
.LBB85_176:                             ; =>This Inner Loop Header: Depth=1
	s_clause 0x1
	s_load_b256 s[40:47], s[24:25], 0x4
	s_load_b128 s[56:59], s[24:25], 0x24
	s_load_b256 s[48:55], s[26:27], 0x0
	s_add_co_i32 s23, s23, 4
	s_wait_xcnt 0x0
	s_add_nc_u64 s[24:25], s[24:25], 48
	s_cmp_eq_u32 s22, s23
	s_add_nc_u64 s[26:27], s[26:27], 32
	s_wait_kmcnt 0x0
	v_mul_hi_u32 v4, s41, v1
	s_delay_alu instid0(VALU_DEP_1) | instskip(NEXT) | instid1(VALU_DEP_1)
	v_add_nc_u32_e32 v4, v1, v4
	v_lshrrev_b32_e32 v4, s42, v4
	s_delay_alu instid0(VALU_DEP_1) | instskip(NEXT) | instid1(VALU_DEP_1)
	v_mul_hi_u32 v5, s44, v4
	v_add_nc_u32_e32 v5, v4, v5
	s_delay_alu instid0(VALU_DEP_1) | instskip(NEXT) | instid1(VALU_DEP_1)
	v_lshrrev_b32_e32 v5, s45, v5
	v_mul_hi_u32 v6, s47, v5
	s_delay_alu instid0(VALU_DEP_1) | instskip(SKIP_1) | instid1(VALU_DEP_1)
	v_add_nc_u32_e32 v6, v5, v6
	v_mul_lo_u32 v7, v4, s40
	v_sub_nc_u32_e32 v1, v1, v7
	v_mul_lo_u32 v7, v5, s43
	s_delay_alu instid0(VALU_DEP_4) | instskip(NEXT) | instid1(VALU_DEP_3)
	v_lshrrev_b32_e32 v6, s56, v6
	v_mad_u32 v3, v1, s49, v3
	v_mad_u32 v1, v1, s48, v2
	s_delay_alu instid0(VALU_DEP_4) | instskip(NEXT) | instid1(VALU_DEP_4)
	v_sub_nc_u32_e32 v2, v4, v7
	v_mul_hi_u32 v8, s58, v6
	v_mul_lo_u32 v4, v6, s46
	s_delay_alu instid0(VALU_DEP_3) | instskip(SKIP_1) | instid1(VALU_DEP_4)
	v_mad_u32 v3, v2, s51, v3
	v_mad_u32 v2, v2, s50, v1
	v_add_nc_u32_e32 v7, v6, v8
	s_delay_alu instid0(VALU_DEP_1) | instskip(NEXT) | instid1(VALU_DEP_1)
	v_dual_sub_nc_u32 v4, v5, v4 :: v_dual_lshrrev_b32 v1, s59, v7
	v_mad_u32 v3, v4, s53, v3
	s_delay_alu instid0(VALU_DEP_4) | instskip(NEXT) | instid1(VALU_DEP_3)
	v_mad_u32 v2, v4, s52, v2
	v_mul_lo_u32 v5, v1, s57
	s_delay_alu instid0(VALU_DEP_1) | instskip(NEXT) | instid1(VALU_DEP_1)
	v_sub_nc_u32_e32 v4, v6, v5
	v_mad_u32 v3, v4, s55, v3
	s_delay_alu instid0(VALU_DEP_4)
	v_mad_u32 v2, v4, s54, v2
	s_cbranch_scc0 .LBB85_176
	s_branch .LBB85_196
.LBB85_177:
                                        ; implicit-def: $vgpr3
	s_branch .LBB85_200
.LBB85_178:
	v_dual_mov_b32 v3, 0 :: v_dual_mov_b32 v2, 0
	s_branch .LBB85_199
.LBB85_179:
	v_mov_b64_e32 v[2:3], 0
	v_mov_b32_e32 v1, v0
	s_mov_b32 s22, 0
.LBB85_180:
	s_and_b32 s14, s14, 3
	s_mov_b32 s23, 0
	s_cmp_eq_u32 s14, 0
	s_cbranch_scc1 .LBB85_183
; %bb.181:
	s_lshl_b32 s24, s22, 3
	s_mov_b32 s25, s23
	s_mul_u64 s[26:27], s[22:23], 12
	s_add_nc_u64 s[24:25], s[12:13], s[24:25]
	s_delay_alu instid0(SALU_CYCLE_1)
	s_add_nc_u64 s[22:23], s[24:25], 0xc4
	s_add_nc_u64 s[24:25], s[12:13], s[26:27]
.LBB85_182:                             ; =>This Inner Loop Header: Depth=1
	s_load_b96 s[40:42], s[24:25], 0x4
	s_load_b64 s[26:27], s[22:23], 0x0
	s_add_co_i32 s14, s14, -1
	s_wait_xcnt 0x0
	s_add_nc_u64 s[24:25], s[24:25], 12
	s_cmp_lg_u32 s14, 0
	s_add_nc_u64 s[22:23], s[22:23], 8
	s_wait_kmcnt 0x0
	v_mul_hi_u32 v4, s41, v1
	s_delay_alu instid0(VALU_DEP_1) | instskip(NEXT) | instid1(VALU_DEP_1)
	v_add_nc_u32_e32 v4, v1, v4
	v_lshrrev_b32_e32 v4, s42, v4
	s_delay_alu instid0(VALU_DEP_1) | instskip(NEXT) | instid1(VALU_DEP_1)
	v_mul_lo_u32 v5, v4, s40
	v_sub_nc_u32_e32 v1, v1, v5
	s_delay_alu instid0(VALU_DEP_1)
	v_mad_u32 v3, v1, s27, v3
	v_mad_u32 v2, v1, s26, v2
	v_mov_b32_e32 v1, v4
	s_cbranch_scc1 .LBB85_182
.LBB85_183:
	s_cbranch_execnz .LBB85_186
.LBB85_184:
	v_mov_b32_e32 v1, 0
	s_and_not1_b32 vcc_lo, exec_lo, s33
	s_delay_alu instid0(VALU_DEP_1) | instskip(NEXT) | instid1(VALU_DEP_1)
	v_mul_u64_e32 v[2:3], s[16:17], v[0:1]
	v_add_nc_u32_e32 v2, v0, v3
	s_delay_alu instid0(VALU_DEP_1) | instskip(NEXT) | instid1(VALU_DEP_1)
	v_lshrrev_b32_e32 v4, s6, v2
	v_mul_lo_u32 v2, v4, s4
	s_delay_alu instid0(VALU_DEP_1) | instskip(NEXT) | instid1(VALU_DEP_1)
	v_sub_nc_u32_e32 v2, v0, v2
	v_mul_lo_u32 v3, v2, s9
	v_mul_lo_u32 v2, v2, s8
	s_cbranch_vccnz .LBB85_186
; %bb.185:
	v_mov_b32_e32 v5, v1
	s_delay_alu instid0(VALU_DEP_1) | instskip(NEXT) | instid1(VALU_DEP_1)
	v_mul_u64_e32 v[6:7], s[18:19], v[4:5]
	v_add_nc_u32_e32 v1, v4, v7
	s_delay_alu instid0(VALU_DEP_1) | instskip(NEXT) | instid1(VALU_DEP_1)
	v_lshrrev_b32_e32 v1, s15, v1
	v_mul_lo_u32 v1, v1, s7
	s_delay_alu instid0(VALU_DEP_1) | instskip(NEXT) | instid1(VALU_DEP_1)
	v_sub_nc_u32_e32 v1, v4, v1
	v_mad_u32 v2, v1, s10, v2
	v_mad_u32 v3, v1, s11, v3
.LBB85_186:
	global_load_u16 v1, v3, s[2:3]
	v_add_nc_u32_e32 v0, 0x80, v0
	s_wait_loadcnt 0x0
	v_cmp_eq_f16_e32 vcc_lo, 0xfc00, v1
	v_cndmask_b32_e64 v1, 0, 1, vcc_lo
	global_store_b8 v2, v1, s[0:1]
	s_wait_xcnt 0x0
	s_or_b32 exec_lo, exec_lo, s5
	s_delay_alu instid0(SALU_CYCLE_1)
	s_mov_b32 s5, exec_lo
	v_cmpx_gt_i32_e64 s34, v0
	s_cbranch_execnz .LBB85_172
.LBB85_187:
	s_or_b32 exec_lo, exec_lo, s5
	s_delay_alu instid0(SALU_CYCLE_1)
	s_mov_b32 s5, exec_lo
	v_cmpx_gt_i32_e64 s34, v0
	s_cbranch_execz .LBB85_203
.LBB85_188:
	s_and_not1_b32 vcc_lo, exec_lo, s30
	s_cbranch_vccnz .LBB85_193
; %bb.189:
	s_and_not1_b32 vcc_lo, exec_lo, s36
	s_cbranch_vccnz .LBB85_194
; %bb.190:
	s_add_co_i32 s14, s35, 1
	s_cmp_eq_u32 s29, 2
	s_cbranch_scc1 .LBB85_211
; %bb.191:
	v_dual_mov_b32 v2, 0 :: v_dual_mov_b32 v3, 0
	v_mov_b32_e32 v1, v0
	s_and_b32 s22, s14, 28
	s_mov_b32 s23, 0
	s_mov_b64 s[24:25], s[12:13]
	s_mov_b64 s[26:27], s[20:21]
.LBB85_192:                             ; =>This Inner Loop Header: Depth=1
	s_clause 0x1
	s_load_b256 s[40:47], s[24:25], 0x4
	s_load_b128 s[56:59], s[24:25], 0x24
	s_load_b256 s[48:55], s[26:27], 0x0
	s_add_co_i32 s23, s23, 4
	s_wait_xcnt 0x0
	s_add_nc_u64 s[24:25], s[24:25], 48
	s_cmp_eq_u32 s22, s23
	s_add_nc_u64 s[26:27], s[26:27], 32
	s_wait_kmcnt 0x0
	v_mul_hi_u32 v4, s41, v1
	s_delay_alu instid0(VALU_DEP_1) | instskip(NEXT) | instid1(VALU_DEP_1)
	v_add_nc_u32_e32 v4, v1, v4
	v_lshrrev_b32_e32 v4, s42, v4
	s_delay_alu instid0(VALU_DEP_1) | instskip(NEXT) | instid1(VALU_DEP_1)
	v_mul_hi_u32 v5, s44, v4
	v_add_nc_u32_e32 v5, v4, v5
	s_delay_alu instid0(VALU_DEP_1) | instskip(NEXT) | instid1(VALU_DEP_1)
	v_lshrrev_b32_e32 v5, s45, v5
	v_mul_hi_u32 v6, s47, v5
	s_delay_alu instid0(VALU_DEP_1) | instskip(SKIP_1) | instid1(VALU_DEP_1)
	v_add_nc_u32_e32 v6, v5, v6
	v_mul_lo_u32 v7, v4, s40
	v_sub_nc_u32_e32 v1, v1, v7
	v_mul_lo_u32 v7, v5, s43
	s_delay_alu instid0(VALU_DEP_4) | instskip(NEXT) | instid1(VALU_DEP_3)
	v_lshrrev_b32_e32 v6, s56, v6
	v_mad_u32 v3, v1, s49, v3
	v_mad_u32 v1, v1, s48, v2
	s_delay_alu instid0(VALU_DEP_4) | instskip(NEXT) | instid1(VALU_DEP_4)
	v_sub_nc_u32_e32 v2, v4, v7
	v_mul_hi_u32 v8, s58, v6
	v_mul_lo_u32 v4, v6, s46
	s_delay_alu instid0(VALU_DEP_3) | instskip(SKIP_1) | instid1(VALU_DEP_4)
	v_mad_u32 v3, v2, s51, v3
	v_mad_u32 v2, v2, s50, v1
	v_add_nc_u32_e32 v7, v6, v8
	s_delay_alu instid0(VALU_DEP_1) | instskip(NEXT) | instid1(VALU_DEP_1)
	v_dual_sub_nc_u32 v4, v5, v4 :: v_dual_lshrrev_b32 v1, s59, v7
	v_mad_u32 v3, v4, s53, v3
	s_delay_alu instid0(VALU_DEP_4) | instskip(NEXT) | instid1(VALU_DEP_3)
	v_mad_u32 v2, v4, s52, v2
	v_mul_lo_u32 v5, v1, s57
	s_delay_alu instid0(VALU_DEP_1) | instskip(NEXT) | instid1(VALU_DEP_1)
	v_sub_nc_u32_e32 v4, v6, v5
	v_mad_u32 v3, v4, s55, v3
	s_delay_alu instid0(VALU_DEP_4)
	v_mad_u32 v2, v4, s54, v2
	s_cbranch_scc0 .LBB85_192
	s_branch .LBB85_212
.LBB85_193:
                                        ; implicit-def: $vgpr3
	s_branch .LBB85_216
.LBB85_194:
	v_dual_mov_b32 v3, 0 :: v_dual_mov_b32 v2, 0
	s_branch .LBB85_215
.LBB85_195:
	v_mov_b64_e32 v[2:3], 0
	v_mov_b32_e32 v1, v0
	s_mov_b32 s22, 0
.LBB85_196:
	s_and_b32 s14, s14, 3
	s_mov_b32 s23, 0
	s_cmp_eq_u32 s14, 0
	s_cbranch_scc1 .LBB85_199
; %bb.197:
	s_lshl_b32 s24, s22, 3
	s_mov_b32 s25, s23
	s_mul_u64 s[26:27], s[22:23], 12
	s_add_nc_u64 s[24:25], s[12:13], s[24:25]
	s_delay_alu instid0(SALU_CYCLE_1)
	s_add_nc_u64 s[22:23], s[24:25], 0xc4
	s_add_nc_u64 s[24:25], s[12:13], s[26:27]
.LBB85_198:                             ; =>This Inner Loop Header: Depth=1
	s_load_b96 s[40:42], s[24:25], 0x4
	s_load_b64 s[26:27], s[22:23], 0x0
	s_add_co_i32 s14, s14, -1
	s_wait_xcnt 0x0
	s_add_nc_u64 s[24:25], s[24:25], 12
	s_cmp_lg_u32 s14, 0
	s_add_nc_u64 s[22:23], s[22:23], 8
	s_wait_kmcnt 0x0
	v_mul_hi_u32 v4, s41, v1
	s_delay_alu instid0(VALU_DEP_1) | instskip(NEXT) | instid1(VALU_DEP_1)
	v_add_nc_u32_e32 v4, v1, v4
	v_lshrrev_b32_e32 v4, s42, v4
	s_delay_alu instid0(VALU_DEP_1) | instskip(NEXT) | instid1(VALU_DEP_1)
	v_mul_lo_u32 v5, v4, s40
	v_sub_nc_u32_e32 v1, v1, v5
	s_delay_alu instid0(VALU_DEP_1)
	v_mad_u32 v3, v1, s27, v3
	v_mad_u32 v2, v1, s26, v2
	v_mov_b32_e32 v1, v4
	s_cbranch_scc1 .LBB85_198
.LBB85_199:
	s_cbranch_execnz .LBB85_202
.LBB85_200:
	v_mov_b32_e32 v1, 0
	s_and_not1_b32 vcc_lo, exec_lo, s33
	s_delay_alu instid0(VALU_DEP_1) | instskip(NEXT) | instid1(VALU_DEP_1)
	v_mul_u64_e32 v[2:3], s[16:17], v[0:1]
	v_add_nc_u32_e32 v2, v0, v3
	s_delay_alu instid0(VALU_DEP_1) | instskip(NEXT) | instid1(VALU_DEP_1)
	v_lshrrev_b32_e32 v4, s6, v2
	v_mul_lo_u32 v2, v4, s4
	s_delay_alu instid0(VALU_DEP_1) | instskip(NEXT) | instid1(VALU_DEP_1)
	v_sub_nc_u32_e32 v2, v0, v2
	v_mul_lo_u32 v3, v2, s9
	v_mul_lo_u32 v2, v2, s8
	s_cbranch_vccnz .LBB85_202
; %bb.201:
	v_mov_b32_e32 v5, v1
	s_delay_alu instid0(VALU_DEP_1) | instskip(NEXT) | instid1(VALU_DEP_1)
	v_mul_u64_e32 v[6:7], s[18:19], v[4:5]
	v_add_nc_u32_e32 v1, v4, v7
	s_delay_alu instid0(VALU_DEP_1) | instskip(NEXT) | instid1(VALU_DEP_1)
	v_lshrrev_b32_e32 v1, s15, v1
	v_mul_lo_u32 v1, v1, s7
	s_delay_alu instid0(VALU_DEP_1) | instskip(NEXT) | instid1(VALU_DEP_1)
	v_sub_nc_u32_e32 v1, v4, v1
	v_mad_u32 v2, v1, s10, v2
	v_mad_u32 v3, v1, s11, v3
.LBB85_202:
	global_load_u16 v1, v3, s[2:3]
	v_add_nc_u32_e32 v0, 0x80, v0
	s_wait_loadcnt 0x0
	v_cmp_eq_f16_e32 vcc_lo, 0xfc00, v1
	v_cndmask_b32_e64 v1, 0, 1, vcc_lo
	global_store_b8 v2, v1, s[0:1]
	s_wait_xcnt 0x0
	s_or_b32 exec_lo, exec_lo, s5
	s_delay_alu instid0(SALU_CYCLE_1)
	s_mov_b32 s5, exec_lo
	v_cmpx_gt_i32_e64 s34, v0
	s_cbranch_execnz .LBB85_188
.LBB85_203:
	s_or_b32 exec_lo, exec_lo, s5
	s_delay_alu instid0(SALU_CYCLE_1)
	s_mov_b32 s5, exec_lo
	v_cmpx_gt_i32_e64 s34, v0
	s_cbranch_execz .LBB85_219
.LBB85_204:
	s_and_not1_b32 vcc_lo, exec_lo, s30
	s_cbranch_vccnz .LBB85_209
; %bb.205:
	s_and_not1_b32 vcc_lo, exec_lo, s36
	s_cbranch_vccnz .LBB85_210
; %bb.206:
	s_add_co_i32 s14, s35, 1
	s_cmp_eq_u32 s29, 2
	s_cbranch_scc1 .LBB85_222
; %bb.207:
	v_dual_mov_b32 v2, 0 :: v_dual_mov_b32 v3, 0
	v_mov_b32_e32 v1, v0
	s_and_b32 s22, s14, 28
	s_mov_b32 s23, 0
	s_mov_b64 s[24:25], s[12:13]
	s_mov_b64 s[26:27], s[20:21]
.LBB85_208:                             ; =>This Inner Loop Header: Depth=1
	s_clause 0x1
	s_load_b256 s[40:47], s[24:25], 0x4
	s_load_b128 s[56:59], s[24:25], 0x24
	s_load_b256 s[48:55], s[26:27], 0x0
	s_add_co_i32 s23, s23, 4
	s_wait_xcnt 0x0
	s_add_nc_u64 s[24:25], s[24:25], 48
	s_cmp_eq_u32 s22, s23
	s_add_nc_u64 s[26:27], s[26:27], 32
	s_wait_kmcnt 0x0
	v_mul_hi_u32 v4, s41, v1
	s_delay_alu instid0(VALU_DEP_1) | instskip(NEXT) | instid1(VALU_DEP_1)
	v_add_nc_u32_e32 v4, v1, v4
	v_lshrrev_b32_e32 v4, s42, v4
	s_delay_alu instid0(VALU_DEP_1) | instskip(NEXT) | instid1(VALU_DEP_1)
	v_mul_hi_u32 v5, s44, v4
	v_add_nc_u32_e32 v5, v4, v5
	s_delay_alu instid0(VALU_DEP_1) | instskip(NEXT) | instid1(VALU_DEP_1)
	v_lshrrev_b32_e32 v5, s45, v5
	v_mul_hi_u32 v6, s47, v5
	s_delay_alu instid0(VALU_DEP_1) | instskip(SKIP_1) | instid1(VALU_DEP_1)
	v_add_nc_u32_e32 v6, v5, v6
	v_mul_lo_u32 v7, v4, s40
	v_sub_nc_u32_e32 v1, v1, v7
	v_mul_lo_u32 v7, v5, s43
	s_delay_alu instid0(VALU_DEP_4) | instskip(NEXT) | instid1(VALU_DEP_3)
	v_lshrrev_b32_e32 v6, s56, v6
	v_mad_u32 v3, v1, s49, v3
	v_mad_u32 v1, v1, s48, v2
	s_delay_alu instid0(VALU_DEP_4) | instskip(NEXT) | instid1(VALU_DEP_4)
	v_sub_nc_u32_e32 v2, v4, v7
	v_mul_hi_u32 v8, s58, v6
	v_mul_lo_u32 v4, v6, s46
	s_delay_alu instid0(VALU_DEP_3) | instskip(SKIP_1) | instid1(VALU_DEP_4)
	v_mad_u32 v3, v2, s51, v3
	v_mad_u32 v2, v2, s50, v1
	v_add_nc_u32_e32 v7, v6, v8
	s_delay_alu instid0(VALU_DEP_1) | instskip(NEXT) | instid1(VALU_DEP_1)
	v_dual_sub_nc_u32 v4, v5, v4 :: v_dual_lshrrev_b32 v1, s59, v7
	v_mad_u32 v3, v4, s53, v3
	s_delay_alu instid0(VALU_DEP_4) | instskip(NEXT) | instid1(VALU_DEP_3)
	v_mad_u32 v2, v4, s52, v2
	v_mul_lo_u32 v5, v1, s57
	s_delay_alu instid0(VALU_DEP_1) | instskip(NEXT) | instid1(VALU_DEP_1)
	v_sub_nc_u32_e32 v4, v6, v5
	v_mad_u32 v3, v4, s55, v3
	s_delay_alu instid0(VALU_DEP_4)
	v_mad_u32 v2, v4, s54, v2
	s_cbranch_scc0 .LBB85_208
	s_branch .LBB85_223
.LBB85_209:
                                        ; implicit-def: $vgpr3
	s_branch .LBB85_227
.LBB85_210:
	v_dual_mov_b32 v3, 0 :: v_dual_mov_b32 v2, 0
	s_branch .LBB85_226
.LBB85_211:
	v_mov_b64_e32 v[2:3], 0
	v_mov_b32_e32 v1, v0
	s_mov_b32 s22, 0
.LBB85_212:
	s_and_b32 s14, s14, 3
	s_mov_b32 s23, 0
	s_cmp_eq_u32 s14, 0
	s_cbranch_scc1 .LBB85_215
; %bb.213:
	s_lshl_b32 s24, s22, 3
	s_mov_b32 s25, s23
	s_mul_u64 s[26:27], s[22:23], 12
	s_add_nc_u64 s[24:25], s[12:13], s[24:25]
	s_delay_alu instid0(SALU_CYCLE_1)
	s_add_nc_u64 s[22:23], s[24:25], 0xc4
	s_add_nc_u64 s[24:25], s[12:13], s[26:27]
.LBB85_214:                             ; =>This Inner Loop Header: Depth=1
	s_load_b96 s[40:42], s[24:25], 0x4
	s_load_b64 s[26:27], s[22:23], 0x0
	s_add_co_i32 s14, s14, -1
	s_wait_xcnt 0x0
	s_add_nc_u64 s[24:25], s[24:25], 12
	s_cmp_lg_u32 s14, 0
	s_add_nc_u64 s[22:23], s[22:23], 8
	s_wait_kmcnt 0x0
	v_mul_hi_u32 v4, s41, v1
	s_delay_alu instid0(VALU_DEP_1) | instskip(NEXT) | instid1(VALU_DEP_1)
	v_add_nc_u32_e32 v4, v1, v4
	v_lshrrev_b32_e32 v4, s42, v4
	s_delay_alu instid0(VALU_DEP_1) | instskip(NEXT) | instid1(VALU_DEP_1)
	v_mul_lo_u32 v5, v4, s40
	v_sub_nc_u32_e32 v1, v1, v5
	s_delay_alu instid0(VALU_DEP_1)
	v_mad_u32 v3, v1, s27, v3
	v_mad_u32 v2, v1, s26, v2
	v_mov_b32_e32 v1, v4
	s_cbranch_scc1 .LBB85_214
.LBB85_215:
	s_cbranch_execnz .LBB85_218
.LBB85_216:
	v_mov_b32_e32 v1, 0
	s_and_not1_b32 vcc_lo, exec_lo, s33
	s_delay_alu instid0(VALU_DEP_1) | instskip(NEXT) | instid1(VALU_DEP_1)
	v_mul_u64_e32 v[2:3], s[16:17], v[0:1]
	v_add_nc_u32_e32 v2, v0, v3
	s_delay_alu instid0(VALU_DEP_1) | instskip(NEXT) | instid1(VALU_DEP_1)
	v_lshrrev_b32_e32 v4, s6, v2
	v_mul_lo_u32 v2, v4, s4
	s_delay_alu instid0(VALU_DEP_1) | instskip(NEXT) | instid1(VALU_DEP_1)
	v_sub_nc_u32_e32 v2, v0, v2
	v_mul_lo_u32 v3, v2, s9
	v_mul_lo_u32 v2, v2, s8
	s_cbranch_vccnz .LBB85_218
; %bb.217:
	v_mov_b32_e32 v5, v1
	s_delay_alu instid0(VALU_DEP_1) | instskip(NEXT) | instid1(VALU_DEP_1)
	v_mul_u64_e32 v[6:7], s[18:19], v[4:5]
	v_add_nc_u32_e32 v1, v4, v7
	s_delay_alu instid0(VALU_DEP_1) | instskip(NEXT) | instid1(VALU_DEP_1)
	v_lshrrev_b32_e32 v1, s15, v1
	v_mul_lo_u32 v1, v1, s7
	s_delay_alu instid0(VALU_DEP_1) | instskip(NEXT) | instid1(VALU_DEP_1)
	v_sub_nc_u32_e32 v1, v4, v1
	v_mad_u32 v2, v1, s10, v2
	v_mad_u32 v3, v1, s11, v3
.LBB85_218:
	global_load_u16 v1, v3, s[2:3]
	v_add_nc_u32_e32 v0, 0x80, v0
	s_wait_loadcnt 0x0
	v_cmp_eq_f16_e32 vcc_lo, 0xfc00, v1
	v_cndmask_b32_e64 v1, 0, 1, vcc_lo
	global_store_b8 v2, v1, s[0:1]
	s_wait_xcnt 0x0
	s_or_b32 exec_lo, exec_lo, s5
	s_delay_alu instid0(SALU_CYCLE_1)
	s_mov_b32 s5, exec_lo
	v_cmpx_gt_i32_e64 s34, v0
	s_cbranch_execnz .LBB85_204
.LBB85_219:
	s_or_b32 exec_lo, exec_lo, s5
	s_delay_alu instid0(SALU_CYCLE_1)
	s_mov_b32 s5, exec_lo
	v_cmpx_gt_i32_e64 s34, v0
	s_cbranch_execnz .LBB85_230
.LBB85_220:
	s_or_b32 exec_lo, exec_lo, s5
                                        ; implicit-def: $vgpr16
                                        ; implicit-def: $vgpr0
	s_and_not1_saveexec_b32 s0, s31
	s_cbranch_execnz .LBB85_8
.LBB85_221:
	s_endpgm
.LBB85_222:
	v_mov_b64_e32 v[2:3], 0
	v_mov_b32_e32 v1, v0
	s_mov_b32 s22, 0
.LBB85_223:
	s_and_b32 s14, s14, 3
	s_mov_b32 s23, 0
	s_cmp_eq_u32 s14, 0
	s_cbranch_scc1 .LBB85_226
; %bb.224:
	s_lshl_b32 s24, s22, 3
	s_mov_b32 s25, s23
	s_mul_u64 s[26:27], s[22:23], 12
	s_add_nc_u64 s[24:25], s[12:13], s[24:25]
	s_delay_alu instid0(SALU_CYCLE_1)
	s_add_nc_u64 s[22:23], s[24:25], 0xc4
	s_add_nc_u64 s[24:25], s[12:13], s[26:27]
.LBB85_225:                             ; =>This Inner Loop Header: Depth=1
	s_load_b96 s[40:42], s[24:25], 0x4
	s_load_b64 s[26:27], s[22:23], 0x0
	s_add_co_i32 s14, s14, -1
	s_wait_xcnt 0x0
	s_add_nc_u64 s[24:25], s[24:25], 12
	s_cmp_lg_u32 s14, 0
	s_add_nc_u64 s[22:23], s[22:23], 8
	s_wait_kmcnt 0x0
	v_mul_hi_u32 v4, s41, v1
	s_delay_alu instid0(VALU_DEP_1) | instskip(NEXT) | instid1(VALU_DEP_1)
	v_add_nc_u32_e32 v4, v1, v4
	v_lshrrev_b32_e32 v4, s42, v4
	s_delay_alu instid0(VALU_DEP_1) | instskip(NEXT) | instid1(VALU_DEP_1)
	v_mul_lo_u32 v5, v4, s40
	v_sub_nc_u32_e32 v1, v1, v5
	s_delay_alu instid0(VALU_DEP_1)
	v_mad_u32 v3, v1, s27, v3
	v_mad_u32 v2, v1, s26, v2
	v_mov_b32_e32 v1, v4
	s_cbranch_scc1 .LBB85_225
.LBB85_226:
	s_cbranch_execnz .LBB85_229
.LBB85_227:
	v_mov_b32_e32 v1, 0
	s_and_not1_b32 vcc_lo, exec_lo, s33
	s_delay_alu instid0(VALU_DEP_1) | instskip(NEXT) | instid1(VALU_DEP_1)
	v_mul_u64_e32 v[2:3], s[16:17], v[0:1]
	v_add_nc_u32_e32 v2, v0, v3
	s_delay_alu instid0(VALU_DEP_1) | instskip(NEXT) | instid1(VALU_DEP_1)
	v_lshrrev_b32_e32 v4, s6, v2
	v_mul_lo_u32 v2, v4, s4
	s_delay_alu instid0(VALU_DEP_1) | instskip(NEXT) | instid1(VALU_DEP_1)
	v_sub_nc_u32_e32 v2, v0, v2
	v_mul_lo_u32 v3, v2, s9
	v_mul_lo_u32 v2, v2, s8
	s_cbranch_vccnz .LBB85_229
; %bb.228:
	v_mov_b32_e32 v5, v1
	s_delay_alu instid0(VALU_DEP_1) | instskip(NEXT) | instid1(VALU_DEP_1)
	v_mul_u64_e32 v[6:7], s[18:19], v[4:5]
	v_add_nc_u32_e32 v1, v4, v7
	s_delay_alu instid0(VALU_DEP_1) | instskip(NEXT) | instid1(VALU_DEP_1)
	v_lshrrev_b32_e32 v1, s15, v1
	v_mul_lo_u32 v1, v1, s7
	s_delay_alu instid0(VALU_DEP_1) | instskip(NEXT) | instid1(VALU_DEP_1)
	v_sub_nc_u32_e32 v1, v4, v1
	v_mad_u32 v2, v1, s10, v2
	v_mad_u32 v3, v1, s11, v3
.LBB85_229:
	global_load_u16 v1, v3, s[2:3]
	v_add_nc_u32_e32 v0, 0x80, v0
	s_wait_loadcnt 0x0
	v_cmp_eq_f16_e32 vcc_lo, 0xfc00, v1
	v_cndmask_b32_e64 v1, 0, 1, vcc_lo
	global_store_b8 v2, v1, s[0:1]
	s_wait_xcnt 0x0
	s_or_b32 exec_lo, exec_lo, s5
	s_delay_alu instid0(SALU_CYCLE_1)
	s_mov_b32 s5, exec_lo
	v_cmpx_gt_i32_e64 s34, v0
	s_cbranch_execz .LBB85_220
.LBB85_230:
	s_and_not1_b32 vcc_lo, exec_lo, s30
	s_cbranch_vccnz .LBB85_235
; %bb.231:
	s_and_not1_b32 vcc_lo, exec_lo, s36
	s_cbranch_vccnz .LBB85_236
; %bb.232:
	s_add_co_i32 s35, s35, 1
	s_cmp_eq_u32 s29, 2
	s_cbranch_scc1 .LBB85_237
; %bb.233:
	v_dual_mov_b32 v2, 0 :: v_dual_mov_b32 v3, 0
	v_mov_b32_e32 v1, v0
	s_and_b32 s22, s35, 28
	s_mov_b32 s14, 0
	s_mov_b64 s[24:25], s[12:13]
.LBB85_234:                             ; =>This Inner Loop Header: Depth=1
	s_clause 0x1
	s_load_b256 s[36:43], s[24:25], 0x4
	s_load_b128 s[52:55], s[24:25], 0x24
	s_load_b256 s[44:51], s[20:21], 0x0
	s_add_co_i32 s14, s14, 4
	s_wait_xcnt 0x0
	s_add_nc_u64 s[24:25], s[24:25], 48
	s_cmp_eq_u32 s22, s14
	s_add_nc_u64 s[20:21], s[20:21], 32
	s_wait_kmcnt 0x0
	v_mul_hi_u32 v4, s37, v1
	s_delay_alu instid0(VALU_DEP_1) | instskip(NEXT) | instid1(VALU_DEP_1)
	v_add_nc_u32_e32 v4, v1, v4
	v_lshrrev_b32_e32 v4, s38, v4
	s_delay_alu instid0(VALU_DEP_1) | instskip(NEXT) | instid1(VALU_DEP_1)
	v_mul_hi_u32 v5, s40, v4
	v_add_nc_u32_e32 v5, v4, v5
	s_delay_alu instid0(VALU_DEP_1) | instskip(NEXT) | instid1(VALU_DEP_1)
	v_lshrrev_b32_e32 v5, s41, v5
	v_mul_hi_u32 v6, s43, v5
	s_delay_alu instid0(VALU_DEP_1) | instskip(SKIP_1) | instid1(VALU_DEP_1)
	v_add_nc_u32_e32 v6, v5, v6
	v_mul_lo_u32 v7, v4, s36
	v_sub_nc_u32_e32 v1, v1, v7
	v_mul_lo_u32 v7, v5, s39
	s_delay_alu instid0(VALU_DEP_4) | instskip(NEXT) | instid1(VALU_DEP_3)
	v_lshrrev_b32_e32 v6, s52, v6
	v_mad_u32 v3, v1, s45, v3
	v_mad_u32 v1, v1, s44, v2
	s_delay_alu instid0(VALU_DEP_4) | instskip(NEXT) | instid1(VALU_DEP_4)
	v_sub_nc_u32_e32 v2, v4, v7
	v_mul_hi_u32 v8, s54, v6
	v_mul_lo_u32 v4, v6, s42
	s_delay_alu instid0(VALU_DEP_3) | instskip(SKIP_1) | instid1(VALU_DEP_4)
	v_mad_u32 v3, v2, s47, v3
	v_mad_u32 v2, v2, s46, v1
	v_add_nc_u32_e32 v7, v6, v8
	s_delay_alu instid0(VALU_DEP_1) | instskip(NEXT) | instid1(VALU_DEP_1)
	v_dual_sub_nc_u32 v4, v5, v4 :: v_dual_lshrrev_b32 v1, s55, v7
	v_mad_u32 v3, v4, s49, v3
	s_delay_alu instid0(VALU_DEP_4) | instskip(NEXT) | instid1(VALU_DEP_3)
	v_mad_u32 v2, v4, s48, v2
	v_mul_lo_u32 v5, v1, s53
	s_delay_alu instid0(VALU_DEP_1) | instskip(NEXT) | instid1(VALU_DEP_1)
	v_sub_nc_u32_e32 v4, v6, v5
	v_mad_u32 v3, v4, s51, v3
	s_delay_alu instid0(VALU_DEP_4)
	v_mad_u32 v2, v4, s50, v2
	s_cbranch_scc0 .LBB85_234
	s_branch .LBB85_238
.LBB85_235:
                                        ; implicit-def: $vgpr3
	s_branch .LBB85_242
.LBB85_236:
	v_dual_mov_b32 v3, 0 :: v_dual_mov_b32 v2, 0
	s_branch .LBB85_241
.LBB85_237:
	v_mov_b64_e32 v[2:3], 0
	v_mov_b32_e32 v1, v0
	s_mov_b32 s22, 0
.LBB85_238:
	s_and_b32 s14, s35, 3
	s_mov_b32 s23, 0
	s_cmp_eq_u32 s14, 0
	s_cbranch_scc1 .LBB85_241
; %bb.239:
	s_lshl_b32 s20, s22, 3
	s_mov_b32 s21, s23
	s_mul_u64 s[22:23], s[22:23], 12
	s_add_nc_u64 s[20:21], s[12:13], s[20:21]
	s_add_nc_u64 s[22:23], s[12:13], s[22:23]
	;; [unrolled: 1-line block ×3, first 2 shown]
.LBB85_240:                             ; =>This Inner Loop Header: Depth=1
	s_load_b96 s[24:26], s[22:23], 0x4
	s_add_co_i32 s14, s14, -1
	s_wait_xcnt 0x0
	s_add_nc_u64 s[22:23], s[22:23], 12
	s_cmp_lg_u32 s14, 0
	s_wait_kmcnt 0x0
	v_mul_hi_u32 v4, s25, v1
	s_delay_alu instid0(VALU_DEP_1) | instskip(NEXT) | instid1(VALU_DEP_1)
	v_add_nc_u32_e32 v4, v1, v4
	v_lshrrev_b32_e32 v4, s26, v4
	s_load_b64 s[26:27], s[20:21], 0x0
	s_wait_xcnt 0x0
	s_add_nc_u64 s[20:21], s[20:21], 8
	s_delay_alu instid0(VALU_DEP_1) | instskip(NEXT) | instid1(VALU_DEP_1)
	v_mul_lo_u32 v5, v4, s24
	v_sub_nc_u32_e32 v1, v1, v5
	s_wait_kmcnt 0x0
	s_delay_alu instid0(VALU_DEP_1)
	v_mad_u32 v3, v1, s27, v3
	v_mad_u32 v2, v1, s26, v2
	v_mov_b32_e32 v1, v4
	s_cbranch_scc1 .LBB85_240
.LBB85_241:
	s_cbranch_execnz .LBB85_244
.LBB85_242:
	v_mov_b32_e32 v1, 0
	s_and_not1_b32 vcc_lo, exec_lo, s33
	s_delay_alu instid0(VALU_DEP_1) | instskip(NEXT) | instid1(VALU_DEP_1)
	v_mul_u64_e32 v[2:3], s[16:17], v[0:1]
	v_add_nc_u32_e32 v2, v0, v3
	s_delay_alu instid0(VALU_DEP_1) | instskip(NEXT) | instid1(VALU_DEP_1)
	v_lshrrev_b32_e32 v4, s6, v2
	v_mul_lo_u32 v2, v4, s4
	s_delay_alu instid0(VALU_DEP_1) | instskip(NEXT) | instid1(VALU_DEP_1)
	v_sub_nc_u32_e32 v0, v0, v2
	v_mul_lo_u32 v3, v0, s9
	v_mul_lo_u32 v2, v0, s8
	s_cbranch_vccnz .LBB85_244
; %bb.243:
	v_mov_b32_e32 v5, v1
	s_delay_alu instid0(VALU_DEP_1) | instskip(NEXT) | instid1(VALU_DEP_1)
	v_mul_u64_e32 v[0:1], s[18:19], v[4:5]
	v_add_nc_u32_e32 v0, v4, v1
	s_delay_alu instid0(VALU_DEP_1) | instskip(NEXT) | instid1(VALU_DEP_1)
	v_lshrrev_b32_e32 v0, s15, v0
	v_mul_lo_u32 v0, v0, s7
	s_delay_alu instid0(VALU_DEP_1) | instskip(NEXT) | instid1(VALU_DEP_1)
	v_sub_nc_u32_e32 v0, v4, v0
	v_mad_u32 v2, v0, s10, v2
	v_mad_u32 v3, v0, s11, v3
.LBB85_244:
	global_load_u16 v0, v3, s[2:3]
	s_wait_loadcnt 0x0
	v_cmp_eq_f16_e32 vcc_lo, 0xfc00, v0
	v_cndmask_b32_e64 v0, 0, 1, vcc_lo
	global_store_b8 v2, v0, s[0:1]
	s_wait_xcnt 0x0
	s_or_b32 exec_lo, exec_lo, s5
                                        ; implicit-def: $vgpr16
                                        ; implicit-def: $vgpr0
	s_and_not1_saveexec_b32 s0, s31
	s_cbranch_execz .LBB85_221
	s_branch .LBB85_8
	.section	.rodata,"a",@progbits
	.p2align	6, 0x0
	.amdhsa_kernel _ZN2at6native32elementwise_kernel_manual_unrollILi128ELi8EZNS0_22gpu_kernel_impl_nocastIZZZNS0_12_GLOBAL__N_120isneginf_kernel_implERNS_18TensorIteratorBaseEENKUlvE_clEvENKUlvE1_clEvEUlN3c104HalfEE_EEvS5_RKT_EUlibE_EEviT1_
		.amdhsa_group_segment_fixed_size 0
		.amdhsa_private_segment_fixed_size 0
		.amdhsa_kernarg_size 360
		.amdhsa_user_sgpr_count 2
		.amdhsa_user_sgpr_dispatch_ptr 0
		.amdhsa_user_sgpr_queue_ptr 0
		.amdhsa_user_sgpr_kernarg_segment_ptr 1
		.amdhsa_user_sgpr_dispatch_id 0
		.amdhsa_user_sgpr_kernarg_preload_length 0
		.amdhsa_user_sgpr_kernarg_preload_offset 0
		.amdhsa_user_sgpr_private_segment_size 0
		.amdhsa_wavefront_size32 1
		.amdhsa_uses_dynamic_stack 0
		.amdhsa_enable_private_segment 0
		.amdhsa_system_sgpr_workgroup_id_x 1
		.amdhsa_system_sgpr_workgroup_id_y 0
		.amdhsa_system_sgpr_workgroup_id_z 0
		.amdhsa_system_sgpr_workgroup_info 0
		.amdhsa_system_vgpr_workitem_id 0
		.amdhsa_next_free_vgpr 24
		.amdhsa_next_free_sgpr 60
		.amdhsa_named_barrier_count 0
		.amdhsa_reserve_vcc 1
		.amdhsa_float_round_mode_32 0
		.amdhsa_float_round_mode_16_64 0
		.amdhsa_float_denorm_mode_32 3
		.amdhsa_float_denorm_mode_16_64 3
		.amdhsa_fp16_overflow 0
		.amdhsa_memory_ordered 1
		.amdhsa_forward_progress 1
		.amdhsa_inst_pref_size 99
		.amdhsa_round_robin_scheduling 0
		.amdhsa_exception_fp_ieee_invalid_op 0
		.amdhsa_exception_fp_denorm_src 0
		.amdhsa_exception_fp_ieee_div_zero 0
		.amdhsa_exception_fp_ieee_overflow 0
		.amdhsa_exception_fp_ieee_underflow 0
		.amdhsa_exception_fp_ieee_inexact 0
		.amdhsa_exception_int_div_zero 0
	.end_amdhsa_kernel
	.section	.text._ZN2at6native32elementwise_kernel_manual_unrollILi128ELi8EZNS0_22gpu_kernel_impl_nocastIZZZNS0_12_GLOBAL__N_120isneginf_kernel_implERNS_18TensorIteratorBaseEENKUlvE_clEvENKUlvE1_clEvEUlN3c104HalfEE_EEvS5_RKT_EUlibE_EEviT1_,"axG",@progbits,_ZN2at6native32elementwise_kernel_manual_unrollILi128ELi8EZNS0_22gpu_kernel_impl_nocastIZZZNS0_12_GLOBAL__N_120isneginf_kernel_implERNS_18TensorIteratorBaseEENKUlvE_clEvENKUlvE1_clEvEUlN3c104HalfEE_EEvS5_RKT_EUlibE_EEviT1_,comdat
.Lfunc_end85:
	.size	_ZN2at6native32elementwise_kernel_manual_unrollILi128ELi8EZNS0_22gpu_kernel_impl_nocastIZZZNS0_12_GLOBAL__N_120isneginf_kernel_implERNS_18TensorIteratorBaseEENKUlvE_clEvENKUlvE1_clEvEUlN3c104HalfEE_EEvS5_RKT_EUlibE_EEviT1_, .Lfunc_end85-_ZN2at6native32elementwise_kernel_manual_unrollILi128ELi8EZNS0_22gpu_kernel_impl_nocastIZZZNS0_12_GLOBAL__N_120isneginf_kernel_implERNS_18TensorIteratorBaseEENKUlvE_clEvENKUlvE1_clEvEUlN3c104HalfEE_EEvS5_RKT_EUlibE_EEviT1_
                                        ; -- End function
	.set _ZN2at6native32elementwise_kernel_manual_unrollILi128ELi8EZNS0_22gpu_kernel_impl_nocastIZZZNS0_12_GLOBAL__N_120isneginf_kernel_implERNS_18TensorIteratorBaseEENKUlvE_clEvENKUlvE1_clEvEUlN3c104HalfEE_EEvS5_RKT_EUlibE_EEviT1_.num_vgpr, 24
	.set _ZN2at6native32elementwise_kernel_manual_unrollILi128ELi8EZNS0_22gpu_kernel_impl_nocastIZZZNS0_12_GLOBAL__N_120isneginf_kernel_implERNS_18TensorIteratorBaseEENKUlvE_clEvENKUlvE1_clEvEUlN3c104HalfEE_EEvS5_RKT_EUlibE_EEviT1_.num_agpr, 0
	.set _ZN2at6native32elementwise_kernel_manual_unrollILi128ELi8EZNS0_22gpu_kernel_impl_nocastIZZZNS0_12_GLOBAL__N_120isneginf_kernel_implERNS_18TensorIteratorBaseEENKUlvE_clEvENKUlvE1_clEvEUlN3c104HalfEE_EEvS5_RKT_EUlibE_EEviT1_.numbered_sgpr, 60
	.set _ZN2at6native32elementwise_kernel_manual_unrollILi128ELi8EZNS0_22gpu_kernel_impl_nocastIZZZNS0_12_GLOBAL__N_120isneginf_kernel_implERNS_18TensorIteratorBaseEENKUlvE_clEvENKUlvE1_clEvEUlN3c104HalfEE_EEvS5_RKT_EUlibE_EEviT1_.num_named_barrier, 0
	.set _ZN2at6native32elementwise_kernel_manual_unrollILi128ELi8EZNS0_22gpu_kernel_impl_nocastIZZZNS0_12_GLOBAL__N_120isneginf_kernel_implERNS_18TensorIteratorBaseEENKUlvE_clEvENKUlvE1_clEvEUlN3c104HalfEE_EEvS5_RKT_EUlibE_EEviT1_.private_seg_size, 0
	.set _ZN2at6native32elementwise_kernel_manual_unrollILi128ELi8EZNS0_22gpu_kernel_impl_nocastIZZZNS0_12_GLOBAL__N_120isneginf_kernel_implERNS_18TensorIteratorBaseEENKUlvE_clEvENKUlvE1_clEvEUlN3c104HalfEE_EEvS5_RKT_EUlibE_EEviT1_.uses_vcc, 1
	.set _ZN2at6native32elementwise_kernel_manual_unrollILi128ELi8EZNS0_22gpu_kernel_impl_nocastIZZZNS0_12_GLOBAL__N_120isneginf_kernel_implERNS_18TensorIteratorBaseEENKUlvE_clEvENKUlvE1_clEvEUlN3c104HalfEE_EEvS5_RKT_EUlibE_EEviT1_.uses_flat_scratch, 0
	.set _ZN2at6native32elementwise_kernel_manual_unrollILi128ELi8EZNS0_22gpu_kernel_impl_nocastIZZZNS0_12_GLOBAL__N_120isneginf_kernel_implERNS_18TensorIteratorBaseEENKUlvE_clEvENKUlvE1_clEvEUlN3c104HalfEE_EEvS5_RKT_EUlibE_EEviT1_.has_dyn_sized_stack, 0
	.set _ZN2at6native32elementwise_kernel_manual_unrollILi128ELi8EZNS0_22gpu_kernel_impl_nocastIZZZNS0_12_GLOBAL__N_120isneginf_kernel_implERNS_18TensorIteratorBaseEENKUlvE_clEvENKUlvE1_clEvEUlN3c104HalfEE_EEvS5_RKT_EUlibE_EEviT1_.has_recursion, 0
	.set _ZN2at6native32elementwise_kernel_manual_unrollILi128ELi8EZNS0_22gpu_kernel_impl_nocastIZZZNS0_12_GLOBAL__N_120isneginf_kernel_implERNS_18TensorIteratorBaseEENKUlvE_clEvENKUlvE1_clEvEUlN3c104HalfEE_EEvS5_RKT_EUlibE_EEviT1_.has_indirect_call, 0
	.section	.AMDGPU.csdata,"",@progbits
; Kernel info:
; codeLenInByte = 12548
; TotalNumSgprs: 62
; NumVgprs: 24
; ScratchSize: 0
; MemoryBound: 0
; FloatMode: 240
; IeeeMode: 1
; LDSByteSize: 0 bytes/workgroup (compile time only)
; SGPRBlocks: 0
; VGPRBlocks: 1
; NumSGPRsForWavesPerEU: 62
; NumVGPRsForWavesPerEU: 24
; NamedBarCnt: 0
; Occupancy: 16
; WaveLimiterHint : 1
; COMPUTE_PGM_RSRC2:SCRATCH_EN: 0
; COMPUTE_PGM_RSRC2:USER_SGPR: 2
; COMPUTE_PGM_RSRC2:TRAP_HANDLER: 0
; COMPUTE_PGM_RSRC2:TGID_X_EN: 1
; COMPUTE_PGM_RSRC2:TGID_Y_EN: 0
; COMPUTE_PGM_RSRC2:TGID_Z_EN: 0
; COMPUTE_PGM_RSRC2:TIDIG_COMP_CNT: 0
	.section	.text._ZN2at6native32elementwise_kernel_manual_unrollILi128ELi4EZNS0_15gpu_kernel_implIZZZNS0_12_GLOBAL__N_120isneginf_kernel_implERNS_18TensorIteratorBaseEENKUlvE_clEvENKUlvE1_clEvEUlN3c104HalfEE_EEvS5_RKT_EUlibE_EEviT1_,"axG",@progbits,_ZN2at6native32elementwise_kernel_manual_unrollILi128ELi4EZNS0_15gpu_kernel_implIZZZNS0_12_GLOBAL__N_120isneginf_kernel_implERNS_18TensorIteratorBaseEENKUlvE_clEvENKUlvE1_clEvEUlN3c104HalfEE_EEvS5_RKT_EUlibE_EEviT1_,comdat
	.globl	_ZN2at6native32elementwise_kernel_manual_unrollILi128ELi4EZNS0_15gpu_kernel_implIZZZNS0_12_GLOBAL__N_120isneginf_kernel_implERNS_18TensorIteratorBaseEENKUlvE_clEvENKUlvE1_clEvEUlN3c104HalfEE_EEvS5_RKT_EUlibE_EEviT1_ ; -- Begin function _ZN2at6native32elementwise_kernel_manual_unrollILi128ELi4EZNS0_15gpu_kernel_implIZZZNS0_12_GLOBAL__N_120isneginf_kernel_implERNS_18TensorIteratorBaseEENKUlvE_clEvENKUlvE1_clEvEUlN3c104HalfEE_EEvS5_RKT_EUlibE_EEviT1_
	.p2align	8
	.type	_ZN2at6native32elementwise_kernel_manual_unrollILi128ELi4EZNS0_15gpu_kernel_implIZZZNS0_12_GLOBAL__N_120isneginf_kernel_implERNS_18TensorIteratorBaseEENKUlvE_clEvENKUlvE1_clEvEUlN3c104HalfEE_EEvS5_RKT_EUlibE_EEviT1_,@function
_ZN2at6native32elementwise_kernel_manual_unrollILi128ELi4EZNS0_15gpu_kernel_implIZZZNS0_12_GLOBAL__N_120isneginf_kernel_implERNS_18TensorIteratorBaseEENKUlvE_clEvENKUlvE1_clEvEUlN3c104HalfEE_EEvS5_RKT_EUlibE_EEviT1_: ; @_ZN2at6native32elementwise_kernel_manual_unrollILi128ELi4EZNS0_15gpu_kernel_implIZZZNS0_12_GLOBAL__N_120isneginf_kernel_implERNS_18TensorIteratorBaseEENKUlvE_clEvENKUlvE1_clEvEUlN3c104HalfEE_EEvS5_RKT_EUlibE_EEviT1_
; %bb.0:
	v_mov_b32_e32 v1, 0
	s_bfe_u32 s10, ttmp6, 0x4000c
	s_clause 0x1
	s_load_b32 s13, s[0:1], 0x0
	s_load_b128 s[4:7], s[0:1], 0x8
	s_add_co_i32 s10, s10, 1
	s_and_b32 s9, ttmp6, 15
	global_load_u16 v1, v1, s[0:1] offset:33
	s_load_b64 s[2:3], s[0:1], 0x18
	s_wait_xcnt 0x0
	s_mul_i32 s1, ttmp9, s10
	s_getreg_b32 s11, hwreg(HW_REG_IB_STS2, 6, 4)
	s_add_co_i32 s9, s9, s1
	s_mov_b32 s12, 0
	s_wait_loadcnt 0x0
	v_readfirstlane_b32 s8, v1
	s_and_b32 s0, 0xffff, s8
	s_delay_alu instid0(SALU_CYCLE_1)
	s_lshr_b32 s10, s0, 8
	s_cmp_eq_u32 s11, 0
	s_cselect_b32 s0, ttmp9, s9
	s_mov_b32 s9, 0
	v_lshl_or_b32 v4, s0, 9, v0
	s_mov_b32 s0, exec_lo
	s_delay_alu instid0(VALU_DEP_1) | instskip(SKIP_1) | instid1(VALU_DEP_1)
	v_or_b32_e32 v0, 0x180, v4
	s_wait_kmcnt 0x0
	v_cmpx_le_i32_e64 s13, v0
	s_xor_b32 s11, exec_lo, s0
	s_cbranch_execz .LBB86_1031
; %bb.1:
	s_mov_b32 s1, -1
	s_mov_b32 s16, 0
	s_mov_b32 s14, 0
	s_mov_b32 s15, exec_lo
	v_cmpx_gt_i32_e64 s13, v4
	s_cbranch_execz .LBB86_252
; %bb.2:
	v_mul_lo_u32 v0, v4, s3
	s_and_b32 s0, 0xffff, s10
	s_delay_alu instid0(SALU_CYCLE_1) | instskip(NEXT) | instid1(VALU_DEP_1)
	s_cmp_lt_i32 s0, 11
	v_ashrrev_i32_e32 v1, 31, v0
	s_delay_alu instid0(VALU_DEP_1)
	v_add_nc_u64_e32 v[0:1], s[6:7], v[0:1]
	s_cbranch_scc1 .LBB86_9
; %bb.3:
	s_cmp_gt_i32 s0, 25
	s_cbranch_scc0 .LBB86_18
; %bb.4:
	s_cmp_gt_i32 s0, 28
	s_cbranch_scc0 .LBB86_21
; %bb.5:
	s_cmp_gt_i32 s0, 43
	s_cbranch_scc0 .LBB86_23
; %bb.6:
	s_cmp_gt_i32 s0, 45
	s_cbranch_scc0 .LBB86_25
; %bb.7:
	s_cmp_eq_u32 s0, 46
	s_cbranch_scc0 .LBB86_27
; %bb.8:
	global_load_b32 v2, v[0:1], off
	s_wait_loadcnt 0x0
	v_lshlrev_b32_e32 v2, 16, v2
	s_delay_alu instid0(VALU_DEP_1)
	v_cvt_f16_f32_e32 v2, v2
	s_branch .LBB86_29
.LBB86_9:
	s_mov_b32 s1, 0
                                        ; implicit-def: $vgpr2
	s_cbranch_execnz .LBB86_202
.LBB86_10:
	s_and_not1_b32 vcc_lo, exec_lo, s1
	s_cbranch_vccnz .LBB86_249
.LBB86_11:
	s_wait_xcnt 0x0
	v_mul_lo_u32 v0, v4, s2
	s_wait_loadcnt 0x0
	v_cmp_eq_f16_e64 s0, 0xfc00, v2
	s_and_b32 s12, s8, 0xff
	s_delay_alu instid0(SALU_CYCLE_1) | instskip(SKIP_1) | instid1(VALU_DEP_1)
	s_cmp_lt_i32 s12, 11
	v_ashrrev_i32_e32 v1, 31, v0
	v_add_nc_u64_e32 v[0:1], s[4:5], v[0:1]
	s_cbranch_scc1 .LBB86_19
; %bb.12:
	s_and_b32 s17, 0xffff, s12
	s_delay_alu instid0(SALU_CYCLE_1)
	s_cmp_gt_i32 s17, 25
	s_cbranch_scc0 .LBB86_22
; %bb.13:
	s_cmp_gt_i32 s17, 28
	s_cbranch_scc0 .LBB86_24
; %bb.14:
	;; [unrolled: 3-line block ×4, first 2 shown]
	s_mov_b32 s19, 0
	s_mov_b32 s1, -1
	s_cmp_eq_u32 s17, 46
	s_mov_b32 s18, 0
	s_cbranch_scc0 .LBB86_33
; %bb.17:
	v_cndmask_b32_e64 v2, 0, 1.0, s0
	s_mov_b32 s18, -1
	s_mov_b32 s1, 0
	s_delay_alu instid0(VALU_DEP_1) | instskip(NEXT) | instid1(VALU_DEP_1)
	v_bfe_u32 v3, v2, 16, 1
	v_add3_u32 v2, v2, v3, 0x7fff
	s_delay_alu instid0(VALU_DEP_1)
	v_lshrrev_b32_e32 v2, 16, v2
	global_store_b32 v[0:1], v2, off
	s_branch .LBB86_33
.LBB86_18:
	s_mov_b32 s1, 0
                                        ; implicit-def: $vgpr2
	s_cbranch_execnz .LBB86_167
	s_branch .LBB86_201
.LBB86_19:
	s_mov_b32 s1, 0
	s_mov_b32 s18, 0
	s_cbranch_execnz .LBB86_102
.LBB86_20:
	s_and_not1_b32 vcc_lo, exec_lo, s18
	s_cbranch_vccnz .LBB86_250
	s_branch .LBB86_140
.LBB86_21:
	s_mov_b32 s12, -1
	s_mov_b32 s1, 0
                                        ; implicit-def: $vgpr2
	s_branch .LBB86_148
.LBB86_22:
	s_mov_b32 s19, -1
	s_mov_b32 s1, 0
	s_mov_b32 s18, 0
	s_branch .LBB86_60
.LBB86_23:
	s_mov_b32 s12, -1
	s_mov_b32 s1, 0
                                        ; implicit-def: $vgpr2
	s_branch .LBB86_143
.LBB86_24:
	s_mov_b32 s19, -1
	s_mov_b32 s1, 0
	s_mov_b32 s18, 0
	s_branch .LBB86_43
.LBB86_25:
	s_mov_b32 s12, -1
	s_branch .LBB86_28
.LBB86_26:
	s_mov_b32 s19, -1
	s_mov_b32 s1, 0
	s_mov_b32 s18, 0
	s_branch .LBB86_39
.LBB86_27:
	s_mov_b32 s14, -1
.LBB86_28:
	s_mov_b32 s1, 0
                                        ; implicit-def: $vgpr2
.LBB86_29:
	s_and_b32 vcc_lo, exec_lo, s12
	s_cbranch_vccz .LBB86_142
; %bb.30:
	s_cmp_eq_u32 s0, 44
	s_cbranch_scc0 .LBB86_141
; %bb.31:
	global_load_u8 v2, v[0:1], off
	s_mov_b32 s14, 0
	s_mov_b32 s1, -1
	s_wait_loadcnt 0x0
	v_lshlrev_b32_e32 v3, 23, v2
	v_cmp_ne_u32_e32 vcc_lo, 0xff, v2
	s_delay_alu instid0(VALU_DEP_2) | instskip(NEXT) | instid1(VALU_DEP_1)
	v_cvt_f16_f32_e32 v3, v3
	v_cndmask_b32_e32 v3, 0x7e00, v3, vcc_lo
	v_cmp_ne_u32_e32 vcc_lo, 0, v2
	s_delay_alu instid0(VALU_DEP_2)
	v_cndmask_b32_e32 v2, 0, v3, vcc_lo
	s_branch .LBB86_142
.LBB86_32:
	s_mov_b32 s19, -1
	s_mov_b32 s1, 0
	s_mov_b32 s18, 0
.LBB86_33:
	s_and_b32 vcc_lo, exec_lo, s19
	s_cbranch_vccz .LBB86_38
; %bb.34:
	s_cmp_eq_u32 s17, 44
	s_mov_b32 s1, -1
	s_cbranch_scc0 .LBB86_38
; %bb.35:
	v_cndmask_b32_e64 v5, 0, 1.0, s0
	s_mov_b32 s18, exec_lo
	s_wait_xcnt 0x0
	s_delay_alu instid0(VALU_DEP_1) | instskip(NEXT) | instid1(VALU_DEP_1)
	v_dual_mov_b32 v3, 0xff :: v_dual_lshrrev_b32 v2, 23, v5
	v_cmpx_ne_u32_e32 0xff, v2
; %bb.36:
	v_and_b32_e32 v3, 0x400000, v5
	v_and_or_b32 v5, 0x3fffff, v5, v2
	s_delay_alu instid0(VALU_DEP_2) | instskip(NEXT) | instid1(VALU_DEP_2)
	v_cmp_ne_u32_e32 vcc_lo, 0, v3
	v_cmp_ne_u32_e64 s1, 0, v5
	s_and_b32 s1, vcc_lo, s1
	s_delay_alu instid0(SALU_CYCLE_1) | instskip(NEXT) | instid1(VALU_DEP_1)
	v_cndmask_b32_e64 v3, 0, 1, s1
	v_add_nc_u32_e32 v3, v2, v3
; %bb.37:
	s_or_b32 exec_lo, exec_lo, s18
	s_mov_b32 s18, -1
	s_mov_b32 s1, 0
	global_store_b8 v[0:1], v3, off
.LBB86_38:
	s_mov_b32 s19, 0
.LBB86_39:
	s_delay_alu instid0(SALU_CYCLE_1)
	s_and_b32 vcc_lo, exec_lo, s19
	s_cbranch_vccz .LBB86_42
; %bb.40:
	s_cmp_eq_u32 s17, 29
	s_mov_b32 s1, -1
	s_cbranch_scc0 .LBB86_42
; %bb.41:
	s_mov_b32 s1, 0
	s_wait_xcnt 0x0
	v_cndmask_b32_e64 v2, 0, 1, s0
	v_mov_b32_e32 v3, s1
	s_mov_b32 s18, -1
	s_mov_b32 s19, 0
	global_store_b64 v[0:1], v[2:3], off
	s_branch .LBB86_43
.LBB86_42:
	s_mov_b32 s19, 0
.LBB86_43:
	s_delay_alu instid0(SALU_CYCLE_1)
	s_and_b32 vcc_lo, exec_lo, s19
	s_cbranch_vccz .LBB86_59
; %bb.44:
	s_cmp_lt_i32 s17, 27
	s_mov_b32 s18, -1
	s_cbranch_scc1 .LBB86_50
; %bb.45:
	s_cmp_gt_i32 s17, 27
	s_cbranch_scc0 .LBB86_47
; %bb.46:
	s_wait_xcnt 0x0
	v_cndmask_b32_e64 v2, 0, 1, s0
	s_mov_b32 s18, 0
	global_store_b32 v[0:1], v2, off
.LBB86_47:
	s_and_not1_b32 vcc_lo, exec_lo, s18
	s_cbranch_vccnz .LBB86_49
; %bb.48:
	s_wait_xcnt 0x0
	v_cndmask_b32_e64 v2, 0, 1, s0
	global_store_b16 v[0:1], v2, off
.LBB86_49:
	s_mov_b32 s18, 0
.LBB86_50:
	s_delay_alu instid0(SALU_CYCLE_1)
	s_and_not1_b32 vcc_lo, exec_lo, s18
	s_cbranch_vccnz .LBB86_58
; %bb.51:
	s_wait_xcnt 0x0
	v_cndmask_b32_e64 v3, 0, 1.0, s0
	v_mov_b32_e32 v5, 0x80
	s_mov_b32 s18, exec_lo
	s_delay_alu instid0(VALU_DEP_2)
	v_cmpx_gt_u32_e32 0x43800000, v3
	s_cbranch_execz .LBB86_57
; %bb.52:
	s_mov_b32 s19, 0
	s_mov_b32 s20, exec_lo
                                        ; implicit-def: $vgpr2
	v_cmpx_lt_u32_e32 0x3bffffff, v3
	s_xor_b32 s20, exec_lo, s20
	s_cbranch_execz .LBB86_279
; %bb.53:
	v_bfe_u32 v2, v3, 20, 1
	s_mov_b32 s19, exec_lo
	s_delay_alu instid0(VALU_DEP_1) | instskip(NEXT) | instid1(VALU_DEP_1)
	v_add3_u32 v2, v3, v2, 0x487ffff
                                        ; implicit-def: $vgpr3
	v_lshrrev_b32_e32 v2, 20, v2
	s_and_not1_saveexec_b32 s20, s20
	s_cbranch_execnz .LBB86_280
.LBB86_54:
	s_or_b32 exec_lo, exec_lo, s20
	v_mov_b32_e32 v5, 0
	s_and_saveexec_b32 s20, s19
.LBB86_55:
	v_mov_b32_e32 v5, v2
.LBB86_56:
	s_or_b32 exec_lo, exec_lo, s20
.LBB86_57:
	s_delay_alu instid0(SALU_CYCLE_1)
	s_or_b32 exec_lo, exec_lo, s18
	global_store_b8 v[0:1], v5, off
.LBB86_58:
	s_mov_b32 s18, -1
.LBB86_59:
	s_mov_b32 s19, 0
.LBB86_60:
	s_delay_alu instid0(SALU_CYCLE_1)
	s_and_b32 vcc_lo, exec_lo, s19
	s_cbranch_vccz .LBB86_101
; %bb.61:
	s_cmp_gt_i32 s17, 22
	s_mov_b32 s19, -1
	s_cbranch_scc0 .LBB86_93
; %bb.62:
	s_cmp_lt_i32 s17, 24
	s_mov_b32 s18, -1
	s_cbranch_scc1 .LBB86_82
; %bb.63:
	s_cmp_gt_i32 s17, 24
	s_cbranch_scc0 .LBB86_71
; %bb.64:
	s_wait_xcnt 0x0
	v_cndmask_b32_e64 v3, 0, 1.0, s0
	v_mov_b32_e32 v5, 0x80
	s_mov_b32 s18, exec_lo
	s_delay_alu instid0(VALU_DEP_2)
	v_cmpx_gt_u32_e32 0x47800000, v3
	s_cbranch_execz .LBB86_70
; %bb.65:
	s_mov_b32 s19, 0
	s_mov_b32 s20, exec_lo
                                        ; implicit-def: $vgpr2
	v_cmpx_lt_u32_e32 0x37ffffff, v3
	s_xor_b32 s20, exec_lo, s20
	s_cbranch_execz .LBB86_283
; %bb.66:
	v_bfe_u32 v2, v3, 21, 1
	s_mov_b32 s19, exec_lo
	s_delay_alu instid0(VALU_DEP_1) | instskip(NEXT) | instid1(VALU_DEP_1)
	v_add3_u32 v2, v3, v2, 0x88fffff
                                        ; implicit-def: $vgpr3
	v_lshrrev_b32_e32 v2, 21, v2
	s_and_not1_saveexec_b32 s20, s20
	s_cbranch_execnz .LBB86_284
.LBB86_67:
	s_or_b32 exec_lo, exec_lo, s20
	v_mov_b32_e32 v5, 0
	s_and_saveexec_b32 s20, s19
.LBB86_68:
	v_mov_b32_e32 v5, v2
.LBB86_69:
	s_or_b32 exec_lo, exec_lo, s20
.LBB86_70:
	s_delay_alu instid0(SALU_CYCLE_1)
	s_or_b32 exec_lo, exec_lo, s18
	s_mov_b32 s18, 0
	global_store_b8 v[0:1], v5, off
.LBB86_71:
	s_and_b32 vcc_lo, exec_lo, s18
	s_cbranch_vccz .LBB86_81
; %bb.72:
	s_wait_xcnt 0x0
	v_cndmask_b32_e64 v3, 0, 1.0, s0
	s_mov_b32 s18, exec_lo
                                        ; implicit-def: $vgpr2
	s_delay_alu instid0(VALU_DEP_1)
	v_cmpx_gt_u32_e32 0x43f00000, v3
	s_xor_b32 s18, exec_lo, s18
	s_cbranch_execz .LBB86_78
; %bb.73:
	s_mov_b32 s19, exec_lo
                                        ; implicit-def: $vgpr2
	v_cmpx_lt_u32_e32 0x3c7fffff, v3
	s_xor_b32 s19, exec_lo, s19
; %bb.74:
	v_bfe_u32 v2, v3, 20, 1
	s_delay_alu instid0(VALU_DEP_1) | instskip(NEXT) | instid1(VALU_DEP_1)
	v_add3_u32 v2, v3, v2, 0x407ffff
	v_and_b32_e32 v3, 0xff00000, v2
	v_lshrrev_b32_e32 v2, 20, v2
	s_delay_alu instid0(VALU_DEP_2) | instskip(NEXT) | instid1(VALU_DEP_2)
	v_cmp_ne_u32_e32 vcc_lo, 0x7f00000, v3
                                        ; implicit-def: $vgpr3
	v_cndmask_b32_e32 v2, 0x7e, v2, vcc_lo
; %bb.75:
	s_and_not1_saveexec_b32 s19, s19
; %bb.76:
	v_add_f32_e32 v2, 0x46800000, v3
; %bb.77:
	s_or_b32 exec_lo, exec_lo, s19
                                        ; implicit-def: $vgpr3
.LBB86_78:
	s_and_not1_saveexec_b32 s18, s18
; %bb.79:
	v_mov_b32_e32 v2, 0x7f
	v_cmp_lt_u32_e32 vcc_lo, 0x7f800000, v3
	s_delay_alu instid0(VALU_DEP_2)
	v_cndmask_b32_e32 v2, 0x7e, v2, vcc_lo
; %bb.80:
	s_or_b32 exec_lo, exec_lo, s18
	global_store_b8 v[0:1], v2, off
.LBB86_81:
	s_mov_b32 s18, 0
.LBB86_82:
	s_delay_alu instid0(SALU_CYCLE_1)
	s_and_not1_b32 vcc_lo, exec_lo, s18
	s_cbranch_vccnz .LBB86_92
; %bb.83:
	s_wait_xcnt 0x0
	v_cndmask_b32_e64 v3, 0, 1.0, s0
	s_mov_b32 s18, exec_lo
                                        ; implicit-def: $vgpr2
	s_delay_alu instid0(VALU_DEP_1)
	v_cmpx_gt_u32_e32 0x47800000, v3
	s_xor_b32 s18, exec_lo, s18
	s_cbranch_execz .LBB86_89
; %bb.84:
	s_mov_b32 s19, exec_lo
                                        ; implicit-def: $vgpr2
	v_cmpx_lt_u32_e32 0x387fffff, v3
	s_xor_b32 s19, exec_lo, s19
; %bb.85:
	v_bfe_u32 v2, v3, 21, 1
	s_delay_alu instid0(VALU_DEP_1) | instskip(NEXT) | instid1(VALU_DEP_1)
	v_add3_u32 v2, v3, v2, 0x80fffff
                                        ; implicit-def: $vgpr3
	v_lshrrev_b32_e32 v2, 21, v2
; %bb.86:
	s_and_not1_saveexec_b32 s19, s19
; %bb.87:
	v_add_f32_e32 v2, 0x43000000, v3
; %bb.88:
	s_or_b32 exec_lo, exec_lo, s19
                                        ; implicit-def: $vgpr3
.LBB86_89:
	s_and_not1_saveexec_b32 s18, s18
; %bb.90:
	v_mov_b32_e32 v2, 0x7f
	v_cmp_lt_u32_e32 vcc_lo, 0x7f800000, v3
	s_delay_alu instid0(VALU_DEP_2)
	v_cndmask_b32_e32 v2, 0x7c, v2, vcc_lo
; %bb.91:
	s_or_b32 exec_lo, exec_lo, s18
	global_store_b8 v[0:1], v2, off
.LBB86_92:
	s_mov_b32 s19, 0
	s_mov_b32 s18, -1
.LBB86_93:
	s_and_not1_b32 vcc_lo, exec_lo, s19
	s_cbranch_vccnz .LBB86_101
; %bb.94:
	s_cmp_gt_i32 s17, 14
	s_mov_b32 s19, -1
	s_cbranch_scc0 .LBB86_98
; %bb.95:
	s_cmp_eq_u32 s17, 15
	s_mov_b32 s1, -1
	s_cbranch_scc0 .LBB86_97
; %bb.96:
	s_wait_xcnt 0x0
	v_cndmask_b32_e64 v2, 0, 1.0, s0
	s_mov_b32 s18, -1
	s_mov_b32 s1, 0
	s_delay_alu instid0(VALU_DEP_1) | instskip(NEXT) | instid1(VALU_DEP_1)
	v_bfe_u32 v3, v2, 16, 1
	v_add3_u32 v2, v2, v3, 0x7fff
	global_store_d16_hi_b16 v[0:1], v2, off
.LBB86_97:
	s_mov_b32 s19, 0
.LBB86_98:
	s_delay_alu instid0(SALU_CYCLE_1)
	s_and_b32 vcc_lo, exec_lo, s19
	s_cbranch_vccz .LBB86_101
; %bb.99:
	s_cmp_eq_u32 s17, 11
	s_mov_b32 s1, -1
	s_cbranch_scc0 .LBB86_101
; %bb.100:
	s_wait_xcnt 0x0
	v_cndmask_b32_e64 v2, 0, 1, s0
	s_mov_b32 s18, -1
	s_mov_b32 s1, 0
	global_store_b8 v[0:1], v2, off
.LBB86_101:
	s_branch .LBB86_20
.LBB86_102:
	s_and_b32 s12, 0xffff, s12
	s_mov_b32 s17, -1
	s_cmp_lt_i32 s12, 5
	s_cbranch_scc1 .LBB86_123
; %bb.103:
	s_cmp_lt_i32 s12, 8
	s_cbranch_scc1 .LBB86_113
; %bb.104:
	s_cmp_lt_i32 s12, 9
	s_cbranch_scc1 .LBB86_110
; %bb.105:
	s_cmp_gt_i32 s12, 9
	s_cbranch_scc0 .LBB86_107
; %bb.106:
	s_wait_xcnt 0x0
	v_cndmask_b32_e64 v2, 0, 1, s0
	v_mov_b32_e32 v8, 0
	s_mov_b32 s17, 0
	s_delay_alu instid0(VALU_DEP_2) | instskip(NEXT) | instid1(VALU_DEP_2)
	v_cvt_f64_u32_e32 v[6:7], v2
	v_mov_b32_e32 v9, v8
	global_store_b128 v[0:1], v[6:9], off
.LBB86_107:
	s_and_not1_b32 vcc_lo, exec_lo, s17
	s_cbranch_vccnz .LBB86_109
; %bb.108:
	s_wait_xcnt 0x0
	v_cndmask_b32_e64 v2, 0, 1.0, s0
	v_mov_b32_e32 v3, 0
	global_store_b64 v[0:1], v[2:3], off
.LBB86_109:
	s_mov_b32 s17, 0
.LBB86_110:
	s_delay_alu instid0(SALU_CYCLE_1)
	s_and_not1_b32 vcc_lo, exec_lo, s17
	s_cbranch_vccnz .LBB86_112
; %bb.111:
	s_wait_xcnt 0x0
	v_cndmask_b32_e64 v2, 0, 1.0, s0
	s_delay_alu instid0(VALU_DEP_1) | instskip(NEXT) | instid1(VALU_DEP_1)
	v_cvt_f16_f32_e32 v2, v2
	v_and_b32_e32 v2, 0xffff, v2
	global_store_b32 v[0:1], v2, off
.LBB86_112:
	s_mov_b32 s17, 0
.LBB86_113:
	s_delay_alu instid0(SALU_CYCLE_1)
	s_and_not1_b32 vcc_lo, exec_lo, s17
	s_cbranch_vccnz .LBB86_122
; %bb.114:
	s_cmp_lt_i32 s12, 6
	s_mov_b32 s17, -1
	s_cbranch_scc1 .LBB86_120
; %bb.115:
	s_cmp_gt_i32 s12, 6
	s_cbranch_scc0 .LBB86_117
; %bb.116:
	s_wait_xcnt 0x0
	v_cndmask_b32_e64 v2, 0, 1, s0
	s_mov_b32 s17, 0
	s_delay_alu instid0(VALU_DEP_1)
	v_cvt_f64_u32_e32 v[2:3], v2
	global_store_b64 v[0:1], v[2:3], off
.LBB86_117:
	s_and_not1_b32 vcc_lo, exec_lo, s17
	s_cbranch_vccnz .LBB86_119
; %bb.118:
	s_wait_xcnt 0x0
	v_cndmask_b32_e64 v2, 0, 1.0, s0
	global_store_b32 v[0:1], v2, off
.LBB86_119:
	s_mov_b32 s17, 0
.LBB86_120:
	s_delay_alu instid0(SALU_CYCLE_1)
	s_and_not1_b32 vcc_lo, exec_lo, s17
	s_cbranch_vccnz .LBB86_122
; %bb.121:
	s_wait_xcnt 0x0
	v_cndmask_b32_e64 v2, 0, 1.0, s0
	s_delay_alu instid0(VALU_DEP_1)
	v_cvt_f16_f32_e32 v2, v2
	global_store_b16 v[0:1], v2, off
.LBB86_122:
	s_mov_b32 s17, 0
.LBB86_123:
	s_delay_alu instid0(SALU_CYCLE_1)
	s_and_not1_b32 vcc_lo, exec_lo, s17
	s_cbranch_vccnz .LBB86_139
; %bb.124:
	s_cmp_lt_i32 s12, 2
	s_mov_b32 s17, -1
	s_cbranch_scc1 .LBB86_134
; %bb.125:
	s_cmp_lt_i32 s12, 3
	s_cbranch_scc1 .LBB86_131
; %bb.126:
	s_cmp_gt_i32 s12, 3
	s_cbranch_scc0 .LBB86_128
; %bb.127:
	s_mov_b32 s17, 0
	s_wait_xcnt 0x0
	v_cndmask_b32_e64 v2, 0, 1, s0
	v_mov_b32_e32 v3, s17
	global_store_b64 v[0:1], v[2:3], off
.LBB86_128:
	s_and_not1_b32 vcc_lo, exec_lo, s17
	s_cbranch_vccnz .LBB86_130
; %bb.129:
	s_wait_xcnt 0x0
	v_cndmask_b32_e64 v2, 0, 1, s0
	global_store_b32 v[0:1], v2, off
.LBB86_130:
	s_mov_b32 s17, 0
.LBB86_131:
	s_delay_alu instid0(SALU_CYCLE_1)
	s_and_not1_b32 vcc_lo, exec_lo, s17
	s_cbranch_vccnz .LBB86_133
; %bb.132:
	s_wait_xcnt 0x0
	v_cndmask_b32_e64 v2, 0, 1, s0
	global_store_b16 v[0:1], v2, off
.LBB86_133:
	s_mov_b32 s17, 0
.LBB86_134:
	s_delay_alu instid0(SALU_CYCLE_1)
	s_and_not1_b32 vcc_lo, exec_lo, s17
	s_cbranch_vccnz .LBB86_139
; %bb.135:
	s_wait_xcnt 0x0
	v_cndmask_b32_e64 v2, 0, 1, s0
	s_cmp_gt_i32 s12, 0
	s_mov_b32 s0, -1
	s_cbranch_scc0 .LBB86_137
; %bb.136:
	s_mov_b32 s0, 0
	global_store_b8 v[0:1], v2, off
.LBB86_137:
	s_and_not1_b32 vcc_lo, exec_lo, s0
	s_cbranch_vccnz .LBB86_139
; %bb.138:
	global_store_b8 v[0:1], v2, off
.LBB86_139:
.LBB86_140:
	v_add_nc_u32_e32 v4, 0x80, v4
	s_mov_b32 s0, -1
	s_branch .LBB86_251
.LBB86_141:
	s_mov_b32 s14, -1
                                        ; implicit-def: $vgpr2
.LBB86_142:
	s_mov_b32 s12, 0
.LBB86_143:
	s_delay_alu instid0(SALU_CYCLE_1)
	s_and_b32 vcc_lo, exec_lo, s12
	s_cbranch_vccz .LBB86_147
; %bb.144:
	s_cmp_eq_u32 s0, 29
	s_cbranch_scc0 .LBB86_146
; %bb.145:
	global_load_b64 v[2:3], v[0:1], off
	s_mov_b32 s1, -1
	s_mov_b32 s14, 0
	s_mov_b32 s12, 0
	s_wait_loadcnt 0x0
	v_clz_i32_u32_e32 v5, v3
	s_delay_alu instid0(VALU_DEP_1) | instskip(NEXT) | instid1(VALU_DEP_1)
	v_min_u32_e32 v5, 32, v5
	v_lshlrev_b64_e32 v[2:3], v5, v[2:3]
	s_delay_alu instid0(VALU_DEP_1) | instskip(NEXT) | instid1(VALU_DEP_1)
	v_min_u32_e32 v2, 1, v2
	v_dual_sub_nc_u32 v3, 32, v5 :: v_dual_bitop2_b32 v2, v3, v2 bitop3:0x54
	s_delay_alu instid0(VALU_DEP_1) | instskip(NEXT) | instid1(VALU_DEP_1)
	v_cvt_f32_u32_e32 v2, v2
	v_ldexp_f32 v2, v2, v3
	s_delay_alu instid0(VALU_DEP_1)
	v_cvt_f16_f32_e32 v2, v2
	s_branch .LBB86_148
.LBB86_146:
	s_mov_b32 s14, -1
                                        ; implicit-def: $vgpr2
.LBB86_147:
	s_mov_b32 s12, 0
.LBB86_148:
	s_delay_alu instid0(SALU_CYCLE_1)
	s_and_b32 vcc_lo, exec_lo, s12
	s_cbranch_vccz .LBB86_166
; %bb.149:
	s_cmp_lt_i32 s0, 27
	s_cbranch_scc1 .LBB86_152
; %bb.150:
	s_cmp_gt_i32 s0, 27
	s_cbranch_scc0 .LBB86_153
; %bb.151:
	global_load_b32 v2, v[0:1], off
	s_mov_b32 s1, 0
	s_wait_loadcnt 0x0
	v_cvt_f32_u32_e32 v2, v2
	s_delay_alu instid0(VALU_DEP_1)
	v_cvt_f16_f32_e32 v2, v2
	s_branch .LBB86_154
.LBB86_152:
	s_mov_b32 s1, -1
                                        ; implicit-def: $vgpr2
	s_branch .LBB86_157
.LBB86_153:
	s_mov_b32 s1, -1
                                        ; implicit-def: $vgpr2
.LBB86_154:
	s_delay_alu instid0(SALU_CYCLE_1)
	s_and_not1_b32 vcc_lo, exec_lo, s1
	s_cbranch_vccnz .LBB86_156
; %bb.155:
	global_load_u16 v2, v[0:1], off
	s_wait_loadcnt 0x0
	v_cvt_f16_u16_e32 v2, v2
.LBB86_156:
	s_mov_b32 s1, 0
.LBB86_157:
	s_delay_alu instid0(SALU_CYCLE_1)
	s_and_not1_b32 vcc_lo, exec_lo, s1
	s_cbranch_vccnz .LBB86_165
; %bb.158:
	global_load_u8 v3, v[0:1], off
	s_mov_b32 s1, 0
	s_mov_b32 s12, exec_lo
	s_wait_loadcnt 0x0
	v_cmpx_lt_i16_e32 0x7f, v3
	s_xor_b32 s12, exec_lo, s12
	s_cbranch_execz .LBB86_178
; %bb.159:
	s_mov_b32 s1, -1
	s_mov_b32 s17, exec_lo
	v_cmpx_eq_u16_e32 0x80, v3
; %bb.160:
	s_xor_b32 s1, exec_lo, -1
; %bb.161:
	s_or_b32 exec_lo, exec_lo, s17
	s_delay_alu instid0(SALU_CYCLE_1)
	s_and_b32 s1, s1, exec_lo
	s_or_saveexec_b32 s12, s12
	v_mov_b32_e32 v2, 0x7e00
	s_xor_b32 exec_lo, exec_lo, s12
	s_cbranch_execnz .LBB86_179
.LBB86_162:
	s_or_b32 exec_lo, exec_lo, s12
	s_and_saveexec_b32 s12, s1
	s_cbranch_execz .LBB86_164
.LBB86_163:
	v_and_b32_e32 v2, 0xffff, v3
	s_delay_alu instid0(VALU_DEP_1) | instskip(SKIP_1) | instid1(VALU_DEP_2)
	v_dual_lshlrev_b32 v3, 24, v3 :: v_dual_bitop2_b32 v5, 7, v2 bitop3:0x40
	v_bfe_u32 v8, v2, 3, 4
	v_and_b32_e32 v3, 0x80000000, v3
	s_delay_alu instid0(VALU_DEP_3) | instskip(NEXT) | instid1(VALU_DEP_3)
	v_clz_i32_u32_e32 v6, v5
	v_cmp_eq_u32_e32 vcc_lo, 0, v8
	s_delay_alu instid0(VALU_DEP_2) | instskip(NEXT) | instid1(VALU_DEP_1)
	v_min_u32_e32 v6, 32, v6
	v_subrev_nc_u32_e32 v7, 28, v6
	v_sub_nc_u32_e32 v6, 29, v6
	s_delay_alu instid0(VALU_DEP_2) | instskip(NEXT) | instid1(VALU_DEP_2)
	v_lshlrev_b32_e32 v2, v7, v2
	v_cndmask_b32_e32 v6, v8, v6, vcc_lo
	s_delay_alu instid0(VALU_DEP_2) | instskip(NEXT) | instid1(VALU_DEP_1)
	v_and_b32_e32 v2, 7, v2
	v_cndmask_b32_e32 v2, v5, v2, vcc_lo
	s_delay_alu instid0(VALU_DEP_3) | instskip(NEXT) | instid1(VALU_DEP_2)
	v_lshl_add_u32 v5, v6, 23, 0x3b800000
	v_lshlrev_b32_e32 v2, 20, v2
	s_delay_alu instid0(VALU_DEP_1) | instskip(NEXT) | instid1(VALU_DEP_1)
	v_or3_b32 v2, v3, v5, v2
	v_cvt_f16_f32_e32 v2, v2
.LBB86_164:
	s_or_b32 exec_lo, exec_lo, s12
.LBB86_165:
	s_mov_b32 s1, -1
.LBB86_166:
	s_branch .LBB86_201
.LBB86_167:
	s_cmp_gt_i32 s0, 22
	s_cbranch_scc0 .LBB86_177
; %bb.168:
	s_cmp_lt_i32 s0, 24
	s_cbranch_scc1 .LBB86_180
; %bb.169:
	s_cmp_gt_i32 s0, 24
	s_cbranch_scc0 .LBB86_181
; %bb.170:
	global_load_u8 v3, v[0:1], off
	s_mov_b32 s1, 0
	s_mov_b32 s12, exec_lo
	s_wait_loadcnt 0x0
	v_cmpx_lt_i16_e32 0x7f, v3
	s_xor_b32 s12, exec_lo, s12
	s_cbranch_execz .LBB86_193
; %bb.171:
	s_mov_b32 s1, -1
	s_mov_b32 s17, exec_lo
	v_cmpx_eq_u16_e32 0x80, v3
; %bb.172:
	s_xor_b32 s1, exec_lo, -1
; %bb.173:
	s_or_b32 exec_lo, exec_lo, s17
	s_delay_alu instid0(SALU_CYCLE_1)
	s_and_b32 s1, s1, exec_lo
	s_or_saveexec_b32 s12, s12
	v_mov_b32_e32 v2, 0x7e00
	s_xor_b32 exec_lo, exec_lo, s12
	s_cbranch_execnz .LBB86_194
.LBB86_174:
	s_or_b32 exec_lo, exec_lo, s12
	s_and_saveexec_b32 s12, s1
	s_cbranch_execz .LBB86_176
.LBB86_175:
	v_and_b32_e32 v2, 0xffff, v3
	s_delay_alu instid0(VALU_DEP_1) | instskip(SKIP_1) | instid1(VALU_DEP_2)
	v_dual_lshlrev_b32 v3, 24, v3 :: v_dual_bitop2_b32 v5, 3, v2 bitop3:0x40
	v_bfe_u32 v8, v2, 2, 5
	v_and_b32_e32 v3, 0x80000000, v3
	s_delay_alu instid0(VALU_DEP_3) | instskip(NEXT) | instid1(VALU_DEP_3)
	v_clz_i32_u32_e32 v6, v5
	v_cmp_eq_u32_e32 vcc_lo, 0, v8
	s_delay_alu instid0(VALU_DEP_2) | instskip(NEXT) | instid1(VALU_DEP_1)
	v_min_u32_e32 v6, 32, v6
	v_subrev_nc_u32_e32 v7, 29, v6
	v_sub_nc_u32_e32 v6, 30, v6
	s_delay_alu instid0(VALU_DEP_2) | instskip(NEXT) | instid1(VALU_DEP_2)
	v_lshlrev_b32_e32 v2, v7, v2
	v_cndmask_b32_e32 v6, v8, v6, vcc_lo
	s_delay_alu instid0(VALU_DEP_2) | instskip(NEXT) | instid1(VALU_DEP_1)
	v_and_b32_e32 v2, 3, v2
	v_cndmask_b32_e32 v2, v5, v2, vcc_lo
	s_delay_alu instid0(VALU_DEP_3) | instskip(NEXT) | instid1(VALU_DEP_2)
	v_lshl_add_u32 v5, v6, 23, 0x37800000
	v_lshlrev_b32_e32 v2, 21, v2
	s_delay_alu instid0(VALU_DEP_1) | instskip(NEXT) | instid1(VALU_DEP_1)
	v_or3_b32 v2, v3, v5, v2
	v_cvt_f16_f32_e32 v2, v2
.LBB86_176:
	s_or_b32 exec_lo, exec_lo, s12
	s_mov_b32 s1, 0
	s_branch .LBB86_182
.LBB86_177:
	s_mov_b32 s12, -1
                                        ; implicit-def: $vgpr2
	s_branch .LBB86_188
.LBB86_178:
	s_or_saveexec_b32 s12, s12
	v_mov_b32_e32 v2, 0x7e00
	s_xor_b32 exec_lo, exec_lo, s12
	s_cbranch_execz .LBB86_162
.LBB86_179:
	v_cmp_ne_u16_e32 vcc_lo, 0, v3
	v_mov_b32_e32 v2, v3
	s_and_not1_b32 s1, s1, exec_lo
	s_and_b32 s17, vcc_lo, exec_lo
	s_delay_alu instid0(SALU_CYCLE_1)
	s_or_b32 s1, s1, s17
	s_or_b32 exec_lo, exec_lo, s12
	s_and_saveexec_b32 s12, s1
	s_cbranch_execnz .LBB86_163
	s_branch .LBB86_164
.LBB86_180:
	s_mov_b32 s1, -1
                                        ; implicit-def: $vgpr2
	s_branch .LBB86_185
.LBB86_181:
	s_mov_b32 s1, -1
                                        ; implicit-def: $vgpr2
.LBB86_182:
	s_delay_alu instid0(SALU_CYCLE_1)
	s_and_b32 vcc_lo, exec_lo, s1
	s_cbranch_vccz .LBB86_184
; %bb.183:
	global_load_u8 v2, v[0:1], off
	s_wait_loadcnt 0x0
	v_lshlrev_b32_e32 v2, 24, v2
	s_delay_alu instid0(VALU_DEP_1) | instskip(NEXT) | instid1(VALU_DEP_1)
	v_and_b32_e32 v3, 0x7f000000, v2
	v_clz_i32_u32_e32 v5, v3
	v_add_nc_u32_e32 v7, 0x1000000, v3
	v_cmp_ne_u32_e32 vcc_lo, 0, v3
	s_delay_alu instid0(VALU_DEP_3) | instskip(NEXT) | instid1(VALU_DEP_1)
	v_min_u32_e32 v5, 32, v5
	v_sub_nc_u32_e64 v5, v5, 4 clamp
	s_delay_alu instid0(VALU_DEP_1) | instskip(NEXT) | instid1(VALU_DEP_1)
	v_dual_lshlrev_b32 v6, v5, v3 :: v_dual_lshlrev_b32 v5, 23, v5
	v_lshrrev_b32_e32 v6, 4, v6
	s_delay_alu instid0(VALU_DEP_1) | instskip(NEXT) | instid1(VALU_DEP_1)
	v_dual_sub_nc_u32 v5, v6, v5 :: v_dual_ashrrev_i32 v6, 8, v7
	v_add_nc_u32_e32 v5, 0x3c000000, v5
	s_delay_alu instid0(VALU_DEP_1) | instskip(NEXT) | instid1(VALU_DEP_1)
	v_and_or_b32 v5, 0x7f800000, v6, v5
	v_cndmask_b32_e32 v3, 0, v5, vcc_lo
	s_delay_alu instid0(VALU_DEP_1) | instskip(NEXT) | instid1(VALU_DEP_1)
	v_and_or_b32 v2, 0x80000000, v2, v3
	v_cvt_f16_f32_e32 v2, v2
.LBB86_184:
	s_mov_b32 s1, 0
.LBB86_185:
	s_delay_alu instid0(SALU_CYCLE_1)
	s_and_not1_b32 vcc_lo, exec_lo, s1
	s_cbranch_vccnz .LBB86_187
; %bb.186:
	global_load_u8 v2, v[0:1], off
	s_wait_loadcnt 0x0
	v_lshlrev_b32_e32 v3, 25, v2
	v_lshlrev_b16 v2, 8, v2
	s_delay_alu instid0(VALU_DEP_2) | instskip(NEXT) | instid1(VALU_DEP_2)
	v_cmp_gt_u32_e32 vcc_lo, 0x8000000, v3
	v_and_or_b32 v6, 0x7f00, v2, 0.5
	v_lshrrev_b32_e32 v5, 4, v3
	v_bfe_i32 v2, v2, 0, 16
	s_delay_alu instid0(VALU_DEP_3) | instskip(NEXT) | instid1(VALU_DEP_3)
	v_add_f32_e32 v6, -0.5, v6
	v_or_b32_e32 v5, 0x70000000, v5
	s_delay_alu instid0(VALU_DEP_1) | instskip(NEXT) | instid1(VALU_DEP_1)
	v_mul_f32_e32 v5, 0x7800000, v5
	v_cndmask_b32_e32 v3, v5, v6, vcc_lo
	s_delay_alu instid0(VALU_DEP_1) | instskip(NEXT) | instid1(VALU_DEP_1)
	v_and_or_b32 v2, 0x80000000, v2, v3
	v_cvt_f16_f32_e32 v2, v2
.LBB86_187:
	s_mov_b32 s12, 0
	s_mov_b32 s1, -1
.LBB86_188:
	s_and_not1_b32 vcc_lo, exec_lo, s12
	s_cbranch_vccnz .LBB86_201
; %bb.189:
	s_cmp_gt_i32 s0, 14
	s_cbranch_scc0 .LBB86_192
; %bb.190:
	s_cmp_eq_u32 s0, 15
	s_cbranch_scc0 .LBB86_195
; %bb.191:
	global_load_u16 v2, v[0:1], off
	s_mov_b32 s1, -1
	s_mov_b32 s14, 0
	s_wait_loadcnt 0x0
	v_lshlrev_b32_e32 v2, 16, v2
	s_delay_alu instid0(VALU_DEP_1)
	v_cvt_f16_f32_e32 v2, v2
	s_branch .LBB86_196
.LBB86_192:
	s_mov_b32 s12, -1
                                        ; implicit-def: $vgpr2
	s_branch .LBB86_197
.LBB86_193:
	s_or_saveexec_b32 s12, s12
	v_mov_b32_e32 v2, 0x7e00
	s_xor_b32 exec_lo, exec_lo, s12
	s_cbranch_execz .LBB86_174
.LBB86_194:
	v_cmp_ne_u16_e32 vcc_lo, 0, v3
	v_mov_b32_e32 v2, v3
	s_and_not1_b32 s1, s1, exec_lo
	s_and_b32 s17, vcc_lo, exec_lo
	s_delay_alu instid0(SALU_CYCLE_1)
	s_or_b32 s1, s1, s17
	s_or_b32 exec_lo, exec_lo, s12
	s_and_saveexec_b32 s12, s1
	s_cbranch_execnz .LBB86_175
	s_branch .LBB86_176
.LBB86_195:
	s_mov_b32 s14, -1
                                        ; implicit-def: $vgpr2
.LBB86_196:
	s_mov_b32 s12, 0
.LBB86_197:
	s_delay_alu instid0(SALU_CYCLE_1)
	s_and_b32 vcc_lo, exec_lo, s12
	s_cbranch_vccz .LBB86_201
; %bb.198:
	s_cmp_eq_u32 s0, 11
	s_cbranch_scc0 .LBB86_200
; %bb.199:
	global_load_u8 v2, v[0:1], off
	s_mov_b32 s14, 0
	s_mov_b32 s1, -1
	s_wait_loadcnt 0x0
	v_cmp_ne_u16_e32 vcc_lo, 0, v2
	v_cndmask_b32_e64 v2, 0, 0x3c00, vcc_lo
	s_branch .LBB86_201
.LBB86_200:
	s_mov_b32 s14, -1
                                        ; implicit-def: $vgpr2
.LBB86_201:
	s_branch .LBB86_10
.LBB86_202:
	s_cmp_lt_i32 s0, 5
	s_cbranch_scc1 .LBB86_207
; %bb.203:
	s_cmp_lt_i32 s0, 8
	s_cbranch_scc1 .LBB86_208
; %bb.204:
	;; [unrolled: 3-line block ×3, first 2 shown]
	s_cmp_gt_i32 s0, 9
	s_cbranch_scc0 .LBB86_210
; %bb.206:
	global_load_b64 v[2:3], v[0:1], off
	s_mov_b32 s1, 0
	s_wait_loadcnt 0x0
	v_and_or_b32 v2, 0x1ff, v3, v2
	v_lshrrev_b32_e32 v5, 8, v3
	v_bfe_u32 v6, v3, 20, 11
	v_lshrrev_b32_e32 v3, 16, v3
	s_delay_alu instid0(VALU_DEP_4) | instskip(NEXT) | instid1(VALU_DEP_3)
	v_cmp_ne_u32_e32 vcc_lo, 0, v2
	v_sub_nc_u32_e32 v7, 0x3f1, v6
	v_add_nc_u32_e32 v6, 0xfffffc10, v6
	v_cndmask_b32_e64 v2, 0, 1, vcc_lo
	s_delay_alu instid0(VALU_DEP_1) | instskip(NEXT) | instid1(VALU_DEP_4)
	v_and_or_b32 v2, 0xffe, v5, v2
	v_med3_i32 v5, v7, 0, 13
	s_delay_alu instid0(VALU_DEP_2) | instskip(NEXT) | instid1(VALU_DEP_1)
	v_or_b32_e32 v7, 0x1000, v2
	v_lshrrev_b32_e32 v8, v5, v7
	s_delay_alu instid0(VALU_DEP_1) | instskip(NEXT) | instid1(VALU_DEP_1)
	v_lshlrev_b32_e32 v5, v5, v8
	v_cmp_ne_u32_e32 vcc_lo, v5, v7
	v_lshl_or_b32 v7, v6, 12, v2
	v_cndmask_b32_e64 v5, 0, 1, vcc_lo
	v_cmp_gt_i32_e32 vcc_lo, 1, v6
	s_delay_alu instid0(VALU_DEP_2) | instskip(NEXT) | instid1(VALU_DEP_1)
	v_or_b32_e32 v5, v8, v5
	v_cndmask_b32_e32 v5, v7, v5, vcc_lo
	s_delay_alu instid0(VALU_DEP_1) | instskip(NEXT) | instid1(VALU_DEP_1)
	v_dual_lshrrev_b32 v5, 2, v5 :: v_dual_bitop2_b32 v7, 7, v5 bitop3:0x40
	v_cmp_lt_i32_e32 vcc_lo, 5, v7
	v_cndmask_b32_e64 v8, 0, 1, vcc_lo
	v_cmp_eq_u32_e32 vcc_lo, 3, v7
	v_cndmask_b32_e64 v7, 0, 1, vcc_lo
	v_cmp_ne_u32_e32 vcc_lo, 0, v2
	s_delay_alu instid0(VALU_DEP_2) | instskip(NEXT) | instid1(VALU_DEP_1)
	v_or_b32_e32 v7, v7, v8
	v_dual_mov_b32 v8, 0x7e00 :: v_dual_add_nc_u32 v5, v5, v7
	s_delay_alu instid0(VALU_DEP_1) | instskip(SKIP_1) | instid1(VALU_DEP_3)
	v_cndmask_b32_e32 v2, 0x7c00, v8, vcc_lo
	v_cmp_gt_i32_e32 vcc_lo, 31, v6
	v_cndmask_b32_e32 v5, 0x7c00, v5, vcc_lo
	v_cmp_eq_u32_e32 vcc_lo, 0x40f, v6
	s_delay_alu instid0(VALU_DEP_2) | instskip(NEXT) | instid1(VALU_DEP_1)
	v_cndmask_b32_e32 v2, v5, v2, vcc_lo
	v_and_or_b32 v2, 0x8000, v3, v2
	s_branch .LBB86_211
.LBB86_207:
                                        ; implicit-def: $vgpr2
	s_branch .LBB86_229
.LBB86_208:
	s_mov_b32 s1, -1
                                        ; implicit-def: $vgpr2
	s_branch .LBB86_217
.LBB86_209:
	s_mov_b32 s1, -1
                                        ; implicit-def: $vgpr2
	s_branch .LBB86_214
.LBB86_210:
	s_mov_b32 s1, -1
                                        ; implicit-def: $vgpr2
.LBB86_211:
	s_delay_alu instid0(SALU_CYCLE_1)
	s_and_not1_b32 vcc_lo, exec_lo, s1
	s_cbranch_vccnz .LBB86_213
; %bb.212:
	global_load_b32 v2, v[0:1], off
	s_wait_loadcnt 0x0
	v_cvt_f16_f32_e32 v2, v2
.LBB86_213:
	s_mov_b32 s1, 0
.LBB86_214:
	s_delay_alu instid0(SALU_CYCLE_1)
	s_and_not1_b32 vcc_lo, exec_lo, s1
	s_cbranch_vccnz .LBB86_216
; %bb.215:
	global_load_b32 v2, v[0:1], off
.LBB86_216:
	s_mov_b32 s1, 0
.LBB86_217:
	s_delay_alu instid0(SALU_CYCLE_1)
	s_and_not1_b32 vcc_lo, exec_lo, s1
	s_cbranch_vccnz .LBB86_228
; %bb.218:
	s_cmp_lt_i32 s0, 6
	s_cbranch_scc1 .LBB86_221
; %bb.219:
	s_cmp_gt_i32 s0, 6
	s_cbranch_scc0 .LBB86_222
; %bb.220:
	s_wait_loadcnt 0x0
	global_load_b64 v[2:3], v[0:1], off
	s_mov_b32 s1, 0
	s_wait_loadcnt 0x0
	v_and_or_b32 v2, 0x1ff, v3, v2
	v_lshrrev_b32_e32 v5, 8, v3
	v_bfe_u32 v6, v3, 20, 11
	v_lshrrev_b32_e32 v3, 16, v3
	s_delay_alu instid0(VALU_DEP_4) | instskip(NEXT) | instid1(VALU_DEP_3)
	v_cmp_ne_u32_e32 vcc_lo, 0, v2
	v_sub_nc_u32_e32 v7, 0x3f1, v6
	v_add_nc_u32_e32 v6, 0xfffffc10, v6
	v_cndmask_b32_e64 v2, 0, 1, vcc_lo
	s_delay_alu instid0(VALU_DEP_1) | instskip(NEXT) | instid1(VALU_DEP_4)
	v_and_or_b32 v2, 0xffe, v5, v2
	v_med3_i32 v5, v7, 0, 13
	s_delay_alu instid0(VALU_DEP_2) | instskip(NEXT) | instid1(VALU_DEP_1)
	v_or_b32_e32 v7, 0x1000, v2
	v_lshrrev_b32_e32 v8, v5, v7
	s_delay_alu instid0(VALU_DEP_1) | instskip(NEXT) | instid1(VALU_DEP_1)
	v_lshlrev_b32_e32 v5, v5, v8
	v_cmp_ne_u32_e32 vcc_lo, v5, v7
	v_lshl_or_b32 v7, v6, 12, v2
	v_cndmask_b32_e64 v5, 0, 1, vcc_lo
	v_cmp_gt_i32_e32 vcc_lo, 1, v6
	s_delay_alu instid0(VALU_DEP_2) | instskip(NEXT) | instid1(VALU_DEP_1)
	v_or_b32_e32 v5, v8, v5
	v_cndmask_b32_e32 v5, v7, v5, vcc_lo
	s_delay_alu instid0(VALU_DEP_1) | instskip(NEXT) | instid1(VALU_DEP_1)
	v_dual_lshrrev_b32 v5, 2, v5 :: v_dual_bitop2_b32 v7, 7, v5 bitop3:0x40
	v_cmp_lt_i32_e32 vcc_lo, 5, v7
	v_cndmask_b32_e64 v8, 0, 1, vcc_lo
	v_cmp_eq_u32_e32 vcc_lo, 3, v7
	v_cndmask_b32_e64 v7, 0, 1, vcc_lo
	v_cmp_ne_u32_e32 vcc_lo, 0, v2
	s_delay_alu instid0(VALU_DEP_2) | instskip(NEXT) | instid1(VALU_DEP_1)
	v_or_b32_e32 v7, v7, v8
	v_dual_mov_b32 v8, 0x7e00 :: v_dual_add_nc_u32 v5, v5, v7
	s_delay_alu instid0(VALU_DEP_1) | instskip(SKIP_1) | instid1(VALU_DEP_3)
	v_cndmask_b32_e32 v2, 0x7c00, v8, vcc_lo
	v_cmp_gt_i32_e32 vcc_lo, 31, v6
	v_cndmask_b32_e32 v5, 0x7c00, v5, vcc_lo
	v_cmp_eq_u32_e32 vcc_lo, 0x40f, v6
	s_delay_alu instid0(VALU_DEP_2) | instskip(NEXT) | instid1(VALU_DEP_1)
	v_cndmask_b32_e32 v2, v5, v2, vcc_lo
	v_and_or_b32 v2, 0x8000, v3, v2
	s_branch .LBB86_223
.LBB86_221:
	s_mov_b32 s1, -1
                                        ; implicit-def: $vgpr2
	s_branch .LBB86_226
.LBB86_222:
	s_mov_b32 s1, -1
                                        ; implicit-def: $vgpr2
.LBB86_223:
	s_delay_alu instid0(SALU_CYCLE_1)
	s_and_not1_b32 vcc_lo, exec_lo, s1
	s_cbranch_vccnz .LBB86_225
; %bb.224:
	s_wait_loadcnt 0x0
	global_load_b32 v2, v[0:1], off
	s_wait_loadcnt 0x0
	v_cvt_f16_f32_e32 v2, v2
.LBB86_225:
	s_mov_b32 s1, 0
.LBB86_226:
	s_delay_alu instid0(SALU_CYCLE_1)
	s_and_not1_b32 vcc_lo, exec_lo, s1
	s_cbranch_vccnz .LBB86_228
; %bb.227:
	s_wait_loadcnt 0x0
	global_load_u16 v2, v[0:1], off
.LBB86_228:
	s_cbranch_execnz .LBB86_248
.LBB86_229:
	s_cmp_lt_i32 s0, 2
	s_cbranch_scc1 .LBB86_233
; %bb.230:
	s_cmp_lt_i32 s0, 3
	s_cbranch_scc1 .LBB86_234
; %bb.231:
	s_cmp_gt_i32 s0, 3
	s_cbranch_scc0 .LBB86_235
; %bb.232:
	s_wait_loadcnt 0x0
	global_load_b64 v[2:3], v[0:1], off
	s_mov_b32 s1, 0
	s_wait_loadcnt 0x0
	v_xor_b32_e32 v5, v2, v3
	v_cls_i32_e32 v6, v3
	s_delay_alu instid0(VALU_DEP_2) | instskip(NEXT) | instid1(VALU_DEP_1)
	v_ashrrev_i32_e32 v5, 31, v5
	v_add_nc_u32_e32 v5, 32, v5
	s_delay_alu instid0(VALU_DEP_1) | instskip(NEXT) | instid1(VALU_DEP_1)
	v_add_min_u32_e64 v5, v6, -1, v5
	v_lshlrev_b64_e32 v[2:3], v5, v[2:3]
	s_delay_alu instid0(VALU_DEP_1) | instskip(NEXT) | instid1(VALU_DEP_1)
	v_min_u32_e32 v2, 1, v2
	v_dual_sub_nc_u32 v3, 32, v5 :: v_dual_bitop2_b32 v2, v3, v2 bitop3:0x54
	s_delay_alu instid0(VALU_DEP_1) | instskip(NEXT) | instid1(VALU_DEP_1)
	v_cvt_f32_i32_e32 v2, v2
	v_ldexp_f32 v2, v2, v3
	s_delay_alu instid0(VALU_DEP_1)
	v_cvt_f16_f32_e32 v2, v2
	s_branch .LBB86_236
.LBB86_233:
	s_mov_b32 s1, -1
                                        ; implicit-def: $vgpr2
	s_branch .LBB86_242
.LBB86_234:
	s_mov_b32 s1, -1
                                        ; implicit-def: $vgpr2
	s_branch .LBB86_239
.LBB86_235:
	s_mov_b32 s1, -1
                                        ; implicit-def: $vgpr2
.LBB86_236:
	s_delay_alu instid0(SALU_CYCLE_1)
	s_and_not1_b32 vcc_lo, exec_lo, s1
	s_cbranch_vccnz .LBB86_238
; %bb.237:
	s_wait_loadcnt 0x0
	global_load_b32 v2, v[0:1], off
	s_wait_loadcnt 0x0
	v_cvt_f32_i32_e32 v2, v2
	s_delay_alu instid0(VALU_DEP_1)
	v_cvt_f16_f32_e32 v2, v2
.LBB86_238:
	s_mov_b32 s1, 0
.LBB86_239:
	s_delay_alu instid0(SALU_CYCLE_1)
	s_and_not1_b32 vcc_lo, exec_lo, s1
	s_cbranch_vccnz .LBB86_241
; %bb.240:
	s_wait_loadcnt 0x0
	global_load_u16 v2, v[0:1], off
	s_wait_loadcnt 0x0
	v_cvt_f16_i16_e32 v2, v2
.LBB86_241:
	s_mov_b32 s1, 0
.LBB86_242:
	s_delay_alu instid0(SALU_CYCLE_1)
	s_and_not1_b32 vcc_lo, exec_lo, s1
	s_cbranch_vccnz .LBB86_248
; %bb.243:
	s_cmp_gt_i32 s0, 0
	s_mov_b32 s0, 0
	s_cbranch_scc0 .LBB86_245
; %bb.244:
	s_wait_loadcnt 0x0
	global_load_i8 v2, v[0:1], off
	s_wait_loadcnt 0x0
	v_cvt_f16_i16_e32 v2, v2
	s_branch .LBB86_246
.LBB86_245:
	s_mov_b32 s0, -1
                                        ; implicit-def: $vgpr2
.LBB86_246:
	s_delay_alu instid0(SALU_CYCLE_1)
	s_and_not1_b32 vcc_lo, exec_lo, s0
	s_cbranch_vccnz .LBB86_248
; %bb.247:
	global_load_u8 v0, v[0:1], off
	s_wait_loadcnt 0x0
	v_cvt_f16_u16_e32 v2, v0
.LBB86_248:
	s_branch .LBB86_11
.LBB86_249:
	s_mov_b32 s1, 0
.LBB86_250:
	s_mov_b32 s0, 0
                                        ; implicit-def: $vgpr4
.LBB86_251:
	s_and_b32 s12, s1, exec_lo
	s_and_b32 s14, s14, exec_lo
	s_or_not1_b32 s1, s0, exec_lo
.LBB86_252:
	s_wait_xcnt 0x0
	s_or_b32 exec_lo, exec_lo, s15
	s_mov_b32 s17, 0
	s_mov_b32 s0, 0
                                        ; implicit-def: $vgpr0_vgpr1
                                        ; implicit-def: $vgpr2
	s_and_saveexec_b32 s15, s1
	s_cbranch_execz .LBB86_261
; %bb.253:
	s_mov_b32 s0, -1
	s_mov_b32 s16, s14
	s_mov_b32 s17, s12
	s_mov_b32 s18, exec_lo
	v_cmpx_gt_i32_e64 s13, v4
	s_cbranch_execz .LBB86_515
; %bb.254:
	v_mul_lo_u32 v0, v4, s3
	s_and_b32 s0, 0xffff, s10
	s_delay_alu instid0(SALU_CYCLE_1) | instskip(NEXT) | instid1(VALU_DEP_1)
	s_cmp_lt_i32 s0, 11
	v_ashrrev_i32_e32 v1, 31, v0
	s_delay_alu instid0(VALU_DEP_1)
	v_add_nc_u64_e32 v[0:1], s[6:7], v[0:1]
	s_cbranch_scc1 .LBB86_264
; %bb.255:
	s_cmp_gt_i32 s0, 25
	s_cbranch_scc0 .LBB86_273
; %bb.256:
	s_cmp_gt_i32 s0, 28
	s_cbranch_scc0 .LBB86_275
; %bb.257:
	s_cmp_gt_i32 s0, 43
	s_cbranch_scc0 .LBB86_277
; %bb.258:
	s_cmp_gt_i32 s0, 45
	s_cbranch_scc0 .LBB86_281
; %bb.259:
	s_cmp_eq_u32 s0, 46
	s_mov_b32 s17, 0
	s_cbranch_scc0 .LBB86_285
; %bb.260:
	s_wait_loadcnt 0x0
	global_load_b32 v2, v[0:1], off
	s_mov_b32 s1, -1
	s_mov_b32 s16, 0
	s_wait_loadcnt 0x0
	v_lshlrev_b32_e32 v2, 16, v2
	s_delay_alu instid0(VALU_DEP_1)
	v_cvt_f16_f32_e32 v2, v2
	s_branch .LBB86_287
.LBB86_261:
	s_or_b32 exec_lo, exec_lo, s15
	s_mov_b32 s1, 0
	s_and_saveexec_b32 s13, s14
	s_cbranch_execnz .LBB86_863
.LBB86_262:
	s_or_b32 exec_lo, exec_lo, s13
	s_and_saveexec_b32 s13, s16
	s_delay_alu instid0(SALU_CYCLE_1)
	s_xor_b32 s13, exec_lo, s13
	s_cbranch_execz .LBB86_864
.LBB86_263:
	s_wait_loadcnt 0x0
	global_load_u8 v2, v[0:1], off
	s_or_b32 s0, s0, exec_lo
	s_wait_loadcnt 0x0
	v_cmp_ne_u16_e32 vcc_lo, 0, v2
	v_cndmask_b32_e64 v2, 0, 0x3c00, vcc_lo
	s_wait_xcnt 0x0
	s_or_b32 exec_lo, exec_lo, s13
	s_and_saveexec_b32 s13, s17
	s_cbranch_execz .LBB86_910
	s_branch .LBB86_865
.LBB86_264:
	s_mov_b32 s1, 0
	s_mov_b32 s16, s14
                                        ; implicit-def: $vgpr2
	s_cbranch_execnz .LBB86_464
.LBB86_265:
	s_and_not1_b32 vcc_lo, exec_lo, s1
	s_cbranch_vccnz .LBB86_512
.LBB86_266:
	s_wait_xcnt 0x0
	v_mul_lo_u32 v0, v4, s2
	s_wait_loadcnt 0x0
	v_cmp_eq_f16_e64 s0, 0xfc00, v2
	s_and_b32 s17, s8, 0xff
	s_delay_alu instid0(SALU_CYCLE_1) | instskip(SKIP_1) | instid1(VALU_DEP_1)
	s_cmp_lt_i32 s17, 11
	v_ashrrev_i32_e32 v1, 31, v0
	v_add_nc_u64_e32 v[0:1], s[4:5], v[0:1]
	s_cbranch_scc1 .LBB86_274
; %bb.267:
	s_and_b32 s19, 0xffff, s17
	s_delay_alu instid0(SALU_CYCLE_1)
	s_cmp_gt_i32 s19, 25
	s_cbranch_scc0 .LBB86_276
; %bb.268:
	s_cmp_gt_i32 s19, 28
	s_cbranch_scc0 .LBB86_278
; %bb.269:
	s_cmp_gt_i32 s19, 43
	s_cbranch_scc0 .LBB86_282
; %bb.270:
	s_cmp_gt_i32 s19, 45
	s_cbranch_scc0 .LBB86_290
; %bb.271:
	s_mov_b32 s21, 0
	s_mov_b32 s1, -1
	s_cmp_eq_u32 s19, 46
	s_mov_b32 s20, 0
	s_cbranch_scc0 .LBB86_291
; %bb.272:
	v_cndmask_b32_e64 v2, 0, 1.0, s0
	s_mov_b32 s20, -1
	s_mov_b32 s1, 0
	s_delay_alu instid0(VALU_DEP_1) | instskip(NEXT) | instid1(VALU_DEP_1)
	v_bfe_u32 v3, v2, 16, 1
	v_add3_u32 v2, v2, v3, 0x7fff
	s_delay_alu instid0(VALU_DEP_1)
	v_lshrrev_b32_e32 v2, 16, v2
	global_store_b32 v[0:1], v2, off
	s_branch .LBB86_291
.LBB86_273:
	s_mov_b32 s17, -1
	s_mov_b32 s1, 0
	s_mov_b32 s16, s14
                                        ; implicit-def: $vgpr2
	s_branch .LBB86_428
.LBB86_274:
	s_mov_b32 s19, -1
	s_mov_b32 s20, 0
	s_mov_b32 s1, s12
	s_branch .LBB86_360
.LBB86_275:
	s_mov_b32 s17, -1
	s_mov_b32 s1, 0
	s_mov_b32 s16, s14
                                        ; implicit-def: $vgpr2
	s_branch .LBB86_409
.LBB86_276:
	s_mov_b32 s21, -1
	s_mov_b32 s20, 0
	s_mov_b32 s1, s12
	s_branch .LBB86_318
.LBB86_277:
	s_mov_b32 s17, -1
	s_mov_b32 s1, 0
	s_mov_b32 s16, s14
                                        ; implicit-def: $vgpr2
	s_branch .LBB86_404
.LBB86_278:
	s_mov_b32 s21, -1
	s_mov_b32 s20, 0
	s_mov_b32 s1, s12
	s_branch .LBB86_301
.LBB86_279:
	s_and_not1_saveexec_b32 s20, s20
	s_cbranch_execz .LBB86_54
.LBB86_280:
	v_add_f32_e32 v2, 0x46000000, v3
	s_and_not1_b32 s19, s19, exec_lo
	s_delay_alu instid0(VALU_DEP_1) | instskip(NEXT) | instid1(VALU_DEP_1)
	v_and_b32_e32 v2, 0xff, v2
	v_cmp_ne_u32_e32 vcc_lo, 0, v2
	s_and_b32 s21, vcc_lo, exec_lo
	s_delay_alu instid0(SALU_CYCLE_1)
	s_or_b32 s19, s19, s21
	s_or_b32 exec_lo, exec_lo, s20
	v_mov_b32_e32 v5, 0
	s_and_saveexec_b32 s20, s19
	s_cbranch_execnz .LBB86_55
	s_branch .LBB86_56
.LBB86_281:
	s_mov_b32 s17, -1
	s_mov_b32 s1, 0
	s_mov_b32 s16, s14
	s_branch .LBB86_286
.LBB86_282:
	s_mov_b32 s21, -1
	s_mov_b32 s20, 0
	s_mov_b32 s1, s12
	s_branch .LBB86_297
.LBB86_283:
	s_and_not1_saveexec_b32 s20, s20
	s_cbranch_execz .LBB86_67
.LBB86_284:
	v_add_f32_e32 v2, 0x42800000, v3
	s_and_not1_b32 s19, s19, exec_lo
	s_delay_alu instid0(VALU_DEP_1) | instskip(NEXT) | instid1(VALU_DEP_1)
	v_and_b32_e32 v2, 0xff, v2
	v_cmp_ne_u32_e32 vcc_lo, 0, v2
	s_and_b32 s21, vcc_lo, exec_lo
	s_delay_alu instid0(SALU_CYCLE_1)
	s_or_b32 s19, s19, s21
	s_or_b32 exec_lo, exec_lo, s20
	v_mov_b32_e32 v5, 0
	s_and_saveexec_b32 s20, s19
	s_cbranch_execnz .LBB86_68
	s_branch .LBB86_69
.LBB86_285:
	s_mov_b32 s16, -1
	s_mov_b32 s1, 0
.LBB86_286:
                                        ; implicit-def: $vgpr2
.LBB86_287:
	s_and_b32 vcc_lo, exec_lo, s17
	s_cbranch_vccz .LBB86_403
; %bb.288:
	s_cmp_eq_u32 s0, 44
	s_cbranch_scc0 .LBB86_402
; %bb.289:
	s_wait_loadcnt 0x0
	global_load_u8 v2, v[0:1], off
	s_mov_b32 s16, 0
	s_mov_b32 s1, -1
	s_wait_loadcnt 0x0
	v_lshlrev_b32_e32 v3, 23, v2
	v_cmp_ne_u32_e32 vcc_lo, 0xff, v2
	s_delay_alu instid0(VALU_DEP_2) | instskip(NEXT) | instid1(VALU_DEP_1)
	v_cvt_f16_f32_e32 v3, v3
	v_cndmask_b32_e32 v3, 0x7e00, v3, vcc_lo
	v_cmp_ne_u32_e32 vcc_lo, 0, v2
	s_delay_alu instid0(VALU_DEP_2)
	v_cndmask_b32_e32 v2, 0, v3, vcc_lo
	s_branch .LBB86_403
.LBB86_290:
	s_mov_b32 s21, -1
	s_mov_b32 s20, 0
	s_mov_b32 s1, s12
.LBB86_291:
	s_and_b32 vcc_lo, exec_lo, s21
	s_cbranch_vccz .LBB86_296
; %bb.292:
	s_cmp_eq_u32 s19, 44
	s_mov_b32 s1, -1
	s_cbranch_scc0 .LBB86_296
; %bb.293:
	v_cndmask_b32_e64 v5, 0, 1.0, s0
	s_mov_b32 s20, exec_lo
	s_wait_xcnt 0x0
	s_delay_alu instid0(VALU_DEP_1) | instskip(NEXT) | instid1(VALU_DEP_1)
	v_dual_mov_b32 v3, 0xff :: v_dual_lshrrev_b32 v2, 23, v5
	v_cmpx_ne_u32_e32 0xff, v2
; %bb.294:
	v_and_b32_e32 v3, 0x400000, v5
	v_and_or_b32 v5, 0x3fffff, v5, v2
	s_delay_alu instid0(VALU_DEP_2) | instskip(NEXT) | instid1(VALU_DEP_2)
	v_cmp_ne_u32_e32 vcc_lo, 0, v3
	v_cmp_ne_u32_e64 s1, 0, v5
	s_and_b32 s1, vcc_lo, s1
	s_delay_alu instid0(SALU_CYCLE_1) | instskip(NEXT) | instid1(VALU_DEP_1)
	v_cndmask_b32_e64 v3, 0, 1, s1
	v_add_nc_u32_e32 v3, v2, v3
; %bb.295:
	s_or_b32 exec_lo, exec_lo, s20
	s_mov_b32 s20, -1
	s_mov_b32 s1, 0
	global_store_b8 v[0:1], v3, off
.LBB86_296:
	s_mov_b32 s21, 0
.LBB86_297:
	s_delay_alu instid0(SALU_CYCLE_1)
	s_and_b32 vcc_lo, exec_lo, s21
	s_cbranch_vccz .LBB86_300
; %bb.298:
	s_cmp_eq_u32 s19, 29
	s_mov_b32 s1, -1
	s_cbranch_scc0 .LBB86_300
; %bb.299:
	s_mov_b32 s1, 0
	s_wait_xcnt 0x0
	v_cndmask_b32_e64 v2, 0, 1, s0
	v_mov_b32_e32 v3, s1
	s_mov_b32 s20, -1
	s_mov_b32 s21, 0
	global_store_b64 v[0:1], v[2:3], off
	s_branch .LBB86_301
.LBB86_300:
	s_mov_b32 s21, 0
.LBB86_301:
	s_delay_alu instid0(SALU_CYCLE_1)
	s_and_b32 vcc_lo, exec_lo, s21
	s_cbranch_vccz .LBB86_317
; %bb.302:
	s_cmp_lt_i32 s19, 27
	s_mov_b32 s20, -1
	s_cbranch_scc1 .LBB86_308
; %bb.303:
	s_cmp_gt_i32 s19, 27
	s_cbranch_scc0 .LBB86_305
; %bb.304:
	s_wait_xcnt 0x0
	v_cndmask_b32_e64 v2, 0, 1, s0
	s_mov_b32 s20, 0
	global_store_b32 v[0:1], v2, off
.LBB86_305:
	s_and_not1_b32 vcc_lo, exec_lo, s20
	s_cbranch_vccnz .LBB86_307
; %bb.306:
	s_wait_xcnt 0x0
	v_cndmask_b32_e64 v2, 0, 1, s0
	global_store_b16 v[0:1], v2, off
.LBB86_307:
	s_mov_b32 s20, 0
.LBB86_308:
	s_delay_alu instid0(SALU_CYCLE_1)
	s_and_not1_b32 vcc_lo, exec_lo, s20
	s_cbranch_vccnz .LBB86_316
; %bb.309:
	s_wait_xcnt 0x0
	v_cndmask_b32_e64 v3, 0, 1.0, s0
	v_mov_b32_e32 v5, 0x80
	s_mov_b32 s20, exec_lo
	s_delay_alu instid0(VALU_DEP_2)
	v_cmpx_gt_u32_e32 0x43800000, v3
	s_cbranch_execz .LBB86_315
; %bb.310:
	s_mov_b32 s21, 0
	s_mov_b32 s22, exec_lo
                                        ; implicit-def: $vgpr2
	v_cmpx_lt_u32_e32 0x3bffffff, v3
	s_xor_b32 s22, exec_lo, s22
	s_cbranch_execz .LBB86_528
; %bb.311:
	v_bfe_u32 v2, v3, 20, 1
	s_mov_b32 s21, exec_lo
	s_delay_alu instid0(VALU_DEP_1) | instskip(NEXT) | instid1(VALU_DEP_1)
	v_add3_u32 v2, v3, v2, 0x487ffff
                                        ; implicit-def: $vgpr3
	v_lshrrev_b32_e32 v2, 20, v2
	s_and_not1_saveexec_b32 s22, s22
	s_cbranch_execnz .LBB86_529
.LBB86_312:
	s_or_b32 exec_lo, exec_lo, s22
	v_mov_b32_e32 v5, 0
	s_and_saveexec_b32 s22, s21
.LBB86_313:
	v_mov_b32_e32 v5, v2
.LBB86_314:
	s_or_b32 exec_lo, exec_lo, s22
.LBB86_315:
	s_delay_alu instid0(SALU_CYCLE_1)
	s_or_b32 exec_lo, exec_lo, s20
	global_store_b8 v[0:1], v5, off
.LBB86_316:
	s_mov_b32 s20, -1
.LBB86_317:
	s_mov_b32 s21, 0
.LBB86_318:
	s_delay_alu instid0(SALU_CYCLE_1)
	s_and_b32 vcc_lo, exec_lo, s21
	s_cbranch_vccz .LBB86_359
; %bb.319:
	s_cmp_gt_i32 s19, 22
	s_mov_b32 s21, -1
	s_cbranch_scc0 .LBB86_351
; %bb.320:
	s_cmp_lt_i32 s19, 24
	s_mov_b32 s20, -1
	s_cbranch_scc1 .LBB86_340
; %bb.321:
	s_cmp_gt_i32 s19, 24
	s_cbranch_scc0 .LBB86_329
; %bb.322:
	s_wait_xcnt 0x0
	v_cndmask_b32_e64 v3, 0, 1.0, s0
	v_mov_b32_e32 v5, 0x80
	s_mov_b32 s20, exec_lo
	s_delay_alu instid0(VALU_DEP_2)
	v_cmpx_gt_u32_e32 0x47800000, v3
	s_cbranch_execz .LBB86_328
; %bb.323:
	s_mov_b32 s21, 0
	s_mov_b32 s22, exec_lo
                                        ; implicit-def: $vgpr2
	v_cmpx_lt_u32_e32 0x37ffffff, v3
	s_xor_b32 s22, exec_lo, s22
	s_cbranch_execz .LBB86_531
; %bb.324:
	v_bfe_u32 v2, v3, 21, 1
	s_mov_b32 s21, exec_lo
	s_delay_alu instid0(VALU_DEP_1) | instskip(NEXT) | instid1(VALU_DEP_1)
	v_add3_u32 v2, v3, v2, 0x88fffff
                                        ; implicit-def: $vgpr3
	v_lshrrev_b32_e32 v2, 21, v2
	s_and_not1_saveexec_b32 s22, s22
	s_cbranch_execnz .LBB86_532
.LBB86_325:
	s_or_b32 exec_lo, exec_lo, s22
	v_mov_b32_e32 v5, 0
	s_and_saveexec_b32 s22, s21
.LBB86_326:
	v_mov_b32_e32 v5, v2
.LBB86_327:
	s_or_b32 exec_lo, exec_lo, s22
.LBB86_328:
	s_delay_alu instid0(SALU_CYCLE_1)
	s_or_b32 exec_lo, exec_lo, s20
	s_mov_b32 s20, 0
	global_store_b8 v[0:1], v5, off
.LBB86_329:
	s_and_b32 vcc_lo, exec_lo, s20
	s_cbranch_vccz .LBB86_339
; %bb.330:
	s_wait_xcnt 0x0
	v_cndmask_b32_e64 v3, 0, 1.0, s0
	s_mov_b32 s20, exec_lo
                                        ; implicit-def: $vgpr2
	s_delay_alu instid0(VALU_DEP_1)
	v_cmpx_gt_u32_e32 0x43f00000, v3
	s_xor_b32 s20, exec_lo, s20
	s_cbranch_execz .LBB86_336
; %bb.331:
	s_mov_b32 s21, exec_lo
                                        ; implicit-def: $vgpr2
	v_cmpx_lt_u32_e32 0x3c7fffff, v3
	s_xor_b32 s21, exec_lo, s21
; %bb.332:
	v_bfe_u32 v2, v3, 20, 1
	s_delay_alu instid0(VALU_DEP_1) | instskip(NEXT) | instid1(VALU_DEP_1)
	v_add3_u32 v2, v3, v2, 0x407ffff
	v_and_b32_e32 v3, 0xff00000, v2
	v_lshrrev_b32_e32 v2, 20, v2
	s_delay_alu instid0(VALU_DEP_2) | instskip(NEXT) | instid1(VALU_DEP_2)
	v_cmp_ne_u32_e32 vcc_lo, 0x7f00000, v3
                                        ; implicit-def: $vgpr3
	v_cndmask_b32_e32 v2, 0x7e, v2, vcc_lo
; %bb.333:
	s_and_not1_saveexec_b32 s21, s21
; %bb.334:
	v_add_f32_e32 v2, 0x46800000, v3
; %bb.335:
	s_or_b32 exec_lo, exec_lo, s21
                                        ; implicit-def: $vgpr3
.LBB86_336:
	s_and_not1_saveexec_b32 s20, s20
; %bb.337:
	v_mov_b32_e32 v2, 0x7f
	v_cmp_lt_u32_e32 vcc_lo, 0x7f800000, v3
	s_delay_alu instid0(VALU_DEP_2)
	v_cndmask_b32_e32 v2, 0x7e, v2, vcc_lo
; %bb.338:
	s_or_b32 exec_lo, exec_lo, s20
	global_store_b8 v[0:1], v2, off
.LBB86_339:
	s_mov_b32 s20, 0
.LBB86_340:
	s_delay_alu instid0(SALU_CYCLE_1)
	s_and_not1_b32 vcc_lo, exec_lo, s20
	s_cbranch_vccnz .LBB86_350
; %bb.341:
	s_wait_xcnt 0x0
	v_cndmask_b32_e64 v3, 0, 1.0, s0
	s_mov_b32 s20, exec_lo
                                        ; implicit-def: $vgpr2
	s_delay_alu instid0(VALU_DEP_1)
	v_cmpx_gt_u32_e32 0x47800000, v3
	s_xor_b32 s20, exec_lo, s20
	s_cbranch_execz .LBB86_347
; %bb.342:
	s_mov_b32 s21, exec_lo
                                        ; implicit-def: $vgpr2
	v_cmpx_lt_u32_e32 0x387fffff, v3
	s_xor_b32 s21, exec_lo, s21
; %bb.343:
	v_bfe_u32 v2, v3, 21, 1
	s_delay_alu instid0(VALU_DEP_1) | instskip(NEXT) | instid1(VALU_DEP_1)
	v_add3_u32 v2, v3, v2, 0x80fffff
                                        ; implicit-def: $vgpr3
	v_lshrrev_b32_e32 v2, 21, v2
; %bb.344:
	s_and_not1_saveexec_b32 s21, s21
; %bb.345:
	v_add_f32_e32 v2, 0x43000000, v3
; %bb.346:
	s_or_b32 exec_lo, exec_lo, s21
                                        ; implicit-def: $vgpr3
.LBB86_347:
	s_and_not1_saveexec_b32 s20, s20
; %bb.348:
	v_mov_b32_e32 v2, 0x7f
	v_cmp_lt_u32_e32 vcc_lo, 0x7f800000, v3
	s_delay_alu instid0(VALU_DEP_2)
	v_cndmask_b32_e32 v2, 0x7c, v2, vcc_lo
; %bb.349:
	s_or_b32 exec_lo, exec_lo, s20
	global_store_b8 v[0:1], v2, off
.LBB86_350:
	s_mov_b32 s21, 0
	s_mov_b32 s20, -1
.LBB86_351:
	s_and_not1_b32 vcc_lo, exec_lo, s21
	s_cbranch_vccnz .LBB86_359
; %bb.352:
	s_cmp_gt_i32 s19, 14
	s_mov_b32 s21, -1
	s_cbranch_scc0 .LBB86_356
; %bb.353:
	s_cmp_eq_u32 s19, 15
	s_mov_b32 s1, -1
	s_cbranch_scc0 .LBB86_355
; %bb.354:
	s_wait_xcnt 0x0
	v_cndmask_b32_e64 v2, 0, 1.0, s0
	s_mov_b32 s20, -1
	s_mov_b32 s1, 0
	s_delay_alu instid0(VALU_DEP_1) | instskip(NEXT) | instid1(VALU_DEP_1)
	v_bfe_u32 v3, v2, 16, 1
	v_add3_u32 v2, v2, v3, 0x7fff
	global_store_d16_hi_b16 v[0:1], v2, off
.LBB86_355:
	s_mov_b32 s21, 0
.LBB86_356:
	s_delay_alu instid0(SALU_CYCLE_1)
	s_and_b32 vcc_lo, exec_lo, s21
	s_cbranch_vccz .LBB86_359
; %bb.357:
	s_cmp_eq_u32 s19, 11
	s_mov_b32 s1, -1
	s_cbranch_scc0 .LBB86_359
; %bb.358:
	s_wait_xcnt 0x0
	v_cndmask_b32_e64 v2, 0, 1, s0
	s_mov_b32 s20, -1
	s_mov_b32 s1, 0
	global_store_b8 v[0:1], v2, off
.LBB86_359:
	s_mov_b32 s19, 0
.LBB86_360:
	s_delay_alu instid0(SALU_CYCLE_1)
	s_and_b32 vcc_lo, exec_lo, s19
	s_cbranch_vccz .LBB86_399
; %bb.361:
	s_and_b32 s17, 0xffff, s17
	s_mov_b32 s19, -1
	s_cmp_lt_i32 s17, 5
	s_cbranch_scc1 .LBB86_382
; %bb.362:
	s_cmp_lt_i32 s17, 8
	s_cbranch_scc1 .LBB86_372
; %bb.363:
	;; [unrolled: 3-line block ×3, first 2 shown]
	s_cmp_gt_i32 s17, 9
	s_cbranch_scc0 .LBB86_366
; %bb.365:
	s_wait_xcnt 0x0
	v_cndmask_b32_e64 v2, 0, 1, s0
	v_mov_b32_e32 v8, 0
	s_mov_b32 s19, 0
	s_delay_alu instid0(VALU_DEP_2) | instskip(NEXT) | instid1(VALU_DEP_2)
	v_cvt_f64_u32_e32 v[6:7], v2
	v_mov_b32_e32 v9, v8
	global_store_b128 v[0:1], v[6:9], off
.LBB86_366:
	s_and_not1_b32 vcc_lo, exec_lo, s19
	s_cbranch_vccnz .LBB86_368
; %bb.367:
	s_wait_xcnt 0x0
	v_cndmask_b32_e64 v2, 0, 1.0, s0
	v_mov_b32_e32 v3, 0
	global_store_b64 v[0:1], v[2:3], off
.LBB86_368:
	s_mov_b32 s19, 0
.LBB86_369:
	s_delay_alu instid0(SALU_CYCLE_1)
	s_and_not1_b32 vcc_lo, exec_lo, s19
	s_cbranch_vccnz .LBB86_371
; %bb.370:
	s_wait_xcnt 0x0
	v_cndmask_b32_e64 v2, 0, 1.0, s0
	s_delay_alu instid0(VALU_DEP_1) | instskip(NEXT) | instid1(VALU_DEP_1)
	v_cvt_f16_f32_e32 v2, v2
	v_and_b32_e32 v2, 0xffff, v2
	global_store_b32 v[0:1], v2, off
.LBB86_371:
	s_mov_b32 s19, 0
.LBB86_372:
	s_delay_alu instid0(SALU_CYCLE_1)
	s_and_not1_b32 vcc_lo, exec_lo, s19
	s_cbranch_vccnz .LBB86_381
; %bb.373:
	s_cmp_lt_i32 s17, 6
	s_mov_b32 s19, -1
	s_cbranch_scc1 .LBB86_379
; %bb.374:
	s_cmp_gt_i32 s17, 6
	s_cbranch_scc0 .LBB86_376
; %bb.375:
	s_wait_xcnt 0x0
	v_cndmask_b32_e64 v2, 0, 1, s0
	s_mov_b32 s19, 0
	s_delay_alu instid0(VALU_DEP_1)
	v_cvt_f64_u32_e32 v[2:3], v2
	global_store_b64 v[0:1], v[2:3], off
.LBB86_376:
	s_and_not1_b32 vcc_lo, exec_lo, s19
	s_cbranch_vccnz .LBB86_378
; %bb.377:
	s_wait_xcnt 0x0
	v_cndmask_b32_e64 v2, 0, 1.0, s0
	global_store_b32 v[0:1], v2, off
.LBB86_378:
	s_mov_b32 s19, 0
.LBB86_379:
	s_delay_alu instid0(SALU_CYCLE_1)
	s_and_not1_b32 vcc_lo, exec_lo, s19
	s_cbranch_vccnz .LBB86_381
; %bb.380:
	s_wait_xcnt 0x0
	v_cndmask_b32_e64 v2, 0, 1.0, s0
	s_delay_alu instid0(VALU_DEP_1)
	v_cvt_f16_f32_e32 v2, v2
	global_store_b16 v[0:1], v2, off
.LBB86_381:
	s_mov_b32 s19, 0
.LBB86_382:
	s_delay_alu instid0(SALU_CYCLE_1)
	s_and_not1_b32 vcc_lo, exec_lo, s19
	s_cbranch_vccnz .LBB86_398
; %bb.383:
	s_cmp_lt_i32 s17, 2
	s_mov_b32 s19, -1
	s_cbranch_scc1 .LBB86_393
; %bb.384:
	s_cmp_lt_i32 s17, 3
	s_cbranch_scc1 .LBB86_390
; %bb.385:
	s_cmp_gt_i32 s17, 3
	s_cbranch_scc0 .LBB86_387
; %bb.386:
	s_mov_b32 s19, 0
	s_wait_xcnt 0x0
	v_cndmask_b32_e64 v2, 0, 1, s0
	v_mov_b32_e32 v3, s19
	global_store_b64 v[0:1], v[2:3], off
.LBB86_387:
	s_and_not1_b32 vcc_lo, exec_lo, s19
	s_cbranch_vccnz .LBB86_389
; %bb.388:
	s_wait_xcnt 0x0
	v_cndmask_b32_e64 v2, 0, 1, s0
	global_store_b32 v[0:1], v2, off
.LBB86_389:
	s_mov_b32 s19, 0
.LBB86_390:
	s_delay_alu instid0(SALU_CYCLE_1)
	s_and_not1_b32 vcc_lo, exec_lo, s19
	s_cbranch_vccnz .LBB86_392
; %bb.391:
	s_wait_xcnt 0x0
	v_cndmask_b32_e64 v2, 0, 1, s0
	global_store_b16 v[0:1], v2, off
.LBB86_392:
	s_mov_b32 s19, 0
.LBB86_393:
	s_delay_alu instid0(SALU_CYCLE_1)
	s_and_not1_b32 vcc_lo, exec_lo, s19
	s_cbranch_vccnz .LBB86_398
; %bb.394:
	s_wait_xcnt 0x0
	v_cndmask_b32_e64 v2, 0, 1, s0
	s_cmp_gt_i32 s17, 0
	s_mov_b32 s0, -1
	s_cbranch_scc0 .LBB86_396
; %bb.395:
	s_mov_b32 s0, 0
	global_store_b8 v[0:1], v2, off
.LBB86_396:
	s_and_not1_b32 vcc_lo, exec_lo, s0
	s_cbranch_vccnz .LBB86_398
; %bb.397:
	global_store_b8 v[0:1], v2, off
.LBB86_398:
	s_mov_b32 s20, -1
.LBB86_399:
	s_delay_alu instid0(SALU_CYCLE_1)
	s_and_not1_b32 vcc_lo, exec_lo, s20
	s_cbranch_vccnz .LBB86_401
; %bb.400:
	v_add_nc_u32_e32 v4, 0x80, v4
	s_mov_b32 s0, -1
	s_branch .LBB86_514
.LBB86_401:
	s_mov_b32 s0, 0
	s_branch .LBB86_513
.LBB86_402:
	s_mov_b32 s16, -1
                                        ; implicit-def: $vgpr2
.LBB86_403:
	s_mov_b32 s17, 0
.LBB86_404:
	s_delay_alu instid0(SALU_CYCLE_1)
	s_and_b32 vcc_lo, exec_lo, s17
	s_cbranch_vccz .LBB86_408
; %bb.405:
	s_cmp_eq_u32 s0, 29
	s_cbranch_scc0 .LBB86_407
; %bb.406:
	s_wait_loadcnt 0x0
	global_load_b64 v[2:3], v[0:1], off
	s_mov_b32 s1, -1
	s_mov_b32 s16, 0
	s_mov_b32 s17, 0
	s_wait_loadcnt 0x0
	v_clz_i32_u32_e32 v5, v3
	s_delay_alu instid0(VALU_DEP_1) | instskip(NEXT) | instid1(VALU_DEP_1)
	v_min_u32_e32 v5, 32, v5
	v_lshlrev_b64_e32 v[2:3], v5, v[2:3]
	s_delay_alu instid0(VALU_DEP_1) | instskip(NEXT) | instid1(VALU_DEP_1)
	v_min_u32_e32 v2, 1, v2
	v_dual_sub_nc_u32 v3, 32, v5 :: v_dual_bitop2_b32 v2, v3, v2 bitop3:0x54
	s_delay_alu instid0(VALU_DEP_1) | instskip(NEXT) | instid1(VALU_DEP_1)
	v_cvt_f32_u32_e32 v2, v2
	v_ldexp_f32 v2, v2, v3
	s_delay_alu instid0(VALU_DEP_1)
	v_cvt_f16_f32_e32 v2, v2
	s_branch .LBB86_409
.LBB86_407:
	s_mov_b32 s16, -1
                                        ; implicit-def: $vgpr2
.LBB86_408:
	s_mov_b32 s17, 0
.LBB86_409:
	s_delay_alu instid0(SALU_CYCLE_1)
	s_and_b32 vcc_lo, exec_lo, s17
	s_cbranch_vccz .LBB86_427
; %bb.410:
	s_cmp_lt_i32 s0, 27
	s_cbranch_scc1 .LBB86_413
; %bb.411:
	s_cmp_gt_i32 s0, 27
	s_cbranch_scc0 .LBB86_414
; %bb.412:
	s_wait_loadcnt 0x0
	global_load_b32 v2, v[0:1], off
	s_mov_b32 s1, 0
	s_wait_loadcnt 0x0
	v_cvt_f32_u32_e32 v2, v2
	s_delay_alu instid0(VALU_DEP_1)
	v_cvt_f16_f32_e32 v2, v2
	s_branch .LBB86_415
.LBB86_413:
	s_mov_b32 s1, -1
                                        ; implicit-def: $vgpr2
	s_branch .LBB86_418
.LBB86_414:
	s_mov_b32 s1, -1
                                        ; implicit-def: $vgpr2
.LBB86_415:
	s_delay_alu instid0(SALU_CYCLE_1)
	s_and_not1_b32 vcc_lo, exec_lo, s1
	s_cbranch_vccnz .LBB86_417
; %bb.416:
	s_wait_loadcnt 0x0
	global_load_u16 v2, v[0:1], off
	s_wait_loadcnt 0x0
	v_cvt_f16_u16_e32 v2, v2
.LBB86_417:
	s_mov_b32 s1, 0
.LBB86_418:
	s_delay_alu instid0(SALU_CYCLE_1)
	s_and_not1_b32 vcc_lo, exec_lo, s1
	s_cbranch_vccnz .LBB86_426
; %bb.419:
	global_load_u8 v3, v[0:1], off
	s_mov_b32 s1, 0
	s_mov_b32 s17, exec_lo
	s_wait_loadcnt 0x0
	v_cmpx_lt_i16_e32 0x7f, v3
	s_xor_b32 s17, exec_lo, s17
	s_cbranch_execz .LBB86_440
; %bb.420:
	s_mov_b32 s1, -1
	s_mov_b32 s19, exec_lo
	v_cmpx_eq_u16_e32 0x80, v3
; %bb.421:
	s_xor_b32 s1, exec_lo, -1
; %bb.422:
	s_or_b32 exec_lo, exec_lo, s19
	s_delay_alu instid0(SALU_CYCLE_1)
	s_and_b32 s1, s1, exec_lo
	s_or_saveexec_b32 s17, s17
	v_mov_b32_e32 v2, 0x7e00
	s_xor_b32 exec_lo, exec_lo, s17
	s_cbranch_execnz .LBB86_441
.LBB86_423:
	s_or_b32 exec_lo, exec_lo, s17
	s_and_saveexec_b32 s17, s1
	s_cbranch_execz .LBB86_425
.LBB86_424:
	v_and_b32_e32 v2, 0xffff, v3
	s_delay_alu instid0(VALU_DEP_1) | instskip(SKIP_1) | instid1(VALU_DEP_2)
	v_dual_lshlrev_b32 v3, 24, v3 :: v_dual_bitop2_b32 v5, 7, v2 bitop3:0x40
	v_bfe_u32 v8, v2, 3, 4
	v_and_b32_e32 v3, 0x80000000, v3
	s_delay_alu instid0(VALU_DEP_3) | instskip(NEXT) | instid1(VALU_DEP_3)
	v_clz_i32_u32_e32 v6, v5
	v_cmp_eq_u32_e32 vcc_lo, 0, v8
	s_delay_alu instid0(VALU_DEP_2) | instskip(NEXT) | instid1(VALU_DEP_1)
	v_min_u32_e32 v6, 32, v6
	v_subrev_nc_u32_e32 v7, 28, v6
	v_sub_nc_u32_e32 v6, 29, v6
	s_delay_alu instid0(VALU_DEP_2) | instskip(NEXT) | instid1(VALU_DEP_2)
	v_lshlrev_b32_e32 v2, v7, v2
	v_cndmask_b32_e32 v6, v8, v6, vcc_lo
	s_delay_alu instid0(VALU_DEP_2) | instskip(NEXT) | instid1(VALU_DEP_1)
	v_and_b32_e32 v2, 7, v2
	v_cndmask_b32_e32 v2, v5, v2, vcc_lo
	s_delay_alu instid0(VALU_DEP_3) | instskip(NEXT) | instid1(VALU_DEP_2)
	v_lshl_add_u32 v5, v6, 23, 0x3b800000
	v_lshlrev_b32_e32 v2, 20, v2
	s_delay_alu instid0(VALU_DEP_1) | instskip(NEXT) | instid1(VALU_DEP_1)
	v_or3_b32 v2, v3, v5, v2
	v_cvt_f16_f32_e32 v2, v2
.LBB86_425:
	s_or_b32 exec_lo, exec_lo, s17
.LBB86_426:
	s_mov_b32 s1, -1
.LBB86_427:
	s_mov_b32 s17, 0
.LBB86_428:
	s_delay_alu instid0(SALU_CYCLE_1)
	s_and_b32 vcc_lo, exec_lo, s17
	s_cbranch_vccz .LBB86_463
; %bb.429:
	s_cmp_gt_i32 s0, 22
	s_cbranch_scc0 .LBB86_439
; %bb.430:
	s_cmp_lt_i32 s0, 24
	s_cbranch_scc1 .LBB86_442
; %bb.431:
	s_cmp_gt_i32 s0, 24
	s_cbranch_scc0 .LBB86_443
; %bb.432:
	global_load_u8 v3, v[0:1], off
	s_mov_b32 s1, 0
	s_mov_b32 s17, exec_lo
	s_wait_loadcnt 0x0
	v_cmpx_lt_i16_e32 0x7f, v3
	s_xor_b32 s17, exec_lo, s17
	s_cbranch_execz .LBB86_455
; %bb.433:
	s_mov_b32 s1, -1
	s_mov_b32 s19, exec_lo
	v_cmpx_eq_u16_e32 0x80, v3
; %bb.434:
	s_xor_b32 s1, exec_lo, -1
; %bb.435:
	s_or_b32 exec_lo, exec_lo, s19
	s_delay_alu instid0(SALU_CYCLE_1)
	s_and_b32 s1, s1, exec_lo
	s_or_saveexec_b32 s17, s17
	v_mov_b32_e32 v2, 0x7e00
	s_xor_b32 exec_lo, exec_lo, s17
	s_cbranch_execnz .LBB86_456
.LBB86_436:
	s_or_b32 exec_lo, exec_lo, s17
	s_and_saveexec_b32 s17, s1
	s_cbranch_execz .LBB86_438
.LBB86_437:
	v_and_b32_e32 v2, 0xffff, v3
	s_delay_alu instid0(VALU_DEP_1) | instskip(SKIP_1) | instid1(VALU_DEP_2)
	v_dual_lshlrev_b32 v3, 24, v3 :: v_dual_bitop2_b32 v5, 3, v2 bitop3:0x40
	v_bfe_u32 v8, v2, 2, 5
	v_and_b32_e32 v3, 0x80000000, v3
	s_delay_alu instid0(VALU_DEP_3) | instskip(NEXT) | instid1(VALU_DEP_3)
	v_clz_i32_u32_e32 v6, v5
	v_cmp_eq_u32_e32 vcc_lo, 0, v8
	s_delay_alu instid0(VALU_DEP_2) | instskip(NEXT) | instid1(VALU_DEP_1)
	v_min_u32_e32 v6, 32, v6
	v_subrev_nc_u32_e32 v7, 29, v6
	v_sub_nc_u32_e32 v6, 30, v6
	s_delay_alu instid0(VALU_DEP_2) | instskip(NEXT) | instid1(VALU_DEP_2)
	v_lshlrev_b32_e32 v2, v7, v2
	v_cndmask_b32_e32 v6, v8, v6, vcc_lo
	s_delay_alu instid0(VALU_DEP_2) | instskip(NEXT) | instid1(VALU_DEP_1)
	v_and_b32_e32 v2, 3, v2
	v_cndmask_b32_e32 v2, v5, v2, vcc_lo
	s_delay_alu instid0(VALU_DEP_3) | instskip(NEXT) | instid1(VALU_DEP_2)
	v_lshl_add_u32 v5, v6, 23, 0x37800000
	v_lshlrev_b32_e32 v2, 21, v2
	s_delay_alu instid0(VALU_DEP_1) | instskip(NEXT) | instid1(VALU_DEP_1)
	v_or3_b32 v2, v3, v5, v2
	v_cvt_f16_f32_e32 v2, v2
.LBB86_438:
	s_or_b32 exec_lo, exec_lo, s17
	s_mov_b32 s1, 0
	s_branch .LBB86_444
.LBB86_439:
	s_mov_b32 s17, -1
                                        ; implicit-def: $vgpr2
	s_branch .LBB86_450
.LBB86_440:
	s_or_saveexec_b32 s17, s17
	v_mov_b32_e32 v2, 0x7e00
	s_xor_b32 exec_lo, exec_lo, s17
	s_cbranch_execz .LBB86_423
.LBB86_441:
	v_cmp_ne_u16_e32 vcc_lo, 0, v3
	v_mov_b32_e32 v2, v3
	s_and_not1_b32 s1, s1, exec_lo
	s_and_b32 s19, vcc_lo, exec_lo
	s_delay_alu instid0(SALU_CYCLE_1)
	s_or_b32 s1, s1, s19
	s_or_b32 exec_lo, exec_lo, s17
	s_and_saveexec_b32 s17, s1
	s_cbranch_execnz .LBB86_424
	s_branch .LBB86_425
.LBB86_442:
	s_mov_b32 s1, -1
                                        ; implicit-def: $vgpr2
	s_branch .LBB86_447
.LBB86_443:
	s_mov_b32 s1, -1
                                        ; implicit-def: $vgpr2
.LBB86_444:
	s_delay_alu instid0(SALU_CYCLE_1)
	s_and_b32 vcc_lo, exec_lo, s1
	s_cbranch_vccz .LBB86_446
; %bb.445:
	s_wait_loadcnt 0x0
	global_load_u8 v2, v[0:1], off
	s_wait_loadcnt 0x0
	v_lshlrev_b32_e32 v2, 24, v2
	s_delay_alu instid0(VALU_DEP_1) | instskip(NEXT) | instid1(VALU_DEP_1)
	v_and_b32_e32 v3, 0x7f000000, v2
	v_clz_i32_u32_e32 v5, v3
	v_add_nc_u32_e32 v7, 0x1000000, v3
	v_cmp_ne_u32_e32 vcc_lo, 0, v3
	s_delay_alu instid0(VALU_DEP_3) | instskip(NEXT) | instid1(VALU_DEP_1)
	v_min_u32_e32 v5, 32, v5
	v_sub_nc_u32_e64 v5, v5, 4 clamp
	s_delay_alu instid0(VALU_DEP_1) | instskip(NEXT) | instid1(VALU_DEP_1)
	v_dual_lshlrev_b32 v6, v5, v3 :: v_dual_lshlrev_b32 v5, 23, v5
	v_lshrrev_b32_e32 v6, 4, v6
	s_delay_alu instid0(VALU_DEP_1) | instskip(NEXT) | instid1(VALU_DEP_1)
	v_dual_sub_nc_u32 v5, v6, v5 :: v_dual_ashrrev_i32 v6, 8, v7
	v_add_nc_u32_e32 v5, 0x3c000000, v5
	s_delay_alu instid0(VALU_DEP_1) | instskip(NEXT) | instid1(VALU_DEP_1)
	v_and_or_b32 v5, 0x7f800000, v6, v5
	v_cndmask_b32_e32 v3, 0, v5, vcc_lo
	s_delay_alu instid0(VALU_DEP_1) | instskip(NEXT) | instid1(VALU_DEP_1)
	v_and_or_b32 v2, 0x80000000, v2, v3
	v_cvt_f16_f32_e32 v2, v2
.LBB86_446:
	s_mov_b32 s1, 0
.LBB86_447:
	s_delay_alu instid0(SALU_CYCLE_1)
	s_and_not1_b32 vcc_lo, exec_lo, s1
	s_cbranch_vccnz .LBB86_449
; %bb.448:
	s_wait_loadcnt 0x0
	global_load_u8 v2, v[0:1], off
	s_wait_loadcnt 0x0
	v_lshlrev_b32_e32 v3, 25, v2
	v_lshlrev_b16 v2, 8, v2
	s_delay_alu instid0(VALU_DEP_2) | instskip(NEXT) | instid1(VALU_DEP_2)
	v_cmp_gt_u32_e32 vcc_lo, 0x8000000, v3
	v_and_or_b32 v6, 0x7f00, v2, 0.5
	v_lshrrev_b32_e32 v5, 4, v3
	v_bfe_i32 v2, v2, 0, 16
	s_delay_alu instid0(VALU_DEP_3) | instskip(NEXT) | instid1(VALU_DEP_3)
	v_add_f32_e32 v6, -0.5, v6
	v_or_b32_e32 v5, 0x70000000, v5
	s_delay_alu instid0(VALU_DEP_1) | instskip(NEXT) | instid1(VALU_DEP_1)
	v_mul_f32_e32 v5, 0x7800000, v5
	v_cndmask_b32_e32 v3, v5, v6, vcc_lo
	s_delay_alu instid0(VALU_DEP_1) | instskip(NEXT) | instid1(VALU_DEP_1)
	v_and_or_b32 v2, 0x80000000, v2, v3
	v_cvt_f16_f32_e32 v2, v2
.LBB86_449:
	s_mov_b32 s17, 0
	s_mov_b32 s1, -1
.LBB86_450:
	s_and_not1_b32 vcc_lo, exec_lo, s17
	s_cbranch_vccnz .LBB86_463
; %bb.451:
	s_cmp_gt_i32 s0, 14
	s_cbranch_scc0 .LBB86_454
; %bb.452:
	s_cmp_eq_u32 s0, 15
	s_cbranch_scc0 .LBB86_457
; %bb.453:
	s_wait_loadcnt 0x0
	global_load_u16 v2, v[0:1], off
	s_mov_b32 s1, -1
	s_mov_b32 s16, 0
	s_wait_loadcnt 0x0
	v_lshlrev_b32_e32 v2, 16, v2
	s_delay_alu instid0(VALU_DEP_1)
	v_cvt_f16_f32_e32 v2, v2
	s_branch .LBB86_458
.LBB86_454:
	s_mov_b32 s17, -1
                                        ; implicit-def: $vgpr2
	s_branch .LBB86_459
.LBB86_455:
	s_or_saveexec_b32 s17, s17
	v_mov_b32_e32 v2, 0x7e00
	s_xor_b32 exec_lo, exec_lo, s17
	s_cbranch_execz .LBB86_436
.LBB86_456:
	v_cmp_ne_u16_e32 vcc_lo, 0, v3
	v_mov_b32_e32 v2, v3
	s_and_not1_b32 s1, s1, exec_lo
	s_and_b32 s19, vcc_lo, exec_lo
	s_delay_alu instid0(SALU_CYCLE_1)
	s_or_b32 s1, s1, s19
	s_or_b32 exec_lo, exec_lo, s17
	s_and_saveexec_b32 s17, s1
	s_cbranch_execnz .LBB86_437
	s_branch .LBB86_438
.LBB86_457:
	s_mov_b32 s16, -1
                                        ; implicit-def: $vgpr2
.LBB86_458:
	s_mov_b32 s17, 0
.LBB86_459:
	s_delay_alu instid0(SALU_CYCLE_1)
	s_and_b32 vcc_lo, exec_lo, s17
	s_cbranch_vccz .LBB86_463
; %bb.460:
	s_cmp_eq_u32 s0, 11
	s_cbranch_scc0 .LBB86_462
; %bb.461:
	s_wait_loadcnt 0x0
	global_load_u8 v2, v[0:1], off
	s_mov_b32 s16, 0
	s_mov_b32 s1, -1
	s_wait_loadcnt 0x0
	v_cmp_ne_u16_e32 vcc_lo, 0, v2
	v_cndmask_b32_e64 v2, 0, 0x3c00, vcc_lo
	s_branch .LBB86_463
.LBB86_462:
	s_mov_b32 s16, -1
                                        ; implicit-def: $vgpr2
.LBB86_463:
	s_branch .LBB86_265
.LBB86_464:
	s_cmp_lt_i32 s0, 5
	s_cbranch_scc1 .LBB86_469
; %bb.465:
	s_cmp_lt_i32 s0, 8
	s_cbranch_scc1 .LBB86_470
; %bb.466:
	;; [unrolled: 3-line block ×3, first 2 shown]
	s_cmp_gt_i32 s0, 9
	s_cbranch_scc0 .LBB86_472
; %bb.468:
	s_wait_loadcnt 0x0
	global_load_b64 v[2:3], v[0:1], off
	s_mov_b32 s1, 0
	s_wait_loadcnt 0x0
	v_and_or_b32 v2, 0x1ff, v3, v2
	v_lshrrev_b32_e32 v5, 8, v3
	v_bfe_u32 v6, v3, 20, 11
	v_lshrrev_b32_e32 v3, 16, v3
	s_delay_alu instid0(VALU_DEP_4) | instskip(NEXT) | instid1(VALU_DEP_3)
	v_cmp_ne_u32_e32 vcc_lo, 0, v2
	v_sub_nc_u32_e32 v7, 0x3f1, v6
	v_add_nc_u32_e32 v6, 0xfffffc10, v6
	v_cndmask_b32_e64 v2, 0, 1, vcc_lo
	s_delay_alu instid0(VALU_DEP_1) | instskip(NEXT) | instid1(VALU_DEP_4)
	v_and_or_b32 v2, 0xffe, v5, v2
	v_med3_i32 v5, v7, 0, 13
	s_delay_alu instid0(VALU_DEP_2) | instskip(NEXT) | instid1(VALU_DEP_1)
	v_or_b32_e32 v7, 0x1000, v2
	v_lshrrev_b32_e32 v8, v5, v7
	s_delay_alu instid0(VALU_DEP_1) | instskip(NEXT) | instid1(VALU_DEP_1)
	v_lshlrev_b32_e32 v5, v5, v8
	v_cmp_ne_u32_e32 vcc_lo, v5, v7
	v_lshl_or_b32 v7, v6, 12, v2
	v_cndmask_b32_e64 v5, 0, 1, vcc_lo
	v_cmp_gt_i32_e32 vcc_lo, 1, v6
	s_delay_alu instid0(VALU_DEP_2) | instskip(NEXT) | instid1(VALU_DEP_1)
	v_or_b32_e32 v5, v8, v5
	v_cndmask_b32_e32 v5, v7, v5, vcc_lo
	s_delay_alu instid0(VALU_DEP_1) | instskip(NEXT) | instid1(VALU_DEP_1)
	v_dual_lshrrev_b32 v5, 2, v5 :: v_dual_bitop2_b32 v7, 7, v5 bitop3:0x40
	v_cmp_lt_i32_e32 vcc_lo, 5, v7
	v_cndmask_b32_e64 v8, 0, 1, vcc_lo
	v_cmp_eq_u32_e32 vcc_lo, 3, v7
	v_cndmask_b32_e64 v7, 0, 1, vcc_lo
	v_cmp_ne_u32_e32 vcc_lo, 0, v2
	s_delay_alu instid0(VALU_DEP_2) | instskip(NEXT) | instid1(VALU_DEP_1)
	v_or_b32_e32 v7, v7, v8
	v_dual_mov_b32 v8, 0x7e00 :: v_dual_add_nc_u32 v5, v5, v7
	s_delay_alu instid0(VALU_DEP_1) | instskip(SKIP_1) | instid1(VALU_DEP_3)
	v_cndmask_b32_e32 v2, 0x7c00, v8, vcc_lo
	v_cmp_gt_i32_e32 vcc_lo, 31, v6
	v_cndmask_b32_e32 v5, 0x7c00, v5, vcc_lo
	v_cmp_eq_u32_e32 vcc_lo, 0x40f, v6
	s_delay_alu instid0(VALU_DEP_2) | instskip(NEXT) | instid1(VALU_DEP_1)
	v_cndmask_b32_e32 v2, v5, v2, vcc_lo
	v_and_or_b32 v2, 0x8000, v3, v2
	s_branch .LBB86_473
.LBB86_469:
	s_mov_b32 s1, -1
                                        ; implicit-def: $vgpr2
	s_branch .LBB86_491
.LBB86_470:
	s_mov_b32 s1, -1
                                        ; implicit-def: $vgpr2
	s_branch .LBB86_479
.LBB86_471:
	s_mov_b32 s1, -1
                                        ; implicit-def: $vgpr2
	s_branch .LBB86_476
.LBB86_472:
	s_mov_b32 s1, -1
                                        ; implicit-def: $vgpr2
.LBB86_473:
	s_delay_alu instid0(SALU_CYCLE_1)
	s_and_not1_b32 vcc_lo, exec_lo, s1
	s_cbranch_vccnz .LBB86_475
; %bb.474:
	s_wait_loadcnt 0x0
	global_load_b32 v2, v[0:1], off
	s_wait_loadcnt 0x0
	v_cvt_f16_f32_e32 v2, v2
.LBB86_475:
	s_mov_b32 s1, 0
.LBB86_476:
	s_delay_alu instid0(SALU_CYCLE_1)
	s_and_not1_b32 vcc_lo, exec_lo, s1
	s_cbranch_vccnz .LBB86_478
; %bb.477:
	s_wait_loadcnt 0x0
	global_load_b32 v2, v[0:1], off
.LBB86_478:
	s_mov_b32 s1, 0
.LBB86_479:
	s_delay_alu instid0(SALU_CYCLE_1)
	s_and_not1_b32 vcc_lo, exec_lo, s1
	s_cbranch_vccnz .LBB86_490
; %bb.480:
	s_cmp_lt_i32 s0, 6
	s_cbranch_scc1 .LBB86_483
; %bb.481:
	s_cmp_gt_i32 s0, 6
	s_cbranch_scc0 .LBB86_484
; %bb.482:
	s_wait_loadcnt 0x0
	global_load_b64 v[2:3], v[0:1], off
	s_mov_b32 s1, 0
	s_wait_loadcnt 0x0
	v_and_or_b32 v2, 0x1ff, v3, v2
	v_lshrrev_b32_e32 v5, 8, v3
	v_bfe_u32 v6, v3, 20, 11
	v_lshrrev_b32_e32 v3, 16, v3
	s_delay_alu instid0(VALU_DEP_4) | instskip(NEXT) | instid1(VALU_DEP_3)
	v_cmp_ne_u32_e32 vcc_lo, 0, v2
	v_sub_nc_u32_e32 v7, 0x3f1, v6
	v_add_nc_u32_e32 v6, 0xfffffc10, v6
	v_cndmask_b32_e64 v2, 0, 1, vcc_lo
	s_delay_alu instid0(VALU_DEP_1) | instskip(NEXT) | instid1(VALU_DEP_4)
	v_and_or_b32 v2, 0xffe, v5, v2
	v_med3_i32 v5, v7, 0, 13
	s_delay_alu instid0(VALU_DEP_2) | instskip(NEXT) | instid1(VALU_DEP_1)
	v_or_b32_e32 v7, 0x1000, v2
	v_lshrrev_b32_e32 v8, v5, v7
	s_delay_alu instid0(VALU_DEP_1) | instskip(NEXT) | instid1(VALU_DEP_1)
	v_lshlrev_b32_e32 v5, v5, v8
	v_cmp_ne_u32_e32 vcc_lo, v5, v7
	v_lshl_or_b32 v7, v6, 12, v2
	v_cndmask_b32_e64 v5, 0, 1, vcc_lo
	v_cmp_gt_i32_e32 vcc_lo, 1, v6
	s_delay_alu instid0(VALU_DEP_2) | instskip(NEXT) | instid1(VALU_DEP_1)
	v_or_b32_e32 v5, v8, v5
	v_cndmask_b32_e32 v5, v7, v5, vcc_lo
	s_delay_alu instid0(VALU_DEP_1) | instskip(NEXT) | instid1(VALU_DEP_1)
	v_dual_lshrrev_b32 v5, 2, v5 :: v_dual_bitop2_b32 v7, 7, v5 bitop3:0x40
	v_cmp_lt_i32_e32 vcc_lo, 5, v7
	v_cndmask_b32_e64 v8, 0, 1, vcc_lo
	v_cmp_eq_u32_e32 vcc_lo, 3, v7
	v_cndmask_b32_e64 v7, 0, 1, vcc_lo
	v_cmp_ne_u32_e32 vcc_lo, 0, v2
	s_delay_alu instid0(VALU_DEP_2) | instskip(NEXT) | instid1(VALU_DEP_1)
	v_or_b32_e32 v7, v7, v8
	v_dual_mov_b32 v8, 0x7e00 :: v_dual_add_nc_u32 v5, v5, v7
	s_delay_alu instid0(VALU_DEP_1) | instskip(SKIP_1) | instid1(VALU_DEP_3)
	v_cndmask_b32_e32 v2, 0x7c00, v8, vcc_lo
	v_cmp_gt_i32_e32 vcc_lo, 31, v6
	v_cndmask_b32_e32 v5, 0x7c00, v5, vcc_lo
	v_cmp_eq_u32_e32 vcc_lo, 0x40f, v6
	s_delay_alu instid0(VALU_DEP_2) | instskip(NEXT) | instid1(VALU_DEP_1)
	v_cndmask_b32_e32 v2, v5, v2, vcc_lo
	v_and_or_b32 v2, 0x8000, v3, v2
	s_branch .LBB86_485
.LBB86_483:
	s_mov_b32 s1, -1
                                        ; implicit-def: $vgpr2
	s_branch .LBB86_488
.LBB86_484:
	s_mov_b32 s1, -1
                                        ; implicit-def: $vgpr2
.LBB86_485:
	s_delay_alu instid0(SALU_CYCLE_1)
	s_and_not1_b32 vcc_lo, exec_lo, s1
	s_cbranch_vccnz .LBB86_487
; %bb.486:
	s_wait_loadcnt 0x0
	global_load_b32 v2, v[0:1], off
	s_wait_loadcnt 0x0
	v_cvt_f16_f32_e32 v2, v2
.LBB86_487:
	s_mov_b32 s1, 0
.LBB86_488:
	s_delay_alu instid0(SALU_CYCLE_1)
	s_and_not1_b32 vcc_lo, exec_lo, s1
	s_cbranch_vccnz .LBB86_490
; %bb.489:
	s_wait_loadcnt 0x0
	global_load_u16 v2, v[0:1], off
.LBB86_490:
	s_mov_b32 s1, 0
.LBB86_491:
	s_delay_alu instid0(SALU_CYCLE_1)
	s_and_not1_b32 vcc_lo, exec_lo, s1
	s_cbranch_vccnz .LBB86_511
; %bb.492:
	s_cmp_lt_i32 s0, 2
	s_cbranch_scc1 .LBB86_496
; %bb.493:
	s_cmp_lt_i32 s0, 3
	s_cbranch_scc1 .LBB86_497
; %bb.494:
	s_cmp_gt_i32 s0, 3
	s_cbranch_scc0 .LBB86_498
; %bb.495:
	s_wait_loadcnt 0x0
	global_load_b64 v[2:3], v[0:1], off
	s_mov_b32 s1, 0
	s_wait_loadcnt 0x0
	v_xor_b32_e32 v5, v2, v3
	v_cls_i32_e32 v6, v3
	s_delay_alu instid0(VALU_DEP_2) | instskip(NEXT) | instid1(VALU_DEP_1)
	v_ashrrev_i32_e32 v5, 31, v5
	v_add_nc_u32_e32 v5, 32, v5
	s_delay_alu instid0(VALU_DEP_1) | instskip(NEXT) | instid1(VALU_DEP_1)
	v_add_min_u32_e64 v5, v6, -1, v5
	v_lshlrev_b64_e32 v[2:3], v5, v[2:3]
	s_delay_alu instid0(VALU_DEP_1) | instskip(NEXT) | instid1(VALU_DEP_1)
	v_min_u32_e32 v2, 1, v2
	v_dual_sub_nc_u32 v3, 32, v5 :: v_dual_bitop2_b32 v2, v3, v2 bitop3:0x54
	s_delay_alu instid0(VALU_DEP_1) | instskip(NEXT) | instid1(VALU_DEP_1)
	v_cvt_f32_i32_e32 v2, v2
	v_ldexp_f32 v2, v2, v3
	s_delay_alu instid0(VALU_DEP_1)
	v_cvt_f16_f32_e32 v2, v2
	s_branch .LBB86_499
.LBB86_496:
	s_mov_b32 s1, -1
                                        ; implicit-def: $vgpr2
	s_branch .LBB86_505
.LBB86_497:
	s_mov_b32 s1, -1
                                        ; implicit-def: $vgpr2
	s_branch .LBB86_502
.LBB86_498:
	s_mov_b32 s1, -1
                                        ; implicit-def: $vgpr2
.LBB86_499:
	s_delay_alu instid0(SALU_CYCLE_1)
	s_and_not1_b32 vcc_lo, exec_lo, s1
	s_cbranch_vccnz .LBB86_501
; %bb.500:
	s_wait_loadcnt 0x0
	global_load_b32 v2, v[0:1], off
	s_wait_loadcnt 0x0
	v_cvt_f32_i32_e32 v2, v2
	s_delay_alu instid0(VALU_DEP_1)
	v_cvt_f16_f32_e32 v2, v2
.LBB86_501:
	s_mov_b32 s1, 0
.LBB86_502:
	s_delay_alu instid0(SALU_CYCLE_1)
	s_and_not1_b32 vcc_lo, exec_lo, s1
	s_cbranch_vccnz .LBB86_504
; %bb.503:
	s_wait_loadcnt 0x0
	global_load_u16 v2, v[0:1], off
	s_wait_loadcnt 0x0
	v_cvt_f16_i16_e32 v2, v2
.LBB86_504:
	s_mov_b32 s1, 0
.LBB86_505:
	s_delay_alu instid0(SALU_CYCLE_1)
	s_and_not1_b32 vcc_lo, exec_lo, s1
	s_cbranch_vccnz .LBB86_511
; %bb.506:
	s_cmp_gt_i32 s0, 0
	s_mov_b32 s0, 0
	s_cbranch_scc0 .LBB86_508
; %bb.507:
	s_wait_loadcnt 0x0
	global_load_i8 v2, v[0:1], off
	s_wait_loadcnt 0x0
	v_cvt_f16_i16_e32 v2, v2
	s_branch .LBB86_509
.LBB86_508:
	s_mov_b32 s0, -1
                                        ; implicit-def: $vgpr2
.LBB86_509:
	s_delay_alu instid0(SALU_CYCLE_1)
	s_and_not1_b32 vcc_lo, exec_lo, s0
	s_cbranch_vccnz .LBB86_511
; %bb.510:
	global_load_u8 v0, v[0:1], off
	s_wait_loadcnt 0x0
	v_cvt_f16_u16_e32 v2, v0
.LBB86_511:
	s_branch .LBB86_266
.LBB86_512:
	s_mov_b32 s0, 0
	s_mov_b32 s1, s12
.LBB86_513:
                                        ; implicit-def: $vgpr4
.LBB86_514:
	s_and_not1_b32 s17, s12, exec_lo
	s_and_b32 s1, s1, exec_lo
	s_and_not1_b32 s19, s14, exec_lo
	s_and_b32 s16, s16, exec_lo
	s_or_b32 s17, s17, s1
	s_or_b32 s16, s19, s16
	s_or_not1_b32 s0, s0, exec_lo
.LBB86_515:
	s_wait_xcnt 0x0
	s_or_b32 exec_lo, exec_lo, s18
	s_mov_b32 s1, 0
	s_mov_b32 s19, 0
	;; [unrolled: 1-line block ×3, first 2 shown]
                                        ; implicit-def: $vgpr0_vgpr1
                                        ; implicit-def: $vgpr2
	s_and_saveexec_b32 s18, s0
	s_cbranch_execz .LBB86_862
; %bb.516:
	s_mov_b32 s20, -1
	s_mov_b32 s0, s16
	s_mov_b32 s1, s17
	s_mov_b32 s19, exec_lo
	v_cmpx_gt_i32_e64 s13, v4
	s_cbranch_execz .LBB86_776
; %bb.517:
	v_mul_lo_u32 v0, v4, s3
	s_and_b32 s0, 0xffff, s10
	s_delay_alu instid0(SALU_CYCLE_1) | instskip(NEXT) | instid1(VALU_DEP_1)
	s_cmp_lt_i32 s0, 11
	v_ashrrev_i32_e32 v1, 31, v0
	s_delay_alu instid0(VALU_DEP_1)
	v_add_nc_u64_e32 v[0:1], s[6:7], v[0:1]
	s_cbranch_scc1 .LBB86_524
; %bb.518:
	s_cmp_gt_i32 s0, 25
	s_cbranch_scc0 .LBB86_525
; %bb.519:
	s_cmp_gt_i32 s0, 28
	s_cbranch_scc0 .LBB86_526
	;; [unrolled: 3-line block ×4, first 2 shown]
; %bb.522:
	s_cmp_eq_u32 s0, 46
	s_mov_b32 s21, 0
	s_cbranch_scc0 .LBB86_533
; %bb.523:
	s_wait_loadcnt 0x0
	global_load_b32 v2, v[0:1], off
	s_mov_b32 s1, -1
	s_mov_b32 s20, 0
	s_wait_loadcnt 0x0
	v_lshlrev_b32_e32 v2, 16, v2
	s_delay_alu instid0(VALU_DEP_1)
	v_cvt_f16_f32_e32 v2, v2
	s_branch .LBB86_535
.LBB86_524:
	s_mov_b32 s21, -1
	s_mov_b32 s1, 0
	s_mov_b32 s20, s16
                                        ; implicit-def: $vgpr2
	s_branch .LBB86_600
.LBB86_525:
	s_mov_b32 s21, -1
	s_mov_b32 s1, 0
	s_mov_b32 s20, s16
                                        ; implicit-def: $vgpr2
	s_branch .LBB86_564
.LBB86_526:
	s_mov_b32 s21, -1
	s_mov_b32 s1, 0
	s_mov_b32 s20, s16
                                        ; implicit-def: $vgpr2
	s_branch .LBB86_545
.LBB86_527:
	s_mov_b32 s21, -1
	s_mov_b32 s1, 0
	s_mov_b32 s20, s16
                                        ; implicit-def: $vgpr2
	s_branch .LBB86_540
.LBB86_528:
	s_and_not1_saveexec_b32 s22, s22
	s_cbranch_execz .LBB86_312
.LBB86_529:
	v_add_f32_e32 v2, 0x46000000, v3
	s_and_not1_b32 s21, s21, exec_lo
	s_delay_alu instid0(VALU_DEP_1) | instskip(NEXT) | instid1(VALU_DEP_1)
	v_and_b32_e32 v2, 0xff, v2
	v_cmp_ne_u32_e32 vcc_lo, 0, v2
	s_and_b32 s23, vcc_lo, exec_lo
	s_delay_alu instid0(SALU_CYCLE_1)
	s_or_b32 s21, s21, s23
	s_or_b32 exec_lo, exec_lo, s22
	v_mov_b32_e32 v5, 0
	s_and_saveexec_b32 s22, s21
	s_cbranch_execnz .LBB86_313
	s_branch .LBB86_314
.LBB86_530:
	s_mov_b32 s21, -1
	s_mov_b32 s1, 0
	s_mov_b32 s20, s16
	s_branch .LBB86_534
.LBB86_531:
	s_and_not1_saveexec_b32 s22, s22
	s_cbranch_execz .LBB86_325
.LBB86_532:
	v_add_f32_e32 v2, 0x42800000, v3
	s_and_not1_b32 s21, s21, exec_lo
	s_delay_alu instid0(VALU_DEP_1) | instskip(NEXT) | instid1(VALU_DEP_1)
	v_and_b32_e32 v2, 0xff, v2
	v_cmp_ne_u32_e32 vcc_lo, 0, v2
	s_and_b32 s23, vcc_lo, exec_lo
	s_delay_alu instid0(SALU_CYCLE_1)
	s_or_b32 s21, s21, s23
	s_or_b32 exec_lo, exec_lo, s22
	v_mov_b32_e32 v5, 0
	s_and_saveexec_b32 s22, s21
	s_cbranch_execnz .LBB86_326
	s_branch .LBB86_327
.LBB86_533:
	s_mov_b32 s1, 0
.LBB86_534:
                                        ; implicit-def: $vgpr2
.LBB86_535:
	s_and_b32 vcc_lo, exec_lo, s21
	s_cbranch_vccz .LBB86_539
; %bb.536:
	s_cmp_eq_u32 s0, 44
	s_cbranch_scc0 .LBB86_538
; %bb.537:
	s_wait_loadcnt 0x0
	global_load_u8 v2, v[0:1], off
	s_mov_b32 s20, 0
	s_mov_b32 s1, -1
	s_wait_loadcnt 0x0
	v_lshlrev_b32_e32 v3, 23, v2
	v_cmp_ne_u32_e32 vcc_lo, 0xff, v2
	s_delay_alu instid0(VALU_DEP_2) | instskip(NEXT) | instid1(VALU_DEP_1)
	v_cvt_f16_f32_e32 v3, v3
	v_cndmask_b32_e32 v3, 0x7e00, v3, vcc_lo
	v_cmp_ne_u32_e32 vcc_lo, 0, v2
	s_delay_alu instid0(VALU_DEP_2)
	v_cndmask_b32_e32 v2, 0, v3, vcc_lo
	s_branch .LBB86_539
.LBB86_538:
	s_mov_b32 s20, -1
                                        ; implicit-def: $vgpr2
.LBB86_539:
	s_mov_b32 s21, 0
.LBB86_540:
	s_delay_alu instid0(SALU_CYCLE_1)
	s_and_b32 vcc_lo, exec_lo, s21
	s_cbranch_vccz .LBB86_544
; %bb.541:
	s_cmp_eq_u32 s0, 29
	s_cbranch_scc0 .LBB86_543
; %bb.542:
	s_wait_loadcnt 0x0
	global_load_b64 v[2:3], v[0:1], off
	s_mov_b32 s1, -1
	s_mov_b32 s20, 0
	s_mov_b32 s21, 0
	s_wait_loadcnt 0x0
	v_clz_i32_u32_e32 v5, v3
	s_delay_alu instid0(VALU_DEP_1) | instskip(NEXT) | instid1(VALU_DEP_1)
	v_min_u32_e32 v5, 32, v5
	v_lshlrev_b64_e32 v[2:3], v5, v[2:3]
	s_delay_alu instid0(VALU_DEP_1) | instskip(NEXT) | instid1(VALU_DEP_1)
	v_min_u32_e32 v2, 1, v2
	v_dual_sub_nc_u32 v3, 32, v5 :: v_dual_bitop2_b32 v2, v3, v2 bitop3:0x54
	s_delay_alu instid0(VALU_DEP_1) | instskip(NEXT) | instid1(VALU_DEP_1)
	v_cvt_f32_u32_e32 v2, v2
	v_ldexp_f32 v2, v2, v3
	s_delay_alu instid0(VALU_DEP_1)
	v_cvt_f16_f32_e32 v2, v2
	s_branch .LBB86_545
.LBB86_543:
	s_mov_b32 s20, -1
                                        ; implicit-def: $vgpr2
.LBB86_544:
	s_mov_b32 s21, 0
.LBB86_545:
	s_delay_alu instid0(SALU_CYCLE_1)
	s_and_b32 vcc_lo, exec_lo, s21
	s_cbranch_vccz .LBB86_563
; %bb.546:
	s_cmp_lt_i32 s0, 27
	s_cbranch_scc1 .LBB86_549
; %bb.547:
	s_cmp_gt_i32 s0, 27
	s_cbranch_scc0 .LBB86_550
; %bb.548:
	s_wait_loadcnt 0x0
	global_load_b32 v2, v[0:1], off
	s_mov_b32 s1, 0
	s_wait_loadcnt 0x0
	v_cvt_f32_u32_e32 v2, v2
	s_delay_alu instid0(VALU_DEP_1)
	v_cvt_f16_f32_e32 v2, v2
	s_branch .LBB86_551
.LBB86_549:
	s_mov_b32 s1, -1
                                        ; implicit-def: $vgpr2
	s_branch .LBB86_554
.LBB86_550:
	s_mov_b32 s1, -1
                                        ; implicit-def: $vgpr2
.LBB86_551:
	s_delay_alu instid0(SALU_CYCLE_1)
	s_and_not1_b32 vcc_lo, exec_lo, s1
	s_cbranch_vccnz .LBB86_553
; %bb.552:
	s_wait_loadcnt 0x0
	global_load_u16 v2, v[0:1], off
	s_wait_loadcnt 0x0
	v_cvt_f16_u16_e32 v2, v2
.LBB86_553:
	s_mov_b32 s1, 0
.LBB86_554:
	s_delay_alu instid0(SALU_CYCLE_1)
	s_and_not1_b32 vcc_lo, exec_lo, s1
	s_cbranch_vccnz .LBB86_562
; %bb.555:
	global_load_u8 v3, v[0:1], off
	s_mov_b32 s1, 0
	s_mov_b32 s21, exec_lo
	s_wait_loadcnt 0x0
	v_cmpx_lt_i16_e32 0x7f, v3
	s_xor_b32 s21, exec_lo, s21
	s_cbranch_execz .LBB86_576
; %bb.556:
	s_mov_b32 s1, -1
	s_mov_b32 s22, exec_lo
	v_cmpx_eq_u16_e32 0x80, v3
; %bb.557:
	s_xor_b32 s1, exec_lo, -1
; %bb.558:
	s_or_b32 exec_lo, exec_lo, s22
	s_delay_alu instid0(SALU_CYCLE_1)
	s_and_b32 s1, s1, exec_lo
	s_or_saveexec_b32 s21, s21
	v_mov_b32_e32 v2, 0x7e00
	s_xor_b32 exec_lo, exec_lo, s21
	s_cbranch_execnz .LBB86_577
.LBB86_559:
	s_or_b32 exec_lo, exec_lo, s21
	s_and_saveexec_b32 s21, s1
	s_cbranch_execz .LBB86_561
.LBB86_560:
	v_and_b32_e32 v2, 0xffff, v3
	s_delay_alu instid0(VALU_DEP_1) | instskip(SKIP_1) | instid1(VALU_DEP_2)
	v_dual_lshlrev_b32 v3, 24, v3 :: v_dual_bitop2_b32 v5, 7, v2 bitop3:0x40
	v_bfe_u32 v8, v2, 3, 4
	v_and_b32_e32 v3, 0x80000000, v3
	s_delay_alu instid0(VALU_DEP_3) | instskip(NEXT) | instid1(VALU_DEP_3)
	v_clz_i32_u32_e32 v6, v5
	v_cmp_eq_u32_e32 vcc_lo, 0, v8
	s_delay_alu instid0(VALU_DEP_2) | instskip(NEXT) | instid1(VALU_DEP_1)
	v_min_u32_e32 v6, 32, v6
	v_subrev_nc_u32_e32 v7, 28, v6
	v_sub_nc_u32_e32 v6, 29, v6
	s_delay_alu instid0(VALU_DEP_2) | instskip(NEXT) | instid1(VALU_DEP_2)
	v_lshlrev_b32_e32 v2, v7, v2
	v_cndmask_b32_e32 v6, v8, v6, vcc_lo
	s_delay_alu instid0(VALU_DEP_2) | instskip(NEXT) | instid1(VALU_DEP_1)
	v_and_b32_e32 v2, 7, v2
	v_cndmask_b32_e32 v2, v5, v2, vcc_lo
	s_delay_alu instid0(VALU_DEP_3) | instskip(NEXT) | instid1(VALU_DEP_2)
	v_lshl_add_u32 v5, v6, 23, 0x3b800000
	v_lshlrev_b32_e32 v2, 20, v2
	s_delay_alu instid0(VALU_DEP_1) | instskip(NEXT) | instid1(VALU_DEP_1)
	v_or3_b32 v2, v3, v5, v2
	v_cvt_f16_f32_e32 v2, v2
.LBB86_561:
	s_or_b32 exec_lo, exec_lo, s21
.LBB86_562:
	s_mov_b32 s1, -1
.LBB86_563:
	s_mov_b32 s21, 0
.LBB86_564:
	s_delay_alu instid0(SALU_CYCLE_1)
	s_and_b32 vcc_lo, exec_lo, s21
	s_cbranch_vccz .LBB86_599
; %bb.565:
	s_cmp_gt_i32 s0, 22
	s_cbranch_scc0 .LBB86_575
; %bb.566:
	s_cmp_lt_i32 s0, 24
	s_cbranch_scc1 .LBB86_578
; %bb.567:
	s_cmp_gt_i32 s0, 24
	s_cbranch_scc0 .LBB86_579
; %bb.568:
	global_load_u8 v3, v[0:1], off
	s_mov_b32 s1, 0
	s_mov_b32 s21, exec_lo
	s_wait_loadcnt 0x0
	v_cmpx_lt_i16_e32 0x7f, v3
	s_xor_b32 s21, exec_lo, s21
	s_cbranch_execz .LBB86_591
; %bb.569:
	s_mov_b32 s1, -1
	s_mov_b32 s22, exec_lo
	v_cmpx_eq_u16_e32 0x80, v3
; %bb.570:
	s_xor_b32 s1, exec_lo, -1
; %bb.571:
	s_or_b32 exec_lo, exec_lo, s22
	s_delay_alu instid0(SALU_CYCLE_1)
	s_and_b32 s1, s1, exec_lo
	s_or_saveexec_b32 s21, s21
	v_mov_b32_e32 v2, 0x7e00
	s_xor_b32 exec_lo, exec_lo, s21
	s_cbranch_execnz .LBB86_592
.LBB86_572:
	s_or_b32 exec_lo, exec_lo, s21
	s_and_saveexec_b32 s21, s1
	s_cbranch_execz .LBB86_574
.LBB86_573:
	v_and_b32_e32 v2, 0xffff, v3
	s_delay_alu instid0(VALU_DEP_1) | instskip(SKIP_1) | instid1(VALU_DEP_2)
	v_dual_lshlrev_b32 v3, 24, v3 :: v_dual_bitop2_b32 v5, 3, v2 bitop3:0x40
	v_bfe_u32 v8, v2, 2, 5
	v_and_b32_e32 v3, 0x80000000, v3
	s_delay_alu instid0(VALU_DEP_3) | instskip(NEXT) | instid1(VALU_DEP_3)
	v_clz_i32_u32_e32 v6, v5
	v_cmp_eq_u32_e32 vcc_lo, 0, v8
	s_delay_alu instid0(VALU_DEP_2) | instskip(NEXT) | instid1(VALU_DEP_1)
	v_min_u32_e32 v6, 32, v6
	v_subrev_nc_u32_e32 v7, 29, v6
	v_sub_nc_u32_e32 v6, 30, v6
	s_delay_alu instid0(VALU_DEP_2) | instskip(NEXT) | instid1(VALU_DEP_2)
	v_lshlrev_b32_e32 v2, v7, v2
	v_cndmask_b32_e32 v6, v8, v6, vcc_lo
	s_delay_alu instid0(VALU_DEP_2) | instskip(NEXT) | instid1(VALU_DEP_1)
	v_and_b32_e32 v2, 3, v2
	v_cndmask_b32_e32 v2, v5, v2, vcc_lo
	s_delay_alu instid0(VALU_DEP_3) | instskip(NEXT) | instid1(VALU_DEP_2)
	v_lshl_add_u32 v5, v6, 23, 0x37800000
	v_lshlrev_b32_e32 v2, 21, v2
	s_delay_alu instid0(VALU_DEP_1) | instskip(NEXT) | instid1(VALU_DEP_1)
	v_or3_b32 v2, v3, v5, v2
	v_cvt_f16_f32_e32 v2, v2
.LBB86_574:
	s_or_b32 exec_lo, exec_lo, s21
	s_mov_b32 s1, 0
	s_branch .LBB86_580
.LBB86_575:
	s_mov_b32 s21, -1
                                        ; implicit-def: $vgpr2
	s_branch .LBB86_586
.LBB86_576:
	s_or_saveexec_b32 s21, s21
	v_mov_b32_e32 v2, 0x7e00
	s_xor_b32 exec_lo, exec_lo, s21
	s_cbranch_execz .LBB86_559
.LBB86_577:
	v_cmp_ne_u16_e32 vcc_lo, 0, v3
	v_mov_b32_e32 v2, v3
	s_and_not1_b32 s1, s1, exec_lo
	s_and_b32 s22, vcc_lo, exec_lo
	s_delay_alu instid0(SALU_CYCLE_1)
	s_or_b32 s1, s1, s22
	s_or_b32 exec_lo, exec_lo, s21
	s_and_saveexec_b32 s21, s1
	s_cbranch_execnz .LBB86_560
	s_branch .LBB86_561
.LBB86_578:
	s_mov_b32 s1, -1
                                        ; implicit-def: $vgpr2
	s_branch .LBB86_583
.LBB86_579:
	s_mov_b32 s1, -1
                                        ; implicit-def: $vgpr2
.LBB86_580:
	s_delay_alu instid0(SALU_CYCLE_1)
	s_and_b32 vcc_lo, exec_lo, s1
	s_cbranch_vccz .LBB86_582
; %bb.581:
	s_wait_loadcnt 0x0
	global_load_u8 v2, v[0:1], off
	s_wait_loadcnt 0x0
	v_lshlrev_b32_e32 v2, 24, v2
	s_delay_alu instid0(VALU_DEP_1) | instskip(NEXT) | instid1(VALU_DEP_1)
	v_and_b32_e32 v3, 0x7f000000, v2
	v_clz_i32_u32_e32 v5, v3
	v_add_nc_u32_e32 v7, 0x1000000, v3
	v_cmp_ne_u32_e32 vcc_lo, 0, v3
	s_delay_alu instid0(VALU_DEP_3) | instskip(NEXT) | instid1(VALU_DEP_1)
	v_min_u32_e32 v5, 32, v5
	v_sub_nc_u32_e64 v5, v5, 4 clamp
	s_delay_alu instid0(VALU_DEP_1) | instskip(NEXT) | instid1(VALU_DEP_1)
	v_dual_lshlrev_b32 v6, v5, v3 :: v_dual_lshlrev_b32 v5, 23, v5
	v_lshrrev_b32_e32 v6, 4, v6
	s_delay_alu instid0(VALU_DEP_1) | instskip(NEXT) | instid1(VALU_DEP_1)
	v_dual_sub_nc_u32 v5, v6, v5 :: v_dual_ashrrev_i32 v6, 8, v7
	v_add_nc_u32_e32 v5, 0x3c000000, v5
	s_delay_alu instid0(VALU_DEP_1) | instskip(NEXT) | instid1(VALU_DEP_1)
	v_and_or_b32 v5, 0x7f800000, v6, v5
	v_cndmask_b32_e32 v3, 0, v5, vcc_lo
	s_delay_alu instid0(VALU_DEP_1) | instskip(NEXT) | instid1(VALU_DEP_1)
	v_and_or_b32 v2, 0x80000000, v2, v3
	v_cvt_f16_f32_e32 v2, v2
.LBB86_582:
	s_mov_b32 s1, 0
.LBB86_583:
	s_delay_alu instid0(SALU_CYCLE_1)
	s_and_not1_b32 vcc_lo, exec_lo, s1
	s_cbranch_vccnz .LBB86_585
; %bb.584:
	s_wait_loadcnt 0x0
	global_load_u8 v2, v[0:1], off
	s_wait_loadcnt 0x0
	v_lshlrev_b32_e32 v3, 25, v2
	v_lshlrev_b16 v2, 8, v2
	s_delay_alu instid0(VALU_DEP_2) | instskip(NEXT) | instid1(VALU_DEP_2)
	v_cmp_gt_u32_e32 vcc_lo, 0x8000000, v3
	v_and_or_b32 v6, 0x7f00, v2, 0.5
	v_lshrrev_b32_e32 v5, 4, v3
	v_bfe_i32 v2, v2, 0, 16
	s_delay_alu instid0(VALU_DEP_3) | instskip(NEXT) | instid1(VALU_DEP_3)
	v_add_f32_e32 v6, -0.5, v6
	v_or_b32_e32 v5, 0x70000000, v5
	s_delay_alu instid0(VALU_DEP_1) | instskip(NEXT) | instid1(VALU_DEP_1)
	v_mul_f32_e32 v5, 0x7800000, v5
	v_cndmask_b32_e32 v3, v5, v6, vcc_lo
	s_delay_alu instid0(VALU_DEP_1) | instskip(NEXT) | instid1(VALU_DEP_1)
	v_and_or_b32 v2, 0x80000000, v2, v3
	v_cvt_f16_f32_e32 v2, v2
.LBB86_585:
	s_mov_b32 s21, 0
	s_mov_b32 s1, -1
.LBB86_586:
	s_and_not1_b32 vcc_lo, exec_lo, s21
	s_cbranch_vccnz .LBB86_599
; %bb.587:
	s_cmp_gt_i32 s0, 14
	s_cbranch_scc0 .LBB86_590
; %bb.588:
	s_cmp_eq_u32 s0, 15
	s_cbranch_scc0 .LBB86_593
; %bb.589:
	s_wait_loadcnt 0x0
	global_load_u16 v2, v[0:1], off
	s_mov_b32 s1, -1
	s_mov_b32 s20, 0
	s_wait_loadcnt 0x0
	v_lshlrev_b32_e32 v2, 16, v2
	s_delay_alu instid0(VALU_DEP_1)
	v_cvt_f16_f32_e32 v2, v2
	s_branch .LBB86_594
.LBB86_590:
	s_mov_b32 s21, -1
                                        ; implicit-def: $vgpr2
	s_branch .LBB86_595
.LBB86_591:
	s_or_saveexec_b32 s21, s21
	v_mov_b32_e32 v2, 0x7e00
	s_xor_b32 exec_lo, exec_lo, s21
	s_cbranch_execz .LBB86_572
.LBB86_592:
	v_cmp_ne_u16_e32 vcc_lo, 0, v3
	v_mov_b32_e32 v2, v3
	s_and_not1_b32 s1, s1, exec_lo
	s_and_b32 s22, vcc_lo, exec_lo
	s_delay_alu instid0(SALU_CYCLE_1)
	s_or_b32 s1, s1, s22
	s_or_b32 exec_lo, exec_lo, s21
	s_and_saveexec_b32 s21, s1
	s_cbranch_execnz .LBB86_573
	s_branch .LBB86_574
.LBB86_593:
	s_mov_b32 s20, -1
                                        ; implicit-def: $vgpr2
.LBB86_594:
	s_mov_b32 s21, 0
.LBB86_595:
	s_delay_alu instid0(SALU_CYCLE_1)
	s_and_b32 vcc_lo, exec_lo, s21
	s_cbranch_vccz .LBB86_599
; %bb.596:
	s_cmp_eq_u32 s0, 11
	s_cbranch_scc0 .LBB86_598
; %bb.597:
	s_wait_loadcnt 0x0
	global_load_u8 v2, v[0:1], off
	s_mov_b32 s20, 0
	s_mov_b32 s1, -1
	s_wait_loadcnt 0x0
	v_cmp_ne_u16_e32 vcc_lo, 0, v2
	v_cndmask_b32_e64 v2, 0, 0x3c00, vcc_lo
	s_branch .LBB86_599
.LBB86_598:
	s_mov_b32 s20, -1
                                        ; implicit-def: $vgpr2
.LBB86_599:
	s_mov_b32 s21, 0
.LBB86_600:
	s_delay_alu instid0(SALU_CYCLE_1)
	s_and_b32 vcc_lo, exec_lo, s21
	s_cbranch_vccz .LBB86_649
; %bb.601:
	s_cmp_lt_i32 s0, 5
	s_cbranch_scc1 .LBB86_606
; %bb.602:
	s_cmp_lt_i32 s0, 8
	s_cbranch_scc1 .LBB86_607
	;; [unrolled: 3-line block ×3, first 2 shown]
; %bb.604:
	s_cmp_gt_i32 s0, 9
	s_cbranch_scc0 .LBB86_609
; %bb.605:
	s_wait_loadcnt 0x0
	global_load_b64 v[2:3], v[0:1], off
	s_mov_b32 s1, 0
	s_wait_loadcnt 0x0
	v_and_or_b32 v2, 0x1ff, v3, v2
	v_lshrrev_b32_e32 v5, 8, v3
	v_bfe_u32 v6, v3, 20, 11
	v_lshrrev_b32_e32 v3, 16, v3
	s_delay_alu instid0(VALU_DEP_4) | instskip(NEXT) | instid1(VALU_DEP_3)
	v_cmp_ne_u32_e32 vcc_lo, 0, v2
	v_sub_nc_u32_e32 v7, 0x3f1, v6
	v_add_nc_u32_e32 v6, 0xfffffc10, v6
	v_cndmask_b32_e64 v2, 0, 1, vcc_lo
	s_delay_alu instid0(VALU_DEP_1) | instskip(NEXT) | instid1(VALU_DEP_4)
	v_and_or_b32 v2, 0xffe, v5, v2
	v_med3_i32 v5, v7, 0, 13
	s_delay_alu instid0(VALU_DEP_2) | instskip(NEXT) | instid1(VALU_DEP_1)
	v_or_b32_e32 v7, 0x1000, v2
	v_lshrrev_b32_e32 v8, v5, v7
	s_delay_alu instid0(VALU_DEP_1) | instskip(NEXT) | instid1(VALU_DEP_1)
	v_lshlrev_b32_e32 v5, v5, v8
	v_cmp_ne_u32_e32 vcc_lo, v5, v7
	v_lshl_or_b32 v7, v6, 12, v2
	v_cndmask_b32_e64 v5, 0, 1, vcc_lo
	v_cmp_gt_i32_e32 vcc_lo, 1, v6
	s_delay_alu instid0(VALU_DEP_2) | instskip(NEXT) | instid1(VALU_DEP_1)
	v_or_b32_e32 v5, v8, v5
	v_cndmask_b32_e32 v5, v7, v5, vcc_lo
	s_delay_alu instid0(VALU_DEP_1) | instskip(NEXT) | instid1(VALU_DEP_1)
	v_dual_lshrrev_b32 v5, 2, v5 :: v_dual_bitop2_b32 v7, 7, v5 bitop3:0x40
	v_cmp_lt_i32_e32 vcc_lo, 5, v7
	v_cndmask_b32_e64 v8, 0, 1, vcc_lo
	v_cmp_eq_u32_e32 vcc_lo, 3, v7
	v_cndmask_b32_e64 v7, 0, 1, vcc_lo
	v_cmp_ne_u32_e32 vcc_lo, 0, v2
	s_delay_alu instid0(VALU_DEP_2) | instskip(NEXT) | instid1(VALU_DEP_1)
	v_or_b32_e32 v7, v7, v8
	v_dual_mov_b32 v8, 0x7e00 :: v_dual_add_nc_u32 v5, v5, v7
	s_delay_alu instid0(VALU_DEP_1) | instskip(SKIP_1) | instid1(VALU_DEP_3)
	v_cndmask_b32_e32 v2, 0x7c00, v8, vcc_lo
	v_cmp_gt_i32_e32 vcc_lo, 31, v6
	v_cndmask_b32_e32 v5, 0x7c00, v5, vcc_lo
	v_cmp_eq_u32_e32 vcc_lo, 0x40f, v6
	s_delay_alu instid0(VALU_DEP_2) | instskip(NEXT) | instid1(VALU_DEP_1)
	v_cndmask_b32_e32 v2, v5, v2, vcc_lo
	v_and_or_b32 v2, 0x8000, v3, v2
	s_branch .LBB86_610
.LBB86_606:
	s_mov_b32 s1, -1
                                        ; implicit-def: $vgpr2
	s_branch .LBB86_628
.LBB86_607:
	s_mov_b32 s1, -1
                                        ; implicit-def: $vgpr2
	s_branch .LBB86_616
.LBB86_608:
	s_mov_b32 s1, -1
                                        ; implicit-def: $vgpr2
	s_branch .LBB86_613
.LBB86_609:
	s_mov_b32 s1, -1
                                        ; implicit-def: $vgpr2
.LBB86_610:
	s_delay_alu instid0(SALU_CYCLE_1)
	s_and_not1_b32 vcc_lo, exec_lo, s1
	s_cbranch_vccnz .LBB86_612
; %bb.611:
	s_wait_loadcnt 0x0
	global_load_b32 v2, v[0:1], off
	s_wait_loadcnt 0x0
	v_cvt_f16_f32_e32 v2, v2
.LBB86_612:
	s_mov_b32 s1, 0
.LBB86_613:
	s_delay_alu instid0(SALU_CYCLE_1)
	s_and_not1_b32 vcc_lo, exec_lo, s1
	s_cbranch_vccnz .LBB86_615
; %bb.614:
	s_wait_loadcnt 0x0
	global_load_b32 v2, v[0:1], off
.LBB86_615:
	s_mov_b32 s1, 0
.LBB86_616:
	s_delay_alu instid0(SALU_CYCLE_1)
	s_and_not1_b32 vcc_lo, exec_lo, s1
	s_cbranch_vccnz .LBB86_627
; %bb.617:
	s_cmp_lt_i32 s0, 6
	s_cbranch_scc1 .LBB86_620
; %bb.618:
	s_cmp_gt_i32 s0, 6
	s_cbranch_scc0 .LBB86_621
; %bb.619:
	s_wait_loadcnt 0x0
	global_load_b64 v[2:3], v[0:1], off
	s_mov_b32 s1, 0
	s_wait_loadcnt 0x0
	v_and_or_b32 v2, 0x1ff, v3, v2
	v_lshrrev_b32_e32 v5, 8, v3
	v_bfe_u32 v6, v3, 20, 11
	v_lshrrev_b32_e32 v3, 16, v3
	s_delay_alu instid0(VALU_DEP_4) | instskip(NEXT) | instid1(VALU_DEP_3)
	v_cmp_ne_u32_e32 vcc_lo, 0, v2
	v_sub_nc_u32_e32 v7, 0x3f1, v6
	v_add_nc_u32_e32 v6, 0xfffffc10, v6
	v_cndmask_b32_e64 v2, 0, 1, vcc_lo
	s_delay_alu instid0(VALU_DEP_1) | instskip(NEXT) | instid1(VALU_DEP_4)
	v_and_or_b32 v2, 0xffe, v5, v2
	v_med3_i32 v5, v7, 0, 13
	s_delay_alu instid0(VALU_DEP_2) | instskip(NEXT) | instid1(VALU_DEP_1)
	v_or_b32_e32 v7, 0x1000, v2
	v_lshrrev_b32_e32 v8, v5, v7
	s_delay_alu instid0(VALU_DEP_1) | instskip(NEXT) | instid1(VALU_DEP_1)
	v_lshlrev_b32_e32 v5, v5, v8
	v_cmp_ne_u32_e32 vcc_lo, v5, v7
	v_lshl_or_b32 v7, v6, 12, v2
	v_cndmask_b32_e64 v5, 0, 1, vcc_lo
	v_cmp_gt_i32_e32 vcc_lo, 1, v6
	s_delay_alu instid0(VALU_DEP_2) | instskip(NEXT) | instid1(VALU_DEP_1)
	v_or_b32_e32 v5, v8, v5
	v_cndmask_b32_e32 v5, v7, v5, vcc_lo
	s_delay_alu instid0(VALU_DEP_1) | instskip(NEXT) | instid1(VALU_DEP_1)
	v_dual_lshrrev_b32 v5, 2, v5 :: v_dual_bitop2_b32 v7, 7, v5 bitop3:0x40
	v_cmp_lt_i32_e32 vcc_lo, 5, v7
	v_cndmask_b32_e64 v8, 0, 1, vcc_lo
	v_cmp_eq_u32_e32 vcc_lo, 3, v7
	v_cndmask_b32_e64 v7, 0, 1, vcc_lo
	v_cmp_ne_u32_e32 vcc_lo, 0, v2
	s_delay_alu instid0(VALU_DEP_2) | instskip(NEXT) | instid1(VALU_DEP_1)
	v_or_b32_e32 v7, v7, v8
	v_dual_mov_b32 v8, 0x7e00 :: v_dual_add_nc_u32 v5, v5, v7
	s_delay_alu instid0(VALU_DEP_1) | instskip(SKIP_1) | instid1(VALU_DEP_3)
	v_cndmask_b32_e32 v2, 0x7c00, v8, vcc_lo
	v_cmp_gt_i32_e32 vcc_lo, 31, v6
	v_cndmask_b32_e32 v5, 0x7c00, v5, vcc_lo
	v_cmp_eq_u32_e32 vcc_lo, 0x40f, v6
	s_delay_alu instid0(VALU_DEP_2) | instskip(NEXT) | instid1(VALU_DEP_1)
	v_cndmask_b32_e32 v2, v5, v2, vcc_lo
	v_and_or_b32 v2, 0x8000, v3, v2
	s_branch .LBB86_622
.LBB86_620:
	s_mov_b32 s1, -1
                                        ; implicit-def: $vgpr2
	s_branch .LBB86_625
.LBB86_621:
	s_mov_b32 s1, -1
                                        ; implicit-def: $vgpr2
.LBB86_622:
	s_delay_alu instid0(SALU_CYCLE_1)
	s_and_not1_b32 vcc_lo, exec_lo, s1
	s_cbranch_vccnz .LBB86_624
; %bb.623:
	s_wait_loadcnt 0x0
	global_load_b32 v2, v[0:1], off
	s_wait_loadcnt 0x0
	v_cvt_f16_f32_e32 v2, v2
.LBB86_624:
	s_mov_b32 s1, 0
.LBB86_625:
	s_delay_alu instid0(SALU_CYCLE_1)
	s_and_not1_b32 vcc_lo, exec_lo, s1
	s_cbranch_vccnz .LBB86_627
; %bb.626:
	s_wait_loadcnt 0x0
	global_load_u16 v2, v[0:1], off
.LBB86_627:
	s_mov_b32 s1, 0
.LBB86_628:
	s_delay_alu instid0(SALU_CYCLE_1)
	s_and_not1_b32 vcc_lo, exec_lo, s1
	s_cbranch_vccnz .LBB86_648
; %bb.629:
	s_cmp_lt_i32 s0, 2
	s_cbranch_scc1 .LBB86_633
; %bb.630:
	s_cmp_lt_i32 s0, 3
	s_cbranch_scc1 .LBB86_634
; %bb.631:
	s_cmp_gt_i32 s0, 3
	s_cbranch_scc0 .LBB86_635
; %bb.632:
	s_wait_loadcnt 0x0
	global_load_b64 v[2:3], v[0:1], off
	s_mov_b32 s1, 0
	s_wait_loadcnt 0x0
	v_xor_b32_e32 v5, v2, v3
	v_cls_i32_e32 v6, v3
	s_delay_alu instid0(VALU_DEP_2) | instskip(NEXT) | instid1(VALU_DEP_1)
	v_ashrrev_i32_e32 v5, 31, v5
	v_add_nc_u32_e32 v5, 32, v5
	s_delay_alu instid0(VALU_DEP_1) | instskip(NEXT) | instid1(VALU_DEP_1)
	v_add_min_u32_e64 v5, v6, -1, v5
	v_lshlrev_b64_e32 v[2:3], v5, v[2:3]
	s_delay_alu instid0(VALU_DEP_1) | instskip(NEXT) | instid1(VALU_DEP_1)
	v_min_u32_e32 v2, 1, v2
	v_dual_sub_nc_u32 v3, 32, v5 :: v_dual_bitop2_b32 v2, v3, v2 bitop3:0x54
	s_delay_alu instid0(VALU_DEP_1) | instskip(NEXT) | instid1(VALU_DEP_1)
	v_cvt_f32_i32_e32 v2, v2
	v_ldexp_f32 v2, v2, v3
	s_delay_alu instid0(VALU_DEP_1)
	v_cvt_f16_f32_e32 v2, v2
	s_branch .LBB86_636
.LBB86_633:
	s_mov_b32 s1, -1
                                        ; implicit-def: $vgpr2
	s_branch .LBB86_642
.LBB86_634:
	s_mov_b32 s1, -1
                                        ; implicit-def: $vgpr2
	s_branch .LBB86_639
.LBB86_635:
	s_mov_b32 s1, -1
                                        ; implicit-def: $vgpr2
.LBB86_636:
	s_delay_alu instid0(SALU_CYCLE_1)
	s_and_not1_b32 vcc_lo, exec_lo, s1
	s_cbranch_vccnz .LBB86_638
; %bb.637:
	s_wait_loadcnt 0x0
	global_load_b32 v2, v[0:1], off
	s_wait_loadcnt 0x0
	v_cvt_f32_i32_e32 v2, v2
	s_delay_alu instid0(VALU_DEP_1)
	v_cvt_f16_f32_e32 v2, v2
.LBB86_638:
	s_mov_b32 s1, 0
.LBB86_639:
	s_delay_alu instid0(SALU_CYCLE_1)
	s_and_not1_b32 vcc_lo, exec_lo, s1
	s_cbranch_vccnz .LBB86_641
; %bb.640:
	s_wait_loadcnt 0x0
	global_load_u16 v2, v[0:1], off
	s_wait_loadcnt 0x0
	v_cvt_f16_i16_e32 v2, v2
.LBB86_641:
	s_mov_b32 s1, 0
.LBB86_642:
	s_delay_alu instid0(SALU_CYCLE_1)
	s_and_not1_b32 vcc_lo, exec_lo, s1
	s_cbranch_vccnz .LBB86_648
; %bb.643:
	s_cmp_gt_i32 s0, 0
	s_mov_b32 s0, 0
	s_cbranch_scc0 .LBB86_645
; %bb.644:
	s_wait_loadcnt 0x0
	global_load_i8 v2, v[0:1], off
	s_wait_loadcnt 0x0
	v_cvt_f16_i16_e32 v2, v2
	s_branch .LBB86_646
.LBB86_645:
	s_mov_b32 s0, -1
                                        ; implicit-def: $vgpr2
.LBB86_646:
	s_delay_alu instid0(SALU_CYCLE_1)
	s_and_not1_b32 vcc_lo, exec_lo, s0
	s_cbranch_vccnz .LBB86_648
; %bb.647:
	global_load_u8 v0, v[0:1], off
	s_wait_loadcnt 0x0
	v_cvt_f16_u16_e32 v2, v0
.LBB86_648:
	s_mov_b32 s1, -1
.LBB86_649:
	s_delay_alu instid0(SALU_CYCLE_1)
	s_and_not1_b32 vcc_lo, exec_lo, s1
	s_cbranch_vccnz .LBB86_657
; %bb.650:
	s_wait_xcnt 0x0
	v_mul_lo_u32 v0, v4, s2
	s_wait_loadcnt 0x0
	v_cmp_eq_f16_e64 s0, 0xfc00, v2
	s_and_b32 s21, s8, 0xff
	s_delay_alu instid0(SALU_CYCLE_1) | instskip(SKIP_1) | instid1(VALU_DEP_1)
	s_cmp_lt_i32 s21, 11
	v_ashrrev_i32_e32 v1, 31, v0
	v_add_nc_u64_e32 v[0:1], s[4:5], v[0:1]
	s_cbranch_scc1 .LBB86_658
; %bb.651:
	s_and_b32 s22, 0xffff, s21
	s_delay_alu instid0(SALU_CYCLE_1)
	s_cmp_gt_i32 s22, 25
	s_cbranch_scc0 .LBB86_659
; %bb.652:
	s_cmp_gt_i32 s22, 28
	s_cbranch_scc0 .LBB86_660
; %bb.653:
	;; [unrolled: 3-line block ×4, first 2 shown]
	s_mov_b32 s24, 0
	s_mov_b32 s1, -1
	s_cmp_eq_u32 s22, 46
	s_mov_b32 s23, 0
	s_cbranch_scc0 .LBB86_663
; %bb.656:
	v_cndmask_b32_e64 v2, 0, 1.0, s0
	s_mov_b32 s23, -1
	s_mov_b32 s1, 0
	s_delay_alu instid0(VALU_DEP_1) | instskip(NEXT) | instid1(VALU_DEP_1)
	v_bfe_u32 v3, v2, 16, 1
	v_add3_u32 v2, v2, v3, 0x7fff
	s_delay_alu instid0(VALU_DEP_1)
	v_lshrrev_b32_e32 v2, 16, v2
	global_store_b32 v[0:1], v2, off
	s_branch .LBB86_663
.LBB86_657:
	s_mov_b32 s21, 0
	s_mov_b32 s1, s17
	s_branch .LBB86_774
.LBB86_658:
	s_mov_b32 s22, -1
	s_mov_b32 s23, 0
	s_mov_b32 s1, s17
	s_branch .LBB86_732
.LBB86_659:
	s_mov_b32 s24, -1
	s_mov_b32 s23, 0
	s_mov_b32 s1, s17
	s_branch .LBB86_690
.LBB86_660:
	s_mov_b32 s24, -1
	s_mov_b32 s23, 0
	s_mov_b32 s1, s17
	s_branch .LBB86_673
.LBB86_661:
	s_mov_b32 s24, -1
	s_mov_b32 s23, 0
	s_mov_b32 s1, s17
	s_branch .LBB86_669
.LBB86_662:
	s_mov_b32 s24, -1
	s_mov_b32 s23, 0
	s_mov_b32 s1, s17
.LBB86_663:
	s_and_b32 vcc_lo, exec_lo, s24
	s_cbranch_vccz .LBB86_668
; %bb.664:
	s_cmp_eq_u32 s22, 44
	s_mov_b32 s1, -1
	s_cbranch_scc0 .LBB86_668
; %bb.665:
	v_cndmask_b32_e64 v5, 0, 1.0, s0
	s_mov_b32 s23, exec_lo
	s_wait_xcnt 0x0
	s_delay_alu instid0(VALU_DEP_1) | instskip(NEXT) | instid1(VALU_DEP_1)
	v_dual_mov_b32 v3, 0xff :: v_dual_lshrrev_b32 v2, 23, v5
	v_cmpx_ne_u32_e32 0xff, v2
; %bb.666:
	v_and_b32_e32 v3, 0x400000, v5
	v_and_or_b32 v5, 0x3fffff, v5, v2
	s_delay_alu instid0(VALU_DEP_2) | instskip(NEXT) | instid1(VALU_DEP_2)
	v_cmp_ne_u32_e32 vcc_lo, 0, v3
	v_cmp_ne_u32_e64 s1, 0, v5
	s_and_b32 s1, vcc_lo, s1
	s_delay_alu instid0(SALU_CYCLE_1) | instskip(NEXT) | instid1(VALU_DEP_1)
	v_cndmask_b32_e64 v3, 0, 1, s1
	v_add_nc_u32_e32 v3, v2, v3
; %bb.667:
	s_or_b32 exec_lo, exec_lo, s23
	s_mov_b32 s23, -1
	s_mov_b32 s1, 0
	global_store_b8 v[0:1], v3, off
.LBB86_668:
	s_mov_b32 s24, 0
.LBB86_669:
	s_delay_alu instid0(SALU_CYCLE_1)
	s_and_b32 vcc_lo, exec_lo, s24
	s_cbranch_vccz .LBB86_672
; %bb.670:
	s_cmp_eq_u32 s22, 29
	s_mov_b32 s1, -1
	s_cbranch_scc0 .LBB86_672
; %bb.671:
	s_mov_b32 s1, 0
	s_wait_xcnt 0x0
	v_cndmask_b32_e64 v2, 0, 1, s0
	v_mov_b32_e32 v3, s1
	s_mov_b32 s23, -1
	s_mov_b32 s24, 0
	global_store_b64 v[0:1], v[2:3], off
	s_branch .LBB86_673
.LBB86_672:
	s_mov_b32 s24, 0
.LBB86_673:
	s_delay_alu instid0(SALU_CYCLE_1)
	s_and_b32 vcc_lo, exec_lo, s24
	s_cbranch_vccz .LBB86_689
; %bb.674:
	s_cmp_lt_i32 s22, 27
	s_mov_b32 s23, -1
	s_cbranch_scc1 .LBB86_680
; %bb.675:
	s_cmp_gt_i32 s22, 27
	s_cbranch_scc0 .LBB86_677
; %bb.676:
	s_wait_xcnt 0x0
	v_cndmask_b32_e64 v2, 0, 1, s0
	s_mov_b32 s23, 0
	global_store_b32 v[0:1], v2, off
.LBB86_677:
	s_and_not1_b32 vcc_lo, exec_lo, s23
	s_cbranch_vccnz .LBB86_679
; %bb.678:
	s_wait_xcnt 0x0
	v_cndmask_b32_e64 v2, 0, 1, s0
	global_store_b16 v[0:1], v2, off
.LBB86_679:
	s_mov_b32 s23, 0
.LBB86_680:
	s_delay_alu instid0(SALU_CYCLE_1)
	s_and_not1_b32 vcc_lo, exec_lo, s23
	s_cbranch_vccnz .LBB86_688
; %bb.681:
	s_wait_xcnt 0x0
	v_cndmask_b32_e64 v3, 0, 1.0, s0
	v_mov_b32_e32 v5, 0x80
	s_mov_b32 s23, exec_lo
	s_delay_alu instid0(VALU_DEP_2)
	v_cmpx_gt_u32_e32 0x43800000, v3
	s_cbranch_execz .LBB86_687
; %bb.682:
	s_mov_b32 s24, 0
	s_mov_b32 s25, exec_lo
                                        ; implicit-def: $vgpr2
	v_cmpx_lt_u32_e32 0x3bffffff, v3
	s_xor_b32 s25, exec_lo, s25
	s_cbranch_execz .LBB86_789
; %bb.683:
	v_bfe_u32 v2, v3, 20, 1
	s_mov_b32 s24, exec_lo
	s_delay_alu instid0(VALU_DEP_1) | instskip(NEXT) | instid1(VALU_DEP_1)
	v_add3_u32 v2, v3, v2, 0x487ffff
                                        ; implicit-def: $vgpr3
	v_lshrrev_b32_e32 v2, 20, v2
	s_and_not1_saveexec_b32 s25, s25
	s_cbranch_execnz .LBB86_790
.LBB86_684:
	s_or_b32 exec_lo, exec_lo, s25
	v_mov_b32_e32 v5, 0
	s_and_saveexec_b32 s25, s24
.LBB86_685:
	v_mov_b32_e32 v5, v2
.LBB86_686:
	s_or_b32 exec_lo, exec_lo, s25
.LBB86_687:
	s_delay_alu instid0(SALU_CYCLE_1)
	s_or_b32 exec_lo, exec_lo, s23
	global_store_b8 v[0:1], v5, off
.LBB86_688:
	s_mov_b32 s23, -1
.LBB86_689:
	s_mov_b32 s24, 0
.LBB86_690:
	s_delay_alu instid0(SALU_CYCLE_1)
	s_and_b32 vcc_lo, exec_lo, s24
	s_cbranch_vccz .LBB86_731
; %bb.691:
	s_cmp_gt_i32 s22, 22
	s_mov_b32 s24, -1
	s_cbranch_scc0 .LBB86_723
; %bb.692:
	s_cmp_lt_i32 s22, 24
	s_mov_b32 s23, -1
	s_cbranch_scc1 .LBB86_712
; %bb.693:
	s_cmp_gt_i32 s22, 24
	s_cbranch_scc0 .LBB86_701
; %bb.694:
	s_wait_xcnt 0x0
	v_cndmask_b32_e64 v3, 0, 1.0, s0
	v_mov_b32_e32 v5, 0x80
	s_mov_b32 s23, exec_lo
	s_delay_alu instid0(VALU_DEP_2)
	v_cmpx_gt_u32_e32 0x47800000, v3
	s_cbranch_execz .LBB86_700
; %bb.695:
	s_mov_b32 s24, 0
	s_mov_b32 s25, exec_lo
                                        ; implicit-def: $vgpr2
	v_cmpx_lt_u32_e32 0x37ffffff, v3
	s_xor_b32 s25, exec_lo, s25
	s_cbranch_execz .LBB86_792
; %bb.696:
	v_bfe_u32 v2, v3, 21, 1
	s_mov_b32 s24, exec_lo
	s_delay_alu instid0(VALU_DEP_1) | instskip(NEXT) | instid1(VALU_DEP_1)
	v_add3_u32 v2, v3, v2, 0x88fffff
                                        ; implicit-def: $vgpr3
	v_lshrrev_b32_e32 v2, 21, v2
	s_and_not1_saveexec_b32 s25, s25
	s_cbranch_execnz .LBB86_793
.LBB86_697:
	s_or_b32 exec_lo, exec_lo, s25
	v_mov_b32_e32 v5, 0
	s_and_saveexec_b32 s25, s24
.LBB86_698:
	v_mov_b32_e32 v5, v2
.LBB86_699:
	s_or_b32 exec_lo, exec_lo, s25
.LBB86_700:
	s_delay_alu instid0(SALU_CYCLE_1)
	s_or_b32 exec_lo, exec_lo, s23
	s_mov_b32 s23, 0
	global_store_b8 v[0:1], v5, off
.LBB86_701:
	s_and_b32 vcc_lo, exec_lo, s23
	s_cbranch_vccz .LBB86_711
; %bb.702:
	s_wait_xcnt 0x0
	v_cndmask_b32_e64 v3, 0, 1.0, s0
	s_mov_b32 s23, exec_lo
                                        ; implicit-def: $vgpr2
	s_delay_alu instid0(VALU_DEP_1)
	v_cmpx_gt_u32_e32 0x43f00000, v3
	s_xor_b32 s23, exec_lo, s23
	s_cbranch_execz .LBB86_708
; %bb.703:
	s_mov_b32 s24, exec_lo
                                        ; implicit-def: $vgpr2
	v_cmpx_lt_u32_e32 0x3c7fffff, v3
	s_xor_b32 s24, exec_lo, s24
; %bb.704:
	v_bfe_u32 v2, v3, 20, 1
	s_delay_alu instid0(VALU_DEP_1) | instskip(NEXT) | instid1(VALU_DEP_1)
	v_add3_u32 v2, v3, v2, 0x407ffff
	v_and_b32_e32 v3, 0xff00000, v2
	v_lshrrev_b32_e32 v2, 20, v2
	s_delay_alu instid0(VALU_DEP_2) | instskip(NEXT) | instid1(VALU_DEP_2)
	v_cmp_ne_u32_e32 vcc_lo, 0x7f00000, v3
                                        ; implicit-def: $vgpr3
	v_cndmask_b32_e32 v2, 0x7e, v2, vcc_lo
; %bb.705:
	s_and_not1_saveexec_b32 s24, s24
; %bb.706:
	v_add_f32_e32 v2, 0x46800000, v3
; %bb.707:
	s_or_b32 exec_lo, exec_lo, s24
                                        ; implicit-def: $vgpr3
.LBB86_708:
	s_and_not1_saveexec_b32 s23, s23
; %bb.709:
	v_mov_b32_e32 v2, 0x7f
	v_cmp_lt_u32_e32 vcc_lo, 0x7f800000, v3
	s_delay_alu instid0(VALU_DEP_2)
	v_cndmask_b32_e32 v2, 0x7e, v2, vcc_lo
; %bb.710:
	s_or_b32 exec_lo, exec_lo, s23
	global_store_b8 v[0:1], v2, off
.LBB86_711:
	s_mov_b32 s23, 0
.LBB86_712:
	s_delay_alu instid0(SALU_CYCLE_1)
	s_and_not1_b32 vcc_lo, exec_lo, s23
	s_cbranch_vccnz .LBB86_722
; %bb.713:
	s_wait_xcnt 0x0
	v_cndmask_b32_e64 v3, 0, 1.0, s0
	s_mov_b32 s23, exec_lo
                                        ; implicit-def: $vgpr2
	s_delay_alu instid0(VALU_DEP_1)
	v_cmpx_gt_u32_e32 0x47800000, v3
	s_xor_b32 s23, exec_lo, s23
	s_cbranch_execz .LBB86_719
; %bb.714:
	s_mov_b32 s24, exec_lo
                                        ; implicit-def: $vgpr2
	v_cmpx_lt_u32_e32 0x387fffff, v3
	s_xor_b32 s24, exec_lo, s24
; %bb.715:
	v_bfe_u32 v2, v3, 21, 1
	s_delay_alu instid0(VALU_DEP_1) | instskip(NEXT) | instid1(VALU_DEP_1)
	v_add3_u32 v2, v3, v2, 0x80fffff
                                        ; implicit-def: $vgpr3
	v_lshrrev_b32_e32 v2, 21, v2
; %bb.716:
	s_and_not1_saveexec_b32 s24, s24
; %bb.717:
	v_add_f32_e32 v2, 0x43000000, v3
; %bb.718:
	s_or_b32 exec_lo, exec_lo, s24
                                        ; implicit-def: $vgpr3
.LBB86_719:
	s_and_not1_saveexec_b32 s23, s23
; %bb.720:
	v_mov_b32_e32 v2, 0x7f
	v_cmp_lt_u32_e32 vcc_lo, 0x7f800000, v3
	s_delay_alu instid0(VALU_DEP_2)
	v_cndmask_b32_e32 v2, 0x7c, v2, vcc_lo
; %bb.721:
	s_or_b32 exec_lo, exec_lo, s23
	global_store_b8 v[0:1], v2, off
.LBB86_722:
	s_mov_b32 s24, 0
	s_mov_b32 s23, -1
.LBB86_723:
	s_and_not1_b32 vcc_lo, exec_lo, s24
	s_cbranch_vccnz .LBB86_731
; %bb.724:
	s_cmp_gt_i32 s22, 14
	s_mov_b32 s24, -1
	s_cbranch_scc0 .LBB86_728
; %bb.725:
	s_cmp_eq_u32 s22, 15
	s_mov_b32 s1, -1
	s_cbranch_scc0 .LBB86_727
; %bb.726:
	s_wait_xcnt 0x0
	v_cndmask_b32_e64 v2, 0, 1.0, s0
	s_mov_b32 s23, -1
	s_mov_b32 s1, 0
	s_delay_alu instid0(VALU_DEP_1) | instskip(NEXT) | instid1(VALU_DEP_1)
	v_bfe_u32 v3, v2, 16, 1
	v_add3_u32 v2, v2, v3, 0x7fff
	global_store_d16_hi_b16 v[0:1], v2, off
.LBB86_727:
	s_mov_b32 s24, 0
.LBB86_728:
	s_delay_alu instid0(SALU_CYCLE_1)
	s_and_b32 vcc_lo, exec_lo, s24
	s_cbranch_vccz .LBB86_731
; %bb.729:
	s_cmp_eq_u32 s22, 11
	s_mov_b32 s1, -1
	s_cbranch_scc0 .LBB86_731
; %bb.730:
	s_wait_xcnt 0x0
	v_cndmask_b32_e64 v2, 0, 1, s0
	s_mov_b32 s23, -1
	s_mov_b32 s1, 0
	global_store_b8 v[0:1], v2, off
.LBB86_731:
	s_mov_b32 s22, 0
.LBB86_732:
	s_delay_alu instid0(SALU_CYCLE_1)
	s_and_b32 vcc_lo, exec_lo, s22
	s_cbranch_vccz .LBB86_771
; %bb.733:
	s_and_b32 s21, 0xffff, s21
	s_mov_b32 s22, -1
	s_cmp_lt_i32 s21, 5
	s_cbranch_scc1 .LBB86_754
; %bb.734:
	s_cmp_lt_i32 s21, 8
	s_cbranch_scc1 .LBB86_744
; %bb.735:
	;; [unrolled: 3-line block ×3, first 2 shown]
	s_cmp_gt_i32 s21, 9
	s_cbranch_scc0 .LBB86_738
; %bb.737:
	s_wait_xcnt 0x0
	v_cndmask_b32_e64 v2, 0, 1, s0
	v_mov_b32_e32 v8, 0
	s_mov_b32 s22, 0
	s_delay_alu instid0(VALU_DEP_2) | instskip(NEXT) | instid1(VALU_DEP_2)
	v_cvt_f64_u32_e32 v[6:7], v2
	v_mov_b32_e32 v9, v8
	global_store_b128 v[0:1], v[6:9], off
.LBB86_738:
	s_and_not1_b32 vcc_lo, exec_lo, s22
	s_cbranch_vccnz .LBB86_740
; %bb.739:
	s_wait_xcnt 0x0
	v_cndmask_b32_e64 v2, 0, 1.0, s0
	v_mov_b32_e32 v3, 0
	global_store_b64 v[0:1], v[2:3], off
.LBB86_740:
	s_mov_b32 s22, 0
.LBB86_741:
	s_delay_alu instid0(SALU_CYCLE_1)
	s_and_not1_b32 vcc_lo, exec_lo, s22
	s_cbranch_vccnz .LBB86_743
; %bb.742:
	s_wait_xcnt 0x0
	v_cndmask_b32_e64 v2, 0, 1.0, s0
	s_delay_alu instid0(VALU_DEP_1) | instskip(NEXT) | instid1(VALU_DEP_1)
	v_cvt_f16_f32_e32 v2, v2
	v_and_b32_e32 v2, 0xffff, v2
	global_store_b32 v[0:1], v2, off
.LBB86_743:
	s_mov_b32 s22, 0
.LBB86_744:
	s_delay_alu instid0(SALU_CYCLE_1)
	s_and_not1_b32 vcc_lo, exec_lo, s22
	s_cbranch_vccnz .LBB86_753
; %bb.745:
	s_cmp_lt_i32 s21, 6
	s_mov_b32 s22, -1
	s_cbranch_scc1 .LBB86_751
; %bb.746:
	s_cmp_gt_i32 s21, 6
	s_cbranch_scc0 .LBB86_748
; %bb.747:
	s_wait_xcnt 0x0
	v_cndmask_b32_e64 v2, 0, 1, s0
	s_mov_b32 s22, 0
	s_delay_alu instid0(VALU_DEP_1)
	v_cvt_f64_u32_e32 v[2:3], v2
	global_store_b64 v[0:1], v[2:3], off
.LBB86_748:
	s_and_not1_b32 vcc_lo, exec_lo, s22
	s_cbranch_vccnz .LBB86_750
; %bb.749:
	s_wait_xcnt 0x0
	v_cndmask_b32_e64 v2, 0, 1.0, s0
	global_store_b32 v[0:1], v2, off
.LBB86_750:
	s_mov_b32 s22, 0
.LBB86_751:
	s_delay_alu instid0(SALU_CYCLE_1)
	s_and_not1_b32 vcc_lo, exec_lo, s22
	s_cbranch_vccnz .LBB86_753
; %bb.752:
	s_wait_xcnt 0x0
	v_cndmask_b32_e64 v2, 0, 1.0, s0
	s_delay_alu instid0(VALU_DEP_1)
	v_cvt_f16_f32_e32 v2, v2
	global_store_b16 v[0:1], v2, off
.LBB86_753:
	s_mov_b32 s22, 0
.LBB86_754:
	s_delay_alu instid0(SALU_CYCLE_1)
	s_and_not1_b32 vcc_lo, exec_lo, s22
	s_cbranch_vccnz .LBB86_770
; %bb.755:
	s_cmp_lt_i32 s21, 2
	s_mov_b32 s22, -1
	s_cbranch_scc1 .LBB86_765
; %bb.756:
	s_cmp_lt_i32 s21, 3
	s_cbranch_scc1 .LBB86_762
; %bb.757:
	s_cmp_gt_i32 s21, 3
	s_cbranch_scc0 .LBB86_759
; %bb.758:
	s_mov_b32 s22, 0
	s_wait_xcnt 0x0
	v_cndmask_b32_e64 v2, 0, 1, s0
	v_mov_b32_e32 v3, s22
	global_store_b64 v[0:1], v[2:3], off
.LBB86_759:
	s_and_not1_b32 vcc_lo, exec_lo, s22
	s_cbranch_vccnz .LBB86_761
; %bb.760:
	s_wait_xcnt 0x0
	v_cndmask_b32_e64 v2, 0, 1, s0
	global_store_b32 v[0:1], v2, off
.LBB86_761:
	s_mov_b32 s22, 0
.LBB86_762:
	s_delay_alu instid0(SALU_CYCLE_1)
	s_and_not1_b32 vcc_lo, exec_lo, s22
	s_cbranch_vccnz .LBB86_764
; %bb.763:
	s_wait_xcnt 0x0
	v_cndmask_b32_e64 v2, 0, 1, s0
	global_store_b16 v[0:1], v2, off
.LBB86_764:
	s_mov_b32 s22, 0
.LBB86_765:
	s_delay_alu instid0(SALU_CYCLE_1)
	s_and_not1_b32 vcc_lo, exec_lo, s22
	s_cbranch_vccnz .LBB86_770
; %bb.766:
	s_wait_xcnt 0x0
	v_cndmask_b32_e64 v2, 0, 1, s0
	s_cmp_gt_i32 s21, 0
	s_mov_b32 s0, -1
	s_cbranch_scc0 .LBB86_768
; %bb.767:
	s_mov_b32 s0, 0
	global_store_b8 v[0:1], v2, off
.LBB86_768:
	s_and_not1_b32 vcc_lo, exec_lo, s0
	s_cbranch_vccnz .LBB86_770
; %bb.769:
	global_store_b8 v[0:1], v2, off
.LBB86_770:
	s_mov_b32 s23, -1
.LBB86_771:
	s_delay_alu instid0(SALU_CYCLE_1)
	s_and_not1_b32 vcc_lo, exec_lo, s23
	s_cbranch_vccnz .LBB86_773
; %bb.772:
	v_add_nc_u32_e32 v4, 0x80, v4
	s_mov_b32 s21, -1
	s_branch .LBB86_775
.LBB86_773:
	s_mov_b32 s21, 0
.LBB86_774:
                                        ; implicit-def: $vgpr4
.LBB86_775:
	s_and_not1_b32 s0, s17, exec_lo
	s_and_b32 s1, s1, exec_lo
	s_and_not1_b32 s22, s16, exec_lo
	s_and_b32 s20, s20, exec_lo
	s_or_b32 s1, s0, s1
	s_or_b32 s0, s22, s20
	s_or_not1_b32 s20, s21, exec_lo
.LBB86_776:
	s_wait_xcnt 0x0
	s_or_b32 exec_lo, exec_lo, s19
	s_mov_b32 s21, 0
	s_mov_b32 s22, 0
	;; [unrolled: 1-line block ×3, first 2 shown]
                                        ; implicit-def: $vgpr0_vgpr1
                                        ; implicit-def: $vgpr2
	s_and_saveexec_b32 s19, s20
	s_cbranch_execz .LBB86_861
; %bb.777:
	v_cmp_gt_i32_e32 vcc_lo, s13, v4
	s_mov_b32 s20, 0
	s_mov_b32 s21, s0
	;; [unrolled: 1-line block ×3, first 2 shown]
                                        ; implicit-def: $vgpr0_vgpr1
                                        ; implicit-def: $vgpr2
	s_and_saveexec_b32 s13, vcc_lo
	s_cbranch_execz .LBB86_860
; %bb.778:
	v_mul_lo_u32 v0, v4, s3
	s_and_b32 s20, 0xffff, s10
	s_delay_alu instid0(SALU_CYCLE_1) | instskip(NEXT) | instid1(VALU_DEP_1)
	s_cmp_lt_i32 s20, 11
	v_ashrrev_i32_e32 v1, 31, v0
	s_delay_alu instid0(VALU_DEP_1)
	v_add_nc_u64_e32 v[0:1], s[6:7], v[0:1]
	s_cbranch_scc1 .LBB86_785
; %bb.779:
	s_cmp_gt_i32 s20, 25
	s_cbranch_scc0 .LBB86_786
; %bb.780:
	s_cmp_gt_i32 s20, 28
	s_cbranch_scc0 .LBB86_787
	;; [unrolled: 3-line block ×4, first 2 shown]
; %bb.783:
	s_cmp_eq_u32 s20, 46
	s_cbranch_scc0 .LBB86_794
; %bb.784:
	s_wait_loadcnt 0x0
	global_load_b32 v2, v[0:1], off
	s_mov_b32 s21, 0
	s_mov_b32 s23, -1
	s_wait_loadcnt 0x0
	v_lshlrev_b32_e32 v2, 16, v2
	s_delay_alu instid0(VALU_DEP_1)
	v_cvt_f16_f32_e32 v2, v2
	s_branch .LBB86_796
.LBB86_785:
	s_mov_b32 s20, -1
	s_mov_b32 s21, s0
                                        ; implicit-def: $vgpr2
	s_branch .LBB86_859
.LBB86_786:
	s_mov_b32 s24, -1
	s_mov_b32 s21, s0
                                        ; implicit-def: $vgpr2
	s_branch .LBB86_825
.LBB86_787:
	s_mov_b32 s24, -1
	s_mov_b32 s21, s0
                                        ; implicit-def: $vgpr2
	s_branch .LBB86_806
.LBB86_788:
	s_mov_b32 s24, -1
	s_mov_b32 s21, s0
                                        ; implicit-def: $vgpr2
	s_branch .LBB86_801
.LBB86_789:
	s_and_not1_saveexec_b32 s25, s25
	s_cbranch_execz .LBB86_684
.LBB86_790:
	v_add_f32_e32 v2, 0x46000000, v3
	s_and_not1_b32 s24, s24, exec_lo
	s_delay_alu instid0(VALU_DEP_1) | instskip(NEXT) | instid1(VALU_DEP_1)
	v_and_b32_e32 v2, 0xff, v2
	v_cmp_ne_u32_e32 vcc_lo, 0, v2
	s_and_b32 s26, vcc_lo, exec_lo
	s_delay_alu instid0(SALU_CYCLE_1)
	s_or_b32 s24, s24, s26
	s_or_b32 exec_lo, exec_lo, s25
	v_mov_b32_e32 v5, 0
	s_and_saveexec_b32 s25, s24
	s_cbranch_execnz .LBB86_685
	s_branch .LBB86_686
.LBB86_791:
	s_mov_b32 s24, -1
	s_mov_b32 s21, s0
	s_branch .LBB86_795
.LBB86_792:
	s_and_not1_saveexec_b32 s25, s25
	s_cbranch_execz .LBB86_697
.LBB86_793:
	v_add_f32_e32 v2, 0x42800000, v3
	s_and_not1_b32 s24, s24, exec_lo
	s_delay_alu instid0(VALU_DEP_1) | instskip(NEXT) | instid1(VALU_DEP_1)
	v_and_b32_e32 v2, 0xff, v2
	v_cmp_ne_u32_e32 vcc_lo, 0, v2
	s_and_b32 s26, vcc_lo, exec_lo
	s_delay_alu instid0(SALU_CYCLE_1)
	s_or_b32 s24, s24, s26
	s_or_b32 exec_lo, exec_lo, s25
	v_mov_b32_e32 v5, 0
	s_and_saveexec_b32 s25, s24
	s_cbranch_execnz .LBB86_698
	s_branch .LBB86_699
.LBB86_794:
	s_mov_b32 s21, -1
.LBB86_795:
                                        ; implicit-def: $vgpr2
.LBB86_796:
	s_and_b32 vcc_lo, exec_lo, s24
	s_cbranch_vccz .LBB86_800
; %bb.797:
	s_cmp_eq_u32 s20, 44
	s_cbranch_scc0 .LBB86_799
; %bb.798:
	s_wait_loadcnt 0x0
	global_load_u8 v2, v[0:1], off
	s_mov_b32 s21, 0
	s_mov_b32 s23, -1
	s_wait_loadcnt 0x0
	v_lshlrev_b32_e32 v3, 23, v2
	v_cmp_ne_u32_e32 vcc_lo, 0xff, v2
	s_delay_alu instid0(VALU_DEP_2) | instskip(NEXT) | instid1(VALU_DEP_1)
	v_cvt_f16_f32_e32 v3, v3
	v_cndmask_b32_e32 v3, 0x7e00, v3, vcc_lo
	v_cmp_ne_u32_e32 vcc_lo, 0, v2
	s_delay_alu instid0(VALU_DEP_2)
	v_cndmask_b32_e32 v2, 0, v3, vcc_lo
	s_branch .LBB86_800
.LBB86_799:
	s_mov_b32 s21, -1
                                        ; implicit-def: $vgpr2
.LBB86_800:
	s_mov_b32 s24, 0
.LBB86_801:
	s_delay_alu instid0(SALU_CYCLE_1)
	s_and_b32 vcc_lo, exec_lo, s24
	s_cbranch_vccz .LBB86_805
; %bb.802:
	s_cmp_eq_u32 s20, 29
	s_cbranch_scc0 .LBB86_804
; %bb.803:
	s_wait_loadcnt 0x0
	global_load_b64 v[2:3], v[0:1], off
	s_mov_b32 s21, 0
	s_mov_b32 s23, -1
	s_mov_b32 s24, 0
	s_wait_loadcnt 0x0
	v_clz_i32_u32_e32 v5, v3
	s_delay_alu instid0(VALU_DEP_1) | instskip(NEXT) | instid1(VALU_DEP_1)
	v_min_u32_e32 v5, 32, v5
	v_lshlrev_b64_e32 v[2:3], v5, v[2:3]
	s_delay_alu instid0(VALU_DEP_1) | instskip(NEXT) | instid1(VALU_DEP_1)
	v_min_u32_e32 v2, 1, v2
	v_dual_sub_nc_u32 v3, 32, v5 :: v_dual_bitop2_b32 v2, v3, v2 bitop3:0x54
	s_delay_alu instid0(VALU_DEP_1) | instskip(NEXT) | instid1(VALU_DEP_1)
	v_cvt_f32_u32_e32 v2, v2
	v_ldexp_f32 v2, v2, v3
	s_delay_alu instid0(VALU_DEP_1)
	v_cvt_f16_f32_e32 v2, v2
	s_branch .LBB86_806
.LBB86_804:
	s_mov_b32 s21, -1
                                        ; implicit-def: $vgpr2
.LBB86_805:
	s_mov_b32 s24, 0
.LBB86_806:
	s_delay_alu instid0(SALU_CYCLE_1)
	s_and_b32 vcc_lo, exec_lo, s24
	s_cbranch_vccz .LBB86_824
; %bb.807:
	s_cmp_lt_i32 s20, 27
	s_cbranch_scc1 .LBB86_810
; %bb.808:
	s_cmp_gt_i32 s20, 27
	s_cbranch_scc0 .LBB86_811
; %bb.809:
	s_wait_loadcnt 0x0
	global_load_b32 v2, v[0:1], off
	s_mov_b32 s23, 0
	s_wait_loadcnt 0x0
	v_cvt_f32_u32_e32 v2, v2
	s_delay_alu instid0(VALU_DEP_1)
	v_cvt_f16_f32_e32 v2, v2
	s_branch .LBB86_812
.LBB86_810:
	s_mov_b32 s23, -1
                                        ; implicit-def: $vgpr2
	s_branch .LBB86_815
.LBB86_811:
	s_mov_b32 s23, -1
                                        ; implicit-def: $vgpr2
.LBB86_812:
	s_delay_alu instid0(SALU_CYCLE_1)
	s_and_not1_b32 vcc_lo, exec_lo, s23
	s_cbranch_vccnz .LBB86_814
; %bb.813:
	s_wait_loadcnt 0x0
	global_load_u16 v2, v[0:1], off
	s_wait_loadcnt 0x0
	v_cvt_f16_u16_e32 v2, v2
.LBB86_814:
	s_mov_b32 s23, 0
.LBB86_815:
	s_delay_alu instid0(SALU_CYCLE_1)
	s_and_not1_b32 vcc_lo, exec_lo, s23
	s_cbranch_vccnz .LBB86_823
; %bb.816:
	global_load_u8 v3, v[0:1], off
	s_mov_b32 s23, 0
	s_mov_b32 s24, exec_lo
	s_wait_loadcnt 0x0
	v_cmpx_lt_i16_e32 0x7f, v3
	s_xor_b32 s24, exec_lo, s24
	s_cbranch_execz .LBB86_837
; %bb.817:
	s_mov_b32 s23, -1
	s_mov_b32 s25, exec_lo
	v_cmpx_eq_u16_e32 0x80, v3
; %bb.818:
	s_xor_b32 s23, exec_lo, -1
; %bb.819:
	s_or_b32 exec_lo, exec_lo, s25
	s_delay_alu instid0(SALU_CYCLE_1)
	s_and_b32 s23, s23, exec_lo
	s_or_saveexec_b32 s24, s24
	v_mov_b32_e32 v2, 0x7e00
	s_xor_b32 exec_lo, exec_lo, s24
	s_cbranch_execnz .LBB86_838
.LBB86_820:
	s_or_b32 exec_lo, exec_lo, s24
	s_and_saveexec_b32 s24, s23
	s_cbranch_execz .LBB86_822
.LBB86_821:
	v_and_b32_e32 v2, 0xffff, v3
	s_delay_alu instid0(VALU_DEP_1) | instskip(SKIP_1) | instid1(VALU_DEP_2)
	v_dual_lshlrev_b32 v3, 24, v3 :: v_dual_bitop2_b32 v5, 7, v2 bitop3:0x40
	v_bfe_u32 v8, v2, 3, 4
	v_and_b32_e32 v3, 0x80000000, v3
	s_delay_alu instid0(VALU_DEP_3) | instskip(NEXT) | instid1(VALU_DEP_3)
	v_clz_i32_u32_e32 v6, v5
	v_cmp_eq_u32_e32 vcc_lo, 0, v8
	s_delay_alu instid0(VALU_DEP_2) | instskip(NEXT) | instid1(VALU_DEP_1)
	v_min_u32_e32 v6, 32, v6
	v_subrev_nc_u32_e32 v7, 28, v6
	v_sub_nc_u32_e32 v6, 29, v6
	s_delay_alu instid0(VALU_DEP_2) | instskip(NEXT) | instid1(VALU_DEP_2)
	v_lshlrev_b32_e32 v2, v7, v2
	v_cndmask_b32_e32 v6, v8, v6, vcc_lo
	s_delay_alu instid0(VALU_DEP_2) | instskip(NEXT) | instid1(VALU_DEP_1)
	v_and_b32_e32 v2, 7, v2
	v_cndmask_b32_e32 v2, v5, v2, vcc_lo
	s_delay_alu instid0(VALU_DEP_3) | instskip(NEXT) | instid1(VALU_DEP_2)
	v_lshl_add_u32 v5, v6, 23, 0x3b800000
	v_lshlrev_b32_e32 v2, 20, v2
	s_delay_alu instid0(VALU_DEP_1) | instskip(NEXT) | instid1(VALU_DEP_1)
	v_or3_b32 v2, v3, v5, v2
	v_cvt_f16_f32_e32 v2, v2
.LBB86_822:
	s_or_b32 exec_lo, exec_lo, s24
.LBB86_823:
	s_mov_b32 s23, -1
.LBB86_824:
	s_mov_b32 s24, 0
.LBB86_825:
	s_delay_alu instid0(SALU_CYCLE_1)
	s_and_b32 vcc_lo, exec_lo, s24
	s_cbranch_vccz .LBB86_858
; %bb.826:
	s_cmp_gt_i32 s20, 22
	s_cbranch_scc0 .LBB86_836
; %bb.827:
	s_cmp_lt_i32 s20, 24
	s_cbranch_scc1 .LBB86_839
; %bb.828:
	s_cmp_gt_i32 s20, 24
	s_cbranch_scc0 .LBB86_840
; %bb.829:
	global_load_u8 v3, v[0:1], off
	s_mov_b32 s23, exec_lo
	s_wait_loadcnt 0x0
	v_cmpx_lt_i16_e32 0x7f, v3
	s_xor_b32 s23, exec_lo, s23
	s_cbranch_execz .LBB86_852
; %bb.830:
	s_mov_b32 s22, -1
	s_mov_b32 s24, exec_lo
	v_cmpx_eq_u16_e32 0x80, v3
; %bb.831:
	s_xor_b32 s22, exec_lo, -1
; %bb.832:
	s_or_b32 exec_lo, exec_lo, s24
	s_delay_alu instid0(SALU_CYCLE_1)
	s_and_b32 s22, s22, exec_lo
	s_or_saveexec_b32 s23, s23
	v_mov_b32_e32 v2, 0x7e00
	s_xor_b32 exec_lo, exec_lo, s23
	s_cbranch_execnz .LBB86_853
.LBB86_833:
	s_or_b32 exec_lo, exec_lo, s23
	s_and_saveexec_b32 s23, s22
	s_cbranch_execz .LBB86_835
.LBB86_834:
	v_and_b32_e32 v2, 0xffff, v3
	s_delay_alu instid0(VALU_DEP_1) | instskip(SKIP_1) | instid1(VALU_DEP_2)
	v_dual_lshlrev_b32 v3, 24, v3 :: v_dual_bitop2_b32 v5, 3, v2 bitop3:0x40
	v_bfe_u32 v8, v2, 2, 5
	v_and_b32_e32 v3, 0x80000000, v3
	s_delay_alu instid0(VALU_DEP_3) | instskip(NEXT) | instid1(VALU_DEP_3)
	v_clz_i32_u32_e32 v6, v5
	v_cmp_eq_u32_e32 vcc_lo, 0, v8
	s_delay_alu instid0(VALU_DEP_2) | instskip(NEXT) | instid1(VALU_DEP_1)
	v_min_u32_e32 v6, 32, v6
	v_subrev_nc_u32_e32 v7, 29, v6
	v_sub_nc_u32_e32 v6, 30, v6
	s_delay_alu instid0(VALU_DEP_2) | instskip(NEXT) | instid1(VALU_DEP_2)
	v_lshlrev_b32_e32 v2, v7, v2
	v_cndmask_b32_e32 v6, v8, v6, vcc_lo
	s_delay_alu instid0(VALU_DEP_2) | instskip(NEXT) | instid1(VALU_DEP_1)
	v_and_b32_e32 v2, 3, v2
	v_cndmask_b32_e32 v2, v5, v2, vcc_lo
	s_delay_alu instid0(VALU_DEP_3) | instskip(NEXT) | instid1(VALU_DEP_2)
	v_lshl_add_u32 v5, v6, 23, 0x37800000
	v_lshlrev_b32_e32 v2, 21, v2
	s_delay_alu instid0(VALU_DEP_1) | instskip(NEXT) | instid1(VALU_DEP_1)
	v_or3_b32 v2, v3, v5, v2
	v_cvt_f16_f32_e32 v2, v2
.LBB86_835:
	s_or_b32 exec_lo, exec_lo, s23
	s_mov_b32 s22, 0
	s_branch .LBB86_841
.LBB86_836:
	s_mov_b32 s22, -1
                                        ; implicit-def: $vgpr2
	s_branch .LBB86_847
.LBB86_837:
	s_or_saveexec_b32 s24, s24
	v_mov_b32_e32 v2, 0x7e00
	s_xor_b32 exec_lo, exec_lo, s24
	s_cbranch_execz .LBB86_820
.LBB86_838:
	v_cmp_ne_u16_e32 vcc_lo, 0, v3
	v_mov_b32_e32 v2, v3
	s_and_not1_b32 s23, s23, exec_lo
	s_and_b32 s25, vcc_lo, exec_lo
	s_delay_alu instid0(SALU_CYCLE_1)
	s_or_b32 s23, s23, s25
	s_or_b32 exec_lo, exec_lo, s24
	s_and_saveexec_b32 s24, s23
	s_cbranch_execnz .LBB86_821
	s_branch .LBB86_822
.LBB86_839:
	s_mov_b32 s22, -1
                                        ; implicit-def: $vgpr2
	s_branch .LBB86_844
.LBB86_840:
	s_mov_b32 s22, -1
                                        ; implicit-def: $vgpr2
.LBB86_841:
	s_delay_alu instid0(SALU_CYCLE_1)
	s_and_b32 vcc_lo, exec_lo, s22
	s_cbranch_vccz .LBB86_843
; %bb.842:
	s_wait_loadcnt 0x0
	global_load_u8 v2, v[0:1], off
	s_wait_loadcnt 0x0
	v_lshlrev_b32_e32 v2, 24, v2
	s_delay_alu instid0(VALU_DEP_1) | instskip(NEXT) | instid1(VALU_DEP_1)
	v_and_b32_e32 v3, 0x7f000000, v2
	v_clz_i32_u32_e32 v5, v3
	v_add_nc_u32_e32 v7, 0x1000000, v3
	v_cmp_ne_u32_e32 vcc_lo, 0, v3
	s_delay_alu instid0(VALU_DEP_3) | instskip(NEXT) | instid1(VALU_DEP_1)
	v_min_u32_e32 v5, 32, v5
	v_sub_nc_u32_e64 v5, v5, 4 clamp
	s_delay_alu instid0(VALU_DEP_1) | instskip(NEXT) | instid1(VALU_DEP_1)
	v_dual_lshlrev_b32 v6, v5, v3 :: v_dual_lshlrev_b32 v5, 23, v5
	v_lshrrev_b32_e32 v6, 4, v6
	s_delay_alu instid0(VALU_DEP_1) | instskip(NEXT) | instid1(VALU_DEP_1)
	v_dual_sub_nc_u32 v5, v6, v5 :: v_dual_ashrrev_i32 v6, 8, v7
	v_add_nc_u32_e32 v5, 0x3c000000, v5
	s_delay_alu instid0(VALU_DEP_1) | instskip(NEXT) | instid1(VALU_DEP_1)
	v_and_or_b32 v5, 0x7f800000, v6, v5
	v_cndmask_b32_e32 v3, 0, v5, vcc_lo
	s_delay_alu instid0(VALU_DEP_1) | instskip(NEXT) | instid1(VALU_DEP_1)
	v_and_or_b32 v2, 0x80000000, v2, v3
	v_cvt_f16_f32_e32 v2, v2
.LBB86_843:
	s_mov_b32 s22, 0
.LBB86_844:
	s_delay_alu instid0(SALU_CYCLE_1)
	s_and_not1_b32 vcc_lo, exec_lo, s22
	s_cbranch_vccnz .LBB86_846
; %bb.845:
	s_wait_loadcnt 0x0
	global_load_u8 v2, v[0:1], off
	s_wait_loadcnt 0x0
	v_lshlrev_b32_e32 v3, 25, v2
	v_lshlrev_b16 v2, 8, v2
	s_delay_alu instid0(VALU_DEP_2) | instskip(NEXT) | instid1(VALU_DEP_2)
	v_cmp_gt_u32_e32 vcc_lo, 0x8000000, v3
	v_and_or_b32 v6, 0x7f00, v2, 0.5
	v_lshrrev_b32_e32 v5, 4, v3
	v_bfe_i32 v2, v2, 0, 16
	s_delay_alu instid0(VALU_DEP_3) | instskip(NEXT) | instid1(VALU_DEP_3)
	v_add_f32_e32 v6, -0.5, v6
	v_or_b32_e32 v5, 0x70000000, v5
	s_delay_alu instid0(VALU_DEP_1) | instskip(NEXT) | instid1(VALU_DEP_1)
	v_mul_f32_e32 v5, 0x7800000, v5
	v_cndmask_b32_e32 v3, v5, v6, vcc_lo
	s_delay_alu instid0(VALU_DEP_1) | instskip(NEXT) | instid1(VALU_DEP_1)
	v_and_or_b32 v2, 0x80000000, v2, v3
	v_cvt_f16_f32_e32 v2, v2
.LBB86_846:
	s_mov_b32 s22, 0
	s_mov_b32 s23, -1
.LBB86_847:
	s_and_not1_b32 vcc_lo, exec_lo, s22
	s_mov_b32 s22, 0
	s_cbranch_vccnz .LBB86_858
; %bb.848:
	s_cmp_gt_i32 s20, 14
	s_cbranch_scc0 .LBB86_851
; %bb.849:
	s_cmp_eq_u32 s20, 15
	s_cbranch_scc0 .LBB86_854
; %bb.850:
	s_wait_loadcnt 0x0
	global_load_u16 v2, v[0:1], off
	s_mov_b32 s21, 0
	s_mov_b32 s23, -1
	s_wait_loadcnt 0x0
	v_lshlrev_b32_e32 v2, 16, v2
	s_delay_alu instid0(VALU_DEP_1)
	v_cvt_f16_f32_e32 v2, v2
	s_branch .LBB86_856
.LBB86_851:
	s_mov_b32 s22, -1
	s_branch .LBB86_855
.LBB86_852:
	s_or_saveexec_b32 s23, s23
	v_mov_b32_e32 v2, 0x7e00
	s_xor_b32 exec_lo, exec_lo, s23
	s_cbranch_execz .LBB86_833
.LBB86_853:
	v_cmp_ne_u16_e32 vcc_lo, 0, v3
	v_mov_b32_e32 v2, v3
	s_and_not1_b32 s22, s22, exec_lo
	s_and_b32 s24, vcc_lo, exec_lo
	s_delay_alu instid0(SALU_CYCLE_1)
	s_or_b32 s22, s22, s24
	s_or_b32 exec_lo, exec_lo, s23
	s_and_saveexec_b32 s23, s22
	s_cbranch_execnz .LBB86_834
	s_branch .LBB86_835
.LBB86_854:
	s_mov_b32 s21, -1
.LBB86_855:
                                        ; implicit-def: $vgpr2
.LBB86_856:
	s_and_b32 vcc_lo, exec_lo, s22
	s_mov_b32 s22, 0
	s_cbranch_vccz .LBB86_858
; %bb.857:
	s_cmp_lg_u32 s20, 11
	s_mov_b32 s22, -1
	s_cselect_b32 s20, -1, 0
	s_and_not1_b32 s21, s21, exec_lo
	s_and_b32 s20, s20, exec_lo
	s_delay_alu instid0(SALU_CYCLE_1)
	s_or_b32 s21, s21, s20
.LBB86_858:
	s_mov_b32 s20, 0
.LBB86_859:
	s_and_not1_b32 s25, s0, exec_lo
	s_and_b32 s21, s21, exec_lo
	s_and_b32 s23, s23, exec_lo
	;; [unrolled: 1-line block ×4, first 2 shown]
	s_or_b32 s21, s25, s21
.LBB86_860:
	s_wait_xcnt 0x0
	s_or_b32 exec_lo, exec_lo, s13
	s_delay_alu instid0(SALU_CYCLE_1)
	s_and_not1_b32 s0, s0, exec_lo
	s_and_b32 s13, s21, exec_lo
	s_and_b32 s23, s23, exec_lo
	;; [unrolled: 1-line block ×4, first 2 shown]
	s_or_b32 s0, s0, s13
.LBB86_861:
	s_or_b32 exec_lo, exec_lo, s19
	s_delay_alu instid0(SALU_CYCLE_1)
	s_and_not1_b32 s13, s17, exec_lo
	s_and_b32 s1, s1, exec_lo
	s_and_b32 s0, s0, exec_lo
	s_or_b32 s17, s13, s1
	s_and_not1_b32 s13, s16, exec_lo
	s_and_b32 s20, s23, exec_lo
	s_and_b32 s19, s22, exec_lo
	;; [unrolled: 1-line block ×3, first 2 shown]
	s_or_b32 s16, s13, s0
.LBB86_862:
	s_or_b32 exec_lo, exec_lo, s18
	s_delay_alu instid0(SALU_CYCLE_1)
	s_and_not1_b32 s0, s12, exec_lo
	s_and_b32 s12, s17, exec_lo
	s_and_not1_b32 s13, s14, exec_lo
	s_and_b32 s14, s16, exec_lo
	s_or_b32 s12, s0, s12
	s_and_b32 s0, s20, exec_lo
	s_and_b32 s17, s19, exec_lo
	s_and_b32 s16, s1, exec_lo
	s_or_b32 s14, s13, s14
	s_or_b32 exec_lo, exec_lo, s15
	s_mov_b32 s1, 0
	s_and_saveexec_b32 s13, s14
	s_cbranch_execz .LBB86_262
.LBB86_863:
	s_mov_b32 s1, exec_lo
	s_and_not1_b32 s16, s16, exec_lo
	s_trap 2
	s_or_b32 exec_lo, exec_lo, s13
	s_and_saveexec_b32 s13, s16
	s_delay_alu instid0(SALU_CYCLE_1)
	s_xor_b32 s13, exec_lo, s13
	s_cbranch_execnz .LBB86_263
.LBB86_864:
	s_or_b32 exec_lo, exec_lo, s13
	s_and_saveexec_b32 s13, s17
	s_cbranch_execz .LBB86_910
.LBB86_865:
	s_sext_i32_i16 s14, s10
	s_delay_alu instid0(SALU_CYCLE_1)
	s_cmp_lt_i32 s14, 5
	s_cbranch_scc1 .LBB86_870
; %bb.866:
	s_cmp_lt_i32 s14, 8
	s_cbranch_scc1 .LBB86_871
; %bb.867:
	;; [unrolled: 3-line block ×3, first 2 shown]
	s_cmp_gt_i32 s14, 9
	s_cbranch_scc0 .LBB86_873
; %bb.869:
	s_wait_loadcnt 0x0
	global_load_b64 v[2:3], v[0:1], off
	s_mov_b32 s14, 0
	s_wait_loadcnt 0x0
	v_and_or_b32 v2, 0x1ff, v3, v2
	v_lshrrev_b32_e32 v5, 8, v3
	v_bfe_u32 v6, v3, 20, 11
	v_lshrrev_b32_e32 v3, 16, v3
	s_delay_alu instid0(VALU_DEP_4) | instskip(NEXT) | instid1(VALU_DEP_3)
	v_cmp_ne_u32_e32 vcc_lo, 0, v2
	v_sub_nc_u32_e32 v7, 0x3f1, v6
	v_add_nc_u32_e32 v6, 0xfffffc10, v6
	v_cndmask_b32_e64 v2, 0, 1, vcc_lo
	s_delay_alu instid0(VALU_DEP_1) | instskip(NEXT) | instid1(VALU_DEP_4)
	v_and_or_b32 v2, 0xffe, v5, v2
	v_med3_i32 v5, v7, 0, 13
	s_delay_alu instid0(VALU_DEP_2) | instskip(NEXT) | instid1(VALU_DEP_1)
	v_or_b32_e32 v7, 0x1000, v2
	v_lshrrev_b32_e32 v8, v5, v7
	s_delay_alu instid0(VALU_DEP_1) | instskip(NEXT) | instid1(VALU_DEP_1)
	v_lshlrev_b32_e32 v5, v5, v8
	v_cmp_ne_u32_e32 vcc_lo, v5, v7
	v_lshl_or_b32 v7, v6, 12, v2
	v_cndmask_b32_e64 v5, 0, 1, vcc_lo
	v_cmp_gt_i32_e32 vcc_lo, 1, v6
	s_delay_alu instid0(VALU_DEP_2) | instskip(NEXT) | instid1(VALU_DEP_1)
	v_or_b32_e32 v5, v8, v5
	v_cndmask_b32_e32 v5, v7, v5, vcc_lo
	s_delay_alu instid0(VALU_DEP_1) | instskip(NEXT) | instid1(VALU_DEP_1)
	v_dual_lshrrev_b32 v5, 2, v5 :: v_dual_bitop2_b32 v7, 7, v5 bitop3:0x40
	v_cmp_lt_i32_e32 vcc_lo, 5, v7
	v_cndmask_b32_e64 v8, 0, 1, vcc_lo
	v_cmp_eq_u32_e32 vcc_lo, 3, v7
	v_cndmask_b32_e64 v7, 0, 1, vcc_lo
	v_cmp_ne_u32_e32 vcc_lo, 0, v2
	s_delay_alu instid0(VALU_DEP_2) | instskip(NEXT) | instid1(VALU_DEP_1)
	v_or_b32_e32 v7, v7, v8
	v_dual_mov_b32 v8, 0x7e00 :: v_dual_add_nc_u32 v5, v5, v7
	s_delay_alu instid0(VALU_DEP_1) | instskip(SKIP_1) | instid1(VALU_DEP_3)
	v_cndmask_b32_e32 v2, 0x7c00, v8, vcc_lo
	v_cmp_gt_i32_e32 vcc_lo, 31, v6
	v_cndmask_b32_e32 v5, 0x7c00, v5, vcc_lo
	v_cmp_eq_u32_e32 vcc_lo, 0x40f, v6
	s_delay_alu instid0(VALU_DEP_2) | instskip(NEXT) | instid1(VALU_DEP_1)
	v_cndmask_b32_e32 v2, v5, v2, vcc_lo
	v_and_or_b32 v2, 0x8000, v3, v2
	s_branch .LBB86_874
.LBB86_870:
                                        ; implicit-def: $vgpr2
	s_branch .LBB86_891
.LBB86_871:
                                        ; implicit-def: $vgpr2
	s_branch .LBB86_880
.LBB86_872:
	s_mov_b32 s14, -1
                                        ; implicit-def: $vgpr2
	s_branch .LBB86_877
.LBB86_873:
	s_mov_b32 s14, -1
                                        ; implicit-def: $vgpr2
.LBB86_874:
	s_delay_alu instid0(SALU_CYCLE_1)
	s_and_not1_b32 vcc_lo, exec_lo, s14
	s_cbranch_vccnz .LBB86_876
; %bb.875:
	s_wait_loadcnt 0x0
	global_load_b32 v2, v[0:1], off
	s_wait_loadcnt 0x0
	v_cvt_f16_f32_e32 v2, v2
.LBB86_876:
	s_mov_b32 s14, 0
.LBB86_877:
	s_delay_alu instid0(SALU_CYCLE_1)
	s_and_not1_b32 vcc_lo, exec_lo, s14
	s_cbranch_vccnz .LBB86_879
; %bb.878:
	s_wait_loadcnt 0x0
	global_load_b32 v2, v[0:1], off
.LBB86_879:
	s_cbranch_execnz .LBB86_890
.LBB86_880:
	s_sext_i32_i16 s14, s10
	s_delay_alu instid0(SALU_CYCLE_1)
	s_cmp_lt_i32 s14, 6
	s_cbranch_scc1 .LBB86_883
; %bb.881:
	s_cmp_gt_i32 s14, 6
	s_cbranch_scc0 .LBB86_884
; %bb.882:
	s_wait_loadcnt 0x0
	global_load_b64 v[2:3], v[0:1], off
	s_mov_b32 s14, 0
	s_wait_loadcnt 0x0
	v_and_or_b32 v2, 0x1ff, v3, v2
	v_lshrrev_b32_e32 v5, 8, v3
	v_bfe_u32 v6, v3, 20, 11
	v_lshrrev_b32_e32 v3, 16, v3
	s_delay_alu instid0(VALU_DEP_4) | instskip(NEXT) | instid1(VALU_DEP_3)
	v_cmp_ne_u32_e32 vcc_lo, 0, v2
	v_sub_nc_u32_e32 v7, 0x3f1, v6
	v_add_nc_u32_e32 v6, 0xfffffc10, v6
	v_cndmask_b32_e64 v2, 0, 1, vcc_lo
	s_delay_alu instid0(VALU_DEP_1) | instskip(NEXT) | instid1(VALU_DEP_4)
	v_and_or_b32 v2, 0xffe, v5, v2
	v_med3_i32 v5, v7, 0, 13
	s_delay_alu instid0(VALU_DEP_2) | instskip(NEXT) | instid1(VALU_DEP_1)
	v_or_b32_e32 v7, 0x1000, v2
	v_lshrrev_b32_e32 v8, v5, v7
	s_delay_alu instid0(VALU_DEP_1) | instskip(NEXT) | instid1(VALU_DEP_1)
	v_lshlrev_b32_e32 v5, v5, v8
	v_cmp_ne_u32_e32 vcc_lo, v5, v7
	v_lshl_or_b32 v7, v6, 12, v2
	v_cndmask_b32_e64 v5, 0, 1, vcc_lo
	v_cmp_gt_i32_e32 vcc_lo, 1, v6
	s_delay_alu instid0(VALU_DEP_2) | instskip(NEXT) | instid1(VALU_DEP_1)
	v_or_b32_e32 v5, v8, v5
	v_cndmask_b32_e32 v5, v7, v5, vcc_lo
	s_delay_alu instid0(VALU_DEP_1) | instskip(NEXT) | instid1(VALU_DEP_1)
	v_dual_lshrrev_b32 v5, 2, v5 :: v_dual_bitop2_b32 v7, 7, v5 bitop3:0x40
	v_cmp_lt_i32_e32 vcc_lo, 5, v7
	v_cndmask_b32_e64 v8, 0, 1, vcc_lo
	v_cmp_eq_u32_e32 vcc_lo, 3, v7
	v_cndmask_b32_e64 v7, 0, 1, vcc_lo
	v_cmp_ne_u32_e32 vcc_lo, 0, v2
	s_delay_alu instid0(VALU_DEP_2) | instskip(NEXT) | instid1(VALU_DEP_1)
	v_or_b32_e32 v7, v7, v8
	v_dual_mov_b32 v8, 0x7e00 :: v_dual_add_nc_u32 v5, v5, v7
	s_delay_alu instid0(VALU_DEP_1) | instskip(SKIP_1) | instid1(VALU_DEP_3)
	v_cndmask_b32_e32 v2, 0x7c00, v8, vcc_lo
	v_cmp_gt_i32_e32 vcc_lo, 31, v6
	v_cndmask_b32_e32 v5, 0x7c00, v5, vcc_lo
	v_cmp_eq_u32_e32 vcc_lo, 0x40f, v6
	s_delay_alu instid0(VALU_DEP_2) | instskip(NEXT) | instid1(VALU_DEP_1)
	v_cndmask_b32_e32 v2, v5, v2, vcc_lo
	v_and_or_b32 v2, 0x8000, v3, v2
	s_branch .LBB86_885
.LBB86_883:
	s_mov_b32 s14, -1
                                        ; implicit-def: $vgpr2
	s_branch .LBB86_888
.LBB86_884:
	s_mov_b32 s14, -1
                                        ; implicit-def: $vgpr2
.LBB86_885:
	s_delay_alu instid0(SALU_CYCLE_1)
	s_and_not1_b32 vcc_lo, exec_lo, s14
	s_cbranch_vccnz .LBB86_887
; %bb.886:
	s_wait_loadcnt 0x0
	global_load_b32 v2, v[0:1], off
	s_wait_loadcnt 0x0
	v_cvt_f16_f32_e32 v2, v2
.LBB86_887:
	s_mov_b32 s14, 0
.LBB86_888:
	s_delay_alu instid0(SALU_CYCLE_1)
	s_and_not1_b32 vcc_lo, exec_lo, s14
	s_cbranch_vccnz .LBB86_890
; %bb.889:
	s_wait_loadcnt 0x0
	global_load_u16 v2, v[0:1], off
.LBB86_890:
	s_cbranch_execnz .LBB86_909
.LBB86_891:
	s_sext_i32_i16 s14, s10
	s_delay_alu instid0(SALU_CYCLE_1)
	s_cmp_lt_i32 s14, 2
	s_cbranch_scc1 .LBB86_895
; %bb.892:
	s_cmp_lt_i32 s14, 3
	s_cbranch_scc1 .LBB86_896
; %bb.893:
	s_cmp_gt_i32 s14, 3
	s_cbranch_scc0 .LBB86_897
; %bb.894:
	s_wait_loadcnt 0x0
	global_load_b64 v[2:3], v[0:1], off
	s_mov_b32 s14, 0
	s_wait_loadcnt 0x0
	v_xor_b32_e32 v5, v2, v3
	v_cls_i32_e32 v6, v3
	s_delay_alu instid0(VALU_DEP_2) | instskip(NEXT) | instid1(VALU_DEP_1)
	v_ashrrev_i32_e32 v5, 31, v5
	v_add_nc_u32_e32 v5, 32, v5
	s_delay_alu instid0(VALU_DEP_1) | instskip(NEXT) | instid1(VALU_DEP_1)
	v_add_min_u32_e64 v5, v6, -1, v5
	v_lshlrev_b64_e32 v[2:3], v5, v[2:3]
	s_delay_alu instid0(VALU_DEP_1) | instskip(NEXT) | instid1(VALU_DEP_1)
	v_min_u32_e32 v2, 1, v2
	v_dual_sub_nc_u32 v3, 32, v5 :: v_dual_bitop2_b32 v2, v3, v2 bitop3:0x54
	s_delay_alu instid0(VALU_DEP_1) | instskip(NEXT) | instid1(VALU_DEP_1)
	v_cvt_f32_i32_e32 v2, v2
	v_ldexp_f32 v2, v2, v3
	s_delay_alu instid0(VALU_DEP_1)
	v_cvt_f16_f32_e32 v2, v2
	s_branch .LBB86_898
.LBB86_895:
                                        ; implicit-def: $vgpr2
	s_branch .LBB86_904
.LBB86_896:
	s_mov_b32 s14, -1
                                        ; implicit-def: $vgpr2
	s_branch .LBB86_901
.LBB86_897:
	s_mov_b32 s14, -1
                                        ; implicit-def: $vgpr2
.LBB86_898:
	s_delay_alu instid0(SALU_CYCLE_1)
	s_and_not1_b32 vcc_lo, exec_lo, s14
	s_cbranch_vccnz .LBB86_900
; %bb.899:
	s_wait_loadcnt 0x0
	global_load_b32 v2, v[0:1], off
	s_wait_loadcnt 0x0
	v_cvt_f32_i32_e32 v2, v2
	s_delay_alu instid0(VALU_DEP_1)
	v_cvt_f16_f32_e32 v2, v2
.LBB86_900:
	s_mov_b32 s14, 0
.LBB86_901:
	s_delay_alu instid0(SALU_CYCLE_1)
	s_and_not1_b32 vcc_lo, exec_lo, s14
	s_cbranch_vccnz .LBB86_903
; %bb.902:
	s_wait_loadcnt 0x0
	global_load_u16 v2, v[0:1], off
	s_wait_loadcnt 0x0
	v_cvt_f16_i16_e32 v2, v2
.LBB86_903:
	s_cbranch_execnz .LBB86_909
.LBB86_904:
	s_sext_i32_i16 s14, s10
	s_delay_alu instid0(SALU_CYCLE_1)
	s_cmp_gt_i32 s14, 0
	s_mov_b32 s14, 0
	s_cbranch_scc0 .LBB86_906
; %bb.905:
	s_wait_loadcnt 0x0
	global_load_i8 v2, v[0:1], off
	s_wait_loadcnt 0x0
	v_cvt_f16_i16_e32 v2, v2
	s_branch .LBB86_907
.LBB86_906:
	s_mov_b32 s14, -1
                                        ; implicit-def: $vgpr2
.LBB86_907:
	s_delay_alu instid0(SALU_CYCLE_1)
	s_and_not1_b32 vcc_lo, exec_lo, s14
	s_cbranch_vccnz .LBB86_909
; %bb.908:
	global_load_u8 v0, v[0:1], off
	s_wait_loadcnt 0x0
	v_cvt_f16_u16_e32 v2, v0
.LBB86_909:
	s_or_b32 s0, s0, exec_lo
.LBB86_910:
	s_wait_xcnt 0x0
	s_or_b32 exec_lo, exec_lo, s13
	s_mov_b32 s17, 0
	s_mov_b32 s16, 0
                                        ; implicit-def: $sgpr13
                                        ; implicit-def: $sgpr14
                                        ; implicit-def: $vgpr0_vgpr1
	s_and_saveexec_b32 s15, s0
	s_cbranch_execz .LBB86_918
; %bb.911:
	v_mul_lo_u32 v0, v4, s2
	s_wait_loadcnt 0x0
	v_cmp_eq_f16_e64 s13, 0xfc00, v2
	s_and_b32 s14, s8, 0xff
	s_delay_alu instid0(SALU_CYCLE_1) | instskip(SKIP_1) | instid1(VALU_DEP_1)
	s_cmp_lt_i32 s14, 11
	v_ashrrev_i32_e32 v1, 31, v0
	v_add_nc_u64_e32 v[0:1], s[4:5], v[0:1]
	s_cbranch_scc1 .LBB86_921
; %bb.912:
	s_and_b32 s16, 0xffff, s14
	s_mov_b32 s17, -1
	s_cmp_gt_i32 s16, 25
	s_mov_b32 s0, s12
	s_cbranch_scc0 .LBB86_949
; %bb.913:
	s_cmp_gt_i32 s16, 28
	s_mov_b32 s0, s12
	s_cbranch_scc0 .LBB86_933
; %bb.914:
	;; [unrolled: 4-line block ×4, first 2 shown]
	s_cmp_eq_u32 s16, 46
	s_mov_b32 s0, -1
	s_cbranch_scc0 .LBB86_922
; %bb.917:
	v_cndmask_b32_e64 v2, 0, 1.0, s13
	s_mov_b32 s0, 0
	s_mov_b32 s17, 0
	s_delay_alu instid0(VALU_DEP_1) | instskip(NEXT) | instid1(VALU_DEP_1)
	v_bfe_u32 v3, v2, 16, 1
	v_add3_u32 v2, v2, v3, 0x7fff
	s_delay_alu instid0(VALU_DEP_1)
	v_lshrrev_b32_e32 v2, 16, v2
	global_store_b32 v[0:1], v2, off
	s_branch .LBB86_923
.LBB86_918:
	s_or_b32 exec_lo, exec_lo, s15
	s_and_saveexec_b32 s0, s12
	s_cbranch_execnz .LBB86_991
.LBB86_919:
	s_or_b32 exec_lo, exec_lo, s0
	s_and_saveexec_b32 s0, s17
	s_delay_alu instid0(SALU_CYCLE_1)
	s_xor_b32 s0, exec_lo, s0
	s_cbranch_execz .LBB86_992
.LBB86_920:
	s_wait_loadcnt 0x0
	v_cndmask_b32_e64 v2, 0, 1, s13
	global_store_b8 v[0:1], v2, off
	s_wait_xcnt 0x0
	s_or_b32 exec_lo, exec_lo, s0
	s_and_saveexec_b32 s0, s16
	s_delay_alu instid0(SALU_CYCLE_1)
	s_xor_b32 s0, exec_lo, s0
	s_cbranch_execz .LBB86_1030
	s_branch .LBB86_993
.LBB86_921:
	s_mov_b32 s18, 0
	s_mov_b32 s17, -1
	s_mov_b32 s0, s12
	s_branch .LBB86_990
.LBB86_922:
	s_mov_b32 s17, 0
.LBB86_923:
	s_delay_alu instid0(SALU_CYCLE_1)
	s_and_b32 vcc_lo, exec_lo, s17
	s_cbranch_vccz .LBB86_928
; %bb.924:
	s_cmp_eq_u32 s16, 44
	s_mov_b32 s0, -1
	s_cbranch_scc0 .LBB86_928
; %bb.925:
	v_cndmask_b32_e64 v4, 0, 1.0, s13
	s_mov_b32 s17, exec_lo
	s_wait_xcnt 0x0
	s_delay_alu instid0(VALU_DEP_1) | instskip(NEXT) | instid1(VALU_DEP_1)
	v_dual_mov_b32 v3, 0xff :: v_dual_lshrrev_b32 v2, 23, v4
	v_cmpx_ne_u32_e32 0xff, v2
; %bb.926:
	v_and_b32_e32 v3, 0x400000, v4
	v_and_or_b32 v4, 0x3fffff, v4, v2
	s_delay_alu instid0(VALU_DEP_2) | instskip(NEXT) | instid1(VALU_DEP_2)
	v_cmp_ne_u32_e32 vcc_lo, 0, v3
	v_cmp_ne_u32_e64 s0, 0, v4
	s_and_b32 s0, vcc_lo, s0
	s_delay_alu instid0(SALU_CYCLE_1) | instskip(NEXT) | instid1(VALU_DEP_1)
	v_cndmask_b32_e64 v3, 0, 1, s0
	v_add_nc_u32_e32 v3, v2, v3
; %bb.927:
	s_or_b32 exec_lo, exec_lo, s17
	s_mov_b32 s0, 0
	global_store_b8 v[0:1], v3, off
.LBB86_928:
	s_mov_b32 s17, 0
.LBB86_929:
	s_delay_alu instid0(SALU_CYCLE_1)
	s_and_b32 vcc_lo, exec_lo, s17
	s_cbranch_vccz .LBB86_932
; %bb.930:
	s_cmp_eq_u32 s16, 29
	s_mov_b32 s0, -1
	s_cbranch_scc0 .LBB86_932
; %bb.931:
	s_mov_b32 s0, 0
	s_wait_xcnt 0x0
	v_cndmask_b32_e64 v2, 0, 1, s13
	v_mov_b32_e32 v3, s0
	s_mov_b32 s17, 0
	global_store_b64 v[0:1], v[2:3], off
	s_branch .LBB86_933
.LBB86_932:
	s_mov_b32 s17, 0
.LBB86_933:
	s_delay_alu instid0(SALU_CYCLE_1)
	s_and_b32 vcc_lo, exec_lo, s17
	s_cbranch_vccz .LBB86_948
; %bb.934:
	s_cmp_lt_i32 s16, 27
	s_mov_b32 s17, -1
	s_cbranch_scc1 .LBB86_940
; %bb.935:
	s_wait_xcnt 0x0
	v_cndmask_b32_e64 v2, 0, 1, s13
	s_cmp_gt_i32 s16, 27
	s_cbranch_scc0 .LBB86_937
; %bb.936:
	s_mov_b32 s17, 0
	global_store_b32 v[0:1], v2, off
.LBB86_937:
	s_and_not1_b32 vcc_lo, exec_lo, s17
	s_cbranch_vccnz .LBB86_939
; %bb.938:
	global_store_b16 v[0:1], v2, off
.LBB86_939:
	s_mov_b32 s17, 0
.LBB86_940:
	s_delay_alu instid0(SALU_CYCLE_1)
	s_and_not1_b32 vcc_lo, exec_lo, s17
	s_cbranch_vccnz .LBB86_948
; %bb.941:
	s_wait_xcnt 0x0
	v_cndmask_b32_e64 v3, 0, 1.0, s13
	v_mov_b32_e32 v4, 0x80
	s_mov_b32 s17, exec_lo
	s_delay_alu instid0(VALU_DEP_2)
	v_cmpx_gt_u32_e32 0x43800000, v3
	s_cbranch_execz .LBB86_947
; %bb.942:
	s_mov_b32 s18, 0
	s_mov_b32 s19, exec_lo
                                        ; implicit-def: $vgpr2
	v_cmpx_lt_u32_e32 0x3bffffff, v3
	s_xor_b32 s19, exec_lo, s19
	s_cbranch_execz .LBB86_1045
; %bb.943:
	v_bfe_u32 v2, v3, 20, 1
	s_mov_b32 s18, exec_lo
	s_delay_alu instid0(VALU_DEP_1) | instskip(NEXT) | instid1(VALU_DEP_1)
	v_add3_u32 v2, v3, v2, 0x487ffff
                                        ; implicit-def: $vgpr3
	v_lshrrev_b32_e32 v2, 20, v2
	s_and_not1_saveexec_b32 s19, s19
	s_cbranch_execnz .LBB86_1046
.LBB86_944:
	s_or_b32 exec_lo, exec_lo, s19
	v_mov_b32_e32 v4, 0
	s_and_saveexec_b32 s19, s18
.LBB86_945:
	v_mov_b32_e32 v4, v2
.LBB86_946:
	s_or_b32 exec_lo, exec_lo, s19
.LBB86_947:
	s_delay_alu instid0(SALU_CYCLE_1)
	s_or_b32 exec_lo, exec_lo, s17
	global_store_b8 v[0:1], v4, off
.LBB86_948:
	s_mov_b32 s17, 0
.LBB86_949:
	s_delay_alu instid0(SALU_CYCLE_1)
	s_and_b32 vcc_lo, exec_lo, s17
	s_mov_b32 s17, 0
	s_cbranch_vccz .LBB86_989
; %bb.950:
	s_cmp_gt_i32 s16, 22
	s_mov_b32 s18, -1
	s_cbranch_scc0 .LBB86_982
; %bb.951:
	s_cmp_lt_i32 s16, 24
	s_cbranch_scc1 .LBB86_971
; %bb.952:
	s_cmp_gt_i32 s16, 24
	s_cbranch_scc0 .LBB86_960
; %bb.953:
	s_wait_xcnt 0x0
	v_cndmask_b32_e64 v3, 0, 1.0, s13
	v_mov_b32_e32 v4, 0x80
	s_mov_b32 s18, exec_lo
	s_delay_alu instid0(VALU_DEP_2)
	v_cmpx_gt_u32_e32 0x47800000, v3
	s_cbranch_execz .LBB86_959
; %bb.954:
	s_mov_b32 s19, 0
	s_mov_b32 s20, exec_lo
                                        ; implicit-def: $vgpr2
	v_cmpx_lt_u32_e32 0x37ffffff, v3
	s_xor_b32 s20, exec_lo, s20
	s_cbranch_execz .LBB86_1171
; %bb.955:
	v_bfe_u32 v2, v3, 21, 1
	s_mov_b32 s19, exec_lo
	s_delay_alu instid0(VALU_DEP_1) | instskip(NEXT) | instid1(VALU_DEP_1)
	v_add3_u32 v2, v3, v2, 0x88fffff
                                        ; implicit-def: $vgpr3
	v_lshrrev_b32_e32 v2, 21, v2
	s_and_not1_saveexec_b32 s20, s20
	s_cbranch_execnz .LBB86_1172
.LBB86_956:
	s_or_b32 exec_lo, exec_lo, s20
	v_mov_b32_e32 v4, 0
	s_and_saveexec_b32 s20, s19
.LBB86_957:
	v_mov_b32_e32 v4, v2
.LBB86_958:
	s_or_b32 exec_lo, exec_lo, s20
.LBB86_959:
	s_delay_alu instid0(SALU_CYCLE_1)
	s_or_b32 exec_lo, exec_lo, s18
	s_mov_b32 s18, 0
	global_store_b8 v[0:1], v4, off
.LBB86_960:
	s_and_b32 vcc_lo, exec_lo, s18
	s_cbranch_vccz .LBB86_970
; %bb.961:
	s_wait_xcnt 0x0
	v_cndmask_b32_e64 v3, 0, 1.0, s13
	s_mov_b32 s18, exec_lo
                                        ; implicit-def: $vgpr2
	s_delay_alu instid0(VALU_DEP_1)
	v_cmpx_gt_u32_e32 0x43f00000, v3
	s_xor_b32 s18, exec_lo, s18
	s_cbranch_execz .LBB86_967
; %bb.962:
	s_mov_b32 s19, exec_lo
                                        ; implicit-def: $vgpr2
	v_cmpx_lt_u32_e32 0x3c7fffff, v3
	s_xor_b32 s19, exec_lo, s19
; %bb.963:
	v_bfe_u32 v2, v3, 20, 1
	s_delay_alu instid0(VALU_DEP_1) | instskip(NEXT) | instid1(VALU_DEP_1)
	v_add3_u32 v2, v3, v2, 0x407ffff
	v_and_b32_e32 v3, 0xff00000, v2
	v_lshrrev_b32_e32 v2, 20, v2
	s_delay_alu instid0(VALU_DEP_2) | instskip(NEXT) | instid1(VALU_DEP_2)
	v_cmp_ne_u32_e32 vcc_lo, 0x7f00000, v3
                                        ; implicit-def: $vgpr3
	v_cndmask_b32_e32 v2, 0x7e, v2, vcc_lo
; %bb.964:
	s_and_not1_saveexec_b32 s19, s19
; %bb.965:
	v_add_f32_e32 v2, 0x46800000, v3
; %bb.966:
	s_or_b32 exec_lo, exec_lo, s19
                                        ; implicit-def: $vgpr3
.LBB86_967:
	s_and_not1_saveexec_b32 s18, s18
; %bb.968:
	v_mov_b32_e32 v2, 0x7f
	v_cmp_lt_u32_e32 vcc_lo, 0x7f800000, v3
	s_delay_alu instid0(VALU_DEP_2)
	v_cndmask_b32_e32 v2, 0x7e, v2, vcc_lo
; %bb.969:
	s_or_b32 exec_lo, exec_lo, s18
	global_store_b8 v[0:1], v2, off
.LBB86_970:
	s_mov_b32 s18, 0
.LBB86_971:
	s_delay_alu instid0(SALU_CYCLE_1)
	s_and_not1_b32 vcc_lo, exec_lo, s18
	s_cbranch_vccnz .LBB86_981
; %bb.972:
	s_wait_xcnt 0x0
	v_cndmask_b32_e64 v3, 0, 1.0, s13
	s_mov_b32 s18, exec_lo
                                        ; implicit-def: $vgpr2
	s_delay_alu instid0(VALU_DEP_1)
	v_cmpx_gt_u32_e32 0x47800000, v3
	s_xor_b32 s18, exec_lo, s18
	s_cbranch_execz .LBB86_978
; %bb.973:
	s_mov_b32 s19, exec_lo
                                        ; implicit-def: $vgpr2
	v_cmpx_lt_u32_e32 0x387fffff, v3
	s_xor_b32 s19, exec_lo, s19
; %bb.974:
	v_bfe_u32 v2, v3, 21, 1
	s_delay_alu instid0(VALU_DEP_1) | instskip(NEXT) | instid1(VALU_DEP_1)
	v_add3_u32 v2, v3, v2, 0x80fffff
                                        ; implicit-def: $vgpr3
	v_lshrrev_b32_e32 v2, 21, v2
; %bb.975:
	s_and_not1_saveexec_b32 s19, s19
; %bb.976:
	v_add_f32_e32 v2, 0x43000000, v3
; %bb.977:
	s_or_b32 exec_lo, exec_lo, s19
                                        ; implicit-def: $vgpr3
.LBB86_978:
	s_and_not1_saveexec_b32 s18, s18
; %bb.979:
	v_mov_b32_e32 v2, 0x7f
	v_cmp_lt_u32_e32 vcc_lo, 0x7f800000, v3
	s_delay_alu instid0(VALU_DEP_2)
	v_cndmask_b32_e32 v2, 0x7c, v2, vcc_lo
; %bb.980:
	s_or_b32 exec_lo, exec_lo, s18
	global_store_b8 v[0:1], v2, off
.LBB86_981:
	s_mov_b32 s18, 0
.LBB86_982:
	s_delay_alu instid0(SALU_CYCLE_1)
	s_and_not1_b32 vcc_lo, exec_lo, s18
	s_mov_b32 s18, 0
	s_cbranch_vccnz .LBB86_990
; %bb.983:
	s_cmp_gt_i32 s16, 14
	s_mov_b32 s18, -1
	s_cbranch_scc0 .LBB86_987
; %bb.984:
	s_cmp_eq_u32 s16, 15
	s_mov_b32 s0, -1
	s_cbranch_scc0 .LBB86_986
; %bb.985:
	s_wait_xcnt 0x0
	v_cndmask_b32_e64 v2, 0, 1.0, s13
	s_mov_b32 s0, 0
	s_delay_alu instid0(VALU_DEP_1) | instskip(NEXT) | instid1(VALU_DEP_1)
	v_bfe_u32 v3, v2, 16, 1
	v_add3_u32 v2, v2, v3, 0x7fff
	global_store_d16_hi_b16 v[0:1], v2, off
.LBB86_986:
	s_mov_b32 s18, 0
.LBB86_987:
	s_delay_alu instid0(SALU_CYCLE_1)
	s_and_b32 vcc_lo, exec_lo, s18
	s_mov_b32 s18, 0
	s_cbranch_vccz .LBB86_990
; %bb.988:
	s_cmp_lg_u32 s16, 11
	s_mov_b32 s18, -1
	s_cselect_b32 s16, -1, 0
	s_and_not1_b32 s0, s0, exec_lo
	s_and_b32 s16, s16, exec_lo
	s_delay_alu instid0(SALU_CYCLE_1)
	s_or_b32 s0, s0, s16
	s_branch .LBB86_990
.LBB86_989:
	s_mov_b32 s18, 0
.LBB86_990:
	s_and_not1_b32 s12, s12, exec_lo
	s_and_b32 s0, s0, exec_lo
	s_and_b32 s16, s17, exec_lo
	;; [unrolled: 1-line block ×3, first 2 shown]
	s_or_b32 s12, s12, s0
	s_wait_xcnt 0x0
	s_or_b32 exec_lo, exec_lo, s15
	s_and_saveexec_b32 s0, s12
	s_cbranch_execz .LBB86_919
.LBB86_991:
	s_or_b32 s1, s1, exec_lo
	s_and_not1_b32 s17, s17, exec_lo
	s_trap 2
	s_or_b32 exec_lo, exec_lo, s0
	s_and_saveexec_b32 s0, s17
	s_delay_alu instid0(SALU_CYCLE_1)
	s_xor_b32 s0, exec_lo, s0
	s_cbranch_execnz .LBB86_920
.LBB86_992:
	s_or_b32 exec_lo, exec_lo, s0
	s_and_saveexec_b32 s0, s16
	s_delay_alu instid0(SALU_CYCLE_1)
	s_xor_b32 s0, exec_lo, s0
	s_cbranch_execz .LBB86_1030
.LBB86_993:
	s_sext_i32_i16 s15, s14
	s_mov_b32 s12, -1
	s_cmp_lt_i32 s15, 5
	s_cbranch_scc1 .LBB86_1014
; %bb.994:
	s_cmp_lt_i32 s15, 8
	s_cbranch_scc1 .LBB86_1004
; %bb.995:
	;; [unrolled: 3-line block ×3, first 2 shown]
	s_cmp_gt_i32 s15, 9
	s_cbranch_scc0 .LBB86_998
; %bb.997:
	s_wait_loadcnt 0x0
	v_cndmask_b32_e64 v2, 0, 1, s13
	v_mov_b32_e32 v4, 0
	s_mov_b32 s12, 0
	s_delay_alu instid0(VALU_DEP_2) | instskip(NEXT) | instid1(VALU_DEP_2)
	v_cvt_f64_u32_e32 v[2:3], v2
	v_mov_b32_e32 v5, v4
	global_store_b128 v[0:1], v[2:5], off
.LBB86_998:
	s_and_not1_b32 vcc_lo, exec_lo, s12
	s_cbranch_vccnz .LBB86_1000
; %bb.999:
	s_wait_loadcnt 0x0
	v_cndmask_b32_e64 v2, 0, 1.0, s13
	v_mov_b32_e32 v3, 0
	global_store_b64 v[0:1], v[2:3], off
.LBB86_1000:
	s_mov_b32 s12, 0
.LBB86_1001:
	s_delay_alu instid0(SALU_CYCLE_1)
	s_and_not1_b32 vcc_lo, exec_lo, s12
	s_cbranch_vccnz .LBB86_1003
; %bb.1002:
	s_wait_loadcnt 0x0
	v_cndmask_b32_e64 v2, 0, 1.0, s13
	s_delay_alu instid0(VALU_DEP_1) | instskip(NEXT) | instid1(VALU_DEP_1)
	v_cvt_f16_f32_e32 v2, v2
	v_and_b32_e32 v2, 0xffff, v2
	global_store_b32 v[0:1], v2, off
.LBB86_1003:
	s_mov_b32 s12, 0
.LBB86_1004:
	s_delay_alu instid0(SALU_CYCLE_1)
	s_and_not1_b32 vcc_lo, exec_lo, s12
	s_cbranch_vccnz .LBB86_1013
; %bb.1005:
	s_sext_i32_i16 s15, s14
	s_mov_b32 s12, -1
	s_cmp_lt_i32 s15, 6
	s_cbranch_scc1 .LBB86_1011
; %bb.1006:
	s_cmp_gt_i32 s15, 6
	s_cbranch_scc0 .LBB86_1008
; %bb.1007:
	s_wait_loadcnt 0x0
	v_cndmask_b32_e64 v2, 0, 1, s13
	s_mov_b32 s12, 0
	s_delay_alu instid0(VALU_DEP_1)
	v_cvt_f64_u32_e32 v[2:3], v2
	global_store_b64 v[0:1], v[2:3], off
.LBB86_1008:
	s_and_not1_b32 vcc_lo, exec_lo, s12
	s_cbranch_vccnz .LBB86_1010
; %bb.1009:
	s_wait_loadcnt 0x0
	v_cndmask_b32_e64 v2, 0, 1.0, s13
	global_store_b32 v[0:1], v2, off
.LBB86_1010:
	s_mov_b32 s12, 0
.LBB86_1011:
	s_delay_alu instid0(SALU_CYCLE_1)
	s_and_not1_b32 vcc_lo, exec_lo, s12
	s_cbranch_vccnz .LBB86_1013
; %bb.1012:
	s_wait_loadcnt 0x0
	v_cndmask_b32_e64 v2, 0, 1.0, s13
	s_delay_alu instid0(VALU_DEP_1)
	v_cvt_f16_f32_e32 v2, v2
	global_store_b16 v[0:1], v2, off
.LBB86_1013:
	s_mov_b32 s12, 0
.LBB86_1014:
	s_delay_alu instid0(SALU_CYCLE_1)
	s_and_not1_b32 vcc_lo, exec_lo, s12
	s_cbranch_vccnz .LBB86_1030
; %bb.1015:
	s_sext_i32_i16 s15, s14
	s_mov_b32 s12, -1
	s_cmp_lt_i32 s15, 2
	s_cbranch_scc1 .LBB86_1025
; %bb.1016:
	s_cmp_lt_i32 s15, 3
	s_cbranch_scc1 .LBB86_1022
; %bb.1017:
	s_cmp_gt_i32 s15, 3
	s_cbranch_scc0 .LBB86_1019
; %bb.1018:
	s_mov_b32 s12, 0
	s_wait_loadcnt 0x0
	v_cndmask_b32_e64 v2, 0, 1, s13
	v_mov_b32_e32 v3, s12
	global_store_b64 v[0:1], v[2:3], off
.LBB86_1019:
	s_and_not1_b32 vcc_lo, exec_lo, s12
	s_cbranch_vccnz .LBB86_1021
; %bb.1020:
	s_wait_loadcnt 0x0
	v_cndmask_b32_e64 v2, 0, 1, s13
	global_store_b32 v[0:1], v2, off
.LBB86_1021:
	s_mov_b32 s12, 0
.LBB86_1022:
	s_delay_alu instid0(SALU_CYCLE_1)
	s_and_not1_b32 vcc_lo, exec_lo, s12
	s_cbranch_vccnz .LBB86_1024
; %bb.1023:
	s_wait_loadcnt 0x0
	v_cndmask_b32_e64 v2, 0, 1, s13
	global_store_b16 v[0:1], v2, off
.LBB86_1024:
	s_mov_b32 s12, 0
.LBB86_1025:
	s_delay_alu instid0(SALU_CYCLE_1)
	s_and_not1_b32 vcc_lo, exec_lo, s12
	s_cbranch_vccnz .LBB86_1030
; %bb.1026:
	s_wait_loadcnt 0x0
	v_cndmask_b32_e64 v2, 0, 1, s13
	s_sext_i32_i16 s12, s14
	s_delay_alu instid0(SALU_CYCLE_1)
	s_cmp_gt_i32 s12, 0
	s_mov_b32 s12, -1
	s_cbranch_scc0 .LBB86_1028
; %bb.1027:
	s_mov_b32 s12, 0
	global_store_b8 v[0:1], v2, off
.LBB86_1028:
	s_and_not1_b32 vcc_lo, exec_lo, s12
	s_cbranch_vccnz .LBB86_1030
; %bb.1029:
	global_store_b8 v[0:1], v2, off
.LBB86_1030:
	s_wait_xcnt 0x0
	s_or_b32 exec_lo, exec_lo, s0
	s_delay_alu instid0(SALU_CYCLE_1)
	s_and_b32 s12, s1, exec_lo
                                        ; implicit-def: $vgpr4
.LBB86_1031:
	s_or_saveexec_b32 s11, s11
	s_mov_b32 s0, 0
                                        ; implicit-def: $sgpr1
                                        ; implicit-def: $sgpr13
                                        ; implicit-def: $vgpr0_vgpr1
	s_xor_b32 exec_lo, exec_lo, s11
	s_cbranch_execz .LBB86_1983
; %bb.1032:
	v_mul_lo_u32 v0, s3, v4
	s_and_b32 s0, 0xffff, s10
	s_delay_alu instid0(SALU_CYCLE_1) | instskip(NEXT) | instid1(VALU_DEP_1)
	s_cmp_lt_i32 s0, 11
	v_ashrrev_i32_e32 v1, 31, v0
	s_wait_loadcnt 0x0
	s_delay_alu instid0(VALU_DEP_1)
	v_add_nc_u64_e32 v[2:3], s[6:7], v[0:1]
	s_cbranch_scc1 .LBB86_1039
; %bb.1033:
	s_cmp_gt_i32 s0, 25
	s_mov_b32 s10, 0
	s_cbranch_scc0 .LBB86_1041
; %bb.1034:
	s_cmp_gt_i32 s0, 28
	s_cbranch_scc0 .LBB86_1042
; %bb.1035:
	s_cmp_gt_i32 s0, 43
	;; [unrolled: 3-line block ×3, first 2 shown]
	s_cbranch_scc0 .LBB86_1044
; %bb.1037:
	s_cmp_eq_u32 s0, 46
	s_cbranch_scc0 .LBB86_1047
; %bb.1038:
	global_load_b32 v1, v[2:3], off
	s_mov_b32 s1, 0
	s_mov_b32 s13, -1
	s_wait_loadcnt 0x0
	v_lshlrev_b32_e32 v1, 16, v1
	s_delay_alu instid0(VALU_DEP_1)
	v_cvt_f16_f32_e32 v5, v1
	s_branch .LBB86_1049
.LBB86_1039:
	s_mov_b32 s13, 0
	s_mov_b32 s9, s12
                                        ; implicit-def: $vgpr5
	s_cbranch_execnz .LBB86_1112
.LBB86_1040:
	s_and_not1_b32 vcc_lo, exec_lo, s13
	s_cbranch_vccz .LBB86_1157
	s_branch .LBB86_1981
.LBB86_1041:
	s_mov_b32 s13, 0
	s_mov_b32 s1, 0
                                        ; implicit-def: $vgpr5
	s_cbranch_execnz .LBB86_1077
	s_branch .LBB86_1108
.LBB86_1042:
	s_mov_b32 s9, -1
	s_mov_b32 s13, 0
	s_mov_b32 s1, 0
                                        ; implicit-def: $vgpr5
	s_branch .LBB86_1058
.LBB86_1043:
	s_mov_b32 s13, 0
	s_mov_b32 s1, 0
                                        ; implicit-def: $vgpr5
	s_cbranch_execnz .LBB86_1054
	s_branch .LBB86_1057
.LBB86_1044:
	s_mov_b32 s9, -1
	s_mov_b32 s13, 0
	s_mov_b32 s1, 0
	s_branch .LBB86_1048
.LBB86_1045:
	s_and_not1_saveexec_b32 s19, s19
	s_cbranch_execz .LBB86_944
.LBB86_1046:
	v_add_f32_e32 v2, 0x46000000, v3
	s_and_not1_b32 s18, s18, exec_lo
	s_delay_alu instid0(VALU_DEP_1) | instskip(NEXT) | instid1(VALU_DEP_1)
	v_and_b32_e32 v2, 0xff, v2
	v_cmp_ne_u32_e32 vcc_lo, 0, v2
	s_and_b32 s20, vcc_lo, exec_lo
	s_delay_alu instid0(SALU_CYCLE_1)
	s_or_b32 s18, s18, s20
	s_or_b32 exec_lo, exec_lo, s19
	v_mov_b32_e32 v4, 0
	s_and_saveexec_b32 s19, s18
	s_cbranch_execnz .LBB86_945
	s_branch .LBB86_946
.LBB86_1047:
	s_mov_b32 s1, -1
	s_mov_b32 s13, 0
.LBB86_1048:
                                        ; implicit-def: $vgpr5
.LBB86_1049:
	s_and_b32 vcc_lo, exec_lo, s9
	s_cbranch_vccz .LBB86_1052
; %bb.1050:
	s_cmp_eq_u32 s0, 44
	s_cbranch_scc0 .LBB86_1053
; %bb.1051:
	global_load_u8 v1, v[2:3], off
	s_mov_b32 s1, 0
	s_mov_b32 s13, -1
	s_wait_loadcnt 0x0
	v_lshlrev_b32_e32 v5, 23, v1
	v_cmp_ne_u32_e32 vcc_lo, 0xff, v1
	s_delay_alu instid0(VALU_DEP_2) | instskip(NEXT) | instid1(VALU_DEP_1)
	v_cvt_f16_f32_e32 v5, v5
	v_cndmask_b32_e32 v5, 0x7e00, v5, vcc_lo
	v_cmp_ne_u32_e32 vcc_lo, 0, v1
	s_delay_alu instid0(VALU_DEP_2)
	v_cndmask_b32_e32 v5, 0, v5, vcc_lo
.LBB86_1052:
	s_branch .LBB86_1057
.LBB86_1053:
	s_mov_b32 s1, -1
                                        ; implicit-def: $vgpr5
	s_branch .LBB86_1057
.LBB86_1054:
	s_cmp_eq_u32 s0, 29
	s_cbranch_scc0 .LBB86_1056
; %bb.1055:
	global_load_b64 v[6:7], v[2:3], off
	s_mov_b32 s1, 0
	s_mov_b32 s13, -1
	s_mov_b32 s9, 0
	s_wait_loadcnt 0x0
	v_clz_i32_u32_e32 v1, v7
	s_delay_alu instid0(VALU_DEP_1) | instskip(NEXT) | instid1(VALU_DEP_1)
	v_min_u32_e32 v1, 32, v1
	v_lshlrev_b64_e32 v[6:7], v1, v[6:7]
	v_sub_nc_u32_e32 v1, 32, v1
	s_delay_alu instid0(VALU_DEP_2) | instskip(NEXT) | instid1(VALU_DEP_1)
	v_min_u32_e32 v5, 1, v6
	v_or_b32_e32 v5, v7, v5
	s_delay_alu instid0(VALU_DEP_1) | instskip(NEXT) | instid1(VALU_DEP_1)
	v_cvt_f32_u32_e32 v5, v5
	v_ldexp_f32 v1, v5, v1
	s_delay_alu instid0(VALU_DEP_1)
	v_cvt_f16_f32_e32 v5, v1
	s_branch .LBB86_1058
.LBB86_1056:
	s_mov_b32 s1, -1
                                        ; implicit-def: $vgpr5
.LBB86_1057:
	s_mov_b32 s9, 0
.LBB86_1058:
	s_delay_alu instid0(SALU_CYCLE_1)
	s_and_b32 vcc_lo, exec_lo, s9
	s_cbranch_vccz .LBB86_1076
; %bb.1059:
	s_cmp_lt_i32 s0, 27
	s_cbranch_scc1 .LBB86_1062
; %bb.1060:
	s_cmp_gt_i32 s0, 27
	s_cbranch_scc0 .LBB86_1063
; %bb.1061:
	global_load_b32 v1, v[2:3], off
	s_mov_b32 s9, 0
	s_wait_loadcnt 0x0
	v_cvt_f32_u32_e32 v1, v1
	s_delay_alu instid0(VALU_DEP_1)
	v_cvt_f16_f32_e32 v5, v1
	s_branch .LBB86_1064
.LBB86_1062:
	s_mov_b32 s9, -1
                                        ; implicit-def: $vgpr5
	s_branch .LBB86_1067
.LBB86_1063:
	s_mov_b32 s9, -1
                                        ; implicit-def: $vgpr5
.LBB86_1064:
	s_delay_alu instid0(SALU_CYCLE_1)
	s_and_not1_b32 vcc_lo, exec_lo, s9
	s_cbranch_vccnz .LBB86_1066
; %bb.1065:
	global_load_u16 v1, v[2:3], off
	s_wait_loadcnt 0x0
	v_cvt_f16_u16_e32 v5, v1
.LBB86_1066:
	s_mov_b32 s9, 0
.LBB86_1067:
	s_delay_alu instid0(SALU_CYCLE_1)
	s_and_not1_b32 vcc_lo, exec_lo, s9
	s_cbranch_vccnz .LBB86_1075
; %bb.1068:
	global_load_u8 v1, v[2:3], off
	s_mov_b32 s9, 0
	s_mov_b32 s13, exec_lo
	s_wait_loadcnt 0x0
	v_cmpx_lt_i16_e32 0x7f, v1
	s_xor_b32 s13, exec_lo, s13
	s_cbranch_execz .LBB86_1088
; %bb.1069:
	s_mov_b32 s9, -1
	s_mov_b32 s14, exec_lo
	v_cmpx_eq_u16_e32 0x80, v1
; %bb.1070:
	s_xor_b32 s9, exec_lo, -1
; %bb.1071:
	s_or_b32 exec_lo, exec_lo, s14
	s_delay_alu instid0(SALU_CYCLE_1)
	s_and_b32 s9, s9, exec_lo
	s_or_saveexec_b32 s13, s13
	v_mov_b32_e32 v5, 0x7e00
	s_xor_b32 exec_lo, exec_lo, s13
	s_cbranch_execnz .LBB86_1089
.LBB86_1072:
	s_or_b32 exec_lo, exec_lo, s13
	s_and_saveexec_b32 s13, s9
	s_cbranch_execz .LBB86_1074
.LBB86_1073:
	v_and_b32_e32 v5, 0xffff, v1
	s_delay_alu instid0(VALU_DEP_1) | instskip(SKIP_1) | instid1(VALU_DEP_2)
	v_and_b32_e32 v6, 7, v5
	v_bfe_u32 v9, v5, 3, 4
	v_clz_i32_u32_e32 v7, v6
	s_delay_alu instid0(VALU_DEP_2) | instskip(NEXT) | instid1(VALU_DEP_2)
	v_cmp_eq_u32_e32 vcc_lo, 0, v9
	v_min_u32_e32 v7, 32, v7
	s_delay_alu instid0(VALU_DEP_1) | instskip(NEXT) | instid1(VALU_DEP_1)
	v_subrev_nc_u32_e32 v8, 28, v7
	v_dual_lshlrev_b32 v5, v8, v5 :: v_dual_sub_nc_u32 v7, 29, v7
	s_delay_alu instid0(VALU_DEP_1) | instskip(NEXT) | instid1(VALU_DEP_2)
	v_and_b32_e32 v5, 7, v5
	v_dual_lshlrev_b32 v1, 24, v1 :: v_dual_cndmask_b32 v7, v9, v7, vcc_lo
	s_delay_alu instid0(VALU_DEP_2) | instskip(NEXT) | instid1(VALU_DEP_2)
	v_cndmask_b32_e32 v5, v6, v5, vcc_lo
	v_and_b32_e32 v1, 0x80000000, v1
	s_delay_alu instid0(VALU_DEP_3) | instskip(NEXT) | instid1(VALU_DEP_3)
	v_lshl_add_u32 v6, v7, 23, 0x3b800000
	v_lshlrev_b32_e32 v5, 20, v5
	s_delay_alu instid0(VALU_DEP_1) | instskip(NEXT) | instid1(VALU_DEP_1)
	v_or3_b32 v1, v1, v6, v5
	v_cvt_f16_f32_e32 v5, v1
.LBB86_1074:
	s_or_b32 exec_lo, exec_lo, s13
.LBB86_1075:
	s_mov_b32 s13, -1
.LBB86_1076:
	s_branch .LBB86_1108
.LBB86_1077:
	s_cmp_gt_i32 s0, 22
	s_cbranch_scc0 .LBB86_1087
; %bb.1078:
	s_cmp_lt_i32 s0, 24
	s_cbranch_scc1 .LBB86_1090
; %bb.1079:
	s_cmp_gt_i32 s0, 24
	s_cbranch_scc0 .LBB86_1091
; %bb.1080:
	global_load_u8 v1, v[2:3], off
	s_mov_b32 s9, 0
	s_mov_b32 s10, exec_lo
	s_wait_loadcnt 0x0
	v_cmpx_lt_i16_e32 0x7f, v1
	s_xor_b32 s10, exec_lo, s10
	s_cbranch_execz .LBB86_1102
; %bb.1081:
	s_mov_b32 s9, -1
	s_mov_b32 s13, exec_lo
	v_cmpx_eq_u16_e32 0x80, v1
; %bb.1082:
	s_xor_b32 s9, exec_lo, -1
; %bb.1083:
	s_or_b32 exec_lo, exec_lo, s13
	s_delay_alu instid0(SALU_CYCLE_1)
	s_and_b32 s9, s9, exec_lo
	s_or_saveexec_b32 s10, s10
	v_mov_b32_e32 v5, 0x7e00
	s_xor_b32 exec_lo, exec_lo, s10
	s_cbranch_execnz .LBB86_1103
.LBB86_1084:
	s_or_b32 exec_lo, exec_lo, s10
	s_and_saveexec_b32 s10, s9
	s_cbranch_execz .LBB86_1086
.LBB86_1085:
	v_and_b32_e32 v5, 0xffff, v1
	s_delay_alu instid0(VALU_DEP_1) | instskip(SKIP_1) | instid1(VALU_DEP_2)
	v_and_b32_e32 v6, 3, v5
	v_bfe_u32 v9, v5, 2, 5
	v_clz_i32_u32_e32 v7, v6
	s_delay_alu instid0(VALU_DEP_2) | instskip(NEXT) | instid1(VALU_DEP_2)
	v_cmp_eq_u32_e32 vcc_lo, 0, v9
	v_min_u32_e32 v7, 32, v7
	s_delay_alu instid0(VALU_DEP_1) | instskip(NEXT) | instid1(VALU_DEP_1)
	v_subrev_nc_u32_e32 v8, 29, v7
	v_dual_lshlrev_b32 v5, v8, v5 :: v_dual_sub_nc_u32 v7, 30, v7
	s_delay_alu instid0(VALU_DEP_1) | instskip(NEXT) | instid1(VALU_DEP_2)
	v_and_b32_e32 v5, 3, v5
	v_dual_lshlrev_b32 v1, 24, v1 :: v_dual_cndmask_b32 v7, v9, v7, vcc_lo
	s_delay_alu instid0(VALU_DEP_2) | instskip(NEXT) | instid1(VALU_DEP_2)
	v_cndmask_b32_e32 v5, v6, v5, vcc_lo
	v_and_b32_e32 v1, 0x80000000, v1
	s_delay_alu instid0(VALU_DEP_3) | instskip(NEXT) | instid1(VALU_DEP_3)
	v_lshl_add_u32 v6, v7, 23, 0x37800000
	v_lshlrev_b32_e32 v5, 21, v5
	s_delay_alu instid0(VALU_DEP_1) | instskip(NEXT) | instid1(VALU_DEP_1)
	v_or3_b32 v1, v1, v6, v5
	v_cvt_f16_f32_e32 v5, v1
.LBB86_1086:
	s_or_b32 exec_lo, exec_lo, s10
	s_mov_b32 s9, 0
	s_branch .LBB86_1092
.LBB86_1087:
                                        ; implicit-def: $vgpr5
	s_mov_b32 s10, 0
	s_branch .LBB86_1098
.LBB86_1088:
	s_or_saveexec_b32 s13, s13
	v_mov_b32_e32 v5, 0x7e00
	s_xor_b32 exec_lo, exec_lo, s13
	s_cbranch_execz .LBB86_1072
.LBB86_1089:
	v_cmp_ne_u16_e32 vcc_lo, 0, v1
	v_mov_b32_e32 v5, v1
	s_and_not1_b32 s9, s9, exec_lo
	s_and_b32 s14, vcc_lo, exec_lo
	s_delay_alu instid0(SALU_CYCLE_1)
	s_or_b32 s9, s9, s14
	s_or_b32 exec_lo, exec_lo, s13
	s_and_saveexec_b32 s13, s9
	s_cbranch_execnz .LBB86_1073
	s_branch .LBB86_1074
.LBB86_1090:
	s_mov_b32 s9, -1
                                        ; implicit-def: $vgpr5
	s_branch .LBB86_1095
.LBB86_1091:
	s_mov_b32 s9, -1
                                        ; implicit-def: $vgpr5
.LBB86_1092:
	s_delay_alu instid0(SALU_CYCLE_1)
	s_and_b32 vcc_lo, exec_lo, s9
	s_cbranch_vccz .LBB86_1094
; %bb.1093:
	global_load_u8 v1, v[2:3], off
	s_wait_loadcnt 0x0
	v_lshlrev_b32_e32 v1, 24, v1
	s_delay_alu instid0(VALU_DEP_1) | instskip(NEXT) | instid1(VALU_DEP_1)
	v_and_b32_e32 v5, 0x7f000000, v1
	v_clz_i32_u32_e32 v6, v5
	v_cmp_ne_u32_e32 vcc_lo, 0, v5
	v_add_nc_u32_e32 v8, 0x1000000, v5
	s_delay_alu instid0(VALU_DEP_3) | instskip(NEXT) | instid1(VALU_DEP_1)
	v_min_u32_e32 v6, 32, v6
	v_sub_nc_u32_e64 v6, v6, 4 clamp
	s_delay_alu instid0(VALU_DEP_1) | instskip(NEXT) | instid1(VALU_DEP_1)
	v_dual_lshlrev_b32 v7, v6, v5 :: v_dual_lshlrev_b32 v6, 23, v6
	v_lshrrev_b32_e32 v7, 4, v7
	s_delay_alu instid0(VALU_DEP_1) | instskip(NEXT) | instid1(VALU_DEP_1)
	v_dual_sub_nc_u32 v6, v7, v6 :: v_dual_ashrrev_i32 v7, 8, v8
	v_add_nc_u32_e32 v6, 0x3c000000, v6
	s_delay_alu instid0(VALU_DEP_1) | instskip(NEXT) | instid1(VALU_DEP_1)
	v_and_or_b32 v6, 0x7f800000, v7, v6
	v_cndmask_b32_e32 v5, 0, v6, vcc_lo
	s_delay_alu instid0(VALU_DEP_1) | instskip(NEXT) | instid1(VALU_DEP_1)
	v_and_or_b32 v1, 0x80000000, v1, v5
	v_cvt_f16_f32_e32 v5, v1
.LBB86_1094:
	s_mov_b32 s9, 0
.LBB86_1095:
	s_delay_alu instid0(SALU_CYCLE_1)
	s_and_not1_b32 vcc_lo, exec_lo, s9
	s_cbranch_vccnz .LBB86_1097
; %bb.1096:
	global_load_u8 v1, v[2:3], off
	s_wait_loadcnt 0x0
	v_lshlrev_b32_e32 v5, 25, v1
	v_lshlrev_b16 v1, 8, v1
	s_delay_alu instid0(VALU_DEP_1) | instskip(SKIP_1) | instid1(VALU_DEP_2)
	v_and_or_b32 v7, 0x7f00, v1, 0.5
	v_bfe_i32 v1, v1, 0, 16
	v_dual_add_f32 v7, -0.5, v7 :: v_dual_lshrrev_b32 v6, 4, v5
	v_cmp_gt_u32_e32 vcc_lo, 0x8000000, v5
	s_delay_alu instid0(VALU_DEP_2) | instskip(NEXT) | instid1(VALU_DEP_1)
	v_or_b32_e32 v6, 0x70000000, v6
	v_mul_f32_e32 v6, 0x7800000, v6
	s_delay_alu instid0(VALU_DEP_1) | instskip(NEXT) | instid1(VALU_DEP_1)
	v_cndmask_b32_e32 v5, v6, v7, vcc_lo
	v_and_or_b32 v1, 0x80000000, v1, v5
	s_delay_alu instid0(VALU_DEP_1)
	v_cvt_f16_f32_e32 v5, v1
.LBB86_1097:
	s_mov_b32 s13, -1
	s_mov_b32 s10, 0
	s_cbranch_execnz .LBB86_1108
.LBB86_1098:
	s_cmp_gt_i32 s0, 14
	s_cbranch_scc0 .LBB86_1101
; %bb.1099:
	s_cmp_eq_u32 s0, 15
	s_cbranch_scc0 .LBB86_1104
; %bb.1100:
	global_load_u16 v1, v[2:3], off
	s_mov_b32 s1, 0
	s_mov_b32 s13, -1
	s_wait_loadcnt 0x0
	v_lshlrev_b32_e32 v1, 16, v1
	s_delay_alu instid0(VALU_DEP_1)
	v_cvt_f16_f32_e32 v5, v1
	s_branch .LBB86_1105
.LBB86_1101:
	s_mov_b32 s9, -1
                                        ; implicit-def: $vgpr5
	s_branch .LBB86_1106
.LBB86_1102:
	s_or_saveexec_b32 s10, s10
	v_mov_b32_e32 v5, 0x7e00
	s_xor_b32 exec_lo, exec_lo, s10
	s_cbranch_execz .LBB86_1084
.LBB86_1103:
	v_cmp_ne_u16_e32 vcc_lo, 0, v1
	v_mov_b32_e32 v5, v1
	s_and_not1_b32 s9, s9, exec_lo
	s_and_b32 s13, vcc_lo, exec_lo
	s_delay_alu instid0(SALU_CYCLE_1)
	s_or_b32 s9, s9, s13
	s_or_b32 exec_lo, exec_lo, s10
	s_and_saveexec_b32 s10, s9
	s_cbranch_execnz .LBB86_1085
	s_branch .LBB86_1086
.LBB86_1104:
	s_mov_b32 s1, -1
                                        ; implicit-def: $vgpr5
.LBB86_1105:
	s_mov_b32 s9, 0
.LBB86_1106:
	s_delay_alu instid0(SALU_CYCLE_1)
	s_and_b32 vcc_lo, exec_lo, s9
	s_cbranch_vccz .LBB86_1108
; %bb.1107:
	s_cmp_lg_u32 s0, 11
	s_mov_b32 s10, -1
	s_cselect_b32 s1, -1, 0
.LBB86_1108:
	s_delay_alu instid0(SALU_CYCLE_1)
	s_and_b32 vcc_lo, exec_lo, s1
	s_mov_b32 s9, s12
	s_cbranch_vccnz .LBB86_1169
; %bb.1109:
	s_and_not1_b32 vcc_lo, exec_lo, s10
	s_cbranch_vccnz .LBB86_1111
.LBB86_1110:
	global_load_u8 v1, v[2:3], off
	s_mov_b32 s13, -1
	s_wait_loadcnt 0x0
	v_cmp_ne_u16_e32 vcc_lo, 0, v1
	v_cndmask_b32_e64 v5, 0, 0x3c00, vcc_lo
.LBB86_1111:
	s_branch .LBB86_1040
.LBB86_1112:
	s_cmp_lt_i32 s0, 5
	s_cbranch_scc1 .LBB86_1117
; %bb.1113:
	s_cmp_lt_i32 s0, 8
	s_cbranch_scc1 .LBB86_1118
; %bb.1114:
	;; [unrolled: 3-line block ×3, first 2 shown]
	s_cmp_gt_i32 s0, 9
	s_cbranch_scc0 .LBB86_1120
; %bb.1116:
	global_load_b64 v[6:7], v[2:3], off
	s_mov_b32 s1, 0
	s_wait_loadcnt 0x0
	v_and_or_b32 v1, 0x1ff, v7, v6
	v_lshrrev_b32_e32 v5, 8, v7
	v_bfe_u32 v6, v7, 20, 11
	s_delay_alu instid0(VALU_DEP_3) | instskip(NEXT) | instid1(VALU_DEP_2)
	v_cmp_ne_u32_e32 vcc_lo, 0, v1
	v_sub_nc_u32_e32 v8, 0x3f1, v6
	v_add_nc_u32_e32 v6, 0xfffffc10, v6
	v_cndmask_b32_e64 v1, 0, 1, vcc_lo
	s_delay_alu instid0(VALU_DEP_1) | instskip(NEXT) | instid1(VALU_DEP_4)
	v_and_or_b32 v1, 0xffe, v5, v1
	v_med3_i32 v5, v8, 0, 13
	s_delay_alu instid0(VALU_DEP_2) | instskip(NEXT) | instid1(VALU_DEP_1)
	v_or_b32_e32 v8, 0x1000, v1
	v_lshrrev_b32_e32 v9, v5, v8
	s_delay_alu instid0(VALU_DEP_1) | instskip(NEXT) | instid1(VALU_DEP_1)
	v_lshlrev_b32_e32 v5, v5, v9
	v_cmp_ne_u32_e32 vcc_lo, v5, v8
	v_lshl_or_b32 v8, v6, 12, v1
	v_cndmask_b32_e64 v5, 0, 1, vcc_lo
	v_cmp_gt_i32_e32 vcc_lo, 1, v6
	s_delay_alu instid0(VALU_DEP_2) | instskip(NEXT) | instid1(VALU_DEP_1)
	v_or_b32_e32 v5, v9, v5
	v_cndmask_b32_e32 v5, v8, v5, vcc_lo
	s_delay_alu instid0(VALU_DEP_1) | instskip(NEXT) | instid1(VALU_DEP_1)
	v_dual_lshrrev_b32 v5, 2, v5 :: v_dual_bitop2_b32 v8, 7, v5 bitop3:0x40
	v_cmp_lt_i32_e32 vcc_lo, 5, v8
	v_cndmask_b32_e64 v9, 0, 1, vcc_lo
	v_cmp_eq_u32_e32 vcc_lo, 3, v8
	v_cndmask_b32_e64 v8, 0, 1, vcc_lo
	v_cmp_ne_u32_e32 vcc_lo, 0, v1
	s_delay_alu instid0(VALU_DEP_2) | instskip(SKIP_1) | instid1(VALU_DEP_2)
	v_or_b32_e32 v8, v8, v9
	v_mov_b32_e32 v9, 0x7e00
	v_add_nc_u32_e32 v5, v5, v8
	s_delay_alu instid0(VALU_DEP_2) | instskip(SKIP_1) | instid1(VALU_DEP_3)
	v_cndmask_b32_e32 v1, 0x7c00, v9, vcc_lo
	v_cmp_gt_i32_e32 vcc_lo, 31, v6
	v_cndmask_b32_e32 v5, 0x7c00, v5, vcc_lo
	v_cmp_eq_u32_e32 vcc_lo, 0x40f, v6
	s_delay_alu instid0(VALU_DEP_2) | instskip(NEXT) | instid1(VALU_DEP_1)
	v_dual_cndmask_b32 v1, v5, v1, vcc_lo :: v_dual_lshrrev_b32 v5, 16, v7
	v_and_or_b32 v5, 0x8000, v5, v1
	s_branch .LBB86_1121
.LBB86_1117:
                                        ; implicit-def: $vgpr5
	s_branch .LBB86_1138
.LBB86_1118:
                                        ; implicit-def: $vgpr5
	s_branch .LBB86_1127
.LBB86_1119:
	s_mov_b32 s1, -1
                                        ; implicit-def: $vgpr5
	s_branch .LBB86_1124
.LBB86_1120:
	s_mov_b32 s1, -1
                                        ; implicit-def: $vgpr5
.LBB86_1121:
	s_delay_alu instid0(SALU_CYCLE_1)
	s_and_not1_b32 vcc_lo, exec_lo, s1
	s_cbranch_vccnz .LBB86_1123
; %bb.1122:
	global_load_b32 v1, v[2:3], off
	s_wait_loadcnt 0x0
	v_cvt_f16_f32_e32 v5, v1
.LBB86_1123:
	s_mov_b32 s1, 0
.LBB86_1124:
	s_delay_alu instid0(SALU_CYCLE_1)
	s_and_not1_b32 vcc_lo, exec_lo, s1
	s_cbranch_vccnz .LBB86_1126
; %bb.1125:
	global_load_b32 v5, v[2:3], off
.LBB86_1126:
	s_cbranch_execnz .LBB86_1137
.LBB86_1127:
	s_cmp_lt_i32 s0, 6
	s_cbranch_scc1 .LBB86_1130
; %bb.1128:
	s_cmp_gt_i32 s0, 6
	s_cbranch_scc0 .LBB86_1131
; %bb.1129:
	global_load_b64 v[6:7], v[2:3], off
	s_mov_b32 s1, 0
	s_wait_loadcnt 0x0
	v_and_or_b32 v1, 0x1ff, v7, v6
	v_lshrrev_b32_e32 v5, 8, v7
	v_bfe_u32 v6, v7, 20, 11
	s_delay_alu instid0(VALU_DEP_3) | instskip(NEXT) | instid1(VALU_DEP_2)
	v_cmp_ne_u32_e32 vcc_lo, 0, v1
	v_sub_nc_u32_e32 v8, 0x3f1, v6
	v_add_nc_u32_e32 v6, 0xfffffc10, v6
	v_cndmask_b32_e64 v1, 0, 1, vcc_lo
	s_delay_alu instid0(VALU_DEP_1) | instskip(NEXT) | instid1(VALU_DEP_4)
	v_and_or_b32 v1, 0xffe, v5, v1
	v_med3_i32 v5, v8, 0, 13
	s_delay_alu instid0(VALU_DEP_2) | instskip(NEXT) | instid1(VALU_DEP_1)
	v_or_b32_e32 v8, 0x1000, v1
	v_lshrrev_b32_e32 v9, v5, v8
	s_delay_alu instid0(VALU_DEP_1) | instskip(NEXT) | instid1(VALU_DEP_1)
	v_lshlrev_b32_e32 v5, v5, v9
	v_cmp_ne_u32_e32 vcc_lo, v5, v8
	v_lshl_or_b32 v8, v6, 12, v1
	v_cndmask_b32_e64 v5, 0, 1, vcc_lo
	v_cmp_gt_i32_e32 vcc_lo, 1, v6
	s_delay_alu instid0(VALU_DEP_2) | instskip(NEXT) | instid1(VALU_DEP_1)
	v_or_b32_e32 v5, v9, v5
	v_cndmask_b32_e32 v5, v8, v5, vcc_lo
	s_delay_alu instid0(VALU_DEP_1) | instskip(NEXT) | instid1(VALU_DEP_1)
	v_dual_lshrrev_b32 v5, 2, v5 :: v_dual_bitop2_b32 v8, 7, v5 bitop3:0x40
	v_cmp_lt_i32_e32 vcc_lo, 5, v8
	v_cndmask_b32_e64 v9, 0, 1, vcc_lo
	v_cmp_eq_u32_e32 vcc_lo, 3, v8
	v_cndmask_b32_e64 v8, 0, 1, vcc_lo
	v_cmp_ne_u32_e32 vcc_lo, 0, v1
	s_delay_alu instid0(VALU_DEP_2) | instskip(SKIP_1) | instid1(VALU_DEP_2)
	v_or_b32_e32 v8, v8, v9
	v_mov_b32_e32 v9, 0x7e00
	v_add_nc_u32_e32 v5, v5, v8
	s_delay_alu instid0(VALU_DEP_2) | instskip(SKIP_1) | instid1(VALU_DEP_3)
	v_cndmask_b32_e32 v1, 0x7c00, v9, vcc_lo
	v_cmp_gt_i32_e32 vcc_lo, 31, v6
	v_cndmask_b32_e32 v5, 0x7c00, v5, vcc_lo
	v_cmp_eq_u32_e32 vcc_lo, 0x40f, v6
	s_delay_alu instid0(VALU_DEP_2) | instskip(NEXT) | instid1(VALU_DEP_1)
	v_dual_cndmask_b32 v1, v5, v1, vcc_lo :: v_dual_lshrrev_b32 v5, 16, v7
	v_and_or_b32 v5, 0x8000, v5, v1
	s_branch .LBB86_1132
.LBB86_1130:
	s_mov_b32 s1, -1
                                        ; implicit-def: $vgpr5
	s_branch .LBB86_1135
.LBB86_1131:
	s_mov_b32 s1, -1
                                        ; implicit-def: $vgpr5
.LBB86_1132:
	s_delay_alu instid0(SALU_CYCLE_1)
	s_and_not1_b32 vcc_lo, exec_lo, s1
	s_cbranch_vccnz .LBB86_1134
; %bb.1133:
	global_load_b32 v1, v[2:3], off
	s_wait_loadcnt 0x0
	v_cvt_f16_f32_e32 v5, v1
.LBB86_1134:
	s_mov_b32 s1, 0
.LBB86_1135:
	s_delay_alu instid0(SALU_CYCLE_1)
	s_and_not1_b32 vcc_lo, exec_lo, s1
	s_cbranch_vccnz .LBB86_1137
; %bb.1136:
	s_wait_loadcnt 0x0
	global_load_u16 v5, v[2:3], off
.LBB86_1137:
	s_cbranch_execnz .LBB86_1156
.LBB86_1138:
	s_cmp_lt_i32 s0, 2
	s_cbranch_scc1 .LBB86_1142
; %bb.1139:
	s_cmp_lt_i32 s0, 3
	s_cbranch_scc1 .LBB86_1143
; %bb.1140:
	s_cmp_gt_i32 s0, 3
	s_cbranch_scc0 .LBB86_1144
; %bb.1141:
	global_load_b64 v[6:7], v[2:3], off
	s_mov_b32 s1, 0
	s_wait_loadcnt 0x0
	v_xor_b32_e32 v1, v6, v7
	v_cls_i32_e32 v5, v7
	s_delay_alu instid0(VALU_DEP_2) | instskip(NEXT) | instid1(VALU_DEP_1)
	v_ashrrev_i32_e32 v1, 31, v1
	v_add_nc_u32_e32 v1, 32, v1
	s_delay_alu instid0(VALU_DEP_1) | instskip(NEXT) | instid1(VALU_DEP_1)
	v_add_min_u32_e64 v1, v5, -1, v1
	v_lshlrev_b64_e32 v[6:7], v1, v[6:7]
	v_sub_nc_u32_e32 v1, 32, v1
	s_delay_alu instid0(VALU_DEP_2) | instskip(NEXT) | instid1(VALU_DEP_1)
	v_min_u32_e32 v5, 1, v6
	v_or_b32_e32 v5, v7, v5
	s_delay_alu instid0(VALU_DEP_1) | instskip(NEXT) | instid1(VALU_DEP_1)
	v_cvt_f32_i32_e32 v5, v5
	v_ldexp_f32 v1, v5, v1
	s_delay_alu instid0(VALU_DEP_1)
	v_cvt_f16_f32_e32 v5, v1
	s_branch .LBB86_1145
.LBB86_1142:
                                        ; implicit-def: $vgpr5
	s_branch .LBB86_1151
.LBB86_1143:
	s_mov_b32 s1, -1
                                        ; implicit-def: $vgpr5
	s_branch .LBB86_1148
.LBB86_1144:
	s_mov_b32 s1, -1
                                        ; implicit-def: $vgpr5
.LBB86_1145:
	s_delay_alu instid0(SALU_CYCLE_1)
	s_and_not1_b32 vcc_lo, exec_lo, s1
	s_cbranch_vccnz .LBB86_1147
; %bb.1146:
	global_load_b32 v1, v[2:3], off
	s_wait_loadcnt 0x0
	v_cvt_f32_i32_e32 v1, v1
	s_delay_alu instid0(VALU_DEP_1)
	v_cvt_f16_f32_e32 v5, v1
.LBB86_1147:
	s_mov_b32 s1, 0
.LBB86_1148:
	s_delay_alu instid0(SALU_CYCLE_1)
	s_and_not1_b32 vcc_lo, exec_lo, s1
	s_cbranch_vccnz .LBB86_1150
; %bb.1149:
	global_load_u16 v1, v[2:3], off
	s_wait_loadcnt 0x0
	v_cvt_f16_i16_e32 v5, v1
.LBB86_1150:
	s_cbranch_execnz .LBB86_1156
.LBB86_1151:
	s_cmp_gt_i32 s0, 0
	s_mov_b32 s1, 0
	s_cbranch_scc0 .LBB86_1153
; %bb.1152:
	global_load_i8 v1, v[2:3], off
	s_wait_loadcnt 0x0
	v_cvt_f16_i16_e32 v5, v1
	s_branch .LBB86_1154
.LBB86_1153:
	s_mov_b32 s1, -1
                                        ; implicit-def: $vgpr5
.LBB86_1154:
	s_delay_alu instid0(SALU_CYCLE_1)
	s_and_not1_b32 vcc_lo, exec_lo, s1
	s_cbranch_vccnz .LBB86_1156
; %bb.1155:
	global_load_u8 v1, v[2:3], off
	s_wait_loadcnt 0x0
	v_cvt_f16_u16_e32 v5, v1
.LBB86_1156:
.LBB86_1157:
	s_lshl_b32 s1, s3, 7
	s_cmp_lt_i32 s0, 11
	v_add_nc_u32_e32 v0, s1, v0
	s_delay_alu instid0(VALU_DEP_1) | instskip(SKIP_1) | instid1(VALU_DEP_1)
	v_ashrrev_i32_e32 v1, 31, v0
	s_wait_xcnt 0x0
	v_add_nc_u64_e32 v[2:3], s[6:7], v[0:1]
	s_cbranch_scc1 .LBB86_1164
; %bb.1158:
	s_cmp_gt_i32 s0, 25
	s_mov_b32 s10, 0
	s_cbranch_scc0 .LBB86_1166
; %bb.1159:
	s_cmp_gt_i32 s0, 28
	s_cbranch_scc0 .LBB86_1167
; %bb.1160:
	s_cmp_gt_i32 s0, 43
	;; [unrolled: 3-line block ×3, first 2 shown]
	s_cbranch_scc0 .LBB86_1170
; %bb.1162:
	s_cmp_eq_u32 s0, 46
	s_mov_b32 s14, 0
	s_cbranch_scc0 .LBB86_1173
; %bb.1163:
	global_load_b32 v1, v[2:3], off
	s_mov_b32 s3, 0
	s_mov_b32 s13, -1
	s_wait_loadcnt 0x0
	v_lshlrev_b32_e32 v1, 16, v1
	s_delay_alu instid0(VALU_DEP_1)
	v_cvt_f16_f32_e32 v6, v1
	s_branch .LBB86_1175
.LBB86_1164:
	s_mov_b32 s13, 0
                                        ; implicit-def: $vgpr6
	s_cbranch_execnz .LBB86_1240
.LBB86_1165:
	s_and_not1_b32 vcc_lo, exec_lo, s13
	s_cbranch_vccnz .LBB86_1981
	s_branch .LBB86_1287
.LBB86_1166:
	s_mov_b32 s13, 0
	s_mov_b32 s3, 0
                                        ; implicit-def: $vgpr6
	s_cbranch_execnz .LBB86_1204
	s_branch .LBB86_1236
.LBB86_1167:
	s_mov_b32 s14, -1
	s_mov_b32 s13, 0
	s_mov_b32 s3, 0
                                        ; implicit-def: $vgpr6
	s_branch .LBB86_1185
.LBB86_1168:
	s_mov_b32 s14, -1
	s_mov_b32 s13, 0
	s_mov_b32 s3, 0
                                        ; implicit-def: $vgpr6
	s_branch .LBB86_1180
.LBB86_1169:
	s_or_b32 s9, s12, exec_lo
	s_trap 2
	s_cbranch_execz .LBB86_1110
	s_branch .LBB86_1111
.LBB86_1170:
	s_mov_b32 s14, -1
	s_mov_b32 s13, 0
	s_mov_b32 s3, 0
	s_branch .LBB86_1174
.LBB86_1171:
	s_and_not1_saveexec_b32 s20, s20
	s_cbranch_execz .LBB86_956
.LBB86_1172:
	v_add_f32_e32 v2, 0x42800000, v3
	s_and_not1_b32 s19, s19, exec_lo
	s_delay_alu instid0(VALU_DEP_1) | instskip(NEXT) | instid1(VALU_DEP_1)
	v_and_b32_e32 v2, 0xff, v2
	v_cmp_ne_u32_e32 vcc_lo, 0, v2
	s_and_b32 s21, vcc_lo, exec_lo
	s_delay_alu instid0(SALU_CYCLE_1)
	s_or_b32 s19, s19, s21
	s_or_b32 exec_lo, exec_lo, s20
	v_mov_b32_e32 v4, 0
	s_and_saveexec_b32 s20, s19
	s_cbranch_execnz .LBB86_957
	s_branch .LBB86_958
.LBB86_1173:
	s_mov_b32 s3, -1
	s_mov_b32 s13, 0
.LBB86_1174:
                                        ; implicit-def: $vgpr6
.LBB86_1175:
	s_and_b32 vcc_lo, exec_lo, s14
	s_cbranch_vccz .LBB86_1179
; %bb.1176:
	s_cmp_eq_u32 s0, 44
	s_cbranch_scc0 .LBB86_1178
; %bb.1177:
	global_load_u8 v1, v[2:3], off
	s_mov_b32 s3, 0
	s_mov_b32 s13, -1
	s_wait_loadcnt 0x0
	v_lshlrev_b32_e32 v6, 23, v1
	v_cmp_ne_u32_e32 vcc_lo, 0xff, v1
	s_delay_alu instid0(VALU_DEP_2) | instskip(NEXT) | instid1(VALU_DEP_1)
	v_cvt_f16_f32_e32 v6, v6
	v_cndmask_b32_e32 v6, 0x7e00, v6, vcc_lo
	v_cmp_ne_u32_e32 vcc_lo, 0, v1
	s_delay_alu instid0(VALU_DEP_2)
	v_cndmask_b32_e32 v6, 0, v6, vcc_lo
	s_branch .LBB86_1179
.LBB86_1178:
	s_mov_b32 s3, -1
                                        ; implicit-def: $vgpr6
.LBB86_1179:
	s_mov_b32 s14, 0
.LBB86_1180:
	s_delay_alu instid0(SALU_CYCLE_1)
	s_and_b32 vcc_lo, exec_lo, s14
	s_cbranch_vccz .LBB86_1184
; %bb.1181:
	s_cmp_eq_u32 s0, 29
	s_cbranch_scc0 .LBB86_1183
; %bb.1182:
	global_load_b64 v[6:7], v[2:3], off
	s_mov_b32 s3, 0
	s_mov_b32 s13, -1
	s_mov_b32 s14, 0
	s_wait_loadcnt 0x0
	v_clz_i32_u32_e32 v1, v7
	s_delay_alu instid0(VALU_DEP_1) | instskip(NEXT) | instid1(VALU_DEP_1)
	v_min_u32_e32 v1, 32, v1
	v_lshlrev_b64_e32 v[6:7], v1, v[6:7]
	v_sub_nc_u32_e32 v1, 32, v1
	s_delay_alu instid0(VALU_DEP_2) | instskip(NEXT) | instid1(VALU_DEP_1)
	v_min_u32_e32 v6, 1, v6
	v_or_b32_e32 v6, v7, v6
	s_delay_alu instid0(VALU_DEP_1) | instskip(NEXT) | instid1(VALU_DEP_1)
	v_cvt_f32_u32_e32 v6, v6
	v_ldexp_f32 v1, v6, v1
	s_delay_alu instid0(VALU_DEP_1)
	v_cvt_f16_f32_e32 v6, v1
	s_branch .LBB86_1185
.LBB86_1183:
	s_mov_b32 s3, -1
                                        ; implicit-def: $vgpr6
.LBB86_1184:
	s_mov_b32 s14, 0
.LBB86_1185:
	s_delay_alu instid0(SALU_CYCLE_1)
	s_and_b32 vcc_lo, exec_lo, s14
	s_cbranch_vccz .LBB86_1203
; %bb.1186:
	s_cmp_lt_i32 s0, 27
	s_cbranch_scc1 .LBB86_1189
; %bb.1187:
	s_cmp_gt_i32 s0, 27
	s_cbranch_scc0 .LBB86_1190
; %bb.1188:
	global_load_b32 v1, v[2:3], off
	s_mov_b32 s13, 0
	s_wait_loadcnt 0x0
	v_cvt_f32_u32_e32 v1, v1
	s_delay_alu instid0(VALU_DEP_1)
	v_cvt_f16_f32_e32 v6, v1
	s_branch .LBB86_1191
.LBB86_1189:
	s_mov_b32 s13, -1
                                        ; implicit-def: $vgpr6
	s_branch .LBB86_1194
.LBB86_1190:
	s_mov_b32 s13, -1
                                        ; implicit-def: $vgpr6
.LBB86_1191:
	s_delay_alu instid0(SALU_CYCLE_1)
	s_and_not1_b32 vcc_lo, exec_lo, s13
	s_cbranch_vccnz .LBB86_1193
; %bb.1192:
	global_load_u16 v1, v[2:3], off
	s_wait_loadcnt 0x0
	v_cvt_f16_u16_e32 v6, v1
.LBB86_1193:
	s_mov_b32 s13, 0
.LBB86_1194:
	s_delay_alu instid0(SALU_CYCLE_1)
	s_and_not1_b32 vcc_lo, exec_lo, s13
	s_cbranch_vccnz .LBB86_1202
; %bb.1195:
	global_load_u8 v1, v[2:3], off
	s_mov_b32 s13, 0
	s_mov_b32 s14, exec_lo
	s_wait_loadcnt 0x0
	v_cmpx_lt_i16_e32 0x7f, v1
	s_xor_b32 s14, exec_lo, s14
	s_cbranch_execz .LBB86_1215
; %bb.1196:
	s_mov_b32 s13, -1
	s_mov_b32 s15, exec_lo
	v_cmpx_eq_u16_e32 0x80, v1
; %bb.1197:
	s_xor_b32 s13, exec_lo, -1
; %bb.1198:
	s_or_b32 exec_lo, exec_lo, s15
	s_delay_alu instid0(SALU_CYCLE_1)
	s_and_b32 s13, s13, exec_lo
	s_or_saveexec_b32 s14, s14
	v_mov_b32_e32 v6, 0x7e00
	s_xor_b32 exec_lo, exec_lo, s14
	s_cbranch_execnz .LBB86_1216
.LBB86_1199:
	s_or_b32 exec_lo, exec_lo, s14
	s_and_saveexec_b32 s14, s13
	s_cbranch_execz .LBB86_1201
.LBB86_1200:
	v_and_b32_e32 v6, 0xffff, v1
	s_delay_alu instid0(VALU_DEP_1) | instskip(SKIP_1) | instid1(VALU_DEP_2)
	v_and_b32_e32 v7, 7, v6
	v_bfe_u32 v10, v6, 3, 4
	v_clz_i32_u32_e32 v8, v7
	s_delay_alu instid0(VALU_DEP_2) | instskip(NEXT) | instid1(VALU_DEP_2)
	v_cmp_eq_u32_e32 vcc_lo, 0, v10
	v_min_u32_e32 v8, 32, v8
	s_delay_alu instid0(VALU_DEP_1) | instskip(NEXT) | instid1(VALU_DEP_1)
	v_subrev_nc_u32_e32 v9, 28, v8
	v_dual_lshlrev_b32 v6, v9, v6 :: v_dual_sub_nc_u32 v8, 29, v8
	s_delay_alu instid0(VALU_DEP_1) | instskip(NEXT) | instid1(VALU_DEP_1)
	v_dual_lshlrev_b32 v1, 24, v1 :: v_dual_bitop2_b32 v6, 7, v6 bitop3:0x40
	v_dual_cndmask_b32 v8, v10, v8, vcc_lo :: v_dual_cndmask_b32 v6, v7, v6, vcc_lo
	s_delay_alu instid0(VALU_DEP_2) | instskip(NEXT) | instid1(VALU_DEP_2)
	v_and_b32_e32 v1, 0x80000000, v1
	v_lshl_add_u32 v7, v8, 23, 0x3b800000
	s_delay_alu instid0(VALU_DEP_3) | instskip(NEXT) | instid1(VALU_DEP_1)
	v_lshlrev_b32_e32 v6, 20, v6
	v_or3_b32 v1, v1, v7, v6
	s_delay_alu instid0(VALU_DEP_1)
	v_cvt_f16_f32_e32 v6, v1
.LBB86_1201:
	s_or_b32 exec_lo, exec_lo, s14
.LBB86_1202:
	s_mov_b32 s13, -1
.LBB86_1203:
	s_branch .LBB86_1236
.LBB86_1204:
	s_cmp_gt_i32 s0, 22
	s_cbranch_scc0 .LBB86_1214
; %bb.1205:
	s_cmp_lt_i32 s0, 24
	s_cbranch_scc1 .LBB86_1217
; %bb.1206:
	s_cmp_gt_i32 s0, 24
	s_cbranch_scc0 .LBB86_1218
; %bb.1207:
	global_load_u8 v1, v[2:3], off
	s_mov_b32 s13, exec_lo
	s_wait_loadcnt 0x0
	v_cmpx_lt_i16_e32 0x7f, v1
	s_xor_b32 s13, exec_lo, s13
	s_cbranch_execz .LBB86_1230
; %bb.1208:
	s_mov_b32 s10, -1
	s_mov_b32 s14, exec_lo
	v_cmpx_eq_u16_e32 0x80, v1
; %bb.1209:
	s_xor_b32 s10, exec_lo, -1
; %bb.1210:
	s_or_b32 exec_lo, exec_lo, s14
	s_delay_alu instid0(SALU_CYCLE_1)
	s_and_b32 s10, s10, exec_lo
	s_or_saveexec_b32 s13, s13
	v_mov_b32_e32 v6, 0x7e00
	s_xor_b32 exec_lo, exec_lo, s13
	s_cbranch_execnz .LBB86_1231
.LBB86_1211:
	s_or_b32 exec_lo, exec_lo, s13
	s_and_saveexec_b32 s13, s10
	s_cbranch_execz .LBB86_1213
.LBB86_1212:
	v_and_b32_e32 v6, 0xffff, v1
	s_delay_alu instid0(VALU_DEP_1) | instskip(SKIP_1) | instid1(VALU_DEP_2)
	v_and_b32_e32 v7, 3, v6
	v_bfe_u32 v10, v6, 2, 5
	v_clz_i32_u32_e32 v8, v7
	s_delay_alu instid0(VALU_DEP_2) | instskip(NEXT) | instid1(VALU_DEP_2)
	v_cmp_eq_u32_e32 vcc_lo, 0, v10
	v_min_u32_e32 v8, 32, v8
	s_delay_alu instid0(VALU_DEP_1) | instskip(NEXT) | instid1(VALU_DEP_1)
	v_subrev_nc_u32_e32 v9, 29, v8
	v_dual_lshlrev_b32 v6, v9, v6 :: v_dual_sub_nc_u32 v8, 30, v8
	s_delay_alu instid0(VALU_DEP_1) | instskip(NEXT) | instid1(VALU_DEP_1)
	v_dual_lshlrev_b32 v1, 24, v1 :: v_dual_bitop2_b32 v6, 3, v6 bitop3:0x40
	v_dual_cndmask_b32 v8, v10, v8, vcc_lo :: v_dual_cndmask_b32 v6, v7, v6, vcc_lo
	s_delay_alu instid0(VALU_DEP_2) | instskip(NEXT) | instid1(VALU_DEP_2)
	v_and_b32_e32 v1, 0x80000000, v1
	v_lshl_add_u32 v7, v8, 23, 0x37800000
	s_delay_alu instid0(VALU_DEP_3) | instskip(NEXT) | instid1(VALU_DEP_1)
	v_lshlrev_b32_e32 v6, 21, v6
	v_or3_b32 v1, v1, v7, v6
	s_delay_alu instid0(VALU_DEP_1)
	v_cvt_f16_f32_e32 v6, v1
.LBB86_1213:
	s_or_b32 exec_lo, exec_lo, s13
	s_mov_b32 s10, 0
	s_branch .LBB86_1219
.LBB86_1214:
	s_mov_b32 s10, -1
                                        ; implicit-def: $vgpr6
	s_branch .LBB86_1225
.LBB86_1215:
	s_or_saveexec_b32 s14, s14
	v_mov_b32_e32 v6, 0x7e00
	s_xor_b32 exec_lo, exec_lo, s14
	s_cbranch_execz .LBB86_1199
.LBB86_1216:
	v_cmp_ne_u16_e32 vcc_lo, 0, v1
	v_mov_b32_e32 v6, v1
	s_and_not1_b32 s13, s13, exec_lo
	s_and_b32 s15, vcc_lo, exec_lo
	s_delay_alu instid0(SALU_CYCLE_1)
	s_or_b32 s13, s13, s15
	s_or_b32 exec_lo, exec_lo, s14
	s_and_saveexec_b32 s14, s13
	s_cbranch_execnz .LBB86_1200
	s_branch .LBB86_1201
.LBB86_1217:
	s_mov_b32 s10, -1
                                        ; implicit-def: $vgpr6
	s_branch .LBB86_1222
.LBB86_1218:
	s_mov_b32 s10, -1
                                        ; implicit-def: $vgpr6
.LBB86_1219:
	s_delay_alu instid0(SALU_CYCLE_1)
	s_and_b32 vcc_lo, exec_lo, s10
	s_cbranch_vccz .LBB86_1221
; %bb.1220:
	global_load_u8 v1, v[2:3], off
	s_wait_loadcnt 0x0
	v_lshlrev_b32_e32 v1, 24, v1
	s_delay_alu instid0(VALU_DEP_1) | instskip(NEXT) | instid1(VALU_DEP_1)
	v_and_b32_e32 v6, 0x7f000000, v1
	v_clz_i32_u32_e32 v7, v6
	v_cmp_ne_u32_e32 vcc_lo, 0, v6
	v_add_nc_u32_e32 v9, 0x1000000, v6
	s_delay_alu instid0(VALU_DEP_3) | instskip(NEXT) | instid1(VALU_DEP_1)
	v_min_u32_e32 v7, 32, v7
	v_sub_nc_u32_e64 v7, v7, 4 clamp
	s_delay_alu instid0(VALU_DEP_1) | instskip(NEXT) | instid1(VALU_DEP_1)
	v_dual_lshlrev_b32 v8, v7, v6 :: v_dual_lshlrev_b32 v7, 23, v7
	v_lshrrev_b32_e32 v8, 4, v8
	s_delay_alu instid0(VALU_DEP_1) | instskip(NEXT) | instid1(VALU_DEP_1)
	v_dual_sub_nc_u32 v7, v8, v7 :: v_dual_ashrrev_i32 v8, 8, v9
	v_add_nc_u32_e32 v7, 0x3c000000, v7
	s_delay_alu instid0(VALU_DEP_1) | instskip(NEXT) | instid1(VALU_DEP_1)
	v_and_or_b32 v7, 0x7f800000, v8, v7
	v_cndmask_b32_e32 v6, 0, v7, vcc_lo
	s_delay_alu instid0(VALU_DEP_1) | instskip(NEXT) | instid1(VALU_DEP_1)
	v_and_or_b32 v1, 0x80000000, v1, v6
	v_cvt_f16_f32_e32 v6, v1
.LBB86_1221:
	s_mov_b32 s10, 0
.LBB86_1222:
	s_delay_alu instid0(SALU_CYCLE_1)
	s_and_not1_b32 vcc_lo, exec_lo, s10
	s_cbranch_vccnz .LBB86_1224
; %bb.1223:
	global_load_u8 v1, v[2:3], off
	s_wait_loadcnt 0x0
	v_lshlrev_b32_e32 v6, 25, v1
	v_lshlrev_b16 v1, 8, v1
	s_delay_alu instid0(VALU_DEP_1) | instskip(SKIP_1) | instid1(VALU_DEP_2)
	v_and_or_b32 v8, 0x7f00, v1, 0.5
	v_bfe_i32 v1, v1, 0, 16
	v_dual_add_f32 v8, -0.5, v8 :: v_dual_lshrrev_b32 v7, 4, v6
	v_cmp_gt_u32_e32 vcc_lo, 0x8000000, v6
	s_delay_alu instid0(VALU_DEP_2) | instskip(NEXT) | instid1(VALU_DEP_1)
	v_or_b32_e32 v7, 0x70000000, v7
	v_mul_f32_e32 v7, 0x7800000, v7
	s_delay_alu instid0(VALU_DEP_1) | instskip(NEXT) | instid1(VALU_DEP_1)
	v_cndmask_b32_e32 v6, v7, v8, vcc_lo
	v_and_or_b32 v1, 0x80000000, v1, v6
	s_delay_alu instid0(VALU_DEP_1)
	v_cvt_f16_f32_e32 v6, v1
.LBB86_1224:
	s_mov_b32 s10, 0
	s_mov_b32 s13, -1
.LBB86_1225:
	s_and_not1_b32 vcc_lo, exec_lo, s10
	s_mov_b32 s10, 0
	s_cbranch_vccnz .LBB86_1236
; %bb.1226:
	s_cmp_gt_i32 s0, 14
	s_cbranch_scc0 .LBB86_1229
; %bb.1227:
	s_cmp_eq_u32 s0, 15
	s_cbranch_scc0 .LBB86_1232
; %bb.1228:
	global_load_u16 v1, v[2:3], off
	s_mov_b32 s3, 0
	s_mov_b32 s13, -1
	s_wait_loadcnt 0x0
	v_lshlrev_b32_e32 v1, 16, v1
	s_delay_alu instid0(VALU_DEP_1)
	v_cvt_f16_f32_e32 v6, v1
	s_branch .LBB86_1234
.LBB86_1229:
	s_mov_b32 s10, -1
	s_branch .LBB86_1233
.LBB86_1230:
	s_or_saveexec_b32 s13, s13
	v_mov_b32_e32 v6, 0x7e00
	s_xor_b32 exec_lo, exec_lo, s13
	s_cbranch_execz .LBB86_1211
.LBB86_1231:
	v_cmp_ne_u16_e32 vcc_lo, 0, v1
	v_mov_b32_e32 v6, v1
	s_and_not1_b32 s10, s10, exec_lo
	s_and_b32 s14, vcc_lo, exec_lo
	s_delay_alu instid0(SALU_CYCLE_1)
	s_or_b32 s10, s10, s14
	s_or_b32 exec_lo, exec_lo, s13
	s_and_saveexec_b32 s13, s10
	s_cbranch_execnz .LBB86_1212
	s_branch .LBB86_1213
.LBB86_1232:
	s_mov_b32 s3, -1
.LBB86_1233:
                                        ; implicit-def: $vgpr6
.LBB86_1234:
	s_and_b32 vcc_lo, exec_lo, s10
	s_mov_b32 s10, 0
	s_cbranch_vccz .LBB86_1236
; %bb.1235:
	s_cmp_lg_u32 s0, 11
	s_mov_b32 s10, -1
	s_cselect_b32 s3, -1, 0
.LBB86_1236:
	s_delay_alu instid0(SALU_CYCLE_1)
	s_and_b32 vcc_lo, exec_lo, s3
	s_cbranch_vccnz .LBB86_1299
; %bb.1237:
	s_and_not1_b32 vcc_lo, exec_lo, s10
	s_cbranch_vccnz .LBB86_1239
.LBB86_1238:
	global_load_u8 v1, v[2:3], off
	s_mov_b32 s13, -1
	s_wait_loadcnt 0x0
	v_cmp_ne_u16_e32 vcc_lo, 0, v1
	v_cndmask_b32_e64 v6, 0, 0x3c00, vcc_lo
.LBB86_1239:
	s_branch .LBB86_1165
.LBB86_1240:
	s_cmp_lt_i32 s0, 5
	s_cbranch_scc1 .LBB86_1245
; %bb.1241:
	s_cmp_lt_i32 s0, 8
	s_cbranch_scc1 .LBB86_1246
; %bb.1242:
	;; [unrolled: 3-line block ×3, first 2 shown]
	s_cmp_gt_i32 s0, 9
	s_cbranch_scc0 .LBB86_1248
; %bb.1244:
	global_load_b64 v[6:7], v[2:3], off
	s_mov_b32 s3, 0
	s_wait_loadcnt 0x0
	v_and_or_b32 v1, 0x1ff, v7, v6
	v_lshrrev_b32_e32 v6, 8, v7
	v_bfe_u32 v8, v7, 20, 11
	s_delay_alu instid0(VALU_DEP_3) | instskip(NEXT) | instid1(VALU_DEP_2)
	v_cmp_ne_u32_e32 vcc_lo, 0, v1
	v_sub_nc_u32_e32 v9, 0x3f1, v8
	v_add_nc_u32_e32 v8, 0xfffffc10, v8
	v_cndmask_b32_e64 v1, 0, 1, vcc_lo
	s_delay_alu instid0(VALU_DEP_1) | instskip(NEXT) | instid1(VALU_DEP_4)
	v_and_or_b32 v1, 0xffe, v6, v1
	v_med3_i32 v6, v9, 0, 13
	s_delay_alu instid0(VALU_DEP_2) | instskip(NEXT) | instid1(VALU_DEP_1)
	v_or_b32_e32 v9, 0x1000, v1
	v_lshrrev_b32_e32 v10, v6, v9
	s_delay_alu instid0(VALU_DEP_1) | instskip(NEXT) | instid1(VALU_DEP_1)
	v_lshlrev_b32_e32 v6, v6, v10
	v_cmp_ne_u32_e32 vcc_lo, v6, v9
	v_lshl_or_b32 v9, v8, 12, v1
	v_cndmask_b32_e64 v6, 0, 1, vcc_lo
	v_cmp_gt_i32_e32 vcc_lo, 1, v8
	s_delay_alu instid0(VALU_DEP_2) | instskip(NEXT) | instid1(VALU_DEP_1)
	v_or_b32_e32 v6, v10, v6
	v_cndmask_b32_e32 v6, v9, v6, vcc_lo
	s_delay_alu instid0(VALU_DEP_1) | instskip(NEXT) | instid1(VALU_DEP_1)
	v_dual_lshrrev_b32 v6, 2, v6 :: v_dual_bitop2_b32 v9, 7, v6 bitop3:0x40
	v_cmp_lt_i32_e32 vcc_lo, 5, v9
	v_cndmask_b32_e64 v10, 0, 1, vcc_lo
	v_cmp_eq_u32_e32 vcc_lo, 3, v9
	v_cndmask_b32_e64 v9, 0, 1, vcc_lo
	v_cmp_ne_u32_e32 vcc_lo, 0, v1
	s_delay_alu instid0(VALU_DEP_2) | instskip(SKIP_1) | instid1(VALU_DEP_1)
	v_or_b32_e32 v9, v9, v10
	v_mov_b32_e32 v10, 0x7e00
	v_dual_cndmask_b32 v1, 0x7c00, v10 :: v_dual_add_nc_u32 v6, v6, v9
	v_cmp_gt_i32_e32 vcc_lo, 31, v8
	s_delay_alu instid0(VALU_DEP_2) | instskip(SKIP_1) | instid1(VALU_DEP_2)
	v_cndmask_b32_e32 v6, 0x7c00, v6, vcc_lo
	v_cmp_eq_u32_e32 vcc_lo, 0x40f, v8
	v_dual_cndmask_b32 v1, v6, v1 :: v_dual_lshrrev_b32 v6, 16, v7
	s_delay_alu instid0(VALU_DEP_1)
	v_and_or_b32 v6, 0x8000, v6, v1
	s_branch .LBB86_1249
.LBB86_1245:
                                        ; implicit-def: $vgpr6
	s_branch .LBB86_1267
.LBB86_1246:
	s_mov_b32 s3, -1
                                        ; implicit-def: $vgpr6
	s_branch .LBB86_1255
.LBB86_1247:
	s_mov_b32 s3, -1
                                        ; implicit-def: $vgpr6
	s_branch .LBB86_1252
.LBB86_1248:
	s_mov_b32 s3, -1
                                        ; implicit-def: $vgpr6
.LBB86_1249:
	s_delay_alu instid0(SALU_CYCLE_1)
	s_and_not1_b32 vcc_lo, exec_lo, s3
	s_cbranch_vccnz .LBB86_1251
; %bb.1250:
	global_load_b32 v1, v[2:3], off
	s_wait_loadcnt 0x0
	v_cvt_f16_f32_e32 v6, v1
.LBB86_1251:
	s_mov_b32 s3, 0
.LBB86_1252:
	s_delay_alu instid0(SALU_CYCLE_1)
	s_and_not1_b32 vcc_lo, exec_lo, s3
	s_cbranch_vccnz .LBB86_1254
; %bb.1253:
	global_load_b32 v6, v[2:3], off
.LBB86_1254:
	s_mov_b32 s3, 0
.LBB86_1255:
	s_delay_alu instid0(SALU_CYCLE_1)
	s_and_not1_b32 vcc_lo, exec_lo, s3
	s_cbranch_vccnz .LBB86_1266
; %bb.1256:
	s_cmp_lt_i32 s0, 6
	s_cbranch_scc1 .LBB86_1259
; %bb.1257:
	s_cmp_gt_i32 s0, 6
	s_cbranch_scc0 .LBB86_1260
; %bb.1258:
	s_wait_loadcnt 0x0
	global_load_b64 v[6:7], v[2:3], off
	s_mov_b32 s3, 0
	s_wait_loadcnt 0x0
	v_and_or_b32 v1, 0x1ff, v7, v6
	v_lshrrev_b32_e32 v6, 8, v7
	v_bfe_u32 v8, v7, 20, 11
	s_delay_alu instid0(VALU_DEP_3) | instskip(NEXT) | instid1(VALU_DEP_2)
	v_cmp_ne_u32_e32 vcc_lo, 0, v1
	v_sub_nc_u32_e32 v9, 0x3f1, v8
	v_add_nc_u32_e32 v8, 0xfffffc10, v8
	v_cndmask_b32_e64 v1, 0, 1, vcc_lo
	s_delay_alu instid0(VALU_DEP_1) | instskip(NEXT) | instid1(VALU_DEP_4)
	v_and_or_b32 v1, 0xffe, v6, v1
	v_med3_i32 v6, v9, 0, 13
	s_delay_alu instid0(VALU_DEP_2) | instskip(NEXT) | instid1(VALU_DEP_1)
	v_or_b32_e32 v9, 0x1000, v1
	v_lshrrev_b32_e32 v10, v6, v9
	s_delay_alu instid0(VALU_DEP_1) | instskip(NEXT) | instid1(VALU_DEP_1)
	v_lshlrev_b32_e32 v6, v6, v10
	v_cmp_ne_u32_e32 vcc_lo, v6, v9
	v_lshl_or_b32 v9, v8, 12, v1
	v_cndmask_b32_e64 v6, 0, 1, vcc_lo
	v_cmp_gt_i32_e32 vcc_lo, 1, v8
	s_delay_alu instid0(VALU_DEP_2) | instskip(NEXT) | instid1(VALU_DEP_1)
	v_or_b32_e32 v6, v10, v6
	v_cndmask_b32_e32 v6, v9, v6, vcc_lo
	s_delay_alu instid0(VALU_DEP_1) | instskip(NEXT) | instid1(VALU_DEP_1)
	v_dual_lshrrev_b32 v6, 2, v6 :: v_dual_bitop2_b32 v9, 7, v6 bitop3:0x40
	v_cmp_lt_i32_e32 vcc_lo, 5, v9
	v_cndmask_b32_e64 v10, 0, 1, vcc_lo
	v_cmp_eq_u32_e32 vcc_lo, 3, v9
	v_cndmask_b32_e64 v9, 0, 1, vcc_lo
	v_cmp_ne_u32_e32 vcc_lo, 0, v1
	s_delay_alu instid0(VALU_DEP_2) | instskip(SKIP_1) | instid1(VALU_DEP_1)
	v_or_b32_e32 v9, v9, v10
	v_mov_b32_e32 v10, 0x7e00
	v_dual_cndmask_b32 v1, 0x7c00, v10 :: v_dual_add_nc_u32 v6, v6, v9
	v_cmp_gt_i32_e32 vcc_lo, 31, v8
	s_delay_alu instid0(VALU_DEP_2) | instskip(SKIP_1) | instid1(VALU_DEP_2)
	v_cndmask_b32_e32 v6, 0x7c00, v6, vcc_lo
	v_cmp_eq_u32_e32 vcc_lo, 0x40f, v8
	v_dual_cndmask_b32 v1, v6, v1 :: v_dual_lshrrev_b32 v6, 16, v7
	s_delay_alu instid0(VALU_DEP_1)
	v_and_or_b32 v6, 0x8000, v6, v1
	s_branch .LBB86_1261
.LBB86_1259:
	s_mov_b32 s3, -1
                                        ; implicit-def: $vgpr6
	s_branch .LBB86_1264
.LBB86_1260:
	s_mov_b32 s3, -1
                                        ; implicit-def: $vgpr6
.LBB86_1261:
	s_delay_alu instid0(SALU_CYCLE_1)
	s_and_not1_b32 vcc_lo, exec_lo, s3
	s_cbranch_vccnz .LBB86_1263
; %bb.1262:
	global_load_b32 v1, v[2:3], off
	s_wait_loadcnt 0x0
	v_cvt_f16_f32_e32 v6, v1
.LBB86_1263:
	s_mov_b32 s3, 0
.LBB86_1264:
	s_delay_alu instid0(SALU_CYCLE_1)
	s_and_not1_b32 vcc_lo, exec_lo, s3
	s_cbranch_vccnz .LBB86_1266
; %bb.1265:
	s_wait_loadcnt 0x0
	global_load_u16 v6, v[2:3], off
.LBB86_1266:
	s_cbranch_execnz .LBB86_1286
.LBB86_1267:
	s_cmp_lt_i32 s0, 2
	s_cbranch_scc1 .LBB86_1271
; %bb.1268:
	s_cmp_lt_i32 s0, 3
	s_cbranch_scc1 .LBB86_1272
; %bb.1269:
	s_cmp_gt_i32 s0, 3
	s_cbranch_scc0 .LBB86_1273
; %bb.1270:
	s_wait_loadcnt 0x0
	global_load_b64 v[6:7], v[2:3], off
	s_mov_b32 s3, 0
	s_wait_loadcnt 0x0
	v_xor_b32_e32 v1, v6, v7
	v_cls_i32_e32 v8, v7
	s_delay_alu instid0(VALU_DEP_2) | instskip(NEXT) | instid1(VALU_DEP_1)
	v_ashrrev_i32_e32 v1, 31, v1
	v_add_nc_u32_e32 v1, 32, v1
	s_delay_alu instid0(VALU_DEP_1) | instskip(NEXT) | instid1(VALU_DEP_1)
	v_add_min_u32_e64 v1, v8, -1, v1
	v_lshlrev_b64_e32 v[6:7], v1, v[6:7]
	v_sub_nc_u32_e32 v1, 32, v1
	s_delay_alu instid0(VALU_DEP_2) | instskip(NEXT) | instid1(VALU_DEP_1)
	v_min_u32_e32 v6, 1, v6
	v_or_b32_e32 v6, v7, v6
	s_delay_alu instid0(VALU_DEP_1) | instskip(NEXT) | instid1(VALU_DEP_1)
	v_cvt_f32_i32_e32 v6, v6
	v_ldexp_f32 v1, v6, v1
	s_delay_alu instid0(VALU_DEP_1)
	v_cvt_f16_f32_e32 v6, v1
	s_branch .LBB86_1274
.LBB86_1271:
	s_mov_b32 s3, -1
                                        ; implicit-def: $vgpr6
	s_branch .LBB86_1280
.LBB86_1272:
	s_mov_b32 s3, -1
                                        ; implicit-def: $vgpr6
	s_branch .LBB86_1277
.LBB86_1273:
	s_mov_b32 s3, -1
                                        ; implicit-def: $vgpr6
.LBB86_1274:
	s_delay_alu instid0(SALU_CYCLE_1)
	s_and_not1_b32 vcc_lo, exec_lo, s3
	s_cbranch_vccnz .LBB86_1276
; %bb.1275:
	global_load_b32 v1, v[2:3], off
	s_wait_loadcnt 0x0
	v_cvt_f32_i32_e32 v1, v1
	s_delay_alu instid0(VALU_DEP_1)
	v_cvt_f16_f32_e32 v6, v1
.LBB86_1276:
	s_mov_b32 s3, 0
.LBB86_1277:
	s_delay_alu instid0(SALU_CYCLE_1)
	s_and_not1_b32 vcc_lo, exec_lo, s3
	s_cbranch_vccnz .LBB86_1279
; %bb.1278:
	global_load_u16 v1, v[2:3], off
	s_wait_loadcnt 0x0
	v_cvt_f16_i16_e32 v6, v1
.LBB86_1279:
	s_mov_b32 s3, 0
.LBB86_1280:
	s_delay_alu instid0(SALU_CYCLE_1)
	s_and_not1_b32 vcc_lo, exec_lo, s3
	s_cbranch_vccnz .LBB86_1286
; %bb.1281:
	s_cmp_gt_i32 s0, 0
	s_mov_b32 s3, 0
	s_cbranch_scc0 .LBB86_1283
; %bb.1282:
	global_load_i8 v1, v[2:3], off
	s_wait_loadcnt 0x0
	v_cvt_f16_i16_e32 v6, v1
	s_branch .LBB86_1284
.LBB86_1283:
	s_mov_b32 s3, -1
                                        ; implicit-def: $vgpr6
.LBB86_1284:
	s_delay_alu instid0(SALU_CYCLE_1)
	s_and_not1_b32 vcc_lo, exec_lo, s3
	s_cbranch_vccnz .LBB86_1286
; %bb.1285:
	global_load_u8 v1, v[2:3], off
	s_wait_loadcnt 0x0
	v_cvt_f16_u16_e32 v6, v1
.LBB86_1286:
.LBB86_1287:
	v_add_nc_u32_e32 v0, s1, v0
	s_cmp_lt_i32 s0, 11
	s_delay_alu instid0(VALU_DEP_1) | instskip(SKIP_1) | instid1(VALU_DEP_1)
	v_ashrrev_i32_e32 v1, 31, v0
	s_wait_xcnt 0x0
	v_add_nc_u64_e32 v[2:3], s[6:7], v[0:1]
	s_cbranch_scc1 .LBB86_1294
; %bb.1288:
	s_cmp_gt_i32 s0, 25
	s_mov_b32 s10, 0
	s_cbranch_scc0 .LBB86_1296
; %bb.1289:
	s_cmp_gt_i32 s0, 28
	s_cbranch_scc0 .LBB86_1297
; %bb.1290:
	s_cmp_gt_i32 s0, 43
	;; [unrolled: 3-line block ×3, first 2 shown]
	s_cbranch_scc0 .LBB86_1300
; %bb.1292:
	s_cmp_eq_u32 s0, 46
	s_mov_b32 s14, 0
	s_cbranch_scc0 .LBB86_1301
; %bb.1293:
	global_load_b32 v1, v[2:3], off
	s_mov_b32 s3, 0
	s_mov_b32 s13, -1
	s_wait_loadcnt 0x0
	v_lshlrev_b32_e32 v1, 16, v1
	s_delay_alu instid0(VALU_DEP_1)
	v_cvt_f16_f32_e32 v7, v1
	s_branch .LBB86_1303
.LBB86_1294:
	s_mov_b32 s13, 0
                                        ; implicit-def: $vgpr7
	s_cbranch_execnz .LBB86_1369
.LBB86_1295:
	s_and_not1_b32 vcc_lo, exec_lo, s13
	s_cbranch_vccnz .LBB86_1981
	s_branch .LBB86_1417
.LBB86_1296:
	s_mov_b32 s14, -1
	s_mov_b32 s13, 0
	s_mov_b32 s3, 0
                                        ; implicit-def: $vgpr7
	s_branch .LBB86_1332
.LBB86_1297:
	s_mov_b32 s14, -1
	s_mov_b32 s13, 0
	s_mov_b32 s3, 0
                                        ; implicit-def: $vgpr7
	s_branch .LBB86_1313
.LBB86_1298:
	s_mov_b32 s14, -1
	s_mov_b32 s13, 0
	s_mov_b32 s3, 0
                                        ; implicit-def: $vgpr7
	s_branch .LBB86_1308
.LBB86_1299:
	s_or_b32 s9, s9, exec_lo
	s_trap 2
	s_cbranch_execz .LBB86_1238
	s_branch .LBB86_1239
.LBB86_1300:
	s_mov_b32 s14, -1
	s_mov_b32 s13, 0
	s_mov_b32 s3, 0
	s_branch .LBB86_1302
.LBB86_1301:
	s_mov_b32 s3, -1
	s_mov_b32 s13, 0
.LBB86_1302:
                                        ; implicit-def: $vgpr7
.LBB86_1303:
	s_and_b32 vcc_lo, exec_lo, s14
	s_cbranch_vccz .LBB86_1307
; %bb.1304:
	s_cmp_eq_u32 s0, 44
	s_cbranch_scc0 .LBB86_1306
; %bb.1305:
	global_load_u8 v1, v[2:3], off
	s_mov_b32 s3, 0
	s_mov_b32 s13, -1
	s_wait_loadcnt 0x0
	v_lshlrev_b32_e32 v7, 23, v1
	v_cmp_ne_u32_e32 vcc_lo, 0xff, v1
	s_delay_alu instid0(VALU_DEP_2) | instskip(NEXT) | instid1(VALU_DEP_1)
	v_cvt_f16_f32_e32 v7, v7
	v_cndmask_b32_e32 v7, 0x7e00, v7, vcc_lo
	v_cmp_ne_u32_e32 vcc_lo, 0, v1
	s_delay_alu instid0(VALU_DEP_2)
	v_cndmask_b32_e32 v7, 0, v7, vcc_lo
	s_branch .LBB86_1307
.LBB86_1306:
	s_mov_b32 s3, -1
                                        ; implicit-def: $vgpr7
.LBB86_1307:
	s_mov_b32 s14, 0
.LBB86_1308:
	s_delay_alu instid0(SALU_CYCLE_1)
	s_and_b32 vcc_lo, exec_lo, s14
	s_cbranch_vccz .LBB86_1312
; %bb.1309:
	s_cmp_eq_u32 s0, 29
	s_cbranch_scc0 .LBB86_1311
; %bb.1310:
	global_load_b64 v[8:9], v[2:3], off
	s_mov_b32 s3, 0
	s_mov_b32 s13, -1
	s_mov_b32 s14, 0
	s_wait_loadcnt 0x0
	v_clz_i32_u32_e32 v1, v9
	s_delay_alu instid0(VALU_DEP_1) | instskip(NEXT) | instid1(VALU_DEP_1)
	v_min_u32_e32 v1, 32, v1
	v_lshlrev_b64_e32 v[8:9], v1, v[8:9]
	v_sub_nc_u32_e32 v1, 32, v1
	s_delay_alu instid0(VALU_DEP_2) | instskip(NEXT) | instid1(VALU_DEP_1)
	v_min_u32_e32 v7, 1, v8
	v_or_b32_e32 v7, v9, v7
	s_delay_alu instid0(VALU_DEP_1) | instskip(NEXT) | instid1(VALU_DEP_1)
	v_cvt_f32_u32_e32 v7, v7
	v_ldexp_f32 v1, v7, v1
	s_delay_alu instid0(VALU_DEP_1)
	v_cvt_f16_f32_e32 v7, v1
	s_branch .LBB86_1313
.LBB86_1311:
	s_mov_b32 s3, -1
                                        ; implicit-def: $vgpr7
.LBB86_1312:
	s_mov_b32 s14, 0
.LBB86_1313:
	s_delay_alu instid0(SALU_CYCLE_1)
	s_and_b32 vcc_lo, exec_lo, s14
	s_cbranch_vccz .LBB86_1331
; %bb.1314:
	s_cmp_lt_i32 s0, 27
	s_cbranch_scc1 .LBB86_1317
; %bb.1315:
	s_cmp_gt_i32 s0, 27
	s_cbranch_scc0 .LBB86_1318
; %bb.1316:
	global_load_b32 v1, v[2:3], off
	s_mov_b32 s13, 0
	s_wait_loadcnt 0x0
	v_cvt_f32_u32_e32 v1, v1
	s_delay_alu instid0(VALU_DEP_1)
	v_cvt_f16_f32_e32 v7, v1
	s_branch .LBB86_1319
.LBB86_1317:
	s_mov_b32 s13, -1
                                        ; implicit-def: $vgpr7
	s_branch .LBB86_1322
.LBB86_1318:
	s_mov_b32 s13, -1
                                        ; implicit-def: $vgpr7
.LBB86_1319:
	s_delay_alu instid0(SALU_CYCLE_1)
	s_and_not1_b32 vcc_lo, exec_lo, s13
	s_cbranch_vccnz .LBB86_1321
; %bb.1320:
	global_load_u16 v1, v[2:3], off
	s_wait_loadcnt 0x0
	v_cvt_f16_u16_e32 v7, v1
.LBB86_1321:
	s_mov_b32 s13, 0
.LBB86_1322:
	s_delay_alu instid0(SALU_CYCLE_1)
	s_and_not1_b32 vcc_lo, exec_lo, s13
	s_cbranch_vccnz .LBB86_1330
; %bb.1323:
	global_load_u8 v1, v[2:3], off
	s_mov_b32 s13, 0
	s_mov_b32 s14, exec_lo
	s_wait_loadcnt 0x0
	v_cmpx_lt_i16_e32 0x7f, v1
	s_xor_b32 s14, exec_lo, s14
	s_cbranch_execz .LBB86_1344
; %bb.1324:
	s_mov_b32 s13, -1
	s_mov_b32 s15, exec_lo
	v_cmpx_eq_u16_e32 0x80, v1
; %bb.1325:
	s_xor_b32 s13, exec_lo, -1
; %bb.1326:
	s_or_b32 exec_lo, exec_lo, s15
	s_delay_alu instid0(SALU_CYCLE_1)
	s_and_b32 s13, s13, exec_lo
	s_or_saveexec_b32 s14, s14
	v_mov_b32_e32 v7, 0x7e00
	s_xor_b32 exec_lo, exec_lo, s14
	s_cbranch_execnz .LBB86_1345
.LBB86_1327:
	s_or_b32 exec_lo, exec_lo, s14
	s_and_saveexec_b32 s14, s13
	s_cbranch_execz .LBB86_1329
.LBB86_1328:
	v_and_b32_e32 v7, 0xffff, v1
	s_delay_alu instid0(VALU_DEP_1) | instskip(SKIP_1) | instid1(VALU_DEP_2)
	v_and_b32_e32 v8, 7, v7
	v_bfe_u32 v11, v7, 3, 4
	v_clz_i32_u32_e32 v9, v8
	s_delay_alu instid0(VALU_DEP_2) | instskip(NEXT) | instid1(VALU_DEP_2)
	v_cmp_eq_u32_e32 vcc_lo, 0, v11
	v_min_u32_e32 v9, 32, v9
	s_delay_alu instid0(VALU_DEP_1) | instskip(NEXT) | instid1(VALU_DEP_1)
	v_subrev_nc_u32_e32 v10, 28, v9
	v_dual_lshlrev_b32 v7, v10, v7 :: v_dual_sub_nc_u32 v9, 29, v9
	s_delay_alu instid0(VALU_DEP_1) | instskip(NEXT) | instid1(VALU_DEP_1)
	v_dual_lshlrev_b32 v1, 24, v1 :: v_dual_bitop2_b32 v7, 7, v7 bitop3:0x40
	v_dual_cndmask_b32 v7, v8, v7, vcc_lo :: v_dual_cndmask_b32 v9, v11, v9, vcc_lo
	s_delay_alu instid0(VALU_DEP_2) | instskip(NEXT) | instid1(VALU_DEP_2)
	v_and_b32_e32 v1, 0x80000000, v1
	v_lshlrev_b32_e32 v7, 20, v7
	s_delay_alu instid0(VALU_DEP_3) | instskip(NEXT) | instid1(VALU_DEP_1)
	v_lshl_add_u32 v8, v9, 23, 0x3b800000
	v_or3_b32 v1, v1, v8, v7
	s_delay_alu instid0(VALU_DEP_1)
	v_cvt_f16_f32_e32 v7, v1
.LBB86_1329:
	s_or_b32 exec_lo, exec_lo, s14
.LBB86_1330:
	s_mov_b32 s13, -1
.LBB86_1331:
	s_mov_b32 s14, 0
.LBB86_1332:
	s_delay_alu instid0(SALU_CYCLE_1)
	s_and_b32 vcc_lo, exec_lo, s14
	s_cbranch_vccz .LBB86_1365
; %bb.1333:
	s_cmp_gt_i32 s0, 22
	s_cbranch_scc0 .LBB86_1343
; %bb.1334:
	s_cmp_lt_i32 s0, 24
	s_cbranch_scc1 .LBB86_1346
; %bb.1335:
	s_cmp_gt_i32 s0, 24
	s_cbranch_scc0 .LBB86_1347
; %bb.1336:
	global_load_u8 v1, v[2:3], off
	s_mov_b32 s13, exec_lo
	s_wait_loadcnt 0x0
	v_cmpx_lt_i16_e32 0x7f, v1
	s_xor_b32 s13, exec_lo, s13
	s_cbranch_execz .LBB86_1359
; %bb.1337:
	s_mov_b32 s10, -1
	s_mov_b32 s14, exec_lo
	v_cmpx_eq_u16_e32 0x80, v1
; %bb.1338:
	s_xor_b32 s10, exec_lo, -1
; %bb.1339:
	s_or_b32 exec_lo, exec_lo, s14
	s_delay_alu instid0(SALU_CYCLE_1)
	s_and_b32 s10, s10, exec_lo
	s_or_saveexec_b32 s13, s13
	v_mov_b32_e32 v7, 0x7e00
	s_xor_b32 exec_lo, exec_lo, s13
	s_cbranch_execnz .LBB86_1360
.LBB86_1340:
	s_or_b32 exec_lo, exec_lo, s13
	s_and_saveexec_b32 s13, s10
	s_cbranch_execz .LBB86_1342
.LBB86_1341:
	v_and_b32_e32 v7, 0xffff, v1
	s_delay_alu instid0(VALU_DEP_1) | instskip(SKIP_1) | instid1(VALU_DEP_2)
	v_and_b32_e32 v8, 3, v7
	v_bfe_u32 v11, v7, 2, 5
	v_clz_i32_u32_e32 v9, v8
	s_delay_alu instid0(VALU_DEP_2) | instskip(NEXT) | instid1(VALU_DEP_2)
	v_cmp_eq_u32_e32 vcc_lo, 0, v11
	v_min_u32_e32 v9, 32, v9
	s_delay_alu instid0(VALU_DEP_1) | instskip(NEXT) | instid1(VALU_DEP_1)
	v_subrev_nc_u32_e32 v10, 29, v9
	v_dual_lshlrev_b32 v7, v10, v7 :: v_dual_sub_nc_u32 v9, 30, v9
	s_delay_alu instid0(VALU_DEP_1) | instskip(NEXT) | instid1(VALU_DEP_1)
	v_dual_lshlrev_b32 v1, 24, v1 :: v_dual_bitop2_b32 v7, 3, v7 bitop3:0x40
	v_dual_cndmask_b32 v7, v8, v7, vcc_lo :: v_dual_cndmask_b32 v9, v11, v9, vcc_lo
	s_delay_alu instid0(VALU_DEP_2) | instskip(NEXT) | instid1(VALU_DEP_2)
	v_and_b32_e32 v1, 0x80000000, v1
	v_lshlrev_b32_e32 v7, 21, v7
	s_delay_alu instid0(VALU_DEP_3) | instskip(NEXT) | instid1(VALU_DEP_1)
	v_lshl_add_u32 v8, v9, 23, 0x37800000
	v_or3_b32 v1, v1, v8, v7
	s_delay_alu instid0(VALU_DEP_1)
	v_cvt_f16_f32_e32 v7, v1
.LBB86_1342:
	s_or_b32 exec_lo, exec_lo, s13
	s_mov_b32 s10, 0
	s_branch .LBB86_1348
.LBB86_1343:
	s_mov_b32 s10, -1
                                        ; implicit-def: $vgpr7
	s_branch .LBB86_1354
.LBB86_1344:
	s_or_saveexec_b32 s14, s14
	v_mov_b32_e32 v7, 0x7e00
	s_xor_b32 exec_lo, exec_lo, s14
	s_cbranch_execz .LBB86_1327
.LBB86_1345:
	v_cmp_ne_u16_e32 vcc_lo, 0, v1
	v_mov_b32_e32 v7, v1
	s_and_not1_b32 s13, s13, exec_lo
	s_and_b32 s15, vcc_lo, exec_lo
	s_delay_alu instid0(SALU_CYCLE_1)
	s_or_b32 s13, s13, s15
	s_or_b32 exec_lo, exec_lo, s14
	s_and_saveexec_b32 s14, s13
	s_cbranch_execnz .LBB86_1328
	s_branch .LBB86_1329
.LBB86_1346:
	s_mov_b32 s10, -1
                                        ; implicit-def: $vgpr7
	s_branch .LBB86_1351
.LBB86_1347:
	s_mov_b32 s10, -1
                                        ; implicit-def: $vgpr7
.LBB86_1348:
	s_delay_alu instid0(SALU_CYCLE_1)
	s_and_b32 vcc_lo, exec_lo, s10
	s_cbranch_vccz .LBB86_1350
; %bb.1349:
	global_load_u8 v1, v[2:3], off
	s_wait_loadcnt 0x0
	v_lshlrev_b32_e32 v1, 24, v1
	s_delay_alu instid0(VALU_DEP_1) | instskip(NEXT) | instid1(VALU_DEP_1)
	v_and_b32_e32 v7, 0x7f000000, v1
	v_clz_i32_u32_e32 v8, v7
	v_cmp_ne_u32_e32 vcc_lo, 0, v7
	v_add_nc_u32_e32 v10, 0x1000000, v7
	s_delay_alu instid0(VALU_DEP_3) | instskip(NEXT) | instid1(VALU_DEP_1)
	v_min_u32_e32 v8, 32, v8
	v_sub_nc_u32_e64 v8, v8, 4 clamp
	s_delay_alu instid0(VALU_DEP_1) | instskip(NEXT) | instid1(VALU_DEP_1)
	v_dual_lshlrev_b32 v9, v8, v7 :: v_dual_lshlrev_b32 v8, 23, v8
	v_lshrrev_b32_e32 v9, 4, v9
	s_delay_alu instid0(VALU_DEP_1) | instskip(NEXT) | instid1(VALU_DEP_1)
	v_dual_sub_nc_u32 v8, v9, v8 :: v_dual_ashrrev_i32 v9, 8, v10
	v_add_nc_u32_e32 v8, 0x3c000000, v8
	s_delay_alu instid0(VALU_DEP_1) | instskip(NEXT) | instid1(VALU_DEP_1)
	v_and_or_b32 v8, 0x7f800000, v9, v8
	v_cndmask_b32_e32 v7, 0, v8, vcc_lo
	s_delay_alu instid0(VALU_DEP_1) | instskip(NEXT) | instid1(VALU_DEP_1)
	v_and_or_b32 v1, 0x80000000, v1, v7
	v_cvt_f16_f32_e32 v7, v1
.LBB86_1350:
	s_mov_b32 s10, 0
.LBB86_1351:
	s_delay_alu instid0(SALU_CYCLE_1)
	s_and_not1_b32 vcc_lo, exec_lo, s10
	s_cbranch_vccnz .LBB86_1353
; %bb.1352:
	global_load_u8 v1, v[2:3], off
	s_wait_loadcnt 0x0
	v_lshlrev_b32_e32 v7, 25, v1
	v_lshlrev_b16 v1, 8, v1
	s_delay_alu instid0(VALU_DEP_1) | instskip(NEXT) | instid1(VALU_DEP_3)
	v_and_or_b32 v9, 0x7f00, v1, 0.5
	v_lshrrev_b32_e32 v8, 4, v7
	v_bfe_i32 v1, v1, 0, 16
	s_delay_alu instid0(VALU_DEP_3) | instskip(NEXT) | instid1(VALU_DEP_3)
	v_add_f32_e32 v9, -0.5, v9
	v_or_b32_e32 v8, 0x70000000, v8
	s_delay_alu instid0(VALU_DEP_1) | instskip(SKIP_1) | instid1(VALU_DEP_2)
	v_mul_f32_e32 v8, 0x7800000, v8
	v_cmp_gt_u32_e32 vcc_lo, 0x8000000, v7
	v_cndmask_b32_e32 v7, v8, v9, vcc_lo
	s_delay_alu instid0(VALU_DEP_1) | instskip(NEXT) | instid1(VALU_DEP_1)
	v_and_or_b32 v1, 0x80000000, v1, v7
	v_cvt_f16_f32_e32 v7, v1
.LBB86_1353:
	s_mov_b32 s10, 0
	s_mov_b32 s13, -1
.LBB86_1354:
	s_and_not1_b32 vcc_lo, exec_lo, s10
	s_mov_b32 s10, 0
	s_cbranch_vccnz .LBB86_1365
; %bb.1355:
	s_cmp_gt_i32 s0, 14
	s_cbranch_scc0 .LBB86_1358
; %bb.1356:
	s_cmp_eq_u32 s0, 15
	s_cbranch_scc0 .LBB86_1361
; %bb.1357:
	global_load_u16 v1, v[2:3], off
	s_mov_b32 s3, 0
	s_mov_b32 s13, -1
	s_wait_loadcnt 0x0
	v_lshlrev_b32_e32 v1, 16, v1
	s_delay_alu instid0(VALU_DEP_1)
	v_cvt_f16_f32_e32 v7, v1
	s_branch .LBB86_1363
.LBB86_1358:
	s_mov_b32 s10, -1
	s_branch .LBB86_1362
.LBB86_1359:
	s_or_saveexec_b32 s13, s13
	v_mov_b32_e32 v7, 0x7e00
	s_xor_b32 exec_lo, exec_lo, s13
	s_cbranch_execz .LBB86_1340
.LBB86_1360:
	v_cmp_ne_u16_e32 vcc_lo, 0, v1
	v_mov_b32_e32 v7, v1
	s_and_not1_b32 s10, s10, exec_lo
	s_and_b32 s14, vcc_lo, exec_lo
	s_delay_alu instid0(SALU_CYCLE_1)
	s_or_b32 s10, s10, s14
	s_or_b32 exec_lo, exec_lo, s13
	s_and_saveexec_b32 s13, s10
	s_cbranch_execnz .LBB86_1341
	s_branch .LBB86_1342
.LBB86_1361:
	s_mov_b32 s3, -1
.LBB86_1362:
                                        ; implicit-def: $vgpr7
.LBB86_1363:
	s_and_b32 vcc_lo, exec_lo, s10
	s_mov_b32 s10, 0
	s_cbranch_vccz .LBB86_1365
; %bb.1364:
	s_cmp_lg_u32 s0, 11
	s_mov_b32 s10, -1
	s_cselect_b32 s3, -1, 0
.LBB86_1365:
	s_delay_alu instid0(SALU_CYCLE_1)
	s_and_b32 vcc_lo, exec_lo, s3
	s_cbranch_vccnz .LBB86_1428
; %bb.1366:
	s_and_not1_b32 vcc_lo, exec_lo, s10
	s_cbranch_vccnz .LBB86_1368
.LBB86_1367:
	global_load_u8 v1, v[2:3], off
	s_mov_b32 s13, -1
	s_wait_loadcnt 0x0
	v_cmp_ne_u16_e32 vcc_lo, 0, v1
	v_cndmask_b32_e64 v7, 0, 0x3c00, vcc_lo
.LBB86_1368:
	s_branch .LBB86_1295
.LBB86_1369:
	s_cmp_lt_i32 s0, 5
	s_cbranch_scc1 .LBB86_1374
; %bb.1370:
	s_cmp_lt_i32 s0, 8
	s_cbranch_scc1 .LBB86_1375
; %bb.1371:
	;; [unrolled: 3-line block ×3, first 2 shown]
	s_cmp_gt_i32 s0, 9
	s_cbranch_scc0 .LBB86_1377
; %bb.1373:
	global_load_b64 v[8:9], v[2:3], off
	s_mov_b32 s3, 0
	s_wait_loadcnt 0x0
	v_and_or_b32 v1, 0x1ff, v9, v8
	v_lshrrev_b32_e32 v7, 8, v9
	v_bfe_u32 v8, v9, 20, 11
	s_delay_alu instid0(VALU_DEP_3) | instskip(NEXT) | instid1(VALU_DEP_2)
	v_cmp_ne_u32_e32 vcc_lo, 0, v1
	v_sub_nc_u32_e32 v10, 0x3f1, v8
	v_add_nc_u32_e32 v8, 0xfffffc10, v8
	v_cndmask_b32_e64 v1, 0, 1, vcc_lo
	s_delay_alu instid0(VALU_DEP_1) | instskip(NEXT) | instid1(VALU_DEP_4)
	v_and_or_b32 v1, 0xffe, v7, v1
	v_med3_i32 v7, v10, 0, 13
	s_delay_alu instid0(VALU_DEP_2) | instskip(NEXT) | instid1(VALU_DEP_1)
	v_or_b32_e32 v10, 0x1000, v1
	v_lshrrev_b32_e32 v11, v7, v10
	s_delay_alu instid0(VALU_DEP_1) | instskip(NEXT) | instid1(VALU_DEP_1)
	v_lshlrev_b32_e32 v7, v7, v11
	v_cmp_ne_u32_e32 vcc_lo, v7, v10
	v_lshl_or_b32 v10, v8, 12, v1
	v_cndmask_b32_e64 v7, 0, 1, vcc_lo
	v_cmp_gt_i32_e32 vcc_lo, 1, v8
	s_delay_alu instid0(VALU_DEP_2) | instskip(NEXT) | instid1(VALU_DEP_1)
	v_or_b32_e32 v7, v11, v7
	v_cndmask_b32_e32 v7, v10, v7, vcc_lo
	s_delay_alu instid0(VALU_DEP_1) | instskip(NEXT) | instid1(VALU_DEP_1)
	v_dual_lshrrev_b32 v7, 2, v7 :: v_dual_bitop2_b32 v10, 7, v7 bitop3:0x40
	v_cmp_lt_i32_e32 vcc_lo, 5, v10
	v_cndmask_b32_e64 v11, 0, 1, vcc_lo
	v_cmp_eq_u32_e32 vcc_lo, 3, v10
	v_cndmask_b32_e64 v10, 0, 1, vcc_lo
	v_cmp_ne_u32_e32 vcc_lo, 0, v1
	s_delay_alu instid0(VALU_DEP_2) | instskip(SKIP_1) | instid1(VALU_DEP_2)
	v_or_b32_e32 v10, v10, v11
	v_mov_b32_e32 v11, 0x7e00
	v_add_nc_u32_e32 v7, v7, v10
	s_delay_alu instid0(VALU_DEP_2) | instskip(SKIP_1) | instid1(VALU_DEP_3)
	v_cndmask_b32_e32 v1, 0x7c00, v11, vcc_lo
	v_cmp_gt_i32_e32 vcc_lo, 31, v8
	v_cndmask_b32_e32 v7, 0x7c00, v7, vcc_lo
	v_cmp_eq_u32_e32 vcc_lo, 0x40f, v8
	s_delay_alu instid0(VALU_DEP_2) | instskip(SKIP_1) | instid1(VALU_DEP_1)
	v_cndmask_b32_e32 v1, v7, v1, vcc_lo
	v_lshrrev_b32_e32 v7, 16, v9
	v_and_or_b32 v7, 0x8000, v7, v1
	s_branch .LBB86_1378
.LBB86_1374:
	s_mov_b32 s3, -1
                                        ; implicit-def: $vgpr7
	s_branch .LBB86_1396
.LBB86_1375:
	s_mov_b32 s3, -1
                                        ; implicit-def: $vgpr7
	s_branch .LBB86_1384
.LBB86_1376:
	s_mov_b32 s3, -1
                                        ; implicit-def: $vgpr7
	s_branch .LBB86_1381
.LBB86_1377:
	s_mov_b32 s3, -1
                                        ; implicit-def: $vgpr7
.LBB86_1378:
	s_delay_alu instid0(SALU_CYCLE_1)
	s_and_not1_b32 vcc_lo, exec_lo, s3
	s_cbranch_vccnz .LBB86_1380
; %bb.1379:
	global_load_b32 v1, v[2:3], off
	s_wait_loadcnt 0x0
	v_cvt_f16_f32_e32 v7, v1
.LBB86_1380:
	s_mov_b32 s3, 0
.LBB86_1381:
	s_delay_alu instid0(SALU_CYCLE_1)
	s_and_not1_b32 vcc_lo, exec_lo, s3
	s_cbranch_vccnz .LBB86_1383
; %bb.1382:
	global_load_b32 v7, v[2:3], off
.LBB86_1383:
	s_mov_b32 s3, 0
.LBB86_1384:
	s_delay_alu instid0(SALU_CYCLE_1)
	s_and_not1_b32 vcc_lo, exec_lo, s3
	s_cbranch_vccnz .LBB86_1395
; %bb.1385:
	s_cmp_lt_i32 s0, 6
	s_cbranch_scc1 .LBB86_1388
; %bb.1386:
	s_cmp_gt_i32 s0, 6
	s_cbranch_scc0 .LBB86_1389
; %bb.1387:
	global_load_b64 v[8:9], v[2:3], off
	s_mov_b32 s3, 0
	s_wait_loadcnt 0x0
	v_and_or_b32 v1, 0x1ff, v9, v8
	v_lshrrev_b32_e32 v7, 8, v9
	v_bfe_u32 v8, v9, 20, 11
	s_delay_alu instid0(VALU_DEP_3) | instskip(NEXT) | instid1(VALU_DEP_2)
	v_cmp_ne_u32_e32 vcc_lo, 0, v1
	v_sub_nc_u32_e32 v10, 0x3f1, v8
	v_add_nc_u32_e32 v8, 0xfffffc10, v8
	v_cndmask_b32_e64 v1, 0, 1, vcc_lo
	s_delay_alu instid0(VALU_DEP_1) | instskip(NEXT) | instid1(VALU_DEP_4)
	v_and_or_b32 v1, 0xffe, v7, v1
	v_med3_i32 v7, v10, 0, 13
	s_delay_alu instid0(VALU_DEP_2) | instskip(NEXT) | instid1(VALU_DEP_1)
	v_or_b32_e32 v10, 0x1000, v1
	v_lshrrev_b32_e32 v11, v7, v10
	s_delay_alu instid0(VALU_DEP_1) | instskip(NEXT) | instid1(VALU_DEP_1)
	v_lshlrev_b32_e32 v7, v7, v11
	v_cmp_ne_u32_e32 vcc_lo, v7, v10
	v_lshl_or_b32 v10, v8, 12, v1
	v_cndmask_b32_e64 v7, 0, 1, vcc_lo
	v_cmp_gt_i32_e32 vcc_lo, 1, v8
	s_delay_alu instid0(VALU_DEP_2) | instskip(NEXT) | instid1(VALU_DEP_1)
	v_or_b32_e32 v7, v11, v7
	v_cndmask_b32_e32 v7, v10, v7, vcc_lo
	s_delay_alu instid0(VALU_DEP_1) | instskip(NEXT) | instid1(VALU_DEP_1)
	v_dual_lshrrev_b32 v7, 2, v7 :: v_dual_bitop2_b32 v10, 7, v7 bitop3:0x40
	v_cmp_lt_i32_e32 vcc_lo, 5, v10
	v_cndmask_b32_e64 v11, 0, 1, vcc_lo
	v_cmp_eq_u32_e32 vcc_lo, 3, v10
	v_cndmask_b32_e64 v10, 0, 1, vcc_lo
	v_cmp_ne_u32_e32 vcc_lo, 0, v1
	s_delay_alu instid0(VALU_DEP_2) | instskip(SKIP_1) | instid1(VALU_DEP_2)
	v_or_b32_e32 v10, v10, v11
	v_mov_b32_e32 v11, 0x7e00
	v_add_nc_u32_e32 v7, v7, v10
	s_delay_alu instid0(VALU_DEP_2) | instskip(SKIP_1) | instid1(VALU_DEP_3)
	v_cndmask_b32_e32 v1, 0x7c00, v11, vcc_lo
	v_cmp_gt_i32_e32 vcc_lo, 31, v8
	v_cndmask_b32_e32 v7, 0x7c00, v7, vcc_lo
	v_cmp_eq_u32_e32 vcc_lo, 0x40f, v8
	s_delay_alu instid0(VALU_DEP_2) | instskip(SKIP_1) | instid1(VALU_DEP_1)
	v_cndmask_b32_e32 v1, v7, v1, vcc_lo
	v_lshrrev_b32_e32 v7, 16, v9
	v_and_or_b32 v7, 0x8000, v7, v1
	s_branch .LBB86_1390
.LBB86_1388:
	s_mov_b32 s3, -1
                                        ; implicit-def: $vgpr7
	s_branch .LBB86_1393
.LBB86_1389:
	s_mov_b32 s3, -1
                                        ; implicit-def: $vgpr7
.LBB86_1390:
	s_delay_alu instid0(SALU_CYCLE_1)
	s_and_not1_b32 vcc_lo, exec_lo, s3
	s_cbranch_vccnz .LBB86_1392
; %bb.1391:
	global_load_b32 v1, v[2:3], off
	s_wait_loadcnt 0x0
	v_cvt_f16_f32_e32 v7, v1
.LBB86_1392:
	s_mov_b32 s3, 0
.LBB86_1393:
	s_delay_alu instid0(SALU_CYCLE_1)
	s_and_not1_b32 vcc_lo, exec_lo, s3
	s_cbranch_vccnz .LBB86_1395
; %bb.1394:
	s_wait_loadcnt 0x0
	global_load_u16 v7, v[2:3], off
.LBB86_1395:
	s_mov_b32 s3, 0
.LBB86_1396:
	s_delay_alu instid0(SALU_CYCLE_1)
	s_and_not1_b32 vcc_lo, exec_lo, s3
	s_cbranch_vccnz .LBB86_1416
; %bb.1397:
	s_cmp_lt_i32 s0, 2
	s_cbranch_scc1 .LBB86_1401
; %bb.1398:
	s_cmp_lt_i32 s0, 3
	s_cbranch_scc1 .LBB86_1402
; %bb.1399:
	s_cmp_gt_i32 s0, 3
	s_cbranch_scc0 .LBB86_1403
; %bb.1400:
	global_load_b64 v[8:9], v[2:3], off
	s_mov_b32 s3, 0
	s_wait_loadcnt 0x0
	v_xor_b32_e32 v1, v8, v9
	v_cls_i32_e32 v7, v9
	s_delay_alu instid0(VALU_DEP_2) | instskip(NEXT) | instid1(VALU_DEP_1)
	v_ashrrev_i32_e32 v1, 31, v1
	v_add_nc_u32_e32 v1, 32, v1
	s_delay_alu instid0(VALU_DEP_1) | instskip(NEXT) | instid1(VALU_DEP_1)
	v_add_min_u32_e64 v1, v7, -1, v1
	v_lshlrev_b64_e32 v[8:9], v1, v[8:9]
	v_sub_nc_u32_e32 v1, 32, v1
	s_delay_alu instid0(VALU_DEP_2) | instskip(NEXT) | instid1(VALU_DEP_1)
	v_min_u32_e32 v7, 1, v8
	v_or_b32_e32 v7, v9, v7
	s_delay_alu instid0(VALU_DEP_1) | instskip(NEXT) | instid1(VALU_DEP_1)
	v_cvt_f32_i32_e32 v7, v7
	v_ldexp_f32 v1, v7, v1
	s_delay_alu instid0(VALU_DEP_1)
	v_cvt_f16_f32_e32 v7, v1
	s_branch .LBB86_1404
.LBB86_1401:
	s_mov_b32 s3, -1
                                        ; implicit-def: $vgpr7
	s_branch .LBB86_1410
.LBB86_1402:
	s_mov_b32 s3, -1
                                        ; implicit-def: $vgpr7
	s_branch .LBB86_1407
.LBB86_1403:
	s_mov_b32 s3, -1
                                        ; implicit-def: $vgpr7
.LBB86_1404:
	s_delay_alu instid0(SALU_CYCLE_1)
	s_and_not1_b32 vcc_lo, exec_lo, s3
	s_cbranch_vccnz .LBB86_1406
; %bb.1405:
	global_load_b32 v1, v[2:3], off
	s_wait_loadcnt 0x0
	v_cvt_f32_i32_e32 v1, v1
	s_delay_alu instid0(VALU_DEP_1)
	v_cvt_f16_f32_e32 v7, v1
.LBB86_1406:
	s_mov_b32 s3, 0
.LBB86_1407:
	s_delay_alu instid0(SALU_CYCLE_1)
	s_and_not1_b32 vcc_lo, exec_lo, s3
	s_cbranch_vccnz .LBB86_1409
; %bb.1408:
	global_load_u16 v1, v[2:3], off
	s_wait_loadcnt 0x0
	v_cvt_f16_i16_e32 v7, v1
.LBB86_1409:
	s_mov_b32 s3, 0
.LBB86_1410:
	s_delay_alu instid0(SALU_CYCLE_1)
	s_and_not1_b32 vcc_lo, exec_lo, s3
	s_cbranch_vccnz .LBB86_1416
; %bb.1411:
	s_cmp_gt_i32 s0, 0
	s_mov_b32 s3, 0
	s_cbranch_scc0 .LBB86_1413
; %bb.1412:
	global_load_i8 v1, v[2:3], off
	s_wait_loadcnt 0x0
	v_cvt_f16_i16_e32 v7, v1
	s_branch .LBB86_1414
.LBB86_1413:
	s_mov_b32 s3, -1
                                        ; implicit-def: $vgpr7
.LBB86_1414:
	s_delay_alu instid0(SALU_CYCLE_1)
	s_and_not1_b32 vcc_lo, exec_lo, s3
	s_cbranch_vccnz .LBB86_1416
; %bb.1415:
	global_load_u8 v1, v[2:3], off
	s_wait_loadcnt 0x0
	v_cvt_f16_u16_e32 v7, v1
.LBB86_1416:
.LBB86_1417:
	v_add_nc_u32_e32 v0, s1, v0
	s_cmp_lt_i32 s0, 11
	s_delay_alu instid0(VALU_DEP_1) | instskip(NEXT) | instid1(VALU_DEP_1)
	v_ashrrev_i32_e32 v1, 31, v0
	v_add_nc_u64_e32 v[0:1], s[6:7], v[0:1]
	s_cbranch_scc1 .LBB86_1424
; %bb.1418:
	s_cmp_gt_i32 s0, 25
	s_mov_b32 s3, 0
	s_cbranch_scc0 .LBB86_1425
; %bb.1419:
	s_cmp_gt_i32 s0, 28
	s_cbranch_scc0 .LBB86_1426
; %bb.1420:
	s_cmp_gt_i32 s0, 43
	;; [unrolled: 3-line block ×3, first 2 shown]
	s_cbranch_scc0 .LBB86_1429
; %bb.1422:
	s_cmp_eq_u32 s0, 46
	s_mov_b32 s7, 0
	s_cbranch_scc0 .LBB86_1430
; %bb.1423:
	global_load_b32 v2, v[0:1], off
	s_mov_b32 s1, 0
	s_mov_b32 s6, -1
	s_wait_loadcnt 0x0
	v_lshlrev_b32_e32 v2, 16, v2
	s_delay_alu instid0(VALU_DEP_1)
	v_cvt_f16_f32_e32 v8, v2
	s_branch .LBB86_1432
.LBB86_1424:
	s_mov_b32 s1, -1
	s_mov_b32 s6, 0
                                        ; implicit-def: $vgpr8
	s_branch .LBB86_1498
.LBB86_1425:
	s_mov_b32 s7, -1
	s_mov_b32 s6, 0
	s_mov_b32 s1, 0
                                        ; implicit-def: $vgpr8
	s_branch .LBB86_1461
.LBB86_1426:
	s_mov_b32 s7, -1
	s_mov_b32 s6, 0
	s_mov_b32 s1, 0
                                        ; implicit-def: $vgpr8
	s_branch .LBB86_1442
.LBB86_1427:
	s_mov_b32 s7, -1
	s_mov_b32 s6, 0
	s_mov_b32 s1, 0
                                        ; implicit-def: $vgpr8
	s_branch .LBB86_1437
.LBB86_1428:
	s_or_b32 s9, s9, exec_lo
	s_trap 2
	s_cbranch_execz .LBB86_1367
	s_branch .LBB86_1368
.LBB86_1429:
	s_mov_b32 s7, -1
	s_mov_b32 s6, 0
	s_mov_b32 s1, 0
	s_branch .LBB86_1431
.LBB86_1430:
	s_mov_b32 s1, -1
	s_mov_b32 s6, 0
.LBB86_1431:
                                        ; implicit-def: $vgpr8
.LBB86_1432:
	s_and_b32 vcc_lo, exec_lo, s7
	s_cbranch_vccz .LBB86_1436
; %bb.1433:
	s_cmp_eq_u32 s0, 44
	s_cbranch_scc0 .LBB86_1435
; %bb.1434:
	global_load_u8 v2, v[0:1], off
	s_mov_b32 s1, 0
	s_mov_b32 s6, -1
	s_wait_loadcnt 0x0
	v_lshlrev_b32_e32 v3, 23, v2
	v_cmp_ne_u32_e32 vcc_lo, 0xff, v2
	s_delay_alu instid0(VALU_DEP_2) | instskip(NEXT) | instid1(VALU_DEP_1)
	v_cvt_f16_f32_e32 v3, v3
	v_cndmask_b32_e32 v3, 0x7e00, v3, vcc_lo
	v_cmp_ne_u32_e32 vcc_lo, 0, v2
	s_delay_alu instid0(VALU_DEP_2)
	v_cndmask_b32_e32 v8, 0, v3, vcc_lo
	s_branch .LBB86_1436
.LBB86_1435:
	s_mov_b32 s1, -1
                                        ; implicit-def: $vgpr8
.LBB86_1436:
	s_mov_b32 s7, 0
.LBB86_1437:
	s_delay_alu instid0(SALU_CYCLE_1)
	s_and_b32 vcc_lo, exec_lo, s7
	s_cbranch_vccz .LBB86_1441
; %bb.1438:
	s_cmp_eq_u32 s0, 29
	s_cbranch_scc0 .LBB86_1440
; %bb.1439:
	global_load_b64 v[2:3], v[0:1], off
	s_mov_b32 s1, 0
	s_mov_b32 s6, -1
	s_mov_b32 s7, 0
	s_wait_loadcnt 0x0
	v_clz_i32_u32_e32 v8, v3
	s_delay_alu instid0(VALU_DEP_1) | instskip(NEXT) | instid1(VALU_DEP_1)
	v_min_u32_e32 v8, 32, v8
	v_lshlrev_b64_e32 v[2:3], v8, v[2:3]
	s_delay_alu instid0(VALU_DEP_1) | instskip(NEXT) | instid1(VALU_DEP_1)
	v_min_u32_e32 v2, 1, v2
	v_dual_sub_nc_u32 v3, 32, v8 :: v_dual_bitop2_b32 v2, v3, v2 bitop3:0x54
	s_delay_alu instid0(VALU_DEP_1) | instskip(NEXT) | instid1(VALU_DEP_1)
	v_cvt_f32_u32_e32 v2, v2
	v_ldexp_f32 v2, v2, v3
	s_delay_alu instid0(VALU_DEP_1)
	v_cvt_f16_f32_e32 v8, v2
	s_branch .LBB86_1442
.LBB86_1440:
	s_mov_b32 s1, -1
                                        ; implicit-def: $vgpr8
.LBB86_1441:
	s_mov_b32 s7, 0
.LBB86_1442:
	s_delay_alu instid0(SALU_CYCLE_1)
	s_and_b32 vcc_lo, exec_lo, s7
	s_cbranch_vccz .LBB86_1460
; %bb.1443:
	s_cmp_lt_i32 s0, 27
	s_cbranch_scc1 .LBB86_1446
; %bb.1444:
	s_cmp_gt_i32 s0, 27
	s_cbranch_scc0 .LBB86_1447
; %bb.1445:
	global_load_b32 v2, v[0:1], off
	s_mov_b32 s6, 0
	s_wait_loadcnt 0x0
	v_cvt_f32_u32_e32 v2, v2
	s_delay_alu instid0(VALU_DEP_1)
	v_cvt_f16_f32_e32 v8, v2
	s_branch .LBB86_1448
.LBB86_1446:
	s_mov_b32 s6, -1
                                        ; implicit-def: $vgpr8
	s_branch .LBB86_1451
.LBB86_1447:
	s_mov_b32 s6, -1
                                        ; implicit-def: $vgpr8
.LBB86_1448:
	s_delay_alu instid0(SALU_CYCLE_1)
	s_and_not1_b32 vcc_lo, exec_lo, s6
	s_cbranch_vccnz .LBB86_1450
; %bb.1449:
	global_load_u16 v2, v[0:1], off
	s_wait_loadcnt 0x0
	v_cvt_f16_u16_e32 v8, v2
.LBB86_1450:
	s_mov_b32 s6, 0
.LBB86_1451:
	s_delay_alu instid0(SALU_CYCLE_1)
	s_and_not1_b32 vcc_lo, exec_lo, s6
	s_cbranch_vccnz .LBB86_1459
; %bb.1452:
	global_load_u8 v2, v[0:1], off
	s_mov_b32 s6, 0
	s_mov_b32 s7, exec_lo
	s_wait_loadcnt 0x0
	v_cmpx_lt_i16_e32 0x7f, v2
	s_xor_b32 s7, exec_lo, s7
	s_cbranch_execz .LBB86_1473
; %bb.1453:
	s_mov_b32 s6, -1
	s_mov_b32 s10, exec_lo
	v_cmpx_eq_u16_e32 0x80, v2
; %bb.1454:
	s_xor_b32 s6, exec_lo, -1
; %bb.1455:
	s_or_b32 exec_lo, exec_lo, s10
	s_delay_alu instid0(SALU_CYCLE_1)
	s_and_b32 s6, s6, exec_lo
	s_or_saveexec_b32 s7, s7
	v_mov_b32_e32 v8, 0x7e00
	s_xor_b32 exec_lo, exec_lo, s7
	s_cbranch_execnz .LBB86_1474
.LBB86_1456:
	s_or_b32 exec_lo, exec_lo, s7
	s_and_saveexec_b32 s7, s6
	s_cbranch_execz .LBB86_1458
.LBB86_1457:
	v_and_b32_e32 v3, 0xffff, v2
	s_delay_alu instid0(VALU_DEP_1) | instskip(SKIP_1) | instid1(VALU_DEP_2)
	v_and_b32_e32 v8, 7, v3
	v_bfe_u32 v11, v3, 3, 4
	v_clz_i32_u32_e32 v9, v8
	s_delay_alu instid0(VALU_DEP_2) | instskip(NEXT) | instid1(VALU_DEP_2)
	v_cmp_eq_u32_e32 vcc_lo, 0, v11
	v_min_u32_e32 v9, 32, v9
	s_delay_alu instid0(VALU_DEP_1) | instskip(NEXT) | instid1(VALU_DEP_1)
	v_subrev_nc_u32_e32 v10, 28, v9
	v_dual_lshlrev_b32 v3, v10, v3 :: v_dual_sub_nc_u32 v9, 29, v9
	s_delay_alu instid0(VALU_DEP_1) | instskip(NEXT) | instid1(VALU_DEP_1)
	v_dual_lshlrev_b32 v2, 24, v2 :: v_dual_bitop2_b32 v3, 7, v3 bitop3:0x40
	v_dual_cndmask_b32 v9, v11, v9, vcc_lo :: v_dual_cndmask_b32 v3, v8, v3, vcc_lo
	s_delay_alu instid0(VALU_DEP_2) | instskip(NEXT) | instid1(VALU_DEP_2)
	v_and_b32_e32 v2, 0x80000000, v2
	v_lshl_add_u32 v8, v9, 23, 0x3b800000
	s_delay_alu instid0(VALU_DEP_3) | instskip(NEXT) | instid1(VALU_DEP_1)
	v_lshlrev_b32_e32 v3, 20, v3
	v_or3_b32 v2, v2, v8, v3
	s_delay_alu instid0(VALU_DEP_1)
	v_cvt_f16_f32_e32 v8, v2
.LBB86_1458:
	s_or_b32 exec_lo, exec_lo, s7
.LBB86_1459:
	s_mov_b32 s6, -1
.LBB86_1460:
	s_mov_b32 s7, 0
.LBB86_1461:
	s_delay_alu instid0(SALU_CYCLE_1)
	s_and_b32 vcc_lo, exec_lo, s7
	s_cbranch_vccz .LBB86_1494
; %bb.1462:
	s_cmp_gt_i32 s0, 22
	s_cbranch_scc0 .LBB86_1472
; %bb.1463:
	s_cmp_lt_i32 s0, 24
	s_cbranch_scc1 .LBB86_1475
; %bb.1464:
	s_cmp_gt_i32 s0, 24
	s_cbranch_scc0 .LBB86_1476
; %bb.1465:
	global_load_u8 v2, v[0:1], off
	s_mov_b32 s6, exec_lo
	s_wait_loadcnt 0x0
	v_cmpx_lt_i16_e32 0x7f, v2
	s_xor_b32 s6, exec_lo, s6
	s_cbranch_execz .LBB86_1488
; %bb.1466:
	s_mov_b32 s3, -1
	s_mov_b32 s7, exec_lo
	v_cmpx_eq_u16_e32 0x80, v2
; %bb.1467:
	s_xor_b32 s3, exec_lo, -1
; %bb.1468:
	s_or_b32 exec_lo, exec_lo, s7
	s_delay_alu instid0(SALU_CYCLE_1)
	s_and_b32 s3, s3, exec_lo
	s_or_saveexec_b32 s6, s6
	v_mov_b32_e32 v8, 0x7e00
	s_xor_b32 exec_lo, exec_lo, s6
	s_cbranch_execnz .LBB86_1489
.LBB86_1469:
	s_or_b32 exec_lo, exec_lo, s6
	s_and_saveexec_b32 s6, s3
	s_cbranch_execz .LBB86_1471
.LBB86_1470:
	v_and_b32_e32 v3, 0xffff, v2
	s_delay_alu instid0(VALU_DEP_1) | instskip(SKIP_1) | instid1(VALU_DEP_2)
	v_and_b32_e32 v8, 3, v3
	v_bfe_u32 v11, v3, 2, 5
	v_clz_i32_u32_e32 v9, v8
	s_delay_alu instid0(VALU_DEP_2) | instskip(NEXT) | instid1(VALU_DEP_2)
	v_cmp_eq_u32_e32 vcc_lo, 0, v11
	v_min_u32_e32 v9, 32, v9
	s_delay_alu instid0(VALU_DEP_1) | instskip(NEXT) | instid1(VALU_DEP_1)
	v_subrev_nc_u32_e32 v10, 29, v9
	v_dual_lshlrev_b32 v3, v10, v3 :: v_dual_sub_nc_u32 v9, 30, v9
	s_delay_alu instid0(VALU_DEP_1) | instskip(NEXT) | instid1(VALU_DEP_1)
	v_dual_lshlrev_b32 v2, 24, v2 :: v_dual_bitop2_b32 v3, 3, v3 bitop3:0x40
	v_dual_cndmask_b32 v9, v11, v9, vcc_lo :: v_dual_cndmask_b32 v3, v8, v3, vcc_lo
	s_delay_alu instid0(VALU_DEP_2) | instskip(NEXT) | instid1(VALU_DEP_2)
	v_and_b32_e32 v2, 0x80000000, v2
	v_lshl_add_u32 v8, v9, 23, 0x37800000
	s_delay_alu instid0(VALU_DEP_3) | instskip(NEXT) | instid1(VALU_DEP_1)
	v_lshlrev_b32_e32 v3, 21, v3
	v_or3_b32 v2, v2, v8, v3
	s_delay_alu instid0(VALU_DEP_1)
	v_cvt_f16_f32_e32 v8, v2
.LBB86_1471:
	s_or_b32 exec_lo, exec_lo, s6
	s_mov_b32 s3, 0
	s_branch .LBB86_1477
.LBB86_1472:
	s_mov_b32 s3, -1
                                        ; implicit-def: $vgpr8
	s_branch .LBB86_1483
.LBB86_1473:
	s_or_saveexec_b32 s7, s7
	v_mov_b32_e32 v8, 0x7e00
	s_xor_b32 exec_lo, exec_lo, s7
	s_cbranch_execz .LBB86_1456
.LBB86_1474:
	v_cmp_ne_u16_e32 vcc_lo, 0, v2
	v_mov_b32_e32 v8, v2
	s_and_not1_b32 s6, s6, exec_lo
	s_and_b32 s10, vcc_lo, exec_lo
	s_delay_alu instid0(SALU_CYCLE_1)
	s_or_b32 s6, s6, s10
	s_or_b32 exec_lo, exec_lo, s7
	s_and_saveexec_b32 s7, s6
	s_cbranch_execnz .LBB86_1457
	s_branch .LBB86_1458
.LBB86_1475:
	s_mov_b32 s3, -1
                                        ; implicit-def: $vgpr8
	s_branch .LBB86_1480
.LBB86_1476:
	s_mov_b32 s3, -1
                                        ; implicit-def: $vgpr8
.LBB86_1477:
	s_delay_alu instid0(SALU_CYCLE_1)
	s_and_b32 vcc_lo, exec_lo, s3
	s_cbranch_vccz .LBB86_1479
; %bb.1478:
	global_load_u8 v2, v[0:1], off
	s_wait_loadcnt 0x0
	v_lshlrev_b32_e32 v2, 24, v2
	s_delay_alu instid0(VALU_DEP_1) | instskip(NEXT) | instid1(VALU_DEP_1)
	v_and_b32_e32 v3, 0x7f000000, v2
	v_clz_i32_u32_e32 v8, v3
	v_cmp_ne_u32_e32 vcc_lo, 0, v3
	v_add_nc_u32_e32 v10, 0x1000000, v3
	s_delay_alu instid0(VALU_DEP_3) | instskip(NEXT) | instid1(VALU_DEP_1)
	v_min_u32_e32 v8, 32, v8
	v_sub_nc_u32_e64 v8, v8, 4 clamp
	s_delay_alu instid0(VALU_DEP_1) | instskip(NEXT) | instid1(VALU_DEP_1)
	v_dual_lshlrev_b32 v9, v8, v3 :: v_dual_lshlrev_b32 v8, 23, v8
	v_lshrrev_b32_e32 v9, 4, v9
	s_delay_alu instid0(VALU_DEP_1) | instskip(NEXT) | instid1(VALU_DEP_1)
	v_dual_sub_nc_u32 v8, v9, v8 :: v_dual_ashrrev_i32 v9, 8, v10
	v_add_nc_u32_e32 v8, 0x3c000000, v8
	s_delay_alu instid0(VALU_DEP_1) | instskip(NEXT) | instid1(VALU_DEP_1)
	v_and_or_b32 v8, 0x7f800000, v9, v8
	v_cndmask_b32_e32 v3, 0, v8, vcc_lo
	s_delay_alu instid0(VALU_DEP_1) | instskip(NEXT) | instid1(VALU_DEP_1)
	v_and_or_b32 v2, 0x80000000, v2, v3
	v_cvt_f16_f32_e32 v8, v2
.LBB86_1479:
	s_mov_b32 s3, 0
.LBB86_1480:
	s_delay_alu instid0(SALU_CYCLE_1)
	s_and_not1_b32 vcc_lo, exec_lo, s3
	s_cbranch_vccnz .LBB86_1482
; %bb.1481:
	global_load_u8 v2, v[0:1], off
	s_wait_loadcnt 0x0
	v_lshlrev_b32_e32 v3, 25, v2
	v_lshlrev_b16 v2, 8, v2
	s_delay_alu instid0(VALU_DEP_1) | instskip(SKIP_1) | instid1(VALU_DEP_2)
	v_and_or_b32 v9, 0x7f00, v2, 0.5
	v_bfe_i32 v2, v2, 0, 16
	v_dual_add_f32 v9, -0.5, v9 :: v_dual_lshrrev_b32 v8, 4, v3
	v_cmp_gt_u32_e32 vcc_lo, 0x8000000, v3
	s_delay_alu instid0(VALU_DEP_2) | instskip(NEXT) | instid1(VALU_DEP_1)
	v_or_b32_e32 v8, 0x70000000, v8
	v_mul_f32_e32 v8, 0x7800000, v8
	s_delay_alu instid0(VALU_DEP_1) | instskip(NEXT) | instid1(VALU_DEP_1)
	v_cndmask_b32_e32 v3, v8, v9, vcc_lo
	v_and_or_b32 v2, 0x80000000, v2, v3
	s_delay_alu instid0(VALU_DEP_1)
	v_cvt_f16_f32_e32 v8, v2
.LBB86_1482:
	s_mov_b32 s3, 0
	s_mov_b32 s6, -1
.LBB86_1483:
	s_and_not1_b32 vcc_lo, exec_lo, s3
	s_mov_b32 s3, 0
	s_cbranch_vccnz .LBB86_1494
; %bb.1484:
	s_cmp_gt_i32 s0, 14
	s_cbranch_scc0 .LBB86_1487
; %bb.1485:
	s_cmp_eq_u32 s0, 15
	s_cbranch_scc0 .LBB86_1490
; %bb.1486:
	global_load_u16 v2, v[0:1], off
	s_mov_b32 s1, 0
	s_mov_b32 s6, -1
	s_wait_loadcnt 0x0
	v_lshlrev_b32_e32 v2, 16, v2
	s_delay_alu instid0(VALU_DEP_1)
	v_cvt_f16_f32_e32 v8, v2
	s_branch .LBB86_1492
.LBB86_1487:
	s_mov_b32 s3, -1
	s_branch .LBB86_1491
.LBB86_1488:
	s_or_saveexec_b32 s6, s6
	v_mov_b32_e32 v8, 0x7e00
	s_xor_b32 exec_lo, exec_lo, s6
	s_cbranch_execz .LBB86_1469
.LBB86_1489:
	v_cmp_ne_u16_e32 vcc_lo, 0, v2
	v_mov_b32_e32 v8, v2
	s_and_not1_b32 s3, s3, exec_lo
	s_and_b32 s7, vcc_lo, exec_lo
	s_delay_alu instid0(SALU_CYCLE_1)
	s_or_b32 s3, s3, s7
	s_or_b32 exec_lo, exec_lo, s6
	s_and_saveexec_b32 s6, s3
	s_cbranch_execnz .LBB86_1470
	s_branch .LBB86_1471
.LBB86_1490:
	s_mov_b32 s1, -1
.LBB86_1491:
                                        ; implicit-def: $vgpr8
.LBB86_1492:
	s_and_b32 vcc_lo, exec_lo, s3
	s_mov_b32 s3, 0
	s_cbranch_vccz .LBB86_1494
; %bb.1493:
	s_cmp_lg_u32 s0, 11
	s_mov_b32 s3, -1
	s_cselect_b32 s1, -1, 0
.LBB86_1494:
	s_delay_alu instid0(SALU_CYCLE_1)
	s_and_b32 vcc_lo, exec_lo, s1
	s_cbranch_vccnz .LBB86_2027
; %bb.1495:
	s_and_not1_b32 vcc_lo, exec_lo, s3
	s_cbranch_vccnz .LBB86_1497
.LBB86_1496:
	global_load_u8 v2, v[0:1], off
	s_mov_b32 s6, -1
	s_wait_loadcnt 0x0
	v_cmp_ne_u16_e32 vcc_lo, 0, v2
	v_cndmask_b32_e64 v8, 0, 0x3c00, vcc_lo
.LBB86_1497:
	s_mov_b32 s1, 0
.LBB86_1498:
	s_delay_alu instid0(SALU_CYCLE_1)
	s_and_b32 vcc_lo, exec_lo, s1
	s_cbranch_vccz .LBB86_1547
; %bb.1499:
	s_cmp_lt_i32 s0, 5
	s_cbranch_scc1 .LBB86_1504
; %bb.1500:
	s_cmp_lt_i32 s0, 8
	s_cbranch_scc1 .LBB86_1505
	;; [unrolled: 3-line block ×3, first 2 shown]
; %bb.1502:
	s_cmp_gt_i32 s0, 9
	s_cbranch_scc0 .LBB86_1507
; %bb.1503:
	global_load_b64 v[2:3], v[0:1], off
	s_mov_b32 s1, 0
	s_wait_loadcnt 0x0
	v_and_or_b32 v2, 0x1ff, v3, v2
	v_lshrrev_b32_e32 v8, 8, v3
	v_bfe_u32 v9, v3, 20, 11
	v_lshrrev_b32_e32 v3, 16, v3
	s_delay_alu instid0(VALU_DEP_4) | instskip(NEXT) | instid1(VALU_DEP_3)
	v_cmp_ne_u32_e32 vcc_lo, 0, v2
	v_sub_nc_u32_e32 v10, 0x3f1, v9
	v_add_nc_u32_e32 v9, 0xfffffc10, v9
	v_cndmask_b32_e64 v2, 0, 1, vcc_lo
	s_delay_alu instid0(VALU_DEP_1) | instskip(NEXT) | instid1(VALU_DEP_4)
	v_and_or_b32 v2, 0xffe, v8, v2
	v_med3_i32 v8, v10, 0, 13
	s_delay_alu instid0(VALU_DEP_2) | instskip(NEXT) | instid1(VALU_DEP_1)
	v_or_b32_e32 v10, 0x1000, v2
	v_lshrrev_b32_e32 v11, v8, v10
	s_delay_alu instid0(VALU_DEP_1) | instskip(NEXT) | instid1(VALU_DEP_1)
	v_lshlrev_b32_e32 v8, v8, v11
	v_cmp_ne_u32_e32 vcc_lo, v8, v10
	v_lshl_or_b32 v10, v9, 12, v2
	v_cndmask_b32_e64 v8, 0, 1, vcc_lo
	v_cmp_gt_i32_e32 vcc_lo, 1, v9
	s_delay_alu instid0(VALU_DEP_2) | instskip(NEXT) | instid1(VALU_DEP_1)
	v_or_b32_e32 v8, v11, v8
	v_cndmask_b32_e32 v8, v10, v8, vcc_lo
	s_delay_alu instid0(VALU_DEP_1) | instskip(NEXT) | instid1(VALU_DEP_1)
	v_dual_lshrrev_b32 v8, 2, v8 :: v_dual_bitop2_b32 v10, 7, v8 bitop3:0x40
	v_cmp_lt_i32_e32 vcc_lo, 5, v10
	v_cndmask_b32_e64 v11, 0, 1, vcc_lo
	v_cmp_eq_u32_e32 vcc_lo, 3, v10
	v_cndmask_b32_e64 v10, 0, 1, vcc_lo
	v_cmp_ne_u32_e32 vcc_lo, 0, v2
	s_delay_alu instid0(VALU_DEP_2) | instskip(NEXT) | instid1(VALU_DEP_1)
	v_or_b32_e32 v10, v10, v11
	v_dual_mov_b32 v11, 0x7e00 :: v_dual_add_nc_u32 v8, v8, v10
	s_delay_alu instid0(VALU_DEP_1) | instskip(SKIP_1) | instid1(VALU_DEP_3)
	v_cndmask_b32_e32 v2, 0x7c00, v11, vcc_lo
	v_cmp_gt_i32_e32 vcc_lo, 31, v9
	v_cndmask_b32_e32 v8, 0x7c00, v8, vcc_lo
	v_cmp_eq_u32_e32 vcc_lo, 0x40f, v9
	s_delay_alu instid0(VALU_DEP_2) | instskip(NEXT) | instid1(VALU_DEP_1)
	v_cndmask_b32_e32 v2, v8, v2, vcc_lo
	v_and_or_b32 v8, 0x8000, v3, v2
	s_branch .LBB86_1508
.LBB86_1504:
	s_mov_b32 s1, -1
                                        ; implicit-def: $vgpr8
	s_branch .LBB86_1526
.LBB86_1505:
	s_mov_b32 s1, -1
                                        ; implicit-def: $vgpr8
	s_branch .LBB86_1514
.LBB86_1506:
	s_mov_b32 s1, -1
                                        ; implicit-def: $vgpr8
	s_branch .LBB86_1511
.LBB86_1507:
	s_mov_b32 s1, -1
                                        ; implicit-def: $vgpr8
.LBB86_1508:
	s_delay_alu instid0(SALU_CYCLE_1)
	s_and_not1_b32 vcc_lo, exec_lo, s1
	s_cbranch_vccnz .LBB86_1510
; %bb.1509:
	global_load_b32 v2, v[0:1], off
	s_wait_loadcnt 0x0
	v_cvt_f16_f32_e32 v8, v2
.LBB86_1510:
	s_mov_b32 s1, 0
.LBB86_1511:
	s_delay_alu instid0(SALU_CYCLE_1)
	s_and_not1_b32 vcc_lo, exec_lo, s1
	s_cbranch_vccnz .LBB86_1513
; %bb.1512:
	global_load_b32 v8, v[0:1], off
.LBB86_1513:
	s_mov_b32 s1, 0
.LBB86_1514:
	s_delay_alu instid0(SALU_CYCLE_1)
	s_and_not1_b32 vcc_lo, exec_lo, s1
	s_cbranch_vccnz .LBB86_1525
; %bb.1515:
	s_cmp_lt_i32 s0, 6
	s_cbranch_scc1 .LBB86_1518
; %bb.1516:
	s_cmp_gt_i32 s0, 6
	s_cbranch_scc0 .LBB86_1519
; %bb.1517:
	global_load_b64 v[2:3], v[0:1], off
	s_mov_b32 s1, 0
	s_wait_loadcnt 0x0
	v_and_or_b32 v2, 0x1ff, v3, v2
	v_lshrrev_b32_e32 v8, 8, v3
	v_bfe_u32 v9, v3, 20, 11
	v_lshrrev_b32_e32 v3, 16, v3
	s_delay_alu instid0(VALU_DEP_4) | instskip(NEXT) | instid1(VALU_DEP_3)
	v_cmp_ne_u32_e32 vcc_lo, 0, v2
	v_sub_nc_u32_e32 v10, 0x3f1, v9
	v_add_nc_u32_e32 v9, 0xfffffc10, v9
	v_cndmask_b32_e64 v2, 0, 1, vcc_lo
	s_delay_alu instid0(VALU_DEP_1) | instskip(NEXT) | instid1(VALU_DEP_4)
	v_and_or_b32 v2, 0xffe, v8, v2
	v_med3_i32 v8, v10, 0, 13
	s_delay_alu instid0(VALU_DEP_2) | instskip(NEXT) | instid1(VALU_DEP_1)
	v_or_b32_e32 v10, 0x1000, v2
	v_lshrrev_b32_e32 v11, v8, v10
	s_delay_alu instid0(VALU_DEP_1) | instskip(NEXT) | instid1(VALU_DEP_1)
	v_lshlrev_b32_e32 v8, v8, v11
	v_cmp_ne_u32_e32 vcc_lo, v8, v10
	v_lshl_or_b32 v10, v9, 12, v2
	v_cndmask_b32_e64 v8, 0, 1, vcc_lo
	v_cmp_gt_i32_e32 vcc_lo, 1, v9
	s_delay_alu instid0(VALU_DEP_2) | instskip(NEXT) | instid1(VALU_DEP_1)
	v_or_b32_e32 v8, v11, v8
	v_cndmask_b32_e32 v8, v10, v8, vcc_lo
	s_delay_alu instid0(VALU_DEP_1) | instskip(NEXT) | instid1(VALU_DEP_1)
	v_dual_lshrrev_b32 v8, 2, v8 :: v_dual_bitop2_b32 v10, 7, v8 bitop3:0x40
	v_cmp_lt_i32_e32 vcc_lo, 5, v10
	v_cndmask_b32_e64 v11, 0, 1, vcc_lo
	v_cmp_eq_u32_e32 vcc_lo, 3, v10
	v_cndmask_b32_e64 v10, 0, 1, vcc_lo
	v_cmp_ne_u32_e32 vcc_lo, 0, v2
	s_delay_alu instid0(VALU_DEP_2) | instskip(NEXT) | instid1(VALU_DEP_1)
	v_or_b32_e32 v10, v10, v11
	v_dual_mov_b32 v11, 0x7e00 :: v_dual_add_nc_u32 v8, v8, v10
	s_delay_alu instid0(VALU_DEP_1) | instskip(SKIP_1) | instid1(VALU_DEP_3)
	v_cndmask_b32_e32 v2, 0x7c00, v11, vcc_lo
	v_cmp_gt_i32_e32 vcc_lo, 31, v9
	v_cndmask_b32_e32 v8, 0x7c00, v8, vcc_lo
	v_cmp_eq_u32_e32 vcc_lo, 0x40f, v9
	s_delay_alu instid0(VALU_DEP_2) | instskip(NEXT) | instid1(VALU_DEP_1)
	v_cndmask_b32_e32 v2, v8, v2, vcc_lo
	v_and_or_b32 v8, 0x8000, v3, v2
	s_branch .LBB86_1520
.LBB86_1518:
	s_mov_b32 s1, -1
                                        ; implicit-def: $vgpr8
	s_branch .LBB86_1523
.LBB86_1519:
	s_mov_b32 s1, -1
                                        ; implicit-def: $vgpr8
.LBB86_1520:
	s_delay_alu instid0(SALU_CYCLE_1)
	s_and_not1_b32 vcc_lo, exec_lo, s1
	s_cbranch_vccnz .LBB86_1522
; %bb.1521:
	global_load_b32 v2, v[0:1], off
	s_wait_loadcnt 0x0
	v_cvt_f16_f32_e32 v8, v2
.LBB86_1522:
	s_mov_b32 s1, 0
.LBB86_1523:
	s_delay_alu instid0(SALU_CYCLE_1)
	s_and_not1_b32 vcc_lo, exec_lo, s1
	s_cbranch_vccnz .LBB86_1525
; %bb.1524:
	s_wait_loadcnt 0x0
	global_load_u16 v8, v[0:1], off
.LBB86_1525:
	s_mov_b32 s1, 0
.LBB86_1526:
	s_delay_alu instid0(SALU_CYCLE_1)
	s_and_not1_b32 vcc_lo, exec_lo, s1
	s_cbranch_vccnz .LBB86_1546
; %bb.1527:
	s_cmp_lt_i32 s0, 2
	s_cbranch_scc1 .LBB86_1531
; %bb.1528:
	s_cmp_lt_i32 s0, 3
	s_cbranch_scc1 .LBB86_1532
; %bb.1529:
	s_cmp_gt_i32 s0, 3
	s_cbranch_scc0 .LBB86_1533
; %bb.1530:
	global_load_b64 v[2:3], v[0:1], off
	s_mov_b32 s1, 0
	s_wait_loadcnt 0x0
	v_xor_b32_e32 v8, v2, v3
	v_cls_i32_e32 v9, v3
	s_delay_alu instid0(VALU_DEP_2) | instskip(NEXT) | instid1(VALU_DEP_1)
	v_ashrrev_i32_e32 v8, 31, v8
	v_add_nc_u32_e32 v8, 32, v8
	s_delay_alu instid0(VALU_DEP_1) | instskip(NEXT) | instid1(VALU_DEP_1)
	v_add_min_u32_e64 v8, v9, -1, v8
	v_lshlrev_b64_e32 v[2:3], v8, v[2:3]
	s_delay_alu instid0(VALU_DEP_1) | instskip(NEXT) | instid1(VALU_DEP_1)
	v_min_u32_e32 v2, 1, v2
	v_dual_sub_nc_u32 v3, 32, v8 :: v_dual_bitop2_b32 v2, v3, v2 bitop3:0x54
	s_delay_alu instid0(VALU_DEP_1) | instskip(NEXT) | instid1(VALU_DEP_1)
	v_cvt_f32_i32_e32 v2, v2
	v_ldexp_f32 v2, v2, v3
	s_delay_alu instid0(VALU_DEP_1)
	v_cvt_f16_f32_e32 v8, v2
	s_branch .LBB86_1534
.LBB86_1531:
	s_mov_b32 s1, -1
                                        ; implicit-def: $vgpr8
	s_branch .LBB86_1540
.LBB86_1532:
	s_mov_b32 s1, -1
                                        ; implicit-def: $vgpr8
	s_branch .LBB86_1537
.LBB86_1533:
	s_mov_b32 s1, -1
                                        ; implicit-def: $vgpr8
.LBB86_1534:
	s_delay_alu instid0(SALU_CYCLE_1)
	s_and_not1_b32 vcc_lo, exec_lo, s1
	s_cbranch_vccnz .LBB86_1536
; %bb.1535:
	global_load_b32 v2, v[0:1], off
	s_wait_loadcnt 0x0
	v_cvt_f32_i32_e32 v2, v2
	s_delay_alu instid0(VALU_DEP_1)
	v_cvt_f16_f32_e32 v8, v2
.LBB86_1536:
	s_mov_b32 s1, 0
.LBB86_1537:
	s_delay_alu instid0(SALU_CYCLE_1)
	s_and_not1_b32 vcc_lo, exec_lo, s1
	s_cbranch_vccnz .LBB86_1539
; %bb.1538:
	global_load_u16 v2, v[0:1], off
	s_wait_loadcnt 0x0
	v_cvt_f16_i16_e32 v8, v2
.LBB86_1539:
	s_mov_b32 s1, 0
.LBB86_1540:
	s_delay_alu instid0(SALU_CYCLE_1)
	s_and_not1_b32 vcc_lo, exec_lo, s1
	s_cbranch_vccnz .LBB86_1546
; %bb.1541:
	s_cmp_gt_i32 s0, 0
	s_mov_b32 s0, 0
	s_cbranch_scc0 .LBB86_1543
; %bb.1542:
	global_load_i8 v2, v[0:1], off
	s_wait_loadcnt 0x0
	v_cvt_f16_i16_e32 v8, v2
	s_branch .LBB86_1544
.LBB86_1543:
	s_mov_b32 s0, -1
                                        ; implicit-def: $vgpr8
.LBB86_1544:
	s_delay_alu instid0(SALU_CYCLE_1)
	s_and_not1_b32 vcc_lo, exec_lo, s0
	s_cbranch_vccnz .LBB86_1546
; %bb.1545:
	global_load_u8 v0, v[0:1], off
	s_wait_loadcnt 0x0
	v_cvt_f16_u16_e32 v8, v0
.LBB86_1546:
	s_mov_b32 s6, -1
.LBB86_1547:
	s_delay_alu instid0(SALU_CYCLE_1)
	s_and_not1_b32 vcc_lo, exec_lo, s6
	s_cbranch_vccnz .LBB86_1981
; %bb.1548:
	s_wait_xcnt 0x0
	v_mul_lo_u32 v0, s2, v4
	s_wait_loadcnt 0x0
	v_cmp_eq_f16_e64 s0, 0xfc00, v5
	s_and_b32 s13, s8, 0xff
	s_delay_alu instid0(SALU_CYCLE_1) | instskip(SKIP_1) | instid1(VALU_DEP_1)
	s_cmp_lt_i32 s13, 11
	v_ashrrev_i32_e32 v1, 31, v0
	v_add_nc_u64_e32 v[2:3], s[4:5], v[0:1]
	s_cbranch_scc1 .LBB86_1626
; %bb.1549:
	s_and_b32 s3, 0xffff, s13
	s_mov_b32 s8, -1
	s_mov_b32 s6, 0
	s_cmp_gt_i32 s3, 25
	s_mov_b32 s7, 0
	s_mov_b32 s1, 0
	s_cbranch_scc0 .LBB86_1582
; %bb.1550:
	s_cmp_gt_i32 s3, 28
	s_cbranch_scc0 .LBB86_1565
; %bb.1551:
	s_cmp_gt_i32 s3, 43
	;; [unrolled: 3-line block ×3, first 2 shown]
	s_cbranch_scc0 .LBB86_1555
; %bb.1553:
	s_mov_b32 s1, -1
	s_mov_b32 s8, 0
	s_cmp_eq_u32 s3, 46
	s_cbranch_scc0 .LBB86_1555
; %bb.1554:
	v_cndmask_b32_e64 v1, 0, 1.0, s0
	s_mov_b32 s1, 0
	s_mov_b32 s7, -1
	s_delay_alu instid0(VALU_DEP_1) | instskip(NEXT) | instid1(VALU_DEP_1)
	v_bfe_u32 v4, v1, 16, 1
	v_add3_u32 v1, v1, v4, 0x7fff
	s_delay_alu instid0(VALU_DEP_1)
	v_lshrrev_b32_e32 v1, 16, v1
	global_store_b32 v[2:3], v1, off
.LBB86_1555:
	s_and_b32 vcc_lo, exec_lo, s8
	s_cbranch_vccz .LBB86_1560
; %bb.1556:
	s_cmp_eq_u32 s3, 44
	s_mov_b32 s1, -1
	s_cbranch_scc0 .LBB86_1560
; %bb.1557:
	v_cndmask_b32_e64 v5, 0, 1.0, s0
	s_mov_b32 s7, exec_lo
	s_wait_xcnt 0x0
	s_delay_alu instid0(VALU_DEP_1) | instskip(NEXT) | instid1(VALU_DEP_1)
	v_dual_mov_b32 v4, 0xff :: v_dual_lshrrev_b32 v1, 23, v5
	v_cmpx_ne_u32_e32 0xff, v1
; %bb.1558:
	v_and_b32_e32 v4, 0x400000, v5
	v_and_or_b32 v5, 0x3fffff, v5, v1
	s_delay_alu instid0(VALU_DEP_2) | instskip(NEXT) | instid1(VALU_DEP_2)
	v_cmp_ne_u32_e32 vcc_lo, 0, v4
	v_cmp_ne_u32_e64 s1, 0, v5
	s_and_b32 s1, vcc_lo, s1
	s_delay_alu instid0(SALU_CYCLE_1) | instskip(NEXT) | instid1(VALU_DEP_1)
	v_cndmask_b32_e64 v4, 0, 1, s1
	v_add_nc_u32_e32 v4, v1, v4
; %bb.1559:
	s_or_b32 exec_lo, exec_lo, s7
	s_mov_b32 s1, 0
	s_mov_b32 s7, -1
	global_store_b8 v[2:3], v4, off
.LBB86_1560:
	s_mov_b32 s8, 0
.LBB86_1561:
	s_delay_alu instid0(SALU_CYCLE_1)
	s_and_b32 vcc_lo, exec_lo, s8
	s_cbranch_vccz .LBB86_1564
; %bb.1562:
	s_cmp_eq_u32 s3, 29
	s_mov_b32 s1, -1
	s_cbranch_scc0 .LBB86_1564
; %bb.1563:
	s_mov_b32 s1, 0
	s_wait_xcnt 0x0
	v_cndmask_b32_e64 v4, 0, 1, s0
	v_mov_b32_e32 v5, s1
	s_mov_b32 s7, -1
	global_store_b64 v[2:3], v[4:5], off
.LBB86_1564:
	s_mov_b32 s8, 0
.LBB86_1565:
	s_delay_alu instid0(SALU_CYCLE_1)
	s_and_b32 vcc_lo, exec_lo, s8
	s_cbranch_vccz .LBB86_1581
; %bb.1566:
	s_cmp_lt_i32 s3, 27
	s_mov_b32 s7, -1
	s_cbranch_scc1 .LBB86_1572
; %bb.1567:
	s_cmp_gt_i32 s3, 27
	s_cbranch_scc0 .LBB86_1569
; %bb.1568:
	s_wait_xcnt 0x0
	v_cndmask_b32_e64 v1, 0, 1, s0
	s_mov_b32 s7, 0
	global_store_b32 v[2:3], v1, off
.LBB86_1569:
	s_and_not1_b32 vcc_lo, exec_lo, s7
	s_cbranch_vccnz .LBB86_1571
; %bb.1570:
	s_wait_xcnt 0x0
	v_cndmask_b32_e64 v1, 0, 1, s0
	global_store_b16 v[2:3], v1, off
.LBB86_1571:
	s_mov_b32 s7, 0
.LBB86_1572:
	s_delay_alu instid0(SALU_CYCLE_1)
	s_and_not1_b32 vcc_lo, exec_lo, s7
	s_cbranch_vccnz .LBB86_1580
; %bb.1573:
	s_wait_xcnt 0x0
	v_cndmask_b32_e64 v4, 0, 1.0, s0
	v_mov_b32_e32 v5, 0x80
	s_mov_b32 s7, exec_lo
	s_delay_alu instid0(VALU_DEP_2)
	v_cmpx_gt_u32_e32 0x43800000, v4
	s_cbranch_execz .LBB86_1579
; %bb.1574:
	s_mov_b32 s8, 0
	s_mov_b32 s10, exec_lo
                                        ; implicit-def: $vgpr1
	v_cmpx_lt_u32_e32 0x3bffffff, v4
	s_xor_b32 s10, exec_lo, s10
	s_cbranch_execz .LBB86_2028
; %bb.1575:
	v_bfe_u32 v1, v4, 20, 1
	s_mov_b32 s8, exec_lo
	s_delay_alu instid0(VALU_DEP_1) | instskip(NEXT) | instid1(VALU_DEP_1)
	v_add3_u32 v1, v4, v1, 0x487ffff
                                        ; implicit-def: $vgpr4
	v_lshrrev_b32_e32 v1, 20, v1
	s_and_not1_saveexec_b32 s10, s10
	s_cbranch_execnz .LBB86_2029
.LBB86_1576:
	s_or_b32 exec_lo, exec_lo, s10
	v_mov_b32_e32 v5, 0
	s_and_saveexec_b32 s10, s8
.LBB86_1577:
	v_mov_b32_e32 v5, v1
.LBB86_1578:
	s_or_b32 exec_lo, exec_lo, s10
.LBB86_1579:
	s_delay_alu instid0(SALU_CYCLE_1)
	s_or_b32 exec_lo, exec_lo, s7
	global_store_b8 v[2:3], v5, off
.LBB86_1580:
	s_mov_b32 s7, -1
.LBB86_1581:
	s_mov_b32 s8, 0
.LBB86_1582:
	s_delay_alu instid0(SALU_CYCLE_1)
	s_and_b32 vcc_lo, exec_lo, s8
	s_cbranch_vccz .LBB86_1622
; %bb.1583:
	s_cmp_gt_i32 s3, 22
	s_mov_b32 s6, -1
	s_cbranch_scc0 .LBB86_1615
; %bb.1584:
	s_cmp_lt_i32 s3, 24
	s_cbranch_scc1 .LBB86_1604
; %bb.1585:
	s_cmp_gt_i32 s3, 24
	s_cbranch_scc0 .LBB86_1593
; %bb.1586:
	s_wait_xcnt 0x0
	v_cndmask_b32_e64 v4, 0, 1.0, s0
	v_mov_b32_e32 v5, 0x80
	s_mov_b32 s6, exec_lo
	s_delay_alu instid0(VALU_DEP_2)
	v_cmpx_gt_u32_e32 0x47800000, v4
	s_cbranch_execz .LBB86_1592
; %bb.1587:
	s_mov_b32 s7, 0
	s_mov_b32 s8, exec_lo
                                        ; implicit-def: $vgpr1
	v_cmpx_lt_u32_e32 0x37ffffff, v4
	s_xor_b32 s8, exec_lo, s8
	s_cbranch_execz .LBB86_2031
; %bb.1588:
	v_bfe_u32 v1, v4, 21, 1
	s_mov_b32 s7, exec_lo
	s_delay_alu instid0(VALU_DEP_1) | instskip(NEXT) | instid1(VALU_DEP_1)
	v_add3_u32 v1, v4, v1, 0x88fffff
                                        ; implicit-def: $vgpr4
	v_lshrrev_b32_e32 v1, 21, v1
	s_and_not1_saveexec_b32 s8, s8
	s_cbranch_execnz .LBB86_2032
.LBB86_1589:
	s_or_b32 exec_lo, exec_lo, s8
	v_mov_b32_e32 v5, 0
	s_and_saveexec_b32 s8, s7
.LBB86_1590:
	v_mov_b32_e32 v5, v1
.LBB86_1591:
	s_or_b32 exec_lo, exec_lo, s8
.LBB86_1592:
	s_delay_alu instid0(SALU_CYCLE_1)
	s_or_b32 exec_lo, exec_lo, s6
	s_mov_b32 s6, 0
	global_store_b8 v[2:3], v5, off
.LBB86_1593:
	s_and_b32 vcc_lo, exec_lo, s6
	s_cbranch_vccz .LBB86_1603
; %bb.1594:
	s_wait_xcnt 0x0
	v_cndmask_b32_e64 v4, 0, 1.0, s0
	s_mov_b32 s6, exec_lo
                                        ; implicit-def: $vgpr1
	s_delay_alu instid0(VALU_DEP_1)
	v_cmpx_gt_u32_e32 0x43f00000, v4
	s_xor_b32 s6, exec_lo, s6
	s_cbranch_execz .LBB86_1600
; %bb.1595:
	s_mov_b32 s7, exec_lo
                                        ; implicit-def: $vgpr1
	v_cmpx_lt_u32_e32 0x3c7fffff, v4
	s_xor_b32 s7, exec_lo, s7
; %bb.1596:
	v_bfe_u32 v1, v4, 20, 1
	s_delay_alu instid0(VALU_DEP_1) | instskip(NEXT) | instid1(VALU_DEP_1)
	v_add3_u32 v1, v4, v1, 0x407ffff
	v_and_b32_e32 v4, 0xff00000, v1
	v_lshrrev_b32_e32 v1, 20, v1
	s_delay_alu instid0(VALU_DEP_2) | instskip(NEXT) | instid1(VALU_DEP_2)
	v_cmp_ne_u32_e32 vcc_lo, 0x7f00000, v4
                                        ; implicit-def: $vgpr4
	v_cndmask_b32_e32 v1, 0x7e, v1, vcc_lo
; %bb.1597:
	s_and_not1_saveexec_b32 s7, s7
; %bb.1598:
	v_add_f32_e32 v1, 0x46800000, v4
; %bb.1599:
	s_or_b32 exec_lo, exec_lo, s7
                                        ; implicit-def: $vgpr4
.LBB86_1600:
	s_and_not1_saveexec_b32 s6, s6
; %bb.1601:
	v_mov_b32_e32 v1, 0x7f
	v_cmp_lt_u32_e32 vcc_lo, 0x7f800000, v4
	s_delay_alu instid0(VALU_DEP_2)
	v_cndmask_b32_e32 v1, 0x7e, v1, vcc_lo
; %bb.1602:
	s_or_b32 exec_lo, exec_lo, s6
	global_store_b8 v[2:3], v1, off
.LBB86_1603:
	s_mov_b32 s6, 0
.LBB86_1604:
	s_delay_alu instid0(SALU_CYCLE_1)
	s_and_not1_b32 vcc_lo, exec_lo, s6
	s_cbranch_vccnz .LBB86_1614
; %bb.1605:
	s_wait_xcnt 0x0
	v_cndmask_b32_e64 v4, 0, 1.0, s0
	s_mov_b32 s6, exec_lo
                                        ; implicit-def: $vgpr1
	s_delay_alu instid0(VALU_DEP_1)
	v_cmpx_gt_u32_e32 0x47800000, v4
	s_xor_b32 s6, exec_lo, s6
	s_cbranch_execz .LBB86_1611
; %bb.1606:
	s_mov_b32 s7, exec_lo
                                        ; implicit-def: $vgpr1
	v_cmpx_lt_u32_e32 0x387fffff, v4
	s_xor_b32 s7, exec_lo, s7
; %bb.1607:
	v_bfe_u32 v1, v4, 21, 1
	s_delay_alu instid0(VALU_DEP_1) | instskip(NEXT) | instid1(VALU_DEP_1)
	v_add3_u32 v1, v4, v1, 0x80fffff
                                        ; implicit-def: $vgpr4
	v_lshrrev_b32_e32 v1, 21, v1
; %bb.1608:
	s_and_not1_saveexec_b32 s7, s7
; %bb.1609:
	v_add_f32_e32 v1, 0x43000000, v4
; %bb.1610:
	s_or_b32 exec_lo, exec_lo, s7
                                        ; implicit-def: $vgpr4
.LBB86_1611:
	s_and_not1_saveexec_b32 s6, s6
; %bb.1612:
	v_mov_b32_e32 v1, 0x7f
	v_cmp_lt_u32_e32 vcc_lo, 0x7f800000, v4
	s_delay_alu instid0(VALU_DEP_2)
	v_cndmask_b32_e32 v1, 0x7c, v1, vcc_lo
; %bb.1613:
	s_or_b32 exec_lo, exec_lo, s6
	global_store_b8 v[2:3], v1, off
.LBB86_1614:
	s_mov_b32 s6, 0
	s_mov_b32 s7, -1
.LBB86_1615:
	s_and_not1_b32 vcc_lo, exec_lo, s6
	s_mov_b32 s6, 0
	s_cbranch_vccnz .LBB86_1622
; %bb.1616:
	s_cmp_gt_i32 s3, 14
	s_mov_b32 s6, -1
	s_cbranch_scc0 .LBB86_1620
; %bb.1617:
	s_cmp_eq_u32 s3, 15
	s_mov_b32 s1, -1
	s_cbranch_scc0 .LBB86_1619
; %bb.1618:
	s_wait_xcnt 0x0
	v_cndmask_b32_e64 v1, 0, 1.0, s0
	s_mov_b32 s1, 0
	s_mov_b32 s7, -1
	s_delay_alu instid0(VALU_DEP_1) | instskip(NEXT) | instid1(VALU_DEP_1)
	v_bfe_u32 v4, v1, 16, 1
	v_add3_u32 v1, v1, v4, 0x7fff
	global_store_d16_hi_b16 v[2:3], v1, off
.LBB86_1619:
	s_mov_b32 s6, 0
.LBB86_1620:
	s_delay_alu instid0(SALU_CYCLE_1)
	s_and_b32 vcc_lo, exec_lo, s6
	s_mov_b32 s6, 0
	s_cbranch_vccz .LBB86_1622
; %bb.1621:
	s_cmp_lg_u32 s3, 11
	s_mov_b32 s6, -1
	s_cselect_b32 s1, -1, 0
.LBB86_1622:
	s_delay_alu instid0(SALU_CYCLE_1)
	s_and_b32 vcc_lo, exec_lo, s1
	s_cbranch_vccnz .LBB86_2030
; %bb.1623:
	s_and_not1_b32 vcc_lo, exec_lo, s6
	s_cbranch_vccnz .LBB86_1625
.LBB86_1624:
	s_wait_xcnt 0x0
	v_cndmask_b32_e64 v1, 0, 1, s0
	s_mov_b32 s7, -1
	global_store_b8 v[2:3], v1, off
.LBB86_1625:
	s_mov_b32 s1, 0
	s_branch .LBB86_1627
.LBB86_1626:
	s_mov_b32 s1, -1
	s_mov_b32 s7, 0
.LBB86_1627:
	s_and_b32 vcc_lo, exec_lo, s1
	s_cbranch_vccz .LBB86_1666
; %bb.1628:
	s_and_b32 s1, 0xffff, s13
	s_mov_b32 s3, -1
	s_cmp_lt_i32 s1, 5
	s_cbranch_scc1 .LBB86_1649
; %bb.1629:
	s_cmp_lt_i32 s1, 8
	s_cbranch_scc1 .LBB86_1639
; %bb.1630:
	;; [unrolled: 3-line block ×3, first 2 shown]
	s_cmp_gt_i32 s1, 9
	s_cbranch_scc0 .LBB86_1633
; %bb.1632:
	s_wait_xcnt 0x0
	v_cndmask_b32_e64 v1, 0, 1, s0
	v_mov_b32_e32 v12, 0
	s_mov_b32 s3, 0
	s_delay_alu instid0(VALU_DEP_2) | instskip(NEXT) | instid1(VALU_DEP_2)
	v_cvt_f64_u32_e32 v[10:11], v1
	v_mov_b32_e32 v13, v12
	global_store_b128 v[2:3], v[10:13], off
.LBB86_1633:
	s_and_not1_b32 vcc_lo, exec_lo, s3
	s_cbranch_vccnz .LBB86_1635
; %bb.1634:
	s_wait_xcnt 0x0
	v_cndmask_b32_e64 v4, 0, 1.0, s0
	v_mov_b32_e32 v5, 0
	global_store_b64 v[2:3], v[4:5], off
.LBB86_1635:
	s_mov_b32 s3, 0
.LBB86_1636:
	s_delay_alu instid0(SALU_CYCLE_1)
	s_and_not1_b32 vcc_lo, exec_lo, s3
	s_cbranch_vccnz .LBB86_1638
; %bb.1637:
	s_wait_xcnt 0x0
	v_cndmask_b32_e64 v1, 0, 1.0, s0
	s_delay_alu instid0(VALU_DEP_1) | instskip(NEXT) | instid1(VALU_DEP_1)
	v_cvt_f16_f32_e32 v1, v1
	v_and_b32_e32 v1, 0xffff, v1
	global_store_b32 v[2:3], v1, off
.LBB86_1638:
	s_mov_b32 s3, 0
.LBB86_1639:
	s_delay_alu instid0(SALU_CYCLE_1)
	s_and_not1_b32 vcc_lo, exec_lo, s3
	s_cbranch_vccnz .LBB86_1648
; %bb.1640:
	s_cmp_lt_i32 s1, 6
	s_mov_b32 s3, -1
	s_cbranch_scc1 .LBB86_1646
; %bb.1641:
	s_cmp_gt_i32 s1, 6
	s_cbranch_scc0 .LBB86_1643
; %bb.1642:
	s_wait_xcnt 0x0
	v_cndmask_b32_e64 v1, 0, 1, s0
	s_mov_b32 s3, 0
	s_delay_alu instid0(VALU_DEP_1)
	v_cvt_f64_u32_e32 v[4:5], v1
	global_store_b64 v[2:3], v[4:5], off
.LBB86_1643:
	s_and_not1_b32 vcc_lo, exec_lo, s3
	s_cbranch_vccnz .LBB86_1645
; %bb.1644:
	s_wait_xcnt 0x0
	v_cndmask_b32_e64 v1, 0, 1.0, s0
	global_store_b32 v[2:3], v1, off
.LBB86_1645:
	s_mov_b32 s3, 0
.LBB86_1646:
	s_delay_alu instid0(SALU_CYCLE_1)
	s_and_not1_b32 vcc_lo, exec_lo, s3
	s_cbranch_vccnz .LBB86_1648
; %bb.1647:
	s_wait_xcnt 0x0
	v_cndmask_b32_e64 v1, 0, 1.0, s0
	s_delay_alu instid0(VALU_DEP_1)
	v_cvt_f16_f32_e32 v1, v1
	global_store_b16 v[2:3], v1, off
.LBB86_1648:
	s_mov_b32 s3, 0
.LBB86_1649:
	s_delay_alu instid0(SALU_CYCLE_1)
	s_and_not1_b32 vcc_lo, exec_lo, s3
	s_cbranch_vccnz .LBB86_1665
; %bb.1650:
	s_cmp_lt_i32 s1, 2
	s_mov_b32 s3, -1
	s_cbranch_scc1 .LBB86_1660
; %bb.1651:
	s_cmp_lt_i32 s1, 3
	s_cbranch_scc1 .LBB86_1657
; %bb.1652:
	s_cmp_gt_i32 s1, 3
	s_cbranch_scc0 .LBB86_1654
; %bb.1653:
	s_mov_b32 s3, 0
	s_wait_xcnt 0x0
	v_cndmask_b32_e64 v4, 0, 1, s0
	v_mov_b32_e32 v5, s3
	global_store_b64 v[2:3], v[4:5], off
.LBB86_1654:
	s_and_not1_b32 vcc_lo, exec_lo, s3
	s_cbranch_vccnz .LBB86_1656
; %bb.1655:
	s_wait_xcnt 0x0
	v_cndmask_b32_e64 v1, 0, 1, s0
	global_store_b32 v[2:3], v1, off
.LBB86_1656:
	s_mov_b32 s3, 0
.LBB86_1657:
	s_delay_alu instid0(SALU_CYCLE_1)
	s_and_not1_b32 vcc_lo, exec_lo, s3
	s_cbranch_vccnz .LBB86_1659
; %bb.1658:
	s_wait_xcnt 0x0
	v_cndmask_b32_e64 v1, 0, 1, s0
	global_store_b16 v[2:3], v1, off
.LBB86_1659:
	s_mov_b32 s3, 0
.LBB86_1660:
	s_delay_alu instid0(SALU_CYCLE_1)
	s_and_not1_b32 vcc_lo, exec_lo, s3
	s_cbranch_vccnz .LBB86_1665
; %bb.1661:
	s_wait_xcnt 0x0
	v_cndmask_b32_e64 v1, 0, 1, s0
	s_cmp_gt_i32 s1, 0
	s_mov_b32 s0, -1
	s_cbranch_scc0 .LBB86_1663
; %bb.1662:
	s_mov_b32 s0, 0
	global_store_b8 v[2:3], v1, off
.LBB86_1663:
	s_and_not1_b32 vcc_lo, exec_lo, s0
	s_cbranch_vccnz .LBB86_1665
; %bb.1664:
	global_store_b8 v[2:3], v1, off
.LBB86_1665:
	s_mov_b32 s7, -1
.LBB86_1666:
	s_delay_alu instid0(SALU_CYCLE_1)
	s_and_not1_b32 vcc_lo, exec_lo, s7
	s_cbranch_vccnz .LBB86_1981
; %bb.1667:
	s_lshl_b32 s2, s2, 7
	v_cmp_eq_f16_e64 s0, 0xfc00, v6
	v_add_nc_u32_e32 v0, s2, v0
	s_cmp_lt_i32 s13, 11
	s_wait_xcnt 0x0
	s_delay_alu instid0(VALU_DEP_1) | instskip(NEXT) | instid1(VALU_DEP_1)
	v_ashrrev_i32_e32 v1, 31, v0
	v_add_nc_u64_e32 v[2:3], s[4:5], v[0:1]
	s_cbranch_scc1 .LBB86_1745
; %bb.1668:
	s_and_b32 s3, 0xffff, s13
	s_mov_b32 s8, -1
	s_mov_b32 s6, 0
	s_cmp_gt_i32 s3, 25
	s_mov_b32 s7, 0
	s_mov_b32 s1, 0
	s_cbranch_scc0 .LBB86_1701
; %bb.1669:
	s_cmp_gt_i32 s3, 28
	s_cbranch_scc0 .LBB86_1684
; %bb.1670:
	s_cmp_gt_i32 s3, 43
	;; [unrolled: 3-line block ×3, first 2 shown]
	s_cbranch_scc0 .LBB86_1674
; %bb.1672:
	s_mov_b32 s1, -1
	s_mov_b32 s8, 0
	s_cmp_eq_u32 s3, 46
	s_cbranch_scc0 .LBB86_1674
; %bb.1673:
	v_cndmask_b32_e64 v1, 0, 1.0, s0
	s_mov_b32 s1, 0
	s_mov_b32 s7, -1
	s_delay_alu instid0(VALU_DEP_1) | instskip(NEXT) | instid1(VALU_DEP_1)
	v_bfe_u32 v4, v1, 16, 1
	v_add3_u32 v1, v1, v4, 0x7fff
	s_delay_alu instid0(VALU_DEP_1)
	v_lshrrev_b32_e32 v1, 16, v1
	global_store_b32 v[2:3], v1, off
.LBB86_1674:
	s_and_b32 vcc_lo, exec_lo, s8
	s_cbranch_vccz .LBB86_1679
; %bb.1675:
	s_cmp_eq_u32 s3, 44
	s_mov_b32 s1, -1
	s_cbranch_scc0 .LBB86_1679
; %bb.1676:
	v_cndmask_b32_e64 v5, 0, 1.0, s0
	s_mov_b32 s7, exec_lo
	s_wait_xcnt 0x0
	s_delay_alu instid0(VALU_DEP_1) | instskip(NEXT) | instid1(VALU_DEP_1)
	v_dual_mov_b32 v4, 0xff :: v_dual_lshrrev_b32 v1, 23, v5
	v_cmpx_ne_u32_e32 0xff, v1
; %bb.1677:
	v_and_b32_e32 v4, 0x400000, v5
	v_and_or_b32 v5, 0x3fffff, v5, v1
	s_delay_alu instid0(VALU_DEP_2) | instskip(NEXT) | instid1(VALU_DEP_2)
	v_cmp_ne_u32_e32 vcc_lo, 0, v4
	v_cmp_ne_u32_e64 s1, 0, v5
	s_and_b32 s1, vcc_lo, s1
	s_delay_alu instid0(SALU_CYCLE_1) | instskip(NEXT) | instid1(VALU_DEP_1)
	v_cndmask_b32_e64 v4, 0, 1, s1
	v_add_nc_u32_e32 v4, v1, v4
; %bb.1678:
	s_or_b32 exec_lo, exec_lo, s7
	s_mov_b32 s1, 0
	s_mov_b32 s7, -1
	global_store_b8 v[2:3], v4, off
.LBB86_1679:
	s_mov_b32 s8, 0
.LBB86_1680:
	s_delay_alu instid0(SALU_CYCLE_1)
	s_and_b32 vcc_lo, exec_lo, s8
	s_cbranch_vccz .LBB86_1683
; %bb.1681:
	s_cmp_eq_u32 s3, 29
	s_mov_b32 s1, -1
	s_cbranch_scc0 .LBB86_1683
; %bb.1682:
	s_mov_b32 s1, 0
	s_wait_xcnt 0x0
	v_cndmask_b32_e64 v4, 0, 1, s0
	v_mov_b32_e32 v5, s1
	s_mov_b32 s7, -1
	global_store_b64 v[2:3], v[4:5], off
.LBB86_1683:
	s_mov_b32 s8, 0
.LBB86_1684:
	s_delay_alu instid0(SALU_CYCLE_1)
	s_and_b32 vcc_lo, exec_lo, s8
	s_cbranch_vccz .LBB86_1700
; %bb.1685:
	s_cmp_lt_i32 s3, 27
	s_mov_b32 s7, -1
	s_cbranch_scc1 .LBB86_1691
; %bb.1686:
	s_cmp_gt_i32 s3, 27
	s_cbranch_scc0 .LBB86_1688
; %bb.1687:
	s_wait_xcnt 0x0
	v_cndmask_b32_e64 v1, 0, 1, s0
	s_mov_b32 s7, 0
	global_store_b32 v[2:3], v1, off
.LBB86_1688:
	s_and_not1_b32 vcc_lo, exec_lo, s7
	s_cbranch_vccnz .LBB86_1690
; %bb.1689:
	s_wait_xcnt 0x0
	v_cndmask_b32_e64 v1, 0, 1, s0
	global_store_b16 v[2:3], v1, off
.LBB86_1690:
	s_mov_b32 s7, 0
.LBB86_1691:
	s_delay_alu instid0(SALU_CYCLE_1)
	s_and_not1_b32 vcc_lo, exec_lo, s7
	s_cbranch_vccnz .LBB86_1699
; %bb.1692:
	s_wait_xcnt 0x0
	v_cndmask_b32_e64 v4, 0, 1.0, s0
	v_mov_b32_e32 v5, 0x80
	s_mov_b32 s7, exec_lo
	s_delay_alu instid0(VALU_DEP_2)
	v_cmpx_gt_u32_e32 0x43800000, v4
	s_cbranch_execz .LBB86_1698
; %bb.1693:
	s_mov_b32 s8, 0
	s_mov_b32 s10, exec_lo
                                        ; implicit-def: $vgpr1
	v_cmpx_lt_u32_e32 0x3bffffff, v4
	s_xor_b32 s10, exec_lo, s10
	s_cbranch_execz .LBB86_2033
; %bb.1694:
	v_bfe_u32 v1, v4, 20, 1
	s_mov_b32 s8, exec_lo
	s_delay_alu instid0(VALU_DEP_1) | instskip(NEXT) | instid1(VALU_DEP_1)
	v_add3_u32 v1, v4, v1, 0x487ffff
                                        ; implicit-def: $vgpr4
	v_lshrrev_b32_e32 v1, 20, v1
	s_and_not1_saveexec_b32 s10, s10
	s_cbranch_execnz .LBB86_2034
.LBB86_1695:
	s_or_b32 exec_lo, exec_lo, s10
	v_mov_b32_e32 v5, 0
	s_and_saveexec_b32 s10, s8
.LBB86_1696:
	v_mov_b32_e32 v5, v1
.LBB86_1697:
	s_or_b32 exec_lo, exec_lo, s10
.LBB86_1698:
	s_delay_alu instid0(SALU_CYCLE_1)
	s_or_b32 exec_lo, exec_lo, s7
	global_store_b8 v[2:3], v5, off
.LBB86_1699:
	s_mov_b32 s7, -1
.LBB86_1700:
	s_mov_b32 s8, 0
.LBB86_1701:
	s_delay_alu instid0(SALU_CYCLE_1)
	s_and_b32 vcc_lo, exec_lo, s8
	s_cbranch_vccz .LBB86_1741
; %bb.1702:
	s_cmp_gt_i32 s3, 22
	s_mov_b32 s6, -1
	s_cbranch_scc0 .LBB86_1734
; %bb.1703:
	s_cmp_lt_i32 s3, 24
	s_cbranch_scc1 .LBB86_1723
; %bb.1704:
	s_cmp_gt_i32 s3, 24
	s_cbranch_scc0 .LBB86_1712
; %bb.1705:
	s_wait_xcnt 0x0
	v_cndmask_b32_e64 v4, 0, 1.0, s0
	v_mov_b32_e32 v5, 0x80
	s_mov_b32 s6, exec_lo
	s_delay_alu instid0(VALU_DEP_2)
	v_cmpx_gt_u32_e32 0x47800000, v4
	s_cbranch_execz .LBB86_1711
; %bb.1706:
	s_mov_b32 s7, 0
	s_mov_b32 s8, exec_lo
                                        ; implicit-def: $vgpr1
	v_cmpx_lt_u32_e32 0x37ffffff, v4
	s_xor_b32 s8, exec_lo, s8
	s_cbranch_execz .LBB86_2036
; %bb.1707:
	v_bfe_u32 v1, v4, 21, 1
	s_mov_b32 s7, exec_lo
	s_delay_alu instid0(VALU_DEP_1) | instskip(NEXT) | instid1(VALU_DEP_1)
	v_add3_u32 v1, v4, v1, 0x88fffff
                                        ; implicit-def: $vgpr4
	v_lshrrev_b32_e32 v1, 21, v1
	s_and_not1_saveexec_b32 s8, s8
	s_cbranch_execnz .LBB86_2037
.LBB86_1708:
	s_or_b32 exec_lo, exec_lo, s8
	v_mov_b32_e32 v5, 0
	s_and_saveexec_b32 s8, s7
.LBB86_1709:
	v_mov_b32_e32 v5, v1
.LBB86_1710:
	s_or_b32 exec_lo, exec_lo, s8
.LBB86_1711:
	s_delay_alu instid0(SALU_CYCLE_1)
	s_or_b32 exec_lo, exec_lo, s6
	s_mov_b32 s6, 0
	global_store_b8 v[2:3], v5, off
.LBB86_1712:
	s_and_b32 vcc_lo, exec_lo, s6
	s_cbranch_vccz .LBB86_1722
; %bb.1713:
	s_wait_xcnt 0x0
	v_cndmask_b32_e64 v4, 0, 1.0, s0
	s_mov_b32 s6, exec_lo
                                        ; implicit-def: $vgpr1
	s_delay_alu instid0(VALU_DEP_1)
	v_cmpx_gt_u32_e32 0x43f00000, v4
	s_xor_b32 s6, exec_lo, s6
	s_cbranch_execz .LBB86_1719
; %bb.1714:
	s_mov_b32 s7, exec_lo
                                        ; implicit-def: $vgpr1
	v_cmpx_lt_u32_e32 0x3c7fffff, v4
	s_xor_b32 s7, exec_lo, s7
; %bb.1715:
	v_bfe_u32 v1, v4, 20, 1
	s_delay_alu instid0(VALU_DEP_1) | instskip(NEXT) | instid1(VALU_DEP_1)
	v_add3_u32 v1, v4, v1, 0x407ffff
	v_and_b32_e32 v4, 0xff00000, v1
	v_lshrrev_b32_e32 v1, 20, v1
	s_delay_alu instid0(VALU_DEP_2) | instskip(NEXT) | instid1(VALU_DEP_2)
	v_cmp_ne_u32_e32 vcc_lo, 0x7f00000, v4
                                        ; implicit-def: $vgpr4
	v_cndmask_b32_e32 v1, 0x7e, v1, vcc_lo
; %bb.1716:
	s_and_not1_saveexec_b32 s7, s7
; %bb.1717:
	v_add_f32_e32 v1, 0x46800000, v4
; %bb.1718:
	s_or_b32 exec_lo, exec_lo, s7
                                        ; implicit-def: $vgpr4
.LBB86_1719:
	s_and_not1_saveexec_b32 s6, s6
; %bb.1720:
	v_mov_b32_e32 v1, 0x7f
	v_cmp_lt_u32_e32 vcc_lo, 0x7f800000, v4
	s_delay_alu instid0(VALU_DEP_2)
	v_cndmask_b32_e32 v1, 0x7e, v1, vcc_lo
; %bb.1721:
	s_or_b32 exec_lo, exec_lo, s6
	global_store_b8 v[2:3], v1, off
.LBB86_1722:
	s_mov_b32 s6, 0
.LBB86_1723:
	s_delay_alu instid0(SALU_CYCLE_1)
	s_and_not1_b32 vcc_lo, exec_lo, s6
	s_cbranch_vccnz .LBB86_1733
; %bb.1724:
	s_wait_xcnt 0x0
	v_cndmask_b32_e64 v4, 0, 1.0, s0
	s_mov_b32 s6, exec_lo
                                        ; implicit-def: $vgpr1
	s_delay_alu instid0(VALU_DEP_1)
	v_cmpx_gt_u32_e32 0x47800000, v4
	s_xor_b32 s6, exec_lo, s6
	s_cbranch_execz .LBB86_1730
; %bb.1725:
	s_mov_b32 s7, exec_lo
                                        ; implicit-def: $vgpr1
	v_cmpx_lt_u32_e32 0x387fffff, v4
	s_xor_b32 s7, exec_lo, s7
; %bb.1726:
	v_bfe_u32 v1, v4, 21, 1
	s_delay_alu instid0(VALU_DEP_1) | instskip(NEXT) | instid1(VALU_DEP_1)
	v_add3_u32 v1, v4, v1, 0x80fffff
                                        ; implicit-def: $vgpr4
	v_lshrrev_b32_e32 v1, 21, v1
; %bb.1727:
	s_and_not1_saveexec_b32 s7, s7
; %bb.1728:
	v_add_f32_e32 v1, 0x43000000, v4
; %bb.1729:
	s_or_b32 exec_lo, exec_lo, s7
                                        ; implicit-def: $vgpr4
.LBB86_1730:
	s_and_not1_saveexec_b32 s6, s6
; %bb.1731:
	v_mov_b32_e32 v1, 0x7f
	v_cmp_lt_u32_e32 vcc_lo, 0x7f800000, v4
	s_delay_alu instid0(VALU_DEP_2)
	v_cndmask_b32_e32 v1, 0x7c, v1, vcc_lo
; %bb.1732:
	s_or_b32 exec_lo, exec_lo, s6
	global_store_b8 v[2:3], v1, off
.LBB86_1733:
	s_mov_b32 s6, 0
	s_mov_b32 s7, -1
.LBB86_1734:
	s_and_not1_b32 vcc_lo, exec_lo, s6
	s_mov_b32 s6, 0
	s_cbranch_vccnz .LBB86_1741
; %bb.1735:
	s_cmp_gt_i32 s3, 14
	s_mov_b32 s6, -1
	s_cbranch_scc0 .LBB86_1739
; %bb.1736:
	s_cmp_eq_u32 s3, 15
	s_mov_b32 s1, -1
	s_cbranch_scc0 .LBB86_1738
; %bb.1737:
	s_wait_xcnt 0x0
	v_cndmask_b32_e64 v1, 0, 1.0, s0
	s_mov_b32 s1, 0
	s_mov_b32 s7, -1
	s_delay_alu instid0(VALU_DEP_1) | instskip(NEXT) | instid1(VALU_DEP_1)
	v_bfe_u32 v4, v1, 16, 1
	v_add3_u32 v1, v1, v4, 0x7fff
	global_store_d16_hi_b16 v[2:3], v1, off
.LBB86_1738:
	s_mov_b32 s6, 0
.LBB86_1739:
	s_delay_alu instid0(SALU_CYCLE_1)
	s_and_b32 vcc_lo, exec_lo, s6
	s_mov_b32 s6, 0
	s_cbranch_vccz .LBB86_1741
; %bb.1740:
	s_cmp_lg_u32 s3, 11
	s_mov_b32 s6, -1
	s_cselect_b32 s1, -1, 0
.LBB86_1741:
	s_delay_alu instid0(SALU_CYCLE_1)
	s_and_b32 vcc_lo, exec_lo, s1
	s_cbranch_vccnz .LBB86_2035
; %bb.1742:
	s_and_not1_b32 vcc_lo, exec_lo, s6
	s_cbranch_vccnz .LBB86_1744
.LBB86_1743:
	s_wait_xcnt 0x0
	v_cndmask_b32_e64 v1, 0, 1, s0
	s_mov_b32 s7, -1
	global_store_b8 v[2:3], v1, off
.LBB86_1744:
	s_mov_b32 s1, 0
	s_branch .LBB86_1746
.LBB86_1745:
	s_mov_b32 s1, -1
	s_mov_b32 s7, 0
.LBB86_1746:
	s_and_b32 vcc_lo, exec_lo, s1
	s_cbranch_vccz .LBB86_1785
; %bb.1747:
	s_and_b32 s1, 0xffff, s13
	s_mov_b32 s3, -1
	s_cmp_lt_i32 s1, 5
	s_cbranch_scc1 .LBB86_1768
; %bb.1748:
	s_cmp_lt_i32 s1, 8
	s_cbranch_scc1 .LBB86_1758
; %bb.1749:
	;; [unrolled: 3-line block ×3, first 2 shown]
	s_cmp_gt_i32 s1, 9
	s_cbranch_scc0 .LBB86_1752
; %bb.1751:
	s_wait_xcnt 0x0
	v_cndmask_b32_e64 v1, 0, 1, s0
	v_mov_b32_e32 v12, 0
	s_mov_b32 s3, 0
	s_delay_alu instid0(VALU_DEP_2) | instskip(NEXT) | instid1(VALU_DEP_2)
	v_cvt_f64_u32_e32 v[10:11], v1
	v_mov_b32_e32 v13, v12
	global_store_b128 v[2:3], v[10:13], off
.LBB86_1752:
	s_and_not1_b32 vcc_lo, exec_lo, s3
	s_cbranch_vccnz .LBB86_1754
; %bb.1753:
	s_wait_xcnt 0x0
	v_cndmask_b32_e64 v4, 0, 1.0, s0
	v_mov_b32_e32 v5, 0
	global_store_b64 v[2:3], v[4:5], off
.LBB86_1754:
	s_mov_b32 s3, 0
.LBB86_1755:
	s_delay_alu instid0(SALU_CYCLE_1)
	s_and_not1_b32 vcc_lo, exec_lo, s3
	s_cbranch_vccnz .LBB86_1757
; %bb.1756:
	s_wait_xcnt 0x0
	v_cndmask_b32_e64 v1, 0, 1.0, s0
	s_delay_alu instid0(VALU_DEP_1) | instskip(NEXT) | instid1(VALU_DEP_1)
	v_cvt_f16_f32_e32 v1, v1
	v_and_b32_e32 v1, 0xffff, v1
	global_store_b32 v[2:3], v1, off
.LBB86_1757:
	s_mov_b32 s3, 0
.LBB86_1758:
	s_delay_alu instid0(SALU_CYCLE_1)
	s_and_not1_b32 vcc_lo, exec_lo, s3
	s_cbranch_vccnz .LBB86_1767
; %bb.1759:
	s_cmp_lt_i32 s1, 6
	s_mov_b32 s3, -1
	s_cbranch_scc1 .LBB86_1765
; %bb.1760:
	s_cmp_gt_i32 s1, 6
	s_cbranch_scc0 .LBB86_1762
; %bb.1761:
	s_wait_xcnt 0x0
	v_cndmask_b32_e64 v1, 0, 1, s0
	s_mov_b32 s3, 0
	s_delay_alu instid0(VALU_DEP_1)
	v_cvt_f64_u32_e32 v[4:5], v1
	global_store_b64 v[2:3], v[4:5], off
.LBB86_1762:
	s_and_not1_b32 vcc_lo, exec_lo, s3
	s_cbranch_vccnz .LBB86_1764
; %bb.1763:
	s_wait_xcnt 0x0
	v_cndmask_b32_e64 v1, 0, 1.0, s0
	global_store_b32 v[2:3], v1, off
.LBB86_1764:
	s_mov_b32 s3, 0
.LBB86_1765:
	s_delay_alu instid0(SALU_CYCLE_1)
	s_and_not1_b32 vcc_lo, exec_lo, s3
	s_cbranch_vccnz .LBB86_1767
; %bb.1766:
	s_wait_xcnt 0x0
	v_cndmask_b32_e64 v1, 0, 1.0, s0
	s_delay_alu instid0(VALU_DEP_1)
	v_cvt_f16_f32_e32 v1, v1
	global_store_b16 v[2:3], v1, off
.LBB86_1767:
	s_mov_b32 s3, 0
.LBB86_1768:
	s_delay_alu instid0(SALU_CYCLE_1)
	s_and_not1_b32 vcc_lo, exec_lo, s3
	s_cbranch_vccnz .LBB86_1784
; %bb.1769:
	s_cmp_lt_i32 s1, 2
	s_mov_b32 s3, -1
	s_cbranch_scc1 .LBB86_1779
; %bb.1770:
	s_cmp_lt_i32 s1, 3
	s_cbranch_scc1 .LBB86_1776
; %bb.1771:
	s_cmp_gt_i32 s1, 3
	s_cbranch_scc0 .LBB86_1773
; %bb.1772:
	s_mov_b32 s3, 0
	s_wait_xcnt 0x0
	v_cndmask_b32_e64 v4, 0, 1, s0
	v_mov_b32_e32 v5, s3
	global_store_b64 v[2:3], v[4:5], off
.LBB86_1773:
	s_and_not1_b32 vcc_lo, exec_lo, s3
	s_cbranch_vccnz .LBB86_1775
; %bb.1774:
	s_wait_xcnt 0x0
	v_cndmask_b32_e64 v1, 0, 1, s0
	global_store_b32 v[2:3], v1, off
.LBB86_1775:
	s_mov_b32 s3, 0
.LBB86_1776:
	s_delay_alu instid0(SALU_CYCLE_1)
	s_and_not1_b32 vcc_lo, exec_lo, s3
	s_cbranch_vccnz .LBB86_1778
; %bb.1777:
	s_wait_xcnt 0x0
	v_cndmask_b32_e64 v1, 0, 1, s0
	global_store_b16 v[2:3], v1, off
.LBB86_1778:
	s_mov_b32 s3, 0
.LBB86_1779:
	s_delay_alu instid0(SALU_CYCLE_1)
	s_and_not1_b32 vcc_lo, exec_lo, s3
	s_cbranch_vccnz .LBB86_1784
; %bb.1780:
	s_wait_xcnt 0x0
	v_cndmask_b32_e64 v1, 0, 1, s0
	s_cmp_gt_i32 s1, 0
	s_mov_b32 s0, -1
	s_cbranch_scc0 .LBB86_1782
; %bb.1781:
	s_mov_b32 s0, 0
	global_store_b8 v[2:3], v1, off
.LBB86_1782:
	s_and_not1_b32 vcc_lo, exec_lo, s0
	s_cbranch_vccnz .LBB86_1784
; %bb.1783:
	global_store_b8 v[2:3], v1, off
.LBB86_1784:
	s_mov_b32 s7, -1
.LBB86_1785:
	s_delay_alu instid0(SALU_CYCLE_1)
	s_and_not1_b32 vcc_lo, exec_lo, s7
	s_cbranch_vccnz .LBB86_1981
; %bb.1786:
	v_add_nc_u32_e32 v0, s2, v0
	v_cmp_eq_f16_e64 s0, 0xfc00, v7
	s_cmp_lt_i32 s13, 11
	s_wait_xcnt 0x0
	v_ashrrev_i32_e32 v1, 31, v0
	s_delay_alu instid0(VALU_DEP_1)
	v_add_nc_u64_e32 v[2:3], s[4:5], v[0:1]
	s_cbranch_scc1 .LBB86_1864
; %bb.1787:
	s_and_b32 s3, 0xffff, s13
	s_mov_b32 s8, -1
	s_mov_b32 s6, 0
	s_cmp_gt_i32 s3, 25
	s_mov_b32 s7, 0
	s_mov_b32 s1, 0
	s_cbranch_scc0 .LBB86_1820
; %bb.1788:
	s_cmp_gt_i32 s3, 28
	s_cbranch_scc0 .LBB86_1803
; %bb.1789:
	s_cmp_gt_i32 s3, 43
	;; [unrolled: 3-line block ×3, first 2 shown]
	s_cbranch_scc0 .LBB86_1793
; %bb.1791:
	s_mov_b32 s1, -1
	s_mov_b32 s8, 0
	s_cmp_eq_u32 s3, 46
	s_cbranch_scc0 .LBB86_1793
; %bb.1792:
	v_cndmask_b32_e64 v1, 0, 1.0, s0
	s_mov_b32 s1, 0
	s_mov_b32 s7, -1
	s_delay_alu instid0(VALU_DEP_1) | instskip(NEXT) | instid1(VALU_DEP_1)
	v_bfe_u32 v4, v1, 16, 1
	v_add3_u32 v1, v1, v4, 0x7fff
	s_delay_alu instid0(VALU_DEP_1)
	v_lshrrev_b32_e32 v1, 16, v1
	global_store_b32 v[2:3], v1, off
.LBB86_1793:
	s_and_b32 vcc_lo, exec_lo, s8
	s_cbranch_vccz .LBB86_1798
; %bb.1794:
	s_cmp_eq_u32 s3, 44
	s_mov_b32 s1, -1
	s_cbranch_scc0 .LBB86_1798
; %bb.1795:
	v_cndmask_b32_e64 v5, 0, 1.0, s0
	s_mov_b32 s7, exec_lo
	s_wait_xcnt 0x0
	s_delay_alu instid0(VALU_DEP_1) | instskip(NEXT) | instid1(VALU_DEP_1)
	v_dual_mov_b32 v4, 0xff :: v_dual_lshrrev_b32 v1, 23, v5
	v_cmpx_ne_u32_e32 0xff, v1
; %bb.1796:
	v_and_b32_e32 v4, 0x400000, v5
	v_and_or_b32 v5, 0x3fffff, v5, v1
	s_delay_alu instid0(VALU_DEP_2) | instskip(NEXT) | instid1(VALU_DEP_2)
	v_cmp_ne_u32_e32 vcc_lo, 0, v4
	v_cmp_ne_u32_e64 s1, 0, v5
	s_and_b32 s1, vcc_lo, s1
	s_delay_alu instid0(SALU_CYCLE_1) | instskip(NEXT) | instid1(VALU_DEP_1)
	v_cndmask_b32_e64 v4, 0, 1, s1
	v_add_nc_u32_e32 v4, v1, v4
; %bb.1797:
	s_or_b32 exec_lo, exec_lo, s7
	s_mov_b32 s1, 0
	s_mov_b32 s7, -1
	global_store_b8 v[2:3], v4, off
.LBB86_1798:
	s_mov_b32 s8, 0
.LBB86_1799:
	s_delay_alu instid0(SALU_CYCLE_1)
	s_and_b32 vcc_lo, exec_lo, s8
	s_cbranch_vccz .LBB86_1802
; %bb.1800:
	s_cmp_eq_u32 s3, 29
	s_mov_b32 s1, -1
	s_cbranch_scc0 .LBB86_1802
; %bb.1801:
	s_mov_b32 s1, 0
	s_wait_xcnt 0x0
	v_cndmask_b32_e64 v4, 0, 1, s0
	v_mov_b32_e32 v5, s1
	s_mov_b32 s7, -1
	global_store_b64 v[2:3], v[4:5], off
.LBB86_1802:
	s_mov_b32 s8, 0
.LBB86_1803:
	s_delay_alu instid0(SALU_CYCLE_1)
	s_and_b32 vcc_lo, exec_lo, s8
	s_cbranch_vccz .LBB86_1819
; %bb.1804:
	s_cmp_lt_i32 s3, 27
	s_mov_b32 s7, -1
	s_cbranch_scc1 .LBB86_1810
; %bb.1805:
	s_cmp_gt_i32 s3, 27
	s_cbranch_scc0 .LBB86_1807
; %bb.1806:
	s_wait_xcnt 0x0
	v_cndmask_b32_e64 v1, 0, 1, s0
	s_mov_b32 s7, 0
	global_store_b32 v[2:3], v1, off
.LBB86_1807:
	s_and_not1_b32 vcc_lo, exec_lo, s7
	s_cbranch_vccnz .LBB86_1809
; %bb.1808:
	s_wait_xcnt 0x0
	v_cndmask_b32_e64 v1, 0, 1, s0
	global_store_b16 v[2:3], v1, off
.LBB86_1809:
	s_mov_b32 s7, 0
.LBB86_1810:
	s_delay_alu instid0(SALU_CYCLE_1)
	s_and_not1_b32 vcc_lo, exec_lo, s7
	s_cbranch_vccnz .LBB86_1818
; %bb.1811:
	s_wait_xcnt 0x0
	v_cndmask_b32_e64 v4, 0, 1.0, s0
	v_mov_b32_e32 v5, 0x80
	s_mov_b32 s7, exec_lo
	s_delay_alu instid0(VALU_DEP_2)
	v_cmpx_gt_u32_e32 0x43800000, v4
	s_cbranch_execz .LBB86_1817
; %bb.1812:
	s_mov_b32 s8, 0
	s_mov_b32 s10, exec_lo
                                        ; implicit-def: $vgpr1
	v_cmpx_lt_u32_e32 0x3bffffff, v4
	s_xor_b32 s10, exec_lo, s10
	s_cbranch_execz .LBB86_2038
; %bb.1813:
	v_bfe_u32 v1, v4, 20, 1
	s_mov_b32 s8, exec_lo
	s_delay_alu instid0(VALU_DEP_1) | instskip(NEXT) | instid1(VALU_DEP_1)
	v_add3_u32 v1, v4, v1, 0x487ffff
                                        ; implicit-def: $vgpr4
	v_lshrrev_b32_e32 v1, 20, v1
	s_and_not1_saveexec_b32 s10, s10
	s_cbranch_execnz .LBB86_2039
.LBB86_1814:
	s_or_b32 exec_lo, exec_lo, s10
	v_mov_b32_e32 v5, 0
	s_and_saveexec_b32 s10, s8
.LBB86_1815:
	v_mov_b32_e32 v5, v1
.LBB86_1816:
	s_or_b32 exec_lo, exec_lo, s10
.LBB86_1817:
	s_delay_alu instid0(SALU_CYCLE_1)
	s_or_b32 exec_lo, exec_lo, s7
	global_store_b8 v[2:3], v5, off
.LBB86_1818:
	s_mov_b32 s7, -1
.LBB86_1819:
	s_mov_b32 s8, 0
.LBB86_1820:
	s_delay_alu instid0(SALU_CYCLE_1)
	s_and_b32 vcc_lo, exec_lo, s8
	s_cbranch_vccz .LBB86_1860
; %bb.1821:
	s_cmp_gt_i32 s3, 22
	s_mov_b32 s6, -1
	s_cbranch_scc0 .LBB86_1853
; %bb.1822:
	s_cmp_lt_i32 s3, 24
	s_cbranch_scc1 .LBB86_1842
; %bb.1823:
	s_cmp_gt_i32 s3, 24
	s_cbranch_scc0 .LBB86_1831
; %bb.1824:
	s_wait_xcnt 0x0
	v_cndmask_b32_e64 v4, 0, 1.0, s0
	v_mov_b32_e32 v5, 0x80
	s_mov_b32 s6, exec_lo
	s_delay_alu instid0(VALU_DEP_2)
	v_cmpx_gt_u32_e32 0x47800000, v4
	s_cbranch_execz .LBB86_1830
; %bb.1825:
	s_mov_b32 s7, 0
	s_mov_b32 s8, exec_lo
                                        ; implicit-def: $vgpr1
	v_cmpx_lt_u32_e32 0x37ffffff, v4
	s_xor_b32 s8, exec_lo, s8
	s_cbranch_execz .LBB86_2041
; %bb.1826:
	v_bfe_u32 v1, v4, 21, 1
	s_mov_b32 s7, exec_lo
	s_delay_alu instid0(VALU_DEP_1) | instskip(NEXT) | instid1(VALU_DEP_1)
	v_add3_u32 v1, v4, v1, 0x88fffff
                                        ; implicit-def: $vgpr4
	v_lshrrev_b32_e32 v1, 21, v1
	s_and_not1_saveexec_b32 s8, s8
	s_cbranch_execnz .LBB86_2042
.LBB86_1827:
	s_or_b32 exec_lo, exec_lo, s8
	v_mov_b32_e32 v5, 0
	s_and_saveexec_b32 s8, s7
.LBB86_1828:
	v_mov_b32_e32 v5, v1
.LBB86_1829:
	s_or_b32 exec_lo, exec_lo, s8
.LBB86_1830:
	s_delay_alu instid0(SALU_CYCLE_1)
	s_or_b32 exec_lo, exec_lo, s6
	s_mov_b32 s6, 0
	global_store_b8 v[2:3], v5, off
.LBB86_1831:
	s_and_b32 vcc_lo, exec_lo, s6
	s_cbranch_vccz .LBB86_1841
; %bb.1832:
	s_wait_xcnt 0x0
	v_cndmask_b32_e64 v4, 0, 1.0, s0
	s_mov_b32 s6, exec_lo
                                        ; implicit-def: $vgpr1
	s_delay_alu instid0(VALU_DEP_1)
	v_cmpx_gt_u32_e32 0x43f00000, v4
	s_xor_b32 s6, exec_lo, s6
	s_cbranch_execz .LBB86_1838
; %bb.1833:
	s_mov_b32 s7, exec_lo
                                        ; implicit-def: $vgpr1
	v_cmpx_lt_u32_e32 0x3c7fffff, v4
	s_xor_b32 s7, exec_lo, s7
; %bb.1834:
	v_bfe_u32 v1, v4, 20, 1
	s_delay_alu instid0(VALU_DEP_1) | instskip(NEXT) | instid1(VALU_DEP_1)
	v_add3_u32 v1, v4, v1, 0x407ffff
	v_and_b32_e32 v4, 0xff00000, v1
	v_lshrrev_b32_e32 v1, 20, v1
	s_delay_alu instid0(VALU_DEP_2) | instskip(NEXT) | instid1(VALU_DEP_2)
	v_cmp_ne_u32_e32 vcc_lo, 0x7f00000, v4
                                        ; implicit-def: $vgpr4
	v_cndmask_b32_e32 v1, 0x7e, v1, vcc_lo
; %bb.1835:
	s_and_not1_saveexec_b32 s7, s7
; %bb.1836:
	v_add_f32_e32 v1, 0x46800000, v4
; %bb.1837:
	s_or_b32 exec_lo, exec_lo, s7
                                        ; implicit-def: $vgpr4
.LBB86_1838:
	s_and_not1_saveexec_b32 s6, s6
; %bb.1839:
	v_mov_b32_e32 v1, 0x7f
	v_cmp_lt_u32_e32 vcc_lo, 0x7f800000, v4
	s_delay_alu instid0(VALU_DEP_2)
	v_cndmask_b32_e32 v1, 0x7e, v1, vcc_lo
; %bb.1840:
	s_or_b32 exec_lo, exec_lo, s6
	global_store_b8 v[2:3], v1, off
.LBB86_1841:
	s_mov_b32 s6, 0
.LBB86_1842:
	s_delay_alu instid0(SALU_CYCLE_1)
	s_and_not1_b32 vcc_lo, exec_lo, s6
	s_cbranch_vccnz .LBB86_1852
; %bb.1843:
	s_wait_xcnt 0x0
	v_cndmask_b32_e64 v4, 0, 1.0, s0
	s_mov_b32 s6, exec_lo
                                        ; implicit-def: $vgpr1
	s_delay_alu instid0(VALU_DEP_1)
	v_cmpx_gt_u32_e32 0x47800000, v4
	s_xor_b32 s6, exec_lo, s6
	s_cbranch_execz .LBB86_1849
; %bb.1844:
	s_mov_b32 s7, exec_lo
                                        ; implicit-def: $vgpr1
	v_cmpx_lt_u32_e32 0x387fffff, v4
	s_xor_b32 s7, exec_lo, s7
; %bb.1845:
	v_bfe_u32 v1, v4, 21, 1
	s_delay_alu instid0(VALU_DEP_1) | instskip(NEXT) | instid1(VALU_DEP_1)
	v_add3_u32 v1, v4, v1, 0x80fffff
                                        ; implicit-def: $vgpr4
	v_lshrrev_b32_e32 v1, 21, v1
; %bb.1846:
	s_and_not1_saveexec_b32 s7, s7
; %bb.1847:
	v_add_f32_e32 v1, 0x43000000, v4
; %bb.1848:
	s_or_b32 exec_lo, exec_lo, s7
                                        ; implicit-def: $vgpr4
.LBB86_1849:
	s_and_not1_saveexec_b32 s6, s6
; %bb.1850:
	v_mov_b32_e32 v1, 0x7f
	v_cmp_lt_u32_e32 vcc_lo, 0x7f800000, v4
	s_delay_alu instid0(VALU_DEP_2)
	v_cndmask_b32_e32 v1, 0x7c, v1, vcc_lo
; %bb.1851:
	s_or_b32 exec_lo, exec_lo, s6
	global_store_b8 v[2:3], v1, off
.LBB86_1852:
	s_mov_b32 s6, 0
	s_mov_b32 s7, -1
.LBB86_1853:
	s_and_not1_b32 vcc_lo, exec_lo, s6
	s_mov_b32 s6, 0
	s_cbranch_vccnz .LBB86_1860
; %bb.1854:
	s_cmp_gt_i32 s3, 14
	s_mov_b32 s6, -1
	s_cbranch_scc0 .LBB86_1858
; %bb.1855:
	s_cmp_eq_u32 s3, 15
	s_mov_b32 s1, -1
	s_cbranch_scc0 .LBB86_1857
; %bb.1856:
	s_wait_xcnt 0x0
	v_cndmask_b32_e64 v1, 0, 1.0, s0
	s_mov_b32 s1, 0
	s_mov_b32 s7, -1
	s_delay_alu instid0(VALU_DEP_1) | instskip(NEXT) | instid1(VALU_DEP_1)
	v_bfe_u32 v4, v1, 16, 1
	v_add3_u32 v1, v1, v4, 0x7fff
	global_store_d16_hi_b16 v[2:3], v1, off
.LBB86_1857:
	s_mov_b32 s6, 0
.LBB86_1858:
	s_delay_alu instid0(SALU_CYCLE_1)
	s_and_b32 vcc_lo, exec_lo, s6
	s_mov_b32 s6, 0
	s_cbranch_vccz .LBB86_1860
; %bb.1859:
	s_cmp_lg_u32 s3, 11
	s_mov_b32 s6, -1
	s_cselect_b32 s1, -1, 0
.LBB86_1860:
	s_delay_alu instid0(SALU_CYCLE_1)
	s_and_b32 vcc_lo, exec_lo, s1
	s_cbranch_vccnz .LBB86_2040
; %bb.1861:
	s_and_not1_b32 vcc_lo, exec_lo, s6
	s_cbranch_vccnz .LBB86_1863
.LBB86_1862:
	s_wait_xcnt 0x0
	v_cndmask_b32_e64 v1, 0, 1, s0
	s_mov_b32 s7, -1
	global_store_b8 v[2:3], v1, off
.LBB86_1863:
	s_mov_b32 s1, 0
	s_branch .LBB86_1865
.LBB86_1864:
	s_mov_b32 s1, -1
	s_mov_b32 s7, 0
.LBB86_1865:
	s_and_b32 vcc_lo, exec_lo, s1
	s_cbranch_vccz .LBB86_1904
; %bb.1866:
	s_and_b32 s1, 0xffff, s13
	s_mov_b32 s3, -1
	s_cmp_lt_i32 s1, 5
	s_cbranch_scc1 .LBB86_1887
; %bb.1867:
	s_cmp_lt_i32 s1, 8
	s_cbranch_scc1 .LBB86_1877
; %bb.1868:
	;; [unrolled: 3-line block ×3, first 2 shown]
	s_cmp_gt_i32 s1, 9
	s_cbranch_scc0 .LBB86_1871
; %bb.1870:
	s_wait_xcnt 0x0
	v_cndmask_b32_e64 v1, 0, 1, s0
	v_mov_b32_e32 v6, 0
	s_mov_b32 s3, 0
	s_delay_alu instid0(VALU_DEP_2) | instskip(NEXT) | instid1(VALU_DEP_2)
	v_cvt_f64_u32_e32 v[4:5], v1
	v_mov_b32_e32 v7, v6
	global_store_b128 v[2:3], v[4:7], off
.LBB86_1871:
	s_and_not1_b32 vcc_lo, exec_lo, s3
	s_cbranch_vccnz .LBB86_1873
; %bb.1872:
	s_wait_xcnt 0x0
	v_cndmask_b32_e64 v4, 0, 1.0, s0
	v_mov_b32_e32 v5, 0
	global_store_b64 v[2:3], v[4:5], off
.LBB86_1873:
	s_mov_b32 s3, 0
.LBB86_1874:
	s_delay_alu instid0(SALU_CYCLE_1)
	s_and_not1_b32 vcc_lo, exec_lo, s3
	s_cbranch_vccnz .LBB86_1876
; %bb.1875:
	s_wait_xcnt 0x0
	v_cndmask_b32_e64 v1, 0, 1.0, s0
	s_delay_alu instid0(VALU_DEP_1) | instskip(NEXT) | instid1(VALU_DEP_1)
	v_cvt_f16_f32_e32 v1, v1
	v_and_b32_e32 v1, 0xffff, v1
	global_store_b32 v[2:3], v1, off
.LBB86_1876:
	s_mov_b32 s3, 0
.LBB86_1877:
	s_delay_alu instid0(SALU_CYCLE_1)
	s_and_not1_b32 vcc_lo, exec_lo, s3
	s_cbranch_vccnz .LBB86_1886
; %bb.1878:
	s_cmp_lt_i32 s1, 6
	s_mov_b32 s3, -1
	s_cbranch_scc1 .LBB86_1884
; %bb.1879:
	s_cmp_gt_i32 s1, 6
	s_cbranch_scc0 .LBB86_1881
; %bb.1880:
	s_wait_xcnt 0x0
	v_cndmask_b32_e64 v1, 0, 1, s0
	s_mov_b32 s3, 0
	s_delay_alu instid0(VALU_DEP_1)
	v_cvt_f64_u32_e32 v[4:5], v1
	global_store_b64 v[2:3], v[4:5], off
.LBB86_1881:
	s_and_not1_b32 vcc_lo, exec_lo, s3
	s_cbranch_vccnz .LBB86_1883
; %bb.1882:
	s_wait_xcnt 0x0
	v_cndmask_b32_e64 v1, 0, 1.0, s0
	global_store_b32 v[2:3], v1, off
.LBB86_1883:
	s_mov_b32 s3, 0
.LBB86_1884:
	s_delay_alu instid0(SALU_CYCLE_1)
	s_and_not1_b32 vcc_lo, exec_lo, s3
	s_cbranch_vccnz .LBB86_1886
; %bb.1885:
	s_wait_xcnt 0x0
	v_cndmask_b32_e64 v1, 0, 1.0, s0
	s_delay_alu instid0(VALU_DEP_1)
	v_cvt_f16_f32_e32 v1, v1
	global_store_b16 v[2:3], v1, off
.LBB86_1886:
	s_mov_b32 s3, 0
.LBB86_1887:
	s_delay_alu instid0(SALU_CYCLE_1)
	s_and_not1_b32 vcc_lo, exec_lo, s3
	s_cbranch_vccnz .LBB86_1903
; %bb.1888:
	s_cmp_lt_i32 s1, 2
	s_mov_b32 s3, -1
	s_cbranch_scc1 .LBB86_1898
; %bb.1889:
	s_cmp_lt_i32 s1, 3
	s_cbranch_scc1 .LBB86_1895
; %bb.1890:
	s_cmp_gt_i32 s1, 3
	s_cbranch_scc0 .LBB86_1892
; %bb.1891:
	s_mov_b32 s3, 0
	s_wait_xcnt 0x0
	v_cndmask_b32_e64 v4, 0, 1, s0
	v_mov_b32_e32 v5, s3
	global_store_b64 v[2:3], v[4:5], off
.LBB86_1892:
	s_and_not1_b32 vcc_lo, exec_lo, s3
	s_cbranch_vccnz .LBB86_1894
; %bb.1893:
	s_wait_xcnt 0x0
	v_cndmask_b32_e64 v1, 0, 1, s0
	global_store_b32 v[2:3], v1, off
.LBB86_1894:
	s_mov_b32 s3, 0
.LBB86_1895:
	s_delay_alu instid0(SALU_CYCLE_1)
	s_and_not1_b32 vcc_lo, exec_lo, s3
	s_cbranch_vccnz .LBB86_1897
; %bb.1896:
	s_wait_xcnt 0x0
	v_cndmask_b32_e64 v1, 0, 1, s0
	global_store_b16 v[2:3], v1, off
.LBB86_1897:
	s_mov_b32 s3, 0
.LBB86_1898:
	s_delay_alu instid0(SALU_CYCLE_1)
	s_and_not1_b32 vcc_lo, exec_lo, s3
	s_cbranch_vccnz .LBB86_1903
; %bb.1899:
	s_wait_xcnt 0x0
	v_cndmask_b32_e64 v1, 0, 1, s0
	s_cmp_gt_i32 s1, 0
	s_mov_b32 s0, -1
	s_cbranch_scc0 .LBB86_1901
; %bb.1900:
	s_mov_b32 s0, 0
	global_store_b8 v[2:3], v1, off
.LBB86_1901:
	s_and_not1_b32 vcc_lo, exec_lo, s0
	s_cbranch_vccnz .LBB86_1903
; %bb.1902:
	global_store_b8 v[2:3], v1, off
.LBB86_1903:
	s_mov_b32 s7, -1
.LBB86_1904:
	s_delay_alu instid0(SALU_CYCLE_1)
	s_and_not1_b32 vcc_lo, exec_lo, s7
	s_cbranch_vccnz .LBB86_1981
; %bb.1905:
	v_add_nc_u32_e32 v0, s2, v0
	v_cmp_eq_f16_e64 s1, 0xfc00, v8
	s_cmp_lt_i32 s13, 11
	s_wait_xcnt 0x0
	v_ashrrev_i32_e32 v1, 31, v0
	s_delay_alu instid0(VALU_DEP_1)
	v_add_nc_u64_e32 v[0:1], s[4:5], v[0:1]
	s_cbranch_scc1 .LBB86_2026
; %bb.1906:
	s_and_b32 s2, 0xffff, s13
	s_mov_b32 s4, -1
	s_mov_b32 s3, 0
	s_cmp_gt_i32 s2, 25
	s_mov_b32 s0, 0
	s_cbranch_scc0 .LBB86_1939
; %bb.1907:
	s_cmp_gt_i32 s2, 28
	s_cbranch_scc0 .LBB86_1923
; %bb.1908:
	s_cmp_gt_i32 s2, 43
	;; [unrolled: 3-line block ×3, first 2 shown]
	s_cbranch_scc0 .LBB86_1913
; %bb.1910:
	s_cmp_eq_u32 s2, 46
	s_mov_b32 s0, -1
	s_cbranch_scc0 .LBB86_1912
; %bb.1911:
	v_cndmask_b32_e64 v2, 0, 1.0, s1
	s_mov_b32 s0, 0
	s_delay_alu instid0(VALU_DEP_1) | instskip(NEXT) | instid1(VALU_DEP_1)
	v_bfe_u32 v3, v2, 16, 1
	v_add3_u32 v2, v2, v3, 0x7fff
	s_delay_alu instid0(VALU_DEP_1)
	v_lshrrev_b32_e32 v2, 16, v2
	global_store_b32 v[0:1], v2, off
.LBB86_1912:
	s_mov_b32 s4, 0
.LBB86_1913:
	s_delay_alu instid0(SALU_CYCLE_1)
	s_and_b32 vcc_lo, exec_lo, s4
	s_cbranch_vccz .LBB86_1918
; %bb.1914:
	s_cmp_eq_u32 s2, 44
	s_mov_b32 s0, -1
	s_cbranch_scc0 .LBB86_1918
; %bb.1915:
	v_cndmask_b32_e64 v4, 0, 1.0, s1
	s_mov_b32 s4, exec_lo
	s_wait_xcnt 0x0
	s_delay_alu instid0(VALU_DEP_1) | instskip(NEXT) | instid1(VALU_DEP_1)
	v_dual_mov_b32 v3, 0xff :: v_dual_lshrrev_b32 v2, 23, v4
	v_cmpx_ne_u32_e32 0xff, v2
; %bb.1916:
	v_and_b32_e32 v3, 0x400000, v4
	v_and_or_b32 v4, 0x3fffff, v4, v2
	s_delay_alu instid0(VALU_DEP_2) | instskip(NEXT) | instid1(VALU_DEP_2)
	v_cmp_ne_u32_e32 vcc_lo, 0, v3
	v_cmp_ne_u32_e64 s0, 0, v4
	s_and_b32 s0, vcc_lo, s0
	s_delay_alu instid0(SALU_CYCLE_1) | instskip(NEXT) | instid1(VALU_DEP_1)
	v_cndmask_b32_e64 v3, 0, 1, s0
	v_add_nc_u32_e32 v3, v2, v3
; %bb.1917:
	s_or_b32 exec_lo, exec_lo, s4
	s_mov_b32 s0, 0
	global_store_b8 v[0:1], v3, off
.LBB86_1918:
	s_mov_b32 s4, 0
.LBB86_1919:
	s_delay_alu instid0(SALU_CYCLE_1)
	s_and_b32 vcc_lo, exec_lo, s4
	s_cbranch_vccz .LBB86_1922
; %bb.1920:
	s_cmp_eq_u32 s2, 29
	s_mov_b32 s0, -1
	s_cbranch_scc0 .LBB86_1922
; %bb.1921:
	s_mov_b32 s0, 0
	s_wait_xcnt 0x0
	v_cndmask_b32_e64 v2, 0, 1, s1
	v_mov_b32_e32 v3, s0
	global_store_b64 v[0:1], v[2:3], off
.LBB86_1922:
	s_mov_b32 s4, 0
.LBB86_1923:
	s_delay_alu instid0(SALU_CYCLE_1)
	s_and_b32 vcc_lo, exec_lo, s4
	s_cbranch_vccz .LBB86_1938
; %bb.1924:
	s_cmp_lt_i32 s2, 27
	s_mov_b32 s4, -1
	s_cbranch_scc1 .LBB86_1930
; %bb.1925:
	s_wait_xcnt 0x0
	v_cndmask_b32_e64 v2, 0, 1, s1
	s_cmp_gt_i32 s2, 27
	s_cbranch_scc0 .LBB86_1927
; %bb.1926:
	s_mov_b32 s4, 0
	global_store_b32 v[0:1], v2, off
.LBB86_1927:
	s_and_not1_b32 vcc_lo, exec_lo, s4
	s_cbranch_vccnz .LBB86_1929
; %bb.1928:
	global_store_b16 v[0:1], v2, off
.LBB86_1929:
	s_mov_b32 s4, 0
.LBB86_1930:
	s_delay_alu instid0(SALU_CYCLE_1)
	s_and_not1_b32 vcc_lo, exec_lo, s4
	s_cbranch_vccnz .LBB86_1938
; %bb.1931:
	s_wait_xcnt 0x0
	v_cndmask_b32_e64 v3, 0, 1.0, s1
	v_mov_b32_e32 v4, 0x80
	s_mov_b32 s4, exec_lo
	s_delay_alu instid0(VALU_DEP_2)
	v_cmpx_gt_u32_e32 0x43800000, v3
	s_cbranch_execz .LBB86_1937
; %bb.1932:
	s_mov_b32 s5, 0
	s_mov_b32 s6, exec_lo
                                        ; implicit-def: $vgpr2
	v_cmpx_lt_u32_e32 0x3bffffff, v3
	s_xor_b32 s6, exec_lo, s6
	s_cbranch_execz .LBB86_2043
; %bb.1933:
	v_bfe_u32 v2, v3, 20, 1
	s_mov_b32 s5, exec_lo
	s_delay_alu instid0(VALU_DEP_1) | instskip(NEXT) | instid1(VALU_DEP_1)
	v_add3_u32 v2, v3, v2, 0x487ffff
                                        ; implicit-def: $vgpr3
	v_lshrrev_b32_e32 v2, 20, v2
	s_and_not1_saveexec_b32 s6, s6
	s_cbranch_execnz .LBB86_2044
.LBB86_1934:
	s_or_b32 exec_lo, exec_lo, s6
	v_mov_b32_e32 v4, 0
	s_and_saveexec_b32 s6, s5
.LBB86_1935:
	v_mov_b32_e32 v4, v2
.LBB86_1936:
	s_or_b32 exec_lo, exec_lo, s6
.LBB86_1937:
	s_delay_alu instid0(SALU_CYCLE_1)
	s_or_b32 exec_lo, exec_lo, s4
	global_store_b8 v[0:1], v4, off
.LBB86_1938:
	s_mov_b32 s4, 0
.LBB86_1939:
	s_delay_alu instid0(SALU_CYCLE_1)
	s_and_b32 vcc_lo, exec_lo, s4
	s_cbranch_vccz .LBB86_1979
; %bb.1940:
	s_cmp_gt_i32 s2, 22
	s_mov_b32 s3, -1
	s_cbranch_scc0 .LBB86_1972
; %bb.1941:
	s_cmp_lt_i32 s2, 24
	s_cbranch_scc1 .LBB86_1961
; %bb.1942:
	s_cmp_gt_i32 s2, 24
	s_cbranch_scc0 .LBB86_1950
; %bb.1943:
	s_wait_xcnt 0x0
	v_cndmask_b32_e64 v3, 0, 1.0, s1
	v_mov_b32_e32 v4, 0x80
	s_mov_b32 s3, exec_lo
	s_delay_alu instid0(VALU_DEP_2)
	v_cmpx_gt_u32_e32 0x47800000, v3
	s_cbranch_execz .LBB86_1949
; %bb.1944:
	s_mov_b32 s4, 0
	s_mov_b32 s5, exec_lo
                                        ; implicit-def: $vgpr2
	v_cmpx_lt_u32_e32 0x37ffffff, v3
	s_xor_b32 s5, exec_lo, s5
	s_cbranch_execz .LBB86_2046
; %bb.1945:
	v_bfe_u32 v2, v3, 21, 1
	s_mov_b32 s4, exec_lo
	s_delay_alu instid0(VALU_DEP_1) | instskip(NEXT) | instid1(VALU_DEP_1)
	v_add3_u32 v2, v3, v2, 0x88fffff
                                        ; implicit-def: $vgpr3
	v_lshrrev_b32_e32 v2, 21, v2
	s_and_not1_saveexec_b32 s5, s5
	s_cbranch_execnz .LBB86_2047
.LBB86_1946:
	s_or_b32 exec_lo, exec_lo, s5
	v_mov_b32_e32 v4, 0
	s_and_saveexec_b32 s5, s4
.LBB86_1947:
	v_mov_b32_e32 v4, v2
.LBB86_1948:
	s_or_b32 exec_lo, exec_lo, s5
.LBB86_1949:
	s_delay_alu instid0(SALU_CYCLE_1)
	s_or_b32 exec_lo, exec_lo, s3
	s_mov_b32 s3, 0
	global_store_b8 v[0:1], v4, off
.LBB86_1950:
	s_and_b32 vcc_lo, exec_lo, s3
	s_cbranch_vccz .LBB86_1960
; %bb.1951:
	s_wait_xcnt 0x0
	v_cndmask_b32_e64 v3, 0, 1.0, s1
	s_mov_b32 s3, exec_lo
                                        ; implicit-def: $vgpr2
	s_delay_alu instid0(VALU_DEP_1)
	v_cmpx_gt_u32_e32 0x43f00000, v3
	s_xor_b32 s3, exec_lo, s3
	s_cbranch_execz .LBB86_1957
; %bb.1952:
	s_mov_b32 s4, exec_lo
                                        ; implicit-def: $vgpr2
	v_cmpx_lt_u32_e32 0x3c7fffff, v3
	s_xor_b32 s4, exec_lo, s4
; %bb.1953:
	v_bfe_u32 v2, v3, 20, 1
	s_delay_alu instid0(VALU_DEP_1) | instskip(NEXT) | instid1(VALU_DEP_1)
	v_add3_u32 v2, v3, v2, 0x407ffff
	v_and_b32_e32 v3, 0xff00000, v2
	v_lshrrev_b32_e32 v2, 20, v2
	s_delay_alu instid0(VALU_DEP_2) | instskip(NEXT) | instid1(VALU_DEP_2)
	v_cmp_ne_u32_e32 vcc_lo, 0x7f00000, v3
                                        ; implicit-def: $vgpr3
	v_cndmask_b32_e32 v2, 0x7e, v2, vcc_lo
; %bb.1954:
	s_and_not1_saveexec_b32 s4, s4
; %bb.1955:
	v_add_f32_e32 v2, 0x46800000, v3
; %bb.1956:
	s_or_b32 exec_lo, exec_lo, s4
                                        ; implicit-def: $vgpr3
.LBB86_1957:
	s_and_not1_saveexec_b32 s3, s3
; %bb.1958:
	v_mov_b32_e32 v2, 0x7f
	v_cmp_lt_u32_e32 vcc_lo, 0x7f800000, v3
	s_delay_alu instid0(VALU_DEP_2)
	v_cndmask_b32_e32 v2, 0x7e, v2, vcc_lo
; %bb.1959:
	s_or_b32 exec_lo, exec_lo, s3
	global_store_b8 v[0:1], v2, off
.LBB86_1960:
	s_mov_b32 s3, 0
.LBB86_1961:
	s_delay_alu instid0(SALU_CYCLE_1)
	s_and_not1_b32 vcc_lo, exec_lo, s3
	s_cbranch_vccnz .LBB86_1971
; %bb.1962:
	s_wait_xcnt 0x0
	v_cndmask_b32_e64 v3, 0, 1.0, s1
	s_mov_b32 s3, exec_lo
                                        ; implicit-def: $vgpr2
	s_delay_alu instid0(VALU_DEP_1)
	v_cmpx_gt_u32_e32 0x47800000, v3
	s_xor_b32 s3, exec_lo, s3
	s_cbranch_execz .LBB86_1968
; %bb.1963:
	s_mov_b32 s4, exec_lo
                                        ; implicit-def: $vgpr2
	v_cmpx_lt_u32_e32 0x387fffff, v3
	s_xor_b32 s4, exec_lo, s4
; %bb.1964:
	v_bfe_u32 v2, v3, 21, 1
	s_delay_alu instid0(VALU_DEP_1) | instskip(NEXT) | instid1(VALU_DEP_1)
	v_add3_u32 v2, v3, v2, 0x80fffff
                                        ; implicit-def: $vgpr3
	v_lshrrev_b32_e32 v2, 21, v2
; %bb.1965:
	s_and_not1_saveexec_b32 s4, s4
; %bb.1966:
	v_add_f32_e32 v2, 0x43000000, v3
; %bb.1967:
	s_or_b32 exec_lo, exec_lo, s4
                                        ; implicit-def: $vgpr3
.LBB86_1968:
	s_and_not1_saveexec_b32 s3, s3
; %bb.1969:
	v_mov_b32_e32 v2, 0x7f
	v_cmp_lt_u32_e32 vcc_lo, 0x7f800000, v3
	s_delay_alu instid0(VALU_DEP_2)
	v_cndmask_b32_e32 v2, 0x7c, v2, vcc_lo
; %bb.1970:
	s_or_b32 exec_lo, exec_lo, s3
	global_store_b8 v[0:1], v2, off
.LBB86_1971:
	s_mov_b32 s3, 0
.LBB86_1972:
	s_delay_alu instid0(SALU_CYCLE_1)
	s_and_not1_b32 vcc_lo, exec_lo, s3
	s_mov_b32 s3, 0
	s_cbranch_vccnz .LBB86_1979
; %bb.1973:
	s_cmp_gt_i32 s2, 14
	s_mov_b32 s3, -1
	s_cbranch_scc0 .LBB86_1977
; %bb.1974:
	s_cmp_eq_u32 s2, 15
	s_mov_b32 s0, -1
	s_cbranch_scc0 .LBB86_1976
; %bb.1975:
	s_wait_xcnt 0x0
	v_cndmask_b32_e64 v2, 0, 1.0, s1
	s_mov_b32 s0, 0
	s_delay_alu instid0(VALU_DEP_1) | instskip(NEXT) | instid1(VALU_DEP_1)
	v_bfe_u32 v3, v2, 16, 1
	v_add3_u32 v2, v2, v3, 0x7fff
	global_store_d16_hi_b16 v[0:1], v2, off
.LBB86_1976:
	s_mov_b32 s3, 0
.LBB86_1977:
	s_delay_alu instid0(SALU_CYCLE_1)
	s_and_b32 vcc_lo, exec_lo, s3
	s_mov_b32 s3, 0
	s_cbranch_vccz .LBB86_1979
; %bb.1978:
	s_cmp_lg_u32 s2, 11
	s_mov_b32 s3, -1
	s_cselect_b32 s0, -1, 0
.LBB86_1979:
	s_delay_alu instid0(SALU_CYCLE_1)
	s_and_b32 vcc_lo, exec_lo, s0
	s_cbranch_vccnz .LBB86_2045
.LBB86_1980:
	s_mov_b32 s0, 0
	s_branch .LBB86_1982
.LBB86_1981:
	s_mov_b32 s0, 0
	s_mov_b32 s3, 0
                                        ; implicit-def: $sgpr1
                                        ; implicit-def: $sgpr13
                                        ; implicit-def: $vgpr0_vgpr1
.LBB86_1982:
	s_and_not1_b32 s2, s12, exec_lo
	s_and_b32 s4, s9, exec_lo
	s_and_b32 s0, s0, exec_lo
	;; [unrolled: 1-line block ×3, first 2 shown]
	s_or_b32 s12, s2, s4
.LBB86_1983:
	s_wait_xcnt 0x0
	s_or_b32 exec_lo, exec_lo, s11
	s_and_saveexec_b32 s2, s12
	s_cbranch_execz .LBB86_1986
; %bb.1984:
	; divergent unreachable
	s_or_b32 exec_lo, exec_lo, s2
	s_and_saveexec_b32 s2, s9
	s_delay_alu instid0(SALU_CYCLE_1)
	s_xor_b32 s2, exec_lo, s2
	s_cbranch_execnz .LBB86_1987
.LBB86_1985:
	s_or_b32 exec_lo, exec_lo, s2
	s_and_saveexec_b32 s2, s0
	s_cbranch_execnz .LBB86_1988
	s_branch .LBB86_2025
.LBB86_1986:
	s_or_b32 exec_lo, exec_lo, s2
	s_and_saveexec_b32 s2, s9
	s_delay_alu instid0(SALU_CYCLE_1)
	s_xor_b32 s2, exec_lo, s2
	s_cbranch_execz .LBB86_1985
.LBB86_1987:
	s_wait_loadcnt 0x0
	v_cndmask_b32_e64 v2, 0, 1, s1
	global_store_b8 v[0:1], v2, off
	s_wait_xcnt 0x0
	s_or_b32 exec_lo, exec_lo, s2
	s_and_saveexec_b32 s2, s0
	s_cbranch_execz .LBB86_2025
.LBB86_1988:
	s_sext_i32_i16 s2, s13
	s_mov_b32 s0, -1
	s_cmp_lt_i32 s2, 5
	s_cbranch_scc1 .LBB86_2009
; %bb.1989:
	s_cmp_lt_i32 s2, 8
	s_cbranch_scc1 .LBB86_1999
; %bb.1990:
	s_cmp_lt_i32 s2, 9
	s_cbranch_scc1 .LBB86_1996
; %bb.1991:
	s_cmp_gt_i32 s2, 9
	s_cbranch_scc0 .LBB86_1993
; %bb.1992:
	s_wait_loadcnt 0x0
	v_cndmask_b32_e64 v2, 0, 1, s1
	v_mov_b32_e32 v4, 0
	s_mov_b32 s0, 0
	s_delay_alu instid0(VALU_DEP_2) | instskip(NEXT) | instid1(VALU_DEP_2)
	v_cvt_f64_u32_e32 v[2:3], v2
	v_mov_b32_e32 v5, v4
	global_store_b128 v[0:1], v[2:5], off
.LBB86_1993:
	s_and_not1_b32 vcc_lo, exec_lo, s0
	s_cbranch_vccnz .LBB86_1995
; %bb.1994:
	s_wait_loadcnt 0x0
	v_cndmask_b32_e64 v2, 0, 1.0, s1
	v_mov_b32_e32 v3, 0
	global_store_b64 v[0:1], v[2:3], off
.LBB86_1995:
	s_mov_b32 s0, 0
.LBB86_1996:
	s_delay_alu instid0(SALU_CYCLE_1)
	s_and_not1_b32 vcc_lo, exec_lo, s0
	s_cbranch_vccnz .LBB86_1998
; %bb.1997:
	s_wait_loadcnt 0x0
	v_cndmask_b32_e64 v2, 0, 1.0, s1
	s_delay_alu instid0(VALU_DEP_1) | instskip(NEXT) | instid1(VALU_DEP_1)
	v_cvt_f16_f32_e32 v2, v2
	v_and_b32_e32 v2, 0xffff, v2
	global_store_b32 v[0:1], v2, off
.LBB86_1998:
	s_mov_b32 s0, 0
.LBB86_1999:
	s_delay_alu instid0(SALU_CYCLE_1)
	s_and_not1_b32 vcc_lo, exec_lo, s0
	s_cbranch_vccnz .LBB86_2008
; %bb.2000:
	s_sext_i32_i16 s2, s13
	s_mov_b32 s0, -1
	s_cmp_lt_i32 s2, 6
	s_cbranch_scc1 .LBB86_2006
; %bb.2001:
	s_cmp_gt_i32 s2, 6
	s_cbranch_scc0 .LBB86_2003
; %bb.2002:
	s_wait_loadcnt 0x0
	v_cndmask_b32_e64 v2, 0, 1, s1
	s_mov_b32 s0, 0
	s_delay_alu instid0(VALU_DEP_1)
	v_cvt_f64_u32_e32 v[2:3], v2
	global_store_b64 v[0:1], v[2:3], off
.LBB86_2003:
	s_and_not1_b32 vcc_lo, exec_lo, s0
	s_cbranch_vccnz .LBB86_2005
; %bb.2004:
	s_wait_loadcnt 0x0
	v_cndmask_b32_e64 v2, 0, 1.0, s1
	global_store_b32 v[0:1], v2, off
.LBB86_2005:
	s_mov_b32 s0, 0
.LBB86_2006:
	s_delay_alu instid0(SALU_CYCLE_1)
	s_and_not1_b32 vcc_lo, exec_lo, s0
	s_cbranch_vccnz .LBB86_2008
; %bb.2007:
	s_wait_loadcnt 0x0
	v_cndmask_b32_e64 v2, 0, 1.0, s1
	s_delay_alu instid0(VALU_DEP_1)
	v_cvt_f16_f32_e32 v2, v2
	global_store_b16 v[0:1], v2, off
.LBB86_2008:
	s_mov_b32 s0, 0
.LBB86_2009:
	s_delay_alu instid0(SALU_CYCLE_1)
	s_and_not1_b32 vcc_lo, exec_lo, s0
	s_cbranch_vccnz .LBB86_2025
; %bb.2010:
	s_sext_i32_i16 s2, s13
	s_mov_b32 s0, -1
	s_cmp_lt_i32 s2, 2
	s_cbranch_scc1 .LBB86_2020
; %bb.2011:
	s_cmp_lt_i32 s2, 3
	s_cbranch_scc1 .LBB86_2017
; %bb.2012:
	s_cmp_gt_i32 s2, 3
	s_cbranch_scc0 .LBB86_2014
; %bb.2013:
	s_mov_b32 s0, 0
	s_wait_loadcnt 0x0
	v_cndmask_b32_e64 v2, 0, 1, s1
	v_mov_b32_e32 v3, s0
	global_store_b64 v[0:1], v[2:3], off
.LBB86_2014:
	s_and_not1_b32 vcc_lo, exec_lo, s0
	s_cbranch_vccnz .LBB86_2016
; %bb.2015:
	s_wait_loadcnt 0x0
	v_cndmask_b32_e64 v2, 0, 1, s1
	global_store_b32 v[0:1], v2, off
.LBB86_2016:
	s_mov_b32 s0, 0
.LBB86_2017:
	s_delay_alu instid0(SALU_CYCLE_1)
	s_and_not1_b32 vcc_lo, exec_lo, s0
	s_cbranch_vccnz .LBB86_2019
; %bb.2018:
	s_wait_loadcnt 0x0
	v_cndmask_b32_e64 v2, 0, 1, s1
	global_store_b16 v[0:1], v2, off
.LBB86_2019:
	s_mov_b32 s0, 0
.LBB86_2020:
	s_delay_alu instid0(SALU_CYCLE_1)
	s_and_not1_b32 vcc_lo, exec_lo, s0
	s_cbranch_vccnz .LBB86_2025
; %bb.2021:
	s_wait_loadcnt 0x0
	v_cndmask_b32_e64 v2, 0, 1, s1
	s_sext_i32_i16 s0, s13
	s_delay_alu instid0(SALU_CYCLE_1)
	s_cmp_gt_i32 s0, 0
	s_mov_b32 s0, -1
	s_cbranch_scc0 .LBB86_2023
; %bb.2022:
	s_mov_b32 s0, 0
	global_store_b8 v[0:1], v2, off
.LBB86_2023:
	s_and_not1_b32 vcc_lo, exec_lo, s0
	s_cbranch_vccnz .LBB86_2025
; %bb.2024:
	global_store_b8 v[0:1], v2, off
	s_endpgm
.LBB86_2025:
	s_endpgm
.LBB86_2026:
	s_mov_b32 s3, 0
	s_mov_b32 s0, -1
	s_branch .LBB86_1982
.LBB86_2027:
	s_or_b32 s9, s9, exec_lo
	s_trap 2
	s_cbranch_execz .LBB86_1496
	s_branch .LBB86_1497
.LBB86_2028:
	s_and_not1_saveexec_b32 s10, s10
	s_cbranch_execz .LBB86_1576
.LBB86_2029:
	v_add_f32_e32 v1, 0x46000000, v4
	s_and_not1_b32 s8, s8, exec_lo
	s_delay_alu instid0(VALU_DEP_1) | instskip(NEXT) | instid1(VALU_DEP_1)
	v_and_b32_e32 v1, 0xff, v1
	v_cmp_ne_u32_e32 vcc_lo, 0, v1
	s_and_b32 s14, vcc_lo, exec_lo
	s_delay_alu instid0(SALU_CYCLE_1)
	s_or_b32 s8, s8, s14
	s_or_b32 exec_lo, exec_lo, s10
	v_mov_b32_e32 v5, 0
	s_and_saveexec_b32 s10, s8
	s_cbranch_execnz .LBB86_1577
	s_branch .LBB86_1578
.LBB86_2030:
	s_or_b32 s9, s9, exec_lo
	s_trap 2
	s_cbranch_execz .LBB86_1624
	s_branch .LBB86_1625
.LBB86_2031:
	s_and_not1_saveexec_b32 s8, s8
	s_cbranch_execz .LBB86_1589
.LBB86_2032:
	v_add_f32_e32 v1, 0x42800000, v4
	s_and_not1_b32 s7, s7, exec_lo
	s_delay_alu instid0(VALU_DEP_1) | instskip(NEXT) | instid1(VALU_DEP_1)
	v_and_b32_e32 v1, 0xff, v1
	v_cmp_ne_u32_e32 vcc_lo, 0, v1
	s_and_b32 s10, vcc_lo, exec_lo
	s_delay_alu instid0(SALU_CYCLE_1)
	s_or_b32 s7, s7, s10
	s_or_b32 exec_lo, exec_lo, s8
	v_mov_b32_e32 v5, 0
	s_and_saveexec_b32 s8, s7
	s_cbranch_execnz .LBB86_1590
	s_branch .LBB86_1591
.LBB86_2033:
	s_and_not1_saveexec_b32 s10, s10
	s_cbranch_execz .LBB86_1695
.LBB86_2034:
	v_add_f32_e32 v1, 0x46000000, v4
	s_and_not1_b32 s8, s8, exec_lo
	s_delay_alu instid0(VALU_DEP_1) | instskip(NEXT) | instid1(VALU_DEP_1)
	v_and_b32_e32 v1, 0xff, v1
	v_cmp_ne_u32_e32 vcc_lo, 0, v1
	s_and_b32 s14, vcc_lo, exec_lo
	s_delay_alu instid0(SALU_CYCLE_1)
	s_or_b32 s8, s8, s14
	s_or_b32 exec_lo, exec_lo, s10
	v_mov_b32_e32 v5, 0
	s_and_saveexec_b32 s10, s8
	s_cbranch_execnz .LBB86_1696
	s_branch .LBB86_1697
.LBB86_2035:
	s_or_b32 s9, s9, exec_lo
	s_trap 2
	s_cbranch_execz .LBB86_1743
	s_branch .LBB86_1744
.LBB86_2036:
	s_and_not1_saveexec_b32 s8, s8
	s_cbranch_execz .LBB86_1708
.LBB86_2037:
	v_add_f32_e32 v1, 0x42800000, v4
	s_and_not1_b32 s7, s7, exec_lo
	s_delay_alu instid0(VALU_DEP_1) | instskip(NEXT) | instid1(VALU_DEP_1)
	v_and_b32_e32 v1, 0xff, v1
	v_cmp_ne_u32_e32 vcc_lo, 0, v1
	s_and_b32 s10, vcc_lo, exec_lo
	s_delay_alu instid0(SALU_CYCLE_1)
	s_or_b32 s7, s7, s10
	s_or_b32 exec_lo, exec_lo, s8
	v_mov_b32_e32 v5, 0
	s_and_saveexec_b32 s8, s7
	s_cbranch_execnz .LBB86_1709
	s_branch .LBB86_1710
.LBB86_2038:
	s_and_not1_saveexec_b32 s10, s10
	s_cbranch_execz .LBB86_1814
.LBB86_2039:
	v_add_f32_e32 v1, 0x46000000, v4
	s_and_not1_b32 s8, s8, exec_lo
	s_delay_alu instid0(VALU_DEP_1) | instskip(NEXT) | instid1(VALU_DEP_1)
	v_and_b32_e32 v1, 0xff, v1
	v_cmp_ne_u32_e32 vcc_lo, 0, v1
	s_and_b32 s14, vcc_lo, exec_lo
	s_delay_alu instid0(SALU_CYCLE_1)
	s_or_b32 s8, s8, s14
	s_or_b32 exec_lo, exec_lo, s10
	v_mov_b32_e32 v5, 0
	s_and_saveexec_b32 s10, s8
	s_cbranch_execnz .LBB86_1815
	s_branch .LBB86_1816
.LBB86_2040:
	s_or_b32 s9, s9, exec_lo
	s_trap 2
	s_cbranch_execz .LBB86_1862
	s_branch .LBB86_1863
.LBB86_2041:
	s_and_not1_saveexec_b32 s8, s8
	s_cbranch_execz .LBB86_1827
.LBB86_2042:
	v_add_f32_e32 v1, 0x42800000, v4
	s_and_not1_b32 s7, s7, exec_lo
	s_delay_alu instid0(VALU_DEP_1) | instskip(NEXT) | instid1(VALU_DEP_1)
	v_and_b32_e32 v1, 0xff, v1
	v_cmp_ne_u32_e32 vcc_lo, 0, v1
	s_and_b32 s10, vcc_lo, exec_lo
	s_delay_alu instid0(SALU_CYCLE_1)
	s_or_b32 s7, s7, s10
	s_or_b32 exec_lo, exec_lo, s8
	v_mov_b32_e32 v5, 0
	s_and_saveexec_b32 s8, s7
	s_cbranch_execnz .LBB86_1828
	s_branch .LBB86_1829
.LBB86_2043:
	s_and_not1_saveexec_b32 s6, s6
	s_cbranch_execz .LBB86_1934
.LBB86_2044:
	v_add_f32_e32 v2, 0x46000000, v3
	s_and_not1_b32 s5, s5, exec_lo
	s_delay_alu instid0(VALU_DEP_1) | instskip(NEXT) | instid1(VALU_DEP_1)
	v_and_b32_e32 v2, 0xff, v2
	v_cmp_ne_u32_e32 vcc_lo, 0, v2
	s_and_b32 s7, vcc_lo, exec_lo
	s_delay_alu instid0(SALU_CYCLE_1)
	s_or_b32 s5, s5, s7
	s_or_b32 exec_lo, exec_lo, s6
	v_mov_b32_e32 v4, 0
	s_and_saveexec_b32 s6, s5
	s_cbranch_execnz .LBB86_1935
	s_branch .LBB86_1936
.LBB86_2045:
	s_mov_b32 s3, 0
	s_or_b32 s9, s9, exec_lo
	s_trap 2
	s_branch .LBB86_1980
.LBB86_2046:
	s_and_not1_saveexec_b32 s5, s5
	s_cbranch_execz .LBB86_1946
.LBB86_2047:
	v_add_f32_e32 v2, 0x42800000, v3
	s_and_not1_b32 s4, s4, exec_lo
	s_delay_alu instid0(VALU_DEP_1) | instskip(NEXT) | instid1(VALU_DEP_1)
	v_and_b32_e32 v2, 0xff, v2
	v_cmp_ne_u32_e32 vcc_lo, 0, v2
	s_and_b32 s6, vcc_lo, exec_lo
	s_delay_alu instid0(SALU_CYCLE_1)
	s_or_b32 s4, s4, s6
	s_or_b32 exec_lo, exec_lo, s5
	v_mov_b32_e32 v4, 0
	s_and_saveexec_b32 s5, s4
	s_cbranch_execnz .LBB86_1947
	s_branch .LBB86_1948
	.section	.rodata,"a",@progbits
	.p2align	6, 0x0
	.amdhsa_kernel _ZN2at6native32elementwise_kernel_manual_unrollILi128ELi4EZNS0_15gpu_kernel_implIZZZNS0_12_GLOBAL__N_120isneginf_kernel_implERNS_18TensorIteratorBaseEENKUlvE_clEvENKUlvE1_clEvEUlN3c104HalfEE_EEvS5_RKT_EUlibE_EEviT1_
		.amdhsa_group_segment_fixed_size 0
		.amdhsa_private_segment_fixed_size 0
		.amdhsa_kernarg_size 40
		.amdhsa_user_sgpr_count 2
		.amdhsa_user_sgpr_dispatch_ptr 0
		.amdhsa_user_sgpr_queue_ptr 0
		.amdhsa_user_sgpr_kernarg_segment_ptr 1
		.amdhsa_user_sgpr_dispatch_id 0
		.amdhsa_user_sgpr_kernarg_preload_length 0
		.amdhsa_user_sgpr_kernarg_preload_offset 0
		.amdhsa_user_sgpr_private_segment_size 0
		.amdhsa_wavefront_size32 1
		.amdhsa_uses_dynamic_stack 0
		.amdhsa_enable_private_segment 0
		.amdhsa_system_sgpr_workgroup_id_x 1
		.amdhsa_system_sgpr_workgroup_id_y 0
		.amdhsa_system_sgpr_workgroup_id_z 0
		.amdhsa_system_sgpr_workgroup_info 0
		.amdhsa_system_vgpr_workitem_id 0
		.amdhsa_next_free_vgpr 14
		.amdhsa_next_free_sgpr 27
		.amdhsa_named_barrier_count 0
		.amdhsa_reserve_vcc 1
		.amdhsa_float_round_mode_32 0
		.amdhsa_float_round_mode_16_64 0
		.amdhsa_float_denorm_mode_32 3
		.amdhsa_float_denorm_mode_16_64 3
		.amdhsa_fp16_overflow 0
		.amdhsa_memory_ordered 1
		.amdhsa_forward_progress 1
		.amdhsa_inst_pref_size 255
		.amdhsa_round_robin_scheduling 0
		.amdhsa_exception_fp_ieee_invalid_op 0
		.amdhsa_exception_fp_denorm_src 0
		.amdhsa_exception_fp_ieee_div_zero 0
		.amdhsa_exception_fp_ieee_overflow 0
		.amdhsa_exception_fp_ieee_underflow 0
		.amdhsa_exception_fp_ieee_inexact 0
		.amdhsa_exception_int_div_zero 0
	.end_amdhsa_kernel
	.section	.text._ZN2at6native32elementwise_kernel_manual_unrollILi128ELi4EZNS0_15gpu_kernel_implIZZZNS0_12_GLOBAL__N_120isneginf_kernel_implERNS_18TensorIteratorBaseEENKUlvE_clEvENKUlvE1_clEvEUlN3c104HalfEE_EEvS5_RKT_EUlibE_EEviT1_,"axG",@progbits,_ZN2at6native32elementwise_kernel_manual_unrollILi128ELi4EZNS0_15gpu_kernel_implIZZZNS0_12_GLOBAL__N_120isneginf_kernel_implERNS_18TensorIteratorBaseEENKUlvE_clEvENKUlvE1_clEvEUlN3c104HalfEE_EEvS5_RKT_EUlibE_EEviT1_,comdat
.Lfunc_end86:
	.size	_ZN2at6native32elementwise_kernel_manual_unrollILi128ELi4EZNS0_15gpu_kernel_implIZZZNS0_12_GLOBAL__N_120isneginf_kernel_implERNS_18TensorIteratorBaseEENKUlvE_clEvENKUlvE1_clEvEUlN3c104HalfEE_EEvS5_RKT_EUlibE_EEviT1_, .Lfunc_end86-_ZN2at6native32elementwise_kernel_manual_unrollILi128ELi4EZNS0_15gpu_kernel_implIZZZNS0_12_GLOBAL__N_120isneginf_kernel_implERNS_18TensorIteratorBaseEENKUlvE_clEvENKUlvE1_clEvEUlN3c104HalfEE_EEvS5_RKT_EUlibE_EEviT1_
                                        ; -- End function
	.set _ZN2at6native32elementwise_kernel_manual_unrollILi128ELi4EZNS0_15gpu_kernel_implIZZZNS0_12_GLOBAL__N_120isneginf_kernel_implERNS_18TensorIteratorBaseEENKUlvE_clEvENKUlvE1_clEvEUlN3c104HalfEE_EEvS5_RKT_EUlibE_EEviT1_.num_vgpr, 14
	.set _ZN2at6native32elementwise_kernel_manual_unrollILi128ELi4EZNS0_15gpu_kernel_implIZZZNS0_12_GLOBAL__N_120isneginf_kernel_implERNS_18TensorIteratorBaseEENKUlvE_clEvENKUlvE1_clEvEUlN3c104HalfEE_EEvS5_RKT_EUlibE_EEviT1_.num_agpr, 0
	.set _ZN2at6native32elementwise_kernel_manual_unrollILi128ELi4EZNS0_15gpu_kernel_implIZZZNS0_12_GLOBAL__N_120isneginf_kernel_implERNS_18TensorIteratorBaseEENKUlvE_clEvENKUlvE1_clEvEUlN3c104HalfEE_EEvS5_RKT_EUlibE_EEviT1_.numbered_sgpr, 27
	.set _ZN2at6native32elementwise_kernel_manual_unrollILi128ELi4EZNS0_15gpu_kernel_implIZZZNS0_12_GLOBAL__N_120isneginf_kernel_implERNS_18TensorIteratorBaseEENKUlvE_clEvENKUlvE1_clEvEUlN3c104HalfEE_EEvS5_RKT_EUlibE_EEviT1_.num_named_barrier, 0
	.set _ZN2at6native32elementwise_kernel_manual_unrollILi128ELi4EZNS0_15gpu_kernel_implIZZZNS0_12_GLOBAL__N_120isneginf_kernel_implERNS_18TensorIteratorBaseEENKUlvE_clEvENKUlvE1_clEvEUlN3c104HalfEE_EEvS5_RKT_EUlibE_EEviT1_.private_seg_size, 0
	.set _ZN2at6native32elementwise_kernel_manual_unrollILi128ELi4EZNS0_15gpu_kernel_implIZZZNS0_12_GLOBAL__N_120isneginf_kernel_implERNS_18TensorIteratorBaseEENKUlvE_clEvENKUlvE1_clEvEUlN3c104HalfEE_EEvS5_RKT_EUlibE_EEviT1_.uses_vcc, 1
	.set _ZN2at6native32elementwise_kernel_manual_unrollILi128ELi4EZNS0_15gpu_kernel_implIZZZNS0_12_GLOBAL__N_120isneginf_kernel_implERNS_18TensorIteratorBaseEENKUlvE_clEvENKUlvE1_clEvEUlN3c104HalfEE_EEvS5_RKT_EUlibE_EEviT1_.uses_flat_scratch, 0
	.set _ZN2at6native32elementwise_kernel_manual_unrollILi128ELi4EZNS0_15gpu_kernel_implIZZZNS0_12_GLOBAL__N_120isneginf_kernel_implERNS_18TensorIteratorBaseEENKUlvE_clEvENKUlvE1_clEvEUlN3c104HalfEE_EEvS5_RKT_EUlibE_EEviT1_.has_dyn_sized_stack, 0
	.set _ZN2at6native32elementwise_kernel_manual_unrollILi128ELi4EZNS0_15gpu_kernel_implIZZZNS0_12_GLOBAL__N_120isneginf_kernel_implERNS_18TensorIteratorBaseEENKUlvE_clEvENKUlvE1_clEvEUlN3c104HalfEE_EEvS5_RKT_EUlibE_EEviT1_.has_recursion, 0
	.set _ZN2at6native32elementwise_kernel_manual_unrollILi128ELi4EZNS0_15gpu_kernel_implIZZZNS0_12_GLOBAL__N_120isneginf_kernel_implERNS_18TensorIteratorBaseEENKUlvE_clEvENKUlvE1_clEvEUlN3c104HalfEE_EEvS5_RKT_EUlibE_EEviT1_.has_indirect_call, 0
	.section	.AMDGPU.csdata,"",@progbits
; Kernel info:
; codeLenInByte = 40500
; TotalNumSgprs: 29
; NumVgprs: 14
; ScratchSize: 0
; MemoryBound: 0
; FloatMode: 240
; IeeeMode: 1
; LDSByteSize: 0 bytes/workgroup (compile time only)
; SGPRBlocks: 0
; VGPRBlocks: 0
; NumSGPRsForWavesPerEU: 29
; NumVGPRsForWavesPerEU: 14
; NamedBarCnt: 0
; Occupancy: 16
; WaveLimiterHint : 0
; COMPUTE_PGM_RSRC2:SCRATCH_EN: 0
; COMPUTE_PGM_RSRC2:USER_SGPR: 2
; COMPUTE_PGM_RSRC2:TRAP_HANDLER: 0
; COMPUTE_PGM_RSRC2:TGID_X_EN: 1
; COMPUTE_PGM_RSRC2:TGID_Y_EN: 0
; COMPUTE_PGM_RSRC2:TGID_Z_EN: 0
; COMPUTE_PGM_RSRC2:TIDIG_COMP_CNT: 0
	.section	.text._ZN2at6native32elementwise_kernel_manual_unrollILi128ELi4EZNS0_15gpu_kernel_implIZZZNS0_12_GLOBAL__N_120isneginf_kernel_implERNS_18TensorIteratorBaseEENKUlvE_clEvENKUlvE1_clEvEUlN3c104HalfEE_EEvS5_RKT_EUlibE0_EEviT1_,"axG",@progbits,_ZN2at6native32elementwise_kernel_manual_unrollILi128ELi4EZNS0_15gpu_kernel_implIZZZNS0_12_GLOBAL__N_120isneginf_kernel_implERNS_18TensorIteratorBaseEENKUlvE_clEvENKUlvE1_clEvEUlN3c104HalfEE_EEvS5_RKT_EUlibE0_EEviT1_,comdat
	.globl	_ZN2at6native32elementwise_kernel_manual_unrollILi128ELi4EZNS0_15gpu_kernel_implIZZZNS0_12_GLOBAL__N_120isneginf_kernel_implERNS_18TensorIteratorBaseEENKUlvE_clEvENKUlvE1_clEvEUlN3c104HalfEE_EEvS5_RKT_EUlibE0_EEviT1_ ; -- Begin function _ZN2at6native32elementwise_kernel_manual_unrollILi128ELi4EZNS0_15gpu_kernel_implIZZZNS0_12_GLOBAL__N_120isneginf_kernel_implERNS_18TensorIteratorBaseEENKUlvE_clEvENKUlvE1_clEvEUlN3c104HalfEE_EEvS5_RKT_EUlibE0_EEviT1_
	.p2align	8
	.type	_ZN2at6native32elementwise_kernel_manual_unrollILi128ELi4EZNS0_15gpu_kernel_implIZZZNS0_12_GLOBAL__N_120isneginf_kernel_implERNS_18TensorIteratorBaseEENKUlvE_clEvENKUlvE1_clEvEUlN3c104HalfEE_EEvS5_RKT_EUlibE0_EEviT1_,@function
_ZN2at6native32elementwise_kernel_manual_unrollILi128ELi4EZNS0_15gpu_kernel_implIZZZNS0_12_GLOBAL__N_120isneginf_kernel_implERNS_18TensorIteratorBaseEENKUlvE_clEvENKUlvE1_clEvEUlN3c104HalfEE_EEvS5_RKT_EUlibE0_EEviT1_: ; @_ZN2at6native32elementwise_kernel_manual_unrollILi128ELi4EZNS0_15gpu_kernel_implIZZZNS0_12_GLOBAL__N_120isneginf_kernel_implERNS_18TensorIteratorBaseEENKUlvE_clEvENKUlvE1_clEvEUlN3c104HalfEE_EEvS5_RKT_EUlibE0_EEviT1_
; %bb.0:
	s_clause 0x1
	s_load_b32 s28, s[0:1], 0x8
	s_load_b32 s36, s[0:1], 0x0
	s_bfe_u32 s2, ttmp6, 0x4000c
	s_and_b32 s3, ttmp6, 15
	s_add_co_i32 s2, s2, 1
	s_getreg_b32 s4, hwreg(HW_REG_IB_STS2, 6, 4)
	s_mul_i32 s2, ttmp9, s2
	s_mov_b32 s30, 0
	s_add_co_i32 s3, s3, s2
	s_cmp_eq_u32 s4, 0
	s_mov_b32 s24, -1
	s_cselect_b32 s2, ttmp9, s3
	s_mov_b32 s8, 0
	v_lshl_or_b32 v0, s2, 9, v0
	s_add_nc_u64 s[2:3], s[0:1], 8
	s_wait_xcnt 0x0
	s_mov_b32 s0, exec_lo
	s_delay_alu instid0(VALU_DEP_1) | instskip(SKIP_2) | instid1(SALU_CYCLE_1)
	v_or_b32_e32 v9, 0x180, v0
	s_wait_kmcnt 0x0
	s_add_co_i32 s29, s28, -1
	s_cmp_gt_u32 s29, 1
	s_cselect_b32 s31, -1, 0
	v_cmpx_le_i32_e64 s36, v9
	s_xor_b32 s33, exec_lo, s0
	s_cbranch_execz .LBB87_1096
; %bb.1:
	v_mov_b32_e32 v1, 0
	s_clause 0x3
	s_load_b128 s[12:15], s[2:3], 0x4
	s_load_b64 s[18:19], s[2:3], 0x14
	s_load_b128 s[8:11], s[2:3], 0xc4
	s_load_b128 s[4:7], s[2:3], 0x148
	s_cmp_lg_u32 s28, 0
	s_mov_b32 s17, 0
	s_cselect_b32 s38, -1, 0
	global_load_u16 v1, v1, s[2:3] offset:345
	s_min_u32 s37, s29, 15
	s_cmp_gt_u32 s28, 1
	s_add_nc_u64 s[22:23], s[2:3], 0xc4
	s_cselect_b32 s35, -1, 0
	s_mov_b32 s21, s17
	s_mov_b32 s39, s17
	s_mov_b32 s40, exec_lo
	s_wait_kmcnt 0x0
	s_mov_b32 s16, s13
	s_mov_b32 s20, s18
	;; [unrolled: 1-line block ×3, first 2 shown]
	s_wait_loadcnt 0x0
	v_readfirstlane_b32 s34, v1
	s_and_b32 s0, 0xffff, s34
	s_delay_alu instid0(SALU_CYCLE_1)
	s_lshr_b32 s13, s0, 8
	v_cmpx_gt_i32_e64 s36, v0
	s_cbranch_execz .LBB87_267
; %bb.2:
	s_and_not1_b32 vcc_lo, exec_lo, s31
	s_cbranch_vccnz .LBB87_8
; %bb.3:
	s_and_not1_b32 vcc_lo, exec_lo, s38
	s_cbranch_vccnz .LBB87_9
; %bb.4:
	s_add_co_i32 s1, s37, 1
	s_cmp_eq_u32 s29, 2
	s_cbranch_scc1 .LBB87_10
; %bb.5:
	v_dual_mov_b32 v2, 0 :: v_dual_mov_b32 v4, 0
	v_mov_b32_e32 v1, v0
	s_and_b32 s0, s1, 28
	s_mov_b32 s18, 0
	s_mov_b64 s[24:25], s[2:3]
	s_mov_b64 s[26:27], s[22:23]
.LBB87_6:                               ; =>This Inner Loop Header: Depth=1
	s_clause 0x1
	s_load_b256 s[44:51], s[24:25], 0x4
	s_load_b128 s[60:63], s[24:25], 0x24
	s_load_b256 s[52:59], s[26:27], 0x0
	s_add_co_i32 s18, s18, 4
	s_wait_xcnt 0x0
	s_add_nc_u64 s[24:25], s[24:25], 48
	s_cmp_lg_u32 s0, s18
	s_add_nc_u64 s[26:27], s[26:27], 32
	s_wait_kmcnt 0x0
	v_mul_hi_u32 v3, s45, v1
	s_delay_alu instid0(VALU_DEP_1) | instskip(NEXT) | instid1(VALU_DEP_1)
	v_add_nc_u32_e32 v3, v1, v3
	v_lshrrev_b32_e32 v3, s46, v3
	s_delay_alu instid0(VALU_DEP_1) | instskip(NEXT) | instid1(VALU_DEP_1)
	v_mul_hi_u32 v5, s48, v3
	v_add_nc_u32_e32 v5, v3, v5
	s_delay_alu instid0(VALU_DEP_1) | instskip(NEXT) | instid1(VALU_DEP_1)
	v_lshrrev_b32_e32 v5, s49, v5
	v_mul_hi_u32 v6, s51, v5
	s_delay_alu instid0(VALU_DEP_1) | instskip(SKIP_1) | instid1(VALU_DEP_1)
	v_add_nc_u32_e32 v6, v5, v6
	v_mul_lo_u32 v7, v3, s44
	v_sub_nc_u32_e32 v1, v1, v7
	v_mul_lo_u32 v7, v5, s47
	s_delay_alu instid0(VALU_DEP_4) | instskip(NEXT) | instid1(VALU_DEP_3)
	v_lshrrev_b32_e32 v6, s60, v6
	v_mad_u32 v4, v1, s53, v4
	v_mad_u32 v1, v1, s52, v2
	s_delay_alu instid0(VALU_DEP_4) | instskip(NEXT) | instid1(VALU_DEP_4)
	v_sub_nc_u32_e32 v2, v3, v7
	v_mul_hi_u32 v8, s62, v6
	v_mul_lo_u32 v3, v6, s50
	s_delay_alu instid0(VALU_DEP_3) | instskip(SKIP_1) | instid1(VALU_DEP_3)
	v_mad_u32 v4, v2, s55, v4
	v_mad_u32 v2, v2, s54, v1
	v_dual_add_nc_u32 v7, v6, v8 :: v_dual_sub_nc_u32 v3, v5, v3
	s_delay_alu instid0(VALU_DEP_1) | instskip(NEXT) | instid1(VALU_DEP_2)
	v_lshrrev_b32_e32 v1, s63, v7
	v_mad_u32 v4, v3, s57, v4
	s_delay_alu instid0(VALU_DEP_4) | instskip(NEXT) | instid1(VALU_DEP_3)
	v_mad_u32 v2, v3, s56, v2
	v_mul_lo_u32 v5, v1, s61
	s_delay_alu instid0(VALU_DEP_1) | instskip(NEXT) | instid1(VALU_DEP_1)
	v_sub_nc_u32_e32 v3, v6, v5
	v_mad_u32 v4, v3, s59, v4
	s_delay_alu instid0(VALU_DEP_4)
	v_mad_u32 v2, v3, s58, v2
	s_cbranch_scc1 .LBB87_6
; %bb.7:
	s_delay_alu instid0(VALU_DEP_2)
	v_mov_b32_e32 v3, v4
	s_and_b32 s18, s1, 3
	s_mov_b32 s1, 0
	s_cmp_eq_u32 s18, 0
	s_cbranch_scc0 .LBB87_11
	s_branch .LBB87_14
.LBB87_8:
                                        ; implicit-def: $vgpr4
                                        ; implicit-def: $vgpr2
	s_branch .LBB87_15
.LBB87_9:
	v_dual_mov_b32 v4, 0 :: v_dual_mov_b32 v2, 0
	s_branch .LBB87_14
.LBB87_10:
	v_mov_b64_e32 v[2:3], 0
	v_mov_b32_e32 v1, v0
	s_mov_b32 s0, 0
                                        ; implicit-def: $vgpr4
	s_and_b32 s18, s1, 3
	s_mov_b32 s1, 0
	s_cmp_eq_u32 s18, 0
	s_cbranch_scc1 .LBB87_14
.LBB87_11:
	s_lshl_b32 s24, s0, 3
	s_mov_b32 s25, s1
	s_mul_u64 s[26:27], s[0:1], 12
	s_add_nc_u64 s[24:25], s[2:3], s[24:25]
	s_delay_alu instid0(SALU_CYCLE_1)
	s_add_nc_u64 s[0:1], s[24:25], 0xc4
	s_add_nc_u64 s[24:25], s[2:3], s[26:27]
.LBB87_12:                              ; =>This Inner Loop Header: Depth=1
	s_load_b96 s[44:46], s[24:25], 0x4
	s_load_b64 s[26:27], s[0:1], 0x0
	s_add_co_i32 s18, s18, -1
	s_wait_xcnt 0x0
	s_add_nc_u64 s[24:25], s[24:25], 12
	s_cmp_lg_u32 s18, 0
	s_add_nc_u64 s[0:1], s[0:1], 8
	s_wait_kmcnt 0x0
	v_mul_hi_u32 v4, s45, v1
	s_delay_alu instid0(VALU_DEP_1) | instskip(NEXT) | instid1(VALU_DEP_1)
	v_add_nc_u32_e32 v4, v1, v4
	v_lshrrev_b32_e32 v4, s46, v4
	s_delay_alu instid0(VALU_DEP_1) | instskip(NEXT) | instid1(VALU_DEP_1)
	v_mul_lo_u32 v5, v4, s44
	v_sub_nc_u32_e32 v1, v1, v5
	s_delay_alu instid0(VALU_DEP_1)
	v_mad_u32 v3, v1, s27, v3
	v_mad_u32 v2, v1, s26, v2
	v_mov_b32_e32 v1, v4
	s_cbranch_scc1 .LBB87_12
; %bb.13:
	s_delay_alu instid0(VALU_DEP_3)
	v_mov_b32_e32 v4, v3
.LBB87_14:
	s_cbranch_execnz .LBB87_17
.LBB87_15:
	v_mov_b32_e32 v1, 0
	s_and_not1_b32 vcc_lo, exec_lo, s35
	s_delay_alu instid0(VALU_DEP_1) | instskip(NEXT) | instid1(VALU_DEP_1)
	v_mul_u64_e32 v[2:3], s[16:17], v[0:1]
	v_add_nc_u32_e32 v2, v0, v3
	s_delay_alu instid0(VALU_DEP_1) | instskip(NEXT) | instid1(VALU_DEP_1)
	v_lshrrev_b32_e32 v6, s14, v2
	v_mul_lo_u32 v2, v6, s12
	s_delay_alu instid0(VALU_DEP_1) | instskip(NEXT) | instid1(VALU_DEP_1)
	v_sub_nc_u32_e32 v2, v0, v2
	v_mul_lo_u32 v4, v2, s9
	v_mul_lo_u32 v2, v2, s8
	s_cbranch_vccnz .LBB87_17
; %bb.16:
	v_mov_b32_e32 v7, v1
	s_delay_alu instid0(VALU_DEP_1) | instskip(NEXT) | instid1(VALU_DEP_1)
	v_mul_u64_e32 v[8:9], s[20:21], v[6:7]
	v_add_nc_u32_e32 v1, v6, v9
	s_delay_alu instid0(VALU_DEP_1) | instskip(NEXT) | instid1(VALU_DEP_1)
	v_lshrrev_b32_e32 v1, s19, v1
	v_mul_lo_u32 v1, v1, s15
	s_delay_alu instid0(VALU_DEP_1) | instskip(NEXT) | instid1(VALU_DEP_1)
	v_sub_nc_u32_e32 v1, v6, v1
	v_mad_u32 v2, v1, s10, v2
	v_mad_u32 v4, v1, s11, v4
.LBB87_17:
	v_mov_b32_e32 v5, 0
	s_and_b32 s0, 0xffff, s13
	s_delay_alu instid0(SALU_CYCLE_1) | instskip(NEXT) | instid1(VALU_DEP_1)
	s_cmp_lt_i32 s0, 11
	v_add_nc_u64_e32 v[4:5], s[6:7], v[4:5]
	s_cbranch_scc1 .LBB87_24
; %bb.18:
	s_cmp_gt_i32 s0, 25
	s_cbranch_scc0 .LBB87_33
; %bb.19:
	s_cmp_gt_i32 s0, 28
	s_cbranch_scc0 .LBB87_36
	;; [unrolled: 3-line block ×4, first 2 shown]
; %bb.22:
	s_cmp_eq_u32 s0, 46
	s_mov_b32 s18, 0
	s_cbranch_scc0 .LBB87_42
; %bb.23:
	global_load_b32 v1, v[4:5], off
	s_mov_b32 s1, -1
	s_mov_b32 s24, 0
	s_wait_loadcnt 0x0
	v_lshlrev_b32_e32 v1, 16, v1
	s_delay_alu instid0(VALU_DEP_1)
	v_cvt_f16_f32_e32 v1, v1
	s_branch .LBB87_44
.LBB87_24:
	s_mov_b32 s24, 0
	s_mov_b32 s1, 0
                                        ; implicit-def: $vgpr1
	s_cbranch_execnz .LBB87_217
.LBB87_25:
	s_and_not1_b32 vcc_lo, exec_lo, s1
	s_cbranch_vccnz .LBB87_264
.LBB87_26:
	v_mov_b32_e32 v3, 0
	s_wait_loadcnt 0x0
	s_delay_alu instid0(VALU_DEP_2) | instskip(SKIP_1) | instid1(SALU_CYCLE_1)
	v_cmp_eq_f16_e64 s0, 0xfc00, v1
	s_and_b32 s18, s34, 0xff
	s_cmp_lt_i32 s18, 11
	v_add_nc_u64_e32 v[2:3], s[4:5], v[2:3]
	s_cbranch_scc1 .LBB87_34
; %bb.27:
	s_and_b32 s25, 0xffff, s18
	s_delay_alu instid0(SALU_CYCLE_1)
	s_cmp_gt_i32 s25, 25
	s_cbranch_scc0 .LBB87_37
; %bb.28:
	s_cmp_gt_i32 s25, 28
	s_cbranch_scc0 .LBB87_39
; %bb.29:
	s_cmp_gt_i32 s25, 43
	s_cbranch_scc0 .LBB87_41
; %bb.30:
	s_cmp_gt_i32 s25, 45
	s_cbranch_scc0 .LBB87_47
; %bb.31:
	s_mov_b32 s27, 0
	s_mov_b32 s1, -1
	s_cmp_eq_u32 s25, 46
	s_mov_b32 s26, 0
	s_cbranch_scc0 .LBB87_48
; %bb.32:
	v_cndmask_b32_e64 v1, 0, 1.0, s0
	s_mov_b32 s26, -1
	s_mov_b32 s1, 0
	s_delay_alu instid0(VALU_DEP_1) | instskip(NEXT) | instid1(VALU_DEP_1)
	v_bfe_u32 v4, v1, 16, 1
	v_add3_u32 v1, v1, v4, 0x7fff
	s_delay_alu instid0(VALU_DEP_1)
	v_lshrrev_b32_e32 v1, 16, v1
	global_store_b32 v[2:3], v1, off
	s_branch .LBB87_48
.LBB87_33:
	s_mov_b32 s24, 0
	s_mov_b32 s1, 0
                                        ; implicit-def: $vgpr1
	s_cbranch_execnz .LBB87_182
	s_branch .LBB87_216
.LBB87_34:
	s_mov_b32 s1, 0
	s_mov_b32 s26, 0
	s_cbranch_execnz .LBB87_117
.LBB87_35:
	s_and_not1_b32 vcc_lo, exec_lo, s26
	s_cbranch_vccz .LBB87_155
	s_branch .LBB87_265
.LBB87_36:
	s_mov_b32 s18, -1
	s_mov_b32 s24, 0
	s_mov_b32 s1, 0
                                        ; implicit-def: $vgpr1
	s_branch .LBB87_163
.LBB87_37:
	s_mov_b32 s27, -1
	s_mov_b32 s1, 0
	s_mov_b32 s26, 0
	s_branch .LBB87_75
.LBB87_38:
	s_mov_b32 s18, -1
	s_mov_b32 s24, 0
	s_mov_b32 s1, 0
                                        ; implicit-def: $vgpr1
	s_branch .LBB87_158
.LBB87_39:
	s_mov_b32 s27, -1
	s_mov_b32 s1, 0
	s_mov_b32 s26, 0
	s_branch .LBB87_58
.LBB87_40:
	s_mov_b32 s18, -1
	s_mov_b32 s24, 0
	s_branch .LBB87_43
.LBB87_41:
	s_mov_b32 s27, -1
	s_mov_b32 s1, 0
	s_mov_b32 s26, 0
	s_branch .LBB87_54
.LBB87_42:
	s_mov_b32 s24, -1
.LBB87_43:
	s_mov_b32 s1, 0
                                        ; implicit-def: $vgpr1
.LBB87_44:
	s_and_b32 vcc_lo, exec_lo, s18
	s_cbranch_vccz .LBB87_157
; %bb.45:
	s_cmp_eq_u32 s0, 44
	s_cbranch_scc0 .LBB87_156
; %bb.46:
	global_load_u8 v1, v[4:5], off
	s_mov_b32 s24, 0
	s_mov_b32 s1, -1
	s_wait_loadcnt 0x0
	v_lshlrev_b32_e32 v3, 23, v1
	v_cmp_ne_u32_e32 vcc_lo, 0xff, v1
	s_delay_alu instid0(VALU_DEP_2) | instskip(NEXT) | instid1(VALU_DEP_1)
	v_cvt_f16_f32_e32 v3, v3
	v_cndmask_b32_e32 v3, 0x7e00, v3, vcc_lo
	v_cmp_ne_u32_e32 vcc_lo, 0, v1
	s_delay_alu instid0(VALU_DEP_2)
	v_cndmask_b32_e32 v1, 0, v3, vcc_lo
	s_branch .LBB87_157
.LBB87_47:
	s_mov_b32 s27, -1
	s_mov_b32 s1, 0
	s_mov_b32 s26, 0
.LBB87_48:
	s_and_b32 vcc_lo, exec_lo, s27
	s_cbranch_vccz .LBB87_53
; %bb.49:
	s_cmp_eq_u32 s25, 44
	s_mov_b32 s1, -1
	s_cbranch_scc0 .LBB87_53
; %bb.50:
	v_cndmask_b32_e64 v5, 0, 1.0, s0
	s_mov_b32 s26, exec_lo
	s_wait_xcnt 0x0
	s_delay_alu instid0(VALU_DEP_1) | instskip(NEXT) | instid1(VALU_DEP_1)
	v_dual_mov_b32 v4, 0xff :: v_dual_lshrrev_b32 v1, 23, v5
	v_cmpx_ne_u32_e32 0xff, v1
; %bb.51:
	v_and_b32_e32 v4, 0x400000, v5
	v_and_or_b32 v5, 0x3fffff, v5, v1
	s_delay_alu instid0(VALU_DEP_2) | instskip(NEXT) | instid1(VALU_DEP_2)
	v_cmp_ne_u32_e32 vcc_lo, 0, v4
	v_cmp_ne_u32_e64 s1, 0, v5
	s_and_b32 s1, vcc_lo, s1
	s_delay_alu instid0(SALU_CYCLE_1) | instskip(NEXT) | instid1(VALU_DEP_1)
	v_cndmask_b32_e64 v4, 0, 1, s1
	v_add_nc_u32_e32 v4, v1, v4
; %bb.52:
	s_or_b32 exec_lo, exec_lo, s26
	s_mov_b32 s26, -1
	s_mov_b32 s1, 0
	global_store_b8 v[2:3], v4, off
.LBB87_53:
	s_mov_b32 s27, 0
.LBB87_54:
	s_delay_alu instid0(SALU_CYCLE_1)
	s_and_b32 vcc_lo, exec_lo, s27
	s_cbranch_vccz .LBB87_57
; %bb.55:
	s_cmp_eq_u32 s25, 29
	s_mov_b32 s1, -1
	s_cbranch_scc0 .LBB87_57
; %bb.56:
	s_mov_b32 s1, 0
	s_wait_xcnt 0x0
	v_cndmask_b32_e64 v4, 0, 1, s0
	v_mov_b32_e32 v5, s1
	s_mov_b32 s26, -1
	s_mov_b32 s27, 0
	global_store_b64 v[2:3], v[4:5], off
	s_branch .LBB87_58
.LBB87_57:
	s_mov_b32 s27, 0
.LBB87_58:
	s_delay_alu instid0(SALU_CYCLE_1)
	s_and_b32 vcc_lo, exec_lo, s27
	s_cbranch_vccz .LBB87_74
; %bb.59:
	s_cmp_lt_i32 s25, 27
	s_mov_b32 s26, -1
	s_cbranch_scc1 .LBB87_65
; %bb.60:
	s_cmp_gt_i32 s25, 27
	s_cbranch_scc0 .LBB87_62
; %bb.61:
	s_wait_xcnt 0x0
	v_cndmask_b32_e64 v1, 0, 1, s0
	s_mov_b32 s26, 0
	global_store_b32 v[2:3], v1, off
.LBB87_62:
	s_and_not1_b32 vcc_lo, exec_lo, s26
	s_cbranch_vccnz .LBB87_64
; %bb.63:
	s_wait_xcnt 0x0
	v_cndmask_b32_e64 v1, 0, 1, s0
	global_store_b16 v[2:3], v1, off
.LBB87_64:
	s_mov_b32 s26, 0
.LBB87_65:
	s_delay_alu instid0(SALU_CYCLE_1)
	s_and_not1_b32 vcc_lo, exec_lo, s26
	s_cbranch_vccnz .LBB87_73
; %bb.66:
	s_wait_xcnt 0x0
	v_cndmask_b32_e64 v4, 0, 1.0, s0
	v_mov_b32_e32 v5, 0x80
	s_mov_b32 s26, exec_lo
	s_delay_alu instid0(VALU_DEP_2)
	v_cmpx_gt_u32_e32 0x43800000, v4
	s_cbranch_execz .LBB87_72
; %bb.67:
	s_mov_b32 s27, 0
	s_mov_b32 s39, exec_lo
                                        ; implicit-def: $vgpr1
	v_cmpx_lt_u32_e32 0x3bffffff, v4
	s_xor_b32 s39, exec_lo, s39
	s_cbranch_execz .LBB87_310
; %bb.68:
	v_bfe_u32 v1, v4, 20, 1
	s_mov_b32 s27, exec_lo
	s_delay_alu instid0(VALU_DEP_1) | instskip(NEXT) | instid1(VALU_DEP_1)
	v_add3_u32 v1, v4, v1, 0x487ffff
                                        ; implicit-def: $vgpr4
	v_lshrrev_b32_e32 v1, 20, v1
	s_and_not1_saveexec_b32 s39, s39
	s_cbranch_execnz .LBB87_311
.LBB87_69:
	s_or_b32 exec_lo, exec_lo, s39
	v_mov_b32_e32 v5, 0
	s_and_saveexec_b32 s39, s27
.LBB87_70:
	v_mov_b32_e32 v5, v1
.LBB87_71:
	s_or_b32 exec_lo, exec_lo, s39
.LBB87_72:
	s_delay_alu instid0(SALU_CYCLE_1)
	s_or_b32 exec_lo, exec_lo, s26
	global_store_b8 v[2:3], v5, off
.LBB87_73:
	s_mov_b32 s26, -1
.LBB87_74:
	s_mov_b32 s27, 0
.LBB87_75:
	s_delay_alu instid0(SALU_CYCLE_1)
	s_and_b32 vcc_lo, exec_lo, s27
	s_cbranch_vccz .LBB87_116
; %bb.76:
	s_cmp_gt_i32 s25, 22
	s_mov_b32 s27, -1
	s_cbranch_scc0 .LBB87_108
; %bb.77:
	s_cmp_lt_i32 s25, 24
	s_mov_b32 s26, -1
	s_cbranch_scc1 .LBB87_97
; %bb.78:
	s_cmp_gt_i32 s25, 24
	s_cbranch_scc0 .LBB87_86
; %bb.79:
	s_wait_xcnt 0x0
	v_cndmask_b32_e64 v4, 0, 1.0, s0
	v_mov_b32_e32 v5, 0x80
	s_mov_b32 s26, exec_lo
	s_delay_alu instid0(VALU_DEP_2)
	v_cmpx_gt_u32_e32 0x47800000, v4
	s_cbranch_execz .LBB87_85
; %bb.80:
	s_mov_b32 s27, 0
	s_mov_b32 s39, exec_lo
                                        ; implicit-def: $vgpr1
	v_cmpx_lt_u32_e32 0x37ffffff, v4
	s_xor_b32 s39, exec_lo, s39
	s_cbranch_execz .LBB87_314
; %bb.81:
	v_bfe_u32 v1, v4, 21, 1
	s_mov_b32 s27, exec_lo
	s_delay_alu instid0(VALU_DEP_1) | instskip(NEXT) | instid1(VALU_DEP_1)
	v_add3_u32 v1, v4, v1, 0x88fffff
                                        ; implicit-def: $vgpr4
	v_lshrrev_b32_e32 v1, 21, v1
	s_and_not1_saveexec_b32 s39, s39
	s_cbranch_execnz .LBB87_315
.LBB87_82:
	s_or_b32 exec_lo, exec_lo, s39
	v_mov_b32_e32 v5, 0
	s_and_saveexec_b32 s39, s27
.LBB87_83:
	v_mov_b32_e32 v5, v1
.LBB87_84:
	s_or_b32 exec_lo, exec_lo, s39
.LBB87_85:
	s_delay_alu instid0(SALU_CYCLE_1)
	s_or_b32 exec_lo, exec_lo, s26
	s_mov_b32 s26, 0
	global_store_b8 v[2:3], v5, off
.LBB87_86:
	s_and_b32 vcc_lo, exec_lo, s26
	s_cbranch_vccz .LBB87_96
; %bb.87:
	s_wait_xcnt 0x0
	v_cndmask_b32_e64 v4, 0, 1.0, s0
	s_mov_b32 s26, exec_lo
                                        ; implicit-def: $vgpr1
	s_delay_alu instid0(VALU_DEP_1)
	v_cmpx_gt_u32_e32 0x43f00000, v4
	s_xor_b32 s26, exec_lo, s26
	s_cbranch_execz .LBB87_93
; %bb.88:
	s_mov_b32 s27, exec_lo
                                        ; implicit-def: $vgpr1
	v_cmpx_lt_u32_e32 0x3c7fffff, v4
	s_xor_b32 s27, exec_lo, s27
; %bb.89:
	v_bfe_u32 v1, v4, 20, 1
	s_delay_alu instid0(VALU_DEP_1) | instskip(NEXT) | instid1(VALU_DEP_1)
	v_add3_u32 v1, v4, v1, 0x407ffff
	v_and_b32_e32 v4, 0xff00000, v1
	v_lshrrev_b32_e32 v1, 20, v1
	s_delay_alu instid0(VALU_DEP_2) | instskip(NEXT) | instid1(VALU_DEP_2)
	v_cmp_ne_u32_e32 vcc_lo, 0x7f00000, v4
                                        ; implicit-def: $vgpr4
	v_cndmask_b32_e32 v1, 0x7e, v1, vcc_lo
; %bb.90:
	s_and_not1_saveexec_b32 s27, s27
; %bb.91:
	v_add_f32_e32 v1, 0x46800000, v4
; %bb.92:
	s_or_b32 exec_lo, exec_lo, s27
                                        ; implicit-def: $vgpr4
.LBB87_93:
	s_and_not1_saveexec_b32 s26, s26
; %bb.94:
	v_mov_b32_e32 v1, 0x7f
	v_cmp_lt_u32_e32 vcc_lo, 0x7f800000, v4
	s_delay_alu instid0(VALU_DEP_2)
	v_cndmask_b32_e32 v1, 0x7e, v1, vcc_lo
; %bb.95:
	s_or_b32 exec_lo, exec_lo, s26
	global_store_b8 v[2:3], v1, off
.LBB87_96:
	s_mov_b32 s26, 0
.LBB87_97:
	s_delay_alu instid0(SALU_CYCLE_1)
	s_and_not1_b32 vcc_lo, exec_lo, s26
	s_cbranch_vccnz .LBB87_107
; %bb.98:
	s_wait_xcnt 0x0
	v_cndmask_b32_e64 v4, 0, 1.0, s0
	s_mov_b32 s26, exec_lo
                                        ; implicit-def: $vgpr1
	s_delay_alu instid0(VALU_DEP_1)
	v_cmpx_gt_u32_e32 0x47800000, v4
	s_xor_b32 s26, exec_lo, s26
	s_cbranch_execz .LBB87_104
; %bb.99:
	s_mov_b32 s27, exec_lo
                                        ; implicit-def: $vgpr1
	v_cmpx_lt_u32_e32 0x387fffff, v4
	s_xor_b32 s27, exec_lo, s27
; %bb.100:
	v_bfe_u32 v1, v4, 21, 1
	s_delay_alu instid0(VALU_DEP_1) | instskip(NEXT) | instid1(VALU_DEP_1)
	v_add3_u32 v1, v4, v1, 0x80fffff
                                        ; implicit-def: $vgpr4
	v_lshrrev_b32_e32 v1, 21, v1
; %bb.101:
	s_and_not1_saveexec_b32 s27, s27
; %bb.102:
	v_add_f32_e32 v1, 0x43000000, v4
; %bb.103:
	s_or_b32 exec_lo, exec_lo, s27
                                        ; implicit-def: $vgpr4
.LBB87_104:
	s_and_not1_saveexec_b32 s26, s26
; %bb.105:
	v_mov_b32_e32 v1, 0x7f
	v_cmp_lt_u32_e32 vcc_lo, 0x7f800000, v4
	s_delay_alu instid0(VALU_DEP_2)
	v_cndmask_b32_e32 v1, 0x7c, v1, vcc_lo
; %bb.106:
	s_or_b32 exec_lo, exec_lo, s26
	global_store_b8 v[2:3], v1, off
.LBB87_107:
	s_mov_b32 s27, 0
	s_mov_b32 s26, -1
.LBB87_108:
	s_and_not1_b32 vcc_lo, exec_lo, s27
	s_cbranch_vccnz .LBB87_116
; %bb.109:
	s_cmp_gt_i32 s25, 14
	s_mov_b32 s27, -1
	s_cbranch_scc0 .LBB87_113
; %bb.110:
	s_cmp_eq_u32 s25, 15
	s_mov_b32 s1, -1
	s_cbranch_scc0 .LBB87_112
; %bb.111:
	s_wait_xcnt 0x0
	v_cndmask_b32_e64 v1, 0, 1.0, s0
	s_mov_b32 s26, -1
	s_mov_b32 s1, 0
	s_delay_alu instid0(VALU_DEP_1) | instskip(NEXT) | instid1(VALU_DEP_1)
	v_bfe_u32 v4, v1, 16, 1
	v_add3_u32 v1, v1, v4, 0x7fff
	global_store_d16_hi_b16 v[2:3], v1, off
.LBB87_112:
	s_mov_b32 s27, 0
.LBB87_113:
	s_delay_alu instid0(SALU_CYCLE_1)
	s_and_b32 vcc_lo, exec_lo, s27
	s_cbranch_vccz .LBB87_116
; %bb.114:
	s_cmp_eq_u32 s25, 11
	s_mov_b32 s1, -1
	s_cbranch_scc0 .LBB87_116
; %bb.115:
	s_wait_xcnt 0x0
	v_cndmask_b32_e64 v1, 0, 1, s0
	s_mov_b32 s26, -1
	s_mov_b32 s1, 0
	global_store_b8 v[2:3], v1, off
.LBB87_116:
	s_branch .LBB87_35
.LBB87_117:
	s_and_b32 s18, 0xffff, s18
	s_mov_b32 s25, -1
	s_cmp_lt_i32 s18, 5
	s_cbranch_scc1 .LBB87_138
; %bb.118:
	s_cmp_lt_i32 s18, 8
	s_cbranch_scc1 .LBB87_128
; %bb.119:
	;; [unrolled: 3-line block ×3, first 2 shown]
	s_cmp_gt_i32 s18, 9
	s_cbranch_scc0 .LBB87_122
; %bb.121:
	s_wait_xcnt 0x0
	v_cndmask_b32_e64 v1, 0, 1, s0
	v_mov_b32_e32 v6, 0
	s_mov_b32 s25, 0
	s_delay_alu instid0(VALU_DEP_2) | instskip(NEXT) | instid1(VALU_DEP_2)
	v_cvt_f64_u32_e32 v[4:5], v1
	v_mov_b32_e32 v7, v6
	global_store_b128 v[2:3], v[4:7], off
.LBB87_122:
	s_and_not1_b32 vcc_lo, exec_lo, s25
	s_cbranch_vccnz .LBB87_124
; %bb.123:
	s_wait_xcnt 0x0
	v_cndmask_b32_e64 v4, 0, 1.0, s0
	v_mov_b32_e32 v5, 0
	global_store_b64 v[2:3], v[4:5], off
.LBB87_124:
	s_mov_b32 s25, 0
.LBB87_125:
	s_delay_alu instid0(SALU_CYCLE_1)
	s_and_not1_b32 vcc_lo, exec_lo, s25
	s_cbranch_vccnz .LBB87_127
; %bb.126:
	s_wait_xcnt 0x0
	v_cndmask_b32_e64 v1, 0, 1.0, s0
	s_delay_alu instid0(VALU_DEP_1) | instskip(NEXT) | instid1(VALU_DEP_1)
	v_cvt_f16_f32_e32 v1, v1
	v_and_b32_e32 v1, 0xffff, v1
	global_store_b32 v[2:3], v1, off
.LBB87_127:
	s_mov_b32 s25, 0
.LBB87_128:
	s_delay_alu instid0(SALU_CYCLE_1)
	s_and_not1_b32 vcc_lo, exec_lo, s25
	s_cbranch_vccnz .LBB87_137
; %bb.129:
	s_cmp_lt_i32 s18, 6
	s_mov_b32 s25, -1
	s_cbranch_scc1 .LBB87_135
; %bb.130:
	s_cmp_gt_i32 s18, 6
	s_cbranch_scc0 .LBB87_132
; %bb.131:
	s_wait_xcnt 0x0
	v_cndmask_b32_e64 v1, 0, 1, s0
	s_mov_b32 s25, 0
	s_delay_alu instid0(VALU_DEP_1)
	v_cvt_f64_u32_e32 v[4:5], v1
	global_store_b64 v[2:3], v[4:5], off
.LBB87_132:
	s_and_not1_b32 vcc_lo, exec_lo, s25
	s_cbranch_vccnz .LBB87_134
; %bb.133:
	s_wait_xcnt 0x0
	v_cndmask_b32_e64 v1, 0, 1.0, s0
	global_store_b32 v[2:3], v1, off
.LBB87_134:
	s_mov_b32 s25, 0
.LBB87_135:
	s_delay_alu instid0(SALU_CYCLE_1)
	s_and_not1_b32 vcc_lo, exec_lo, s25
	s_cbranch_vccnz .LBB87_137
; %bb.136:
	s_wait_xcnt 0x0
	v_cndmask_b32_e64 v1, 0, 1.0, s0
	s_delay_alu instid0(VALU_DEP_1)
	v_cvt_f16_f32_e32 v1, v1
	global_store_b16 v[2:3], v1, off
.LBB87_137:
	s_mov_b32 s25, 0
.LBB87_138:
	s_delay_alu instid0(SALU_CYCLE_1)
	s_and_not1_b32 vcc_lo, exec_lo, s25
	s_cbranch_vccnz .LBB87_154
; %bb.139:
	s_cmp_lt_i32 s18, 2
	s_mov_b32 s25, -1
	s_cbranch_scc1 .LBB87_149
; %bb.140:
	s_cmp_lt_i32 s18, 3
	s_cbranch_scc1 .LBB87_146
; %bb.141:
	s_cmp_gt_i32 s18, 3
	s_cbranch_scc0 .LBB87_143
; %bb.142:
	s_mov_b32 s25, 0
	s_wait_xcnt 0x0
	v_cndmask_b32_e64 v4, 0, 1, s0
	v_mov_b32_e32 v5, s25
	global_store_b64 v[2:3], v[4:5], off
.LBB87_143:
	s_and_not1_b32 vcc_lo, exec_lo, s25
	s_cbranch_vccnz .LBB87_145
; %bb.144:
	s_wait_xcnt 0x0
	v_cndmask_b32_e64 v1, 0, 1, s0
	global_store_b32 v[2:3], v1, off
.LBB87_145:
	s_mov_b32 s25, 0
.LBB87_146:
	s_delay_alu instid0(SALU_CYCLE_1)
	s_and_not1_b32 vcc_lo, exec_lo, s25
	s_cbranch_vccnz .LBB87_148
; %bb.147:
	s_wait_xcnt 0x0
	v_cndmask_b32_e64 v1, 0, 1, s0
	global_store_b16 v[2:3], v1, off
.LBB87_148:
	s_mov_b32 s25, 0
.LBB87_149:
	s_delay_alu instid0(SALU_CYCLE_1)
	s_and_not1_b32 vcc_lo, exec_lo, s25
	s_cbranch_vccnz .LBB87_154
; %bb.150:
	s_cmp_gt_i32 s18, 0
	s_mov_b32 s18, -1
	s_cbranch_scc0 .LBB87_152
; %bb.151:
	s_wait_xcnt 0x0
	v_cndmask_b32_e64 v1, 0, 1, s0
	s_mov_b32 s18, 0
	global_store_b8 v[2:3], v1, off
.LBB87_152:
	s_and_not1_b32 vcc_lo, exec_lo, s18
	s_cbranch_vccnz .LBB87_154
; %bb.153:
	s_wait_xcnt 0x0
	v_cndmask_b32_e64 v1, 0, 1, s0
	global_store_b8 v[2:3], v1, off
.LBB87_154:
.LBB87_155:
	v_add_nc_u32_e32 v0, 0x80, v0
	s_mov_b32 s0, -1
	s_branch .LBB87_266
.LBB87_156:
	s_mov_b32 s24, -1
                                        ; implicit-def: $vgpr1
.LBB87_157:
	s_mov_b32 s18, 0
.LBB87_158:
	s_delay_alu instid0(SALU_CYCLE_1)
	s_and_b32 vcc_lo, exec_lo, s18
	s_cbranch_vccz .LBB87_162
; %bb.159:
	s_cmp_eq_u32 s0, 29
	s_cbranch_scc0 .LBB87_161
; %bb.160:
	global_load_b64 v[6:7], v[4:5], off
	s_mov_b32 s1, -1
	s_mov_b32 s24, 0
	s_mov_b32 s18, 0
	s_wait_loadcnt 0x0
	v_clz_i32_u32_e32 v1, v7
	s_delay_alu instid0(VALU_DEP_1) | instskip(NEXT) | instid1(VALU_DEP_1)
	v_min_u32_e32 v1, 32, v1
	v_lshlrev_b64_e32 v[6:7], v1, v[6:7]
	v_sub_nc_u32_e32 v1, 32, v1
	s_delay_alu instid0(VALU_DEP_2) | instskip(NEXT) | instid1(VALU_DEP_1)
	v_min_u32_e32 v3, 1, v6
	v_or_b32_e32 v3, v7, v3
	s_delay_alu instid0(VALU_DEP_1) | instskip(NEXT) | instid1(VALU_DEP_1)
	v_cvt_f32_u32_e32 v3, v3
	v_ldexp_f32 v1, v3, v1
	s_delay_alu instid0(VALU_DEP_1)
	v_cvt_f16_f32_e32 v1, v1
	s_branch .LBB87_163
.LBB87_161:
	s_mov_b32 s24, -1
                                        ; implicit-def: $vgpr1
.LBB87_162:
	s_mov_b32 s18, 0
.LBB87_163:
	s_delay_alu instid0(SALU_CYCLE_1)
	s_and_b32 vcc_lo, exec_lo, s18
	s_cbranch_vccz .LBB87_181
; %bb.164:
	s_cmp_lt_i32 s0, 27
	s_cbranch_scc1 .LBB87_167
; %bb.165:
	s_cmp_gt_i32 s0, 27
	s_cbranch_scc0 .LBB87_168
; %bb.166:
	global_load_b32 v1, v[4:5], off
	s_mov_b32 s1, 0
	s_wait_loadcnt 0x0
	v_cvt_f32_u32_e32 v1, v1
	s_delay_alu instid0(VALU_DEP_1)
	v_cvt_f16_f32_e32 v1, v1
	s_branch .LBB87_169
.LBB87_167:
	s_mov_b32 s1, -1
                                        ; implicit-def: $vgpr1
	s_branch .LBB87_172
.LBB87_168:
	s_mov_b32 s1, -1
                                        ; implicit-def: $vgpr1
.LBB87_169:
	s_delay_alu instid0(SALU_CYCLE_1)
	s_and_not1_b32 vcc_lo, exec_lo, s1
	s_cbranch_vccnz .LBB87_171
; %bb.170:
	global_load_u16 v1, v[4:5], off
	s_wait_loadcnt 0x0
	v_cvt_f16_u16_e32 v1, v1
.LBB87_171:
	s_mov_b32 s1, 0
.LBB87_172:
	s_delay_alu instid0(SALU_CYCLE_1)
	s_and_not1_b32 vcc_lo, exec_lo, s1
	s_cbranch_vccnz .LBB87_180
; %bb.173:
	global_load_u8 v3, v[4:5], off
	s_mov_b32 s1, 0
	s_mov_b32 s18, exec_lo
	s_wait_loadcnt 0x0
	v_cmpx_lt_i16_e32 0x7f, v3
	s_xor_b32 s18, exec_lo, s18
	s_cbranch_execz .LBB87_193
; %bb.174:
	s_mov_b32 s1, -1
	s_mov_b32 s25, exec_lo
	v_cmpx_eq_u16_e32 0x80, v3
; %bb.175:
	s_xor_b32 s1, exec_lo, -1
; %bb.176:
	s_or_b32 exec_lo, exec_lo, s25
	s_delay_alu instid0(SALU_CYCLE_1)
	s_and_b32 s1, s1, exec_lo
	s_or_saveexec_b32 s18, s18
	v_mov_b32_e32 v1, 0x7e00
	s_xor_b32 exec_lo, exec_lo, s18
	s_cbranch_execnz .LBB87_194
.LBB87_177:
	s_or_b32 exec_lo, exec_lo, s18
	s_and_saveexec_b32 s18, s1
	s_cbranch_execz .LBB87_179
.LBB87_178:
	v_and_b32_e32 v1, 0xffff, v3
	s_delay_alu instid0(VALU_DEP_1) | instskip(SKIP_1) | instid1(VALU_DEP_2)
	v_and_b32_e32 v6, 7, v1
	v_bfe_u32 v9, v1, 3, 4
	v_clz_i32_u32_e32 v7, v6
	s_delay_alu instid0(VALU_DEP_2) | instskip(NEXT) | instid1(VALU_DEP_2)
	v_cmp_eq_u32_e32 vcc_lo, 0, v9
	v_min_u32_e32 v7, 32, v7
	s_delay_alu instid0(VALU_DEP_1) | instskip(NEXT) | instid1(VALU_DEP_1)
	v_subrev_nc_u32_e32 v8, 28, v7
	v_dual_lshlrev_b32 v1, v8, v1 :: v_dual_sub_nc_u32 v7, 29, v7
	s_delay_alu instid0(VALU_DEP_1) | instskip(NEXT) | instid1(VALU_DEP_1)
	v_dual_lshlrev_b32 v3, 24, v3 :: v_dual_bitop2_b32 v1, 7, v1 bitop3:0x40
	v_dual_cndmask_b32 v1, v6, v1, vcc_lo :: v_dual_cndmask_b32 v7, v9, v7, vcc_lo
	s_delay_alu instid0(VALU_DEP_2) | instskip(NEXT) | instid1(VALU_DEP_2)
	v_and_b32_e32 v3, 0x80000000, v3
	v_lshlrev_b32_e32 v1, 20, v1
	s_delay_alu instid0(VALU_DEP_3) | instskip(NEXT) | instid1(VALU_DEP_1)
	v_lshl_add_u32 v6, v7, 23, 0x3b800000
	v_or3_b32 v1, v3, v6, v1
	s_delay_alu instid0(VALU_DEP_1)
	v_cvt_f16_f32_e32 v1, v1
.LBB87_179:
	s_or_b32 exec_lo, exec_lo, s18
.LBB87_180:
	s_mov_b32 s1, -1
.LBB87_181:
	s_branch .LBB87_216
.LBB87_182:
	s_cmp_gt_i32 s0, 22
	s_cbranch_scc0 .LBB87_192
; %bb.183:
	s_cmp_lt_i32 s0, 24
	s_cbranch_scc1 .LBB87_195
; %bb.184:
	s_cmp_gt_i32 s0, 24
	s_cbranch_scc0 .LBB87_196
; %bb.185:
	global_load_u8 v3, v[4:5], off
	s_mov_b32 s1, 0
	s_mov_b32 s18, exec_lo
	s_wait_loadcnt 0x0
	v_cmpx_lt_i16_e32 0x7f, v3
	s_xor_b32 s18, exec_lo, s18
	s_cbranch_execz .LBB87_208
; %bb.186:
	s_mov_b32 s1, -1
	s_mov_b32 s25, exec_lo
	v_cmpx_eq_u16_e32 0x80, v3
; %bb.187:
	s_xor_b32 s1, exec_lo, -1
; %bb.188:
	s_or_b32 exec_lo, exec_lo, s25
	s_delay_alu instid0(SALU_CYCLE_1)
	s_and_b32 s1, s1, exec_lo
	s_or_saveexec_b32 s18, s18
	v_mov_b32_e32 v1, 0x7e00
	s_xor_b32 exec_lo, exec_lo, s18
	s_cbranch_execnz .LBB87_209
.LBB87_189:
	s_or_b32 exec_lo, exec_lo, s18
	s_and_saveexec_b32 s18, s1
	s_cbranch_execz .LBB87_191
.LBB87_190:
	v_and_b32_e32 v1, 0xffff, v3
	s_delay_alu instid0(VALU_DEP_1) | instskip(SKIP_1) | instid1(VALU_DEP_2)
	v_and_b32_e32 v6, 3, v1
	v_bfe_u32 v9, v1, 2, 5
	v_clz_i32_u32_e32 v7, v6
	s_delay_alu instid0(VALU_DEP_2) | instskip(NEXT) | instid1(VALU_DEP_2)
	v_cmp_eq_u32_e32 vcc_lo, 0, v9
	v_min_u32_e32 v7, 32, v7
	s_delay_alu instid0(VALU_DEP_1) | instskip(NEXT) | instid1(VALU_DEP_1)
	v_subrev_nc_u32_e32 v8, 29, v7
	v_dual_lshlrev_b32 v1, v8, v1 :: v_dual_sub_nc_u32 v7, 30, v7
	s_delay_alu instid0(VALU_DEP_1) | instskip(NEXT) | instid1(VALU_DEP_1)
	v_dual_lshlrev_b32 v3, 24, v3 :: v_dual_bitop2_b32 v1, 3, v1 bitop3:0x40
	v_dual_cndmask_b32 v1, v6, v1, vcc_lo :: v_dual_cndmask_b32 v7, v9, v7, vcc_lo
	s_delay_alu instid0(VALU_DEP_2) | instskip(NEXT) | instid1(VALU_DEP_2)
	v_and_b32_e32 v3, 0x80000000, v3
	v_lshlrev_b32_e32 v1, 21, v1
	s_delay_alu instid0(VALU_DEP_3) | instskip(NEXT) | instid1(VALU_DEP_1)
	v_lshl_add_u32 v6, v7, 23, 0x37800000
	v_or3_b32 v1, v3, v6, v1
	s_delay_alu instid0(VALU_DEP_1)
	v_cvt_f16_f32_e32 v1, v1
.LBB87_191:
	s_or_b32 exec_lo, exec_lo, s18
	s_mov_b32 s1, 0
	s_branch .LBB87_197
.LBB87_192:
	s_mov_b32 s18, -1
                                        ; implicit-def: $vgpr1
	s_branch .LBB87_203
.LBB87_193:
	s_or_saveexec_b32 s18, s18
	v_mov_b32_e32 v1, 0x7e00
	s_xor_b32 exec_lo, exec_lo, s18
	s_cbranch_execz .LBB87_177
.LBB87_194:
	v_cmp_ne_u16_e32 vcc_lo, 0, v3
	v_mov_b32_e32 v1, v3
	s_and_not1_b32 s1, s1, exec_lo
	s_and_b32 s25, vcc_lo, exec_lo
	s_delay_alu instid0(SALU_CYCLE_1)
	s_or_b32 s1, s1, s25
	s_or_b32 exec_lo, exec_lo, s18
	s_and_saveexec_b32 s18, s1
	s_cbranch_execnz .LBB87_178
	s_branch .LBB87_179
.LBB87_195:
	s_mov_b32 s1, -1
                                        ; implicit-def: $vgpr1
	s_branch .LBB87_200
.LBB87_196:
	s_mov_b32 s1, -1
                                        ; implicit-def: $vgpr1
.LBB87_197:
	s_delay_alu instid0(SALU_CYCLE_1)
	s_and_b32 vcc_lo, exec_lo, s1
	s_cbranch_vccz .LBB87_199
; %bb.198:
	global_load_u8 v1, v[4:5], off
	s_wait_loadcnt 0x0
	v_lshlrev_b32_e32 v1, 24, v1
	s_delay_alu instid0(VALU_DEP_1) | instskip(NEXT) | instid1(VALU_DEP_1)
	v_and_b32_e32 v3, 0x7f000000, v1
	v_clz_i32_u32_e32 v6, v3
	v_cmp_ne_u32_e32 vcc_lo, 0, v3
	v_add_nc_u32_e32 v8, 0x1000000, v3
	s_delay_alu instid0(VALU_DEP_3) | instskip(NEXT) | instid1(VALU_DEP_1)
	v_min_u32_e32 v6, 32, v6
	v_sub_nc_u32_e64 v6, v6, 4 clamp
	s_delay_alu instid0(VALU_DEP_1) | instskip(NEXT) | instid1(VALU_DEP_1)
	v_dual_lshlrev_b32 v7, v6, v3 :: v_dual_lshlrev_b32 v6, 23, v6
	v_lshrrev_b32_e32 v7, 4, v7
	s_delay_alu instid0(VALU_DEP_1) | instskip(NEXT) | instid1(VALU_DEP_1)
	v_dual_sub_nc_u32 v6, v7, v6 :: v_dual_ashrrev_i32 v7, 8, v8
	v_add_nc_u32_e32 v6, 0x3c000000, v6
	s_delay_alu instid0(VALU_DEP_1) | instskip(NEXT) | instid1(VALU_DEP_1)
	v_and_or_b32 v6, 0x7f800000, v7, v6
	v_cndmask_b32_e32 v3, 0, v6, vcc_lo
	s_delay_alu instid0(VALU_DEP_1) | instskip(NEXT) | instid1(VALU_DEP_1)
	v_and_or_b32 v1, 0x80000000, v1, v3
	v_cvt_f16_f32_e32 v1, v1
.LBB87_199:
	s_mov_b32 s1, 0
.LBB87_200:
	s_delay_alu instid0(SALU_CYCLE_1)
	s_and_not1_b32 vcc_lo, exec_lo, s1
	s_cbranch_vccnz .LBB87_202
; %bb.201:
	global_load_u8 v1, v[4:5], off
	s_wait_loadcnt 0x0
	v_lshlrev_b32_e32 v3, 25, v1
	v_lshlrev_b16 v1, 8, v1
	s_delay_alu instid0(VALU_DEP_1) | instskip(SKIP_1) | instid1(VALU_DEP_2)
	v_and_or_b32 v7, 0x7f00, v1, 0.5
	v_bfe_i32 v1, v1, 0, 16
	v_add_f32_e32 v7, -0.5, v7
	v_lshrrev_b32_e32 v6, 4, v3
	v_cmp_gt_u32_e32 vcc_lo, 0x8000000, v3
	s_delay_alu instid0(VALU_DEP_2) | instskip(NEXT) | instid1(VALU_DEP_1)
	v_or_b32_e32 v6, 0x70000000, v6
	v_mul_f32_e32 v6, 0x7800000, v6
	s_delay_alu instid0(VALU_DEP_1) | instskip(NEXT) | instid1(VALU_DEP_1)
	v_cndmask_b32_e32 v3, v6, v7, vcc_lo
	v_and_or_b32 v1, 0x80000000, v1, v3
	s_delay_alu instid0(VALU_DEP_1)
	v_cvt_f16_f32_e32 v1, v1
.LBB87_202:
	s_mov_b32 s18, 0
	s_mov_b32 s1, -1
.LBB87_203:
	s_and_not1_b32 vcc_lo, exec_lo, s18
	s_cbranch_vccnz .LBB87_216
; %bb.204:
	s_cmp_gt_i32 s0, 14
	s_cbranch_scc0 .LBB87_207
; %bb.205:
	s_cmp_eq_u32 s0, 15
	s_cbranch_scc0 .LBB87_210
; %bb.206:
	global_load_u16 v1, v[4:5], off
	s_mov_b32 s1, -1
	s_mov_b32 s24, 0
	s_wait_loadcnt 0x0
	v_lshlrev_b32_e32 v1, 16, v1
	s_delay_alu instid0(VALU_DEP_1)
	v_cvt_f16_f32_e32 v1, v1
	s_branch .LBB87_211
.LBB87_207:
	s_mov_b32 s18, -1
                                        ; implicit-def: $vgpr1
	s_branch .LBB87_212
.LBB87_208:
	s_or_saveexec_b32 s18, s18
	v_mov_b32_e32 v1, 0x7e00
	s_xor_b32 exec_lo, exec_lo, s18
	s_cbranch_execz .LBB87_189
.LBB87_209:
	v_cmp_ne_u16_e32 vcc_lo, 0, v3
	v_mov_b32_e32 v1, v3
	s_and_not1_b32 s1, s1, exec_lo
	s_and_b32 s25, vcc_lo, exec_lo
	s_delay_alu instid0(SALU_CYCLE_1)
	s_or_b32 s1, s1, s25
	s_or_b32 exec_lo, exec_lo, s18
	s_and_saveexec_b32 s18, s1
	s_cbranch_execnz .LBB87_190
	s_branch .LBB87_191
.LBB87_210:
	s_mov_b32 s24, -1
                                        ; implicit-def: $vgpr1
.LBB87_211:
	s_mov_b32 s18, 0
.LBB87_212:
	s_delay_alu instid0(SALU_CYCLE_1)
	s_and_b32 vcc_lo, exec_lo, s18
	s_cbranch_vccz .LBB87_216
; %bb.213:
	s_cmp_eq_u32 s0, 11
	s_cbranch_scc0 .LBB87_215
; %bb.214:
	global_load_u8 v1, v[4:5], off
	s_mov_b32 s24, 0
	s_mov_b32 s1, -1
	s_wait_loadcnt 0x0
	v_cmp_ne_u16_e32 vcc_lo, 0, v1
	v_cndmask_b32_e64 v1, 0, 0x3c00, vcc_lo
	s_branch .LBB87_216
.LBB87_215:
	s_mov_b32 s24, -1
                                        ; implicit-def: $vgpr1
.LBB87_216:
	s_branch .LBB87_25
.LBB87_217:
	s_cmp_lt_i32 s0, 5
	s_cbranch_scc1 .LBB87_222
; %bb.218:
	s_cmp_lt_i32 s0, 8
	s_cbranch_scc1 .LBB87_223
; %bb.219:
	s_cmp_lt_i32 s0, 9
	s_cbranch_scc1 .LBB87_224
; %bb.220:
	s_cmp_gt_i32 s0, 9
	s_cbranch_scc0 .LBB87_225
; %bb.221:
	global_load_b64 v[6:7], v[4:5], off
	s_mov_b32 s1, 0
	s_wait_loadcnt 0x0
	v_and_or_b32 v1, 0x1ff, v7, v6
	v_lshrrev_b32_e32 v3, 8, v7
	v_bfe_u32 v6, v7, 20, 11
	s_delay_alu instid0(VALU_DEP_3) | instskip(NEXT) | instid1(VALU_DEP_2)
	v_cmp_ne_u32_e32 vcc_lo, 0, v1
	v_sub_nc_u32_e32 v8, 0x3f1, v6
	v_add_nc_u32_e32 v6, 0xfffffc10, v6
	v_cndmask_b32_e64 v1, 0, 1, vcc_lo
	s_delay_alu instid0(VALU_DEP_1) | instskip(NEXT) | instid1(VALU_DEP_4)
	v_and_or_b32 v1, 0xffe, v3, v1
	v_med3_i32 v3, v8, 0, 13
	s_delay_alu instid0(VALU_DEP_2) | instskip(NEXT) | instid1(VALU_DEP_1)
	v_or_b32_e32 v8, 0x1000, v1
	v_lshrrev_b32_e32 v9, v3, v8
	s_delay_alu instid0(VALU_DEP_1) | instskip(NEXT) | instid1(VALU_DEP_1)
	v_lshlrev_b32_e32 v3, v3, v9
	v_cmp_ne_u32_e32 vcc_lo, v3, v8
	v_lshl_or_b32 v8, v6, 12, v1
	v_cndmask_b32_e64 v3, 0, 1, vcc_lo
	v_cmp_gt_i32_e32 vcc_lo, 1, v6
	s_delay_alu instid0(VALU_DEP_2) | instskip(NEXT) | instid1(VALU_DEP_1)
	v_or_b32_e32 v3, v9, v3
	v_cndmask_b32_e32 v3, v8, v3, vcc_lo
	s_delay_alu instid0(VALU_DEP_1) | instskip(NEXT) | instid1(VALU_DEP_1)
	v_dual_lshrrev_b32 v3, 2, v3 :: v_dual_bitop2_b32 v8, 7, v3 bitop3:0x40
	v_cmp_lt_i32_e32 vcc_lo, 5, v8
	v_cndmask_b32_e64 v9, 0, 1, vcc_lo
	v_cmp_eq_u32_e32 vcc_lo, 3, v8
	v_cndmask_b32_e64 v8, 0, 1, vcc_lo
	v_cmp_ne_u32_e32 vcc_lo, 0, v1
	s_delay_alu instid0(VALU_DEP_2) | instskip(SKIP_1) | instid1(VALU_DEP_2)
	v_or_b32_e32 v8, v8, v9
	v_mov_b32_e32 v9, 0x7e00
	v_add_nc_u32_e32 v3, v3, v8
	s_delay_alu instid0(VALU_DEP_2) | instskip(SKIP_1) | instid1(VALU_DEP_3)
	v_cndmask_b32_e32 v1, 0x7c00, v9, vcc_lo
	v_cmp_gt_i32_e32 vcc_lo, 31, v6
	v_cndmask_b32_e32 v3, 0x7c00, v3, vcc_lo
	v_cmp_eq_u32_e32 vcc_lo, 0x40f, v6
	s_delay_alu instid0(VALU_DEP_2) | instskip(NEXT) | instid1(VALU_DEP_1)
	v_dual_cndmask_b32 v1, v3, v1, vcc_lo :: v_dual_lshrrev_b32 v3, 16, v7
	v_and_or_b32 v1, 0x8000, v3, v1
	s_branch .LBB87_226
.LBB87_222:
                                        ; implicit-def: $vgpr1
	s_branch .LBB87_244
.LBB87_223:
	s_mov_b32 s1, -1
                                        ; implicit-def: $vgpr1
	s_branch .LBB87_232
.LBB87_224:
	s_mov_b32 s1, -1
                                        ; implicit-def: $vgpr1
	s_branch .LBB87_229
.LBB87_225:
	s_mov_b32 s1, -1
                                        ; implicit-def: $vgpr1
.LBB87_226:
	s_delay_alu instid0(SALU_CYCLE_1)
	s_and_not1_b32 vcc_lo, exec_lo, s1
	s_cbranch_vccnz .LBB87_228
; %bb.227:
	global_load_b32 v1, v[4:5], off
	s_wait_loadcnt 0x0
	v_cvt_f16_f32_e32 v1, v1
.LBB87_228:
	s_mov_b32 s1, 0
.LBB87_229:
	s_delay_alu instid0(SALU_CYCLE_1)
	s_and_not1_b32 vcc_lo, exec_lo, s1
	s_cbranch_vccnz .LBB87_231
; %bb.230:
	global_load_b32 v1, v[4:5], off
.LBB87_231:
	s_mov_b32 s1, 0
.LBB87_232:
	s_delay_alu instid0(SALU_CYCLE_1)
	s_and_not1_b32 vcc_lo, exec_lo, s1
	s_cbranch_vccnz .LBB87_243
; %bb.233:
	s_cmp_lt_i32 s0, 6
	s_cbranch_scc1 .LBB87_236
; %bb.234:
	s_cmp_gt_i32 s0, 6
	s_cbranch_scc0 .LBB87_237
; %bb.235:
	global_load_b64 v[6:7], v[4:5], off
	s_mov_b32 s1, 0
	s_wait_loadcnt 0x0
	v_and_or_b32 v1, 0x1ff, v7, v6
	v_lshrrev_b32_e32 v3, 8, v7
	v_bfe_u32 v6, v7, 20, 11
	s_delay_alu instid0(VALU_DEP_3) | instskip(NEXT) | instid1(VALU_DEP_2)
	v_cmp_ne_u32_e32 vcc_lo, 0, v1
	v_sub_nc_u32_e32 v8, 0x3f1, v6
	v_add_nc_u32_e32 v6, 0xfffffc10, v6
	v_cndmask_b32_e64 v1, 0, 1, vcc_lo
	s_delay_alu instid0(VALU_DEP_1) | instskip(NEXT) | instid1(VALU_DEP_4)
	v_and_or_b32 v1, 0xffe, v3, v1
	v_med3_i32 v3, v8, 0, 13
	s_delay_alu instid0(VALU_DEP_2) | instskip(NEXT) | instid1(VALU_DEP_1)
	v_or_b32_e32 v8, 0x1000, v1
	v_lshrrev_b32_e32 v9, v3, v8
	s_delay_alu instid0(VALU_DEP_1) | instskip(NEXT) | instid1(VALU_DEP_1)
	v_lshlrev_b32_e32 v3, v3, v9
	v_cmp_ne_u32_e32 vcc_lo, v3, v8
	v_lshl_or_b32 v8, v6, 12, v1
	v_cndmask_b32_e64 v3, 0, 1, vcc_lo
	v_cmp_gt_i32_e32 vcc_lo, 1, v6
	s_delay_alu instid0(VALU_DEP_2) | instskip(NEXT) | instid1(VALU_DEP_1)
	v_or_b32_e32 v3, v9, v3
	v_cndmask_b32_e32 v3, v8, v3, vcc_lo
	s_delay_alu instid0(VALU_DEP_1) | instskip(NEXT) | instid1(VALU_DEP_1)
	v_dual_lshrrev_b32 v3, 2, v3 :: v_dual_bitop2_b32 v8, 7, v3 bitop3:0x40
	v_cmp_lt_i32_e32 vcc_lo, 5, v8
	v_cndmask_b32_e64 v9, 0, 1, vcc_lo
	v_cmp_eq_u32_e32 vcc_lo, 3, v8
	v_cndmask_b32_e64 v8, 0, 1, vcc_lo
	v_cmp_ne_u32_e32 vcc_lo, 0, v1
	s_delay_alu instid0(VALU_DEP_2) | instskip(SKIP_1) | instid1(VALU_DEP_2)
	v_or_b32_e32 v8, v8, v9
	v_mov_b32_e32 v9, 0x7e00
	v_add_nc_u32_e32 v3, v3, v8
	s_delay_alu instid0(VALU_DEP_2) | instskip(SKIP_1) | instid1(VALU_DEP_3)
	v_cndmask_b32_e32 v1, 0x7c00, v9, vcc_lo
	v_cmp_gt_i32_e32 vcc_lo, 31, v6
	v_cndmask_b32_e32 v3, 0x7c00, v3, vcc_lo
	v_cmp_eq_u32_e32 vcc_lo, 0x40f, v6
	s_delay_alu instid0(VALU_DEP_2) | instskip(NEXT) | instid1(VALU_DEP_1)
	v_dual_cndmask_b32 v1, v3, v1, vcc_lo :: v_dual_lshrrev_b32 v3, 16, v7
	v_and_or_b32 v1, 0x8000, v3, v1
	s_branch .LBB87_238
.LBB87_236:
	s_mov_b32 s1, -1
                                        ; implicit-def: $vgpr1
	s_branch .LBB87_241
.LBB87_237:
	s_mov_b32 s1, -1
                                        ; implicit-def: $vgpr1
.LBB87_238:
	s_delay_alu instid0(SALU_CYCLE_1)
	s_and_not1_b32 vcc_lo, exec_lo, s1
	s_cbranch_vccnz .LBB87_240
; %bb.239:
	s_wait_loadcnt 0x0
	global_load_b32 v1, v[4:5], off
	s_wait_loadcnt 0x0
	v_cvt_f16_f32_e32 v1, v1
.LBB87_240:
	s_mov_b32 s1, 0
.LBB87_241:
	s_delay_alu instid0(SALU_CYCLE_1)
	s_and_not1_b32 vcc_lo, exec_lo, s1
	s_cbranch_vccnz .LBB87_243
; %bb.242:
	s_wait_loadcnt 0x0
	global_load_u16 v1, v[4:5], off
.LBB87_243:
	s_cbranch_execnz .LBB87_263
.LBB87_244:
	s_cmp_lt_i32 s0, 2
	s_cbranch_scc1 .LBB87_248
; %bb.245:
	s_cmp_lt_i32 s0, 3
	s_cbranch_scc1 .LBB87_249
; %bb.246:
	s_cmp_gt_i32 s0, 3
	s_cbranch_scc0 .LBB87_250
; %bb.247:
	global_load_b64 v[6:7], v[4:5], off
	s_mov_b32 s1, 0
	s_wait_loadcnt 0x0
	v_xor_b32_e32 v1, v6, v7
	v_cls_i32_e32 v3, v7
	s_delay_alu instid0(VALU_DEP_2) | instskip(NEXT) | instid1(VALU_DEP_1)
	v_ashrrev_i32_e32 v1, 31, v1
	v_add_nc_u32_e32 v1, 32, v1
	s_delay_alu instid0(VALU_DEP_1) | instskip(NEXT) | instid1(VALU_DEP_1)
	v_add_min_u32_e64 v1, v3, -1, v1
	v_lshlrev_b64_e32 v[6:7], v1, v[6:7]
	v_sub_nc_u32_e32 v1, 32, v1
	s_delay_alu instid0(VALU_DEP_2) | instskip(NEXT) | instid1(VALU_DEP_1)
	v_min_u32_e32 v3, 1, v6
	v_or_b32_e32 v3, v7, v3
	s_delay_alu instid0(VALU_DEP_1) | instskip(NEXT) | instid1(VALU_DEP_1)
	v_cvt_f32_i32_e32 v3, v3
	v_ldexp_f32 v1, v3, v1
	s_delay_alu instid0(VALU_DEP_1)
	v_cvt_f16_f32_e32 v1, v1
	s_branch .LBB87_251
.LBB87_248:
	s_mov_b32 s1, -1
                                        ; implicit-def: $vgpr1
	s_branch .LBB87_257
.LBB87_249:
	s_mov_b32 s1, -1
                                        ; implicit-def: $vgpr1
	s_branch .LBB87_254
.LBB87_250:
	s_mov_b32 s1, -1
                                        ; implicit-def: $vgpr1
.LBB87_251:
	s_delay_alu instid0(SALU_CYCLE_1)
	s_and_not1_b32 vcc_lo, exec_lo, s1
	s_cbranch_vccnz .LBB87_253
; %bb.252:
	s_wait_loadcnt 0x0
	global_load_b32 v1, v[4:5], off
	s_wait_loadcnt 0x0
	v_cvt_f32_i32_e32 v1, v1
	s_delay_alu instid0(VALU_DEP_1)
	v_cvt_f16_f32_e32 v1, v1
.LBB87_253:
	s_mov_b32 s1, 0
.LBB87_254:
	s_delay_alu instid0(SALU_CYCLE_1)
	s_and_not1_b32 vcc_lo, exec_lo, s1
	s_cbranch_vccnz .LBB87_256
; %bb.255:
	s_wait_loadcnt 0x0
	global_load_u16 v1, v[4:5], off
	s_wait_loadcnt 0x0
	v_cvt_f16_i16_e32 v1, v1
.LBB87_256:
	s_mov_b32 s1, 0
.LBB87_257:
	s_delay_alu instid0(SALU_CYCLE_1)
	s_and_not1_b32 vcc_lo, exec_lo, s1
	s_cbranch_vccnz .LBB87_263
; %bb.258:
	s_cmp_gt_i32 s0, 0
	s_mov_b32 s0, 0
	s_cbranch_scc0 .LBB87_260
; %bb.259:
	s_wait_loadcnt 0x0
	global_load_i8 v1, v[4:5], off
	s_wait_loadcnt 0x0
	v_cvt_f16_i16_e32 v1, v1
	s_branch .LBB87_261
.LBB87_260:
	s_mov_b32 s0, -1
                                        ; implicit-def: $vgpr1
.LBB87_261:
	s_delay_alu instid0(SALU_CYCLE_1)
	s_and_not1_b32 vcc_lo, exec_lo, s0
	s_cbranch_vccnz .LBB87_263
; %bb.262:
	s_wait_loadcnt 0x0
	global_load_u8 v1, v[4:5], off
	s_wait_loadcnt 0x0
	v_cvt_f16_u16_e32 v1, v1
.LBB87_263:
	s_branch .LBB87_26
.LBB87_264:
	s_mov_b32 s1, 0
.LBB87_265:
	s_mov_b32 s0, 0
                                        ; implicit-def: $vgpr0
.LBB87_266:
	s_and_b32 s18, s1, exec_lo
	s_and_b32 s39, s24, exec_lo
	s_or_not1_b32 s24, s0, exec_lo
.LBB87_267:
	s_wait_xcnt 0x0
	s_or_b32 exec_lo, exec_lo, s40
	s_mov_b32 s25, 0
	s_mov_b32 s0, 0
                                        ; implicit-def: $vgpr4_vgpr5
                                        ; implicit-def: $vgpr2
                                        ; implicit-def: $vgpr6
	s_and_saveexec_b32 s40, s24
	s_cbranch_execz .LBB87_275
; %bb.268:
	s_mov_b32 s0, -1
	s_mov_b32 s41, s39
	s_mov_b32 s42, s18
	s_mov_b32 s43, exec_lo
	v_cmpx_gt_i32_e64 s36, v0
	s_cbranch_execz .LBB87_546
; %bb.269:
	s_and_not1_b32 vcc_lo, exec_lo, s31
	s_cbranch_vccnz .LBB87_278
; %bb.270:
	s_and_not1_b32 vcc_lo, exec_lo, s38
	s_cbranch_vccnz .LBB87_279
; %bb.271:
	s_add_co_i32 s1, s37, 1
	s_cmp_eq_u32 s29, 2
	s_cbranch_scc1 .LBB87_280
; %bb.272:
	v_dual_mov_b32 v2, 0 :: v_dual_mov_b32 v4, 0
	s_wait_loadcnt 0x0
	v_mov_b32_e32 v1, v0
	s_and_b32 s0, s1, 28
	s_mov_b32 s41, 0
	s_mov_b64 s[24:25], s[2:3]
	s_mov_b64 s[26:27], s[22:23]
.LBB87_273:                             ; =>This Inner Loop Header: Depth=1
	s_clause 0x1
	s_load_b256 s[44:51], s[24:25], 0x4
	s_load_b128 s[60:63], s[24:25], 0x24
	s_load_b256 s[52:59], s[26:27], 0x0
	s_add_co_i32 s41, s41, 4
	s_wait_xcnt 0x0
	s_add_nc_u64 s[24:25], s[24:25], 48
	s_cmp_eq_u32 s0, s41
	s_add_nc_u64 s[26:27], s[26:27], 32
	s_wait_kmcnt 0x0
	v_mul_hi_u32 v3, s45, v1
	s_delay_alu instid0(VALU_DEP_1) | instskip(NEXT) | instid1(VALU_DEP_1)
	v_add_nc_u32_e32 v3, v1, v3
	v_lshrrev_b32_e32 v3, s46, v3
	s_delay_alu instid0(VALU_DEP_1) | instskip(NEXT) | instid1(VALU_DEP_1)
	v_mul_hi_u32 v5, s48, v3
	v_add_nc_u32_e32 v5, v3, v5
	s_delay_alu instid0(VALU_DEP_1) | instskip(NEXT) | instid1(VALU_DEP_1)
	v_lshrrev_b32_e32 v5, s49, v5
	v_mul_hi_u32 v6, s51, v5
	s_delay_alu instid0(VALU_DEP_1) | instskip(SKIP_1) | instid1(VALU_DEP_1)
	v_add_nc_u32_e32 v6, v5, v6
	v_mul_lo_u32 v7, v3, s44
	v_sub_nc_u32_e32 v1, v1, v7
	v_mul_lo_u32 v7, v5, s47
	s_delay_alu instid0(VALU_DEP_4) | instskip(NEXT) | instid1(VALU_DEP_3)
	v_lshrrev_b32_e32 v6, s60, v6
	v_mad_u32 v4, v1, s53, v4
	v_mad_u32 v1, v1, s52, v2
	s_delay_alu instid0(VALU_DEP_4) | instskip(NEXT) | instid1(VALU_DEP_4)
	v_sub_nc_u32_e32 v2, v3, v7
	v_mul_hi_u32 v8, s62, v6
	v_mul_lo_u32 v3, v6, s50
	s_delay_alu instid0(VALU_DEP_3) | instskip(SKIP_1) | instid1(VALU_DEP_3)
	v_mad_u32 v4, v2, s55, v4
	v_mad_u32 v2, v2, s54, v1
	v_dual_add_nc_u32 v7, v6, v8 :: v_dual_sub_nc_u32 v3, v5, v3
	s_delay_alu instid0(VALU_DEP_1) | instskip(NEXT) | instid1(VALU_DEP_2)
	v_lshrrev_b32_e32 v1, s63, v7
	v_mad_u32 v4, v3, s57, v4
	s_delay_alu instid0(VALU_DEP_4) | instskip(NEXT) | instid1(VALU_DEP_3)
	v_mad_u32 v2, v3, s56, v2
	v_mul_lo_u32 v5, v1, s61
	s_delay_alu instid0(VALU_DEP_1) | instskip(NEXT) | instid1(VALU_DEP_1)
	v_sub_nc_u32_e32 v3, v6, v5
	v_mad_u32 v4, v3, s59, v4
	s_delay_alu instid0(VALU_DEP_4)
	v_mad_u32 v2, v3, s58, v2
	s_cbranch_scc0 .LBB87_273
; %bb.274:
	s_delay_alu instid0(VALU_DEP_2)
	v_mov_b32_e32 v3, v4
	s_branch .LBB87_281
.LBB87_275:
	s_or_b32 exec_lo, exec_lo, s40
	s_mov_b32 s1, 0
	s_and_saveexec_b32 s6, s39
	s_cbranch_execnz .LBB87_928
.LBB87_276:
	s_or_b32 exec_lo, exec_lo, s6
	s_and_saveexec_b32 s6, s17
	s_delay_alu instid0(SALU_CYCLE_1)
	s_xor_b32 s6, exec_lo, s6
	s_cbranch_execz .LBB87_929
.LBB87_277:
	global_load_u8 v0, v[4:5], off
	s_or_b32 s0, s0, exec_lo
	s_wait_loadcnt 0x0
	v_cmp_ne_u16_e32 vcc_lo, 0, v0
	v_cndmask_b32_e64 v6, 0, 0x3c00, vcc_lo
	s_wait_xcnt 0x0
	s_or_b32 exec_lo, exec_lo, s6
	s_and_saveexec_b32 s6, s25
	s_cbranch_execz .LBB87_975
	s_branch .LBB87_930
.LBB87_278:
                                        ; implicit-def: $vgpr4
                                        ; implicit-def: $vgpr2
	s_and_not1_b32 vcc_lo, exec_lo, s0
	s_cbranch_vccnz .LBB87_288
	s_branch .LBB87_286
.LBB87_279:
	v_dual_mov_b32 v4, 0 :: v_dual_mov_b32 v2, 0
	s_branch .LBB87_285
.LBB87_280:
	v_mov_b64_e32 v[2:3], 0
	s_wait_loadcnt 0x0
	v_mov_b32_e32 v1, v0
	s_mov_b32 s0, 0
                                        ; implicit-def: $vgpr4
.LBB87_281:
	s_and_b32 s26, s1, 3
	s_mov_b32 s1, 0
	s_cmp_eq_u32 s26, 0
	s_cbranch_scc1 .LBB87_285
; %bb.282:
	s_lshl_b32 s24, s0, 3
	s_mov_b32 s25, s1
	s_mul_u64 s[44:45], s[0:1], 12
	s_add_nc_u64 s[24:25], s[2:3], s[24:25]
	s_delay_alu instid0(SALU_CYCLE_1)
	s_add_nc_u64 s[0:1], s[24:25], 0xc4
	s_add_nc_u64 s[24:25], s[2:3], s[44:45]
.LBB87_283:                             ; =>This Inner Loop Header: Depth=1
	s_load_b96 s[44:46], s[24:25], 0x4
	s_add_co_i32 s26, s26, -1
	s_wait_xcnt 0x0
	s_add_nc_u64 s[24:25], s[24:25], 12
	s_cmp_lg_u32 s26, 0
	s_wait_kmcnt 0x0
	v_mul_hi_u32 v4, s45, v1
	s_delay_alu instid0(VALU_DEP_1) | instskip(NEXT) | instid1(VALU_DEP_1)
	v_add_nc_u32_e32 v4, v1, v4
	v_lshrrev_b32_e32 v4, s46, v4
	s_load_b64 s[46:47], s[0:1], 0x0
	s_wait_xcnt 0x0
	s_add_nc_u64 s[0:1], s[0:1], 8
	s_delay_alu instid0(VALU_DEP_1) | instskip(NEXT) | instid1(VALU_DEP_1)
	v_mul_lo_u32 v5, v4, s44
	v_sub_nc_u32_e32 v1, v1, v5
	s_wait_kmcnt 0x0
	s_delay_alu instid0(VALU_DEP_1)
	v_mad_u32 v3, v1, s47, v3
	v_mad_u32 v2, v1, s46, v2
	v_mov_b32_e32 v1, v4
	s_cbranch_scc1 .LBB87_283
; %bb.284:
	s_delay_alu instid0(VALU_DEP_3)
	v_mov_b32_e32 v4, v3
.LBB87_285:
	s_cbranch_execnz .LBB87_288
.LBB87_286:
	s_wait_loadcnt 0x0
	v_mov_b32_e32 v1, 0
	s_and_not1_b32 vcc_lo, exec_lo, s35
	s_delay_alu instid0(VALU_DEP_1) | instskip(NEXT) | instid1(VALU_DEP_1)
	v_mul_u64_e32 v[2:3], s[16:17], v[0:1]
	v_add_nc_u32_e32 v2, v0, v3
	s_delay_alu instid0(VALU_DEP_1) | instskip(NEXT) | instid1(VALU_DEP_1)
	v_lshrrev_b32_e32 v6, s14, v2
	v_mul_lo_u32 v2, v6, s12
	s_delay_alu instid0(VALU_DEP_1) | instskip(NEXT) | instid1(VALU_DEP_1)
	v_sub_nc_u32_e32 v2, v0, v2
	v_mul_lo_u32 v4, v2, s9
	v_mul_lo_u32 v2, v2, s8
	s_cbranch_vccnz .LBB87_288
; %bb.287:
	v_mov_b32_e32 v7, v1
	s_delay_alu instid0(VALU_DEP_1) | instskip(NEXT) | instid1(VALU_DEP_1)
	v_mul_u64_e32 v[8:9], s[20:21], v[6:7]
	v_add_nc_u32_e32 v1, v6, v9
	s_delay_alu instid0(VALU_DEP_1) | instskip(NEXT) | instid1(VALU_DEP_1)
	v_lshrrev_b32_e32 v1, s19, v1
	v_mul_lo_u32 v1, v1, s15
	s_delay_alu instid0(VALU_DEP_1) | instskip(NEXT) | instid1(VALU_DEP_1)
	v_sub_nc_u32_e32 v1, v6, v1
	v_mad_u32 v2, v1, s10, v2
	v_mad_u32 v4, v1, s11, v4
.LBB87_288:
	v_mov_b32_e32 v5, 0
	s_and_b32 s0, 0xffff, s13
	s_delay_alu instid0(SALU_CYCLE_1) | instskip(NEXT) | instid1(VALU_DEP_1)
	s_cmp_lt_i32 s0, 11
	v_add_nc_u64_e32 v[4:5], s[6:7], v[4:5]
	s_cbranch_scc1 .LBB87_295
; %bb.289:
	s_cmp_gt_i32 s0, 25
	s_cbranch_scc0 .LBB87_304
; %bb.290:
	s_cmp_gt_i32 s0, 28
	s_cbranch_scc0 .LBB87_306
	;; [unrolled: 3-line block ×4, first 2 shown]
; %bb.293:
	s_cmp_eq_u32 s0, 46
	s_mov_b32 s25, 0
	s_cbranch_scc0 .LBB87_316
; %bb.294:
	s_wait_loadcnt 0x0
	global_load_b32 v1, v[4:5], off
	s_mov_b32 s1, -1
	s_mov_b32 s24, 0
	s_wait_loadcnt 0x0
	v_lshlrev_b32_e32 v1, 16, v1
	s_delay_alu instid0(VALU_DEP_1)
	v_cvt_f16_f32_e32 v1, v1
	s_branch .LBB87_318
.LBB87_295:
	s_mov_b32 s1, 0
	s_mov_b32 s24, s39
                                        ; implicit-def: $vgpr1
	s_cbranch_execnz .LBB87_495
.LBB87_296:
	s_and_not1_b32 vcc_lo, exec_lo, s1
	s_cbranch_vccnz .LBB87_543
.LBB87_297:
	v_mov_b32_e32 v3, 0
	s_wait_loadcnt 0x0
	s_delay_alu instid0(VALU_DEP_2) | instskip(SKIP_1) | instid1(SALU_CYCLE_1)
	v_cmp_eq_f16_e64 s0, 0xfc00, v1
	s_and_b32 s25, s34, 0xff
	s_cmp_lt_i32 s25, 11
	v_add_nc_u64_e32 v[2:3], s[4:5], v[2:3]
	s_cbranch_scc1 .LBB87_305
; %bb.298:
	s_and_b32 s26, 0xffff, s25
	s_delay_alu instid0(SALU_CYCLE_1)
	s_cmp_gt_i32 s26, 25
	s_cbranch_scc0 .LBB87_307
; %bb.299:
	s_cmp_gt_i32 s26, 28
	s_cbranch_scc0 .LBB87_309
; %bb.300:
	;; [unrolled: 3-line block ×4, first 2 shown]
	s_mov_b32 s41, 0
	s_mov_b32 s1, -1
	s_cmp_eq_u32 s26, 46
	s_mov_b32 s27, 0
	s_cbranch_scc0 .LBB87_322
; %bb.303:
	v_cndmask_b32_e64 v1, 0, 1.0, s0
	s_mov_b32 s27, -1
	s_mov_b32 s1, 0
	s_wait_xcnt 0x0
	s_delay_alu instid0(VALU_DEP_1) | instskip(NEXT) | instid1(VALU_DEP_1)
	v_bfe_u32 v4, v1, 16, 1
	v_add3_u32 v1, v1, v4, 0x7fff
	s_delay_alu instid0(VALU_DEP_1)
	v_lshrrev_b32_e32 v1, 16, v1
	global_store_b32 v[2:3], v1, off
	s_branch .LBB87_322
.LBB87_304:
	s_mov_b32 s25, -1
	s_mov_b32 s1, 0
	s_mov_b32 s24, s39
                                        ; implicit-def: $vgpr1
	s_branch .LBB87_459
.LBB87_305:
	s_mov_b32 s26, -1
	s_mov_b32 s27, 0
	s_mov_b32 s1, s18
	s_branch .LBB87_391
.LBB87_306:
	s_mov_b32 s25, -1
	s_mov_b32 s1, 0
	s_mov_b32 s24, s39
                                        ; implicit-def: $vgpr1
	s_branch .LBB87_440
.LBB87_307:
	s_mov_b32 s41, -1
	s_mov_b32 s27, 0
	s_mov_b32 s1, s18
	s_branch .LBB87_349
.LBB87_308:
	s_mov_b32 s25, -1
	s_mov_b32 s1, 0
	s_mov_b32 s24, s39
                                        ; implicit-def: $vgpr1
	s_branch .LBB87_435
.LBB87_309:
	s_mov_b32 s41, -1
	s_mov_b32 s27, 0
	s_mov_b32 s1, s18
	s_branch .LBB87_332
.LBB87_310:
	s_and_not1_saveexec_b32 s39, s39
	s_cbranch_execz .LBB87_69
.LBB87_311:
	v_add_f32_e32 v1, 0x46000000, v4
	s_and_not1_b32 s27, s27, exec_lo
	s_delay_alu instid0(VALU_DEP_1) | instskip(NEXT) | instid1(VALU_DEP_1)
	v_and_b32_e32 v1, 0xff, v1
	v_cmp_ne_u32_e32 vcc_lo, 0, v1
	s_and_b32 s41, vcc_lo, exec_lo
	s_delay_alu instid0(SALU_CYCLE_1)
	s_or_b32 s27, s27, s41
	s_or_b32 exec_lo, exec_lo, s39
	v_mov_b32_e32 v5, 0
	s_and_saveexec_b32 s39, s27
	s_cbranch_execnz .LBB87_70
	s_branch .LBB87_71
.LBB87_312:
	s_mov_b32 s25, -1
	s_mov_b32 s1, 0
	s_mov_b32 s24, s39
	s_branch .LBB87_317
.LBB87_313:
	s_mov_b32 s41, -1
	s_mov_b32 s27, 0
	s_mov_b32 s1, s18
	s_branch .LBB87_328
.LBB87_314:
	s_and_not1_saveexec_b32 s39, s39
	s_cbranch_execz .LBB87_82
.LBB87_315:
	v_add_f32_e32 v1, 0x42800000, v4
	s_and_not1_b32 s27, s27, exec_lo
	s_delay_alu instid0(VALU_DEP_1) | instskip(NEXT) | instid1(VALU_DEP_1)
	v_and_b32_e32 v1, 0xff, v1
	v_cmp_ne_u32_e32 vcc_lo, 0, v1
	s_and_b32 s41, vcc_lo, exec_lo
	s_delay_alu instid0(SALU_CYCLE_1)
	s_or_b32 s27, s27, s41
	s_or_b32 exec_lo, exec_lo, s39
	v_mov_b32_e32 v5, 0
	s_and_saveexec_b32 s39, s27
	s_cbranch_execnz .LBB87_83
	s_branch .LBB87_84
.LBB87_316:
	s_mov_b32 s24, -1
	s_mov_b32 s1, 0
.LBB87_317:
                                        ; implicit-def: $vgpr1
.LBB87_318:
	s_and_b32 vcc_lo, exec_lo, s25
	s_cbranch_vccz .LBB87_434
; %bb.319:
	s_cmp_eq_u32 s0, 44
	s_cbranch_scc0 .LBB87_433
; %bb.320:
	s_wait_loadcnt 0x0
	global_load_u8 v1, v[4:5], off
	s_mov_b32 s24, 0
	s_mov_b32 s1, -1
	s_wait_loadcnt 0x0
	v_lshlrev_b32_e32 v3, 23, v1
	v_cmp_ne_u32_e32 vcc_lo, 0xff, v1
	s_delay_alu instid0(VALU_DEP_2) | instskip(NEXT) | instid1(VALU_DEP_1)
	v_cvt_f16_f32_e32 v3, v3
	v_cndmask_b32_e32 v3, 0x7e00, v3, vcc_lo
	v_cmp_ne_u32_e32 vcc_lo, 0, v1
	s_delay_alu instid0(VALU_DEP_2)
	v_cndmask_b32_e32 v1, 0, v3, vcc_lo
	s_branch .LBB87_434
.LBB87_321:
	s_mov_b32 s41, -1
	s_mov_b32 s27, 0
	s_mov_b32 s1, s18
.LBB87_322:
	s_and_b32 vcc_lo, exec_lo, s41
	s_cbranch_vccz .LBB87_327
; %bb.323:
	s_cmp_eq_u32 s26, 44
	s_mov_b32 s1, -1
	s_cbranch_scc0 .LBB87_327
; %bb.324:
	s_wait_xcnt 0x0
	v_cndmask_b32_e64 v5, 0, 1.0, s0
	s_mov_b32 s27, exec_lo
	s_delay_alu instid0(VALU_DEP_1) | instskip(NEXT) | instid1(VALU_DEP_1)
	v_dual_mov_b32 v4, 0xff :: v_dual_lshrrev_b32 v1, 23, v5
	v_cmpx_ne_u32_e32 0xff, v1
; %bb.325:
	v_and_b32_e32 v4, 0x400000, v5
	v_and_or_b32 v5, 0x3fffff, v5, v1
	s_delay_alu instid0(VALU_DEP_2) | instskip(NEXT) | instid1(VALU_DEP_2)
	v_cmp_ne_u32_e32 vcc_lo, 0, v4
	v_cmp_ne_u32_e64 s1, 0, v5
	s_and_b32 s1, vcc_lo, s1
	s_delay_alu instid0(SALU_CYCLE_1) | instskip(NEXT) | instid1(VALU_DEP_1)
	v_cndmask_b32_e64 v4, 0, 1, s1
	v_add_nc_u32_e32 v4, v1, v4
; %bb.326:
	s_or_b32 exec_lo, exec_lo, s27
	s_mov_b32 s27, -1
	s_mov_b32 s1, 0
	global_store_b8 v[2:3], v4, off
.LBB87_327:
	s_mov_b32 s41, 0
.LBB87_328:
	s_delay_alu instid0(SALU_CYCLE_1)
	s_and_b32 vcc_lo, exec_lo, s41
	s_cbranch_vccz .LBB87_331
; %bb.329:
	s_cmp_eq_u32 s26, 29
	s_mov_b32 s1, -1
	s_cbranch_scc0 .LBB87_331
; %bb.330:
	s_mov_b32 s1, 0
	s_wait_xcnt 0x0
	v_cndmask_b32_e64 v4, 0, 1, s0
	v_mov_b32_e32 v5, s1
	s_mov_b32 s27, -1
	s_mov_b32 s41, 0
	global_store_b64 v[2:3], v[4:5], off
	s_branch .LBB87_332
.LBB87_331:
	s_mov_b32 s41, 0
.LBB87_332:
	s_delay_alu instid0(SALU_CYCLE_1)
	s_and_b32 vcc_lo, exec_lo, s41
	s_cbranch_vccz .LBB87_348
; %bb.333:
	s_cmp_lt_i32 s26, 27
	s_mov_b32 s27, -1
	s_cbranch_scc1 .LBB87_339
; %bb.334:
	s_cmp_gt_i32 s26, 27
	s_cbranch_scc0 .LBB87_336
; %bb.335:
	s_wait_xcnt 0x0
	v_cndmask_b32_e64 v1, 0, 1, s0
	s_mov_b32 s27, 0
	global_store_b32 v[2:3], v1, off
.LBB87_336:
	s_and_not1_b32 vcc_lo, exec_lo, s27
	s_cbranch_vccnz .LBB87_338
; %bb.337:
	s_wait_xcnt 0x0
	v_cndmask_b32_e64 v1, 0, 1, s0
	global_store_b16 v[2:3], v1, off
.LBB87_338:
	s_mov_b32 s27, 0
.LBB87_339:
	s_delay_alu instid0(SALU_CYCLE_1)
	s_and_not1_b32 vcc_lo, exec_lo, s27
	s_cbranch_vccnz .LBB87_347
; %bb.340:
	s_wait_xcnt 0x0
	v_cndmask_b32_e64 v4, 0, 1.0, s0
	v_mov_b32_e32 v5, 0x80
	s_mov_b32 s27, exec_lo
	s_delay_alu instid0(VALU_DEP_2)
	v_cmpx_gt_u32_e32 0x43800000, v4
	s_cbranch_execz .LBB87_346
; %bb.341:
	s_mov_b32 s41, 0
	s_mov_b32 s42, exec_lo
                                        ; implicit-def: $vgpr1
	v_cmpx_lt_u32_e32 0x3bffffff, v4
	s_xor_b32 s42, exec_lo, s42
	s_cbranch_execz .LBB87_576
; %bb.342:
	v_bfe_u32 v1, v4, 20, 1
	s_mov_b32 s41, exec_lo
	s_delay_alu instid0(VALU_DEP_1) | instskip(NEXT) | instid1(VALU_DEP_1)
	v_add3_u32 v1, v4, v1, 0x487ffff
                                        ; implicit-def: $vgpr4
	v_lshrrev_b32_e32 v1, 20, v1
	s_and_not1_saveexec_b32 s42, s42
	s_cbranch_execnz .LBB87_577
.LBB87_343:
	s_or_b32 exec_lo, exec_lo, s42
	v_mov_b32_e32 v5, 0
	s_and_saveexec_b32 s42, s41
.LBB87_344:
	v_mov_b32_e32 v5, v1
.LBB87_345:
	s_or_b32 exec_lo, exec_lo, s42
.LBB87_346:
	s_delay_alu instid0(SALU_CYCLE_1)
	s_or_b32 exec_lo, exec_lo, s27
	global_store_b8 v[2:3], v5, off
.LBB87_347:
	s_mov_b32 s27, -1
.LBB87_348:
	s_mov_b32 s41, 0
.LBB87_349:
	s_delay_alu instid0(SALU_CYCLE_1)
	s_and_b32 vcc_lo, exec_lo, s41
	s_cbranch_vccz .LBB87_390
; %bb.350:
	s_cmp_gt_i32 s26, 22
	s_mov_b32 s41, -1
	s_cbranch_scc0 .LBB87_382
; %bb.351:
	s_cmp_lt_i32 s26, 24
	s_mov_b32 s27, -1
	s_cbranch_scc1 .LBB87_371
; %bb.352:
	s_cmp_gt_i32 s26, 24
	s_cbranch_scc0 .LBB87_360
; %bb.353:
	s_wait_xcnt 0x0
	v_cndmask_b32_e64 v4, 0, 1.0, s0
	v_mov_b32_e32 v5, 0x80
	s_mov_b32 s27, exec_lo
	s_delay_alu instid0(VALU_DEP_2)
	v_cmpx_gt_u32_e32 0x47800000, v4
	s_cbranch_execz .LBB87_359
; %bb.354:
	s_mov_b32 s41, 0
	s_mov_b32 s42, exec_lo
                                        ; implicit-def: $vgpr1
	v_cmpx_lt_u32_e32 0x37ffffff, v4
	s_xor_b32 s42, exec_lo, s42
	s_cbranch_execz .LBB87_579
; %bb.355:
	v_bfe_u32 v1, v4, 21, 1
	s_mov_b32 s41, exec_lo
	s_delay_alu instid0(VALU_DEP_1) | instskip(NEXT) | instid1(VALU_DEP_1)
	v_add3_u32 v1, v4, v1, 0x88fffff
                                        ; implicit-def: $vgpr4
	v_lshrrev_b32_e32 v1, 21, v1
	s_and_not1_saveexec_b32 s42, s42
	s_cbranch_execnz .LBB87_580
.LBB87_356:
	s_or_b32 exec_lo, exec_lo, s42
	v_mov_b32_e32 v5, 0
	s_and_saveexec_b32 s42, s41
.LBB87_357:
	v_mov_b32_e32 v5, v1
.LBB87_358:
	s_or_b32 exec_lo, exec_lo, s42
.LBB87_359:
	s_delay_alu instid0(SALU_CYCLE_1)
	s_or_b32 exec_lo, exec_lo, s27
	s_mov_b32 s27, 0
	global_store_b8 v[2:3], v5, off
.LBB87_360:
	s_and_b32 vcc_lo, exec_lo, s27
	s_cbranch_vccz .LBB87_370
; %bb.361:
	s_wait_xcnt 0x0
	v_cndmask_b32_e64 v4, 0, 1.0, s0
	s_mov_b32 s27, exec_lo
                                        ; implicit-def: $vgpr1
	s_delay_alu instid0(VALU_DEP_1)
	v_cmpx_gt_u32_e32 0x43f00000, v4
	s_xor_b32 s27, exec_lo, s27
	s_cbranch_execz .LBB87_367
; %bb.362:
	s_mov_b32 s41, exec_lo
                                        ; implicit-def: $vgpr1
	v_cmpx_lt_u32_e32 0x3c7fffff, v4
	s_xor_b32 s41, exec_lo, s41
; %bb.363:
	v_bfe_u32 v1, v4, 20, 1
	s_delay_alu instid0(VALU_DEP_1) | instskip(NEXT) | instid1(VALU_DEP_1)
	v_add3_u32 v1, v4, v1, 0x407ffff
	v_and_b32_e32 v4, 0xff00000, v1
	v_lshrrev_b32_e32 v1, 20, v1
	s_delay_alu instid0(VALU_DEP_2) | instskip(NEXT) | instid1(VALU_DEP_2)
	v_cmp_ne_u32_e32 vcc_lo, 0x7f00000, v4
                                        ; implicit-def: $vgpr4
	v_cndmask_b32_e32 v1, 0x7e, v1, vcc_lo
; %bb.364:
	s_and_not1_saveexec_b32 s41, s41
; %bb.365:
	v_add_f32_e32 v1, 0x46800000, v4
; %bb.366:
	s_or_b32 exec_lo, exec_lo, s41
                                        ; implicit-def: $vgpr4
.LBB87_367:
	s_and_not1_saveexec_b32 s27, s27
; %bb.368:
	v_mov_b32_e32 v1, 0x7f
	v_cmp_lt_u32_e32 vcc_lo, 0x7f800000, v4
	s_delay_alu instid0(VALU_DEP_2)
	v_cndmask_b32_e32 v1, 0x7e, v1, vcc_lo
; %bb.369:
	s_or_b32 exec_lo, exec_lo, s27
	global_store_b8 v[2:3], v1, off
.LBB87_370:
	s_mov_b32 s27, 0
.LBB87_371:
	s_delay_alu instid0(SALU_CYCLE_1)
	s_and_not1_b32 vcc_lo, exec_lo, s27
	s_cbranch_vccnz .LBB87_381
; %bb.372:
	s_wait_xcnt 0x0
	v_cndmask_b32_e64 v4, 0, 1.0, s0
	s_mov_b32 s27, exec_lo
                                        ; implicit-def: $vgpr1
	s_delay_alu instid0(VALU_DEP_1)
	v_cmpx_gt_u32_e32 0x47800000, v4
	s_xor_b32 s27, exec_lo, s27
	s_cbranch_execz .LBB87_378
; %bb.373:
	s_mov_b32 s41, exec_lo
                                        ; implicit-def: $vgpr1
	v_cmpx_lt_u32_e32 0x387fffff, v4
	s_xor_b32 s41, exec_lo, s41
; %bb.374:
	v_bfe_u32 v1, v4, 21, 1
	s_delay_alu instid0(VALU_DEP_1) | instskip(NEXT) | instid1(VALU_DEP_1)
	v_add3_u32 v1, v4, v1, 0x80fffff
                                        ; implicit-def: $vgpr4
	v_lshrrev_b32_e32 v1, 21, v1
; %bb.375:
	s_and_not1_saveexec_b32 s41, s41
; %bb.376:
	v_add_f32_e32 v1, 0x43000000, v4
; %bb.377:
	s_or_b32 exec_lo, exec_lo, s41
                                        ; implicit-def: $vgpr4
.LBB87_378:
	s_and_not1_saveexec_b32 s27, s27
; %bb.379:
	v_mov_b32_e32 v1, 0x7f
	v_cmp_lt_u32_e32 vcc_lo, 0x7f800000, v4
	s_delay_alu instid0(VALU_DEP_2)
	v_cndmask_b32_e32 v1, 0x7c, v1, vcc_lo
; %bb.380:
	s_or_b32 exec_lo, exec_lo, s27
	global_store_b8 v[2:3], v1, off
.LBB87_381:
	s_mov_b32 s41, 0
	s_mov_b32 s27, -1
.LBB87_382:
	s_and_not1_b32 vcc_lo, exec_lo, s41
	s_cbranch_vccnz .LBB87_390
; %bb.383:
	s_cmp_gt_i32 s26, 14
	s_mov_b32 s41, -1
	s_cbranch_scc0 .LBB87_387
; %bb.384:
	s_cmp_eq_u32 s26, 15
	s_mov_b32 s1, -1
	s_cbranch_scc0 .LBB87_386
; %bb.385:
	s_wait_xcnt 0x0
	v_cndmask_b32_e64 v1, 0, 1.0, s0
	s_mov_b32 s27, -1
	s_mov_b32 s1, 0
	s_delay_alu instid0(VALU_DEP_1) | instskip(NEXT) | instid1(VALU_DEP_1)
	v_bfe_u32 v4, v1, 16, 1
	v_add3_u32 v1, v1, v4, 0x7fff
	global_store_d16_hi_b16 v[2:3], v1, off
.LBB87_386:
	s_mov_b32 s41, 0
.LBB87_387:
	s_delay_alu instid0(SALU_CYCLE_1)
	s_and_b32 vcc_lo, exec_lo, s41
	s_cbranch_vccz .LBB87_390
; %bb.388:
	s_cmp_eq_u32 s26, 11
	s_mov_b32 s1, -1
	s_cbranch_scc0 .LBB87_390
; %bb.389:
	s_wait_xcnt 0x0
	v_cndmask_b32_e64 v1, 0, 1, s0
	s_mov_b32 s27, -1
	s_mov_b32 s1, 0
	global_store_b8 v[2:3], v1, off
.LBB87_390:
	s_mov_b32 s26, 0
.LBB87_391:
	s_delay_alu instid0(SALU_CYCLE_1)
	s_and_b32 vcc_lo, exec_lo, s26
	s_cbranch_vccz .LBB87_430
; %bb.392:
	s_and_b32 s25, 0xffff, s25
	s_mov_b32 s26, -1
	s_cmp_lt_i32 s25, 5
	s_cbranch_scc1 .LBB87_413
; %bb.393:
	s_cmp_lt_i32 s25, 8
	s_cbranch_scc1 .LBB87_403
; %bb.394:
	s_cmp_lt_i32 s25, 9
	s_cbranch_scc1 .LBB87_400
; %bb.395:
	s_cmp_gt_i32 s25, 9
	s_cbranch_scc0 .LBB87_397
; %bb.396:
	s_wait_xcnt 0x0
	v_cndmask_b32_e64 v1, 0, 1, s0
	v_mov_b32_e32 v6, 0
	s_mov_b32 s26, 0
	s_delay_alu instid0(VALU_DEP_2) | instskip(NEXT) | instid1(VALU_DEP_2)
	v_cvt_f64_u32_e32 v[4:5], v1
	v_mov_b32_e32 v7, v6
	global_store_b128 v[2:3], v[4:7], off
.LBB87_397:
	s_and_not1_b32 vcc_lo, exec_lo, s26
	s_cbranch_vccnz .LBB87_399
; %bb.398:
	s_wait_xcnt 0x0
	v_cndmask_b32_e64 v4, 0, 1.0, s0
	v_mov_b32_e32 v5, 0
	global_store_b64 v[2:3], v[4:5], off
.LBB87_399:
	s_mov_b32 s26, 0
.LBB87_400:
	s_delay_alu instid0(SALU_CYCLE_1)
	s_and_not1_b32 vcc_lo, exec_lo, s26
	s_cbranch_vccnz .LBB87_402
; %bb.401:
	s_wait_xcnt 0x0
	v_cndmask_b32_e64 v1, 0, 1.0, s0
	s_delay_alu instid0(VALU_DEP_1) | instskip(NEXT) | instid1(VALU_DEP_1)
	v_cvt_f16_f32_e32 v1, v1
	v_and_b32_e32 v1, 0xffff, v1
	global_store_b32 v[2:3], v1, off
.LBB87_402:
	s_mov_b32 s26, 0
.LBB87_403:
	s_delay_alu instid0(SALU_CYCLE_1)
	s_and_not1_b32 vcc_lo, exec_lo, s26
	s_cbranch_vccnz .LBB87_412
; %bb.404:
	s_cmp_lt_i32 s25, 6
	s_mov_b32 s26, -1
	s_cbranch_scc1 .LBB87_410
; %bb.405:
	s_cmp_gt_i32 s25, 6
	s_cbranch_scc0 .LBB87_407
; %bb.406:
	s_wait_xcnt 0x0
	v_cndmask_b32_e64 v1, 0, 1, s0
	s_mov_b32 s26, 0
	s_delay_alu instid0(VALU_DEP_1)
	v_cvt_f64_u32_e32 v[4:5], v1
	global_store_b64 v[2:3], v[4:5], off
.LBB87_407:
	s_and_not1_b32 vcc_lo, exec_lo, s26
	s_cbranch_vccnz .LBB87_409
; %bb.408:
	s_wait_xcnt 0x0
	v_cndmask_b32_e64 v1, 0, 1.0, s0
	global_store_b32 v[2:3], v1, off
.LBB87_409:
	s_mov_b32 s26, 0
.LBB87_410:
	s_delay_alu instid0(SALU_CYCLE_1)
	s_and_not1_b32 vcc_lo, exec_lo, s26
	s_cbranch_vccnz .LBB87_412
; %bb.411:
	s_wait_xcnt 0x0
	v_cndmask_b32_e64 v1, 0, 1.0, s0
	s_delay_alu instid0(VALU_DEP_1)
	v_cvt_f16_f32_e32 v1, v1
	global_store_b16 v[2:3], v1, off
.LBB87_412:
	s_mov_b32 s26, 0
.LBB87_413:
	s_delay_alu instid0(SALU_CYCLE_1)
	s_and_not1_b32 vcc_lo, exec_lo, s26
	s_cbranch_vccnz .LBB87_429
; %bb.414:
	s_cmp_lt_i32 s25, 2
	s_mov_b32 s26, -1
	s_cbranch_scc1 .LBB87_424
; %bb.415:
	s_cmp_lt_i32 s25, 3
	s_cbranch_scc1 .LBB87_421
; %bb.416:
	s_cmp_gt_i32 s25, 3
	s_cbranch_scc0 .LBB87_418
; %bb.417:
	s_mov_b32 s26, 0
	s_wait_xcnt 0x0
	v_cndmask_b32_e64 v4, 0, 1, s0
	v_mov_b32_e32 v5, s26
	global_store_b64 v[2:3], v[4:5], off
.LBB87_418:
	s_and_not1_b32 vcc_lo, exec_lo, s26
	s_cbranch_vccnz .LBB87_420
; %bb.419:
	s_wait_xcnt 0x0
	v_cndmask_b32_e64 v1, 0, 1, s0
	global_store_b32 v[2:3], v1, off
.LBB87_420:
	s_mov_b32 s26, 0
.LBB87_421:
	s_delay_alu instid0(SALU_CYCLE_1)
	s_and_not1_b32 vcc_lo, exec_lo, s26
	s_cbranch_vccnz .LBB87_423
; %bb.422:
	s_wait_xcnt 0x0
	v_cndmask_b32_e64 v1, 0, 1, s0
	global_store_b16 v[2:3], v1, off
.LBB87_423:
	s_mov_b32 s26, 0
.LBB87_424:
	s_delay_alu instid0(SALU_CYCLE_1)
	s_and_not1_b32 vcc_lo, exec_lo, s26
	s_cbranch_vccnz .LBB87_429
; %bb.425:
	s_wait_xcnt 0x0
	v_cndmask_b32_e64 v1, 0, 1, s0
	s_cmp_gt_i32 s25, 0
	s_mov_b32 s0, -1
	s_cbranch_scc0 .LBB87_427
; %bb.426:
	s_mov_b32 s0, 0
	global_store_b8 v[2:3], v1, off
.LBB87_427:
	s_and_not1_b32 vcc_lo, exec_lo, s0
	s_cbranch_vccnz .LBB87_429
; %bb.428:
	global_store_b8 v[2:3], v1, off
.LBB87_429:
	s_mov_b32 s27, -1
.LBB87_430:
	s_delay_alu instid0(SALU_CYCLE_1)
	s_and_not1_b32 vcc_lo, exec_lo, s27
	s_cbranch_vccnz .LBB87_432
; %bb.431:
	v_add_nc_u32_e32 v0, 0x80, v0
	s_mov_b32 s0, -1
	s_branch .LBB87_545
.LBB87_432:
	s_mov_b32 s0, 0
	s_branch .LBB87_544
.LBB87_433:
	s_mov_b32 s24, -1
                                        ; implicit-def: $vgpr1
.LBB87_434:
	s_mov_b32 s25, 0
.LBB87_435:
	s_delay_alu instid0(SALU_CYCLE_1)
	s_and_b32 vcc_lo, exec_lo, s25
	s_cbranch_vccz .LBB87_439
; %bb.436:
	s_cmp_eq_u32 s0, 29
	s_cbranch_scc0 .LBB87_438
; %bb.437:
	global_load_b64 v[6:7], v[4:5], off
	s_mov_b32 s1, -1
	s_mov_b32 s24, 0
	s_mov_b32 s25, 0
	s_wait_loadcnt 0x0
	v_clz_i32_u32_e32 v1, v7
	s_delay_alu instid0(VALU_DEP_1) | instskip(NEXT) | instid1(VALU_DEP_1)
	v_min_u32_e32 v1, 32, v1
	v_lshlrev_b64_e32 v[6:7], v1, v[6:7]
	v_sub_nc_u32_e32 v1, 32, v1
	s_delay_alu instid0(VALU_DEP_2) | instskip(NEXT) | instid1(VALU_DEP_1)
	v_min_u32_e32 v3, 1, v6
	v_or_b32_e32 v3, v7, v3
	s_delay_alu instid0(VALU_DEP_1) | instskip(NEXT) | instid1(VALU_DEP_1)
	v_cvt_f32_u32_e32 v3, v3
	v_ldexp_f32 v1, v3, v1
	s_delay_alu instid0(VALU_DEP_1)
	v_cvt_f16_f32_e32 v1, v1
	s_branch .LBB87_440
.LBB87_438:
	s_mov_b32 s24, -1
                                        ; implicit-def: $vgpr1
.LBB87_439:
	s_mov_b32 s25, 0
.LBB87_440:
	s_delay_alu instid0(SALU_CYCLE_1)
	s_and_b32 vcc_lo, exec_lo, s25
	s_cbranch_vccz .LBB87_458
; %bb.441:
	s_cmp_lt_i32 s0, 27
	s_cbranch_scc1 .LBB87_444
; %bb.442:
	s_cmp_gt_i32 s0, 27
	s_cbranch_scc0 .LBB87_445
; %bb.443:
	s_wait_loadcnt 0x0
	global_load_b32 v1, v[4:5], off
	s_mov_b32 s1, 0
	s_wait_loadcnt 0x0
	v_cvt_f32_u32_e32 v1, v1
	s_delay_alu instid0(VALU_DEP_1)
	v_cvt_f16_f32_e32 v1, v1
	s_branch .LBB87_446
.LBB87_444:
	s_mov_b32 s1, -1
                                        ; implicit-def: $vgpr1
	s_branch .LBB87_449
.LBB87_445:
	s_mov_b32 s1, -1
                                        ; implicit-def: $vgpr1
.LBB87_446:
	s_delay_alu instid0(SALU_CYCLE_1)
	s_and_not1_b32 vcc_lo, exec_lo, s1
	s_cbranch_vccnz .LBB87_448
; %bb.447:
	s_wait_loadcnt 0x0
	global_load_u16 v1, v[4:5], off
	s_wait_loadcnt 0x0
	v_cvt_f16_u16_e32 v1, v1
.LBB87_448:
	s_mov_b32 s1, 0
.LBB87_449:
	s_delay_alu instid0(SALU_CYCLE_1)
	s_and_not1_b32 vcc_lo, exec_lo, s1
	s_cbranch_vccnz .LBB87_457
; %bb.450:
	global_load_u8 v3, v[4:5], off
	s_mov_b32 s1, 0
	s_mov_b32 s25, exec_lo
	s_wait_loadcnt 0x0
	v_cmpx_lt_i16_e32 0x7f, v3
	s_xor_b32 s25, exec_lo, s25
	s_cbranch_execz .LBB87_471
; %bb.451:
	s_mov_b32 s1, -1
	s_mov_b32 s26, exec_lo
	v_cmpx_eq_u16_e32 0x80, v3
; %bb.452:
	s_xor_b32 s1, exec_lo, -1
; %bb.453:
	s_or_b32 exec_lo, exec_lo, s26
	s_delay_alu instid0(SALU_CYCLE_1)
	s_and_b32 s1, s1, exec_lo
	s_or_saveexec_b32 s25, s25
	v_mov_b32_e32 v1, 0x7e00
	s_xor_b32 exec_lo, exec_lo, s25
	s_cbranch_execnz .LBB87_472
.LBB87_454:
	s_or_b32 exec_lo, exec_lo, s25
	s_and_saveexec_b32 s25, s1
	s_cbranch_execz .LBB87_456
.LBB87_455:
	v_and_b32_e32 v1, 0xffff, v3
	s_delay_alu instid0(VALU_DEP_1) | instskip(SKIP_1) | instid1(VALU_DEP_2)
	v_and_b32_e32 v6, 7, v1
	v_bfe_u32 v9, v1, 3, 4
	v_clz_i32_u32_e32 v7, v6
	s_delay_alu instid0(VALU_DEP_2) | instskip(NEXT) | instid1(VALU_DEP_2)
	v_cmp_eq_u32_e32 vcc_lo, 0, v9
	v_min_u32_e32 v7, 32, v7
	s_delay_alu instid0(VALU_DEP_1) | instskip(NEXT) | instid1(VALU_DEP_1)
	v_subrev_nc_u32_e32 v8, 28, v7
	v_dual_lshlrev_b32 v1, v8, v1 :: v_dual_sub_nc_u32 v7, 29, v7
	s_delay_alu instid0(VALU_DEP_1) | instskip(NEXT) | instid1(VALU_DEP_1)
	v_dual_lshlrev_b32 v3, 24, v3 :: v_dual_bitop2_b32 v1, 7, v1 bitop3:0x40
	v_dual_cndmask_b32 v1, v6, v1, vcc_lo :: v_dual_cndmask_b32 v7, v9, v7, vcc_lo
	s_delay_alu instid0(VALU_DEP_2) | instskip(NEXT) | instid1(VALU_DEP_2)
	v_and_b32_e32 v3, 0x80000000, v3
	v_lshlrev_b32_e32 v1, 20, v1
	s_delay_alu instid0(VALU_DEP_3) | instskip(NEXT) | instid1(VALU_DEP_1)
	v_lshl_add_u32 v6, v7, 23, 0x3b800000
	v_or3_b32 v1, v3, v6, v1
	s_delay_alu instid0(VALU_DEP_1)
	v_cvt_f16_f32_e32 v1, v1
.LBB87_456:
	s_or_b32 exec_lo, exec_lo, s25
.LBB87_457:
	s_mov_b32 s1, -1
.LBB87_458:
	s_mov_b32 s25, 0
.LBB87_459:
	s_delay_alu instid0(SALU_CYCLE_1)
	s_and_b32 vcc_lo, exec_lo, s25
	s_cbranch_vccz .LBB87_494
; %bb.460:
	s_cmp_gt_i32 s0, 22
	s_cbranch_scc0 .LBB87_470
; %bb.461:
	s_cmp_lt_i32 s0, 24
	s_cbranch_scc1 .LBB87_473
; %bb.462:
	s_cmp_gt_i32 s0, 24
	s_cbranch_scc0 .LBB87_474
; %bb.463:
	global_load_u8 v3, v[4:5], off
	s_mov_b32 s1, 0
	s_mov_b32 s25, exec_lo
	s_wait_loadcnt 0x0
	v_cmpx_lt_i16_e32 0x7f, v3
	s_xor_b32 s25, exec_lo, s25
	s_cbranch_execz .LBB87_486
; %bb.464:
	s_mov_b32 s1, -1
	s_mov_b32 s26, exec_lo
	v_cmpx_eq_u16_e32 0x80, v3
; %bb.465:
	s_xor_b32 s1, exec_lo, -1
; %bb.466:
	s_or_b32 exec_lo, exec_lo, s26
	s_delay_alu instid0(SALU_CYCLE_1)
	s_and_b32 s1, s1, exec_lo
	s_or_saveexec_b32 s25, s25
	v_mov_b32_e32 v1, 0x7e00
	s_xor_b32 exec_lo, exec_lo, s25
	s_cbranch_execnz .LBB87_487
.LBB87_467:
	s_or_b32 exec_lo, exec_lo, s25
	s_and_saveexec_b32 s25, s1
	s_cbranch_execz .LBB87_469
.LBB87_468:
	v_and_b32_e32 v1, 0xffff, v3
	s_delay_alu instid0(VALU_DEP_1) | instskip(SKIP_1) | instid1(VALU_DEP_2)
	v_and_b32_e32 v6, 3, v1
	v_bfe_u32 v9, v1, 2, 5
	v_clz_i32_u32_e32 v7, v6
	s_delay_alu instid0(VALU_DEP_2) | instskip(NEXT) | instid1(VALU_DEP_2)
	v_cmp_eq_u32_e32 vcc_lo, 0, v9
	v_min_u32_e32 v7, 32, v7
	s_delay_alu instid0(VALU_DEP_1) | instskip(NEXT) | instid1(VALU_DEP_1)
	v_subrev_nc_u32_e32 v8, 29, v7
	v_dual_lshlrev_b32 v1, v8, v1 :: v_dual_sub_nc_u32 v7, 30, v7
	s_delay_alu instid0(VALU_DEP_1) | instskip(NEXT) | instid1(VALU_DEP_1)
	v_dual_lshlrev_b32 v3, 24, v3 :: v_dual_bitop2_b32 v1, 3, v1 bitop3:0x40
	v_dual_cndmask_b32 v1, v6, v1, vcc_lo :: v_dual_cndmask_b32 v7, v9, v7, vcc_lo
	s_delay_alu instid0(VALU_DEP_2) | instskip(NEXT) | instid1(VALU_DEP_2)
	v_and_b32_e32 v3, 0x80000000, v3
	v_lshlrev_b32_e32 v1, 21, v1
	s_delay_alu instid0(VALU_DEP_3) | instskip(NEXT) | instid1(VALU_DEP_1)
	v_lshl_add_u32 v6, v7, 23, 0x37800000
	v_or3_b32 v1, v3, v6, v1
	s_delay_alu instid0(VALU_DEP_1)
	v_cvt_f16_f32_e32 v1, v1
.LBB87_469:
	s_or_b32 exec_lo, exec_lo, s25
	s_mov_b32 s1, 0
	s_branch .LBB87_475
.LBB87_470:
	s_mov_b32 s25, -1
                                        ; implicit-def: $vgpr1
	s_branch .LBB87_481
.LBB87_471:
	s_or_saveexec_b32 s25, s25
	v_mov_b32_e32 v1, 0x7e00
	s_xor_b32 exec_lo, exec_lo, s25
	s_cbranch_execz .LBB87_454
.LBB87_472:
	v_cmp_ne_u16_e32 vcc_lo, 0, v3
	v_mov_b32_e32 v1, v3
	s_and_not1_b32 s1, s1, exec_lo
	s_and_b32 s26, vcc_lo, exec_lo
	s_delay_alu instid0(SALU_CYCLE_1)
	s_or_b32 s1, s1, s26
	s_or_b32 exec_lo, exec_lo, s25
	s_and_saveexec_b32 s25, s1
	s_cbranch_execnz .LBB87_455
	s_branch .LBB87_456
.LBB87_473:
	s_mov_b32 s1, -1
                                        ; implicit-def: $vgpr1
	s_branch .LBB87_478
.LBB87_474:
	s_mov_b32 s1, -1
                                        ; implicit-def: $vgpr1
.LBB87_475:
	s_delay_alu instid0(SALU_CYCLE_1)
	s_and_b32 vcc_lo, exec_lo, s1
	s_cbranch_vccz .LBB87_477
; %bb.476:
	s_wait_loadcnt 0x0
	global_load_u8 v1, v[4:5], off
	s_wait_loadcnt 0x0
	v_lshlrev_b32_e32 v1, 24, v1
	s_delay_alu instid0(VALU_DEP_1) | instskip(NEXT) | instid1(VALU_DEP_1)
	v_and_b32_e32 v3, 0x7f000000, v1
	v_clz_i32_u32_e32 v6, v3
	v_cmp_ne_u32_e32 vcc_lo, 0, v3
	v_add_nc_u32_e32 v8, 0x1000000, v3
	s_delay_alu instid0(VALU_DEP_3) | instskip(NEXT) | instid1(VALU_DEP_1)
	v_min_u32_e32 v6, 32, v6
	v_sub_nc_u32_e64 v6, v6, 4 clamp
	s_delay_alu instid0(VALU_DEP_1) | instskip(NEXT) | instid1(VALU_DEP_1)
	v_dual_lshlrev_b32 v7, v6, v3 :: v_dual_lshlrev_b32 v6, 23, v6
	v_lshrrev_b32_e32 v7, 4, v7
	s_delay_alu instid0(VALU_DEP_1) | instskip(NEXT) | instid1(VALU_DEP_1)
	v_dual_sub_nc_u32 v6, v7, v6 :: v_dual_ashrrev_i32 v7, 8, v8
	v_add_nc_u32_e32 v6, 0x3c000000, v6
	s_delay_alu instid0(VALU_DEP_1) | instskip(NEXT) | instid1(VALU_DEP_1)
	v_and_or_b32 v6, 0x7f800000, v7, v6
	v_cndmask_b32_e32 v3, 0, v6, vcc_lo
	s_delay_alu instid0(VALU_DEP_1) | instskip(NEXT) | instid1(VALU_DEP_1)
	v_and_or_b32 v1, 0x80000000, v1, v3
	v_cvt_f16_f32_e32 v1, v1
.LBB87_477:
	s_mov_b32 s1, 0
.LBB87_478:
	s_delay_alu instid0(SALU_CYCLE_1)
	s_and_not1_b32 vcc_lo, exec_lo, s1
	s_cbranch_vccnz .LBB87_480
; %bb.479:
	s_wait_loadcnt 0x0
	global_load_u8 v1, v[4:5], off
	s_wait_loadcnt 0x0
	v_lshlrev_b32_e32 v3, 25, v1
	v_lshlrev_b16 v1, 8, v1
	s_delay_alu instid0(VALU_DEP_1) | instskip(SKIP_1) | instid1(VALU_DEP_2)
	v_and_or_b32 v7, 0x7f00, v1, 0.5
	v_bfe_i32 v1, v1, 0, 16
	v_add_f32_e32 v7, -0.5, v7
	v_lshrrev_b32_e32 v6, 4, v3
	v_cmp_gt_u32_e32 vcc_lo, 0x8000000, v3
	s_delay_alu instid0(VALU_DEP_2) | instskip(NEXT) | instid1(VALU_DEP_1)
	v_or_b32_e32 v6, 0x70000000, v6
	v_mul_f32_e32 v6, 0x7800000, v6
	s_delay_alu instid0(VALU_DEP_1) | instskip(NEXT) | instid1(VALU_DEP_1)
	v_cndmask_b32_e32 v3, v6, v7, vcc_lo
	v_and_or_b32 v1, 0x80000000, v1, v3
	s_delay_alu instid0(VALU_DEP_1)
	v_cvt_f16_f32_e32 v1, v1
.LBB87_480:
	s_mov_b32 s25, 0
	s_mov_b32 s1, -1
.LBB87_481:
	s_and_not1_b32 vcc_lo, exec_lo, s25
	s_cbranch_vccnz .LBB87_494
; %bb.482:
	s_cmp_gt_i32 s0, 14
	s_cbranch_scc0 .LBB87_485
; %bb.483:
	s_cmp_eq_u32 s0, 15
	s_cbranch_scc0 .LBB87_488
; %bb.484:
	s_wait_loadcnt 0x0
	global_load_u16 v1, v[4:5], off
	s_mov_b32 s1, -1
	s_mov_b32 s24, 0
	s_wait_loadcnt 0x0
	v_lshlrev_b32_e32 v1, 16, v1
	s_delay_alu instid0(VALU_DEP_1)
	v_cvt_f16_f32_e32 v1, v1
	s_branch .LBB87_489
.LBB87_485:
	s_mov_b32 s25, -1
                                        ; implicit-def: $vgpr1
	s_branch .LBB87_490
.LBB87_486:
	s_or_saveexec_b32 s25, s25
	v_mov_b32_e32 v1, 0x7e00
	s_xor_b32 exec_lo, exec_lo, s25
	s_cbranch_execz .LBB87_467
.LBB87_487:
	v_cmp_ne_u16_e32 vcc_lo, 0, v3
	v_mov_b32_e32 v1, v3
	s_and_not1_b32 s1, s1, exec_lo
	s_and_b32 s26, vcc_lo, exec_lo
	s_delay_alu instid0(SALU_CYCLE_1)
	s_or_b32 s1, s1, s26
	s_or_b32 exec_lo, exec_lo, s25
	s_and_saveexec_b32 s25, s1
	s_cbranch_execnz .LBB87_468
	s_branch .LBB87_469
.LBB87_488:
	s_mov_b32 s24, -1
                                        ; implicit-def: $vgpr1
.LBB87_489:
	s_mov_b32 s25, 0
.LBB87_490:
	s_delay_alu instid0(SALU_CYCLE_1)
	s_and_b32 vcc_lo, exec_lo, s25
	s_cbranch_vccz .LBB87_494
; %bb.491:
	s_cmp_eq_u32 s0, 11
	s_cbranch_scc0 .LBB87_493
; %bb.492:
	s_wait_loadcnt 0x0
	global_load_u8 v1, v[4:5], off
	s_mov_b32 s24, 0
	s_mov_b32 s1, -1
	s_wait_loadcnt 0x0
	v_cmp_ne_u16_e32 vcc_lo, 0, v1
	v_cndmask_b32_e64 v1, 0, 0x3c00, vcc_lo
	s_branch .LBB87_494
.LBB87_493:
	s_mov_b32 s24, -1
                                        ; implicit-def: $vgpr1
.LBB87_494:
	s_branch .LBB87_296
.LBB87_495:
	s_cmp_lt_i32 s0, 5
	s_cbranch_scc1 .LBB87_500
; %bb.496:
	s_cmp_lt_i32 s0, 8
	s_cbranch_scc1 .LBB87_501
; %bb.497:
	;; [unrolled: 3-line block ×3, first 2 shown]
	s_cmp_gt_i32 s0, 9
	s_cbranch_scc0 .LBB87_503
; %bb.499:
	global_load_b64 v[6:7], v[4:5], off
	s_mov_b32 s1, 0
	s_wait_loadcnt 0x0
	v_and_or_b32 v1, 0x1ff, v7, v6
	v_lshrrev_b32_e32 v3, 8, v7
	v_bfe_u32 v6, v7, 20, 11
	s_delay_alu instid0(VALU_DEP_3) | instskip(NEXT) | instid1(VALU_DEP_2)
	v_cmp_ne_u32_e32 vcc_lo, 0, v1
	v_sub_nc_u32_e32 v8, 0x3f1, v6
	v_add_nc_u32_e32 v6, 0xfffffc10, v6
	v_cndmask_b32_e64 v1, 0, 1, vcc_lo
	s_delay_alu instid0(VALU_DEP_1) | instskip(NEXT) | instid1(VALU_DEP_4)
	v_and_or_b32 v1, 0xffe, v3, v1
	v_med3_i32 v3, v8, 0, 13
	s_delay_alu instid0(VALU_DEP_2) | instskip(NEXT) | instid1(VALU_DEP_1)
	v_or_b32_e32 v8, 0x1000, v1
	v_lshrrev_b32_e32 v9, v3, v8
	s_delay_alu instid0(VALU_DEP_1) | instskip(NEXT) | instid1(VALU_DEP_1)
	v_lshlrev_b32_e32 v3, v3, v9
	v_cmp_ne_u32_e32 vcc_lo, v3, v8
	v_lshl_or_b32 v8, v6, 12, v1
	v_cndmask_b32_e64 v3, 0, 1, vcc_lo
	v_cmp_gt_i32_e32 vcc_lo, 1, v6
	s_delay_alu instid0(VALU_DEP_2) | instskip(NEXT) | instid1(VALU_DEP_1)
	v_or_b32_e32 v3, v9, v3
	v_cndmask_b32_e32 v3, v8, v3, vcc_lo
	s_delay_alu instid0(VALU_DEP_1) | instskip(NEXT) | instid1(VALU_DEP_1)
	v_dual_lshrrev_b32 v3, 2, v3 :: v_dual_bitop2_b32 v8, 7, v3 bitop3:0x40
	v_cmp_lt_i32_e32 vcc_lo, 5, v8
	v_cndmask_b32_e64 v9, 0, 1, vcc_lo
	v_cmp_eq_u32_e32 vcc_lo, 3, v8
	v_cndmask_b32_e64 v8, 0, 1, vcc_lo
	v_cmp_ne_u32_e32 vcc_lo, 0, v1
	s_delay_alu instid0(VALU_DEP_2) | instskip(SKIP_1) | instid1(VALU_DEP_2)
	v_or_b32_e32 v8, v8, v9
	v_mov_b32_e32 v9, 0x7e00
	v_add_nc_u32_e32 v3, v3, v8
	s_delay_alu instid0(VALU_DEP_2) | instskip(SKIP_1) | instid1(VALU_DEP_3)
	v_cndmask_b32_e32 v1, 0x7c00, v9, vcc_lo
	v_cmp_gt_i32_e32 vcc_lo, 31, v6
	v_cndmask_b32_e32 v3, 0x7c00, v3, vcc_lo
	v_cmp_eq_u32_e32 vcc_lo, 0x40f, v6
	s_delay_alu instid0(VALU_DEP_2) | instskip(NEXT) | instid1(VALU_DEP_1)
	v_dual_cndmask_b32 v1, v3, v1, vcc_lo :: v_dual_lshrrev_b32 v3, 16, v7
	v_and_or_b32 v1, 0x8000, v3, v1
	s_branch .LBB87_504
.LBB87_500:
	s_mov_b32 s1, -1
                                        ; implicit-def: $vgpr1
	s_branch .LBB87_522
.LBB87_501:
	s_mov_b32 s1, -1
                                        ; implicit-def: $vgpr1
	s_branch .LBB87_510
.LBB87_502:
	s_mov_b32 s1, -1
                                        ; implicit-def: $vgpr1
	s_branch .LBB87_507
.LBB87_503:
	s_mov_b32 s1, -1
                                        ; implicit-def: $vgpr1
.LBB87_504:
	s_delay_alu instid0(SALU_CYCLE_1)
	s_and_not1_b32 vcc_lo, exec_lo, s1
	s_cbranch_vccnz .LBB87_506
; %bb.505:
	s_wait_loadcnt 0x0
	global_load_b32 v1, v[4:5], off
	s_wait_loadcnt 0x0
	v_cvt_f16_f32_e32 v1, v1
.LBB87_506:
	s_mov_b32 s1, 0
.LBB87_507:
	s_delay_alu instid0(SALU_CYCLE_1)
	s_and_not1_b32 vcc_lo, exec_lo, s1
	s_cbranch_vccnz .LBB87_509
; %bb.508:
	s_wait_loadcnt 0x0
	global_load_b32 v1, v[4:5], off
.LBB87_509:
	s_mov_b32 s1, 0
.LBB87_510:
	s_delay_alu instid0(SALU_CYCLE_1)
	s_and_not1_b32 vcc_lo, exec_lo, s1
	s_cbranch_vccnz .LBB87_521
; %bb.511:
	s_cmp_lt_i32 s0, 6
	s_cbranch_scc1 .LBB87_514
; %bb.512:
	s_cmp_gt_i32 s0, 6
	s_cbranch_scc0 .LBB87_515
; %bb.513:
	global_load_b64 v[6:7], v[4:5], off
	s_mov_b32 s1, 0
	s_wait_loadcnt 0x0
	v_and_or_b32 v1, 0x1ff, v7, v6
	v_lshrrev_b32_e32 v3, 8, v7
	v_bfe_u32 v6, v7, 20, 11
	s_delay_alu instid0(VALU_DEP_3) | instskip(NEXT) | instid1(VALU_DEP_2)
	v_cmp_ne_u32_e32 vcc_lo, 0, v1
	v_sub_nc_u32_e32 v8, 0x3f1, v6
	v_add_nc_u32_e32 v6, 0xfffffc10, v6
	v_cndmask_b32_e64 v1, 0, 1, vcc_lo
	s_delay_alu instid0(VALU_DEP_1) | instskip(NEXT) | instid1(VALU_DEP_4)
	v_and_or_b32 v1, 0xffe, v3, v1
	v_med3_i32 v3, v8, 0, 13
	s_delay_alu instid0(VALU_DEP_2) | instskip(NEXT) | instid1(VALU_DEP_1)
	v_or_b32_e32 v8, 0x1000, v1
	v_lshrrev_b32_e32 v9, v3, v8
	s_delay_alu instid0(VALU_DEP_1) | instskip(NEXT) | instid1(VALU_DEP_1)
	v_lshlrev_b32_e32 v3, v3, v9
	v_cmp_ne_u32_e32 vcc_lo, v3, v8
	v_lshl_or_b32 v8, v6, 12, v1
	v_cndmask_b32_e64 v3, 0, 1, vcc_lo
	v_cmp_gt_i32_e32 vcc_lo, 1, v6
	s_delay_alu instid0(VALU_DEP_2) | instskip(NEXT) | instid1(VALU_DEP_1)
	v_or_b32_e32 v3, v9, v3
	v_cndmask_b32_e32 v3, v8, v3, vcc_lo
	s_delay_alu instid0(VALU_DEP_1) | instskip(NEXT) | instid1(VALU_DEP_1)
	v_dual_lshrrev_b32 v3, 2, v3 :: v_dual_bitop2_b32 v8, 7, v3 bitop3:0x40
	v_cmp_lt_i32_e32 vcc_lo, 5, v8
	v_cndmask_b32_e64 v9, 0, 1, vcc_lo
	v_cmp_eq_u32_e32 vcc_lo, 3, v8
	v_cndmask_b32_e64 v8, 0, 1, vcc_lo
	v_cmp_ne_u32_e32 vcc_lo, 0, v1
	s_delay_alu instid0(VALU_DEP_2) | instskip(SKIP_1) | instid1(VALU_DEP_2)
	v_or_b32_e32 v8, v8, v9
	v_mov_b32_e32 v9, 0x7e00
	v_add_nc_u32_e32 v3, v3, v8
	s_delay_alu instid0(VALU_DEP_2) | instskip(SKIP_1) | instid1(VALU_DEP_3)
	v_cndmask_b32_e32 v1, 0x7c00, v9, vcc_lo
	v_cmp_gt_i32_e32 vcc_lo, 31, v6
	v_cndmask_b32_e32 v3, 0x7c00, v3, vcc_lo
	v_cmp_eq_u32_e32 vcc_lo, 0x40f, v6
	s_delay_alu instid0(VALU_DEP_2) | instskip(NEXT) | instid1(VALU_DEP_1)
	v_dual_cndmask_b32 v1, v3, v1, vcc_lo :: v_dual_lshrrev_b32 v3, 16, v7
	v_and_or_b32 v1, 0x8000, v3, v1
	s_branch .LBB87_516
.LBB87_514:
	s_mov_b32 s1, -1
                                        ; implicit-def: $vgpr1
	s_branch .LBB87_519
.LBB87_515:
	s_mov_b32 s1, -1
                                        ; implicit-def: $vgpr1
.LBB87_516:
	s_delay_alu instid0(SALU_CYCLE_1)
	s_and_not1_b32 vcc_lo, exec_lo, s1
	s_cbranch_vccnz .LBB87_518
; %bb.517:
	s_wait_loadcnt 0x0
	global_load_b32 v1, v[4:5], off
	s_wait_loadcnt 0x0
	v_cvt_f16_f32_e32 v1, v1
.LBB87_518:
	s_mov_b32 s1, 0
.LBB87_519:
	s_delay_alu instid0(SALU_CYCLE_1)
	s_and_not1_b32 vcc_lo, exec_lo, s1
	s_cbranch_vccnz .LBB87_521
; %bb.520:
	s_wait_loadcnt 0x0
	global_load_u16 v1, v[4:5], off
.LBB87_521:
	s_mov_b32 s1, 0
.LBB87_522:
	s_delay_alu instid0(SALU_CYCLE_1)
	s_and_not1_b32 vcc_lo, exec_lo, s1
	s_cbranch_vccnz .LBB87_542
; %bb.523:
	s_cmp_lt_i32 s0, 2
	s_cbranch_scc1 .LBB87_527
; %bb.524:
	s_cmp_lt_i32 s0, 3
	s_cbranch_scc1 .LBB87_528
; %bb.525:
	s_cmp_gt_i32 s0, 3
	s_cbranch_scc0 .LBB87_529
; %bb.526:
	global_load_b64 v[6:7], v[4:5], off
	s_mov_b32 s1, 0
	s_wait_loadcnt 0x0
	v_xor_b32_e32 v1, v6, v7
	v_cls_i32_e32 v3, v7
	s_delay_alu instid0(VALU_DEP_2) | instskip(NEXT) | instid1(VALU_DEP_1)
	v_ashrrev_i32_e32 v1, 31, v1
	v_add_nc_u32_e32 v1, 32, v1
	s_delay_alu instid0(VALU_DEP_1) | instskip(NEXT) | instid1(VALU_DEP_1)
	v_add_min_u32_e64 v1, v3, -1, v1
	v_lshlrev_b64_e32 v[6:7], v1, v[6:7]
	v_sub_nc_u32_e32 v1, 32, v1
	s_delay_alu instid0(VALU_DEP_2) | instskip(NEXT) | instid1(VALU_DEP_1)
	v_min_u32_e32 v3, 1, v6
	v_or_b32_e32 v3, v7, v3
	s_delay_alu instid0(VALU_DEP_1) | instskip(NEXT) | instid1(VALU_DEP_1)
	v_cvt_f32_i32_e32 v3, v3
	v_ldexp_f32 v1, v3, v1
	s_delay_alu instid0(VALU_DEP_1)
	v_cvt_f16_f32_e32 v1, v1
	s_branch .LBB87_530
.LBB87_527:
	s_mov_b32 s1, -1
                                        ; implicit-def: $vgpr1
	s_branch .LBB87_536
.LBB87_528:
	s_mov_b32 s1, -1
                                        ; implicit-def: $vgpr1
	s_branch .LBB87_533
.LBB87_529:
	s_mov_b32 s1, -1
                                        ; implicit-def: $vgpr1
.LBB87_530:
	s_delay_alu instid0(SALU_CYCLE_1)
	s_and_not1_b32 vcc_lo, exec_lo, s1
	s_cbranch_vccnz .LBB87_532
; %bb.531:
	s_wait_loadcnt 0x0
	global_load_b32 v1, v[4:5], off
	s_wait_loadcnt 0x0
	v_cvt_f32_i32_e32 v1, v1
	s_delay_alu instid0(VALU_DEP_1)
	v_cvt_f16_f32_e32 v1, v1
.LBB87_532:
	s_mov_b32 s1, 0
.LBB87_533:
	s_delay_alu instid0(SALU_CYCLE_1)
	s_and_not1_b32 vcc_lo, exec_lo, s1
	s_cbranch_vccnz .LBB87_535
; %bb.534:
	s_wait_loadcnt 0x0
	global_load_u16 v1, v[4:5], off
	s_wait_loadcnt 0x0
	v_cvt_f16_i16_e32 v1, v1
.LBB87_535:
	s_mov_b32 s1, 0
.LBB87_536:
	s_delay_alu instid0(SALU_CYCLE_1)
	s_and_not1_b32 vcc_lo, exec_lo, s1
	s_cbranch_vccnz .LBB87_542
; %bb.537:
	s_cmp_gt_i32 s0, 0
	s_mov_b32 s0, 0
	s_cbranch_scc0 .LBB87_539
; %bb.538:
	s_wait_loadcnt 0x0
	global_load_i8 v1, v[4:5], off
	s_wait_loadcnt 0x0
	v_cvt_f16_i16_e32 v1, v1
	s_branch .LBB87_540
.LBB87_539:
	s_mov_b32 s0, -1
                                        ; implicit-def: $vgpr1
.LBB87_540:
	s_delay_alu instid0(SALU_CYCLE_1)
	s_and_not1_b32 vcc_lo, exec_lo, s0
	s_cbranch_vccnz .LBB87_542
; %bb.541:
	s_wait_loadcnt 0x0
	global_load_u8 v1, v[4:5], off
	s_wait_loadcnt 0x0
	v_cvt_f16_u16_e32 v1, v1
.LBB87_542:
	s_branch .LBB87_297
.LBB87_543:
	s_mov_b32 s0, 0
	s_mov_b32 s1, s18
.LBB87_544:
                                        ; implicit-def: $vgpr0
.LBB87_545:
	s_and_not1_b32 s25, s18, exec_lo
	s_and_b32 s1, s1, exec_lo
	s_and_not1_b32 s26, s39, exec_lo
	s_and_b32 s24, s24, exec_lo
	s_or_b32 s42, s25, s1
	s_or_b32 s41, s26, s24
	s_or_not1_b32 s0, s0, exec_lo
.LBB87_546:
	s_wait_xcnt 0x0
	s_or_b32 exec_lo, exec_lo, s43
	s_mov_b32 s1, 0
	s_mov_b32 s24, 0
	;; [unrolled: 1-line block ×3, first 2 shown]
                                        ; implicit-def: $vgpr4_vgpr5
                                        ; implicit-def: $vgpr2
                                        ; implicit-def: $vgpr6
	s_and_saveexec_b32 s43, s0
	s_cbranch_execz .LBB87_927
; %bb.547:
	s_mov_b32 s25, -1
	s_mov_b32 s26, s41
	s_mov_b32 s27, s42
	s_mov_b32 s44, exec_lo
	v_cmpx_gt_i32_e64 s36, v0
	s_cbranch_execz .LBB87_824
; %bb.548:
	s_and_not1_b32 vcc_lo, exec_lo, s31
	s_cbranch_vccnz .LBB87_554
; %bb.549:
	s_and_not1_b32 vcc_lo, exec_lo, s38
	s_cbranch_vccnz .LBB87_555
; %bb.550:
	s_add_co_i32 s1, s37, 1
	s_cmp_eq_u32 s29, 2
	s_cbranch_scc1 .LBB87_556
; %bb.551:
	v_dual_mov_b32 v2, 0 :: v_dual_mov_b32 v4, 0
	s_wait_loadcnt 0x0
	v_mov_b32_e32 v1, v0
	s_and_b32 s0, s1, 28
	s_mov_b32 s45, 0
	s_mov_b64 s[24:25], s[2:3]
	s_mov_b64 s[26:27], s[22:23]
.LBB87_552:                             ; =>This Inner Loop Header: Depth=1
	s_clause 0x1
	s_load_b256 s[48:55], s[24:25], 0x4
	s_load_b128 s[64:67], s[24:25], 0x24
	s_load_b256 s[56:63], s[26:27], 0x0
	s_add_co_i32 s45, s45, 4
	s_wait_xcnt 0x0
	s_add_nc_u64 s[24:25], s[24:25], 48
	s_cmp_eq_u32 s0, s45
	s_add_nc_u64 s[26:27], s[26:27], 32
	s_wait_kmcnt 0x0
	v_mul_hi_u32 v3, s49, v1
	s_delay_alu instid0(VALU_DEP_1) | instskip(NEXT) | instid1(VALU_DEP_1)
	v_add_nc_u32_e32 v3, v1, v3
	v_lshrrev_b32_e32 v3, s50, v3
	s_delay_alu instid0(VALU_DEP_1) | instskip(NEXT) | instid1(VALU_DEP_1)
	v_mul_hi_u32 v5, s52, v3
	v_add_nc_u32_e32 v5, v3, v5
	s_delay_alu instid0(VALU_DEP_1) | instskip(NEXT) | instid1(VALU_DEP_1)
	v_lshrrev_b32_e32 v5, s53, v5
	v_mul_hi_u32 v6, s55, v5
	s_delay_alu instid0(VALU_DEP_1) | instskip(SKIP_1) | instid1(VALU_DEP_1)
	v_add_nc_u32_e32 v6, v5, v6
	v_mul_lo_u32 v7, v3, s48
	v_sub_nc_u32_e32 v1, v1, v7
	v_mul_lo_u32 v7, v5, s51
	s_delay_alu instid0(VALU_DEP_4) | instskip(NEXT) | instid1(VALU_DEP_3)
	v_lshrrev_b32_e32 v6, s64, v6
	v_mad_u32 v4, v1, s57, v4
	v_mad_u32 v1, v1, s56, v2
	s_delay_alu instid0(VALU_DEP_4) | instskip(NEXT) | instid1(VALU_DEP_4)
	v_sub_nc_u32_e32 v2, v3, v7
	v_mul_hi_u32 v8, s66, v6
	v_mul_lo_u32 v3, v6, s54
	s_delay_alu instid0(VALU_DEP_3) | instskip(SKIP_1) | instid1(VALU_DEP_3)
	v_mad_u32 v4, v2, s59, v4
	v_mad_u32 v2, v2, s58, v1
	v_dual_add_nc_u32 v7, v6, v8 :: v_dual_sub_nc_u32 v3, v5, v3
	s_delay_alu instid0(VALU_DEP_1) | instskip(NEXT) | instid1(VALU_DEP_2)
	v_lshrrev_b32_e32 v1, s67, v7
	v_mad_u32 v4, v3, s61, v4
	s_delay_alu instid0(VALU_DEP_4) | instskip(NEXT) | instid1(VALU_DEP_3)
	v_mad_u32 v2, v3, s60, v2
	v_mul_lo_u32 v5, v1, s65
	s_delay_alu instid0(VALU_DEP_1) | instskip(NEXT) | instid1(VALU_DEP_1)
	v_sub_nc_u32_e32 v3, v6, v5
	v_mad_u32 v4, v3, s63, v4
	s_delay_alu instid0(VALU_DEP_4)
	v_mad_u32 v2, v3, s62, v2
	s_cbranch_scc0 .LBB87_552
; %bb.553:
	s_delay_alu instid0(VALU_DEP_2)
	v_mov_b32_e32 v3, v4
	s_branch .LBB87_557
.LBB87_554:
	s_mov_b32 s0, -1
                                        ; implicit-def: $vgpr4
                                        ; implicit-def: $vgpr2
	s_branch .LBB87_562
.LBB87_555:
	v_dual_mov_b32 v4, 0 :: v_dual_mov_b32 v2, 0
	s_branch .LBB87_561
.LBB87_556:
	v_mov_b64_e32 v[2:3], 0
	s_wait_loadcnt 0x0
	v_mov_b32_e32 v1, v0
	s_mov_b32 s0, 0
                                        ; implicit-def: $vgpr4
.LBB87_557:
	s_and_b32 s26, s1, 3
	s_mov_b32 s1, 0
	s_cmp_eq_u32 s26, 0
	s_cbranch_scc1 .LBB87_561
; %bb.558:
	s_lshl_b32 s24, s0, 3
	s_mov_b32 s25, s1
	s_mul_u64 s[46:47], s[0:1], 12
	s_add_nc_u64 s[24:25], s[2:3], s[24:25]
	s_delay_alu instid0(SALU_CYCLE_1)
	s_add_nc_u64 s[0:1], s[24:25], 0xc4
	s_add_nc_u64 s[24:25], s[2:3], s[46:47]
.LBB87_559:                             ; =>This Inner Loop Header: Depth=1
	s_load_b96 s[48:50], s[24:25], 0x4
	s_load_b64 s[46:47], s[0:1], 0x0
	s_add_co_i32 s26, s26, -1
	s_wait_xcnt 0x0
	s_add_nc_u64 s[24:25], s[24:25], 12
	s_cmp_lg_u32 s26, 0
	s_add_nc_u64 s[0:1], s[0:1], 8
	s_wait_kmcnt 0x0
	v_mul_hi_u32 v4, s49, v1
	s_delay_alu instid0(VALU_DEP_1) | instskip(NEXT) | instid1(VALU_DEP_1)
	v_add_nc_u32_e32 v4, v1, v4
	v_lshrrev_b32_e32 v4, s50, v4
	s_delay_alu instid0(VALU_DEP_1) | instskip(NEXT) | instid1(VALU_DEP_1)
	v_mul_lo_u32 v5, v4, s48
	v_sub_nc_u32_e32 v1, v1, v5
	s_delay_alu instid0(VALU_DEP_1)
	v_mad_u32 v3, v1, s47, v3
	v_mad_u32 v2, v1, s46, v2
	v_mov_b32_e32 v1, v4
	s_cbranch_scc1 .LBB87_559
; %bb.560:
	s_delay_alu instid0(VALU_DEP_3)
	v_mov_b32_e32 v4, v3
.LBB87_561:
	s_mov_b32 s0, 0
.LBB87_562:
	s_delay_alu instid0(SALU_CYCLE_1)
	s_and_not1_b32 vcc_lo, exec_lo, s0
	s_cbranch_vccnz .LBB87_565
; %bb.563:
	s_wait_loadcnt 0x0
	v_mov_b32_e32 v1, 0
	s_and_not1_b32 vcc_lo, exec_lo, s35
	s_delay_alu instid0(VALU_DEP_1) | instskip(NEXT) | instid1(VALU_DEP_1)
	v_mul_u64_e32 v[2:3], s[16:17], v[0:1]
	v_add_nc_u32_e32 v2, v0, v3
	s_delay_alu instid0(VALU_DEP_1) | instskip(NEXT) | instid1(VALU_DEP_1)
	v_lshrrev_b32_e32 v6, s14, v2
	v_mul_lo_u32 v2, v6, s12
	s_delay_alu instid0(VALU_DEP_1) | instskip(NEXT) | instid1(VALU_DEP_1)
	v_sub_nc_u32_e32 v2, v0, v2
	v_mul_lo_u32 v4, v2, s9
	v_mul_lo_u32 v2, v2, s8
	s_cbranch_vccnz .LBB87_565
; %bb.564:
	v_mov_b32_e32 v7, v1
	s_delay_alu instid0(VALU_DEP_1) | instskip(NEXT) | instid1(VALU_DEP_1)
	v_mul_u64_e32 v[8:9], s[20:21], v[6:7]
	v_add_nc_u32_e32 v1, v6, v9
	s_delay_alu instid0(VALU_DEP_1) | instskip(NEXT) | instid1(VALU_DEP_1)
	v_lshrrev_b32_e32 v1, s19, v1
	v_mul_lo_u32 v1, v1, s15
	s_delay_alu instid0(VALU_DEP_1) | instskip(NEXT) | instid1(VALU_DEP_1)
	v_sub_nc_u32_e32 v1, v6, v1
	v_mad_u32 v2, v1, s10, v2
	v_mad_u32 v4, v1, s11, v4
.LBB87_565:
	v_mov_b32_e32 v5, 0
	s_and_b32 s0, 0xffff, s13
	s_delay_alu instid0(SALU_CYCLE_1) | instskip(NEXT) | instid1(VALU_DEP_1)
	s_cmp_lt_i32 s0, 11
	v_add_nc_u64_e32 v[4:5], s[6:7], v[4:5]
	s_cbranch_scc1 .LBB87_572
; %bb.566:
	s_cmp_gt_i32 s0, 25
	s_cbranch_scc0 .LBB87_573
; %bb.567:
	s_cmp_gt_i32 s0, 28
	s_cbranch_scc0 .LBB87_574
	;; [unrolled: 3-line block ×4, first 2 shown]
; %bb.570:
	s_cmp_eq_u32 s0, 46
	s_mov_b32 s25, 0
	s_cbranch_scc0 .LBB87_581
; %bb.571:
	s_wait_loadcnt 0x0
	global_load_b32 v1, v[4:5], off
	s_mov_b32 s1, -1
	s_mov_b32 s24, 0
	s_wait_loadcnt 0x0
	v_lshlrev_b32_e32 v1, 16, v1
	s_delay_alu instid0(VALU_DEP_1)
	v_cvt_f16_f32_e32 v1, v1
	s_branch .LBB87_583
.LBB87_572:
	s_mov_b32 s25, -1
	s_mov_b32 s1, 0
	s_mov_b32 s24, s41
                                        ; implicit-def: $vgpr1
	s_branch .LBB87_648
.LBB87_573:
	s_mov_b32 s25, -1
	s_mov_b32 s1, 0
	s_mov_b32 s24, s41
                                        ; implicit-def: $vgpr1
	s_branch .LBB87_612
.LBB87_574:
	s_mov_b32 s25, -1
	s_mov_b32 s1, 0
	s_mov_b32 s24, s41
                                        ; implicit-def: $vgpr1
	s_branch .LBB87_593
.LBB87_575:
	s_mov_b32 s25, -1
	s_mov_b32 s1, 0
	s_mov_b32 s24, s41
                                        ; implicit-def: $vgpr1
	s_branch .LBB87_588
.LBB87_576:
	s_and_not1_saveexec_b32 s42, s42
	s_cbranch_execz .LBB87_343
.LBB87_577:
	v_add_f32_e32 v1, 0x46000000, v4
	s_and_not1_b32 s41, s41, exec_lo
	s_delay_alu instid0(VALU_DEP_1) | instskip(NEXT) | instid1(VALU_DEP_1)
	v_and_b32_e32 v1, 0xff, v1
	v_cmp_ne_u32_e32 vcc_lo, 0, v1
	s_and_b32 s44, vcc_lo, exec_lo
	s_delay_alu instid0(SALU_CYCLE_1)
	s_or_b32 s41, s41, s44
	s_or_b32 exec_lo, exec_lo, s42
	v_mov_b32_e32 v5, 0
	s_and_saveexec_b32 s42, s41
	s_cbranch_execnz .LBB87_344
	s_branch .LBB87_345
.LBB87_578:
	s_mov_b32 s25, -1
	s_mov_b32 s1, 0
	s_mov_b32 s24, s41
	s_branch .LBB87_582
.LBB87_579:
	s_and_not1_saveexec_b32 s42, s42
	s_cbranch_execz .LBB87_356
.LBB87_580:
	v_add_f32_e32 v1, 0x42800000, v4
	s_and_not1_b32 s41, s41, exec_lo
	s_delay_alu instid0(VALU_DEP_1) | instskip(NEXT) | instid1(VALU_DEP_1)
	v_and_b32_e32 v1, 0xff, v1
	v_cmp_ne_u32_e32 vcc_lo, 0, v1
	s_and_b32 s44, vcc_lo, exec_lo
	s_delay_alu instid0(SALU_CYCLE_1)
	s_or_b32 s41, s41, s44
	s_or_b32 exec_lo, exec_lo, s42
	v_mov_b32_e32 v5, 0
	s_and_saveexec_b32 s42, s41
	s_cbranch_execnz .LBB87_357
	s_branch .LBB87_358
.LBB87_581:
	s_mov_b32 s24, -1
	s_mov_b32 s1, 0
.LBB87_582:
                                        ; implicit-def: $vgpr1
.LBB87_583:
	s_and_b32 vcc_lo, exec_lo, s25
	s_cbranch_vccz .LBB87_587
; %bb.584:
	s_cmp_eq_u32 s0, 44
	s_cbranch_scc0 .LBB87_586
; %bb.585:
	s_wait_loadcnt 0x0
	global_load_u8 v1, v[4:5], off
	s_mov_b32 s24, 0
	s_mov_b32 s1, -1
	s_wait_loadcnt 0x0
	v_lshlrev_b32_e32 v3, 23, v1
	v_cmp_ne_u32_e32 vcc_lo, 0xff, v1
	s_delay_alu instid0(VALU_DEP_2) | instskip(NEXT) | instid1(VALU_DEP_1)
	v_cvt_f16_f32_e32 v3, v3
	v_cndmask_b32_e32 v3, 0x7e00, v3, vcc_lo
	v_cmp_ne_u32_e32 vcc_lo, 0, v1
	s_delay_alu instid0(VALU_DEP_2)
	v_cndmask_b32_e32 v1, 0, v3, vcc_lo
	s_branch .LBB87_587
.LBB87_586:
	s_mov_b32 s24, -1
                                        ; implicit-def: $vgpr1
.LBB87_587:
	s_mov_b32 s25, 0
.LBB87_588:
	s_delay_alu instid0(SALU_CYCLE_1)
	s_and_b32 vcc_lo, exec_lo, s25
	s_cbranch_vccz .LBB87_592
; %bb.589:
	s_cmp_eq_u32 s0, 29
	s_cbranch_scc0 .LBB87_591
; %bb.590:
	global_load_b64 v[6:7], v[4:5], off
	s_mov_b32 s1, -1
	s_mov_b32 s24, 0
	s_mov_b32 s25, 0
	s_wait_loadcnt 0x0
	v_clz_i32_u32_e32 v1, v7
	s_delay_alu instid0(VALU_DEP_1) | instskip(NEXT) | instid1(VALU_DEP_1)
	v_min_u32_e32 v1, 32, v1
	v_lshlrev_b64_e32 v[6:7], v1, v[6:7]
	v_sub_nc_u32_e32 v1, 32, v1
	s_delay_alu instid0(VALU_DEP_2) | instskip(NEXT) | instid1(VALU_DEP_1)
	v_min_u32_e32 v3, 1, v6
	v_or_b32_e32 v3, v7, v3
	s_delay_alu instid0(VALU_DEP_1) | instskip(NEXT) | instid1(VALU_DEP_1)
	v_cvt_f32_u32_e32 v3, v3
	v_ldexp_f32 v1, v3, v1
	s_delay_alu instid0(VALU_DEP_1)
	v_cvt_f16_f32_e32 v1, v1
	s_branch .LBB87_593
.LBB87_591:
	s_mov_b32 s24, -1
                                        ; implicit-def: $vgpr1
.LBB87_592:
	s_mov_b32 s25, 0
.LBB87_593:
	s_delay_alu instid0(SALU_CYCLE_1)
	s_and_b32 vcc_lo, exec_lo, s25
	s_cbranch_vccz .LBB87_611
; %bb.594:
	s_cmp_lt_i32 s0, 27
	s_cbranch_scc1 .LBB87_597
; %bb.595:
	s_cmp_gt_i32 s0, 27
	s_cbranch_scc0 .LBB87_598
; %bb.596:
	s_wait_loadcnt 0x0
	global_load_b32 v1, v[4:5], off
	s_mov_b32 s1, 0
	s_wait_loadcnt 0x0
	v_cvt_f32_u32_e32 v1, v1
	s_delay_alu instid0(VALU_DEP_1)
	v_cvt_f16_f32_e32 v1, v1
	s_branch .LBB87_599
.LBB87_597:
	s_mov_b32 s1, -1
                                        ; implicit-def: $vgpr1
	s_branch .LBB87_602
.LBB87_598:
	s_mov_b32 s1, -1
                                        ; implicit-def: $vgpr1
.LBB87_599:
	s_delay_alu instid0(SALU_CYCLE_1)
	s_and_not1_b32 vcc_lo, exec_lo, s1
	s_cbranch_vccnz .LBB87_601
; %bb.600:
	s_wait_loadcnt 0x0
	global_load_u16 v1, v[4:5], off
	s_wait_loadcnt 0x0
	v_cvt_f16_u16_e32 v1, v1
.LBB87_601:
	s_mov_b32 s1, 0
.LBB87_602:
	s_delay_alu instid0(SALU_CYCLE_1)
	s_and_not1_b32 vcc_lo, exec_lo, s1
	s_cbranch_vccnz .LBB87_610
; %bb.603:
	global_load_u8 v3, v[4:5], off
	s_mov_b32 s1, 0
	s_mov_b32 s25, exec_lo
	s_wait_loadcnt 0x0
	v_cmpx_lt_i16_e32 0x7f, v3
	s_xor_b32 s25, exec_lo, s25
	s_cbranch_execz .LBB87_624
; %bb.604:
	s_mov_b32 s1, -1
	s_mov_b32 s26, exec_lo
	v_cmpx_eq_u16_e32 0x80, v3
; %bb.605:
	s_xor_b32 s1, exec_lo, -1
; %bb.606:
	s_or_b32 exec_lo, exec_lo, s26
	s_delay_alu instid0(SALU_CYCLE_1)
	s_and_b32 s1, s1, exec_lo
	s_or_saveexec_b32 s25, s25
	v_mov_b32_e32 v1, 0x7e00
	s_xor_b32 exec_lo, exec_lo, s25
	s_cbranch_execnz .LBB87_625
.LBB87_607:
	s_or_b32 exec_lo, exec_lo, s25
	s_and_saveexec_b32 s25, s1
	s_cbranch_execz .LBB87_609
.LBB87_608:
	v_and_b32_e32 v1, 0xffff, v3
	s_delay_alu instid0(VALU_DEP_1) | instskip(SKIP_1) | instid1(VALU_DEP_2)
	v_and_b32_e32 v6, 7, v1
	v_bfe_u32 v9, v1, 3, 4
	v_clz_i32_u32_e32 v7, v6
	s_delay_alu instid0(VALU_DEP_2) | instskip(NEXT) | instid1(VALU_DEP_2)
	v_cmp_eq_u32_e32 vcc_lo, 0, v9
	v_min_u32_e32 v7, 32, v7
	s_delay_alu instid0(VALU_DEP_1) | instskip(NEXT) | instid1(VALU_DEP_1)
	v_subrev_nc_u32_e32 v8, 28, v7
	v_dual_lshlrev_b32 v1, v8, v1 :: v_dual_sub_nc_u32 v7, 29, v7
	s_delay_alu instid0(VALU_DEP_1) | instskip(NEXT) | instid1(VALU_DEP_1)
	v_dual_lshlrev_b32 v3, 24, v3 :: v_dual_bitop2_b32 v1, 7, v1 bitop3:0x40
	v_dual_cndmask_b32 v1, v6, v1, vcc_lo :: v_dual_cndmask_b32 v7, v9, v7, vcc_lo
	s_delay_alu instid0(VALU_DEP_2) | instskip(NEXT) | instid1(VALU_DEP_2)
	v_and_b32_e32 v3, 0x80000000, v3
	v_lshlrev_b32_e32 v1, 20, v1
	s_delay_alu instid0(VALU_DEP_3) | instskip(NEXT) | instid1(VALU_DEP_1)
	v_lshl_add_u32 v6, v7, 23, 0x3b800000
	v_or3_b32 v1, v3, v6, v1
	s_delay_alu instid0(VALU_DEP_1)
	v_cvt_f16_f32_e32 v1, v1
.LBB87_609:
	s_or_b32 exec_lo, exec_lo, s25
.LBB87_610:
	s_mov_b32 s1, -1
.LBB87_611:
	s_mov_b32 s25, 0
.LBB87_612:
	s_delay_alu instid0(SALU_CYCLE_1)
	s_and_b32 vcc_lo, exec_lo, s25
	s_cbranch_vccz .LBB87_647
; %bb.613:
	s_cmp_gt_i32 s0, 22
	s_cbranch_scc0 .LBB87_623
; %bb.614:
	s_cmp_lt_i32 s0, 24
	s_cbranch_scc1 .LBB87_626
; %bb.615:
	s_cmp_gt_i32 s0, 24
	s_cbranch_scc0 .LBB87_627
; %bb.616:
	global_load_u8 v3, v[4:5], off
	s_mov_b32 s1, 0
	s_mov_b32 s25, exec_lo
	s_wait_loadcnt 0x0
	v_cmpx_lt_i16_e32 0x7f, v3
	s_xor_b32 s25, exec_lo, s25
	s_cbranch_execz .LBB87_639
; %bb.617:
	s_mov_b32 s1, -1
	s_mov_b32 s26, exec_lo
	v_cmpx_eq_u16_e32 0x80, v3
; %bb.618:
	s_xor_b32 s1, exec_lo, -1
; %bb.619:
	s_or_b32 exec_lo, exec_lo, s26
	s_delay_alu instid0(SALU_CYCLE_1)
	s_and_b32 s1, s1, exec_lo
	s_or_saveexec_b32 s25, s25
	v_mov_b32_e32 v1, 0x7e00
	s_xor_b32 exec_lo, exec_lo, s25
	s_cbranch_execnz .LBB87_640
.LBB87_620:
	s_or_b32 exec_lo, exec_lo, s25
	s_and_saveexec_b32 s25, s1
	s_cbranch_execz .LBB87_622
.LBB87_621:
	v_and_b32_e32 v1, 0xffff, v3
	s_delay_alu instid0(VALU_DEP_1) | instskip(SKIP_1) | instid1(VALU_DEP_2)
	v_and_b32_e32 v6, 3, v1
	v_bfe_u32 v9, v1, 2, 5
	v_clz_i32_u32_e32 v7, v6
	s_delay_alu instid0(VALU_DEP_2) | instskip(NEXT) | instid1(VALU_DEP_2)
	v_cmp_eq_u32_e32 vcc_lo, 0, v9
	v_min_u32_e32 v7, 32, v7
	s_delay_alu instid0(VALU_DEP_1) | instskip(NEXT) | instid1(VALU_DEP_1)
	v_subrev_nc_u32_e32 v8, 29, v7
	v_dual_lshlrev_b32 v1, v8, v1 :: v_dual_sub_nc_u32 v7, 30, v7
	s_delay_alu instid0(VALU_DEP_1) | instskip(NEXT) | instid1(VALU_DEP_1)
	v_dual_lshlrev_b32 v3, 24, v3 :: v_dual_bitop2_b32 v1, 3, v1 bitop3:0x40
	v_dual_cndmask_b32 v1, v6, v1, vcc_lo :: v_dual_cndmask_b32 v7, v9, v7, vcc_lo
	s_delay_alu instid0(VALU_DEP_2) | instskip(NEXT) | instid1(VALU_DEP_2)
	v_and_b32_e32 v3, 0x80000000, v3
	v_lshlrev_b32_e32 v1, 21, v1
	s_delay_alu instid0(VALU_DEP_3) | instskip(NEXT) | instid1(VALU_DEP_1)
	v_lshl_add_u32 v6, v7, 23, 0x37800000
	v_or3_b32 v1, v3, v6, v1
	s_delay_alu instid0(VALU_DEP_1)
	v_cvt_f16_f32_e32 v1, v1
.LBB87_622:
	s_or_b32 exec_lo, exec_lo, s25
	s_mov_b32 s1, 0
	s_branch .LBB87_628
.LBB87_623:
	s_mov_b32 s25, -1
                                        ; implicit-def: $vgpr1
	s_branch .LBB87_634
.LBB87_624:
	s_or_saveexec_b32 s25, s25
	v_mov_b32_e32 v1, 0x7e00
	s_xor_b32 exec_lo, exec_lo, s25
	s_cbranch_execz .LBB87_607
.LBB87_625:
	v_cmp_ne_u16_e32 vcc_lo, 0, v3
	v_mov_b32_e32 v1, v3
	s_and_not1_b32 s1, s1, exec_lo
	s_and_b32 s26, vcc_lo, exec_lo
	s_delay_alu instid0(SALU_CYCLE_1)
	s_or_b32 s1, s1, s26
	s_or_b32 exec_lo, exec_lo, s25
	s_and_saveexec_b32 s25, s1
	s_cbranch_execnz .LBB87_608
	s_branch .LBB87_609
.LBB87_626:
	s_mov_b32 s1, -1
                                        ; implicit-def: $vgpr1
	s_branch .LBB87_631
.LBB87_627:
	s_mov_b32 s1, -1
                                        ; implicit-def: $vgpr1
.LBB87_628:
	s_delay_alu instid0(SALU_CYCLE_1)
	s_and_b32 vcc_lo, exec_lo, s1
	s_cbranch_vccz .LBB87_630
; %bb.629:
	s_wait_loadcnt 0x0
	global_load_u8 v1, v[4:5], off
	s_wait_loadcnt 0x0
	v_lshlrev_b32_e32 v1, 24, v1
	s_delay_alu instid0(VALU_DEP_1) | instskip(NEXT) | instid1(VALU_DEP_1)
	v_and_b32_e32 v3, 0x7f000000, v1
	v_clz_i32_u32_e32 v6, v3
	v_cmp_ne_u32_e32 vcc_lo, 0, v3
	v_add_nc_u32_e32 v8, 0x1000000, v3
	s_delay_alu instid0(VALU_DEP_3) | instskip(NEXT) | instid1(VALU_DEP_1)
	v_min_u32_e32 v6, 32, v6
	v_sub_nc_u32_e64 v6, v6, 4 clamp
	s_delay_alu instid0(VALU_DEP_1) | instskip(NEXT) | instid1(VALU_DEP_1)
	v_dual_lshlrev_b32 v7, v6, v3 :: v_dual_lshlrev_b32 v6, 23, v6
	v_lshrrev_b32_e32 v7, 4, v7
	s_delay_alu instid0(VALU_DEP_1) | instskip(NEXT) | instid1(VALU_DEP_1)
	v_dual_sub_nc_u32 v6, v7, v6 :: v_dual_ashrrev_i32 v7, 8, v8
	v_add_nc_u32_e32 v6, 0x3c000000, v6
	s_delay_alu instid0(VALU_DEP_1) | instskip(NEXT) | instid1(VALU_DEP_1)
	v_and_or_b32 v6, 0x7f800000, v7, v6
	v_cndmask_b32_e32 v3, 0, v6, vcc_lo
	s_delay_alu instid0(VALU_DEP_1) | instskip(NEXT) | instid1(VALU_DEP_1)
	v_and_or_b32 v1, 0x80000000, v1, v3
	v_cvt_f16_f32_e32 v1, v1
.LBB87_630:
	s_mov_b32 s1, 0
.LBB87_631:
	s_delay_alu instid0(SALU_CYCLE_1)
	s_and_not1_b32 vcc_lo, exec_lo, s1
	s_cbranch_vccnz .LBB87_633
; %bb.632:
	s_wait_loadcnt 0x0
	global_load_u8 v1, v[4:5], off
	s_wait_loadcnt 0x0
	v_lshlrev_b32_e32 v3, 25, v1
	v_lshlrev_b16 v1, 8, v1
	s_delay_alu instid0(VALU_DEP_1) | instskip(SKIP_1) | instid1(VALU_DEP_2)
	v_and_or_b32 v7, 0x7f00, v1, 0.5
	v_bfe_i32 v1, v1, 0, 16
	v_add_f32_e32 v7, -0.5, v7
	v_lshrrev_b32_e32 v6, 4, v3
	v_cmp_gt_u32_e32 vcc_lo, 0x8000000, v3
	s_delay_alu instid0(VALU_DEP_2) | instskip(NEXT) | instid1(VALU_DEP_1)
	v_or_b32_e32 v6, 0x70000000, v6
	v_mul_f32_e32 v6, 0x7800000, v6
	s_delay_alu instid0(VALU_DEP_1) | instskip(NEXT) | instid1(VALU_DEP_1)
	v_cndmask_b32_e32 v3, v6, v7, vcc_lo
	v_and_or_b32 v1, 0x80000000, v1, v3
	s_delay_alu instid0(VALU_DEP_1)
	v_cvt_f16_f32_e32 v1, v1
.LBB87_633:
	s_mov_b32 s25, 0
	s_mov_b32 s1, -1
.LBB87_634:
	s_and_not1_b32 vcc_lo, exec_lo, s25
	s_cbranch_vccnz .LBB87_647
; %bb.635:
	s_cmp_gt_i32 s0, 14
	s_cbranch_scc0 .LBB87_638
; %bb.636:
	s_cmp_eq_u32 s0, 15
	s_cbranch_scc0 .LBB87_641
; %bb.637:
	s_wait_loadcnt 0x0
	global_load_u16 v1, v[4:5], off
	s_mov_b32 s1, -1
	s_mov_b32 s24, 0
	s_wait_loadcnt 0x0
	v_lshlrev_b32_e32 v1, 16, v1
	s_delay_alu instid0(VALU_DEP_1)
	v_cvt_f16_f32_e32 v1, v1
	s_branch .LBB87_642
.LBB87_638:
	s_mov_b32 s25, -1
                                        ; implicit-def: $vgpr1
	s_branch .LBB87_643
.LBB87_639:
	s_or_saveexec_b32 s25, s25
	v_mov_b32_e32 v1, 0x7e00
	s_xor_b32 exec_lo, exec_lo, s25
	s_cbranch_execz .LBB87_620
.LBB87_640:
	v_cmp_ne_u16_e32 vcc_lo, 0, v3
	v_mov_b32_e32 v1, v3
	s_and_not1_b32 s1, s1, exec_lo
	s_and_b32 s26, vcc_lo, exec_lo
	s_delay_alu instid0(SALU_CYCLE_1)
	s_or_b32 s1, s1, s26
	s_or_b32 exec_lo, exec_lo, s25
	s_and_saveexec_b32 s25, s1
	s_cbranch_execnz .LBB87_621
	s_branch .LBB87_622
.LBB87_641:
	s_mov_b32 s24, -1
                                        ; implicit-def: $vgpr1
.LBB87_642:
	s_mov_b32 s25, 0
.LBB87_643:
	s_delay_alu instid0(SALU_CYCLE_1)
	s_and_b32 vcc_lo, exec_lo, s25
	s_cbranch_vccz .LBB87_647
; %bb.644:
	s_cmp_eq_u32 s0, 11
	s_cbranch_scc0 .LBB87_646
; %bb.645:
	s_wait_loadcnt 0x0
	global_load_u8 v1, v[4:5], off
	s_mov_b32 s24, 0
	s_mov_b32 s1, -1
	s_wait_loadcnt 0x0
	v_cmp_ne_u16_e32 vcc_lo, 0, v1
	v_cndmask_b32_e64 v1, 0, 0x3c00, vcc_lo
	s_branch .LBB87_647
.LBB87_646:
	s_mov_b32 s24, -1
                                        ; implicit-def: $vgpr1
.LBB87_647:
	s_mov_b32 s25, 0
.LBB87_648:
	s_delay_alu instid0(SALU_CYCLE_1)
	s_and_b32 vcc_lo, exec_lo, s25
	s_cbranch_vccz .LBB87_697
; %bb.649:
	s_cmp_lt_i32 s0, 5
	s_cbranch_scc1 .LBB87_654
; %bb.650:
	s_cmp_lt_i32 s0, 8
	s_cbranch_scc1 .LBB87_655
; %bb.651:
	s_cmp_lt_i32 s0, 9
	s_cbranch_scc1 .LBB87_656
; %bb.652:
	s_cmp_gt_i32 s0, 9
	s_cbranch_scc0 .LBB87_657
; %bb.653:
	global_load_b64 v[6:7], v[4:5], off
	s_mov_b32 s1, 0
	s_wait_loadcnt 0x0
	v_and_or_b32 v1, 0x1ff, v7, v6
	v_lshrrev_b32_e32 v3, 8, v7
	v_bfe_u32 v6, v7, 20, 11
	s_delay_alu instid0(VALU_DEP_3) | instskip(NEXT) | instid1(VALU_DEP_2)
	v_cmp_ne_u32_e32 vcc_lo, 0, v1
	v_sub_nc_u32_e32 v8, 0x3f1, v6
	v_add_nc_u32_e32 v6, 0xfffffc10, v6
	v_cndmask_b32_e64 v1, 0, 1, vcc_lo
	s_delay_alu instid0(VALU_DEP_1) | instskip(NEXT) | instid1(VALU_DEP_4)
	v_and_or_b32 v1, 0xffe, v3, v1
	v_med3_i32 v3, v8, 0, 13
	s_delay_alu instid0(VALU_DEP_2) | instskip(NEXT) | instid1(VALU_DEP_1)
	v_or_b32_e32 v8, 0x1000, v1
	v_lshrrev_b32_e32 v9, v3, v8
	s_delay_alu instid0(VALU_DEP_1) | instskip(NEXT) | instid1(VALU_DEP_1)
	v_lshlrev_b32_e32 v3, v3, v9
	v_cmp_ne_u32_e32 vcc_lo, v3, v8
	v_lshl_or_b32 v8, v6, 12, v1
	v_cndmask_b32_e64 v3, 0, 1, vcc_lo
	v_cmp_gt_i32_e32 vcc_lo, 1, v6
	s_delay_alu instid0(VALU_DEP_2) | instskip(NEXT) | instid1(VALU_DEP_1)
	v_or_b32_e32 v3, v9, v3
	v_cndmask_b32_e32 v3, v8, v3, vcc_lo
	s_delay_alu instid0(VALU_DEP_1) | instskip(NEXT) | instid1(VALU_DEP_1)
	v_dual_lshrrev_b32 v3, 2, v3 :: v_dual_bitop2_b32 v8, 7, v3 bitop3:0x40
	v_cmp_lt_i32_e32 vcc_lo, 5, v8
	v_cndmask_b32_e64 v9, 0, 1, vcc_lo
	v_cmp_eq_u32_e32 vcc_lo, 3, v8
	v_cndmask_b32_e64 v8, 0, 1, vcc_lo
	v_cmp_ne_u32_e32 vcc_lo, 0, v1
	s_delay_alu instid0(VALU_DEP_2) | instskip(SKIP_1) | instid1(VALU_DEP_2)
	v_or_b32_e32 v8, v8, v9
	v_mov_b32_e32 v9, 0x7e00
	v_add_nc_u32_e32 v3, v3, v8
	s_delay_alu instid0(VALU_DEP_2) | instskip(SKIP_1) | instid1(VALU_DEP_3)
	v_cndmask_b32_e32 v1, 0x7c00, v9, vcc_lo
	v_cmp_gt_i32_e32 vcc_lo, 31, v6
	v_cndmask_b32_e32 v3, 0x7c00, v3, vcc_lo
	v_cmp_eq_u32_e32 vcc_lo, 0x40f, v6
	s_delay_alu instid0(VALU_DEP_2) | instskip(NEXT) | instid1(VALU_DEP_1)
	v_dual_cndmask_b32 v1, v3, v1, vcc_lo :: v_dual_lshrrev_b32 v3, 16, v7
	v_and_or_b32 v1, 0x8000, v3, v1
	s_branch .LBB87_658
.LBB87_654:
	s_mov_b32 s1, -1
                                        ; implicit-def: $vgpr1
	s_branch .LBB87_676
.LBB87_655:
	s_mov_b32 s1, -1
                                        ; implicit-def: $vgpr1
	s_branch .LBB87_664
.LBB87_656:
	s_mov_b32 s1, -1
                                        ; implicit-def: $vgpr1
	s_branch .LBB87_661
.LBB87_657:
	s_mov_b32 s1, -1
                                        ; implicit-def: $vgpr1
.LBB87_658:
	s_delay_alu instid0(SALU_CYCLE_1)
	s_and_not1_b32 vcc_lo, exec_lo, s1
	s_cbranch_vccnz .LBB87_660
; %bb.659:
	s_wait_loadcnt 0x0
	global_load_b32 v1, v[4:5], off
	s_wait_loadcnt 0x0
	v_cvt_f16_f32_e32 v1, v1
.LBB87_660:
	s_mov_b32 s1, 0
.LBB87_661:
	s_delay_alu instid0(SALU_CYCLE_1)
	s_and_not1_b32 vcc_lo, exec_lo, s1
	s_cbranch_vccnz .LBB87_663
; %bb.662:
	s_wait_loadcnt 0x0
	global_load_b32 v1, v[4:5], off
.LBB87_663:
	s_mov_b32 s1, 0
.LBB87_664:
	s_delay_alu instid0(SALU_CYCLE_1)
	s_and_not1_b32 vcc_lo, exec_lo, s1
	s_cbranch_vccnz .LBB87_675
; %bb.665:
	s_cmp_lt_i32 s0, 6
	s_cbranch_scc1 .LBB87_668
; %bb.666:
	s_cmp_gt_i32 s0, 6
	s_cbranch_scc0 .LBB87_669
; %bb.667:
	global_load_b64 v[6:7], v[4:5], off
	s_mov_b32 s1, 0
	s_wait_loadcnt 0x0
	v_and_or_b32 v1, 0x1ff, v7, v6
	v_lshrrev_b32_e32 v3, 8, v7
	v_bfe_u32 v6, v7, 20, 11
	s_delay_alu instid0(VALU_DEP_3) | instskip(NEXT) | instid1(VALU_DEP_2)
	v_cmp_ne_u32_e32 vcc_lo, 0, v1
	v_sub_nc_u32_e32 v8, 0x3f1, v6
	v_add_nc_u32_e32 v6, 0xfffffc10, v6
	v_cndmask_b32_e64 v1, 0, 1, vcc_lo
	s_delay_alu instid0(VALU_DEP_1) | instskip(NEXT) | instid1(VALU_DEP_4)
	v_and_or_b32 v1, 0xffe, v3, v1
	v_med3_i32 v3, v8, 0, 13
	s_delay_alu instid0(VALU_DEP_2) | instskip(NEXT) | instid1(VALU_DEP_1)
	v_or_b32_e32 v8, 0x1000, v1
	v_lshrrev_b32_e32 v9, v3, v8
	s_delay_alu instid0(VALU_DEP_1) | instskip(NEXT) | instid1(VALU_DEP_1)
	v_lshlrev_b32_e32 v3, v3, v9
	v_cmp_ne_u32_e32 vcc_lo, v3, v8
	v_lshl_or_b32 v8, v6, 12, v1
	v_cndmask_b32_e64 v3, 0, 1, vcc_lo
	v_cmp_gt_i32_e32 vcc_lo, 1, v6
	s_delay_alu instid0(VALU_DEP_2) | instskip(NEXT) | instid1(VALU_DEP_1)
	v_or_b32_e32 v3, v9, v3
	v_cndmask_b32_e32 v3, v8, v3, vcc_lo
	s_delay_alu instid0(VALU_DEP_1) | instskip(NEXT) | instid1(VALU_DEP_1)
	v_dual_lshrrev_b32 v3, 2, v3 :: v_dual_bitop2_b32 v8, 7, v3 bitop3:0x40
	v_cmp_lt_i32_e32 vcc_lo, 5, v8
	v_cndmask_b32_e64 v9, 0, 1, vcc_lo
	v_cmp_eq_u32_e32 vcc_lo, 3, v8
	v_cndmask_b32_e64 v8, 0, 1, vcc_lo
	v_cmp_ne_u32_e32 vcc_lo, 0, v1
	s_delay_alu instid0(VALU_DEP_2) | instskip(SKIP_1) | instid1(VALU_DEP_2)
	v_or_b32_e32 v8, v8, v9
	v_mov_b32_e32 v9, 0x7e00
	v_add_nc_u32_e32 v3, v3, v8
	s_delay_alu instid0(VALU_DEP_2) | instskip(SKIP_1) | instid1(VALU_DEP_3)
	v_cndmask_b32_e32 v1, 0x7c00, v9, vcc_lo
	v_cmp_gt_i32_e32 vcc_lo, 31, v6
	v_cndmask_b32_e32 v3, 0x7c00, v3, vcc_lo
	v_cmp_eq_u32_e32 vcc_lo, 0x40f, v6
	s_delay_alu instid0(VALU_DEP_2) | instskip(NEXT) | instid1(VALU_DEP_1)
	v_dual_cndmask_b32 v1, v3, v1, vcc_lo :: v_dual_lshrrev_b32 v3, 16, v7
	v_and_or_b32 v1, 0x8000, v3, v1
	s_branch .LBB87_670
.LBB87_668:
	s_mov_b32 s1, -1
                                        ; implicit-def: $vgpr1
	s_branch .LBB87_673
.LBB87_669:
	s_mov_b32 s1, -1
                                        ; implicit-def: $vgpr1
.LBB87_670:
	s_delay_alu instid0(SALU_CYCLE_1)
	s_and_not1_b32 vcc_lo, exec_lo, s1
	s_cbranch_vccnz .LBB87_672
; %bb.671:
	s_wait_loadcnt 0x0
	global_load_b32 v1, v[4:5], off
	s_wait_loadcnt 0x0
	v_cvt_f16_f32_e32 v1, v1
.LBB87_672:
	s_mov_b32 s1, 0
.LBB87_673:
	s_delay_alu instid0(SALU_CYCLE_1)
	s_and_not1_b32 vcc_lo, exec_lo, s1
	s_cbranch_vccnz .LBB87_675
; %bb.674:
	s_wait_loadcnt 0x0
	global_load_u16 v1, v[4:5], off
.LBB87_675:
	s_mov_b32 s1, 0
.LBB87_676:
	s_delay_alu instid0(SALU_CYCLE_1)
	s_and_not1_b32 vcc_lo, exec_lo, s1
	s_cbranch_vccnz .LBB87_696
; %bb.677:
	s_cmp_lt_i32 s0, 2
	s_cbranch_scc1 .LBB87_681
; %bb.678:
	s_cmp_lt_i32 s0, 3
	s_cbranch_scc1 .LBB87_682
; %bb.679:
	s_cmp_gt_i32 s0, 3
	s_cbranch_scc0 .LBB87_683
; %bb.680:
	global_load_b64 v[6:7], v[4:5], off
	s_mov_b32 s1, 0
	s_wait_loadcnt 0x0
	v_xor_b32_e32 v1, v6, v7
	v_cls_i32_e32 v3, v7
	s_delay_alu instid0(VALU_DEP_2) | instskip(NEXT) | instid1(VALU_DEP_1)
	v_ashrrev_i32_e32 v1, 31, v1
	v_add_nc_u32_e32 v1, 32, v1
	s_delay_alu instid0(VALU_DEP_1) | instskip(NEXT) | instid1(VALU_DEP_1)
	v_add_min_u32_e64 v1, v3, -1, v1
	v_lshlrev_b64_e32 v[6:7], v1, v[6:7]
	v_sub_nc_u32_e32 v1, 32, v1
	s_delay_alu instid0(VALU_DEP_2) | instskip(NEXT) | instid1(VALU_DEP_1)
	v_min_u32_e32 v3, 1, v6
	v_or_b32_e32 v3, v7, v3
	s_delay_alu instid0(VALU_DEP_1) | instskip(NEXT) | instid1(VALU_DEP_1)
	v_cvt_f32_i32_e32 v3, v3
	v_ldexp_f32 v1, v3, v1
	s_delay_alu instid0(VALU_DEP_1)
	v_cvt_f16_f32_e32 v1, v1
	s_branch .LBB87_684
.LBB87_681:
	s_mov_b32 s1, -1
                                        ; implicit-def: $vgpr1
	s_branch .LBB87_690
.LBB87_682:
	s_mov_b32 s1, -1
                                        ; implicit-def: $vgpr1
	s_branch .LBB87_687
.LBB87_683:
	s_mov_b32 s1, -1
                                        ; implicit-def: $vgpr1
.LBB87_684:
	s_delay_alu instid0(SALU_CYCLE_1)
	s_and_not1_b32 vcc_lo, exec_lo, s1
	s_cbranch_vccnz .LBB87_686
; %bb.685:
	s_wait_loadcnt 0x0
	global_load_b32 v1, v[4:5], off
	s_wait_loadcnt 0x0
	v_cvt_f32_i32_e32 v1, v1
	s_delay_alu instid0(VALU_DEP_1)
	v_cvt_f16_f32_e32 v1, v1
.LBB87_686:
	s_mov_b32 s1, 0
.LBB87_687:
	s_delay_alu instid0(SALU_CYCLE_1)
	s_and_not1_b32 vcc_lo, exec_lo, s1
	s_cbranch_vccnz .LBB87_689
; %bb.688:
	s_wait_loadcnt 0x0
	global_load_u16 v1, v[4:5], off
	s_wait_loadcnt 0x0
	v_cvt_f16_i16_e32 v1, v1
.LBB87_689:
	s_mov_b32 s1, 0
.LBB87_690:
	s_delay_alu instid0(SALU_CYCLE_1)
	s_and_not1_b32 vcc_lo, exec_lo, s1
	s_cbranch_vccnz .LBB87_696
; %bb.691:
	s_cmp_gt_i32 s0, 0
	s_mov_b32 s0, 0
	s_cbranch_scc0 .LBB87_693
; %bb.692:
	s_wait_loadcnt 0x0
	global_load_i8 v1, v[4:5], off
	s_wait_loadcnt 0x0
	v_cvt_f16_i16_e32 v1, v1
	s_branch .LBB87_694
.LBB87_693:
	s_mov_b32 s0, -1
                                        ; implicit-def: $vgpr1
.LBB87_694:
	s_delay_alu instid0(SALU_CYCLE_1)
	s_and_not1_b32 vcc_lo, exec_lo, s0
	s_cbranch_vccnz .LBB87_696
; %bb.695:
	s_wait_loadcnt 0x0
	global_load_u8 v1, v[4:5], off
	s_wait_loadcnt 0x0
	v_cvt_f16_u16_e32 v1, v1
.LBB87_696:
	s_mov_b32 s1, -1
.LBB87_697:
	s_delay_alu instid0(SALU_CYCLE_1)
	s_and_not1_b32 vcc_lo, exec_lo, s1
	s_cbranch_vccnz .LBB87_705
; %bb.698:
	v_mov_b32_e32 v3, 0
	s_wait_loadcnt 0x0
	v_cmp_eq_f16_e64 s0, 0xfc00, v1
	s_and_b32 s25, s34, 0xff
	s_delay_alu instid0(SALU_CYCLE_1)
	s_cmp_lt_i32 s25, 11
	v_add_nc_u64_e32 v[2:3], s[4:5], v[2:3]
	s_cbranch_scc1 .LBB87_706
; %bb.699:
	s_and_b32 s26, 0xffff, s25
	s_delay_alu instid0(SALU_CYCLE_1)
	s_cmp_gt_i32 s26, 25
	s_cbranch_scc0 .LBB87_707
; %bb.700:
	s_cmp_gt_i32 s26, 28
	s_cbranch_scc0 .LBB87_708
; %bb.701:
	;; [unrolled: 3-line block ×4, first 2 shown]
	s_mov_b32 s45, 0
	s_mov_b32 s1, -1
	s_cmp_eq_u32 s26, 46
	s_mov_b32 s27, 0
	s_cbranch_scc0 .LBB87_711
; %bb.704:
	v_cndmask_b32_e64 v1, 0, 1.0, s0
	s_mov_b32 s27, -1
	s_mov_b32 s1, 0
	s_wait_xcnt 0x0
	s_delay_alu instid0(VALU_DEP_1) | instskip(NEXT) | instid1(VALU_DEP_1)
	v_bfe_u32 v4, v1, 16, 1
	v_add3_u32 v1, v1, v4, 0x7fff
	s_delay_alu instid0(VALU_DEP_1)
	v_lshrrev_b32_e32 v1, 16, v1
	global_store_b32 v[2:3], v1, off
	s_branch .LBB87_711
.LBB87_705:
	s_mov_b32 s0, 0
	s_mov_b32 s1, s42
	s_branch .LBB87_822
.LBB87_706:
	s_mov_b32 s26, -1
	s_mov_b32 s27, 0
	s_mov_b32 s1, s42
	s_branch .LBB87_780
.LBB87_707:
	s_mov_b32 s45, -1
	s_mov_b32 s27, 0
	s_mov_b32 s1, s42
	s_branch .LBB87_738
.LBB87_708:
	s_mov_b32 s45, -1
	s_mov_b32 s27, 0
	s_mov_b32 s1, s42
	s_branch .LBB87_721
.LBB87_709:
	s_mov_b32 s45, -1
	s_mov_b32 s27, 0
	s_mov_b32 s1, s42
	s_branch .LBB87_717
.LBB87_710:
	s_mov_b32 s45, -1
	s_mov_b32 s27, 0
	s_mov_b32 s1, s42
.LBB87_711:
	s_and_b32 vcc_lo, exec_lo, s45
	s_cbranch_vccz .LBB87_716
; %bb.712:
	s_cmp_eq_u32 s26, 44
	s_mov_b32 s1, -1
	s_cbranch_scc0 .LBB87_716
; %bb.713:
	s_wait_xcnt 0x0
	v_cndmask_b32_e64 v5, 0, 1.0, s0
	s_mov_b32 s27, exec_lo
	s_delay_alu instid0(VALU_DEP_1) | instskip(NEXT) | instid1(VALU_DEP_1)
	v_dual_mov_b32 v4, 0xff :: v_dual_lshrrev_b32 v1, 23, v5
	v_cmpx_ne_u32_e32 0xff, v1
; %bb.714:
	v_and_b32_e32 v4, 0x400000, v5
	v_and_or_b32 v5, 0x3fffff, v5, v1
	s_delay_alu instid0(VALU_DEP_2) | instskip(NEXT) | instid1(VALU_DEP_2)
	v_cmp_ne_u32_e32 vcc_lo, 0, v4
	v_cmp_ne_u32_e64 s1, 0, v5
	s_and_b32 s1, vcc_lo, s1
	s_delay_alu instid0(SALU_CYCLE_1) | instskip(NEXT) | instid1(VALU_DEP_1)
	v_cndmask_b32_e64 v4, 0, 1, s1
	v_add_nc_u32_e32 v4, v1, v4
; %bb.715:
	s_or_b32 exec_lo, exec_lo, s27
	s_mov_b32 s27, -1
	s_mov_b32 s1, 0
	global_store_b8 v[2:3], v4, off
.LBB87_716:
	s_mov_b32 s45, 0
.LBB87_717:
	s_delay_alu instid0(SALU_CYCLE_1)
	s_and_b32 vcc_lo, exec_lo, s45
	s_cbranch_vccz .LBB87_720
; %bb.718:
	s_cmp_eq_u32 s26, 29
	s_mov_b32 s1, -1
	s_cbranch_scc0 .LBB87_720
; %bb.719:
	s_mov_b32 s1, 0
	s_wait_xcnt 0x0
	v_cndmask_b32_e64 v4, 0, 1, s0
	v_mov_b32_e32 v5, s1
	s_mov_b32 s27, -1
	s_mov_b32 s45, 0
	global_store_b64 v[2:3], v[4:5], off
	s_branch .LBB87_721
.LBB87_720:
	s_mov_b32 s45, 0
.LBB87_721:
	s_delay_alu instid0(SALU_CYCLE_1)
	s_and_b32 vcc_lo, exec_lo, s45
	s_cbranch_vccz .LBB87_737
; %bb.722:
	s_cmp_lt_i32 s26, 27
	s_mov_b32 s27, -1
	s_cbranch_scc1 .LBB87_728
; %bb.723:
	s_cmp_gt_i32 s26, 27
	s_cbranch_scc0 .LBB87_725
; %bb.724:
	s_wait_xcnt 0x0
	v_cndmask_b32_e64 v1, 0, 1, s0
	s_mov_b32 s27, 0
	global_store_b32 v[2:3], v1, off
.LBB87_725:
	s_and_not1_b32 vcc_lo, exec_lo, s27
	s_cbranch_vccnz .LBB87_727
; %bb.726:
	s_wait_xcnt 0x0
	v_cndmask_b32_e64 v1, 0, 1, s0
	global_store_b16 v[2:3], v1, off
.LBB87_727:
	s_mov_b32 s27, 0
.LBB87_728:
	s_delay_alu instid0(SALU_CYCLE_1)
	s_and_not1_b32 vcc_lo, exec_lo, s27
	s_cbranch_vccnz .LBB87_736
; %bb.729:
	s_wait_xcnt 0x0
	v_cndmask_b32_e64 v4, 0, 1.0, s0
	v_mov_b32_e32 v5, 0x80
	s_mov_b32 s27, exec_lo
	s_delay_alu instid0(VALU_DEP_2)
	v_cmpx_gt_u32_e32 0x43800000, v4
	s_cbranch_execz .LBB87_735
; %bb.730:
	s_mov_b32 s45, 0
	s_mov_b32 s46, exec_lo
                                        ; implicit-def: $vgpr1
	v_cmpx_lt_u32_e32 0x3bffffff, v4
	s_xor_b32 s46, exec_lo, s46
	s_cbranch_execz .LBB87_854
; %bb.731:
	v_bfe_u32 v1, v4, 20, 1
	s_mov_b32 s45, exec_lo
	s_delay_alu instid0(VALU_DEP_1) | instskip(NEXT) | instid1(VALU_DEP_1)
	v_add3_u32 v1, v4, v1, 0x487ffff
                                        ; implicit-def: $vgpr4
	v_lshrrev_b32_e32 v1, 20, v1
	s_and_not1_saveexec_b32 s46, s46
	s_cbranch_execnz .LBB87_855
.LBB87_732:
	s_or_b32 exec_lo, exec_lo, s46
	v_mov_b32_e32 v5, 0
	s_and_saveexec_b32 s46, s45
.LBB87_733:
	v_mov_b32_e32 v5, v1
.LBB87_734:
	s_or_b32 exec_lo, exec_lo, s46
.LBB87_735:
	s_delay_alu instid0(SALU_CYCLE_1)
	s_or_b32 exec_lo, exec_lo, s27
	global_store_b8 v[2:3], v5, off
.LBB87_736:
	s_mov_b32 s27, -1
.LBB87_737:
	s_mov_b32 s45, 0
.LBB87_738:
	s_delay_alu instid0(SALU_CYCLE_1)
	s_and_b32 vcc_lo, exec_lo, s45
	s_cbranch_vccz .LBB87_779
; %bb.739:
	s_cmp_gt_i32 s26, 22
	s_mov_b32 s45, -1
	s_cbranch_scc0 .LBB87_771
; %bb.740:
	s_cmp_lt_i32 s26, 24
	s_mov_b32 s27, -1
	s_cbranch_scc1 .LBB87_760
; %bb.741:
	s_cmp_gt_i32 s26, 24
	s_cbranch_scc0 .LBB87_749
; %bb.742:
	s_wait_xcnt 0x0
	v_cndmask_b32_e64 v4, 0, 1.0, s0
	v_mov_b32_e32 v5, 0x80
	s_mov_b32 s27, exec_lo
	s_delay_alu instid0(VALU_DEP_2)
	v_cmpx_gt_u32_e32 0x47800000, v4
	s_cbranch_execz .LBB87_748
; %bb.743:
	s_mov_b32 s45, 0
	s_mov_b32 s46, exec_lo
                                        ; implicit-def: $vgpr1
	v_cmpx_lt_u32_e32 0x37ffffff, v4
	s_xor_b32 s46, exec_lo, s46
	s_cbranch_execz .LBB87_857
; %bb.744:
	v_bfe_u32 v1, v4, 21, 1
	s_mov_b32 s45, exec_lo
	s_delay_alu instid0(VALU_DEP_1) | instskip(NEXT) | instid1(VALU_DEP_1)
	v_add3_u32 v1, v4, v1, 0x88fffff
                                        ; implicit-def: $vgpr4
	v_lshrrev_b32_e32 v1, 21, v1
	s_and_not1_saveexec_b32 s46, s46
	s_cbranch_execnz .LBB87_858
.LBB87_745:
	s_or_b32 exec_lo, exec_lo, s46
	v_mov_b32_e32 v5, 0
	s_and_saveexec_b32 s46, s45
.LBB87_746:
	v_mov_b32_e32 v5, v1
.LBB87_747:
	s_or_b32 exec_lo, exec_lo, s46
.LBB87_748:
	s_delay_alu instid0(SALU_CYCLE_1)
	s_or_b32 exec_lo, exec_lo, s27
	s_mov_b32 s27, 0
	global_store_b8 v[2:3], v5, off
.LBB87_749:
	s_and_b32 vcc_lo, exec_lo, s27
	s_cbranch_vccz .LBB87_759
; %bb.750:
	s_wait_xcnt 0x0
	v_cndmask_b32_e64 v4, 0, 1.0, s0
	s_mov_b32 s27, exec_lo
                                        ; implicit-def: $vgpr1
	s_delay_alu instid0(VALU_DEP_1)
	v_cmpx_gt_u32_e32 0x43f00000, v4
	s_xor_b32 s27, exec_lo, s27
	s_cbranch_execz .LBB87_756
; %bb.751:
	s_mov_b32 s45, exec_lo
                                        ; implicit-def: $vgpr1
	v_cmpx_lt_u32_e32 0x3c7fffff, v4
	s_xor_b32 s45, exec_lo, s45
; %bb.752:
	v_bfe_u32 v1, v4, 20, 1
	s_delay_alu instid0(VALU_DEP_1) | instskip(NEXT) | instid1(VALU_DEP_1)
	v_add3_u32 v1, v4, v1, 0x407ffff
	v_and_b32_e32 v4, 0xff00000, v1
	v_lshrrev_b32_e32 v1, 20, v1
	s_delay_alu instid0(VALU_DEP_2) | instskip(NEXT) | instid1(VALU_DEP_2)
	v_cmp_ne_u32_e32 vcc_lo, 0x7f00000, v4
                                        ; implicit-def: $vgpr4
	v_cndmask_b32_e32 v1, 0x7e, v1, vcc_lo
; %bb.753:
	s_and_not1_saveexec_b32 s45, s45
; %bb.754:
	v_add_f32_e32 v1, 0x46800000, v4
; %bb.755:
	s_or_b32 exec_lo, exec_lo, s45
                                        ; implicit-def: $vgpr4
.LBB87_756:
	s_and_not1_saveexec_b32 s27, s27
; %bb.757:
	v_mov_b32_e32 v1, 0x7f
	v_cmp_lt_u32_e32 vcc_lo, 0x7f800000, v4
	s_delay_alu instid0(VALU_DEP_2)
	v_cndmask_b32_e32 v1, 0x7e, v1, vcc_lo
; %bb.758:
	s_or_b32 exec_lo, exec_lo, s27
	global_store_b8 v[2:3], v1, off
.LBB87_759:
	s_mov_b32 s27, 0
.LBB87_760:
	s_delay_alu instid0(SALU_CYCLE_1)
	s_and_not1_b32 vcc_lo, exec_lo, s27
	s_cbranch_vccnz .LBB87_770
; %bb.761:
	s_wait_xcnt 0x0
	v_cndmask_b32_e64 v4, 0, 1.0, s0
	s_mov_b32 s27, exec_lo
                                        ; implicit-def: $vgpr1
	s_delay_alu instid0(VALU_DEP_1)
	v_cmpx_gt_u32_e32 0x47800000, v4
	s_xor_b32 s27, exec_lo, s27
	s_cbranch_execz .LBB87_767
; %bb.762:
	s_mov_b32 s45, exec_lo
                                        ; implicit-def: $vgpr1
	v_cmpx_lt_u32_e32 0x387fffff, v4
	s_xor_b32 s45, exec_lo, s45
; %bb.763:
	v_bfe_u32 v1, v4, 21, 1
	s_delay_alu instid0(VALU_DEP_1) | instskip(NEXT) | instid1(VALU_DEP_1)
	v_add3_u32 v1, v4, v1, 0x80fffff
                                        ; implicit-def: $vgpr4
	v_lshrrev_b32_e32 v1, 21, v1
; %bb.764:
	s_and_not1_saveexec_b32 s45, s45
; %bb.765:
	v_add_f32_e32 v1, 0x43000000, v4
; %bb.766:
	s_or_b32 exec_lo, exec_lo, s45
                                        ; implicit-def: $vgpr4
.LBB87_767:
	s_and_not1_saveexec_b32 s27, s27
; %bb.768:
	v_mov_b32_e32 v1, 0x7f
	v_cmp_lt_u32_e32 vcc_lo, 0x7f800000, v4
	s_delay_alu instid0(VALU_DEP_2)
	v_cndmask_b32_e32 v1, 0x7c, v1, vcc_lo
; %bb.769:
	s_or_b32 exec_lo, exec_lo, s27
	global_store_b8 v[2:3], v1, off
.LBB87_770:
	s_mov_b32 s45, 0
	s_mov_b32 s27, -1
.LBB87_771:
	s_and_not1_b32 vcc_lo, exec_lo, s45
	s_cbranch_vccnz .LBB87_779
; %bb.772:
	s_cmp_gt_i32 s26, 14
	s_mov_b32 s45, -1
	s_cbranch_scc0 .LBB87_776
; %bb.773:
	s_cmp_eq_u32 s26, 15
	s_mov_b32 s1, -1
	s_cbranch_scc0 .LBB87_775
; %bb.774:
	s_wait_xcnt 0x0
	v_cndmask_b32_e64 v1, 0, 1.0, s0
	s_mov_b32 s27, -1
	s_mov_b32 s1, 0
	s_delay_alu instid0(VALU_DEP_1) | instskip(NEXT) | instid1(VALU_DEP_1)
	v_bfe_u32 v4, v1, 16, 1
	v_add3_u32 v1, v1, v4, 0x7fff
	global_store_d16_hi_b16 v[2:3], v1, off
.LBB87_775:
	s_mov_b32 s45, 0
.LBB87_776:
	s_delay_alu instid0(SALU_CYCLE_1)
	s_and_b32 vcc_lo, exec_lo, s45
	s_cbranch_vccz .LBB87_779
; %bb.777:
	s_cmp_eq_u32 s26, 11
	s_mov_b32 s1, -1
	s_cbranch_scc0 .LBB87_779
; %bb.778:
	s_wait_xcnt 0x0
	v_cndmask_b32_e64 v1, 0, 1, s0
	s_mov_b32 s27, -1
	s_mov_b32 s1, 0
	global_store_b8 v[2:3], v1, off
.LBB87_779:
	s_mov_b32 s26, 0
.LBB87_780:
	s_delay_alu instid0(SALU_CYCLE_1)
	s_and_b32 vcc_lo, exec_lo, s26
	s_cbranch_vccz .LBB87_819
; %bb.781:
	s_and_b32 s25, 0xffff, s25
	s_mov_b32 s26, -1
	s_cmp_lt_i32 s25, 5
	s_cbranch_scc1 .LBB87_802
; %bb.782:
	s_cmp_lt_i32 s25, 8
	s_cbranch_scc1 .LBB87_792
; %bb.783:
	;; [unrolled: 3-line block ×3, first 2 shown]
	s_cmp_gt_i32 s25, 9
	s_cbranch_scc0 .LBB87_786
; %bb.785:
	s_wait_xcnt 0x0
	v_cndmask_b32_e64 v1, 0, 1, s0
	v_mov_b32_e32 v6, 0
	s_mov_b32 s26, 0
	s_delay_alu instid0(VALU_DEP_2) | instskip(NEXT) | instid1(VALU_DEP_2)
	v_cvt_f64_u32_e32 v[4:5], v1
	v_mov_b32_e32 v7, v6
	global_store_b128 v[2:3], v[4:7], off
.LBB87_786:
	s_and_not1_b32 vcc_lo, exec_lo, s26
	s_cbranch_vccnz .LBB87_788
; %bb.787:
	s_wait_xcnt 0x0
	v_cndmask_b32_e64 v4, 0, 1.0, s0
	v_mov_b32_e32 v5, 0
	global_store_b64 v[2:3], v[4:5], off
.LBB87_788:
	s_mov_b32 s26, 0
.LBB87_789:
	s_delay_alu instid0(SALU_CYCLE_1)
	s_and_not1_b32 vcc_lo, exec_lo, s26
	s_cbranch_vccnz .LBB87_791
; %bb.790:
	s_wait_xcnt 0x0
	v_cndmask_b32_e64 v1, 0, 1.0, s0
	s_delay_alu instid0(VALU_DEP_1) | instskip(NEXT) | instid1(VALU_DEP_1)
	v_cvt_f16_f32_e32 v1, v1
	v_and_b32_e32 v1, 0xffff, v1
	global_store_b32 v[2:3], v1, off
.LBB87_791:
	s_mov_b32 s26, 0
.LBB87_792:
	s_delay_alu instid0(SALU_CYCLE_1)
	s_and_not1_b32 vcc_lo, exec_lo, s26
	s_cbranch_vccnz .LBB87_801
; %bb.793:
	s_cmp_lt_i32 s25, 6
	s_mov_b32 s26, -1
	s_cbranch_scc1 .LBB87_799
; %bb.794:
	s_cmp_gt_i32 s25, 6
	s_cbranch_scc0 .LBB87_796
; %bb.795:
	s_wait_xcnt 0x0
	v_cndmask_b32_e64 v1, 0, 1, s0
	s_mov_b32 s26, 0
	s_delay_alu instid0(VALU_DEP_1)
	v_cvt_f64_u32_e32 v[4:5], v1
	global_store_b64 v[2:3], v[4:5], off
.LBB87_796:
	s_and_not1_b32 vcc_lo, exec_lo, s26
	s_cbranch_vccnz .LBB87_798
; %bb.797:
	s_wait_xcnt 0x0
	v_cndmask_b32_e64 v1, 0, 1.0, s0
	global_store_b32 v[2:3], v1, off
.LBB87_798:
	s_mov_b32 s26, 0
.LBB87_799:
	s_delay_alu instid0(SALU_CYCLE_1)
	s_and_not1_b32 vcc_lo, exec_lo, s26
	s_cbranch_vccnz .LBB87_801
; %bb.800:
	s_wait_xcnt 0x0
	v_cndmask_b32_e64 v1, 0, 1.0, s0
	s_delay_alu instid0(VALU_DEP_1)
	v_cvt_f16_f32_e32 v1, v1
	global_store_b16 v[2:3], v1, off
.LBB87_801:
	s_mov_b32 s26, 0
.LBB87_802:
	s_delay_alu instid0(SALU_CYCLE_1)
	s_and_not1_b32 vcc_lo, exec_lo, s26
	s_cbranch_vccnz .LBB87_818
; %bb.803:
	s_cmp_lt_i32 s25, 2
	s_mov_b32 s26, -1
	s_cbranch_scc1 .LBB87_813
; %bb.804:
	s_cmp_lt_i32 s25, 3
	s_cbranch_scc1 .LBB87_810
; %bb.805:
	s_cmp_gt_i32 s25, 3
	s_cbranch_scc0 .LBB87_807
; %bb.806:
	s_mov_b32 s26, 0
	s_wait_xcnt 0x0
	v_cndmask_b32_e64 v4, 0, 1, s0
	v_mov_b32_e32 v5, s26
	global_store_b64 v[2:3], v[4:5], off
.LBB87_807:
	s_and_not1_b32 vcc_lo, exec_lo, s26
	s_cbranch_vccnz .LBB87_809
; %bb.808:
	s_wait_xcnt 0x0
	v_cndmask_b32_e64 v1, 0, 1, s0
	global_store_b32 v[2:3], v1, off
.LBB87_809:
	s_mov_b32 s26, 0
.LBB87_810:
	s_delay_alu instid0(SALU_CYCLE_1)
	s_and_not1_b32 vcc_lo, exec_lo, s26
	s_cbranch_vccnz .LBB87_812
; %bb.811:
	s_wait_xcnt 0x0
	v_cndmask_b32_e64 v1, 0, 1, s0
	global_store_b16 v[2:3], v1, off
.LBB87_812:
	s_mov_b32 s26, 0
.LBB87_813:
	s_delay_alu instid0(SALU_CYCLE_1)
	s_and_not1_b32 vcc_lo, exec_lo, s26
	s_cbranch_vccnz .LBB87_818
; %bb.814:
	s_wait_xcnt 0x0
	v_cndmask_b32_e64 v1, 0, 1, s0
	s_cmp_gt_i32 s25, 0
	s_mov_b32 s0, -1
	s_cbranch_scc0 .LBB87_816
; %bb.815:
	s_mov_b32 s0, 0
	global_store_b8 v[2:3], v1, off
.LBB87_816:
	s_and_not1_b32 vcc_lo, exec_lo, s0
	s_cbranch_vccnz .LBB87_818
; %bb.817:
	global_store_b8 v[2:3], v1, off
.LBB87_818:
	s_mov_b32 s27, -1
.LBB87_819:
	s_delay_alu instid0(SALU_CYCLE_1)
	s_and_not1_b32 vcc_lo, exec_lo, s27
	s_cbranch_vccnz .LBB87_821
; %bb.820:
	v_add_nc_u32_e32 v0, 0x80, v0
	s_mov_b32 s0, -1
	s_branch .LBB87_823
.LBB87_821:
	s_mov_b32 s0, 0
.LBB87_822:
                                        ; implicit-def: $vgpr0
.LBB87_823:
	s_and_not1_b32 s25, s42, exec_lo
	s_and_b32 s1, s1, exec_lo
	s_and_not1_b32 s26, s41, exec_lo
	s_and_b32 s24, s24, exec_lo
	s_or_b32 s27, s25, s1
	s_or_b32 s26, s26, s24
	s_or_not1_b32 s25, s0, exec_lo
.LBB87_824:
	s_wait_xcnt 0x0
	s_or_b32 exec_lo, exec_lo, s44
	s_mov_b32 s0, 0
	s_mov_b32 s1, 0
	;; [unrolled: 1-line block ×3, first 2 shown]
                                        ; implicit-def: $vgpr4_vgpr5
                                        ; implicit-def: $vgpr2
                                        ; implicit-def: $vgpr6
	s_and_saveexec_b32 s44, s25
	s_cbranch_execz .LBB87_926
; %bb.825:
	v_cmp_gt_i32_e32 vcc_lo, s36, v0
	s_mov_b32 s45, s26
	s_mov_b32 s25, 0
                                        ; implicit-def: $vgpr4_vgpr5
                                        ; implicit-def: $vgpr2
                                        ; implicit-def: $vgpr6
	s_and_saveexec_b32 s36, vcc_lo
	s_cbranch_execz .LBB87_925
; %bb.826:
	s_and_not1_b32 vcc_lo, exec_lo, s31
	s_cbranch_vccnz .LBB87_832
; %bb.827:
	s_and_not1_b32 vcc_lo, exec_lo, s38
	s_cbranch_vccnz .LBB87_833
; %bb.828:
	s_add_co_i32 s37, s37, 1
	s_cmp_eq_u32 s29, 2
	s_cbranch_scc1 .LBB87_834
; %bb.829:
	v_dual_mov_b32 v2, 0 :: v_dual_mov_b32 v4, 0
	s_wait_loadcnt 0x0
	v_mov_b32_e32 v1, v0
	s_and_b32 s0, s37, 28
	s_mov_b64 s[24:25], s[2:3]
.LBB87_830:                             ; =>This Inner Loop Header: Depth=1
	s_clause 0x1
	s_load_b256 s[48:55], s[24:25], 0x4
	s_load_b128 s[64:67], s[24:25], 0x24
	s_load_b256 s[56:63], s[22:23], 0x0
	s_add_co_i32 s1, s1, 4
	s_wait_xcnt 0x0
	s_add_nc_u64 s[24:25], s[24:25], 48
	s_cmp_eq_u32 s0, s1
	s_add_nc_u64 s[22:23], s[22:23], 32
	s_wait_kmcnt 0x0
	v_mul_hi_u32 v3, s49, v1
	s_delay_alu instid0(VALU_DEP_1) | instskip(NEXT) | instid1(VALU_DEP_1)
	v_add_nc_u32_e32 v3, v1, v3
	v_lshrrev_b32_e32 v3, s50, v3
	s_delay_alu instid0(VALU_DEP_1) | instskip(NEXT) | instid1(VALU_DEP_1)
	v_mul_hi_u32 v5, s52, v3
	v_add_nc_u32_e32 v5, v3, v5
	s_delay_alu instid0(VALU_DEP_1) | instskip(NEXT) | instid1(VALU_DEP_1)
	v_lshrrev_b32_e32 v5, s53, v5
	v_mul_hi_u32 v6, s55, v5
	s_delay_alu instid0(VALU_DEP_1) | instskip(SKIP_1) | instid1(VALU_DEP_1)
	v_add_nc_u32_e32 v6, v5, v6
	v_mul_lo_u32 v7, v3, s48
	v_sub_nc_u32_e32 v1, v1, v7
	v_mul_lo_u32 v7, v5, s51
	s_delay_alu instid0(VALU_DEP_4) | instskip(NEXT) | instid1(VALU_DEP_3)
	v_lshrrev_b32_e32 v6, s64, v6
	v_mad_u32 v4, v1, s57, v4
	v_mad_u32 v1, v1, s56, v2
	s_delay_alu instid0(VALU_DEP_4) | instskip(NEXT) | instid1(VALU_DEP_4)
	v_sub_nc_u32_e32 v2, v3, v7
	v_mul_hi_u32 v8, s66, v6
	v_mul_lo_u32 v3, v6, s54
	s_delay_alu instid0(VALU_DEP_3) | instskip(SKIP_1) | instid1(VALU_DEP_3)
	v_mad_u32 v4, v2, s59, v4
	v_mad_u32 v2, v2, s58, v1
	v_dual_add_nc_u32 v7, v6, v8 :: v_dual_sub_nc_u32 v3, v5, v3
	s_delay_alu instid0(VALU_DEP_1) | instskip(NEXT) | instid1(VALU_DEP_2)
	v_lshrrev_b32_e32 v1, s67, v7
	v_mad_u32 v4, v3, s61, v4
	s_delay_alu instid0(VALU_DEP_4) | instskip(NEXT) | instid1(VALU_DEP_3)
	v_mad_u32 v2, v3, s60, v2
	v_mul_lo_u32 v5, v1, s65
	s_delay_alu instid0(VALU_DEP_1) | instskip(NEXT) | instid1(VALU_DEP_1)
	v_sub_nc_u32_e32 v3, v6, v5
	v_mad_u32 v4, v3, s63, v4
	s_delay_alu instid0(VALU_DEP_4)
	v_mad_u32 v2, v3, s62, v2
	s_cbranch_scc0 .LBB87_830
; %bb.831:
	s_delay_alu instid0(VALU_DEP_2)
	v_mov_b32_e32 v3, v4
	s_branch .LBB87_835
.LBB87_832:
	s_mov_b32 s0, -1
                                        ; implicit-def: $vgpr4
                                        ; implicit-def: $vgpr2
	s_branch .LBB87_840
.LBB87_833:
	v_dual_mov_b32 v4, 0 :: v_dual_mov_b32 v2, 0
	s_branch .LBB87_839
.LBB87_834:
	v_mov_b64_e32 v[2:3], 0
	s_wait_loadcnt 0x0
	v_mov_b32_e32 v1, v0
                                        ; implicit-def: $vgpr4
.LBB87_835:
	s_and_b32 s24, s37, 3
	s_mov_b32 s1, 0
	s_cmp_eq_u32 s24, 0
	s_cbranch_scc1 .LBB87_839
; %bb.836:
	s_lshl_b32 s22, s0, 3
	s_mov_b32 s23, s1
	s_mul_u64 s[46:47], s[0:1], 12
	s_add_nc_u64 s[22:23], s[2:3], s[22:23]
	s_delay_alu instid0(SALU_CYCLE_1)
	s_add_nc_u64 s[0:1], s[22:23], 0xc4
	s_add_nc_u64 s[22:23], s[2:3], s[46:47]
.LBB87_837:                             ; =>This Inner Loop Header: Depth=1
	s_load_b96 s[48:50], s[22:23], 0x4
	s_load_b64 s[46:47], s[0:1], 0x0
	s_add_co_i32 s24, s24, -1
	s_wait_xcnt 0x0
	s_add_nc_u64 s[22:23], s[22:23], 12
	s_cmp_lg_u32 s24, 0
	s_add_nc_u64 s[0:1], s[0:1], 8
	s_wait_kmcnt 0x0
	v_mul_hi_u32 v4, s49, v1
	s_delay_alu instid0(VALU_DEP_1) | instskip(NEXT) | instid1(VALU_DEP_1)
	v_add_nc_u32_e32 v4, v1, v4
	v_lshrrev_b32_e32 v4, s50, v4
	s_delay_alu instid0(VALU_DEP_1) | instskip(NEXT) | instid1(VALU_DEP_1)
	v_mul_lo_u32 v5, v4, s48
	v_sub_nc_u32_e32 v1, v1, v5
	s_delay_alu instid0(VALU_DEP_1)
	v_mad_u32 v3, v1, s47, v3
	v_mad_u32 v2, v1, s46, v2
	v_mov_b32_e32 v1, v4
	s_cbranch_scc1 .LBB87_837
; %bb.838:
	s_delay_alu instid0(VALU_DEP_3)
	v_mov_b32_e32 v4, v3
.LBB87_839:
	s_mov_b32 s0, 0
.LBB87_840:
	s_delay_alu instid0(SALU_CYCLE_1)
	s_and_not1_b32 vcc_lo, exec_lo, s0
	s_cbranch_vccnz .LBB87_843
; %bb.841:
	s_wait_loadcnt 0x0
	v_mov_b32_e32 v1, 0
	s_and_not1_b32 vcc_lo, exec_lo, s35
	s_delay_alu instid0(VALU_DEP_1) | instskip(NEXT) | instid1(VALU_DEP_1)
	v_mul_u64_e32 v[2:3], s[16:17], v[0:1]
	v_add_nc_u32_e32 v2, v0, v3
	s_delay_alu instid0(VALU_DEP_1) | instskip(NEXT) | instid1(VALU_DEP_1)
	v_lshrrev_b32_e32 v6, s14, v2
	v_mul_lo_u32 v2, v6, s12
	s_delay_alu instid0(VALU_DEP_1) | instskip(NEXT) | instid1(VALU_DEP_1)
	v_sub_nc_u32_e32 v0, v0, v2
	v_mul_lo_u32 v4, v0, s9
	v_mul_lo_u32 v2, v0, s8
	s_cbranch_vccnz .LBB87_843
; %bb.842:
	v_mov_b32_e32 v7, v1
	s_delay_alu instid0(VALU_DEP_1) | instskip(NEXT) | instid1(VALU_DEP_1)
	v_mul_u64_e32 v[0:1], s[20:21], v[6:7]
	v_add_nc_u32_e32 v0, v6, v1
	s_delay_alu instid0(VALU_DEP_1) | instskip(NEXT) | instid1(VALU_DEP_1)
	v_lshrrev_b32_e32 v0, s19, v0
	v_mul_lo_u32 v0, v0, s15
	s_delay_alu instid0(VALU_DEP_1) | instskip(NEXT) | instid1(VALU_DEP_1)
	v_sub_nc_u32_e32 v0, v6, v0
	v_mad_u32 v2, v0, s10, v2
	v_mad_u32 v4, v0, s11, v4
.LBB87_843:
	v_mov_b32_e32 v5, 0
	s_and_b32 s0, 0xffff, s13
	s_delay_alu instid0(SALU_CYCLE_1) | instskip(NEXT) | instid1(VALU_DEP_1)
	s_cmp_lt_i32 s0, 11
	v_add_nc_u64_e32 v[4:5], s[6:7], v[4:5]
	s_cbranch_scc1 .LBB87_850
; %bb.844:
	s_cmp_gt_i32 s0, 25
	s_mov_b32 s6, 0
	s_cbranch_scc0 .LBB87_851
; %bb.845:
	s_cmp_gt_i32 s0, 28
	s_cbranch_scc0 .LBB87_852
; %bb.846:
	s_cmp_gt_i32 s0, 43
	;; [unrolled: 3-line block ×3, first 2 shown]
	s_cbranch_scc0 .LBB87_856
; %bb.848:
	s_cmp_eq_u32 s0, 46
	s_mov_b32 s8, 0
	s_cbranch_scc0 .LBB87_859
; %bb.849:
	global_load_b32 v0, v[4:5], off
	s_mov_b32 s1, 0
	s_mov_b32 s7, -1
	s_wait_loadcnt 0x0
	v_lshlrev_b32_e32 v0, 16, v0
	s_delay_alu instid0(VALU_DEP_1)
	v_cvt_f16_f32_e32 v6, v0
	s_branch .LBB87_861
.LBB87_850:
	s_mov_b32 s0, -1
	s_mov_b32 s7, 0
	s_mov_b32 s6, 0
	;; [unrolled: 1-line block ×3, first 2 shown]
                                        ; implicit-def: $vgpr6
	s_branch .LBB87_924
.LBB87_851:
	s_mov_b32 s8, -1
	s_mov_b32 s7, 0
	s_mov_b32 s1, s26
                                        ; implicit-def: $vgpr6
	s_branch .LBB87_890
.LBB87_852:
	s_mov_b32 s8, -1
	s_mov_b32 s7, 0
	s_mov_b32 s1, s26
                                        ; implicit-def: $vgpr6
	s_branch .LBB87_871
.LBB87_853:
	s_mov_b32 s8, -1
	s_mov_b32 s7, 0
	s_mov_b32 s1, s26
                                        ; implicit-def: $vgpr6
	s_branch .LBB87_866
.LBB87_854:
	s_and_not1_saveexec_b32 s46, s46
	s_cbranch_execz .LBB87_732
.LBB87_855:
	v_add_f32_e32 v1, 0x46000000, v4
	s_and_not1_b32 s45, s45, exec_lo
	s_delay_alu instid0(VALU_DEP_1) | instskip(NEXT) | instid1(VALU_DEP_1)
	v_and_b32_e32 v1, 0xff, v1
	v_cmp_ne_u32_e32 vcc_lo, 0, v1
	s_and_b32 s47, vcc_lo, exec_lo
	s_delay_alu instid0(SALU_CYCLE_1)
	s_or_b32 s45, s45, s47
	s_or_b32 exec_lo, exec_lo, s46
	v_mov_b32_e32 v5, 0
	s_and_saveexec_b32 s46, s45
	s_cbranch_execnz .LBB87_733
	s_branch .LBB87_734
.LBB87_856:
	s_mov_b32 s8, -1
	s_mov_b32 s7, 0
	s_mov_b32 s1, s26
	s_branch .LBB87_860
.LBB87_857:
	s_and_not1_saveexec_b32 s46, s46
	s_cbranch_execz .LBB87_745
.LBB87_858:
	v_add_f32_e32 v1, 0x42800000, v4
	s_and_not1_b32 s45, s45, exec_lo
	s_delay_alu instid0(VALU_DEP_1) | instskip(NEXT) | instid1(VALU_DEP_1)
	v_and_b32_e32 v1, 0xff, v1
	v_cmp_ne_u32_e32 vcc_lo, 0, v1
	s_and_b32 s47, vcc_lo, exec_lo
	s_delay_alu instid0(SALU_CYCLE_1)
	s_or_b32 s45, s45, s47
	s_or_b32 exec_lo, exec_lo, s46
	v_mov_b32_e32 v5, 0
	s_and_saveexec_b32 s46, s45
	s_cbranch_execnz .LBB87_746
	s_branch .LBB87_747
.LBB87_859:
	s_mov_b32 s1, -1
	s_mov_b32 s7, 0
.LBB87_860:
                                        ; implicit-def: $vgpr6
.LBB87_861:
	s_and_b32 vcc_lo, exec_lo, s8
	s_cbranch_vccz .LBB87_865
; %bb.862:
	s_cmp_eq_u32 s0, 44
	s_cbranch_scc0 .LBB87_864
; %bb.863:
	global_load_u8 v0, v[4:5], off
	s_mov_b32 s1, 0
	s_mov_b32 s7, -1
	s_wait_loadcnt 0x0
	v_lshlrev_b32_e32 v1, 23, v0
	v_cmp_ne_u32_e32 vcc_lo, 0xff, v0
	s_delay_alu instid0(VALU_DEP_2) | instskip(NEXT) | instid1(VALU_DEP_1)
	v_cvt_f16_f32_e32 v1, v1
	v_cndmask_b32_e32 v1, 0x7e00, v1, vcc_lo
	v_cmp_ne_u32_e32 vcc_lo, 0, v0
	s_delay_alu instid0(VALU_DEP_2)
	v_cndmask_b32_e32 v6, 0, v1, vcc_lo
	s_branch .LBB87_865
.LBB87_864:
	s_mov_b32 s1, -1
                                        ; implicit-def: $vgpr6
.LBB87_865:
	s_mov_b32 s8, 0
.LBB87_866:
	s_delay_alu instid0(SALU_CYCLE_1)
	s_and_b32 vcc_lo, exec_lo, s8
	s_cbranch_vccz .LBB87_870
; %bb.867:
	s_cmp_eq_u32 s0, 29
	s_cbranch_scc0 .LBB87_869
; %bb.868:
	s_wait_loadcnt 0x0
	global_load_b64 v[0:1], v[4:5], off
	s_mov_b32 s1, 0
	s_mov_b32 s7, -1
	s_mov_b32 s8, 0
	s_wait_loadcnt 0x0
	v_clz_i32_u32_e32 v3, v1
	s_delay_alu instid0(VALU_DEP_1) | instskip(NEXT) | instid1(VALU_DEP_1)
	v_min_u32_e32 v3, 32, v3
	v_lshlrev_b64_e32 v[0:1], v3, v[0:1]
	s_delay_alu instid0(VALU_DEP_1) | instskip(NEXT) | instid1(VALU_DEP_1)
	v_min_u32_e32 v0, 1, v0
	v_dual_sub_nc_u32 v1, 32, v3 :: v_dual_bitop2_b32 v0, v1, v0 bitop3:0x54
	s_delay_alu instid0(VALU_DEP_1) | instskip(NEXT) | instid1(VALU_DEP_1)
	v_cvt_f32_u32_e32 v0, v0
	v_ldexp_f32 v0, v0, v1
	s_delay_alu instid0(VALU_DEP_1)
	v_cvt_f16_f32_e32 v6, v0
	s_branch .LBB87_871
.LBB87_869:
	s_mov_b32 s1, -1
                                        ; implicit-def: $vgpr6
.LBB87_870:
	s_mov_b32 s8, 0
.LBB87_871:
	s_delay_alu instid0(SALU_CYCLE_1)
	s_and_b32 vcc_lo, exec_lo, s8
	s_cbranch_vccz .LBB87_889
; %bb.872:
	s_cmp_lt_i32 s0, 27
	s_cbranch_scc1 .LBB87_875
; %bb.873:
	s_cmp_gt_i32 s0, 27
	s_cbranch_scc0 .LBB87_876
; %bb.874:
	global_load_b32 v0, v[4:5], off
	s_mov_b32 s7, 0
	s_wait_loadcnt 0x0
	v_cvt_f32_u32_e32 v0, v0
	s_delay_alu instid0(VALU_DEP_1)
	v_cvt_f16_f32_e32 v6, v0
	s_branch .LBB87_877
.LBB87_875:
	s_mov_b32 s7, -1
                                        ; implicit-def: $vgpr6
	s_branch .LBB87_880
.LBB87_876:
	s_mov_b32 s7, -1
                                        ; implicit-def: $vgpr6
.LBB87_877:
	s_delay_alu instid0(SALU_CYCLE_1)
	s_and_not1_b32 vcc_lo, exec_lo, s7
	s_cbranch_vccnz .LBB87_879
; %bb.878:
	global_load_u16 v0, v[4:5], off
	s_wait_loadcnt 0x0
	v_cvt_f16_u16_e32 v6, v0
.LBB87_879:
	s_mov_b32 s7, 0
.LBB87_880:
	s_delay_alu instid0(SALU_CYCLE_1)
	s_and_not1_b32 vcc_lo, exec_lo, s7
	s_cbranch_vccnz .LBB87_888
; %bb.881:
	global_load_u8 v0, v[4:5], off
	s_mov_b32 s7, 0
	s_mov_b32 s8, exec_lo
	s_wait_loadcnt 0x0
	v_cmpx_lt_i16_e32 0x7f, v0
	s_xor_b32 s8, exec_lo, s8
	s_cbranch_execz .LBB87_902
; %bb.882:
	s_mov_b32 s7, -1
	s_mov_b32 s9, exec_lo
	v_cmpx_eq_u16_e32 0x80, v0
; %bb.883:
	s_xor_b32 s7, exec_lo, -1
; %bb.884:
	s_or_b32 exec_lo, exec_lo, s9
	s_delay_alu instid0(SALU_CYCLE_1)
	s_and_b32 s7, s7, exec_lo
	s_or_saveexec_b32 s8, s8
	v_mov_b32_e32 v6, 0x7e00
	s_xor_b32 exec_lo, exec_lo, s8
	s_cbranch_execnz .LBB87_903
.LBB87_885:
	s_or_b32 exec_lo, exec_lo, s8
	s_and_saveexec_b32 s8, s7
	s_cbranch_execz .LBB87_887
.LBB87_886:
	v_and_b32_e32 v1, 0xffff, v0
	s_delay_alu instid0(VALU_DEP_1) | instskip(SKIP_1) | instid1(VALU_DEP_2)
	v_and_b32_e32 v3, 7, v1
	v_bfe_u32 v8, v1, 3, 4
	v_clz_i32_u32_e32 v6, v3
	s_delay_alu instid0(VALU_DEP_2) | instskip(NEXT) | instid1(VALU_DEP_2)
	v_cmp_eq_u32_e32 vcc_lo, 0, v8
	v_min_u32_e32 v6, 32, v6
	s_delay_alu instid0(VALU_DEP_1) | instskip(NEXT) | instid1(VALU_DEP_1)
	v_subrev_nc_u32_e32 v7, 28, v6
	v_dual_lshlrev_b32 v1, v7, v1 :: v_dual_sub_nc_u32 v6, 29, v6
	s_delay_alu instid0(VALU_DEP_1) | instskip(NEXT) | instid1(VALU_DEP_1)
	v_dual_lshlrev_b32 v0, 24, v0 :: v_dual_bitop2_b32 v1, 7, v1 bitop3:0x40
	v_dual_cndmask_b32 v6, v8, v6 :: v_dual_cndmask_b32 v1, v3, v1
	s_delay_alu instid0(VALU_DEP_2) | instskip(NEXT) | instid1(VALU_DEP_2)
	v_and_b32_e32 v0, 0x80000000, v0
	v_lshl_add_u32 v3, v6, 23, 0x3b800000
	s_delay_alu instid0(VALU_DEP_3) | instskip(NEXT) | instid1(VALU_DEP_1)
	v_lshlrev_b32_e32 v1, 20, v1
	v_or3_b32 v0, v0, v3, v1
	s_delay_alu instid0(VALU_DEP_1)
	v_cvt_f16_f32_e32 v6, v0
.LBB87_887:
	s_or_b32 exec_lo, exec_lo, s8
.LBB87_888:
	s_mov_b32 s7, -1
.LBB87_889:
	s_mov_b32 s8, 0
.LBB87_890:
	s_delay_alu instid0(SALU_CYCLE_1)
	s_and_b32 vcc_lo, exec_lo, s8
	s_cbranch_vccz .LBB87_923
; %bb.891:
	s_cmp_gt_i32 s0, 22
	s_cbranch_scc0 .LBB87_901
; %bb.892:
	s_cmp_lt_i32 s0, 24
	s_cbranch_scc1 .LBB87_904
; %bb.893:
	s_cmp_gt_i32 s0, 24
	s_cbranch_scc0 .LBB87_905
; %bb.894:
	global_load_u8 v0, v[4:5], off
	s_mov_b32 s7, exec_lo
	s_wait_loadcnt 0x0
	v_cmpx_lt_i16_e32 0x7f, v0
	s_xor_b32 s7, exec_lo, s7
	s_cbranch_execz .LBB87_917
; %bb.895:
	s_mov_b32 s6, -1
	s_mov_b32 s8, exec_lo
	v_cmpx_eq_u16_e32 0x80, v0
; %bb.896:
	s_xor_b32 s6, exec_lo, -1
; %bb.897:
	s_or_b32 exec_lo, exec_lo, s8
	s_delay_alu instid0(SALU_CYCLE_1)
	s_and_b32 s6, s6, exec_lo
	s_or_saveexec_b32 s7, s7
	v_mov_b32_e32 v6, 0x7e00
	s_xor_b32 exec_lo, exec_lo, s7
	s_cbranch_execnz .LBB87_918
.LBB87_898:
	s_or_b32 exec_lo, exec_lo, s7
	s_and_saveexec_b32 s7, s6
	s_cbranch_execz .LBB87_900
.LBB87_899:
	v_and_b32_e32 v1, 0xffff, v0
	s_delay_alu instid0(VALU_DEP_1) | instskip(SKIP_1) | instid1(VALU_DEP_2)
	v_and_b32_e32 v3, 3, v1
	v_bfe_u32 v8, v1, 2, 5
	v_clz_i32_u32_e32 v6, v3
	s_delay_alu instid0(VALU_DEP_2) | instskip(NEXT) | instid1(VALU_DEP_2)
	v_cmp_eq_u32_e32 vcc_lo, 0, v8
	v_min_u32_e32 v6, 32, v6
	s_delay_alu instid0(VALU_DEP_1) | instskip(NEXT) | instid1(VALU_DEP_1)
	v_subrev_nc_u32_e32 v7, 29, v6
	v_dual_lshlrev_b32 v1, v7, v1 :: v_dual_sub_nc_u32 v6, 30, v6
	s_delay_alu instid0(VALU_DEP_1) | instskip(NEXT) | instid1(VALU_DEP_1)
	v_dual_lshlrev_b32 v0, 24, v0 :: v_dual_bitop2_b32 v1, 3, v1 bitop3:0x40
	v_dual_cndmask_b32 v6, v8, v6 :: v_dual_cndmask_b32 v1, v3, v1
	s_delay_alu instid0(VALU_DEP_2) | instskip(NEXT) | instid1(VALU_DEP_2)
	v_and_b32_e32 v0, 0x80000000, v0
	v_lshl_add_u32 v3, v6, 23, 0x37800000
	s_delay_alu instid0(VALU_DEP_3) | instskip(NEXT) | instid1(VALU_DEP_1)
	v_lshlrev_b32_e32 v1, 21, v1
	v_or3_b32 v0, v0, v3, v1
	s_delay_alu instid0(VALU_DEP_1)
	v_cvt_f16_f32_e32 v6, v0
.LBB87_900:
	s_or_b32 exec_lo, exec_lo, s7
	s_mov_b32 s6, 0
	s_branch .LBB87_906
.LBB87_901:
	s_mov_b32 s6, -1
                                        ; implicit-def: $vgpr6
	s_branch .LBB87_912
.LBB87_902:
	s_or_saveexec_b32 s8, s8
	v_mov_b32_e32 v6, 0x7e00
	s_xor_b32 exec_lo, exec_lo, s8
	s_cbranch_execz .LBB87_885
.LBB87_903:
	v_cmp_ne_u16_e32 vcc_lo, 0, v0
	v_mov_b32_e32 v6, v0
	s_and_not1_b32 s7, s7, exec_lo
	s_and_b32 s9, vcc_lo, exec_lo
	s_delay_alu instid0(SALU_CYCLE_1)
	s_or_b32 s7, s7, s9
	s_or_b32 exec_lo, exec_lo, s8
	s_and_saveexec_b32 s8, s7
	s_cbranch_execnz .LBB87_886
	s_branch .LBB87_887
.LBB87_904:
	s_mov_b32 s6, -1
                                        ; implicit-def: $vgpr6
	s_branch .LBB87_909
.LBB87_905:
	s_mov_b32 s6, -1
                                        ; implicit-def: $vgpr6
.LBB87_906:
	s_delay_alu instid0(SALU_CYCLE_1)
	s_and_b32 vcc_lo, exec_lo, s6
	s_cbranch_vccz .LBB87_908
; %bb.907:
	global_load_u8 v0, v[4:5], off
	s_wait_loadcnt 0x0
	v_lshlrev_b32_e32 v0, 24, v0
	s_delay_alu instid0(VALU_DEP_1) | instskip(NEXT) | instid1(VALU_DEP_1)
	v_and_b32_e32 v1, 0x7f000000, v0
	v_clz_i32_u32_e32 v3, v1
	v_add_nc_u32_e32 v7, 0x1000000, v1
	v_cmp_ne_u32_e32 vcc_lo, 0, v1
	s_delay_alu instid0(VALU_DEP_3) | instskip(NEXT) | instid1(VALU_DEP_1)
	v_min_u32_e32 v3, 32, v3
	v_sub_nc_u32_e64 v3, v3, 4 clamp
	s_delay_alu instid0(VALU_DEP_1) | instskip(NEXT) | instid1(VALU_DEP_1)
	v_dual_lshlrev_b32 v6, v3, v1 :: v_dual_lshlrev_b32 v3, 23, v3
	v_lshrrev_b32_e32 v6, 4, v6
	s_delay_alu instid0(VALU_DEP_1) | instskip(SKIP_1) | instid1(VALU_DEP_2)
	v_sub_nc_u32_e32 v3, v6, v3
	v_ashrrev_i32_e32 v6, 8, v7
	v_add_nc_u32_e32 v3, 0x3c000000, v3
	s_delay_alu instid0(VALU_DEP_1) | instskip(NEXT) | instid1(VALU_DEP_1)
	v_and_or_b32 v3, 0x7f800000, v6, v3
	v_cndmask_b32_e32 v1, 0, v3, vcc_lo
	s_delay_alu instid0(VALU_DEP_1) | instskip(NEXT) | instid1(VALU_DEP_1)
	v_and_or_b32 v0, 0x80000000, v0, v1
	v_cvt_f16_f32_e32 v6, v0
.LBB87_908:
	s_mov_b32 s6, 0
.LBB87_909:
	s_delay_alu instid0(SALU_CYCLE_1)
	s_and_not1_b32 vcc_lo, exec_lo, s6
	s_cbranch_vccnz .LBB87_911
; %bb.910:
	global_load_u8 v0, v[4:5], off
	s_wait_loadcnt 0x0
	v_lshlrev_b32_e32 v1, 25, v0
	v_lshlrev_b16 v0, 8, v0
	s_delay_alu instid0(VALU_DEP_1) | instskip(SKIP_1) | instid1(VALU_DEP_2)
	v_and_or_b32 v6, 0x7f00, v0, 0.5
	v_bfe_i32 v0, v0, 0, 16
	v_dual_add_f32 v6, -0.5, v6 :: v_dual_lshrrev_b32 v3, 4, v1
	v_cmp_gt_u32_e32 vcc_lo, 0x8000000, v1
	s_delay_alu instid0(VALU_DEP_2) | instskip(NEXT) | instid1(VALU_DEP_1)
	v_or_b32_e32 v3, 0x70000000, v3
	v_mul_f32_e32 v3, 0x7800000, v3
	s_delay_alu instid0(VALU_DEP_1) | instskip(NEXT) | instid1(VALU_DEP_1)
	v_cndmask_b32_e32 v1, v3, v6, vcc_lo
	v_and_or_b32 v0, 0x80000000, v0, v1
	s_delay_alu instid0(VALU_DEP_1)
	v_cvt_f16_f32_e32 v6, v0
.LBB87_911:
	s_mov_b32 s6, 0
	s_mov_b32 s7, -1
.LBB87_912:
	s_and_not1_b32 vcc_lo, exec_lo, s6
	s_mov_b32 s6, 0
	s_cbranch_vccnz .LBB87_923
; %bb.913:
	s_cmp_gt_i32 s0, 14
	s_cbranch_scc0 .LBB87_916
; %bb.914:
	s_cmp_eq_u32 s0, 15
	s_cbranch_scc0 .LBB87_919
; %bb.915:
	global_load_u16 v0, v[4:5], off
	s_mov_b32 s1, 0
	s_mov_b32 s7, -1
	s_wait_loadcnt 0x0
	v_lshlrev_b32_e32 v0, 16, v0
	s_delay_alu instid0(VALU_DEP_1)
	v_cvt_f16_f32_e32 v6, v0
	s_branch .LBB87_921
.LBB87_916:
	s_mov_b32 s6, -1
	s_branch .LBB87_920
.LBB87_917:
	s_or_saveexec_b32 s7, s7
	v_mov_b32_e32 v6, 0x7e00
	s_xor_b32 exec_lo, exec_lo, s7
	s_cbranch_execz .LBB87_898
.LBB87_918:
	v_cmp_ne_u16_e32 vcc_lo, 0, v0
	v_mov_b32_e32 v6, v0
	s_and_not1_b32 s6, s6, exec_lo
	s_and_b32 s8, vcc_lo, exec_lo
	s_delay_alu instid0(SALU_CYCLE_1)
	s_or_b32 s6, s6, s8
	s_or_b32 exec_lo, exec_lo, s7
	s_and_saveexec_b32 s7, s6
	s_cbranch_execnz .LBB87_899
	s_branch .LBB87_900
.LBB87_919:
	s_mov_b32 s1, -1
.LBB87_920:
                                        ; implicit-def: $vgpr6
.LBB87_921:
	s_and_b32 vcc_lo, exec_lo, s6
	s_mov_b32 s6, 0
	s_cbranch_vccz .LBB87_923
; %bb.922:
	s_cmp_lg_u32 s0, 11
	s_mov_b32 s6, -1
	s_cselect_b32 s0, -1, 0
	s_and_not1_b32 s1, s1, exec_lo
	s_and_b32 s0, s0, exec_lo
	s_delay_alu instid0(SALU_CYCLE_1)
	s_or_b32 s1, s1, s0
.LBB87_923:
	s_mov_b32 s0, 0
.LBB87_924:
	s_and_b32 s24, s7, exec_lo
	s_and_not1_b32 s7, s26, exec_lo
	s_and_b32 s1, s1, exec_lo
	s_and_b32 s25, s0, exec_lo
	;; [unrolled: 1-line block ×3, first 2 shown]
	s_or_b32 s45, s7, s1
.LBB87_925:
	s_wait_xcnt 0x0
	s_or_b32 exec_lo, exec_lo, s36
	s_delay_alu instid0(SALU_CYCLE_1)
	s_and_not1_b32 s6, s26, exec_lo
	s_and_b32 s7, s45, exec_lo
	s_and_b32 s24, s24, exec_lo
	;; [unrolled: 1-line block ×4, first 2 shown]
	s_or_b32 s26, s6, s7
.LBB87_926:
	s_or_b32 exec_lo, exec_lo, s44
	s_delay_alu instid0(SALU_CYCLE_1)
	s_and_not1_b32 s6, s42, exec_lo
	s_and_b32 s7, s27, exec_lo
	s_and_b32 s25, s24, exec_lo
	s_or_b32 s42, s6, s7
	s_and_not1_b32 s6, s41, exec_lo
	s_and_b32 s7, s26, exec_lo
	s_and_b32 s24, s1, exec_lo
	;; [unrolled: 1-line block ×3, first 2 shown]
	s_or_b32 s41, s6, s7
.LBB87_927:
	s_or_b32 exec_lo, exec_lo, s43
	s_delay_alu instid0(SALU_CYCLE_1)
	s_and_not1_b32 s0, s18, exec_lo
	s_and_b32 s6, s42, exec_lo
	s_and_b32 s7, s41, exec_lo
	s_or_b32 s18, s0, s6
	s_and_not1_b32 s6, s39, exec_lo
	s_and_b32 s0, s25, exec_lo
	s_and_b32 s25, s24, exec_lo
	;; [unrolled: 1-line block ×3, first 2 shown]
	s_or_b32 s39, s6, s7
	s_or_b32 exec_lo, exec_lo, s40
	s_mov_b32 s1, 0
	s_and_saveexec_b32 s6, s39
	s_cbranch_execz .LBB87_276
.LBB87_928:
	s_mov_b32 s1, exec_lo
	s_and_not1_b32 s17, s17, exec_lo
	s_trap 2
	s_or_b32 exec_lo, exec_lo, s6
	s_and_saveexec_b32 s6, s17
	s_delay_alu instid0(SALU_CYCLE_1)
	s_xor_b32 s6, exec_lo, s6
	s_cbranch_execnz .LBB87_277
.LBB87_929:
	s_or_b32 exec_lo, exec_lo, s6
	s_and_saveexec_b32 s6, s25
	s_cbranch_execz .LBB87_975
.LBB87_930:
	s_sext_i32_i16 s7, s13
	s_delay_alu instid0(SALU_CYCLE_1)
	s_cmp_lt_i32 s7, 5
	s_cbranch_scc1 .LBB87_935
; %bb.931:
	s_cmp_lt_i32 s7, 8
	s_cbranch_scc1 .LBB87_936
; %bb.932:
	;; [unrolled: 3-line block ×3, first 2 shown]
	s_cmp_gt_i32 s7, 9
	s_cbranch_scc0 .LBB87_938
; %bb.934:
	s_wait_loadcnt 0x0
	global_load_b64 v[0:1], v[4:5], off
	s_mov_b32 s7, 0
	s_wait_loadcnt 0x0
	v_and_or_b32 v0, 0x1ff, v1, v0
	v_lshrrev_b32_e32 v3, 8, v1
	v_bfe_u32 v6, v1, 20, 11
	v_lshrrev_b32_e32 v1, 16, v1
	s_delay_alu instid0(VALU_DEP_4) | instskip(NEXT) | instid1(VALU_DEP_3)
	v_cmp_ne_u32_e32 vcc_lo, 0, v0
	v_sub_nc_u32_e32 v7, 0x3f1, v6
	v_cndmask_b32_e64 v0, 0, 1, vcc_lo
	s_delay_alu instid0(VALU_DEP_1) | instskip(NEXT) | instid1(VALU_DEP_3)
	v_and_or_b32 v0, 0xffe, v3, v0
	v_med3_i32 v3, v7, 0, 13
	s_delay_alu instid0(VALU_DEP_2) | instskip(NEXT) | instid1(VALU_DEP_1)
	v_or_b32_e32 v7, 0x1000, v0
	v_lshrrev_b32_e32 v8, v3, v7
	s_delay_alu instid0(VALU_DEP_1) | instskip(NEXT) | instid1(VALU_DEP_1)
	v_lshlrev_b32_e32 v3, v3, v8
	v_cmp_ne_u32_e32 vcc_lo, v3, v7
	v_cndmask_b32_e64 v3, 0, 1, vcc_lo
	s_delay_alu instid0(VALU_DEP_1) | instskip(SKIP_1) | instid1(VALU_DEP_1)
	v_or_b32_e32 v3, v8, v3
	v_add_nc_u32_e32 v6, 0xfffffc10, v6
	v_lshl_or_b32 v7, v6, 12, v0
	v_cmp_gt_i32_e32 vcc_lo, 1, v6
	s_delay_alu instid0(VALU_DEP_2) | instskip(NEXT) | instid1(VALU_DEP_1)
	v_cndmask_b32_e32 v3, v7, v3, vcc_lo
	v_dual_lshrrev_b32 v3, 2, v3 :: v_dual_bitop2_b32 v7, 7, v3 bitop3:0x40
	s_delay_alu instid0(VALU_DEP_1) | instskip(SKIP_4) | instid1(VALU_DEP_2)
	v_cmp_lt_i32_e32 vcc_lo, 5, v7
	v_cndmask_b32_e64 v8, 0, 1, vcc_lo
	v_cmp_eq_u32_e32 vcc_lo, 3, v7
	v_cndmask_b32_e64 v7, 0, 1, vcc_lo
	v_cmp_ne_u32_e32 vcc_lo, 0, v0
	v_or_b32_e32 v7, v7, v8
	s_delay_alu instid0(VALU_DEP_1) | instskip(NEXT) | instid1(VALU_DEP_1)
	v_dual_mov_b32 v8, 0x7e00 :: v_dual_add_nc_u32 v3, v3, v7
	v_cndmask_b32_e32 v0, 0x7c00, v8, vcc_lo
	v_cmp_gt_i32_e32 vcc_lo, 31, v6
	s_delay_alu instid0(VALU_DEP_3) | instskip(SKIP_1) | instid1(VALU_DEP_2)
	v_cndmask_b32_e32 v3, 0x7c00, v3, vcc_lo
	v_cmp_eq_u32_e32 vcc_lo, 0x40f, v6
	v_cndmask_b32_e32 v0, v3, v0, vcc_lo
	s_delay_alu instid0(VALU_DEP_1)
	v_and_or_b32 v6, 0x8000, v1, v0
	s_branch .LBB87_939
.LBB87_935:
                                        ; implicit-def: $vgpr6
	s_branch .LBB87_956
.LBB87_936:
                                        ; implicit-def: $vgpr6
	s_branch .LBB87_945
.LBB87_937:
	s_mov_b32 s7, -1
                                        ; implicit-def: $vgpr6
	s_branch .LBB87_942
.LBB87_938:
	s_mov_b32 s7, -1
                                        ; implicit-def: $vgpr6
.LBB87_939:
	s_delay_alu instid0(SALU_CYCLE_1)
	s_and_not1_b32 vcc_lo, exec_lo, s7
	s_cbranch_vccnz .LBB87_941
; %bb.940:
	global_load_b32 v0, v[4:5], off
	s_wait_loadcnt 0x0
	v_cvt_f16_f32_e32 v6, v0
.LBB87_941:
	s_mov_b32 s7, 0
.LBB87_942:
	s_delay_alu instid0(SALU_CYCLE_1)
	s_and_not1_b32 vcc_lo, exec_lo, s7
	s_cbranch_vccnz .LBB87_944
; %bb.943:
	global_load_b32 v6, v[4:5], off
.LBB87_944:
	s_cbranch_execnz .LBB87_955
.LBB87_945:
	s_sext_i32_i16 s7, s13
	s_delay_alu instid0(SALU_CYCLE_1)
	s_cmp_lt_i32 s7, 6
	s_cbranch_scc1 .LBB87_948
; %bb.946:
	s_cmp_gt_i32 s7, 6
	s_cbranch_scc0 .LBB87_949
; %bb.947:
	s_wait_loadcnt 0x0
	global_load_b64 v[0:1], v[4:5], off
	s_mov_b32 s7, 0
	s_wait_loadcnt 0x0
	v_and_or_b32 v0, 0x1ff, v1, v0
	v_lshrrev_b32_e32 v3, 8, v1
	v_bfe_u32 v6, v1, 20, 11
	v_lshrrev_b32_e32 v1, 16, v1
	s_delay_alu instid0(VALU_DEP_4) | instskip(NEXT) | instid1(VALU_DEP_3)
	v_cmp_ne_u32_e32 vcc_lo, 0, v0
	v_sub_nc_u32_e32 v7, 0x3f1, v6
	v_cndmask_b32_e64 v0, 0, 1, vcc_lo
	s_delay_alu instid0(VALU_DEP_1) | instskip(NEXT) | instid1(VALU_DEP_3)
	v_and_or_b32 v0, 0xffe, v3, v0
	v_med3_i32 v3, v7, 0, 13
	s_delay_alu instid0(VALU_DEP_2) | instskip(NEXT) | instid1(VALU_DEP_1)
	v_or_b32_e32 v7, 0x1000, v0
	v_lshrrev_b32_e32 v8, v3, v7
	s_delay_alu instid0(VALU_DEP_1) | instskip(NEXT) | instid1(VALU_DEP_1)
	v_lshlrev_b32_e32 v3, v3, v8
	v_cmp_ne_u32_e32 vcc_lo, v3, v7
	v_cndmask_b32_e64 v3, 0, 1, vcc_lo
	s_delay_alu instid0(VALU_DEP_1) | instskip(SKIP_1) | instid1(VALU_DEP_1)
	v_or_b32_e32 v3, v8, v3
	v_add_nc_u32_e32 v6, 0xfffffc10, v6
	v_lshl_or_b32 v7, v6, 12, v0
	v_cmp_gt_i32_e32 vcc_lo, 1, v6
	s_delay_alu instid0(VALU_DEP_2) | instskip(NEXT) | instid1(VALU_DEP_1)
	v_cndmask_b32_e32 v3, v7, v3, vcc_lo
	v_dual_lshrrev_b32 v3, 2, v3 :: v_dual_bitop2_b32 v7, 7, v3 bitop3:0x40
	s_delay_alu instid0(VALU_DEP_1) | instskip(SKIP_4) | instid1(VALU_DEP_2)
	v_cmp_lt_i32_e32 vcc_lo, 5, v7
	v_cndmask_b32_e64 v8, 0, 1, vcc_lo
	v_cmp_eq_u32_e32 vcc_lo, 3, v7
	v_cndmask_b32_e64 v7, 0, 1, vcc_lo
	v_cmp_ne_u32_e32 vcc_lo, 0, v0
	v_or_b32_e32 v7, v7, v8
	s_delay_alu instid0(VALU_DEP_1) | instskip(NEXT) | instid1(VALU_DEP_1)
	v_dual_mov_b32 v8, 0x7e00 :: v_dual_add_nc_u32 v3, v3, v7
	v_cndmask_b32_e32 v0, 0x7c00, v8, vcc_lo
	v_cmp_gt_i32_e32 vcc_lo, 31, v6
	s_delay_alu instid0(VALU_DEP_3) | instskip(SKIP_1) | instid1(VALU_DEP_2)
	v_cndmask_b32_e32 v3, 0x7c00, v3, vcc_lo
	v_cmp_eq_u32_e32 vcc_lo, 0x40f, v6
	v_cndmask_b32_e32 v0, v3, v0, vcc_lo
	s_delay_alu instid0(VALU_DEP_1)
	v_and_or_b32 v6, 0x8000, v1, v0
	s_branch .LBB87_950
.LBB87_948:
	s_mov_b32 s7, -1
                                        ; implicit-def: $vgpr6
	s_branch .LBB87_953
.LBB87_949:
	s_mov_b32 s7, -1
                                        ; implicit-def: $vgpr6
.LBB87_950:
	s_delay_alu instid0(SALU_CYCLE_1)
	s_and_not1_b32 vcc_lo, exec_lo, s7
	s_cbranch_vccnz .LBB87_952
; %bb.951:
	global_load_b32 v0, v[4:5], off
	s_wait_loadcnt 0x0
	v_cvt_f16_f32_e32 v6, v0
.LBB87_952:
	s_mov_b32 s7, 0
.LBB87_953:
	s_delay_alu instid0(SALU_CYCLE_1)
	s_and_not1_b32 vcc_lo, exec_lo, s7
	s_cbranch_vccnz .LBB87_955
; %bb.954:
	s_wait_loadcnt 0x0
	global_load_u16 v6, v[4:5], off
.LBB87_955:
	s_cbranch_execnz .LBB87_974
.LBB87_956:
	s_sext_i32_i16 s7, s13
	s_delay_alu instid0(SALU_CYCLE_1)
	s_cmp_lt_i32 s7, 2
	s_cbranch_scc1 .LBB87_960
; %bb.957:
	s_cmp_lt_i32 s7, 3
	s_cbranch_scc1 .LBB87_961
; %bb.958:
	s_cmp_gt_i32 s7, 3
	s_cbranch_scc0 .LBB87_962
; %bb.959:
	s_wait_loadcnt 0x0
	global_load_b64 v[0:1], v[4:5], off
	s_mov_b32 s7, 0
	s_wait_loadcnt 0x0
	v_xor_b32_e32 v3, v0, v1
	v_cls_i32_e32 v6, v1
	s_delay_alu instid0(VALU_DEP_2) | instskip(NEXT) | instid1(VALU_DEP_1)
	v_ashrrev_i32_e32 v3, 31, v3
	v_add_nc_u32_e32 v3, 32, v3
	s_delay_alu instid0(VALU_DEP_1) | instskip(NEXT) | instid1(VALU_DEP_1)
	v_add_min_u32_e64 v3, v6, -1, v3
	v_lshlrev_b64_e32 v[0:1], v3, v[0:1]
	s_delay_alu instid0(VALU_DEP_1) | instskip(NEXT) | instid1(VALU_DEP_1)
	v_min_u32_e32 v0, 1, v0
	v_dual_sub_nc_u32 v1, 32, v3 :: v_dual_bitop2_b32 v0, v1, v0 bitop3:0x54
	s_delay_alu instid0(VALU_DEP_1) | instskip(NEXT) | instid1(VALU_DEP_1)
	v_cvt_f32_i32_e32 v0, v0
	v_ldexp_f32 v0, v0, v1
	s_delay_alu instid0(VALU_DEP_1)
	v_cvt_f16_f32_e32 v6, v0
	s_branch .LBB87_963
.LBB87_960:
                                        ; implicit-def: $vgpr6
	s_branch .LBB87_969
.LBB87_961:
	s_mov_b32 s7, -1
                                        ; implicit-def: $vgpr6
	s_branch .LBB87_966
.LBB87_962:
	s_mov_b32 s7, -1
                                        ; implicit-def: $vgpr6
.LBB87_963:
	s_delay_alu instid0(SALU_CYCLE_1)
	s_and_not1_b32 vcc_lo, exec_lo, s7
	s_cbranch_vccnz .LBB87_965
; %bb.964:
	global_load_b32 v0, v[4:5], off
	s_wait_loadcnt 0x0
	v_cvt_f32_i32_e32 v0, v0
	s_delay_alu instid0(VALU_DEP_1)
	v_cvt_f16_f32_e32 v6, v0
.LBB87_965:
	s_mov_b32 s7, 0
.LBB87_966:
	s_delay_alu instid0(SALU_CYCLE_1)
	s_and_not1_b32 vcc_lo, exec_lo, s7
	s_cbranch_vccnz .LBB87_968
; %bb.967:
	global_load_u16 v0, v[4:5], off
	s_wait_loadcnt 0x0
	v_cvt_f16_i16_e32 v6, v0
.LBB87_968:
	s_cbranch_execnz .LBB87_974
.LBB87_969:
	s_sext_i32_i16 s7, s13
	s_delay_alu instid0(SALU_CYCLE_1)
	s_cmp_gt_i32 s7, 0
	s_mov_b32 s7, 0
	s_cbranch_scc0 .LBB87_971
; %bb.970:
	global_load_i8 v0, v[4:5], off
	s_wait_loadcnt 0x0
	v_cvt_f16_i16_e32 v6, v0
	s_branch .LBB87_972
.LBB87_971:
	s_mov_b32 s7, -1
                                        ; implicit-def: $vgpr6
.LBB87_972:
	s_delay_alu instid0(SALU_CYCLE_1)
	s_and_not1_b32 vcc_lo, exec_lo, s7
	s_cbranch_vccnz .LBB87_974
; %bb.973:
	global_load_u8 v0, v[4:5], off
	s_wait_loadcnt 0x0
	v_cvt_f16_u16_e32 v6, v0
.LBB87_974:
	s_or_b32 s0, s0, exec_lo
.LBB87_975:
	s_wait_xcnt 0x0
	s_or_b32 exec_lo, exec_lo, s6
	s_mov_b32 s10, 0
	s_mov_b32 s9, 0
                                        ; implicit-def: $sgpr6
                                        ; implicit-def: $sgpr7
                                        ; implicit-def: $vgpr0_vgpr1
	s_and_saveexec_b32 s8, s0
	s_cbranch_execz .LBB87_983
; %bb.976:
	v_mov_b32_e32 v3, 0
	s_wait_loadcnt 0x0
	v_cmp_eq_f16_e64 s6, 0xfc00, v6
	s_and_b32 s7, s34, 0xff
	s_delay_alu instid0(SALU_CYCLE_1)
	s_cmp_lt_i32 s7, 11
	v_add_nc_u64_e32 v[0:1], s[4:5], v[2:3]
	s_cbranch_scc1 .LBB87_986
; %bb.977:
	s_and_b32 s4, 0xffff, s7
	s_mov_b32 s5, -1
	s_cmp_gt_i32 s4, 25
	s_mov_b32 s0, s18
	s_cbranch_scc0 .LBB87_1014
; %bb.978:
	s_cmp_gt_i32 s4, 28
	s_mov_b32 s0, s18
	s_cbranch_scc0 .LBB87_998
; %bb.979:
	;; [unrolled: 4-line block ×4, first 2 shown]
	s_cmp_eq_u32 s4, 46
	s_mov_b32 s0, -1
	s_cbranch_scc0 .LBB87_987
; %bb.982:
	v_cndmask_b32_e64 v2, 0, 1.0, s6
	s_mov_b32 s0, 0
	s_mov_b32 s5, 0
	s_delay_alu instid0(VALU_DEP_1) | instskip(NEXT) | instid1(VALU_DEP_1)
	v_bfe_u32 v3, v2, 16, 1
	v_add3_u32 v2, v2, v3, 0x7fff
	s_delay_alu instid0(VALU_DEP_1)
	v_lshrrev_b32_e32 v2, 16, v2
	global_store_b32 v[0:1], v2, off
	s_branch .LBB87_988
.LBB87_983:
	s_or_b32 exec_lo, exec_lo, s8
	s_and_saveexec_b32 s0, s18
	s_cbranch_execnz .LBB87_1056
.LBB87_984:
	s_or_b32 exec_lo, exec_lo, s0
	s_and_saveexec_b32 s0, s10
	s_delay_alu instid0(SALU_CYCLE_1)
	s_xor_b32 s0, exec_lo, s0
	s_cbranch_execz .LBB87_1057
.LBB87_985:
	v_cndmask_b32_e64 v2, 0, 1, s6
	s_wait_loadcnt 0x0
	global_store_b8 v[0:1], v2, off
	s_wait_xcnt 0x0
	s_or_b32 exec_lo, exec_lo, s0
	s_and_saveexec_b32 s0, s9
	s_delay_alu instid0(SALU_CYCLE_1)
	s_xor_b32 s0, exec_lo, s0
	s_cbranch_execz .LBB87_1095
	s_branch .LBB87_1058
.LBB87_986:
	s_mov_b32 s5, -1
	s_mov_b32 s0, s18
	s_branch .LBB87_1055
.LBB87_987:
	s_mov_b32 s5, 0
.LBB87_988:
	s_delay_alu instid0(SALU_CYCLE_1)
	s_and_b32 vcc_lo, exec_lo, s5
	s_cbranch_vccz .LBB87_993
; %bb.989:
	s_cmp_eq_u32 s4, 44
	s_mov_b32 s0, -1
	s_cbranch_scc0 .LBB87_993
; %bb.990:
	v_cndmask_b32_e64 v4, 0, 1.0, s6
	s_mov_b32 s5, exec_lo
	s_wait_xcnt 0x0
	s_delay_alu instid0(VALU_DEP_1) | instskip(NEXT) | instid1(VALU_DEP_1)
	v_dual_mov_b32 v3, 0xff :: v_dual_lshrrev_b32 v2, 23, v4
	v_cmpx_ne_u32_e32 0xff, v2
; %bb.991:
	v_and_b32_e32 v3, 0x400000, v4
	v_and_or_b32 v4, 0x3fffff, v4, v2
	s_delay_alu instid0(VALU_DEP_2) | instskip(NEXT) | instid1(VALU_DEP_2)
	v_cmp_ne_u32_e32 vcc_lo, 0, v3
	v_cmp_ne_u32_e64 s0, 0, v4
	s_and_b32 s0, vcc_lo, s0
	s_delay_alu instid0(SALU_CYCLE_1) | instskip(NEXT) | instid1(VALU_DEP_1)
	v_cndmask_b32_e64 v3, 0, 1, s0
	v_add_nc_u32_e32 v3, v2, v3
; %bb.992:
	s_or_b32 exec_lo, exec_lo, s5
	s_mov_b32 s0, 0
	global_store_b8 v[0:1], v3, off
.LBB87_993:
	s_mov_b32 s5, 0
.LBB87_994:
	s_delay_alu instid0(SALU_CYCLE_1)
	s_and_b32 vcc_lo, exec_lo, s5
	s_cbranch_vccz .LBB87_997
; %bb.995:
	s_cmp_eq_u32 s4, 29
	s_mov_b32 s0, -1
	s_cbranch_scc0 .LBB87_997
; %bb.996:
	s_mov_b32 s0, 0
	s_wait_xcnt 0x0
	v_cndmask_b32_e64 v2, 0, 1, s6
	v_mov_b32_e32 v3, s0
	s_mov_b32 s5, 0
	global_store_b64 v[0:1], v[2:3], off
	s_branch .LBB87_998
.LBB87_997:
	s_mov_b32 s5, 0
.LBB87_998:
	s_delay_alu instid0(SALU_CYCLE_1)
	s_and_b32 vcc_lo, exec_lo, s5
	s_cbranch_vccz .LBB87_1013
; %bb.999:
	s_cmp_lt_i32 s4, 27
	s_mov_b32 s5, -1
	s_cbranch_scc1 .LBB87_1005
; %bb.1000:
	s_cmp_gt_i32 s4, 27
	s_cbranch_scc0 .LBB87_1002
; %bb.1001:
	s_wait_xcnt 0x0
	v_cndmask_b32_e64 v2, 0, 1, s6
	s_mov_b32 s5, 0
	global_store_b32 v[0:1], v2, off
.LBB87_1002:
	s_and_not1_b32 vcc_lo, exec_lo, s5
	s_cbranch_vccnz .LBB87_1004
; %bb.1003:
	s_wait_xcnt 0x0
	v_cndmask_b32_e64 v2, 0, 1, s6
	global_store_b16 v[0:1], v2, off
.LBB87_1004:
	s_mov_b32 s5, 0
.LBB87_1005:
	s_delay_alu instid0(SALU_CYCLE_1)
	s_and_not1_b32 vcc_lo, exec_lo, s5
	s_cbranch_vccnz .LBB87_1013
; %bb.1006:
	s_wait_xcnt 0x0
	v_cndmask_b32_e64 v3, 0, 1.0, s6
	v_mov_b32_e32 v4, 0x80
	s_mov_b32 s5, exec_lo
	s_delay_alu instid0(VALU_DEP_2)
	v_cmpx_gt_u32_e32 0x43800000, v3
	s_cbranch_execz .LBB87_1012
; %bb.1007:
	s_mov_b32 s10, exec_lo
                                        ; implicit-def: $vgpr2
	v_cmpx_lt_u32_e32 0x3bffffff, v3
	s_xor_b32 s10, exec_lo, s10
	s_cbranch_execz .LBB87_1170
; %bb.1008:
	v_bfe_u32 v2, v3, 20, 1
	s_mov_b32 s9, exec_lo
	s_delay_alu instid0(VALU_DEP_1) | instskip(NEXT) | instid1(VALU_DEP_1)
	v_add3_u32 v2, v3, v2, 0x487ffff
                                        ; implicit-def: $vgpr3
	v_lshrrev_b32_e32 v2, 20, v2
	s_and_not1_saveexec_b32 s10, s10
	s_cbranch_execnz .LBB87_1171
.LBB87_1009:
	s_or_b32 exec_lo, exec_lo, s10
	v_mov_b32_e32 v4, 0
	s_and_saveexec_b32 s10, s9
.LBB87_1010:
	v_mov_b32_e32 v4, v2
.LBB87_1011:
	s_or_b32 exec_lo, exec_lo, s10
.LBB87_1012:
	s_delay_alu instid0(SALU_CYCLE_1)
	s_or_b32 exec_lo, exec_lo, s5
	global_store_b8 v[0:1], v4, off
.LBB87_1013:
	s_mov_b32 s5, 0
.LBB87_1014:
	s_delay_alu instid0(SALU_CYCLE_1)
	s_and_b32 vcc_lo, exec_lo, s5
	s_mov_b32 s5, 0
	s_cbranch_vccz .LBB87_1054
; %bb.1015:
	s_cmp_gt_i32 s4, 22
	s_mov_b32 s9, -1
	s_cbranch_scc0 .LBB87_1047
; %bb.1016:
	s_cmp_lt_i32 s4, 24
	s_cbranch_scc1 .LBB87_1036
; %bb.1017:
	s_cmp_gt_i32 s4, 24
	s_cbranch_scc0 .LBB87_1025
; %bb.1018:
	s_wait_xcnt 0x0
	v_cndmask_b32_e64 v3, 0, 1.0, s6
	v_mov_b32_e32 v4, 0x80
	s_mov_b32 s9, exec_lo
	s_delay_alu instid0(VALU_DEP_2)
	v_cmpx_gt_u32_e32 0x47800000, v3
	s_cbranch_execz .LBB87_1024
; %bb.1019:
	s_mov_b32 s10, 0
	s_mov_b32 s11, exec_lo
                                        ; implicit-def: $vgpr2
	v_cmpx_lt_u32_e32 0x37ffffff, v3
	s_xor_b32 s11, exec_lo, s11
	s_cbranch_execz .LBB87_1296
; %bb.1020:
	v_bfe_u32 v2, v3, 21, 1
	s_mov_b32 s10, exec_lo
	s_delay_alu instid0(VALU_DEP_1) | instskip(NEXT) | instid1(VALU_DEP_1)
	v_add3_u32 v2, v3, v2, 0x88fffff
                                        ; implicit-def: $vgpr3
	v_lshrrev_b32_e32 v2, 21, v2
	s_and_not1_saveexec_b32 s11, s11
	s_cbranch_execnz .LBB87_1297
.LBB87_1021:
	s_or_b32 exec_lo, exec_lo, s11
	v_mov_b32_e32 v4, 0
	s_and_saveexec_b32 s11, s10
.LBB87_1022:
	v_mov_b32_e32 v4, v2
.LBB87_1023:
	s_or_b32 exec_lo, exec_lo, s11
.LBB87_1024:
	s_delay_alu instid0(SALU_CYCLE_1)
	s_or_b32 exec_lo, exec_lo, s9
	s_mov_b32 s9, 0
	global_store_b8 v[0:1], v4, off
.LBB87_1025:
	s_and_b32 vcc_lo, exec_lo, s9
	s_cbranch_vccz .LBB87_1035
; %bb.1026:
	s_wait_xcnt 0x0
	v_cndmask_b32_e64 v3, 0, 1.0, s6
	s_mov_b32 s9, exec_lo
                                        ; implicit-def: $vgpr2
	s_delay_alu instid0(VALU_DEP_1)
	v_cmpx_gt_u32_e32 0x43f00000, v3
	s_xor_b32 s9, exec_lo, s9
	s_cbranch_execz .LBB87_1032
; %bb.1027:
	s_mov_b32 s10, exec_lo
                                        ; implicit-def: $vgpr2
	v_cmpx_lt_u32_e32 0x3c7fffff, v3
	s_xor_b32 s10, exec_lo, s10
; %bb.1028:
	v_bfe_u32 v2, v3, 20, 1
	s_delay_alu instid0(VALU_DEP_1) | instskip(NEXT) | instid1(VALU_DEP_1)
	v_add3_u32 v2, v3, v2, 0x407ffff
	v_and_b32_e32 v3, 0xff00000, v2
	v_lshrrev_b32_e32 v2, 20, v2
	s_delay_alu instid0(VALU_DEP_2) | instskip(NEXT) | instid1(VALU_DEP_2)
	v_cmp_ne_u32_e32 vcc_lo, 0x7f00000, v3
                                        ; implicit-def: $vgpr3
	v_cndmask_b32_e32 v2, 0x7e, v2, vcc_lo
; %bb.1029:
	s_and_not1_saveexec_b32 s10, s10
; %bb.1030:
	v_add_f32_e32 v2, 0x46800000, v3
; %bb.1031:
	s_or_b32 exec_lo, exec_lo, s10
                                        ; implicit-def: $vgpr3
.LBB87_1032:
	s_and_not1_saveexec_b32 s9, s9
; %bb.1033:
	v_mov_b32_e32 v2, 0x7f
	v_cmp_lt_u32_e32 vcc_lo, 0x7f800000, v3
	s_delay_alu instid0(VALU_DEP_2)
	v_cndmask_b32_e32 v2, 0x7e, v2, vcc_lo
; %bb.1034:
	s_or_b32 exec_lo, exec_lo, s9
	global_store_b8 v[0:1], v2, off
.LBB87_1035:
	s_mov_b32 s9, 0
.LBB87_1036:
	s_delay_alu instid0(SALU_CYCLE_1)
	s_and_not1_b32 vcc_lo, exec_lo, s9
	s_cbranch_vccnz .LBB87_1046
; %bb.1037:
	s_wait_xcnt 0x0
	v_cndmask_b32_e64 v3, 0, 1.0, s6
	s_mov_b32 s9, exec_lo
                                        ; implicit-def: $vgpr2
	s_delay_alu instid0(VALU_DEP_1)
	v_cmpx_gt_u32_e32 0x47800000, v3
	s_xor_b32 s9, exec_lo, s9
	s_cbranch_execz .LBB87_1043
; %bb.1038:
	s_mov_b32 s10, exec_lo
                                        ; implicit-def: $vgpr2
	v_cmpx_lt_u32_e32 0x387fffff, v3
	s_xor_b32 s10, exec_lo, s10
; %bb.1039:
	v_bfe_u32 v2, v3, 21, 1
	s_delay_alu instid0(VALU_DEP_1) | instskip(NEXT) | instid1(VALU_DEP_1)
	v_add3_u32 v2, v3, v2, 0x80fffff
                                        ; implicit-def: $vgpr3
	v_lshrrev_b32_e32 v2, 21, v2
; %bb.1040:
	s_and_not1_saveexec_b32 s10, s10
; %bb.1041:
	v_add_f32_e32 v2, 0x43000000, v3
; %bb.1042:
	s_or_b32 exec_lo, exec_lo, s10
                                        ; implicit-def: $vgpr3
.LBB87_1043:
	s_and_not1_saveexec_b32 s9, s9
; %bb.1044:
	v_mov_b32_e32 v2, 0x7f
	v_cmp_lt_u32_e32 vcc_lo, 0x7f800000, v3
	s_delay_alu instid0(VALU_DEP_2)
	v_cndmask_b32_e32 v2, 0x7c, v2, vcc_lo
; %bb.1045:
	s_or_b32 exec_lo, exec_lo, s9
	global_store_b8 v[0:1], v2, off
.LBB87_1046:
	s_mov_b32 s9, 0
.LBB87_1047:
	s_delay_alu instid0(SALU_CYCLE_1)
	s_and_not1_b32 vcc_lo, exec_lo, s9
	s_mov_b32 s10, 0
	s_cbranch_vccnz .LBB87_1055
; %bb.1048:
	s_cmp_gt_i32 s4, 14
	s_mov_b32 s9, -1
	s_cbranch_scc0 .LBB87_1052
; %bb.1049:
	s_cmp_eq_u32 s4, 15
	s_mov_b32 s0, -1
	s_cbranch_scc0 .LBB87_1051
; %bb.1050:
	s_wait_xcnt 0x0
	v_cndmask_b32_e64 v2, 0, 1.0, s6
	s_mov_b32 s0, 0
	s_delay_alu instid0(VALU_DEP_1) | instskip(NEXT) | instid1(VALU_DEP_1)
	v_bfe_u32 v3, v2, 16, 1
	v_add3_u32 v2, v2, v3, 0x7fff
	global_store_d16_hi_b16 v[0:1], v2, off
.LBB87_1051:
	s_mov_b32 s9, 0
.LBB87_1052:
	s_delay_alu instid0(SALU_CYCLE_1)
	s_and_b32 vcc_lo, exec_lo, s9
	s_cbranch_vccz .LBB87_1055
; %bb.1053:
	s_cmp_lg_u32 s4, 11
	s_mov_b32 s10, -1
	s_cselect_b32 s4, -1, 0
	s_and_not1_b32 s0, s0, exec_lo
	s_and_b32 s4, s4, exec_lo
	s_delay_alu instid0(SALU_CYCLE_1)
	s_or_b32 s0, s0, s4
	s_branch .LBB87_1055
.LBB87_1054:
	s_mov_b32 s10, 0
.LBB87_1055:
	s_and_not1_b32 s4, s18, exec_lo
	s_and_b32 s0, s0, exec_lo
	s_and_b32 s9, s5, exec_lo
	s_and_b32 s10, s10, exec_lo
	s_or_b32 s18, s4, s0
	s_wait_xcnt 0x0
	s_or_b32 exec_lo, exec_lo, s8
	s_and_saveexec_b32 s0, s18
	s_cbranch_execz .LBB87_984
.LBB87_1056:
	s_or_b32 s1, s1, exec_lo
	s_and_not1_b32 s10, s10, exec_lo
	s_trap 2
	s_or_b32 exec_lo, exec_lo, s0
	s_and_saveexec_b32 s0, s10
	s_delay_alu instid0(SALU_CYCLE_1)
	s_xor_b32 s0, exec_lo, s0
	s_cbranch_execnz .LBB87_985
.LBB87_1057:
	s_or_b32 exec_lo, exec_lo, s0
	s_and_saveexec_b32 s0, s9
	s_delay_alu instid0(SALU_CYCLE_1)
	s_xor_b32 s0, exec_lo, s0
	s_cbranch_execz .LBB87_1095
.LBB87_1058:
	s_sext_i32_i16 s5, s7
	s_mov_b32 s4, -1
	s_cmp_lt_i32 s5, 5
	s_cbranch_scc1 .LBB87_1079
; %bb.1059:
	s_cmp_lt_i32 s5, 8
	s_cbranch_scc1 .LBB87_1069
; %bb.1060:
	;; [unrolled: 3-line block ×3, first 2 shown]
	s_cmp_gt_i32 s5, 9
	s_cbranch_scc0 .LBB87_1063
; %bb.1062:
	v_cndmask_b32_e64 v2, 0, 1, s6
	v_mov_b32_e32 v4, 0
	s_mov_b32 s4, 0
	s_delay_alu instid0(VALU_DEP_2) | instskip(NEXT) | instid1(VALU_DEP_2)
	v_cvt_f64_u32_e32 v[2:3], v2
	v_mov_b32_e32 v5, v4
	s_wait_loadcnt 0x0
	global_store_b128 v[0:1], v[2:5], off
.LBB87_1063:
	s_and_not1_b32 vcc_lo, exec_lo, s4
	s_cbranch_vccnz .LBB87_1065
; %bb.1064:
	s_wait_xcnt 0x0
	v_cndmask_b32_e64 v2, 0, 1.0, s6
	v_mov_b32_e32 v3, 0
	s_wait_loadcnt 0x0
	global_store_b64 v[0:1], v[2:3], off
.LBB87_1065:
	s_mov_b32 s4, 0
.LBB87_1066:
	s_delay_alu instid0(SALU_CYCLE_1)
	s_and_not1_b32 vcc_lo, exec_lo, s4
	s_cbranch_vccnz .LBB87_1068
; %bb.1067:
	s_wait_xcnt 0x0
	v_cndmask_b32_e64 v2, 0, 1.0, s6
	s_delay_alu instid0(VALU_DEP_1) | instskip(NEXT) | instid1(VALU_DEP_1)
	v_cvt_f16_f32_e32 v2, v2
	v_and_b32_e32 v2, 0xffff, v2
	s_wait_loadcnt 0x0
	global_store_b32 v[0:1], v2, off
.LBB87_1068:
	s_mov_b32 s4, 0
.LBB87_1069:
	s_delay_alu instid0(SALU_CYCLE_1)
	s_and_not1_b32 vcc_lo, exec_lo, s4
	s_cbranch_vccnz .LBB87_1078
; %bb.1070:
	s_sext_i32_i16 s5, s7
	s_mov_b32 s4, -1
	s_cmp_lt_i32 s5, 6
	s_cbranch_scc1 .LBB87_1076
; %bb.1071:
	s_cmp_gt_i32 s5, 6
	s_cbranch_scc0 .LBB87_1073
; %bb.1072:
	s_wait_xcnt 0x0
	v_cndmask_b32_e64 v2, 0, 1, s6
	s_mov_b32 s4, 0
	s_delay_alu instid0(VALU_DEP_1)
	v_cvt_f64_u32_e32 v[2:3], v2
	s_wait_loadcnt 0x0
	global_store_b64 v[0:1], v[2:3], off
.LBB87_1073:
	s_and_not1_b32 vcc_lo, exec_lo, s4
	s_cbranch_vccnz .LBB87_1075
; %bb.1074:
	s_wait_xcnt 0x0
	v_cndmask_b32_e64 v2, 0, 1.0, s6
	s_wait_loadcnt 0x0
	global_store_b32 v[0:1], v2, off
.LBB87_1075:
	s_mov_b32 s4, 0
.LBB87_1076:
	s_delay_alu instid0(SALU_CYCLE_1)
	s_and_not1_b32 vcc_lo, exec_lo, s4
	s_cbranch_vccnz .LBB87_1078
; %bb.1077:
	s_wait_xcnt 0x0
	v_cndmask_b32_e64 v2, 0, 1.0, s6
	s_delay_alu instid0(VALU_DEP_1)
	v_cvt_f16_f32_e32 v2, v2
	s_wait_loadcnt 0x0
	global_store_b16 v[0:1], v2, off
.LBB87_1078:
	s_mov_b32 s4, 0
.LBB87_1079:
	s_delay_alu instid0(SALU_CYCLE_1)
	s_and_not1_b32 vcc_lo, exec_lo, s4
	s_cbranch_vccnz .LBB87_1095
; %bb.1080:
	s_sext_i32_i16 s5, s7
	s_mov_b32 s4, -1
	s_cmp_lt_i32 s5, 2
	s_cbranch_scc1 .LBB87_1090
; %bb.1081:
	s_cmp_lt_i32 s5, 3
	s_cbranch_scc1 .LBB87_1087
; %bb.1082:
	s_cmp_gt_i32 s5, 3
	s_cbranch_scc0 .LBB87_1084
; %bb.1083:
	s_mov_b32 s4, 0
	s_wait_xcnt 0x0
	v_cndmask_b32_e64 v2, 0, 1, s6
	v_mov_b32_e32 v3, s4
	s_wait_loadcnt 0x0
	global_store_b64 v[0:1], v[2:3], off
.LBB87_1084:
	s_and_not1_b32 vcc_lo, exec_lo, s4
	s_cbranch_vccnz .LBB87_1086
; %bb.1085:
	s_wait_xcnt 0x0
	v_cndmask_b32_e64 v2, 0, 1, s6
	s_wait_loadcnt 0x0
	global_store_b32 v[0:1], v2, off
.LBB87_1086:
	s_mov_b32 s4, 0
.LBB87_1087:
	s_delay_alu instid0(SALU_CYCLE_1)
	s_and_not1_b32 vcc_lo, exec_lo, s4
	s_cbranch_vccnz .LBB87_1089
; %bb.1088:
	s_wait_xcnt 0x0
	v_cndmask_b32_e64 v2, 0, 1, s6
	s_wait_loadcnt 0x0
	global_store_b16 v[0:1], v2, off
.LBB87_1089:
	s_mov_b32 s4, 0
.LBB87_1090:
	s_delay_alu instid0(SALU_CYCLE_1)
	s_and_not1_b32 vcc_lo, exec_lo, s4
	s_cbranch_vccnz .LBB87_1095
; %bb.1091:
	s_sext_i32_i16 s4, s7
	s_delay_alu instid0(SALU_CYCLE_1)
	s_cmp_gt_i32 s4, 0
	s_mov_b32 s4, -1
	s_cbranch_scc0 .LBB87_1093
; %bb.1092:
	s_wait_xcnt 0x0
	v_cndmask_b32_e64 v2, 0, 1, s6
	s_mov_b32 s4, 0
	s_wait_loadcnt 0x0
	global_store_b8 v[0:1], v2, off
.LBB87_1093:
	s_and_not1_b32 vcc_lo, exec_lo, s4
	s_cbranch_vccnz .LBB87_1095
; %bb.1094:
	s_wait_xcnt 0x0
	v_cndmask_b32_e64 v2, 0, 1, s6
	s_wait_loadcnt 0x0
	global_store_b8 v[0:1], v2, off
.LBB87_1095:
	s_wait_xcnt 0x0
	s_or_b32 exec_lo, exec_lo, s0
	s_delay_alu instid0(SALU_CYCLE_1)
	s_and_b32 s8, s1, exec_lo
                                        ; implicit-def: $vgpr9
                                        ; implicit-def: $vgpr0
.LBB87_1096:
	s_or_saveexec_b32 s9, s33
	s_mov_b32 s0, 0
                                        ; implicit-def: $sgpr1
                                        ; implicit-def: $vgpr2_vgpr3
                                        ; implicit-def: $sgpr6
	s_xor_b32 exec_lo, exec_lo, s9
	s_cbranch_execz .LBB87_2108
; %bb.1097:
	s_wait_loadcnt 0x0
	v_cndmask_b32_e64 v1, 0, 1, s31
	s_and_not1_b32 vcc_lo, exec_lo, s31
	s_cbranch_vccnz .LBB87_1103
; %bb.1098:
	s_cmp_lg_u32 s28, 0
	s_mov_b32 s10, 0
	s_cbranch_scc0 .LBB87_1104
; %bb.1099:
	s_min_u32 s1, s29, 15
	s_delay_alu instid0(SALU_CYCLE_1)
	s_add_co_i32 s1, s1, 1
	s_cmp_eq_u32 s29, 2
	s_cbranch_scc1 .LBB87_1105
; %bb.1100:
	v_dual_mov_b32 v6, 0 :: v_dual_mov_b32 v14, 0
	v_mov_b32_e32 v2, v0
	s_and_b32 s0, s1, 28
	s_add_nc_u64 s[4:5], s[2:3], 0xc4
	s_mov_b32 s11, 0
	s_mov_b64 s[6:7], s[2:3]
.LBB87_1101:                            ; =>This Inner Loop Header: Depth=1
	s_clause 0x1
	s_load_b256 s[12:19], s[6:7], 0x4
	s_load_b128 s[36:39], s[6:7], 0x24
	s_load_b256 s[20:27], s[4:5], 0x0
	s_add_co_i32 s11, s11, 4
	s_wait_xcnt 0x0
	s_add_nc_u64 s[6:7], s[6:7], 48
	s_cmp_lg_u32 s0, s11
	s_add_nc_u64 s[4:5], s[4:5], 32
	s_wait_kmcnt 0x0
	v_mul_hi_u32 v3, s13, v2
	s_delay_alu instid0(VALU_DEP_1) | instskip(NEXT) | instid1(VALU_DEP_1)
	v_add_nc_u32_e32 v3, v2, v3
	v_lshrrev_b32_e32 v3, s14, v3
	s_delay_alu instid0(VALU_DEP_1) | instskip(NEXT) | instid1(VALU_DEP_1)
	v_mul_hi_u32 v4, s16, v3
	v_add_nc_u32_e32 v4, v3, v4
	s_delay_alu instid0(VALU_DEP_1) | instskip(NEXT) | instid1(VALU_DEP_1)
	v_lshrrev_b32_e32 v4, s17, v4
	v_mul_hi_u32 v5, s19, v4
	s_delay_alu instid0(VALU_DEP_1) | instskip(SKIP_1) | instid1(VALU_DEP_1)
	v_add_nc_u32_e32 v5, v4, v5
	v_mul_lo_u32 v7, v3, s12
	v_sub_nc_u32_e32 v2, v2, v7
	v_mul_lo_u32 v7, v4, s15
	s_delay_alu instid0(VALU_DEP_4) | instskip(NEXT) | instid1(VALU_DEP_3)
	v_lshrrev_b32_e32 v5, s36, v5
	v_mad_u32 v10, v2, s21, v14
	v_mad_u32 v2, v2, s20, v6
	s_delay_alu instid0(VALU_DEP_4) | instskip(NEXT) | instid1(VALU_DEP_4)
	v_sub_nc_u32_e32 v3, v3, v7
	v_mul_hi_u32 v8, s38, v5
	v_mul_lo_u32 v6, v5, s18
	s_delay_alu instid0(VALU_DEP_1) | instskip(NEXT) | instid1(VALU_DEP_4)
	v_dual_add_nc_u32 v7, v5, v8 :: v_dual_sub_nc_u32 v4, v4, v6
	v_mad_u32 v8, v3, s23, v10
	v_mad_u32 v3, v3, s22, v2
	s_delay_alu instid0(VALU_DEP_3) | instskip(NEXT) | instid1(VALU_DEP_1)
	v_lshrrev_b32_e32 v2, s39, v7
	v_mul_lo_u32 v6, v2, s37
	s_delay_alu instid0(VALU_DEP_4) | instskip(NEXT) | instid1(VALU_DEP_4)
	v_mad_u32 v7, v4, s25, v8
	v_mad_u32 v3, v4, s24, v3
	s_delay_alu instid0(VALU_DEP_3) | instskip(NEXT) | instid1(VALU_DEP_1)
	v_sub_nc_u32_e32 v4, v5, v6
	v_mad_u32 v14, v4, s27, v7
	s_delay_alu instid0(VALU_DEP_3)
	v_mad_u32 v6, v4, s26, v3
	s_cbranch_scc1 .LBB87_1101
; %bb.1102:
	s_delay_alu instid0(VALU_DEP_2)
	v_mov_b32_e32 v7, v14
	s_and_b32 s6, s1, 3
	s_mov_b32 s1, 0
	s_cmp_eq_u32 s6, 0
	s_cbranch_scc0 .LBB87_1106
	s_branch .LBB87_1109
.LBB87_1103:
	s_mov_b32 s10, -1
                                        ; implicit-def: $vgpr14
                                        ; implicit-def: $vgpr6
	s_branch .LBB87_1109
.LBB87_1104:
	v_dual_mov_b32 v14, 0 :: v_dual_mov_b32 v6, 0
	s_branch .LBB87_1109
.LBB87_1105:
	v_mov_b64_e32 v[6:7], 0
	v_mov_b32_e32 v2, v0
                                        ; implicit-def: $vgpr14
	s_and_b32 s6, s1, 3
	s_mov_b32 s1, 0
	s_cmp_eq_u32 s6, 0
	s_cbranch_scc1 .LBB87_1109
.LBB87_1106:
	s_lshl_b32 s4, s0, 3
	s_mov_b32 s5, s1
	s_mul_u64 s[12:13], s[0:1], 12
	s_add_nc_u64 s[4:5], s[2:3], s[4:5]
	s_delay_alu instid0(SALU_CYCLE_1)
	s_add_nc_u64 s[0:1], s[4:5], 0xc4
	s_add_nc_u64 s[4:5], s[2:3], s[12:13]
.LBB87_1107:                            ; =>This Inner Loop Header: Depth=1
	s_load_b96 s[12:14], s[4:5], 0x4
	s_add_co_i32 s6, s6, -1
	s_wait_xcnt 0x0
	s_add_nc_u64 s[4:5], s[4:5], 12
	s_cmp_lg_u32 s6, 0
	s_wait_kmcnt 0x0
	v_mul_hi_u32 v3, s13, v2
	s_delay_alu instid0(VALU_DEP_1) | instskip(NEXT) | instid1(VALU_DEP_1)
	v_add_nc_u32_e32 v3, v2, v3
	v_lshrrev_b32_e32 v3, s14, v3
	s_load_b64 s[14:15], s[0:1], 0x0
	s_wait_xcnt 0x0
	s_add_nc_u64 s[0:1], s[0:1], 8
	s_delay_alu instid0(VALU_DEP_1) | instskip(NEXT) | instid1(VALU_DEP_1)
	v_mul_lo_u32 v4, v3, s12
	v_sub_nc_u32_e32 v2, v2, v4
	s_wait_kmcnt 0x0
	s_delay_alu instid0(VALU_DEP_1)
	v_mad_u32 v7, v2, s15, v7
	v_mad_u32 v6, v2, s14, v6
	v_mov_b32_e32 v2, v3
	s_cbranch_scc1 .LBB87_1107
; %bb.1108:
	s_delay_alu instid0(VALU_DEP_3)
	v_mov_b32_e32 v14, v7
.LBB87_1109:
	s_and_not1_b32 vcc_lo, exec_lo, s10
	s_cbranch_vccnz .LBB87_1112
; %bb.1110:
	s_clause 0x1
	s_load_b96 s[4:6], s[2:3], 0x4
	s_load_b64 s[0:1], s[2:3], 0xc4
	s_cmp_lt_u32 s28, 2
	s_wait_kmcnt 0x0
	v_mul_hi_u32 v2, s5, v0
	s_delay_alu instid0(VALU_DEP_1) | instskip(NEXT) | instid1(VALU_DEP_1)
	v_add_nc_u32_e32 v2, v0, v2
	v_lshrrev_b32_e32 v2, s6, v2
	s_delay_alu instid0(VALU_DEP_1) | instskip(NEXT) | instid1(VALU_DEP_1)
	v_mul_lo_u32 v3, v2, s4
	v_sub_nc_u32_e32 v3, v0, v3
	s_delay_alu instid0(VALU_DEP_1)
	v_mul_lo_u32 v14, v3, s1
	v_mul_lo_u32 v6, v3, s0
	s_cbranch_scc1 .LBB87_1112
; %bb.1111:
	s_clause 0x1
	s_load_b96 s[4:6], s[2:3], 0x10
	s_load_b64 s[0:1], s[2:3], 0xcc
	s_wait_kmcnt 0x0
	v_mul_hi_u32 v3, s5, v2
	s_delay_alu instid0(VALU_DEP_1) | instskip(NEXT) | instid1(VALU_DEP_1)
	v_add_nc_u32_e32 v3, v2, v3
	v_lshrrev_b32_e32 v3, s6, v3
	s_delay_alu instid0(VALU_DEP_1) | instskip(NEXT) | instid1(VALU_DEP_1)
	v_mul_lo_u32 v3, v3, s4
	v_sub_nc_u32_e32 v2, v2, v3
	s_delay_alu instid0(VALU_DEP_1)
	v_mad_u32 v6, v2, s0, v6
	v_mad_u32 v14, v2, s1, v14
.LBB87_1112:
	v_cmp_ne_u32_e32 vcc_lo, 1, v1
	v_add_nc_u32_e32 v2, 0x80, v0
	s_cbranch_vccnz .LBB87_1118
; %bb.1113:
	s_cmp_lg_u32 s28, 0
	s_mov_b32 s10, 0
	s_cbranch_scc0 .LBB87_1119
; %bb.1114:
	s_min_u32 s1, s29, 15
	s_delay_alu instid0(SALU_CYCLE_1)
	s_add_co_i32 s1, s1, 1
	s_cmp_eq_u32 s29, 2
	s_cbranch_scc1 .LBB87_1120
; %bb.1115:
	v_dual_mov_b32 v4, 0 :: v_dual_mov_b32 v12, 0
	v_mov_b32_e32 v3, v2
	s_and_b32 s0, s1, 28
	s_add_nc_u64 s[4:5], s[2:3], 0xc4
	s_mov_b32 s11, 0
	s_mov_b64 s[6:7], s[2:3]
.LBB87_1116:                            ; =>This Inner Loop Header: Depth=1
	s_clause 0x1
	s_load_b256 s[12:19], s[6:7], 0x4
	s_load_b128 s[36:39], s[6:7], 0x24
	s_load_b256 s[20:27], s[4:5], 0x0
	s_add_co_i32 s11, s11, 4
	s_wait_xcnt 0x0
	s_add_nc_u64 s[6:7], s[6:7], 48
	s_cmp_lg_u32 s0, s11
	s_add_nc_u64 s[4:5], s[4:5], 32
	s_wait_kmcnt 0x0
	v_mul_hi_u32 v5, s13, v3
	s_delay_alu instid0(VALU_DEP_1) | instskip(NEXT) | instid1(VALU_DEP_1)
	v_add_nc_u32_e32 v5, v3, v5
	v_lshrrev_b32_e32 v5, s14, v5
	s_delay_alu instid0(VALU_DEP_1) | instskip(NEXT) | instid1(VALU_DEP_1)
	v_mul_hi_u32 v7, s16, v5
	v_add_nc_u32_e32 v7, v5, v7
	s_delay_alu instid0(VALU_DEP_1) | instskip(NEXT) | instid1(VALU_DEP_1)
	v_lshrrev_b32_e32 v7, s17, v7
	v_mul_hi_u32 v8, s19, v7
	s_delay_alu instid0(VALU_DEP_1) | instskip(SKIP_1) | instid1(VALU_DEP_1)
	v_add_nc_u32_e32 v8, v7, v8
	v_mul_lo_u32 v10, v5, s12
	v_sub_nc_u32_e32 v3, v3, v10
	v_mul_lo_u32 v10, v7, s15
	s_delay_alu instid0(VALU_DEP_4) | instskip(NEXT) | instid1(VALU_DEP_3)
	v_lshrrev_b32_e32 v8, s36, v8
	v_mad_u32 v12, v3, s21, v12
	v_mad_u32 v3, v3, s20, v4
	s_delay_alu instid0(VALU_DEP_4) | instskip(NEXT) | instid1(VALU_DEP_4)
	v_sub_nc_u32_e32 v4, v5, v10
	v_mul_hi_u32 v11, s38, v8
	v_mul_lo_u32 v5, v8, s18
	s_delay_alu instid0(VALU_DEP_1) | instskip(NEXT) | instid1(VALU_DEP_4)
	v_dual_add_nc_u32 v10, v8, v11 :: v_dual_sub_nc_u32 v5, v7, v5
	v_mad_u32 v11, v4, s23, v12
	v_mad_u32 v4, v4, s22, v3
	s_delay_alu instid0(VALU_DEP_3) | instskip(NEXT) | instid1(VALU_DEP_1)
	v_lshrrev_b32_e32 v3, s39, v10
	v_mul_lo_u32 v7, v3, s37
	s_delay_alu instid0(VALU_DEP_4) | instskip(NEXT) | instid1(VALU_DEP_4)
	v_mad_u32 v10, v5, s25, v11
	v_mad_u32 v4, v5, s24, v4
	s_delay_alu instid0(VALU_DEP_3) | instskip(NEXT) | instid1(VALU_DEP_1)
	v_sub_nc_u32_e32 v5, v8, v7
	v_mad_u32 v12, v5, s27, v10
	s_delay_alu instid0(VALU_DEP_3)
	v_mad_u32 v4, v5, s26, v4
	s_cbranch_scc1 .LBB87_1116
; %bb.1117:
	s_delay_alu instid0(VALU_DEP_2)
	v_mov_b32_e32 v5, v12
	s_and_b32 s6, s1, 3
	s_mov_b32 s1, 0
	s_cmp_eq_u32 s6, 0
	s_cbranch_scc0 .LBB87_1121
	s_branch .LBB87_1124
.LBB87_1118:
	s_mov_b32 s10, -1
                                        ; implicit-def: $vgpr12
                                        ; implicit-def: $vgpr4
	s_branch .LBB87_1124
.LBB87_1119:
	v_dual_mov_b32 v12, 0 :: v_dual_mov_b32 v4, 0
	s_branch .LBB87_1124
.LBB87_1120:
	v_mov_b64_e32 v[4:5], 0
	v_mov_b32_e32 v3, v2
	s_mov_b32 s0, 0
                                        ; implicit-def: $vgpr12
	s_and_b32 s6, s1, 3
	s_mov_b32 s1, 0
	s_cmp_eq_u32 s6, 0
	s_cbranch_scc1 .LBB87_1124
.LBB87_1121:
	s_lshl_b32 s4, s0, 3
	s_mov_b32 s5, s1
	s_mul_u64 s[12:13], s[0:1], 12
	s_add_nc_u64 s[4:5], s[2:3], s[4:5]
	s_delay_alu instid0(SALU_CYCLE_1)
	s_add_nc_u64 s[0:1], s[4:5], 0xc4
	s_add_nc_u64 s[4:5], s[2:3], s[12:13]
.LBB87_1122:                            ; =>This Inner Loop Header: Depth=1
	s_load_b96 s[12:14], s[4:5], 0x4
	s_add_co_i32 s6, s6, -1
	s_wait_xcnt 0x0
	s_add_nc_u64 s[4:5], s[4:5], 12
	s_cmp_lg_u32 s6, 0
	s_wait_kmcnt 0x0
	v_mul_hi_u32 v7, s13, v3
	s_delay_alu instid0(VALU_DEP_1) | instskip(NEXT) | instid1(VALU_DEP_1)
	v_add_nc_u32_e32 v7, v3, v7
	v_lshrrev_b32_e32 v7, s14, v7
	s_load_b64 s[14:15], s[0:1], 0x0
	s_wait_xcnt 0x0
	s_add_nc_u64 s[0:1], s[0:1], 8
	s_delay_alu instid0(VALU_DEP_1) | instskip(NEXT) | instid1(VALU_DEP_1)
	v_mul_lo_u32 v8, v7, s12
	v_sub_nc_u32_e32 v3, v3, v8
	s_wait_kmcnt 0x0
	s_delay_alu instid0(VALU_DEP_1)
	v_mad_u32 v5, v3, s15, v5
	v_mad_u32 v4, v3, s14, v4
	v_mov_b32_e32 v3, v7
	s_cbranch_scc1 .LBB87_1122
; %bb.1123:
	s_delay_alu instid0(VALU_DEP_3)
	v_mov_b32_e32 v12, v5
.LBB87_1124:
	s_and_not1_b32 vcc_lo, exec_lo, s10
	s_cbranch_vccnz .LBB87_1127
; %bb.1125:
	s_clause 0x1
	s_load_b96 s[4:6], s[2:3], 0x4
	s_load_b64 s[0:1], s[2:3], 0xc4
	s_cmp_lt_u32 s28, 2
	s_wait_kmcnt 0x0
	v_mul_hi_u32 v3, s5, v2
	s_delay_alu instid0(VALU_DEP_1) | instskip(NEXT) | instid1(VALU_DEP_1)
	v_add_nc_u32_e32 v3, v2, v3
	v_lshrrev_b32_e32 v3, s6, v3
	s_delay_alu instid0(VALU_DEP_1) | instskip(NEXT) | instid1(VALU_DEP_1)
	v_mul_lo_u32 v4, v3, s4
	v_sub_nc_u32_e32 v2, v2, v4
	s_delay_alu instid0(VALU_DEP_1)
	v_mul_lo_u32 v12, v2, s1
	v_mul_lo_u32 v4, v2, s0
	s_cbranch_scc1 .LBB87_1127
; %bb.1126:
	s_clause 0x1
	s_load_b96 s[4:6], s[2:3], 0x10
	s_load_b64 s[0:1], s[2:3], 0xcc
	s_wait_kmcnt 0x0
	v_mul_hi_u32 v2, s5, v3
	s_delay_alu instid0(VALU_DEP_1) | instskip(NEXT) | instid1(VALU_DEP_1)
	v_add_nc_u32_e32 v2, v3, v2
	v_lshrrev_b32_e32 v2, s6, v2
	s_delay_alu instid0(VALU_DEP_1) | instskip(NEXT) | instid1(VALU_DEP_1)
	v_mul_lo_u32 v2, v2, s4
	v_sub_nc_u32_e32 v2, v3, v2
	s_delay_alu instid0(VALU_DEP_1)
	v_mad_u32 v4, v2, s0, v4
	v_mad_u32 v12, v2, s1, v12
.LBB87_1127:
	v_cmp_ne_u32_e32 vcc_lo, 1, v1
	v_add_nc_u32_e32 v0, 0x100, v0
	s_cbranch_vccnz .LBB87_1133
; %bb.1128:
	s_cmp_lg_u32 s28, 0
	s_mov_b32 s10, 0
	s_cbranch_scc0 .LBB87_1134
; %bb.1129:
	s_min_u32 s1, s29, 15
	s_delay_alu instid0(SALU_CYCLE_1)
	s_add_co_i32 s1, s1, 1
	s_cmp_eq_u32 s29, 2
	s_cbranch_scc1 .LBB87_1135
; %bb.1130:
	v_dual_mov_b32 v2, 0 :: v_dual_mov_b32 v10, 0
	v_mov_b32_e32 v5, v0
	s_and_b32 s0, s1, 28
	s_add_nc_u64 s[4:5], s[2:3], 0xc4
	s_mov_b32 s11, 0
	s_mov_b64 s[6:7], s[2:3]
.LBB87_1131:                            ; =>This Inner Loop Header: Depth=1
	s_clause 0x1
	s_load_b256 s[12:19], s[6:7], 0x4
	s_load_b128 s[36:39], s[6:7], 0x24
	s_load_b256 s[20:27], s[4:5], 0x0
	s_add_co_i32 s11, s11, 4
	s_wait_xcnt 0x0
	s_add_nc_u64 s[6:7], s[6:7], 48
	s_cmp_lg_u32 s0, s11
	s_add_nc_u64 s[4:5], s[4:5], 32
	s_wait_kmcnt 0x0
	v_mul_hi_u32 v3, s13, v5
	s_delay_alu instid0(VALU_DEP_1) | instskip(NEXT) | instid1(VALU_DEP_1)
	v_add_nc_u32_e32 v3, v5, v3
	v_lshrrev_b32_e32 v3, s14, v3
	s_delay_alu instid0(VALU_DEP_1) | instskip(NEXT) | instid1(VALU_DEP_1)
	v_mul_hi_u32 v7, s16, v3
	v_add_nc_u32_e32 v7, v3, v7
	s_delay_alu instid0(VALU_DEP_1) | instskip(NEXT) | instid1(VALU_DEP_1)
	v_lshrrev_b32_e32 v7, s17, v7
	v_mul_hi_u32 v8, s19, v7
	s_delay_alu instid0(VALU_DEP_1) | instskip(NEXT) | instid1(VALU_DEP_1)
	v_add_nc_u32_e32 v8, v7, v8
	v_lshrrev_b32_e32 v8, s36, v8
	v_mul_lo_u32 v11, v3, s12
	s_delay_alu instid0(VALU_DEP_2) | instskip(NEXT) | instid1(VALU_DEP_2)
	v_mul_hi_u32 v13, s38, v8
	v_sub_nc_u32_e32 v5, v5, v11
	s_delay_alu instid0(VALU_DEP_1) | instskip(SKIP_1) | instid1(VALU_DEP_4)
	v_mad_u32 v10, v5, s21, v10
	v_mad_u32 v2, v5, s20, v2
	v_add_nc_u32_e32 v5, v8, v13
	s_delay_alu instid0(VALU_DEP_1) | instskip(SKIP_1) | instid1(VALU_DEP_1)
	v_lshrrev_b32_e32 v5, s39, v5
	v_mul_lo_u32 v11, v7, s15
	v_sub_nc_u32_e32 v3, v3, v11
	v_mul_lo_u32 v11, v8, s18
	s_delay_alu instid0(VALU_DEP_2) | instskip(SKIP_1) | instid1(VALU_DEP_3)
	v_mad_u32 v10, v3, s23, v10
	v_mad_u32 v2, v3, s22, v2
	v_sub_nc_u32_e32 v3, v7, v11
	v_mul_lo_u32 v7, v5, s37
	s_delay_alu instid0(VALU_DEP_2) | instskip(NEXT) | instid1(VALU_DEP_4)
	v_mad_u32 v10, v3, s25, v10
	v_mad_u32 v2, v3, s24, v2
	s_delay_alu instid0(VALU_DEP_3) | instskip(NEXT) | instid1(VALU_DEP_1)
	v_sub_nc_u32_e32 v3, v8, v7
	v_mad_u32 v10, v3, s27, v10
	s_delay_alu instid0(VALU_DEP_3)
	v_mad_u32 v2, v3, s26, v2
	s_cbranch_scc1 .LBB87_1131
; %bb.1132:
	s_delay_alu instid0(VALU_DEP_2)
	v_mov_b32_e32 v3, v10
	s_and_b32 s6, s1, 3
	s_mov_b32 s1, 0
	s_cmp_eq_u32 s6, 0
	s_cbranch_scc0 .LBB87_1136
	s_branch .LBB87_1139
.LBB87_1133:
	s_mov_b32 s10, -1
                                        ; implicit-def: $vgpr10
                                        ; implicit-def: $vgpr2
	s_branch .LBB87_1139
.LBB87_1134:
	v_dual_mov_b32 v10, 0 :: v_dual_mov_b32 v2, 0
	s_branch .LBB87_1139
.LBB87_1135:
	v_mov_b64_e32 v[2:3], 0
	v_mov_b32_e32 v5, v0
	s_mov_b32 s0, 0
                                        ; implicit-def: $vgpr10
	s_and_b32 s6, s1, 3
	s_mov_b32 s1, 0
	s_cmp_eq_u32 s6, 0
	s_cbranch_scc1 .LBB87_1139
.LBB87_1136:
	s_lshl_b32 s4, s0, 3
	s_mov_b32 s5, s1
	s_mul_u64 s[12:13], s[0:1], 12
	s_add_nc_u64 s[4:5], s[2:3], s[4:5]
	s_delay_alu instid0(SALU_CYCLE_1)
	s_add_nc_u64 s[0:1], s[4:5], 0xc4
	s_add_nc_u64 s[4:5], s[2:3], s[12:13]
.LBB87_1137:                            ; =>This Inner Loop Header: Depth=1
	s_load_b96 s[12:14], s[4:5], 0x4
	s_add_co_i32 s6, s6, -1
	s_wait_xcnt 0x0
	s_add_nc_u64 s[4:5], s[4:5], 12
	s_cmp_lg_u32 s6, 0
	s_wait_kmcnt 0x0
	v_mul_hi_u32 v7, s13, v5
	s_delay_alu instid0(VALU_DEP_1) | instskip(NEXT) | instid1(VALU_DEP_1)
	v_add_nc_u32_e32 v7, v5, v7
	v_lshrrev_b32_e32 v7, s14, v7
	s_load_b64 s[14:15], s[0:1], 0x0
	s_wait_xcnt 0x0
	s_add_nc_u64 s[0:1], s[0:1], 8
	s_delay_alu instid0(VALU_DEP_1) | instskip(NEXT) | instid1(VALU_DEP_1)
	v_mul_lo_u32 v8, v7, s12
	v_sub_nc_u32_e32 v5, v5, v8
	s_wait_kmcnt 0x0
	s_delay_alu instid0(VALU_DEP_1)
	v_mad_u32 v3, v5, s15, v3
	v_mad_u32 v2, v5, s14, v2
	v_mov_b32_e32 v5, v7
	s_cbranch_scc1 .LBB87_1137
; %bb.1138:
	s_delay_alu instid0(VALU_DEP_3)
	v_mov_b32_e32 v10, v3
.LBB87_1139:
	s_and_not1_b32 vcc_lo, exec_lo, s10
	s_cbranch_vccnz .LBB87_1142
; %bb.1140:
	s_clause 0x1
	s_load_b96 s[4:6], s[2:3], 0x4
	s_load_b64 s[0:1], s[2:3], 0xc4
	s_cmp_lt_u32 s28, 2
	s_wait_kmcnt 0x0
	v_mul_hi_u32 v2, s5, v0
	s_delay_alu instid0(VALU_DEP_1) | instskip(NEXT) | instid1(VALU_DEP_1)
	v_add_nc_u32_e32 v2, v0, v2
	v_lshrrev_b32_e32 v3, s6, v2
	s_delay_alu instid0(VALU_DEP_1) | instskip(NEXT) | instid1(VALU_DEP_1)
	v_mul_lo_u32 v2, v3, s4
	v_sub_nc_u32_e32 v0, v0, v2
	s_delay_alu instid0(VALU_DEP_1)
	v_mul_lo_u32 v10, v0, s1
	v_mul_lo_u32 v2, v0, s0
	s_cbranch_scc1 .LBB87_1142
; %bb.1141:
	s_clause 0x1
	s_load_b96 s[4:6], s[2:3], 0x10
	s_load_b64 s[0:1], s[2:3], 0xcc
	s_wait_kmcnt 0x0
	v_mul_hi_u32 v0, s5, v3
	s_delay_alu instid0(VALU_DEP_1) | instskip(NEXT) | instid1(VALU_DEP_1)
	v_add_nc_u32_e32 v0, v3, v0
	v_lshrrev_b32_e32 v0, s6, v0
	s_delay_alu instid0(VALU_DEP_1) | instskip(NEXT) | instid1(VALU_DEP_1)
	v_mul_lo_u32 v0, v0, s4
	v_sub_nc_u32_e32 v0, v3, v0
	s_delay_alu instid0(VALU_DEP_1)
	v_mad_u32 v2, v0, s0, v2
	v_mad_u32 v10, v0, s1, v10
.LBB87_1142:
	v_cmp_ne_u32_e32 vcc_lo, 1, v1
	s_cbranch_vccnz .LBB87_1148
; %bb.1143:
	s_cmp_lg_u32 s28, 0
	s_mov_b32 s10, 0
	s_cbranch_scc0 .LBB87_1149
; %bb.1144:
	s_min_u32 s1, s29, 15
	s_delay_alu instid0(SALU_CYCLE_1)
	s_add_co_i32 s1, s1, 1
	s_cmp_eq_u32 s29, 2
	s_cbranch_scc1 .LBB87_1150
; %bb.1145:
	v_dual_mov_b32 v0, 0 :: v_dual_mov_b32 v8, 0
	v_mov_b32_e32 v3, v9
	s_and_b32 s0, s1, 28
	s_add_nc_u64 s[4:5], s[2:3], 0xc4
	s_mov_b32 s11, 0
	s_mov_b64 s[6:7], s[2:3]
.LBB87_1146:                            ; =>This Inner Loop Header: Depth=1
	s_clause 0x1
	s_load_b256 s[12:19], s[6:7], 0x4
	s_load_b128 s[36:39], s[6:7], 0x24
	s_load_b256 s[20:27], s[4:5], 0x0
	s_add_co_i32 s11, s11, 4
	s_wait_xcnt 0x0
	s_add_nc_u64 s[6:7], s[6:7], 48
	s_cmp_lg_u32 s0, s11
	s_add_nc_u64 s[4:5], s[4:5], 32
	s_wait_kmcnt 0x0
	v_mul_hi_u32 v1, s13, v3
	s_delay_alu instid0(VALU_DEP_1) | instskip(NEXT) | instid1(VALU_DEP_1)
	v_add_nc_u32_e32 v1, v3, v1
	v_lshrrev_b32_e32 v1, s14, v1
	s_delay_alu instid0(VALU_DEP_1) | instskip(NEXT) | instid1(VALU_DEP_1)
	v_mul_lo_u32 v11, v1, s12
	v_sub_nc_u32_e32 v3, v3, v11
	v_mul_hi_u32 v5, s16, v1
	s_delay_alu instid0(VALU_DEP_2) | instskip(SKIP_1) | instid1(VALU_DEP_3)
	v_mad_u32 v8, v3, s21, v8
	v_mad_u32 v0, v3, s20, v0
	v_add_nc_u32_e32 v5, v1, v5
	s_delay_alu instid0(VALU_DEP_1) | instskip(NEXT) | instid1(VALU_DEP_1)
	v_lshrrev_b32_e32 v5, s17, v5
	v_mul_lo_u32 v11, v5, s15
	s_delay_alu instid0(VALU_DEP_1) | instskip(SKIP_1) | instid1(VALU_DEP_2)
	v_sub_nc_u32_e32 v1, v1, v11
	v_mul_hi_u32 v7, s19, v5
	v_mad_u32 v8, v1, s23, v8
	v_mad_u32 v0, v1, s22, v0
	s_delay_alu instid0(VALU_DEP_3) | instskip(NEXT) | instid1(VALU_DEP_1)
	v_add_nc_u32_e32 v7, v5, v7
	v_lshrrev_b32_e32 v7, s36, v7
	s_delay_alu instid0(VALU_DEP_1) | instskip(SKIP_1) | instid1(VALU_DEP_1)
	v_mul_hi_u32 v13, s38, v7
	v_mul_lo_u32 v11, v7, s18
	v_dual_add_nc_u32 v3, v7, v13 :: v_dual_sub_nc_u32 v1, v5, v11
	s_delay_alu instid0(VALU_DEP_1) | instskip(NEXT) | instid1(VALU_DEP_2)
	v_lshrrev_b32_e32 v3, s39, v3
	v_mad_u32 v8, v1, s25, v8
	v_mad_u32 v0, v1, s24, v0
	s_delay_alu instid0(VALU_DEP_3) | instskip(NEXT) | instid1(VALU_DEP_1)
	v_mul_lo_u32 v5, v3, s37
	v_sub_nc_u32_e32 v1, v7, v5
	s_delay_alu instid0(VALU_DEP_1) | instskip(NEXT) | instid1(VALU_DEP_4)
	v_mad_u32 v8, v1, s27, v8
	v_mad_u32 v0, v1, s26, v0
	s_cbranch_scc1 .LBB87_1146
; %bb.1147:
	s_delay_alu instid0(VALU_DEP_2)
	v_mov_b32_e32 v1, v8
	s_and_b32 s6, s1, 3
	s_mov_b32 s1, 0
	s_cmp_eq_u32 s6, 0
	s_cbranch_scc0 .LBB87_1151
	s_branch .LBB87_1154
.LBB87_1148:
	s_mov_b32 s10, -1
                                        ; implicit-def: $vgpr8
                                        ; implicit-def: $vgpr0
	s_branch .LBB87_1154
.LBB87_1149:
	v_dual_mov_b32 v8, 0 :: v_dual_mov_b32 v0, 0
	s_branch .LBB87_1154
.LBB87_1150:
	v_mov_b64_e32 v[0:1], 0
	v_mov_b32_e32 v3, v9
	s_mov_b32 s0, 0
                                        ; implicit-def: $vgpr8
	s_and_b32 s6, s1, 3
	s_mov_b32 s1, 0
	s_cmp_eq_u32 s6, 0
	s_cbranch_scc1 .LBB87_1154
.LBB87_1151:
	s_lshl_b32 s4, s0, 3
	s_mov_b32 s5, s1
	s_mul_u64 s[12:13], s[0:1], 12
	s_add_nc_u64 s[4:5], s[2:3], s[4:5]
	s_delay_alu instid0(SALU_CYCLE_1)
	s_add_nc_u64 s[0:1], s[4:5], 0xc4
	s_add_nc_u64 s[4:5], s[2:3], s[12:13]
.LBB87_1152:                            ; =>This Inner Loop Header: Depth=1
	s_load_b96 s[12:14], s[4:5], 0x4
	s_add_co_i32 s6, s6, -1
	s_wait_xcnt 0x0
	s_add_nc_u64 s[4:5], s[4:5], 12
	s_cmp_lg_u32 s6, 0
	s_wait_kmcnt 0x0
	v_mul_hi_u32 v5, s13, v3
	s_delay_alu instid0(VALU_DEP_1) | instskip(NEXT) | instid1(VALU_DEP_1)
	v_add_nc_u32_e32 v5, v3, v5
	v_lshrrev_b32_e32 v5, s14, v5
	s_load_b64 s[14:15], s[0:1], 0x0
	s_wait_xcnt 0x0
	s_add_nc_u64 s[0:1], s[0:1], 8
	s_delay_alu instid0(VALU_DEP_1) | instskip(NEXT) | instid1(VALU_DEP_1)
	v_mul_lo_u32 v7, v5, s12
	v_sub_nc_u32_e32 v3, v3, v7
	s_wait_kmcnt 0x0
	s_delay_alu instid0(VALU_DEP_1)
	v_mad_u32 v1, v3, s15, v1
	v_mad_u32 v0, v3, s14, v0
	v_mov_b32_e32 v3, v5
	s_cbranch_scc1 .LBB87_1152
; %bb.1153:
	s_delay_alu instid0(VALU_DEP_3)
	v_mov_b32_e32 v8, v1
.LBB87_1154:
	s_and_not1_b32 vcc_lo, exec_lo, s10
	s_cbranch_vccnz .LBB87_1157
; %bb.1155:
	s_clause 0x1
	s_load_b96 s[4:6], s[2:3], 0x4
	s_load_b64 s[0:1], s[2:3], 0xc4
	s_cmp_lt_u32 s28, 2
	s_wait_kmcnt 0x0
	v_mul_hi_u32 v0, s5, v9
	s_delay_alu instid0(VALU_DEP_1) | instskip(NEXT) | instid1(VALU_DEP_1)
	v_add_nc_u32_e32 v0, v9, v0
	v_lshrrev_b32_e32 v1, s6, v0
	s_delay_alu instid0(VALU_DEP_1) | instskip(NEXT) | instid1(VALU_DEP_1)
	v_mul_lo_u32 v0, v1, s4
	v_sub_nc_u32_e32 v0, v9, v0
	s_delay_alu instid0(VALU_DEP_1)
	v_mul_lo_u32 v8, v0, s1
	v_mul_lo_u32 v0, v0, s0
	s_cbranch_scc1 .LBB87_1157
; %bb.1156:
	s_clause 0x1
	s_load_b96 s[4:6], s[2:3], 0x10
	s_load_b64 s[0:1], s[2:3], 0xcc
	s_wait_kmcnt 0x0
	v_mul_hi_u32 v3, s5, v1
	s_delay_alu instid0(VALU_DEP_1) | instskip(NEXT) | instid1(VALU_DEP_1)
	v_add_nc_u32_e32 v3, v1, v3
	v_lshrrev_b32_e32 v3, s6, v3
	s_delay_alu instid0(VALU_DEP_1) | instskip(NEXT) | instid1(VALU_DEP_1)
	v_mul_lo_u32 v3, v3, s4
	v_sub_nc_u32_e32 v1, v1, v3
	s_delay_alu instid0(VALU_DEP_1)
	v_mad_u32 v0, v1, s0, v0
	v_mad_u32 v8, v1, s1, v8
.LBB87_1157:
	v_mov_b32_e32 v15, 0
	s_load_b128 s[4:7], s[2:3], 0x148
	global_load_u8 v1, v15, s[2:3] offset:346
	s_wait_kmcnt 0x0
	v_add_nc_u64_e32 v[14:15], s[6:7], v[14:15]
	s_wait_loadcnt 0x0
	v_and_b32_e32 v3, 0xffff, v1
	v_readfirstlane_b32 s0, v1
	s_delay_alu instid0(VALU_DEP_2)
	v_cmp_gt_i32_e32 vcc_lo, 11, v3
	s_cbranch_vccnz .LBB87_1164
; %bb.1158:
	s_and_b32 s1, 0xffff, s0
	s_mov_b32 s11, 0
	s_cmp_gt_i32 s1, 25
	s_cbranch_scc0 .LBB87_1166
; %bb.1159:
	s_cmp_gt_i32 s1, 28
	s_cbranch_scc0 .LBB87_1167
; %bb.1160:
	;; [unrolled: 3-line block ×4, first 2 shown]
	s_cmp_eq_u32 s1, 46
	s_mov_b32 s13, 0
	s_cbranch_scc0 .LBB87_1172
; %bb.1163:
	global_load_b32 v1, v[14:15], off
	s_mov_b32 s10, 0
	s_mov_b32 s12, -1
	s_wait_loadcnt 0x0
	v_lshlrev_b32_e32 v1, 16, v1
	s_delay_alu instid0(VALU_DEP_1)
	v_cvt_f16_f32_e32 v1, v1
	s_branch .LBB87_1174
.LBB87_1164:
	s_mov_b32 s12, 0
	s_mov_b32 s10, s8
                                        ; implicit-def: $vgpr1
	s_cbranch_execnz .LBB87_1237
.LBB87_1165:
	s_and_not1_b32 vcc_lo, exec_lo, s12
	s_cbranch_vccz .LBB87_1282
	s_branch .LBB87_2106
.LBB87_1166:
	s_mov_b32 s12, 0
	s_mov_b32 s10, 0
                                        ; implicit-def: $vgpr1
	s_cbranch_execnz .LBB87_1202
	s_branch .LBB87_1233
.LBB87_1167:
	s_mov_b32 s13, -1
	s_mov_b32 s12, 0
	s_mov_b32 s10, 0
                                        ; implicit-def: $vgpr1
	s_branch .LBB87_1183
.LBB87_1168:
	s_mov_b32 s12, 0
	s_mov_b32 s10, 0
                                        ; implicit-def: $vgpr1
	s_cbranch_execnz .LBB87_1179
	s_branch .LBB87_1182
.LBB87_1169:
	s_mov_b32 s13, -1
	s_mov_b32 s12, 0
	s_mov_b32 s10, 0
	s_branch .LBB87_1173
.LBB87_1170:
	s_and_not1_saveexec_b32 s10, s10
	s_cbranch_execz .LBB87_1009
.LBB87_1171:
	v_add_f32_e32 v2, 0x46000000, v3
	s_and_not1_b32 s9, s9, exec_lo
	s_delay_alu instid0(VALU_DEP_1) | instskip(NEXT) | instid1(VALU_DEP_1)
	v_and_b32_e32 v2, 0xff, v2
	v_cmp_ne_u32_e32 vcc_lo, 0, v2
	s_and_b32 s11, vcc_lo, exec_lo
	s_delay_alu instid0(SALU_CYCLE_1)
	s_or_b32 s9, s9, s11
	s_or_b32 exec_lo, exec_lo, s10
	v_mov_b32_e32 v4, 0
	s_and_saveexec_b32 s10, s9
	s_cbranch_execnz .LBB87_1010
	s_branch .LBB87_1011
.LBB87_1172:
	s_mov_b32 s10, -1
	s_mov_b32 s12, 0
.LBB87_1173:
                                        ; implicit-def: $vgpr1
.LBB87_1174:
	s_and_b32 vcc_lo, exec_lo, s13
	s_cbranch_vccz .LBB87_1177
; %bb.1175:
	s_cmp_eq_u32 s1, 44
	s_cbranch_scc0 .LBB87_1178
; %bb.1176:
	global_load_u8 v1, v[14:15], off
	s_mov_b32 s10, 0
	s_mov_b32 s12, -1
	s_wait_loadcnt 0x0
	v_lshlrev_b32_e32 v3, 23, v1
	v_cmp_ne_u32_e32 vcc_lo, 0xff, v1
	s_delay_alu instid0(VALU_DEP_2) | instskip(NEXT) | instid1(VALU_DEP_1)
	v_cvt_f16_f32_e32 v3, v3
	v_cndmask_b32_e32 v3, 0x7e00, v3, vcc_lo
	v_cmp_ne_u32_e32 vcc_lo, 0, v1
	s_delay_alu instid0(VALU_DEP_2)
	v_cndmask_b32_e32 v1, 0, v3, vcc_lo
.LBB87_1177:
	s_branch .LBB87_1182
.LBB87_1178:
	s_mov_b32 s10, -1
                                        ; implicit-def: $vgpr1
	s_branch .LBB87_1182
.LBB87_1179:
	s_cmp_eq_u32 s1, 29
	s_cbranch_scc0 .LBB87_1181
; %bb.1180:
	global_load_b64 v[16:17], v[14:15], off
	s_mov_b32 s10, 0
	s_mov_b32 s12, -1
	s_mov_b32 s13, 0
	s_wait_loadcnt 0x0
	v_clz_i32_u32_e32 v1, v17
	s_delay_alu instid0(VALU_DEP_1) | instskip(NEXT) | instid1(VALU_DEP_1)
	v_min_u32_e32 v1, 32, v1
	v_lshlrev_b64_e32 v[16:17], v1, v[16:17]
	v_sub_nc_u32_e32 v1, 32, v1
	s_delay_alu instid0(VALU_DEP_2) | instskip(NEXT) | instid1(VALU_DEP_1)
	v_min_u32_e32 v3, 1, v16
	v_or_b32_e32 v3, v17, v3
	s_delay_alu instid0(VALU_DEP_1) | instskip(NEXT) | instid1(VALU_DEP_1)
	v_cvt_f32_u32_e32 v3, v3
	v_ldexp_f32 v1, v3, v1
	s_delay_alu instid0(VALU_DEP_1)
	v_cvt_f16_f32_e32 v1, v1
	s_branch .LBB87_1183
.LBB87_1181:
	s_mov_b32 s10, -1
                                        ; implicit-def: $vgpr1
.LBB87_1182:
	s_mov_b32 s13, 0
.LBB87_1183:
	s_delay_alu instid0(SALU_CYCLE_1)
	s_and_b32 vcc_lo, exec_lo, s13
	s_cbranch_vccz .LBB87_1201
; %bb.1184:
	s_cmp_lt_i32 s1, 27
	s_cbranch_scc1 .LBB87_1187
; %bb.1185:
	s_cmp_gt_i32 s1, 27
	s_cbranch_scc0 .LBB87_1188
; %bb.1186:
	global_load_b32 v1, v[14:15], off
	s_mov_b32 s12, 0
	s_wait_loadcnt 0x0
	v_cvt_f32_u32_e32 v1, v1
	s_delay_alu instid0(VALU_DEP_1)
	v_cvt_f16_f32_e32 v1, v1
	s_branch .LBB87_1189
.LBB87_1187:
	s_mov_b32 s12, -1
                                        ; implicit-def: $vgpr1
	s_branch .LBB87_1192
.LBB87_1188:
	s_mov_b32 s12, -1
                                        ; implicit-def: $vgpr1
.LBB87_1189:
	s_delay_alu instid0(SALU_CYCLE_1)
	s_and_not1_b32 vcc_lo, exec_lo, s12
	s_cbranch_vccnz .LBB87_1191
; %bb.1190:
	global_load_u16 v1, v[14:15], off
	s_wait_loadcnt 0x0
	v_cvt_f16_u16_e32 v1, v1
.LBB87_1191:
	s_mov_b32 s12, 0
.LBB87_1192:
	s_delay_alu instid0(SALU_CYCLE_1)
	s_and_not1_b32 vcc_lo, exec_lo, s12
	s_cbranch_vccnz .LBB87_1200
; %bb.1193:
	global_load_u8 v3, v[14:15], off
	s_mov_b32 s12, 0
	s_mov_b32 s13, exec_lo
	s_wait_loadcnt 0x0
	v_cmpx_lt_i16_e32 0x7f, v3
	s_xor_b32 s13, exec_lo, s13
	s_cbranch_execz .LBB87_1213
; %bb.1194:
	s_mov_b32 s12, -1
	s_mov_b32 s14, exec_lo
	v_cmpx_eq_u16_e32 0x80, v3
; %bb.1195:
	s_xor_b32 s12, exec_lo, -1
; %bb.1196:
	s_or_b32 exec_lo, exec_lo, s14
	s_delay_alu instid0(SALU_CYCLE_1)
	s_and_b32 s12, s12, exec_lo
	s_or_saveexec_b32 s13, s13
	v_mov_b32_e32 v1, 0x7e00
	s_xor_b32 exec_lo, exec_lo, s13
	s_cbranch_execnz .LBB87_1214
.LBB87_1197:
	s_or_b32 exec_lo, exec_lo, s13
	s_and_saveexec_b32 s13, s12
	s_cbranch_execz .LBB87_1199
.LBB87_1198:
	v_and_b32_e32 v1, 0xffff, v3
	s_delay_alu instid0(VALU_DEP_1) | instskip(SKIP_1) | instid1(VALU_DEP_2)
	v_and_b32_e32 v5, 7, v1
	v_bfe_u32 v11, v1, 3, 4
	v_clz_i32_u32_e32 v7, v5
	s_delay_alu instid0(VALU_DEP_2) | instskip(NEXT) | instid1(VALU_DEP_2)
	v_cmp_eq_u32_e32 vcc_lo, 0, v11
	v_min_u32_e32 v7, 32, v7
	s_delay_alu instid0(VALU_DEP_1) | instskip(NEXT) | instid1(VALU_DEP_1)
	v_subrev_nc_u32_e32 v9, 28, v7
	v_dual_lshlrev_b32 v1, v9, v1 :: v_dual_sub_nc_u32 v7, 29, v7
	s_delay_alu instid0(VALU_DEP_1) | instskip(NEXT) | instid1(VALU_DEP_1)
	v_dual_lshlrev_b32 v3, 24, v3 :: v_dual_bitop2_b32 v1, 7, v1 bitop3:0x40
	v_dual_cndmask_b32 v1, v5, v1, vcc_lo :: v_dual_cndmask_b32 v7, v11, v7, vcc_lo
	s_delay_alu instid0(VALU_DEP_2) | instskip(NEXT) | instid1(VALU_DEP_2)
	v_and_b32_e32 v3, 0x80000000, v3
	v_lshlrev_b32_e32 v1, 20, v1
	s_delay_alu instid0(VALU_DEP_3) | instskip(NEXT) | instid1(VALU_DEP_1)
	v_lshl_add_u32 v5, v7, 23, 0x3b800000
	v_or3_b32 v1, v3, v5, v1
	s_delay_alu instid0(VALU_DEP_1)
	v_cvt_f16_f32_e32 v1, v1
.LBB87_1199:
	s_or_b32 exec_lo, exec_lo, s13
.LBB87_1200:
	s_mov_b32 s12, -1
.LBB87_1201:
	s_branch .LBB87_1233
.LBB87_1202:
	s_cmp_gt_i32 s1, 22
	s_cbranch_scc0 .LBB87_1212
; %bb.1203:
	s_cmp_lt_i32 s1, 24
	s_cbranch_scc1 .LBB87_1215
; %bb.1204:
	s_cmp_gt_i32 s1, 24
	s_cbranch_scc0 .LBB87_1216
; %bb.1205:
	global_load_u8 v3, v[14:15], off
	s_mov_b32 s12, exec_lo
	s_wait_loadcnt 0x0
	v_cmpx_lt_i16_e32 0x7f, v3
	s_xor_b32 s12, exec_lo, s12
	s_cbranch_execz .LBB87_1227
; %bb.1206:
	s_mov_b32 s11, -1
	s_mov_b32 s13, exec_lo
	v_cmpx_eq_u16_e32 0x80, v3
; %bb.1207:
	s_xor_b32 s11, exec_lo, -1
; %bb.1208:
	s_or_b32 exec_lo, exec_lo, s13
	s_delay_alu instid0(SALU_CYCLE_1)
	s_and_b32 s11, s11, exec_lo
	s_or_saveexec_b32 s12, s12
	v_mov_b32_e32 v1, 0x7e00
	s_xor_b32 exec_lo, exec_lo, s12
	s_cbranch_execnz .LBB87_1228
.LBB87_1209:
	s_or_b32 exec_lo, exec_lo, s12
	s_and_saveexec_b32 s12, s11
	s_cbranch_execz .LBB87_1211
.LBB87_1210:
	v_and_b32_e32 v1, 0xffff, v3
	s_delay_alu instid0(VALU_DEP_1) | instskip(SKIP_1) | instid1(VALU_DEP_2)
	v_and_b32_e32 v5, 3, v1
	v_bfe_u32 v11, v1, 2, 5
	v_clz_i32_u32_e32 v7, v5
	s_delay_alu instid0(VALU_DEP_2) | instskip(NEXT) | instid1(VALU_DEP_2)
	v_cmp_eq_u32_e32 vcc_lo, 0, v11
	v_min_u32_e32 v7, 32, v7
	s_delay_alu instid0(VALU_DEP_1) | instskip(NEXT) | instid1(VALU_DEP_1)
	v_subrev_nc_u32_e32 v9, 29, v7
	v_dual_lshlrev_b32 v1, v9, v1 :: v_dual_sub_nc_u32 v7, 30, v7
	s_delay_alu instid0(VALU_DEP_1) | instskip(NEXT) | instid1(VALU_DEP_1)
	v_dual_lshlrev_b32 v3, 24, v3 :: v_dual_bitop2_b32 v1, 3, v1 bitop3:0x40
	v_dual_cndmask_b32 v1, v5, v1, vcc_lo :: v_dual_cndmask_b32 v7, v11, v7, vcc_lo
	s_delay_alu instid0(VALU_DEP_2) | instskip(NEXT) | instid1(VALU_DEP_2)
	v_and_b32_e32 v3, 0x80000000, v3
	v_lshlrev_b32_e32 v1, 21, v1
	s_delay_alu instid0(VALU_DEP_3) | instskip(NEXT) | instid1(VALU_DEP_1)
	v_lshl_add_u32 v5, v7, 23, 0x37800000
	v_or3_b32 v1, v3, v5, v1
	s_delay_alu instid0(VALU_DEP_1)
	v_cvt_f16_f32_e32 v1, v1
.LBB87_1211:
	s_or_b32 exec_lo, exec_lo, s12
	s_mov_b32 s11, 0
	s_branch .LBB87_1217
.LBB87_1212:
                                        ; implicit-def: $vgpr1
	s_mov_b32 s11, 0
	s_branch .LBB87_1223
.LBB87_1213:
	s_or_saveexec_b32 s13, s13
	v_mov_b32_e32 v1, 0x7e00
	s_xor_b32 exec_lo, exec_lo, s13
	s_cbranch_execz .LBB87_1197
.LBB87_1214:
	v_cmp_ne_u16_e32 vcc_lo, 0, v3
	v_mov_b32_e32 v1, v3
	s_and_not1_b32 s12, s12, exec_lo
	s_and_b32 s14, vcc_lo, exec_lo
	s_delay_alu instid0(SALU_CYCLE_1)
	s_or_b32 s12, s12, s14
	s_or_b32 exec_lo, exec_lo, s13
	s_and_saveexec_b32 s13, s12
	s_cbranch_execnz .LBB87_1198
	s_branch .LBB87_1199
.LBB87_1215:
	s_mov_b32 s11, -1
                                        ; implicit-def: $vgpr1
	s_branch .LBB87_1220
.LBB87_1216:
	s_mov_b32 s11, -1
                                        ; implicit-def: $vgpr1
.LBB87_1217:
	s_delay_alu instid0(SALU_CYCLE_1)
	s_and_b32 vcc_lo, exec_lo, s11
	s_cbranch_vccz .LBB87_1219
; %bb.1218:
	global_load_u8 v1, v[14:15], off
	s_wait_loadcnt 0x0
	v_lshlrev_b32_e32 v1, 24, v1
	s_delay_alu instid0(VALU_DEP_1) | instskip(NEXT) | instid1(VALU_DEP_1)
	v_and_b32_e32 v3, 0x7f000000, v1
	v_clz_i32_u32_e32 v5, v3
	v_add_nc_u32_e32 v9, 0x1000000, v3
	v_cmp_ne_u32_e32 vcc_lo, 0, v3
	s_delay_alu instid0(VALU_DEP_3) | instskip(NEXT) | instid1(VALU_DEP_1)
	v_min_u32_e32 v5, 32, v5
	v_sub_nc_u32_e64 v5, v5, 4 clamp
	s_delay_alu instid0(VALU_DEP_1) | instskip(NEXT) | instid1(VALU_DEP_1)
	v_dual_lshlrev_b32 v7, v5, v3 :: v_dual_lshlrev_b32 v5, 23, v5
	v_lshrrev_b32_e32 v7, 4, v7
	s_delay_alu instid0(VALU_DEP_1) | instskip(SKIP_1) | instid1(VALU_DEP_2)
	v_sub_nc_u32_e32 v5, v7, v5
	v_ashrrev_i32_e32 v7, 8, v9
	v_add_nc_u32_e32 v5, 0x3c000000, v5
	s_delay_alu instid0(VALU_DEP_1) | instskip(NEXT) | instid1(VALU_DEP_1)
	v_and_or_b32 v5, 0x7f800000, v7, v5
	v_cndmask_b32_e32 v3, 0, v5, vcc_lo
	s_delay_alu instid0(VALU_DEP_1) | instskip(NEXT) | instid1(VALU_DEP_1)
	v_and_or_b32 v1, 0x80000000, v1, v3
	v_cvt_f16_f32_e32 v1, v1
.LBB87_1219:
	s_mov_b32 s11, 0
.LBB87_1220:
	s_delay_alu instid0(SALU_CYCLE_1)
	s_and_not1_b32 vcc_lo, exec_lo, s11
	s_cbranch_vccnz .LBB87_1222
; %bb.1221:
	global_load_u8 v1, v[14:15], off
	s_wait_loadcnt 0x0
	v_lshlrev_b32_e32 v3, 25, v1
	v_lshlrev_b16 v1, 8, v1
	s_delay_alu instid0(VALU_DEP_1) | instskip(SKIP_1) | instid1(VALU_DEP_2)
	v_and_or_b32 v7, 0x7f00, v1, 0.5
	v_bfe_i32 v1, v1, 0, 16
	v_add_f32_e32 v7, -0.5, v7
	v_lshrrev_b32_e32 v5, 4, v3
	v_cmp_gt_u32_e32 vcc_lo, 0x8000000, v3
	s_delay_alu instid0(VALU_DEP_2) | instskip(NEXT) | instid1(VALU_DEP_1)
	v_or_b32_e32 v5, 0x70000000, v5
	v_mul_f32_e32 v5, 0x7800000, v5
	s_delay_alu instid0(VALU_DEP_1) | instskip(NEXT) | instid1(VALU_DEP_1)
	v_cndmask_b32_e32 v3, v5, v7, vcc_lo
	v_and_or_b32 v1, 0x80000000, v1, v3
	s_delay_alu instid0(VALU_DEP_1)
	v_cvt_f16_f32_e32 v1, v1
.LBB87_1222:
	s_mov_b32 s12, -1
	s_mov_b32 s11, 0
	s_cbranch_execnz .LBB87_1233
.LBB87_1223:
	s_cmp_gt_i32 s1, 14
	s_cbranch_scc0 .LBB87_1226
; %bb.1224:
	s_cmp_eq_u32 s1, 15
	s_cbranch_scc0 .LBB87_1229
; %bb.1225:
	global_load_u16 v1, v[14:15], off
	s_mov_b32 s10, 0
	s_mov_b32 s12, -1
	s_wait_loadcnt 0x0
	v_lshlrev_b32_e32 v1, 16, v1
	s_delay_alu instid0(VALU_DEP_1)
	v_cvt_f16_f32_e32 v1, v1
	s_branch .LBB87_1231
.LBB87_1226:
	s_mov_b32 s11, -1
	s_branch .LBB87_1230
.LBB87_1227:
	s_or_saveexec_b32 s12, s12
	v_mov_b32_e32 v1, 0x7e00
	s_xor_b32 exec_lo, exec_lo, s12
	s_cbranch_execz .LBB87_1209
.LBB87_1228:
	v_cmp_ne_u16_e32 vcc_lo, 0, v3
	v_mov_b32_e32 v1, v3
	s_and_not1_b32 s11, s11, exec_lo
	s_and_b32 s13, vcc_lo, exec_lo
	s_delay_alu instid0(SALU_CYCLE_1)
	s_or_b32 s11, s11, s13
	s_or_b32 exec_lo, exec_lo, s12
	s_and_saveexec_b32 s12, s11
	s_cbranch_execnz .LBB87_1210
	s_branch .LBB87_1211
.LBB87_1229:
	s_mov_b32 s10, -1
.LBB87_1230:
                                        ; implicit-def: $vgpr1
.LBB87_1231:
	s_and_b32 vcc_lo, exec_lo, s11
	s_mov_b32 s11, 0
	s_cbranch_vccz .LBB87_1233
; %bb.1232:
	s_cmp_lg_u32 s1, 11
	s_mov_b32 s11, -1
	s_cselect_b32 s10, -1, 0
.LBB87_1233:
	s_delay_alu instid0(SALU_CYCLE_1)
	s_and_b32 vcc_lo, exec_lo, s10
	s_mov_b32 s10, s8
	s_cbranch_vccnz .LBB87_1294
; %bb.1234:
	s_and_not1_b32 vcc_lo, exec_lo, s11
	s_cbranch_vccnz .LBB87_1236
.LBB87_1235:
	global_load_u8 v1, v[14:15], off
	s_mov_b32 s12, -1
	s_wait_loadcnt 0x0
	v_cmp_ne_u16_e32 vcc_lo, 0, v1
	v_cndmask_b32_e64 v1, 0, 0x3c00, vcc_lo
.LBB87_1236:
	s_branch .LBB87_1165
.LBB87_1237:
	s_and_b32 s1, 0xffff, s0
	s_delay_alu instid0(SALU_CYCLE_1)
	s_cmp_lt_i32 s1, 5
	s_cbranch_scc1 .LBB87_1242
; %bb.1238:
	s_cmp_lt_i32 s1, 8
	s_cbranch_scc1 .LBB87_1243
; %bb.1239:
	;; [unrolled: 3-line block ×3, first 2 shown]
	s_cmp_gt_i32 s1, 9
	s_cbranch_scc0 .LBB87_1245
; %bb.1241:
	global_load_b64 v[16:17], v[14:15], off
	s_mov_b32 s11, 0
	s_wait_loadcnt 0x0
	v_and_or_b32 v1, 0x1ff, v17, v16
	v_lshrrev_b32_e32 v3, 8, v17
	v_bfe_u32 v5, v17, 20, 11
	s_delay_alu instid0(VALU_DEP_3) | instskip(NEXT) | instid1(VALU_DEP_2)
	v_cmp_ne_u32_e32 vcc_lo, 0, v1
	v_sub_nc_u32_e32 v7, 0x3f1, v5
	v_add_nc_u32_e32 v5, 0xfffffc10, v5
	v_cndmask_b32_e64 v1, 0, 1, vcc_lo
	s_delay_alu instid0(VALU_DEP_1) | instskip(NEXT) | instid1(VALU_DEP_4)
	v_and_or_b32 v1, 0xffe, v3, v1
	v_med3_i32 v3, v7, 0, 13
	s_delay_alu instid0(VALU_DEP_2) | instskip(NEXT) | instid1(VALU_DEP_1)
	v_or_b32_e32 v7, 0x1000, v1
	v_lshrrev_b32_e32 v9, v3, v7
	s_delay_alu instid0(VALU_DEP_1) | instskip(NEXT) | instid1(VALU_DEP_1)
	v_lshlrev_b32_e32 v3, v3, v9
	v_cmp_ne_u32_e32 vcc_lo, v3, v7
	v_lshl_or_b32 v7, v5, 12, v1
	v_cndmask_b32_e64 v3, 0, 1, vcc_lo
	v_cmp_gt_i32_e32 vcc_lo, 1, v5
	s_delay_alu instid0(VALU_DEP_2) | instskip(NEXT) | instid1(VALU_DEP_1)
	v_or_b32_e32 v3, v9, v3
	v_cndmask_b32_e32 v3, v7, v3, vcc_lo
	s_delay_alu instid0(VALU_DEP_1) | instskip(NEXT) | instid1(VALU_DEP_1)
	v_and_b32_e32 v7, 7, v3
	v_cmp_lt_i32_e32 vcc_lo, 5, v7
	v_cndmask_b32_e64 v9, 0, 1, vcc_lo
	v_cmp_eq_u32_e32 vcc_lo, 3, v7
	v_cndmask_b32_e64 v7, 0, 1, vcc_lo
	v_cmp_ne_u32_e32 vcc_lo, 0, v1
	s_delay_alu instid0(VALU_DEP_2) | instskip(SKIP_1) | instid1(VALU_DEP_2)
	v_dual_lshrrev_b32 v3, 2, v3 :: v_dual_bitop2_b32 v7, v7, v9 bitop3:0x54
	v_mov_b32_e32 v9, 0x7e00
	v_add_nc_u32_e32 v3, v3, v7
	s_delay_alu instid0(VALU_DEP_2) | instskip(SKIP_1) | instid1(VALU_DEP_3)
	v_cndmask_b32_e32 v1, 0x7c00, v9, vcc_lo
	v_cmp_gt_i32_e32 vcc_lo, 31, v5
	v_cndmask_b32_e32 v3, 0x7c00, v3, vcc_lo
	v_cmp_eq_u32_e32 vcc_lo, 0x40f, v5
	s_delay_alu instid0(VALU_DEP_2) | instskip(SKIP_1) | instid1(VALU_DEP_1)
	v_cndmask_b32_e32 v1, v3, v1, vcc_lo
	v_lshrrev_b32_e32 v3, 16, v17
	v_and_or_b32 v1, 0x8000, v3, v1
	s_branch .LBB87_1246
.LBB87_1242:
                                        ; implicit-def: $vgpr1
	s_branch .LBB87_1263
.LBB87_1243:
                                        ; implicit-def: $vgpr1
	s_branch .LBB87_1252
.LBB87_1244:
	s_mov_b32 s11, -1
                                        ; implicit-def: $vgpr1
	s_branch .LBB87_1249
.LBB87_1245:
	s_mov_b32 s11, -1
                                        ; implicit-def: $vgpr1
.LBB87_1246:
	s_delay_alu instid0(SALU_CYCLE_1)
	s_and_not1_b32 vcc_lo, exec_lo, s11
	s_cbranch_vccnz .LBB87_1248
; %bb.1247:
	global_load_b32 v1, v[14:15], off
	s_wait_loadcnt 0x0
	v_cvt_f16_f32_e32 v1, v1
.LBB87_1248:
	s_mov_b32 s11, 0
.LBB87_1249:
	s_delay_alu instid0(SALU_CYCLE_1)
	s_and_not1_b32 vcc_lo, exec_lo, s11
	s_cbranch_vccnz .LBB87_1251
; %bb.1250:
	global_load_b32 v1, v[14:15], off
.LBB87_1251:
	s_cbranch_execnz .LBB87_1262
.LBB87_1252:
	s_cmp_lt_i32 s1, 6
	s_cbranch_scc1 .LBB87_1255
; %bb.1253:
	s_cmp_gt_i32 s1, 6
	s_cbranch_scc0 .LBB87_1256
; %bb.1254:
	global_load_b64 v[16:17], v[14:15], off
	s_mov_b32 s11, 0
	s_wait_loadcnt 0x0
	v_and_or_b32 v1, 0x1ff, v17, v16
	v_lshrrev_b32_e32 v3, 8, v17
	v_bfe_u32 v5, v17, 20, 11
	s_delay_alu instid0(VALU_DEP_3) | instskip(NEXT) | instid1(VALU_DEP_2)
	v_cmp_ne_u32_e32 vcc_lo, 0, v1
	v_sub_nc_u32_e32 v7, 0x3f1, v5
	v_add_nc_u32_e32 v5, 0xfffffc10, v5
	v_cndmask_b32_e64 v1, 0, 1, vcc_lo
	s_delay_alu instid0(VALU_DEP_1) | instskip(NEXT) | instid1(VALU_DEP_4)
	v_and_or_b32 v1, 0xffe, v3, v1
	v_med3_i32 v3, v7, 0, 13
	s_delay_alu instid0(VALU_DEP_2) | instskip(NEXT) | instid1(VALU_DEP_1)
	v_or_b32_e32 v7, 0x1000, v1
	v_lshrrev_b32_e32 v9, v3, v7
	s_delay_alu instid0(VALU_DEP_1) | instskip(NEXT) | instid1(VALU_DEP_1)
	v_lshlrev_b32_e32 v3, v3, v9
	v_cmp_ne_u32_e32 vcc_lo, v3, v7
	v_lshl_or_b32 v7, v5, 12, v1
	v_cndmask_b32_e64 v3, 0, 1, vcc_lo
	v_cmp_gt_i32_e32 vcc_lo, 1, v5
	s_delay_alu instid0(VALU_DEP_2) | instskip(NEXT) | instid1(VALU_DEP_1)
	v_or_b32_e32 v3, v9, v3
	v_cndmask_b32_e32 v3, v7, v3, vcc_lo
	s_delay_alu instid0(VALU_DEP_1) | instskip(NEXT) | instid1(VALU_DEP_1)
	v_and_b32_e32 v7, 7, v3
	v_cmp_lt_i32_e32 vcc_lo, 5, v7
	v_cndmask_b32_e64 v9, 0, 1, vcc_lo
	v_cmp_eq_u32_e32 vcc_lo, 3, v7
	v_cndmask_b32_e64 v7, 0, 1, vcc_lo
	v_cmp_ne_u32_e32 vcc_lo, 0, v1
	s_delay_alu instid0(VALU_DEP_2) | instskip(SKIP_1) | instid1(VALU_DEP_2)
	v_dual_lshrrev_b32 v3, 2, v3 :: v_dual_bitop2_b32 v7, v7, v9 bitop3:0x54
	v_mov_b32_e32 v9, 0x7e00
	v_add_nc_u32_e32 v3, v3, v7
	s_delay_alu instid0(VALU_DEP_2) | instskip(SKIP_1) | instid1(VALU_DEP_3)
	v_cndmask_b32_e32 v1, 0x7c00, v9, vcc_lo
	v_cmp_gt_i32_e32 vcc_lo, 31, v5
	v_cndmask_b32_e32 v3, 0x7c00, v3, vcc_lo
	v_cmp_eq_u32_e32 vcc_lo, 0x40f, v5
	s_delay_alu instid0(VALU_DEP_2) | instskip(SKIP_1) | instid1(VALU_DEP_1)
	v_cndmask_b32_e32 v1, v3, v1, vcc_lo
	v_lshrrev_b32_e32 v3, 16, v17
	v_and_or_b32 v1, 0x8000, v3, v1
	s_branch .LBB87_1257
.LBB87_1255:
	s_mov_b32 s11, -1
                                        ; implicit-def: $vgpr1
	s_branch .LBB87_1260
.LBB87_1256:
	s_mov_b32 s11, -1
                                        ; implicit-def: $vgpr1
.LBB87_1257:
	s_delay_alu instid0(SALU_CYCLE_1)
	s_and_not1_b32 vcc_lo, exec_lo, s11
	s_cbranch_vccnz .LBB87_1259
; %bb.1258:
	s_wait_loadcnt 0x0
	global_load_b32 v1, v[14:15], off
	s_wait_loadcnt 0x0
	v_cvt_f16_f32_e32 v1, v1
.LBB87_1259:
	s_mov_b32 s11, 0
.LBB87_1260:
	s_delay_alu instid0(SALU_CYCLE_1)
	s_and_not1_b32 vcc_lo, exec_lo, s11
	s_cbranch_vccnz .LBB87_1262
; %bb.1261:
	s_wait_loadcnt 0x0
	global_load_u16 v1, v[14:15], off
.LBB87_1262:
	s_cbranch_execnz .LBB87_1281
.LBB87_1263:
	s_cmp_lt_i32 s1, 2
	s_cbranch_scc1 .LBB87_1267
; %bb.1264:
	s_cmp_lt_i32 s1, 3
	s_cbranch_scc1 .LBB87_1268
; %bb.1265:
	s_cmp_gt_i32 s1, 3
	s_cbranch_scc0 .LBB87_1269
; %bb.1266:
	global_load_b64 v[16:17], v[14:15], off
	s_mov_b32 s11, 0
	s_wait_loadcnt 0x0
	v_xor_b32_e32 v1, v16, v17
	v_cls_i32_e32 v3, v17
	s_delay_alu instid0(VALU_DEP_2) | instskip(NEXT) | instid1(VALU_DEP_1)
	v_ashrrev_i32_e32 v1, 31, v1
	v_add_nc_u32_e32 v1, 32, v1
	s_delay_alu instid0(VALU_DEP_1) | instskip(NEXT) | instid1(VALU_DEP_1)
	v_add_min_u32_e64 v1, v3, -1, v1
	v_lshlrev_b64_e32 v[16:17], v1, v[16:17]
	v_sub_nc_u32_e32 v1, 32, v1
	s_delay_alu instid0(VALU_DEP_2) | instskip(NEXT) | instid1(VALU_DEP_1)
	v_min_u32_e32 v3, 1, v16
	v_or_b32_e32 v3, v17, v3
	s_delay_alu instid0(VALU_DEP_1) | instskip(NEXT) | instid1(VALU_DEP_1)
	v_cvt_f32_i32_e32 v3, v3
	v_ldexp_f32 v1, v3, v1
	s_delay_alu instid0(VALU_DEP_1)
	v_cvt_f16_f32_e32 v1, v1
	s_branch .LBB87_1270
.LBB87_1267:
                                        ; implicit-def: $vgpr1
	s_branch .LBB87_1276
.LBB87_1268:
	s_mov_b32 s11, -1
                                        ; implicit-def: $vgpr1
	s_branch .LBB87_1273
.LBB87_1269:
	s_mov_b32 s11, -1
                                        ; implicit-def: $vgpr1
.LBB87_1270:
	s_delay_alu instid0(SALU_CYCLE_1)
	s_and_not1_b32 vcc_lo, exec_lo, s11
	s_cbranch_vccnz .LBB87_1272
; %bb.1271:
	s_wait_loadcnt 0x0
	global_load_b32 v1, v[14:15], off
	s_wait_loadcnt 0x0
	v_cvt_f32_i32_e32 v1, v1
	s_delay_alu instid0(VALU_DEP_1)
	v_cvt_f16_f32_e32 v1, v1
.LBB87_1272:
	s_mov_b32 s11, 0
.LBB87_1273:
	s_delay_alu instid0(SALU_CYCLE_1)
	s_and_not1_b32 vcc_lo, exec_lo, s11
	s_cbranch_vccnz .LBB87_1275
; %bb.1274:
	s_wait_loadcnt 0x0
	global_load_u16 v1, v[14:15], off
	s_wait_loadcnt 0x0
	v_cvt_f16_i16_e32 v1, v1
.LBB87_1275:
	s_cbranch_execnz .LBB87_1281
.LBB87_1276:
	s_cmp_gt_i32 s1, 0
	s_mov_b32 s1, 0
	s_cbranch_scc0 .LBB87_1278
; %bb.1277:
	s_wait_loadcnt 0x0
	global_load_i8 v1, v[14:15], off
	s_wait_loadcnt 0x0
	v_cvt_f16_i16_e32 v1, v1
	s_branch .LBB87_1279
.LBB87_1278:
	s_mov_b32 s1, -1
                                        ; implicit-def: $vgpr1
.LBB87_1279:
	s_delay_alu instid0(SALU_CYCLE_1)
	s_and_not1_b32 vcc_lo, exec_lo, s1
	s_cbranch_vccnz .LBB87_1281
; %bb.1280:
	s_wait_loadcnt 0x0
	global_load_u8 v1, v[14:15], off
	s_wait_loadcnt 0x0
	v_cvt_f16_u16_e32 v1, v1
.LBB87_1281:
.LBB87_1282:
	v_mov_b32_e32 v13, 0
	s_and_b32 s0, 0xffff, s0
	s_delay_alu instid0(SALU_CYCLE_1) | instskip(NEXT) | instid1(VALU_DEP_1)
	s_cmp_lt_i32 s0, 11
	v_add_nc_u64_e32 v[12:13], s[6:7], v[12:13]
	s_cbranch_scc1 .LBB87_1289
; %bb.1283:
	s_cmp_gt_i32 s0, 25
	s_mov_b32 s11, 0
	s_cbranch_scc0 .LBB87_1291
; %bb.1284:
	s_cmp_gt_i32 s0, 28
	s_cbranch_scc0 .LBB87_1292
; %bb.1285:
	s_cmp_gt_i32 s0, 43
	;; [unrolled: 3-line block ×3, first 2 shown]
	s_cbranch_scc0 .LBB87_1295
; %bb.1287:
	s_cmp_eq_u32 s0, 46
	s_mov_b32 s13, 0
	s_cbranch_scc0 .LBB87_1298
; %bb.1288:
	global_load_b32 v3, v[12:13], off
	s_mov_b32 s1, 0
	s_mov_b32 s12, -1
	s_wait_loadcnt 0x0
	v_lshlrev_b32_e32 v3, 16, v3
	s_delay_alu instid0(VALU_DEP_1)
	v_cvt_f16_f32_e32 v3, v3
	s_branch .LBB87_1300
.LBB87_1289:
	s_mov_b32 s12, 0
                                        ; implicit-def: $vgpr3
	s_cbranch_execnz .LBB87_1365
.LBB87_1290:
	s_and_not1_b32 vcc_lo, exec_lo, s12
	s_cbranch_vccnz .LBB87_2106
	s_branch .LBB87_1412
.LBB87_1291:
	s_mov_b32 s12, 0
	s_mov_b32 s1, 0
                                        ; implicit-def: $vgpr3
	s_cbranch_execnz .LBB87_1329
	s_branch .LBB87_1361
.LBB87_1292:
	s_mov_b32 s13, -1
	s_mov_b32 s12, 0
	s_mov_b32 s1, 0
                                        ; implicit-def: $vgpr3
	s_branch .LBB87_1310
.LBB87_1293:
	s_mov_b32 s13, -1
	s_mov_b32 s12, 0
	s_mov_b32 s1, 0
                                        ; implicit-def: $vgpr3
	s_branch .LBB87_1305
.LBB87_1294:
	s_or_b32 s10, s8, exec_lo
	s_trap 2
	s_cbranch_execz .LBB87_1235
	s_branch .LBB87_1236
.LBB87_1295:
	s_mov_b32 s13, -1
	s_mov_b32 s12, 0
	s_mov_b32 s1, 0
	s_branch .LBB87_1299
.LBB87_1296:
	s_and_not1_saveexec_b32 s11, s11
	s_cbranch_execz .LBB87_1021
.LBB87_1297:
	v_add_f32_e32 v2, 0x42800000, v3
	s_and_not1_b32 s10, s10, exec_lo
	s_delay_alu instid0(VALU_DEP_1) | instskip(NEXT) | instid1(VALU_DEP_1)
	v_and_b32_e32 v2, 0xff, v2
	v_cmp_ne_u32_e32 vcc_lo, 0, v2
	s_and_b32 s12, vcc_lo, exec_lo
	s_delay_alu instid0(SALU_CYCLE_1)
	s_or_b32 s10, s10, s12
	s_or_b32 exec_lo, exec_lo, s11
	v_mov_b32_e32 v4, 0
	s_and_saveexec_b32 s11, s10
	s_cbranch_execnz .LBB87_1022
	s_branch .LBB87_1023
.LBB87_1298:
	s_mov_b32 s1, -1
	s_mov_b32 s12, 0
.LBB87_1299:
                                        ; implicit-def: $vgpr3
.LBB87_1300:
	s_and_b32 vcc_lo, exec_lo, s13
	s_cbranch_vccz .LBB87_1304
; %bb.1301:
	s_cmp_eq_u32 s0, 44
	s_cbranch_scc0 .LBB87_1303
; %bb.1302:
	global_load_u8 v3, v[12:13], off
	s_mov_b32 s1, 0
	s_mov_b32 s12, -1
	s_wait_loadcnt 0x0
	v_lshlrev_b32_e32 v5, 23, v3
	v_cmp_ne_u32_e32 vcc_lo, 0xff, v3
	s_delay_alu instid0(VALU_DEP_2) | instskip(NEXT) | instid1(VALU_DEP_1)
	v_cvt_f16_f32_e32 v5, v5
	v_cndmask_b32_e32 v5, 0x7e00, v5, vcc_lo
	v_cmp_ne_u32_e32 vcc_lo, 0, v3
	s_delay_alu instid0(VALU_DEP_2)
	v_cndmask_b32_e32 v3, 0, v5, vcc_lo
	s_branch .LBB87_1304
.LBB87_1303:
	s_mov_b32 s1, -1
                                        ; implicit-def: $vgpr3
.LBB87_1304:
	s_mov_b32 s13, 0
.LBB87_1305:
	s_delay_alu instid0(SALU_CYCLE_1)
	s_and_b32 vcc_lo, exec_lo, s13
	s_cbranch_vccz .LBB87_1309
; %bb.1306:
	s_cmp_eq_u32 s0, 29
	s_cbranch_scc0 .LBB87_1308
; %bb.1307:
	global_load_b64 v[14:15], v[12:13], off
	s_mov_b32 s1, 0
	s_mov_b32 s12, -1
	s_mov_b32 s13, 0
	s_wait_loadcnt 0x0
	v_clz_i32_u32_e32 v3, v15
	s_delay_alu instid0(VALU_DEP_1) | instskip(NEXT) | instid1(VALU_DEP_1)
	v_min_u32_e32 v3, 32, v3
	v_lshlrev_b64_e32 v[14:15], v3, v[14:15]
	v_sub_nc_u32_e32 v3, 32, v3
	s_delay_alu instid0(VALU_DEP_2) | instskip(NEXT) | instid1(VALU_DEP_1)
	v_min_u32_e32 v5, 1, v14
	v_or_b32_e32 v5, v15, v5
	s_delay_alu instid0(VALU_DEP_1) | instskip(NEXT) | instid1(VALU_DEP_1)
	v_cvt_f32_u32_e32 v5, v5
	v_ldexp_f32 v3, v5, v3
	s_delay_alu instid0(VALU_DEP_1)
	v_cvt_f16_f32_e32 v3, v3
	s_branch .LBB87_1310
.LBB87_1308:
	s_mov_b32 s1, -1
                                        ; implicit-def: $vgpr3
.LBB87_1309:
	s_mov_b32 s13, 0
.LBB87_1310:
	s_delay_alu instid0(SALU_CYCLE_1)
	s_and_b32 vcc_lo, exec_lo, s13
	s_cbranch_vccz .LBB87_1328
; %bb.1311:
	s_cmp_lt_i32 s0, 27
	s_cbranch_scc1 .LBB87_1314
; %bb.1312:
	s_cmp_gt_i32 s0, 27
	s_cbranch_scc0 .LBB87_1315
; %bb.1313:
	global_load_b32 v3, v[12:13], off
	s_mov_b32 s12, 0
	s_wait_loadcnt 0x0
	v_cvt_f32_u32_e32 v3, v3
	s_delay_alu instid0(VALU_DEP_1)
	v_cvt_f16_f32_e32 v3, v3
	s_branch .LBB87_1316
.LBB87_1314:
	s_mov_b32 s12, -1
                                        ; implicit-def: $vgpr3
	s_branch .LBB87_1319
.LBB87_1315:
	s_mov_b32 s12, -1
                                        ; implicit-def: $vgpr3
.LBB87_1316:
	s_delay_alu instid0(SALU_CYCLE_1)
	s_and_not1_b32 vcc_lo, exec_lo, s12
	s_cbranch_vccnz .LBB87_1318
; %bb.1317:
	global_load_u16 v3, v[12:13], off
	s_wait_loadcnt 0x0
	v_cvt_f16_u16_e32 v3, v3
.LBB87_1318:
	s_mov_b32 s12, 0
.LBB87_1319:
	s_delay_alu instid0(SALU_CYCLE_1)
	s_and_not1_b32 vcc_lo, exec_lo, s12
	s_cbranch_vccnz .LBB87_1327
; %bb.1320:
	global_load_u8 v5, v[12:13], off
	s_mov_b32 s12, 0
	s_mov_b32 s13, exec_lo
	s_wait_loadcnt 0x0
	v_cmpx_lt_i16_e32 0x7f, v5
	s_xor_b32 s13, exec_lo, s13
	s_cbranch_execz .LBB87_1340
; %bb.1321:
	s_mov_b32 s12, -1
	s_mov_b32 s14, exec_lo
	v_cmpx_eq_u16_e32 0x80, v5
; %bb.1322:
	s_xor_b32 s12, exec_lo, -1
; %bb.1323:
	s_or_b32 exec_lo, exec_lo, s14
	s_delay_alu instid0(SALU_CYCLE_1)
	s_and_b32 s12, s12, exec_lo
	s_or_saveexec_b32 s13, s13
	v_mov_b32_e32 v3, 0x7e00
	s_xor_b32 exec_lo, exec_lo, s13
	s_cbranch_execnz .LBB87_1341
.LBB87_1324:
	s_or_b32 exec_lo, exec_lo, s13
	s_and_saveexec_b32 s13, s12
	s_cbranch_execz .LBB87_1326
.LBB87_1325:
	v_and_b32_e32 v3, 0xffff, v5
	s_delay_alu instid0(VALU_DEP_1) | instskip(SKIP_1) | instid1(VALU_DEP_2)
	v_and_b32_e32 v7, 7, v3
	v_bfe_u32 v14, v3, 3, 4
	v_clz_i32_u32_e32 v9, v7
	s_delay_alu instid0(VALU_DEP_2) | instskip(NEXT) | instid1(VALU_DEP_2)
	v_cmp_eq_u32_e32 vcc_lo, 0, v14
	v_min_u32_e32 v9, 32, v9
	s_delay_alu instid0(VALU_DEP_1) | instskip(NEXT) | instid1(VALU_DEP_1)
	v_subrev_nc_u32_e32 v11, 28, v9
	v_dual_lshlrev_b32 v3, v11, v3 :: v_dual_sub_nc_u32 v9, 29, v9
	s_delay_alu instid0(VALU_DEP_1) | instskip(NEXT) | instid1(VALU_DEP_1)
	v_dual_lshlrev_b32 v5, 24, v5 :: v_dual_bitop2_b32 v3, 7, v3 bitop3:0x40
	v_dual_cndmask_b32 v3, v7, v3, vcc_lo :: v_dual_cndmask_b32 v9, v14, v9, vcc_lo
	s_delay_alu instid0(VALU_DEP_2) | instskip(NEXT) | instid1(VALU_DEP_2)
	v_and_b32_e32 v5, 0x80000000, v5
	v_lshlrev_b32_e32 v3, 20, v3
	s_delay_alu instid0(VALU_DEP_3) | instskip(NEXT) | instid1(VALU_DEP_1)
	v_lshl_add_u32 v7, v9, 23, 0x3b800000
	v_or3_b32 v3, v5, v7, v3
	s_delay_alu instid0(VALU_DEP_1)
	v_cvt_f16_f32_e32 v3, v3
.LBB87_1326:
	s_or_b32 exec_lo, exec_lo, s13
.LBB87_1327:
	s_mov_b32 s12, -1
.LBB87_1328:
	s_branch .LBB87_1361
.LBB87_1329:
	s_cmp_gt_i32 s0, 22
	s_cbranch_scc0 .LBB87_1339
; %bb.1330:
	s_cmp_lt_i32 s0, 24
	s_cbranch_scc1 .LBB87_1342
; %bb.1331:
	s_cmp_gt_i32 s0, 24
	s_cbranch_scc0 .LBB87_1343
; %bb.1332:
	global_load_u8 v5, v[12:13], off
	s_mov_b32 s12, exec_lo
	s_wait_loadcnt 0x0
	v_cmpx_lt_i16_e32 0x7f, v5
	s_xor_b32 s12, exec_lo, s12
	s_cbranch_execz .LBB87_1355
; %bb.1333:
	s_mov_b32 s11, -1
	s_mov_b32 s13, exec_lo
	v_cmpx_eq_u16_e32 0x80, v5
; %bb.1334:
	s_xor_b32 s11, exec_lo, -1
; %bb.1335:
	s_or_b32 exec_lo, exec_lo, s13
	s_delay_alu instid0(SALU_CYCLE_1)
	s_and_b32 s11, s11, exec_lo
	s_or_saveexec_b32 s12, s12
	v_mov_b32_e32 v3, 0x7e00
	s_xor_b32 exec_lo, exec_lo, s12
	s_cbranch_execnz .LBB87_1356
.LBB87_1336:
	s_or_b32 exec_lo, exec_lo, s12
	s_and_saveexec_b32 s12, s11
	s_cbranch_execz .LBB87_1338
.LBB87_1337:
	v_and_b32_e32 v3, 0xffff, v5
	s_delay_alu instid0(VALU_DEP_1) | instskip(SKIP_1) | instid1(VALU_DEP_2)
	v_and_b32_e32 v7, 3, v3
	v_bfe_u32 v14, v3, 2, 5
	v_clz_i32_u32_e32 v9, v7
	s_delay_alu instid0(VALU_DEP_2) | instskip(NEXT) | instid1(VALU_DEP_2)
	v_cmp_eq_u32_e32 vcc_lo, 0, v14
	v_min_u32_e32 v9, 32, v9
	s_delay_alu instid0(VALU_DEP_1) | instskip(NEXT) | instid1(VALU_DEP_1)
	v_subrev_nc_u32_e32 v11, 29, v9
	v_dual_lshlrev_b32 v3, v11, v3 :: v_dual_sub_nc_u32 v9, 30, v9
	s_delay_alu instid0(VALU_DEP_1) | instskip(NEXT) | instid1(VALU_DEP_1)
	v_dual_lshlrev_b32 v5, 24, v5 :: v_dual_bitop2_b32 v3, 3, v3 bitop3:0x40
	v_dual_cndmask_b32 v3, v7, v3, vcc_lo :: v_dual_cndmask_b32 v9, v14, v9, vcc_lo
	s_delay_alu instid0(VALU_DEP_2) | instskip(NEXT) | instid1(VALU_DEP_2)
	v_and_b32_e32 v5, 0x80000000, v5
	v_lshlrev_b32_e32 v3, 21, v3
	s_delay_alu instid0(VALU_DEP_3) | instskip(NEXT) | instid1(VALU_DEP_1)
	v_lshl_add_u32 v7, v9, 23, 0x37800000
	v_or3_b32 v3, v5, v7, v3
	s_delay_alu instid0(VALU_DEP_1)
	v_cvt_f16_f32_e32 v3, v3
.LBB87_1338:
	s_or_b32 exec_lo, exec_lo, s12
	s_mov_b32 s11, 0
	s_branch .LBB87_1344
.LBB87_1339:
	s_mov_b32 s11, -1
                                        ; implicit-def: $vgpr3
	s_branch .LBB87_1350
.LBB87_1340:
	s_or_saveexec_b32 s13, s13
	v_mov_b32_e32 v3, 0x7e00
	s_xor_b32 exec_lo, exec_lo, s13
	s_cbranch_execz .LBB87_1324
.LBB87_1341:
	v_cmp_ne_u16_e32 vcc_lo, 0, v5
	v_mov_b32_e32 v3, v5
	s_and_not1_b32 s12, s12, exec_lo
	s_and_b32 s14, vcc_lo, exec_lo
	s_delay_alu instid0(SALU_CYCLE_1)
	s_or_b32 s12, s12, s14
	s_or_b32 exec_lo, exec_lo, s13
	s_and_saveexec_b32 s13, s12
	s_cbranch_execnz .LBB87_1325
	s_branch .LBB87_1326
.LBB87_1342:
	s_mov_b32 s11, -1
                                        ; implicit-def: $vgpr3
	s_branch .LBB87_1347
.LBB87_1343:
	s_mov_b32 s11, -1
                                        ; implicit-def: $vgpr3
.LBB87_1344:
	s_delay_alu instid0(SALU_CYCLE_1)
	s_and_b32 vcc_lo, exec_lo, s11
	s_cbranch_vccz .LBB87_1346
; %bb.1345:
	global_load_u8 v3, v[12:13], off
	s_wait_loadcnt 0x0
	v_lshlrev_b32_e32 v3, 24, v3
	s_delay_alu instid0(VALU_DEP_1) | instskip(NEXT) | instid1(VALU_DEP_1)
	v_and_b32_e32 v5, 0x7f000000, v3
	v_clz_i32_u32_e32 v7, v5
	v_add_nc_u32_e32 v11, 0x1000000, v5
	v_cmp_ne_u32_e32 vcc_lo, 0, v5
	s_delay_alu instid0(VALU_DEP_3) | instskip(NEXT) | instid1(VALU_DEP_1)
	v_min_u32_e32 v7, 32, v7
	v_sub_nc_u32_e64 v7, v7, 4 clamp
	s_delay_alu instid0(VALU_DEP_1) | instskip(NEXT) | instid1(VALU_DEP_1)
	v_dual_lshlrev_b32 v9, v7, v5 :: v_dual_lshlrev_b32 v7, 23, v7
	v_lshrrev_b32_e32 v9, 4, v9
	s_delay_alu instid0(VALU_DEP_1) | instskip(SKIP_1) | instid1(VALU_DEP_2)
	v_sub_nc_u32_e32 v7, v9, v7
	v_ashrrev_i32_e32 v9, 8, v11
	v_add_nc_u32_e32 v7, 0x3c000000, v7
	s_delay_alu instid0(VALU_DEP_1) | instskip(NEXT) | instid1(VALU_DEP_1)
	v_and_or_b32 v7, 0x7f800000, v9, v7
	v_cndmask_b32_e32 v5, 0, v7, vcc_lo
	s_delay_alu instid0(VALU_DEP_1) | instskip(NEXT) | instid1(VALU_DEP_1)
	v_and_or_b32 v3, 0x80000000, v3, v5
	v_cvt_f16_f32_e32 v3, v3
.LBB87_1346:
	s_mov_b32 s11, 0
.LBB87_1347:
	s_delay_alu instid0(SALU_CYCLE_1)
	s_and_not1_b32 vcc_lo, exec_lo, s11
	s_cbranch_vccnz .LBB87_1349
; %bb.1348:
	global_load_u8 v3, v[12:13], off
	s_wait_loadcnt 0x0
	v_lshlrev_b32_e32 v5, 25, v3
	v_lshlrev_b16 v3, 8, v3
	s_delay_alu instid0(VALU_DEP_1) | instskip(SKIP_1) | instid1(VALU_DEP_2)
	v_and_or_b32 v9, 0x7f00, v3, 0.5
	v_bfe_i32 v3, v3, 0, 16
	v_add_f32_e32 v9, -0.5, v9
	v_lshrrev_b32_e32 v7, 4, v5
	v_cmp_gt_u32_e32 vcc_lo, 0x8000000, v5
	s_delay_alu instid0(VALU_DEP_2) | instskip(NEXT) | instid1(VALU_DEP_1)
	v_or_b32_e32 v7, 0x70000000, v7
	v_mul_f32_e32 v7, 0x7800000, v7
	s_delay_alu instid0(VALU_DEP_1) | instskip(NEXT) | instid1(VALU_DEP_1)
	v_cndmask_b32_e32 v5, v7, v9, vcc_lo
	v_and_or_b32 v3, 0x80000000, v3, v5
	s_delay_alu instid0(VALU_DEP_1)
	v_cvt_f16_f32_e32 v3, v3
.LBB87_1349:
	s_mov_b32 s11, 0
	s_mov_b32 s12, -1
.LBB87_1350:
	s_and_not1_b32 vcc_lo, exec_lo, s11
	s_mov_b32 s11, 0
	s_cbranch_vccnz .LBB87_1361
; %bb.1351:
	s_cmp_gt_i32 s0, 14
	s_cbranch_scc0 .LBB87_1354
; %bb.1352:
	s_cmp_eq_u32 s0, 15
	s_cbranch_scc0 .LBB87_1357
; %bb.1353:
	global_load_u16 v3, v[12:13], off
	s_mov_b32 s1, 0
	s_mov_b32 s12, -1
	s_wait_loadcnt 0x0
	v_lshlrev_b32_e32 v3, 16, v3
	s_delay_alu instid0(VALU_DEP_1)
	v_cvt_f16_f32_e32 v3, v3
	s_branch .LBB87_1359
.LBB87_1354:
	s_mov_b32 s11, -1
	s_branch .LBB87_1358
.LBB87_1355:
	s_or_saveexec_b32 s12, s12
	v_mov_b32_e32 v3, 0x7e00
	s_xor_b32 exec_lo, exec_lo, s12
	s_cbranch_execz .LBB87_1336
.LBB87_1356:
	v_cmp_ne_u16_e32 vcc_lo, 0, v5
	v_mov_b32_e32 v3, v5
	s_and_not1_b32 s11, s11, exec_lo
	s_and_b32 s13, vcc_lo, exec_lo
	s_delay_alu instid0(SALU_CYCLE_1)
	s_or_b32 s11, s11, s13
	s_or_b32 exec_lo, exec_lo, s12
	s_and_saveexec_b32 s12, s11
	s_cbranch_execnz .LBB87_1337
	s_branch .LBB87_1338
.LBB87_1357:
	s_mov_b32 s1, -1
.LBB87_1358:
                                        ; implicit-def: $vgpr3
.LBB87_1359:
	s_and_b32 vcc_lo, exec_lo, s11
	s_mov_b32 s11, 0
	s_cbranch_vccz .LBB87_1361
; %bb.1360:
	s_cmp_lg_u32 s0, 11
	s_mov_b32 s11, -1
	s_cselect_b32 s1, -1, 0
.LBB87_1361:
	s_delay_alu instid0(SALU_CYCLE_1)
	s_and_b32 vcc_lo, exec_lo, s1
	s_cbranch_vccnz .LBB87_1424
; %bb.1362:
	s_and_not1_b32 vcc_lo, exec_lo, s11
	s_cbranch_vccnz .LBB87_1364
.LBB87_1363:
	global_load_u8 v3, v[12:13], off
	s_mov_b32 s12, -1
	s_wait_loadcnt 0x0
	v_cmp_ne_u16_e32 vcc_lo, 0, v3
	v_cndmask_b32_e64 v3, 0, 0x3c00, vcc_lo
.LBB87_1364:
	s_branch .LBB87_1290
.LBB87_1365:
	s_cmp_lt_i32 s0, 5
	s_cbranch_scc1 .LBB87_1370
; %bb.1366:
	s_cmp_lt_i32 s0, 8
	s_cbranch_scc1 .LBB87_1371
; %bb.1367:
	;; [unrolled: 3-line block ×3, first 2 shown]
	s_cmp_gt_i32 s0, 9
	s_cbranch_scc0 .LBB87_1373
; %bb.1369:
	global_load_b64 v[14:15], v[12:13], off
	s_mov_b32 s1, 0
	s_wait_loadcnt 0x0
	v_and_or_b32 v3, 0x1ff, v15, v14
	v_lshrrev_b32_e32 v5, 8, v15
	v_bfe_u32 v7, v15, 20, 11
	s_delay_alu instid0(VALU_DEP_3) | instskip(NEXT) | instid1(VALU_DEP_2)
	v_cmp_ne_u32_e32 vcc_lo, 0, v3
	v_sub_nc_u32_e32 v9, 0x3f1, v7
	v_add_nc_u32_e32 v7, 0xfffffc10, v7
	v_cndmask_b32_e64 v3, 0, 1, vcc_lo
	s_delay_alu instid0(VALU_DEP_1) | instskip(NEXT) | instid1(VALU_DEP_4)
	v_and_or_b32 v3, 0xffe, v5, v3
	v_med3_i32 v5, v9, 0, 13
	s_delay_alu instid0(VALU_DEP_2) | instskip(NEXT) | instid1(VALU_DEP_1)
	v_or_b32_e32 v9, 0x1000, v3
	v_lshrrev_b32_e32 v11, v5, v9
	s_delay_alu instid0(VALU_DEP_1) | instskip(NEXT) | instid1(VALU_DEP_1)
	v_lshlrev_b32_e32 v5, v5, v11
	v_cmp_ne_u32_e32 vcc_lo, v5, v9
	v_lshl_or_b32 v9, v7, 12, v3
	v_cndmask_b32_e64 v5, 0, 1, vcc_lo
	v_cmp_gt_i32_e32 vcc_lo, 1, v7
	s_delay_alu instid0(VALU_DEP_2) | instskip(NEXT) | instid1(VALU_DEP_1)
	v_or_b32_e32 v5, v11, v5
	v_cndmask_b32_e32 v5, v9, v5, vcc_lo
	s_delay_alu instid0(VALU_DEP_1) | instskip(NEXT) | instid1(VALU_DEP_1)
	v_and_b32_e32 v9, 7, v5
	v_cmp_lt_i32_e32 vcc_lo, 5, v9
	v_cndmask_b32_e64 v11, 0, 1, vcc_lo
	v_cmp_eq_u32_e32 vcc_lo, 3, v9
	v_cndmask_b32_e64 v9, 0, 1, vcc_lo
	v_cmp_ne_u32_e32 vcc_lo, 0, v3
	s_delay_alu instid0(VALU_DEP_2) | instskip(SKIP_1) | instid1(VALU_DEP_2)
	v_dual_lshrrev_b32 v5, 2, v5 :: v_dual_bitop2_b32 v9, v9, v11 bitop3:0x54
	v_mov_b32_e32 v11, 0x7e00
	v_add_nc_u32_e32 v5, v5, v9
	s_delay_alu instid0(VALU_DEP_2) | instskip(SKIP_1) | instid1(VALU_DEP_3)
	v_cndmask_b32_e32 v3, 0x7c00, v11, vcc_lo
	v_cmp_gt_i32_e32 vcc_lo, 31, v7
	v_cndmask_b32_e32 v5, 0x7c00, v5, vcc_lo
	v_cmp_eq_u32_e32 vcc_lo, 0x40f, v7
	s_delay_alu instid0(VALU_DEP_2) | instskip(SKIP_1) | instid1(VALU_DEP_1)
	v_cndmask_b32_e32 v3, v5, v3, vcc_lo
	v_lshrrev_b32_e32 v5, 16, v15
	v_and_or_b32 v3, 0x8000, v5, v3
	s_branch .LBB87_1374
.LBB87_1370:
                                        ; implicit-def: $vgpr3
	s_branch .LBB87_1392
.LBB87_1371:
	s_mov_b32 s1, -1
                                        ; implicit-def: $vgpr3
	s_branch .LBB87_1380
.LBB87_1372:
	s_mov_b32 s1, -1
                                        ; implicit-def: $vgpr3
	s_branch .LBB87_1377
.LBB87_1373:
	s_mov_b32 s1, -1
                                        ; implicit-def: $vgpr3
.LBB87_1374:
	s_delay_alu instid0(SALU_CYCLE_1)
	s_and_not1_b32 vcc_lo, exec_lo, s1
	s_cbranch_vccnz .LBB87_1376
; %bb.1375:
	global_load_b32 v3, v[12:13], off
	s_wait_loadcnt 0x0
	v_cvt_f16_f32_e32 v3, v3
.LBB87_1376:
	s_mov_b32 s1, 0
.LBB87_1377:
	s_delay_alu instid0(SALU_CYCLE_1)
	s_and_not1_b32 vcc_lo, exec_lo, s1
	s_cbranch_vccnz .LBB87_1379
; %bb.1378:
	global_load_b32 v3, v[12:13], off
.LBB87_1379:
	s_mov_b32 s1, 0
.LBB87_1380:
	s_delay_alu instid0(SALU_CYCLE_1)
	s_and_not1_b32 vcc_lo, exec_lo, s1
	s_cbranch_vccnz .LBB87_1391
; %bb.1381:
	s_cmp_lt_i32 s0, 6
	s_cbranch_scc1 .LBB87_1384
; %bb.1382:
	s_cmp_gt_i32 s0, 6
	s_cbranch_scc0 .LBB87_1385
; %bb.1383:
	global_load_b64 v[14:15], v[12:13], off
	s_mov_b32 s1, 0
	s_wait_loadcnt 0x0
	v_and_or_b32 v3, 0x1ff, v15, v14
	v_lshrrev_b32_e32 v5, 8, v15
	v_bfe_u32 v7, v15, 20, 11
	s_delay_alu instid0(VALU_DEP_3) | instskip(NEXT) | instid1(VALU_DEP_2)
	v_cmp_ne_u32_e32 vcc_lo, 0, v3
	v_sub_nc_u32_e32 v9, 0x3f1, v7
	v_add_nc_u32_e32 v7, 0xfffffc10, v7
	v_cndmask_b32_e64 v3, 0, 1, vcc_lo
	s_delay_alu instid0(VALU_DEP_1) | instskip(NEXT) | instid1(VALU_DEP_4)
	v_and_or_b32 v3, 0xffe, v5, v3
	v_med3_i32 v5, v9, 0, 13
	s_delay_alu instid0(VALU_DEP_2) | instskip(NEXT) | instid1(VALU_DEP_1)
	v_or_b32_e32 v9, 0x1000, v3
	v_lshrrev_b32_e32 v11, v5, v9
	s_delay_alu instid0(VALU_DEP_1) | instskip(NEXT) | instid1(VALU_DEP_1)
	v_lshlrev_b32_e32 v5, v5, v11
	v_cmp_ne_u32_e32 vcc_lo, v5, v9
	v_lshl_or_b32 v9, v7, 12, v3
	v_cndmask_b32_e64 v5, 0, 1, vcc_lo
	v_cmp_gt_i32_e32 vcc_lo, 1, v7
	s_delay_alu instid0(VALU_DEP_2) | instskip(NEXT) | instid1(VALU_DEP_1)
	v_or_b32_e32 v5, v11, v5
	v_cndmask_b32_e32 v5, v9, v5, vcc_lo
	s_delay_alu instid0(VALU_DEP_1) | instskip(NEXT) | instid1(VALU_DEP_1)
	v_and_b32_e32 v9, 7, v5
	v_cmp_lt_i32_e32 vcc_lo, 5, v9
	v_cndmask_b32_e64 v11, 0, 1, vcc_lo
	v_cmp_eq_u32_e32 vcc_lo, 3, v9
	v_cndmask_b32_e64 v9, 0, 1, vcc_lo
	v_cmp_ne_u32_e32 vcc_lo, 0, v3
	s_delay_alu instid0(VALU_DEP_2) | instskip(SKIP_1) | instid1(VALU_DEP_2)
	v_dual_lshrrev_b32 v5, 2, v5 :: v_dual_bitop2_b32 v9, v9, v11 bitop3:0x54
	v_mov_b32_e32 v11, 0x7e00
	v_add_nc_u32_e32 v5, v5, v9
	s_delay_alu instid0(VALU_DEP_2) | instskip(SKIP_1) | instid1(VALU_DEP_3)
	v_cndmask_b32_e32 v3, 0x7c00, v11, vcc_lo
	v_cmp_gt_i32_e32 vcc_lo, 31, v7
	v_cndmask_b32_e32 v5, 0x7c00, v5, vcc_lo
	v_cmp_eq_u32_e32 vcc_lo, 0x40f, v7
	s_delay_alu instid0(VALU_DEP_2) | instskip(SKIP_1) | instid1(VALU_DEP_1)
	v_cndmask_b32_e32 v3, v5, v3, vcc_lo
	v_lshrrev_b32_e32 v5, 16, v15
	v_and_or_b32 v3, 0x8000, v5, v3
	s_branch .LBB87_1386
.LBB87_1384:
	s_mov_b32 s1, -1
                                        ; implicit-def: $vgpr3
	s_branch .LBB87_1389
.LBB87_1385:
	s_mov_b32 s1, -1
                                        ; implicit-def: $vgpr3
.LBB87_1386:
	s_delay_alu instid0(SALU_CYCLE_1)
	s_and_not1_b32 vcc_lo, exec_lo, s1
	s_cbranch_vccnz .LBB87_1388
; %bb.1387:
	s_wait_loadcnt 0x0
	global_load_b32 v3, v[12:13], off
	s_wait_loadcnt 0x0
	v_cvt_f16_f32_e32 v3, v3
.LBB87_1388:
	s_mov_b32 s1, 0
.LBB87_1389:
	s_delay_alu instid0(SALU_CYCLE_1)
	s_and_not1_b32 vcc_lo, exec_lo, s1
	s_cbranch_vccnz .LBB87_1391
; %bb.1390:
	s_wait_loadcnt 0x0
	global_load_u16 v3, v[12:13], off
.LBB87_1391:
	s_cbranch_execnz .LBB87_1411
.LBB87_1392:
	s_cmp_lt_i32 s0, 2
	s_cbranch_scc1 .LBB87_1396
; %bb.1393:
	s_cmp_lt_i32 s0, 3
	s_cbranch_scc1 .LBB87_1397
; %bb.1394:
	s_cmp_gt_i32 s0, 3
	s_cbranch_scc0 .LBB87_1398
; %bb.1395:
	global_load_b64 v[14:15], v[12:13], off
	s_mov_b32 s1, 0
	s_wait_loadcnt 0x0
	v_xor_b32_e32 v3, v14, v15
	v_cls_i32_e32 v5, v15
	s_delay_alu instid0(VALU_DEP_2) | instskip(NEXT) | instid1(VALU_DEP_1)
	v_ashrrev_i32_e32 v3, 31, v3
	v_add_nc_u32_e32 v3, 32, v3
	s_delay_alu instid0(VALU_DEP_1) | instskip(NEXT) | instid1(VALU_DEP_1)
	v_add_min_u32_e64 v3, v5, -1, v3
	v_lshlrev_b64_e32 v[14:15], v3, v[14:15]
	v_sub_nc_u32_e32 v3, 32, v3
	s_delay_alu instid0(VALU_DEP_2) | instskip(NEXT) | instid1(VALU_DEP_1)
	v_min_u32_e32 v5, 1, v14
	v_or_b32_e32 v5, v15, v5
	s_delay_alu instid0(VALU_DEP_1) | instskip(NEXT) | instid1(VALU_DEP_1)
	v_cvt_f32_i32_e32 v5, v5
	v_ldexp_f32 v3, v5, v3
	s_delay_alu instid0(VALU_DEP_1)
	v_cvt_f16_f32_e32 v3, v3
	s_branch .LBB87_1399
.LBB87_1396:
	s_mov_b32 s1, -1
                                        ; implicit-def: $vgpr3
	s_branch .LBB87_1405
.LBB87_1397:
	s_mov_b32 s1, -1
                                        ; implicit-def: $vgpr3
	s_branch .LBB87_1402
.LBB87_1398:
	s_mov_b32 s1, -1
                                        ; implicit-def: $vgpr3
.LBB87_1399:
	s_delay_alu instid0(SALU_CYCLE_1)
	s_and_not1_b32 vcc_lo, exec_lo, s1
	s_cbranch_vccnz .LBB87_1401
; %bb.1400:
	s_wait_loadcnt 0x0
	global_load_b32 v3, v[12:13], off
	s_wait_loadcnt 0x0
	v_cvt_f32_i32_e32 v3, v3
	s_delay_alu instid0(VALU_DEP_1)
	v_cvt_f16_f32_e32 v3, v3
.LBB87_1401:
	s_mov_b32 s1, 0
.LBB87_1402:
	s_delay_alu instid0(SALU_CYCLE_1)
	s_and_not1_b32 vcc_lo, exec_lo, s1
	s_cbranch_vccnz .LBB87_1404
; %bb.1403:
	s_wait_loadcnt 0x0
	global_load_u16 v3, v[12:13], off
	s_wait_loadcnt 0x0
	v_cvt_f16_i16_e32 v3, v3
.LBB87_1404:
	s_mov_b32 s1, 0
.LBB87_1405:
	s_delay_alu instid0(SALU_CYCLE_1)
	s_and_not1_b32 vcc_lo, exec_lo, s1
	s_cbranch_vccnz .LBB87_1411
; %bb.1406:
	s_cmp_gt_i32 s0, 0
	s_mov_b32 s1, 0
	s_cbranch_scc0 .LBB87_1408
; %bb.1407:
	s_wait_loadcnt 0x0
	global_load_i8 v3, v[12:13], off
	s_wait_loadcnt 0x0
	v_cvt_f16_i16_e32 v3, v3
	s_branch .LBB87_1409
.LBB87_1408:
	s_mov_b32 s1, -1
                                        ; implicit-def: $vgpr3
.LBB87_1409:
	s_delay_alu instid0(SALU_CYCLE_1)
	s_and_not1_b32 vcc_lo, exec_lo, s1
	s_cbranch_vccnz .LBB87_1411
; %bb.1410:
	s_wait_loadcnt 0x0
	global_load_u8 v3, v[12:13], off
	s_wait_loadcnt 0x0
	v_cvt_f16_u16_e32 v3, v3
.LBB87_1411:
.LBB87_1412:
	v_mov_b32_e32 v11, 0
	s_cmp_lt_i32 s0, 11
	s_delay_alu instid0(VALU_DEP_1)
	v_add_nc_u64_e32 v[10:11], s[6:7], v[10:11]
	s_cbranch_scc1 .LBB87_1419
; %bb.1413:
	s_cmp_gt_i32 s0, 25
	s_mov_b32 s11, 0
	s_cbranch_scc0 .LBB87_1421
; %bb.1414:
	s_cmp_gt_i32 s0, 28
	s_cbranch_scc0 .LBB87_1422
; %bb.1415:
	s_cmp_gt_i32 s0, 43
	;; [unrolled: 3-line block ×3, first 2 shown]
	s_cbranch_scc0 .LBB87_1425
; %bb.1417:
	s_cmp_eq_u32 s0, 46
	s_mov_b32 s13, 0
	s_cbranch_scc0 .LBB87_1426
; %bb.1418:
	global_load_b32 v5, v[10:11], off
	s_mov_b32 s1, 0
	s_mov_b32 s12, -1
	s_wait_loadcnt 0x0
	v_lshlrev_b32_e32 v5, 16, v5
	s_wait_xcnt 0x1
	s_delay_alu instid0(VALU_DEP_1)
	v_cvt_f16_f32_e32 v12, v5
	s_branch .LBB87_1428
.LBB87_1419:
	s_mov_b32 s12, 0
                                        ; implicit-def: $vgpr12
	s_cbranch_execnz .LBB87_1494
.LBB87_1420:
	s_and_not1_b32 vcc_lo, exec_lo, s12
	s_cbranch_vccnz .LBB87_2106
	s_branch .LBB87_1542
.LBB87_1421:
	s_mov_b32 s13, -1
	s_mov_b32 s12, 0
	s_mov_b32 s1, 0
                                        ; implicit-def: $vgpr12
	s_branch .LBB87_1457
.LBB87_1422:
	s_mov_b32 s13, -1
	s_mov_b32 s12, 0
	s_mov_b32 s1, 0
                                        ; implicit-def: $vgpr12
	s_branch .LBB87_1438
.LBB87_1423:
	s_mov_b32 s13, -1
	s_mov_b32 s12, 0
	s_mov_b32 s1, 0
                                        ; implicit-def: $vgpr12
	s_branch .LBB87_1433
.LBB87_1424:
	s_or_b32 s10, s10, exec_lo
	s_trap 2
	s_cbranch_execz .LBB87_1363
	s_branch .LBB87_1364
.LBB87_1425:
	s_mov_b32 s13, -1
	s_mov_b32 s12, 0
	s_mov_b32 s1, 0
	s_branch .LBB87_1427
.LBB87_1426:
	s_mov_b32 s1, -1
	s_mov_b32 s12, 0
.LBB87_1427:
                                        ; implicit-def: $vgpr12
.LBB87_1428:
	s_and_b32 vcc_lo, exec_lo, s13
	s_cbranch_vccz .LBB87_1432
; %bb.1429:
	s_cmp_eq_u32 s0, 44
	s_cbranch_scc0 .LBB87_1431
; %bb.1430:
	global_load_u8 v5, v[10:11], off
	s_mov_b32 s1, 0
	s_mov_b32 s12, -1
	s_wait_loadcnt 0x0
	v_lshlrev_b32_e32 v7, 23, v5
	v_cmp_ne_u32_e32 vcc_lo, 0xff, v5
	s_delay_alu instid0(VALU_DEP_2) | instskip(NEXT) | instid1(VALU_DEP_1)
	v_cvt_f16_f32_e32 v7, v7
	v_cndmask_b32_e32 v7, 0x7e00, v7, vcc_lo
	v_cmp_ne_u32_e32 vcc_lo, 0, v5
	s_wait_xcnt 0x1
	s_delay_alu instid0(VALU_DEP_2)
	v_cndmask_b32_e32 v12, 0, v7, vcc_lo
	s_branch .LBB87_1432
.LBB87_1431:
	s_mov_b32 s1, -1
                                        ; implicit-def: $vgpr12
.LBB87_1432:
	s_mov_b32 s13, 0
.LBB87_1433:
	s_delay_alu instid0(SALU_CYCLE_1)
	s_and_b32 vcc_lo, exec_lo, s13
	s_cbranch_vccz .LBB87_1437
; %bb.1434:
	s_cmp_eq_u32 s0, 29
	s_cbranch_scc0 .LBB87_1436
; %bb.1435:
	global_load_b64 v[12:13], v[10:11], off
	s_mov_b32 s1, 0
	s_mov_b32 s12, -1
	s_mov_b32 s13, 0
	s_wait_loadcnt 0x0
	v_clz_i32_u32_e32 v5, v13
	s_delay_alu instid0(VALU_DEP_1) | instskip(NEXT) | instid1(VALU_DEP_1)
	v_min_u32_e32 v5, 32, v5
	v_lshlrev_b64_e32 v[12:13], v5, v[12:13]
	v_sub_nc_u32_e32 v5, 32, v5
	s_delay_alu instid0(VALU_DEP_2) | instskip(NEXT) | instid1(VALU_DEP_1)
	v_min_u32_e32 v7, 1, v12
	v_or_b32_e32 v7, v13, v7
	s_delay_alu instid0(VALU_DEP_1) | instskip(NEXT) | instid1(VALU_DEP_1)
	v_cvt_f32_u32_e32 v7, v7
	v_ldexp_f32 v5, v7, v5
	s_delay_alu instid0(VALU_DEP_1)
	v_cvt_f16_f32_e32 v12, v5
	s_branch .LBB87_1438
.LBB87_1436:
	s_mov_b32 s1, -1
                                        ; implicit-def: $vgpr12
.LBB87_1437:
	s_mov_b32 s13, 0
.LBB87_1438:
	s_delay_alu instid0(SALU_CYCLE_1)
	s_and_b32 vcc_lo, exec_lo, s13
	s_cbranch_vccz .LBB87_1456
; %bb.1439:
	s_cmp_lt_i32 s0, 27
	s_cbranch_scc1 .LBB87_1442
; %bb.1440:
	s_cmp_gt_i32 s0, 27
	s_cbranch_scc0 .LBB87_1443
; %bb.1441:
	global_load_b32 v5, v[10:11], off
	s_mov_b32 s12, 0
	s_wait_loadcnt 0x0
	v_cvt_f32_u32_e32 v5, v5
	s_wait_xcnt 0x1
	s_delay_alu instid0(VALU_DEP_1)
	v_cvt_f16_f32_e32 v12, v5
	s_branch .LBB87_1444
.LBB87_1442:
	s_mov_b32 s12, -1
                                        ; implicit-def: $vgpr12
	s_branch .LBB87_1447
.LBB87_1443:
	s_mov_b32 s12, -1
                                        ; implicit-def: $vgpr12
.LBB87_1444:
	s_delay_alu instid0(SALU_CYCLE_1)
	s_and_not1_b32 vcc_lo, exec_lo, s12
	s_cbranch_vccnz .LBB87_1446
; %bb.1445:
	global_load_u16 v5, v[10:11], off
	s_wait_loadcnt 0x0
	s_wait_xcnt 0x1
	v_cvt_f16_u16_e32 v12, v5
.LBB87_1446:
	s_mov_b32 s12, 0
.LBB87_1447:
	s_delay_alu instid0(SALU_CYCLE_1)
	s_and_not1_b32 vcc_lo, exec_lo, s12
	s_cbranch_vccnz .LBB87_1455
; %bb.1448:
	global_load_u8 v5, v[10:11], off
	s_mov_b32 s12, 0
	s_mov_b32 s13, exec_lo
	s_wait_loadcnt 0x0
	v_cmpx_lt_i16_e32 0x7f, v5
	s_xor_b32 s13, exec_lo, s13
	s_cbranch_execz .LBB87_1469
; %bb.1449:
	s_mov_b32 s12, -1
	s_mov_b32 s14, exec_lo
	v_cmpx_eq_u16_e32 0x80, v5
; %bb.1450:
	s_xor_b32 s12, exec_lo, -1
; %bb.1451:
	s_or_b32 exec_lo, exec_lo, s14
	s_delay_alu instid0(SALU_CYCLE_1)
	s_and_b32 s12, s12, exec_lo
	s_or_saveexec_b32 s13, s13
	v_mov_b32_e32 v12, 0x7e00
	s_xor_b32 exec_lo, exec_lo, s13
	s_cbranch_execnz .LBB87_1470
.LBB87_1452:
	s_or_b32 exec_lo, exec_lo, s13
	s_and_saveexec_b32 s13, s12
	s_cbranch_execz .LBB87_1454
.LBB87_1453:
	v_and_b32_e32 v7, 0xffff, v5
	s_delay_alu instid0(VALU_DEP_1) | instskip(SKIP_1) | instid1(VALU_DEP_2)
	v_and_b32_e32 v9, 7, v7
	v_bfe_u32 v14, v7, 3, 4
	v_clz_i32_u32_e32 v12, v9
	s_delay_alu instid0(VALU_DEP_2) | instskip(NEXT) | instid1(VALU_DEP_2)
	v_cmp_eq_u32_e32 vcc_lo, 0, v14
	v_min_u32_e32 v12, 32, v12
	s_delay_alu instid0(VALU_DEP_1) | instskip(NEXT) | instid1(VALU_DEP_1)
	v_subrev_nc_u32_e32 v13, 28, v12
	v_dual_lshlrev_b32 v7, v13, v7 :: v_dual_sub_nc_u32 v12, 29, v12
	s_delay_alu instid0(VALU_DEP_1) | instskip(NEXT) | instid1(VALU_DEP_1)
	v_dual_lshlrev_b32 v5, 24, v5 :: v_dual_bitop2_b32 v7, 7, v7 bitop3:0x40
	v_dual_cndmask_b32 v12, v14, v12 :: v_dual_cndmask_b32 v7, v9, v7
	s_delay_alu instid0(VALU_DEP_2) | instskip(NEXT) | instid1(VALU_DEP_2)
	v_and_b32_e32 v5, 0x80000000, v5
	v_lshl_add_u32 v9, v12, 23, 0x3b800000
	s_delay_alu instid0(VALU_DEP_3) | instskip(NEXT) | instid1(VALU_DEP_1)
	v_lshlrev_b32_e32 v7, 20, v7
	v_or3_b32 v5, v5, v9, v7
	s_delay_alu instid0(VALU_DEP_1)
	v_cvt_f16_f32_e32 v12, v5
.LBB87_1454:
	s_or_b32 exec_lo, exec_lo, s13
.LBB87_1455:
	s_mov_b32 s12, -1
.LBB87_1456:
	s_mov_b32 s13, 0
.LBB87_1457:
	s_delay_alu instid0(SALU_CYCLE_1)
	s_and_b32 vcc_lo, exec_lo, s13
	s_cbranch_vccz .LBB87_1490
; %bb.1458:
	s_cmp_gt_i32 s0, 22
	s_cbranch_scc0 .LBB87_1468
; %bb.1459:
	s_cmp_lt_i32 s0, 24
	s_cbranch_scc1 .LBB87_1471
; %bb.1460:
	s_cmp_gt_i32 s0, 24
	s_cbranch_scc0 .LBB87_1472
; %bb.1461:
	global_load_u8 v5, v[10:11], off
	s_mov_b32 s12, exec_lo
	s_wait_loadcnt 0x0
	v_cmpx_lt_i16_e32 0x7f, v5
	s_xor_b32 s12, exec_lo, s12
	s_cbranch_execz .LBB87_1484
; %bb.1462:
	s_mov_b32 s11, -1
	s_mov_b32 s13, exec_lo
	v_cmpx_eq_u16_e32 0x80, v5
; %bb.1463:
	s_xor_b32 s11, exec_lo, -1
; %bb.1464:
	s_or_b32 exec_lo, exec_lo, s13
	s_delay_alu instid0(SALU_CYCLE_1)
	s_and_b32 s11, s11, exec_lo
	s_or_saveexec_b32 s12, s12
	v_mov_b32_e32 v12, 0x7e00
	s_xor_b32 exec_lo, exec_lo, s12
	s_cbranch_execnz .LBB87_1485
.LBB87_1465:
	s_or_b32 exec_lo, exec_lo, s12
	s_and_saveexec_b32 s12, s11
	s_cbranch_execz .LBB87_1467
.LBB87_1466:
	v_and_b32_e32 v7, 0xffff, v5
	s_delay_alu instid0(VALU_DEP_1) | instskip(SKIP_1) | instid1(VALU_DEP_2)
	v_and_b32_e32 v9, 3, v7
	v_bfe_u32 v14, v7, 2, 5
	v_clz_i32_u32_e32 v12, v9
	s_delay_alu instid0(VALU_DEP_2) | instskip(NEXT) | instid1(VALU_DEP_2)
	v_cmp_eq_u32_e32 vcc_lo, 0, v14
	v_min_u32_e32 v12, 32, v12
	s_delay_alu instid0(VALU_DEP_1) | instskip(NEXT) | instid1(VALU_DEP_1)
	v_subrev_nc_u32_e32 v13, 29, v12
	v_dual_lshlrev_b32 v7, v13, v7 :: v_dual_sub_nc_u32 v12, 30, v12
	s_delay_alu instid0(VALU_DEP_1) | instskip(NEXT) | instid1(VALU_DEP_1)
	v_dual_lshlrev_b32 v5, 24, v5 :: v_dual_bitop2_b32 v7, 3, v7 bitop3:0x40
	v_dual_cndmask_b32 v12, v14, v12 :: v_dual_cndmask_b32 v7, v9, v7
	s_delay_alu instid0(VALU_DEP_2) | instskip(NEXT) | instid1(VALU_DEP_2)
	v_and_b32_e32 v5, 0x80000000, v5
	v_lshl_add_u32 v9, v12, 23, 0x37800000
	s_delay_alu instid0(VALU_DEP_3) | instskip(NEXT) | instid1(VALU_DEP_1)
	v_lshlrev_b32_e32 v7, 21, v7
	v_or3_b32 v5, v5, v9, v7
	s_delay_alu instid0(VALU_DEP_1)
	v_cvt_f16_f32_e32 v12, v5
.LBB87_1467:
	s_or_b32 exec_lo, exec_lo, s12
	s_mov_b32 s11, 0
	s_branch .LBB87_1473
.LBB87_1468:
	s_mov_b32 s11, -1
                                        ; implicit-def: $vgpr12
	s_branch .LBB87_1479
.LBB87_1469:
	s_or_saveexec_b32 s13, s13
	v_mov_b32_e32 v12, 0x7e00
	s_xor_b32 exec_lo, exec_lo, s13
	s_cbranch_execz .LBB87_1452
.LBB87_1470:
	v_cmp_ne_u16_e32 vcc_lo, 0, v5
	v_mov_b32_e32 v12, v5
	s_and_not1_b32 s12, s12, exec_lo
	s_and_b32 s14, vcc_lo, exec_lo
	s_delay_alu instid0(SALU_CYCLE_1)
	s_or_b32 s12, s12, s14
	s_or_b32 exec_lo, exec_lo, s13
	s_and_saveexec_b32 s13, s12
	s_cbranch_execnz .LBB87_1453
	s_branch .LBB87_1454
.LBB87_1471:
	s_mov_b32 s11, -1
                                        ; implicit-def: $vgpr12
	s_branch .LBB87_1476
.LBB87_1472:
	s_mov_b32 s11, -1
                                        ; implicit-def: $vgpr12
.LBB87_1473:
	s_delay_alu instid0(SALU_CYCLE_1)
	s_and_b32 vcc_lo, exec_lo, s11
	s_cbranch_vccz .LBB87_1475
; %bb.1474:
	global_load_u8 v5, v[10:11], off
	s_wait_loadcnt 0x0
	v_lshlrev_b32_e32 v5, 24, v5
	s_delay_alu instid0(VALU_DEP_1) | instskip(NEXT) | instid1(VALU_DEP_1)
	v_and_b32_e32 v7, 0x7f000000, v5
	v_clz_i32_u32_e32 v9, v7
	s_wait_xcnt 0x1
	v_add_nc_u32_e32 v13, 0x1000000, v7
	v_cmp_ne_u32_e32 vcc_lo, 0, v7
	s_delay_alu instid0(VALU_DEP_3) | instskip(NEXT) | instid1(VALU_DEP_1)
	v_min_u32_e32 v9, 32, v9
	v_sub_nc_u32_e64 v9, v9, 4 clamp
	s_delay_alu instid0(VALU_DEP_1) | instskip(NEXT) | instid1(VALU_DEP_1)
	v_dual_lshlrev_b32 v12, v9, v7 :: v_dual_lshlrev_b32 v9, 23, v9
	v_lshrrev_b32_e32 v12, 4, v12
	s_delay_alu instid0(VALU_DEP_1) | instskip(SKIP_1) | instid1(VALU_DEP_2)
	v_sub_nc_u32_e32 v9, v12, v9
	v_ashrrev_i32_e32 v12, 8, v13
	v_add_nc_u32_e32 v9, 0x3c000000, v9
	s_delay_alu instid0(VALU_DEP_1) | instskip(NEXT) | instid1(VALU_DEP_1)
	v_and_or_b32 v9, 0x7f800000, v12, v9
	v_cndmask_b32_e32 v7, 0, v9, vcc_lo
	s_delay_alu instid0(VALU_DEP_1) | instskip(NEXT) | instid1(VALU_DEP_1)
	v_and_or_b32 v5, 0x80000000, v5, v7
	v_cvt_f16_f32_e32 v12, v5
.LBB87_1475:
	s_mov_b32 s11, 0
.LBB87_1476:
	s_delay_alu instid0(SALU_CYCLE_1)
	s_and_not1_b32 vcc_lo, exec_lo, s11
	s_cbranch_vccnz .LBB87_1478
; %bb.1477:
	global_load_u8 v5, v[10:11], off
	s_wait_loadcnt 0x0
	v_lshlrev_b32_e32 v7, 25, v5
	v_lshlrev_b16 v5, 8, v5
	s_wait_xcnt 0x1
	s_delay_alu instid0(VALU_DEP_1) | instskip(SKIP_1) | instid1(VALU_DEP_2)
	v_and_or_b32 v12, 0x7f00, v5, 0.5
	v_bfe_i32 v5, v5, 0, 16
	v_dual_add_f32 v12, -0.5, v12 :: v_dual_lshrrev_b32 v9, 4, v7
	v_cmp_gt_u32_e32 vcc_lo, 0x8000000, v7
	s_delay_alu instid0(VALU_DEP_2) | instskip(NEXT) | instid1(VALU_DEP_1)
	v_or_b32_e32 v9, 0x70000000, v9
	v_mul_f32_e32 v9, 0x7800000, v9
	s_delay_alu instid0(VALU_DEP_1) | instskip(NEXT) | instid1(VALU_DEP_1)
	v_cndmask_b32_e32 v7, v9, v12, vcc_lo
	v_and_or_b32 v5, 0x80000000, v5, v7
	s_delay_alu instid0(VALU_DEP_1)
	v_cvt_f16_f32_e32 v12, v5
.LBB87_1478:
	s_mov_b32 s11, 0
	s_mov_b32 s12, -1
.LBB87_1479:
	s_and_not1_b32 vcc_lo, exec_lo, s11
	s_mov_b32 s11, 0
	s_cbranch_vccnz .LBB87_1490
; %bb.1480:
	s_cmp_gt_i32 s0, 14
	s_cbranch_scc0 .LBB87_1483
; %bb.1481:
	s_cmp_eq_u32 s0, 15
	s_cbranch_scc0 .LBB87_1486
; %bb.1482:
	global_load_u16 v5, v[10:11], off
	s_mov_b32 s1, 0
	s_mov_b32 s12, -1
	s_wait_loadcnt 0x0
	v_lshlrev_b32_e32 v5, 16, v5
	s_wait_xcnt 0x1
	s_delay_alu instid0(VALU_DEP_1)
	v_cvt_f16_f32_e32 v12, v5
	s_branch .LBB87_1488
.LBB87_1483:
	s_mov_b32 s11, -1
	s_branch .LBB87_1487
.LBB87_1484:
	s_or_saveexec_b32 s12, s12
	v_mov_b32_e32 v12, 0x7e00
	s_xor_b32 exec_lo, exec_lo, s12
	s_cbranch_execz .LBB87_1465
.LBB87_1485:
	v_cmp_ne_u16_e32 vcc_lo, 0, v5
	v_mov_b32_e32 v12, v5
	s_and_not1_b32 s11, s11, exec_lo
	s_and_b32 s13, vcc_lo, exec_lo
	s_delay_alu instid0(SALU_CYCLE_1)
	s_or_b32 s11, s11, s13
	s_or_b32 exec_lo, exec_lo, s12
	s_and_saveexec_b32 s12, s11
	s_cbranch_execnz .LBB87_1466
	s_branch .LBB87_1467
.LBB87_1486:
	s_mov_b32 s1, -1
.LBB87_1487:
                                        ; implicit-def: $vgpr12
.LBB87_1488:
	s_and_b32 vcc_lo, exec_lo, s11
	s_mov_b32 s11, 0
	s_cbranch_vccz .LBB87_1490
; %bb.1489:
	s_cmp_lg_u32 s0, 11
	s_mov_b32 s11, -1
	s_cselect_b32 s1, -1, 0
.LBB87_1490:
	s_delay_alu instid0(SALU_CYCLE_1)
	s_and_b32 vcc_lo, exec_lo, s1
	s_cbranch_vccnz .LBB87_1553
; %bb.1491:
	s_and_not1_b32 vcc_lo, exec_lo, s11
	s_cbranch_vccnz .LBB87_1493
.LBB87_1492:
	global_load_u8 v5, v[10:11], off
	s_mov_b32 s12, -1
	s_wait_loadcnt 0x0
	v_cmp_ne_u16_e32 vcc_lo, 0, v5
	s_wait_xcnt 0x1
	v_cndmask_b32_e64 v12, 0, 0x3c00, vcc_lo
.LBB87_1493:
	s_branch .LBB87_1420
.LBB87_1494:
	s_cmp_lt_i32 s0, 5
	s_cbranch_scc1 .LBB87_1499
; %bb.1495:
	s_cmp_lt_i32 s0, 8
	s_cbranch_scc1 .LBB87_1500
; %bb.1496:
	s_cmp_lt_i32 s0, 9
	s_cbranch_scc1 .LBB87_1501
; %bb.1497:
	s_cmp_gt_i32 s0, 9
	s_cbranch_scc0 .LBB87_1502
; %bb.1498:
	global_load_b64 v[12:13], v[10:11], off
	s_mov_b32 s1, 0
	s_wait_loadcnt 0x0
	v_and_or_b32 v5, 0x1ff, v13, v12
	v_lshrrev_b32_e32 v7, 8, v13
	v_bfe_u32 v9, v13, 20, 11
	s_delay_alu instid0(VALU_DEP_3) | instskip(NEXT) | instid1(VALU_DEP_2)
	v_cmp_ne_u32_e32 vcc_lo, 0, v5
	v_sub_nc_u32_e32 v12, 0x3f1, v9
	v_add_nc_u32_e32 v9, 0xfffffc10, v9
	v_cndmask_b32_e64 v5, 0, 1, vcc_lo
	s_delay_alu instid0(VALU_DEP_1) | instskip(NEXT) | instid1(VALU_DEP_4)
	v_and_or_b32 v5, 0xffe, v7, v5
	v_med3_i32 v7, v12, 0, 13
	s_delay_alu instid0(VALU_DEP_2) | instskip(NEXT) | instid1(VALU_DEP_1)
	v_or_b32_e32 v12, 0x1000, v5
	v_lshrrev_b32_e32 v14, v7, v12
	s_delay_alu instid0(VALU_DEP_1) | instskip(NEXT) | instid1(VALU_DEP_1)
	v_lshlrev_b32_e32 v7, v7, v14
	v_cmp_ne_u32_e32 vcc_lo, v7, v12
	v_lshl_or_b32 v12, v9, 12, v5
	v_cndmask_b32_e64 v7, 0, 1, vcc_lo
	v_cmp_gt_i32_e32 vcc_lo, 1, v9
	s_delay_alu instid0(VALU_DEP_2) | instskip(NEXT) | instid1(VALU_DEP_1)
	v_or_b32_e32 v7, v14, v7
	v_cndmask_b32_e32 v7, v12, v7, vcc_lo
	s_delay_alu instid0(VALU_DEP_1) | instskip(NEXT) | instid1(VALU_DEP_1)
	v_dual_lshrrev_b32 v7, 2, v7 :: v_dual_bitop2_b32 v12, 7, v7 bitop3:0x40
	v_cmp_lt_i32_e32 vcc_lo, 5, v12
	v_cndmask_b32_e64 v14, 0, 1, vcc_lo
	v_cmp_eq_u32_e32 vcc_lo, 3, v12
	v_cndmask_b32_e64 v12, 0, 1, vcc_lo
	v_cmp_ne_u32_e32 vcc_lo, 0, v5
	s_delay_alu instid0(VALU_DEP_2) | instskip(NEXT) | instid1(VALU_DEP_1)
	v_or_b32_e32 v12, v12, v14
	v_dual_mov_b32 v14, 0x7e00 :: v_dual_add_nc_u32 v7, v7, v12
	s_delay_alu instid0(VALU_DEP_1) | instskip(SKIP_1) | instid1(VALU_DEP_3)
	v_cndmask_b32_e32 v5, 0x7c00, v14, vcc_lo
	v_cmp_gt_i32_e32 vcc_lo, 31, v9
	v_cndmask_b32_e32 v7, 0x7c00, v7, vcc_lo
	v_cmp_eq_u32_e32 vcc_lo, 0x40f, v9
	s_delay_alu instid0(VALU_DEP_2) | instskip(SKIP_1) | instid1(VALU_DEP_1)
	v_cndmask_b32_e32 v5, v7, v5, vcc_lo
	v_lshrrev_b32_e32 v7, 16, v13
	v_and_or_b32 v12, 0x8000, v7, v5
	s_branch .LBB87_1503
.LBB87_1499:
	s_mov_b32 s1, -1
                                        ; implicit-def: $vgpr12
	s_branch .LBB87_1521
.LBB87_1500:
	s_mov_b32 s1, -1
                                        ; implicit-def: $vgpr12
	s_branch .LBB87_1509
.LBB87_1501:
	s_mov_b32 s1, -1
                                        ; implicit-def: $vgpr12
	s_branch .LBB87_1506
.LBB87_1502:
	s_mov_b32 s1, -1
                                        ; implicit-def: $vgpr12
.LBB87_1503:
	s_delay_alu instid0(SALU_CYCLE_1)
	s_and_not1_b32 vcc_lo, exec_lo, s1
	s_cbranch_vccnz .LBB87_1505
; %bb.1504:
	global_load_b32 v5, v[10:11], off
	s_wait_loadcnt 0x0
	s_wait_xcnt 0x1
	v_cvt_f16_f32_e32 v12, v5
.LBB87_1505:
	s_mov_b32 s1, 0
.LBB87_1506:
	s_delay_alu instid0(SALU_CYCLE_1)
	s_and_not1_b32 vcc_lo, exec_lo, s1
	s_cbranch_vccnz .LBB87_1508
; %bb.1507:
	global_load_b32 v12, v[10:11], off
.LBB87_1508:
	s_mov_b32 s1, 0
.LBB87_1509:
	s_delay_alu instid0(SALU_CYCLE_1)
	s_and_not1_b32 vcc_lo, exec_lo, s1
	s_cbranch_vccnz .LBB87_1520
; %bb.1510:
	s_cmp_lt_i32 s0, 6
	s_cbranch_scc1 .LBB87_1513
; %bb.1511:
	s_cmp_gt_i32 s0, 6
	s_cbranch_scc0 .LBB87_1514
; %bb.1512:
	s_wait_loadcnt 0x0
	global_load_b64 v[12:13], v[10:11], off
	s_mov_b32 s1, 0
	s_wait_loadcnt 0x0
	v_and_or_b32 v5, 0x1ff, v13, v12
	v_lshrrev_b32_e32 v7, 8, v13
	v_bfe_u32 v9, v13, 20, 11
	s_delay_alu instid0(VALU_DEP_3) | instskip(NEXT) | instid1(VALU_DEP_2)
	v_cmp_ne_u32_e32 vcc_lo, 0, v5
	v_sub_nc_u32_e32 v12, 0x3f1, v9
	v_add_nc_u32_e32 v9, 0xfffffc10, v9
	v_cndmask_b32_e64 v5, 0, 1, vcc_lo
	s_delay_alu instid0(VALU_DEP_1) | instskip(NEXT) | instid1(VALU_DEP_4)
	v_and_or_b32 v5, 0xffe, v7, v5
	v_med3_i32 v7, v12, 0, 13
	s_delay_alu instid0(VALU_DEP_2) | instskip(NEXT) | instid1(VALU_DEP_1)
	v_or_b32_e32 v12, 0x1000, v5
	v_lshrrev_b32_e32 v14, v7, v12
	s_delay_alu instid0(VALU_DEP_1) | instskip(NEXT) | instid1(VALU_DEP_1)
	v_lshlrev_b32_e32 v7, v7, v14
	v_cmp_ne_u32_e32 vcc_lo, v7, v12
	v_lshl_or_b32 v12, v9, 12, v5
	v_cndmask_b32_e64 v7, 0, 1, vcc_lo
	v_cmp_gt_i32_e32 vcc_lo, 1, v9
	s_delay_alu instid0(VALU_DEP_2) | instskip(NEXT) | instid1(VALU_DEP_1)
	v_or_b32_e32 v7, v14, v7
	v_cndmask_b32_e32 v7, v12, v7, vcc_lo
	s_delay_alu instid0(VALU_DEP_1) | instskip(NEXT) | instid1(VALU_DEP_1)
	v_dual_lshrrev_b32 v7, 2, v7 :: v_dual_bitop2_b32 v12, 7, v7 bitop3:0x40
	v_cmp_lt_i32_e32 vcc_lo, 5, v12
	v_cndmask_b32_e64 v14, 0, 1, vcc_lo
	v_cmp_eq_u32_e32 vcc_lo, 3, v12
	v_cndmask_b32_e64 v12, 0, 1, vcc_lo
	v_cmp_ne_u32_e32 vcc_lo, 0, v5
	s_delay_alu instid0(VALU_DEP_2) | instskip(NEXT) | instid1(VALU_DEP_1)
	v_or_b32_e32 v12, v12, v14
	v_dual_mov_b32 v14, 0x7e00 :: v_dual_add_nc_u32 v7, v7, v12
	s_delay_alu instid0(VALU_DEP_1) | instskip(SKIP_1) | instid1(VALU_DEP_3)
	v_cndmask_b32_e32 v5, 0x7c00, v14, vcc_lo
	v_cmp_gt_i32_e32 vcc_lo, 31, v9
	v_cndmask_b32_e32 v7, 0x7c00, v7, vcc_lo
	v_cmp_eq_u32_e32 vcc_lo, 0x40f, v9
	s_delay_alu instid0(VALU_DEP_2) | instskip(SKIP_1) | instid1(VALU_DEP_1)
	v_cndmask_b32_e32 v5, v7, v5, vcc_lo
	v_lshrrev_b32_e32 v7, 16, v13
	v_and_or_b32 v12, 0x8000, v7, v5
	s_branch .LBB87_1515
.LBB87_1513:
	s_mov_b32 s1, -1
                                        ; implicit-def: $vgpr12
	s_branch .LBB87_1518
.LBB87_1514:
	s_mov_b32 s1, -1
                                        ; implicit-def: $vgpr12
.LBB87_1515:
	s_delay_alu instid0(SALU_CYCLE_1)
	s_and_not1_b32 vcc_lo, exec_lo, s1
	s_cbranch_vccnz .LBB87_1517
; %bb.1516:
	global_load_b32 v5, v[10:11], off
	s_wait_loadcnt 0x0
	s_wait_xcnt 0x1
	v_cvt_f16_f32_e32 v12, v5
.LBB87_1517:
	s_mov_b32 s1, 0
.LBB87_1518:
	s_delay_alu instid0(SALU_CYCLE_1)
	s_and_not1_b32 vcc_lo, exec_lo, s1
	s_cbranch_vccnz .LBB87_1520
; %bb.1519:
	s_wait_loadcnt 0x0
	global_load_u16 v12, v[10:11], off
.LBB87_1520:
	s_mov_b32 s1, 0
.LBB87_1521:
	s_delay_alu instid0(SALU_CYCLE_1)
	s_and_not1_b32 vcc_lo, exec_lo, s1
	s_cbranch_vccnz .LBB87_1541
; %bb.1522:
	s_cmp_lt_i32 s0, 2
	s_cbranch_scc1 .LBB87_1526
; %bb.1523:
	s_cmp_lt_i32 s0, 3
	s_cbranch_scc1 .LBB87_1527
; %bb.1524:
	s_cmp_gt_i32 s0, 3
	s_cbranch_scc0 .LBB87_1528
; %bb.1525:
	s_wait_loadcnt 0x0
	global_load_b64 v[12:13], v[10:11], off
	s_mov_b32 s1, 0
	s_wait_loadcnt 0x0
	v_xor_b32_e32 v5, v12, v13
	v_cls_i32_e32 v7, v13
	s_delay_alu instid0(VALU_DEP_2) | instskip(NEXT) | instid1(VALU_DEP_1)
	v_ashrrev_i32_e32 v5, 31, v5
	v_add_nc_u32_e32 v5, 32, v5
	s_delay_alu instid0(VALU_DEP_1) | instskip(NEXT) | instid1(VALU_DEP_1)
	v_add_min_u32_e64 v5, v7, -1, v5
	v_lshlrev_b64_e32 v[12:13], v5, v[12:13]
	v_sub_nc_u32_e32 v5, 32, v5
	s_delay_alu instid0(VALU_DEP_2) | instskip(NEXT) | instid1(VALU_DEP_1)
	v_min_u32_e32 v7, 1, v12
	v_or_b32_e32 v7, v13, v7
	s_delay_alu instid0(VALU_DEP_1) | instskip(NEXT) | instid1(VALU_DEP_1)
	v_cvt_f32_i32_e32 v7, v7
	v_ldexp_f32 v5, v7, v5
	s_delay_alu instid0(VALU_DEP_1)
	v_cvt_f16_f32_e32 v12, v5
	s_branch .LBB87_1529
.LBB87_1526:
	s_mov_b32 s1, -1
                                        ; implicit-def: $vgpr12
	s_branch .LBB87_1535
.LBB87_1527:
	s_mov_b32 s1, -1
                                        ; implicit-def: $vgpr12
	s_branch .LBB87_1532
.LBB87_1528:
	s_mov_b32 s1, -1
                                        ; implicit-def: $vgpr12
.LBB87_1529:
	s_delay_alu instid0(SALU_CYCLE_1)
	s_and_not1_b32 vcc_lo, exec_lo, s1
	s_cbranch_vccnz .LBB87_1531
; %bb.1530:
	global_load_b32 v5, v[10:11], off
	s_wait_loadcnt 0x0
	v_cvt_f32_i32_e32 v5, v5
	s_wait_xcnt 0x1
	s_delay_alu instid0(VALU_DEP_1)
	v_cvt_f16_f32_e32 v12, v5
.LBB87_1531:
	s_mov_b32 s1, 0
.LBB87_1532:
	s_delay_alu instid0(SALU_CYCLE_1)
	s_and_not1_b32 vcc_lo, exec_lo, s1
	s_cbranch_vccnz .LBB87_1534
; %bb.1533:
	global_load_u16 v5, v[10:11], off
	s_wait_loadcnt 0x0
	s_wait_xcnt 0x1
	v_cvt_f16_i16_e32 v12, v5
.LBB87_1534:
	s_mov_b32 s1, 0
.LBB87_1535:
	s_delay_alu instid0(SALU_CYCLE_1)
	s_and_not1_b32 vcc_lo, exec_lo, s1
	s_cbranch_vccnz .LBB87_1541
; %bb.1536:
	s_cmp_gt_i32 s0, 0
	s_mov_b32 s1, 0
	s_cbranch_scc0 .LBB87_1538
; %bb.1537:
	global_load_i8 v5, v[10:11], off
	s_wait_loadcnt 0x0
	s_wait_xcnt 0x1
	v_cvt_f16_i16_e32 v12, v5
	s_branch .LBB87_1539
.LBB87_1538:
	s_mov_b32 s1, -1
                                        ; implicit-def: $vgpr12
.LBB87_1539:
	s_delay_alu instid0(SALU_CYCLE_1)
	s_and_not1_b32 vcc_lo, exec_lo, s1
	s_cbranch_vccnz .LBB87_1541
; %bb.1540:
	global_load_u8 v5, v[10:11], off
	s_wait_loadcnt 0x0
	s_wait_xcnt 0x1
	v_cvt_f16_u16_e32 v12, v5
.LBB87_1541:
.LBB87_1542:
	v_mov_b32_e32 v9, 0
	s_cmp_lt_i32 s0, 11
	s_delay_alu instid0(VALU_DEP_1)
	v_add_nc_u64_e32 v[8:9], s[6:7], v[8:9]
	s_cbranch_scc1 .LBB87_1549
; %bb.1543:
	s_cmp_gt_i32 s0, 25
	s_mov_b32 s6, 0
	s_cbranch_scc0 .LBB87_1550
; %bb.1544:
	s_cmp_gt_i32 s0, 28
	s_cbranch_scc0 .LBB87_1551
; %bb.1545:
	s_cmp_gt_i32 s0, 43
	;; [unrolled: 3-line block ×3, first 2 shown]
	s_cbranch_scc0 .LBB87_1554
; %bb.1547:
	s_cmp_eq_u32 s0, 46
	s_mov_b32 s11, 0
	s_cbranch_scc0 .LBB87_1555
; %bb.1548:
	global_load_b32 v5, v[8:9], off
	s_mov_b32 s1, 0
	s_mov_b32 s7, -1
	s_wait_loadcnt 0x0
	v_lshlrev_b32_e32 v5, 16, v5
	s_wait_xcnt 0x1
	s_delay_alu instid0(VALU_DEP_1)
	v_cvt_f16_f32_e32 v10, v5
	s_branch .LBB87_1557
.LBB87_1549:
	s_mov_b32 s1, -1
	s_mov_b32 s7, 0
                                        ; implicit-def: $vgpr10
	s_branch .LBB87_1623
.LBB87_1550:
	s_mov_b32 s11, -1
	s_mov_b32 s7, 0
	s_mov_b32 s1, 0
                                        ; implicit-def: $vgpr10
	s_branch .LBB87_1586
.LBB87_1551:
	s_mov_b32 s11, -1
	s_mov_b32 s7, 0
	s_mov_b32 s1, 0
                                        ; implicit-def: $vgpr10
	s_branch .LBB87_1567
.LBB87_1552:
	s_mov_b32 s11, -1
	s_mov_b32 s7, 0
	s_mov_b32 s1, 0
                                        ; implicit-def: $vgpr10
	s_branch .LBB87_1562
.LBB87_1553:
	s_or_b32 s10, s10, exec_lo
	s_trap 2
	s_cbranch_execz .LBB87_1492
	s_branch .LBB87_1493
.LBB87_1554:
	s_mov_b32 s11, -1
	s_mov_b32 s7, 0
	s_mov_b32 s1, 0
	s_branch .LBB87_1556
.LBB87_1555:
	s_mov_b32 s1, -1
	s_mov_b32 s7, 0
.LBB87_1556:
                                        ; implicit-def: $vgpr10
.LBB87_1557:
	s_and_b32 vcc_lo, exec_lo, s11
	s_cbranch_vccz .LBB87_1561
; %bb.1558:
	s_cmp_eq_u32 s0, 44
	s_cbranch_scc0 .LBB87_1560
; %bb.1559:
	global_load_u8 v5, v[8:9], off
	s_mov_b32 s1, 0
	s_mov_b32 s7, -1
	s_wait_loadcnt 0x0
	v_lshlrev_b32_e32 v7, 23, v5
	v_cmp_ne_u32_e32 vcc_lo, 0xff, v5
	s_delay_alu instid0(VALU_DEP_2) | instskip(NEXT) | instid1(VALU_DEP_1)
	v_cvt_f16_f32_e32 v7, v7
	v_cndmask_b32_e32 v7, 0x7e00, v7, vcc_lo
	v_cmp_ne_u32_e32 vcc_lo, 0, v5
	s_wait_xcnt 0x1
	s_delay_alu instid0(VALU_DEP_2)
	v_cndmask_b32_e32 v10, 0, v7, vcc_lo
	s_branch .LBB87_1561
.LBB87_1560:
	s_mov_b32 s1, -1
                                        ; implicit-def: $vgpr10
.LBB87_1561:
	s_mov_b32 s11, 0
.LBB87_1562:
	s_delay_alu instid0(SALU_CYCLE_1)
	s_and_b32 vcc_lo, exec_lo, s11
	s_cbranch_vccz .LBB87_1566
; %bb.1563:
	s_cmp_eq_u32 s0, 29
	s_cbranch_scc0 .LBB87_1565
; %bb.1564:
	global_load_b64 v[10:11], v[8:9], off
	s_mov_b32 s1, 0
	s_mov_b32 s7, -1
	s_mov_b32 s11, 0
	s_wait_loadcnt 0x0
	v_clz_i32_u32_e32 v5, v11
	s_delay_alu instid0(VALU_DEP_1) | instskip(NEXT) | instid1(VALU_DEP_1)
	v_min_u32_e32 v5, 32, v5
	v_lshlrev_b64_e32 v[10:11], v5, v[10:11]
	v_sub_nc_u32_e32 v5, 32, v5
	s_delay_alu instid0(VALU_DEP_2) | instskip(NEXT) | instid1(VALU_DEP_1)
	v_min_u32_e32 v7, 1, v10
	v_or_b32_e32 v7, v11, v7
	s_delay_alu instid0(VALU_DEP_1) | instskip(NEXT) | instid1(VALU_DEP_1)
	v_cvt_f32_u32_e32 v7, v7
	v_ldexp_f32 v5, v7, v5
	s_delay_alu instid0(VALU_DEP_1)
	v_cvt_f16_f32_e32 v10, v5
	s_branch .LBB87_1567
.LBB87_1565:
	s_mov_b32 s1, -1
                                        ; implicit-def: $vgpr10
.LBB87_1566:
	s_mov_b32 s11, 0
.LBB87_1567:
	s_delay_alu instid0(SALU_CYCLE_1)
	s_and_b32 vcc_lo, exec_lo, s11
	s_cbranch_vccz .LBB87_1585
; %bb.1568:
	s_cmp_lt_i32 s0, 27
	s_cbranch_scc1 .LBB87_1571
; %bb.1569:
	s_cmp_gt_i32 s0, 27
	s_cbranch_scc0 .LBB87_1572
; %bb.1570:
	global_load_b32 v5, v[8:9], off
	s_mov_b32 s7, 0
	s_wait_loadcnt 0x0
	v_cvt_f32_u32_e32 v5, v5
	s_wait_xcnt 0x1
	s_delay_alu instid0(VALU_DEP_1)
	v_cvt_f16_f32_e32 v10, v5
	s_branch .LBB87_1573
.LBB87_1571:
	s_mov_b32 s7, -1
                                        ; implicit-def: $vgpr10
	s_branch .LBB87_1576
.LBB87_1572:
	s_mov_b32 s7, -1
                                        ; implicit-def: $vgpr10
.LBB87_1573:
	s_delay_alu instid0(SALU_CYCLE_1)
	s_and_not1_b32 vcc_lo, exec_lo, s7
	s_cbranch_vccnz .LBB87_1575
; %bb.1574:
	global_load_u16 v5, v[8:9], off
	s_wait_loadcnt 0x0
	s_wait_xcnt 0x1
	v_cvt_f16_u16_e32 v10, v5
.LBB87_1575:
	s_mov_b32 s7, 0
.LBB87_1576:
	s_delay_alu instid0(SALU_CYCLE_1)
	s_and_not1_b32 vcc_lo, exec_lo, s7
	s_cbranch_vccnz .LBB87_1584
; %bb.1577:
	global_load_u8 v5, v[8:9], off
	s_mov_b32 s7, 0
	s_mov_b32 s11, exec_lo
	s_wait_loadcnt 0x0
	v_cmpx_lt_i16_e32 0x7f, v5
	s_xor_b32 s11, exec_lo, s11
	s_cbranch_execz .LBB87_1598
; %bb.1578:
	s_mov_b32 s7, -1
	s_mov_b32 s12, exec_lo
	v_cmpx_eq_u16_e32 0x80, v5
; %bb.1579:
	s_xor_b32 s7, exec_lo, -1
; %bb.1580:
	s_or_b32 exec_lo, exec_lo, s12
	s_delay_alu instid0(SALU_CYCLE_1)
	s_and_b32 s7, s7, exec_lo
	s_or_saveexec_b32 s11, s11
	v_mov_b32_e32 v10, 0x7e00
	s_xor_b32 exec_lo, exec_lo, s11
	s_cbranch_execnz .LBB87_1599
.LBB87_1581:
	s_or_b32 exec_lo, exec_lo, s11
	s_and_saveexec_b32 s11, s7
	s_cbranch_execz .LBB87_1583
.LBB87_1582:
	v_and_b32_e32 v7, 0xffff, v5
	s_delay_alu instid0(VALU_DEP_1) | instskip(SKIP_1) | instid1(VALU_DEP_2)
	v_dual_lshlrev_b32 v5, 24, v5 :: v_dual_bitop2_b32 v10, 7, v7 bitop3:0x40
	v_bfe_u32 v14, v7, 3, 4
	v_and_b32_e32 v5, 0x80000000, v5
	s_delay_alu instid0(VALU_DEP_3) | instskip(NEXT) | instid1(VALU_DEP_3)
	v_clz_i32_u32_e32 v11, v10
	v_cmp_eq_u32_e32 vcc_lo, 0, v14
	s_delay_alu instid0(VALU_DEP_2) | instskip(NEXT) | instid1(VALU_DEP_1)
	v_min_u32_e32 v11, 32, v11
	v_subrev_nc_u32_e32 v13, 28, v11
	v_sub_nc_u32_e32 v11, 29, v11
	s_delay_alu instid0(VALU_DEP_2) | instskip(NEXT) | instid1(VALU_DEP_2)
	v_lshlrev_b32_e32 v7, v13, v7
	v_cndmask_b32_e32 v11, v14, v11, vcc_lo
	s_delay_alu instid0(VALU_DEP_2) | instskip(NEXT) | instid1(VALU_DEP_1)
	v_and_b32_e32 v7, 7, v7
	v_cndmask_b32_e32 v7, v10, v7, vcc_lo
	s_delay_alu instid0(VALU_DEP_3) | instskip(NEXT) | instid1(VALU_DEP_2)
	v_lshl_add_u32 v10, v11, 23, 0x3b800000
	v_lshlrev_b32_e32 v7, 20, v7
	s_delay_alu instid0(VALU_DEP_1) | instskip(NEXT) | instid1(VALU_DEP_1)
	v_or3_b32 v5, v5, v10, v7
	v_cvt_f16_f32_e32 v10, v5
.LBB87_1583:
	s_or_b32 exec_lo, exec_lo, s11
.LBB87_1584:
	s_mov_b32 s7, -1
.LBB87_1585:
	s_mov_b32 s11, 0
.LBB87_1586:
	s_delay_alu instid0(SALU_CYCLE_1)
	s_and_b32 vcc_lo, exec_lo, s11
	s_cbranch_vccz .LBB87_1619
; %bb.1587:
	s_cmp_gt_i32 s0, 22
	s_cbranch_scc0 .LBB87_1597
; %bb.1588:
	s_cmp_lt_i32 s0, 24
	s_cbranch_scc1 .LBB87_1600
; %bb.1589:
	s_cmp_gt_i32 s0, 24
	s_cbranch_scc0 .LBB87_1601
; %bb.1590:
	global_load_u8 v5, v[8:9], off
	s_mov_b32 s7, exec_lo
	s_wait_loadcnt 0x0
	v_cmpx_lt_i16_e32 0x7f, v5
	s_xor_b32 s7, exec_lo, s7
	s_cbranch_execz .LBB87_1613
; %bb.1591:
	s_mov_b32 s6, -1
	s_mov_b32 s11, exec_lo
	v_cmpx_eq_u16_e32 0x80, v5
; %bb.1592:
	s_xor_b32 s6, exec_lo, -1
; %bb.1593:
	s_or_b32 exec_lo, exec_lo, s11
	s_delay_alu instid0(SALU_CYCLE_1)
	s_and_b32 s6, s6, exec_lo
	s_or_saveexec_b32 s7, s7
	v_mov_b32_e32 v10, 0x7e00
	s_xor_b32 exec_lo, exec_lo, s7
	s_cbranch_execnz .LBB87_1614
.LBB87_1594:
	s_or_b32 exec_lo, exec_lo, s7
	s_and_saveexec_b32 s7, s6
	s_cbranch_execz .LBB87_1596
.LBB87_1595:
	v_and_b32_e32 v7, 0xffff, v5
	s_delay_alu instid0(VALU_DEP_1) | instskip(SKIP_1) | instid1(VALU_DEP_2)
	v_dual_lshlrev_b32 v5, 24, v5 :: v_dual_bitop2_b32 v10, 3, v7 bitop3:0x40
	v_bfe_u32 v14, v7, 2, 5
	v_and_b32_e32 v5, 0x80000000, v5
	s_delay_alu instid0(VALU_DEP_3) | instskip(NEXT) | instid1(VALU_DEP_3)
	v_clz_i32_u32_e32 v11, v10
	v_cmp_eq_u32_e32 vcc_lo, 0, v14
	s_delay_alu instid0(VALU_DEP_2) | instskip(NEXT) | instid1(VALU_DEP_1)
	v_min_u32_e32 v11, 32, v11
	v_subrev_nc_u32_e32 v13, 29, v11
	v_sub_nc_u32_e32 v11, 30, v11
	s_delay_alu instid0(VALU_DEP_2) | instskip(NEXT) | instid1(VALU_DEP_2)
	v_lshlrev_b32_e32 v7, v13, v7
	v_cndmask_b32_e32 v11, v14, v11, vcc_lo
	s_delay_alu instid0(VALU_DEP_2) | instskip(NEXT) | instid1(VALU_DEP_1)
	v_and_b32_e32 v7, 3, v7
	v_cndmask_b32_e32 v7, v10, v7, vcc_lo
	s_delay_alu instid0(VALU_DEP_3) | instskip(NEXT) | instid1(VALU_DEP_2)
	v_lshl_add_u32 v10, v11, 23, 0x37800000
	v_lshlrev_b32_e32 v7, 21, v7
	s_delay_alu instid0(VALU_DEP_1) | instskip(NEXT) | instid1(VALU_DEP_1)
	v_or3_b32 v5, v5, v10, v7
	v_cvt_f16_f32_e32 v10, v5
.LBB87_1596:
	s_or_b32 exec_lo, exec_lo, s7
	s_mov_b32 s6, 0
	s_branch .LBB87_1602
.LBB87_1597:
	s_mov_b32 s6, -1
                                        ; implicit-def: $vgpr10
	s_branch .LBB87_1608
.LBB87_1598:
	s_or_saveexec_b32 s11, s11
	v_mov_b32_e32 v10, 0x7e00
	s_xor_b32 exec_lo, exec_lo, s11
	s_cbranch_execz .LBB87_1581
.LBB87_1599:
	v_cmp_ne_u16_e32 vcc_lo, 0, v5
	v_mov_b32_e32 v10, v5
	s_and_not1_b32 s7, s7, exec_lo
	s_and_b32 s12, vcc_lo, exec_lo
	s_delay_alu instid0(SALU_CYCLE_1)
	s_or_b32 s7, s7, s12
	s_or_b32 exec_lo, exec_lo, s11
	s_and_saveexec_b32 s11, s7
	s_cbranch_execnz .LBB87_1582
	s_branch .LBB87_1583
.LBB87_1600:
	s_mov_b32 s6, -1
                                        ; implicit-def: $vgpr10
	s_branch .LBB87_1605
.LBB87_1601:
	s_mov_b32 s6, -1
                                        ; implicit-def: $vgpr10
.LBB87_1602:
	s_delay_alu instid0(SALU_CYCLE_1)
	s_and_b32 vcc_lo, exec_lo, s6
	s_cbranch_vccz .LBB87_1604
; %bb.1603:
	global_load_u8 v5, v[8:9], off
	s_wait_loadcnt 0x0
	v_lshlrev_b32_e32 v5, 24, v5
	s_delay_alu instid0(VALU_DEP_1) | instskip(SKIP_1) | instid1(VALU_DEP_1)
	v_and_b32_e32 v7, 0x7f000000, v5
	s_wait_xcnt 0x1
	v_clz_i32_u32_e32 v10, v7
	v_add_nc_u32_e32 v13, 0x1000000, v7
	v_cmp_ne_u32_e32 vcc_lo, 0, v7
	s_delay_alu instid0(VALU_DEP_3) | instskip(NEXT) | instid1(VALU_DEP_1)
	v_min_u32_e32 v10, 32, v10
	v_sub_nc_u32_e64 v10, v10, 4 clamp
	s_delay_alu instid0(VALU_DEP_1) | instskip(NEXT) | instid1(VALU_DEP_1)
	v_dual_lshlrev_b32 v11, v10, v7 :: v_dual_lshlrev_b32 v10, 23, v10
	v_lshrrev_b32_e32 v11, 4, v11
	s_delay_alu instid0(VALU_DEP_1) | instskip(NEXT) | instid1(VALU_DEP_1)
	v_dual_sub_nc_u32 v10, v11, v10 :: v_dual_ashrrev_i32 v11, 8, v13
	v_add_nc_u32_e32 v10, 0x3c000000, v10
	s_delay_alu instid0(VALU_DEP_1) | instskip(NEXT) | instid1(VALU_DEP_1)
	v_and_or_b32 v10, 0x7f800000, v11, v10
	v_cndmask_b32_e32 v7, 0, v10, vcc_lo
	s_delay_alu instid0(VALU_DEP_1) | instskip(NEXT) | instid1(VALU_DEP_1)
	v_and_or_b32 v5, 0x80000000, v5, v7
	v_cvt_f16_f32_e32 v10, v5
.LBB87_1604:
	s_mov_b32 s6, 0
.LBB87_1605:
	s_delay_alu instid0(SALU_CYCLE_1)
	s_and_not1_b32 vcc_lo, exec_lo, s6
	s_cbranch_vccnz .LBB87_1607
; %bb.1606:
	global_load_u8 v5, v[8:9], off
	s_wait_loadcnt 0x0
	v_lshlrev_b32_e32 v7, 25, v5
	v_lshlrev_b16 v5, 8, v5
	s_wait_xcnt 0x1
	s_delay_alu instid0(VALU_DEP_1) | instskip(SKIP_1) | instid1(VALU_DEP_2)
	v_and_or_b32 v11, 0x7f00, v5, 0.5
	v_bfe_i32 v5, v5, 0, 16
	v_add_f32_e32 v11, -0.5, v11
	v_lshrrev_b32_e32 v10, 4, v7
	v_cmp_gt_u32_e32 vcc_lo, 0x8000000, v7
	s_delay_alu instid0(VALU_DEP_2) | instskip(NEXT) | instid1(VALU_DEP_1)
	v_or_b32_e32 v10, 0x70000000, v10
	v_mul_f32_e32 v10, 0x7800000, v10
	s_delay_alu instid0(VALU_DEP_1) | instskip(NEXT) | instid1(VALU_DEP_1)
	v_cndmask_b32_e32 v7, v10, v11, vcc_lo
	v_and_or_b32 v5, 0x80000000, v5, v7
	s_delay_alu instid0(VALU_DEP_1)
	v_cvt_f16_f32_e32 v10, v5
.LBB87_1607:
	s_mov_b32 s6, 0
	s_mov_b32 s7, -1
.LBB87_1608:
	s_and_not1_b32 vcc_lo, exec_lo, s6
	s_mov_b32 s6, 0
	s_cbranch_vccnz .LBB87_1619
; %bb.1609:
	s_cmp_gt_i32 s0, 14
	s_cbranch_scc0 .LBB87_1612
; %bb.1610:
	s_cmp_eq_u32 s0, 15
	s_cbranch_scc0 .LBB87_1615
; %bb.1611:
	global_load_u16 v5, v[8:9], off
	s_mov_b32 s1, 0
	s_mov_b32 s7, -1
	s_wait_loadcnt 0x0
	v_lshlrev_b32_e32 v5, 16, v5
	s_wait_xcnt 0x1
	s_delay_alu instid0(VALU_DEP_1)
	v_cvt_f16_f32_e32 v10, v5
	s_branch .LBB87_1617
.LBB87_1612:
	s_mov_b32 s6, -1
	s_branch .LBB87_1616
.LBB87_1613:
	s_or_saveexec_b32 s7, s7
	v_mov_b32_e32 v10, 0x7e00
	s_xor_b32 exec_lo, exec_lo, s7
	s_cbranch_execz .LBB87_1594
.LBB87_1614:
	v_cmp_ne_u16_e32 vcc_lo, 0, v5
	v_mov_b32_e32 v10, v5
	s_and_not1_b32 s6, s6, exec_lo
	s_and_b32 s11, vcc_lo, exec_lo
	s_delay_alu instid0(SALU_CYCLE_1)
	s_or_b32 s6, s6, s11
	s_or_b32 exec_lo, exec_lo, s7
	s_and_saveexec_b32 s7, s6
	s_cbranch_execnz .LBB87_1595
	s_branch .LBB87_1596
.LBB87_1615:
	s_mov_b32 s1, -1
.LBB87_1616:
                                        ; implicit-def: $vgpr10
.LBB87_1617:
	s_and_b32 vcc_lo, exec_lo, s6
	s_mov_b32 s6, 0
	s_cbranch_vccz .LBB87_1619
; %bb.1618:
	s_cmp_lg_u32 s0, 11
	s_mov_b32 s6, -1
	s_cselect_b32 s1, -1, 0
.LBB87_1619:
	s_delay_alu instid0(SALU_CYCLE_1)
	s_and_b32 vcc_lo, exec_lo, s1
	s_cbranch_vccnz .LBB87_2152
; %bb.1620:
	s_and_not1_b32 vcc_lo, exec_lo, s6
	s_cbranch_vccnz .LBB87_1622
.LBB87_1621:
	global_load_u8 v5, v[8:9], off
	s_mov_b32 s7, -1
	s_wait_loadcnt 0x0
	v_cmp_ne_u16_e32 vcc_lo, 0, v5
	s_wait_xcnt 0x1
	v_cndmask_b32_e64 v10, 0, 0x3c00, vcc_lo
.LBB87_1622:
	s_mov_b32 s1, 0
.LBB87_1623:
	s_delay_alu instid0(SALU_CYCLE_1)
	s_and_b32 vcc_lo, exec_lo, s1
	s_cbranch_vccz .LBB87_1672
; %bb.1624:
	s_cmp_lt_i32 s0, 5
	s_cbranch_scc1 .LBB87_1629
; %bb.1625:
	s_cmp_lt_i32 s0, 8
	s_cbranch_scc1 .LBB87_1630
; %bb.1626:
	s_cmp_lt_i32 s0, 9
	s_cbranch_scc1 .LBB87_1631
; %bb.1627:
	s_cmp_gt_i32 s0, 9
	s_cbranch_scc0 .LBB87_1632
; %bb.1628:
	global_load_b64 v[10:11], v[8:9], off
	s_mov_b32 s1, 0
	s_wait_loadcnt 0x0
	v_and_or_b32 v5, 0x1ff, v11, v10
	v_lshrrev_b32_e32 v7, 8, v11
	v_bfe_u32 v10, v11, 20, 11
	s_delay_alu instid0(VALU_DEP_3) | instskip(NEXT) | instid1(VALU_DEP_2)
	v_cmp_ne_u32_e32 vcc_lo, 0, v5
	v_sub_nc_u32_e32 v13, 0x3f1, v10
	v_add_nc_u32_e32 v10, 0xfffffc10, v10
	v_cndmask_b32_e64 v5, 0, 1, vcc_lo
	s_delay_alu instid0(VALU_DEP_1) | instskip(NEXT) | instid1(VALU_DEP_4)
	v_and_or_b32 v5, 0xffe, v7, v5
	v_med3_i32 v7, v13, 0, 13
	s_delay_alu instid0(VALU_DEP_2) | instskip(NEXT) | instid1(VALU_DEP_1)
	v_or_b32_e32 v13, 0x1000, v5
	v_lshrrev_b32_e32 v14, v7, v13
	s_delay_alu instid0(VALU_DEP_1) | instskip(NEXT) | instid1(VALU_DEP_1)
	v_lshlrev_b32_e32 v7, v7, v14
	v_cmp_ne_u32_e32 vcc_lo, v7, v13
	v_lshl_or_b32 v13, v10, 12, v5
	v_cndmask_b32_e64 v7, 0, 1, vcc_lo
	v_cmp_gt_i32_e32 vcc_lo, 1, v10
	s_delay_alu instid0(VALU_DEP_2) | instskip(NEXT) | instid1(VALU_DEP_1)
	v_or_b32_e32 v7, v14, v7
	v_cndmask_b32_e32 v7, v13, v7, vcc_lo
	s_delay_alu instid0(VALU_DEP_1) | instskip(NEXT) | instid1(VALU_DEP_1)
	v_dual_lshrrev_b32 v7, 2, v7 :: v_dual_bitop2_b32 v13, 7, v7 bitop3:0x40
	v_cmp_lt_i32_e32 vcc_lo, 5, v13
	v_cndmask_b32_e64 v14, 0, 1, vcc_lo
	v_cmp_eq_u32_e32 vcc_lo, 3, v13
	v_cndmask_b32_e64 v13, 0, 1, vcc_lo
	v_cmp_ne_u32_e32 vcc_lo, 0, v5
	s_delay_alu instid0(VALU_DEP_2) | instskip(NEXT) | instid1(VALU_DEP_1)
	v_or_b32_e32 v13, v13, v14
	v_dual_mov_b32 v14, 0x7e00 :: v_dual_add_nc_u32 v7, v7, v13
	s_delay_alu instid0(VALU_DEP_1) | instskip(SKIP_1) | instid1(VALU_DEP_3)
	v_cndmask_b32_e32 v5, 0x7c00, v14, vcc_lo
	v_cmp_gt_i32_e32 vcc_lo, 31, v10
	v_cndmask_b32_e32 v7, 0x7c00, v7, vcc_lo
	v_cmp_eq_u32_e32 vcc_lo, 0x40f, v10
	s_delay_alu instid0(VALU_DEP_2) | instskip(NEXT) | instid1(VALU_DEP_1)
	v_dual_cndmask_b32 v5, v7, v5, vcc_lo :: v_dual_lshrrev_b32 v7, 16, v11
	v_and_or_b32 v10, 0x8000, v7, v5
	s_branch .LBB87_1633
.LBB87_1629:
	s_mov_b32 s1, -1
                                        ; implicit-def: $vgpr10
	s_branch .LBB87_1651
.LBB87_1630:
	s_mov_b32 s1, -1
                                        ; implicit-def: $vgpr10
	s_branch .LBB87_1639
.LBB87_1631:
	s_mov_b32 s1, -1
                                        ; implicit-def: $vgpr10
	s_branch .LBB87_1636
.LBB87_1632:
	s_mov_b32 s1, -1
                                        ; implicit-def: $vgpr10
.LBB87_1633:
	s_delay_alu instid0(SALU_CYCLE_1)
	s_and_not1_b32 vcc_lo, exec_lo, s1
	s_cbranch_vccnz .LBB87_1635
; %bb.1634:
	global_load_b32 v5, v[8:9], off
	s_wait_loadcnt 0x0
	s_wait_xcnt 0x1
	v_cvt_f16_f32_e32 v10, v5
.LBB87_1635:
	s_mov_b32 s1, 0
.LBB87_1636:
	s_delay_alu instid0(SALU_CYCLE_1)
	s_and_not1_b32 vcc_lo, exec_lo, s1
	s_cbranch_vccnz .LBB87_1638
; %bb.1637:
	global_load_b32 v10, v[8:9], off
.LBB87_1638:
	s_mov_b32 s1, 0
.LBB87_1639:
	s_delay_alu instid0(SALU_CYCLE_1)
	s_and_not1_b32 vcc_lo, exec_lo, s1
	s_cbranch_vccnz .LBB87_1650
; %bb.1640:
	s_cmp_lt_i32 s0, 6
	s_cbranch_scc1 .LBB87_1643
; %bb.1641:
	s_cmp_gt_i32 s0, 6
	s_cbranch_scc0 .LBB87_1644
; %bb.1642:
	s_wait_loadcnt 0x0
	global_load_b64 v[10:11], v[8:9], off
	s_mov_b32 s1, 0
	s_wait_loadcnt 0x0
	v_and_or_b32 v5, 0x1ff, v11, v10
	v_lshrrev_b32_e32 v7, 8, v11
	v_bfe_u32 v10, v11, 20, 11
	s_delay_alu instid0(VALU_DEP_3) | instskip(NEXT) | instid1(VALU_DEP_2)
	v_cmp_ne_u32_e32 vcc_lo, 0, v5
	v_sub_nc_u32_e32 v13, 0x3f1, v10
	v_add_nc_u32_e32 v10, 0xfffffc10, v10
	v_cndmask_b32_e64 v5, 0, 1, vcc_lo
	s_delay_alu instid0(VALU_DEP_1) | instskip(NEXT) | instid1(VALU_DEP_4)
	v_and_or_b32 v5, 0xffe, v7, v5
	v_med3_i32 v7, v13, 0, 13
	s_delay_alu instid0(VALU_DEP_2) | instskip(NEXT) | instid1(VALU_DEP_1)
	v_or_b32_e32 v13, 0x1000, v5
	v_lshrrev_b32_e32 v14, v7, v13
	s_delay_alu instid0(VALU_DEP_1) | instskip(NEXT) | instid1(VALU_DEP_1)
	v_lshlrev_b32_e32 v7, v7, v14
	v_cmp_ne_u32_e32 vcc_lo, v7, v13
	v_lshl_or_b32 v13, v10, 12, v5
	v_cndmask_b32_e64 v7, 0, 1, vcc_lo
	v_cmp_gt_i32_e32 vcc_lo, 1, v10
	s_delay_alu instid0(VALU_DEP_2) | instskip(NEXT) | instid1(VALU_DEP_1)
	v_or_b32_e32 v7, v14, v7
	v_cndmask_b32_e32 v7, v13, v7, vcc_lo
	s_delay_alu instid0(VALU_DEP_1) | instskip(NEXT) | instid1(VALU_DEP_1)
	v_dual_lshrrev_b32 v7, 2, v7 :: v_dual_bitop2_b32 v13, 7, v7 bitop3:0x40
	v_cmp_lt_i32_e32 vcc_lo, 5, v13
	v_cndmask_b32_e64 v14, 0, 1, vcc_lo
	v_cmp_eq_u32_e32 vcc_lo, 3, v13
	v_cndmask_b32_e64 v13, 0, 1, vcc_lo
	v_cmp_ne_u32_e32 vcc_lo, 0, v5
	s_delay_alu instid0(VALU_DEP_2) | instskip(NEXT) | instid1(VALU_DEP_1)
	v_or_b32_e32 v13, v13, v14
	v_dual_mov_b32 v14, 0x7e00 :: v_dual_add_nc_u32 v7, v7, v13
	s_delay_alu instid0(VALU_DEP_1) | instskip(SKIP_1) | instid1(VALU_DEP_3)
	v_cndmask_b32_e32 v5, 0x7c00, v14, vcc_lo
	v_cmp_gt_i32_e32 vcc_lo, 31, v10
	v_cndmask_b32_e32 v7, 0x7c00, v7, vcc_lo
	v_cmp_eq_u32_e32 vcc_lo, 0x40f, v10
	s_delay_alu instid0(VALU_DEP_2) | instskip(NEXT) | instid1(VALU_DEP_1)
	v_dual_cndmask_b32 v5, v7, v5, vcc_lo :: v_dual_lshrrev_b32 v7, 16, v11
	v_and_or_b32 v10, 0x8000, v7, v5
	s_branch .LBB87_1645
.LBB87_1643:
	s_mov_b32 s1, -1
                                        ; implicit-def: $vgpr10
	s_branch .LBB87_1648
.LBB87_1644:
	s_mov_b32 s1, -1
                                        ; implicit-def: $vgpr10
.LBB87_1645:
	s_delay_alu instid0(SALU_CYCLE_1)
	s_and_not1_b32 vcc_lo, exec_lo, s1
	s_cbranch_vccnz .LBB87_1647
; %bb.1646:
	global_load_b32 v5, v[8:9], off
	s_wait_loadcnt 0x0
	s_wait_xcnt 0x1
	v_cvt_f16_f32_e32 v10, v5
.LBB87_1647:
	s_mov_b32 s1, 0
.LBB87_1648:
	s_delay_alu instid0(SALU_CYCLE_1)
	s_and_not1_b32 vcc_lo, exec_lo, s1
	s_cbranch_vccnz .LBB87_1650
; %bb.1649:
	s_wait_loadcnt 0x0
	global_load_u16 v10, v[8:9], off
.LBB87_1650:
	s_mov_b32 s1, 0
.LBB87_1651:
	s_delay_alu instid0(SALU_CYCLE_1)
	s_and_not1_b32 vcc_lo, exec_lo, s1
	s_cbranch_vccnz .LBB87_1671
; %bb.1652:
	s_cmp_lt_i32 s0, 2
	s_cbranch_scc1 .LBB87_1656
; %bb.1653:
	s_cmp_lt_i32 s0, 3
	s_cbranch_scc1 .LBB87_1657
; %bb.1654:
	s_cmp_gt_i32 s0, 3
	s_cbranch_scc0 .LBB87_1658
; %bb.1655:
	s_wait_loadcnt 0x0
	global_load_b64 v[10:11], v[8:9], off
	s_mov_b32 s1, 0
	s_wait_loadcnt 0x0
	v_xor_b32_e32 v5, v10, v11
	v_cls_i32_e32 v7, v11
	s_delay_alu instid0(VALU_DEP_2) | instskip(NEXT) | instid1(VALU_DEP_1)
	v_ashrrev_i32_e32 v5, 31, v5
	v_add_nc_u32_e32 v5, 32, v5
	s_delay_alu instid0(VALU_DEP_1) | instskip(NEXT) | instid1(VALU_DEP_1)
	v_add_min_u32_e64 v5, v7, -1, v5
	v_lshlrev_b64_e32 v[10:11], v5, v[10:11]
	v_sub_nc_u32_e32 v5, 32, v5
	s_delay_alu instid0(VALU_DEP_2) | instskip(NEXT) | instid1(VALU_DEP_1)
	v_min_u32_e32 v7, 1, v10
	v_or_b32_e32 v7, v11, v7
	s_delay_alu instid0(VALU_DEP_1) | instskip(NEXT) | instid1(VALU_DEP_1)
	v_cvt_f32_i32_e32 v7, v7
	v_ldexp_f32 v5, v7, v5
	s_delay_alu instid0(VALU_DEP_1)
	v_cvt_f16_f32_e32 v10, v5
	s_branch .LBB87_1659
.LBB87_1656:
	s_mov_b32 s1, -1
                                        ; implicit-def: $vgpr10
	s_branch .LBB87_1665
.LBB87_1657:
	s_mov_b32 s1, -1
                                        ; implicit-def: $vgpr10
	s_branch .LBB87_1662
.LBB87_1658:
	s_mov_b32 s1, -1
                                        ; implicit-def: $vgpr10
.LBB87_1659:
	s_delay_alu instid0(SALU_CYCLE_1)
	s_and_not1_b32 vcc_lo, exec_lo, s1
	s_cbranch_vccnz .LBB87_1661
; %bb.1660:
	global_load_b32 v5, v[8:9], off
	s_wait_loadcnt 0x0
	v_cvt_f32_i32_e32 v5, v5
	s_wait_xcnt 0x1
	s_delay_alu instid0(VALU_DEP_1)
	v_cvt_f16_f32_e32 v10, v5
.LBB87_1661:
	s_mov_b32 s1, 0
.LBB87_1662:
	s_delay_alu instid0(SALU_CYCLE_1)
	s_and_not1_b32 vcc_lo, exec_lo, s1
	s_cbranch_vccnz .LBB87_1664
; %bb.1663:
	global_load_u16 v5, v[8:9], off
	s_wait_loadcnt 0x0
	s_wait_xcnt 0x1
	v_cvt_f16_i16_e32 v10, v5
.LBB87_1664:
	s_mov_b32 s1, 0
.LBB87_1665:
	s_delay_alu instid0(SALU_CYCLE_1)
	s_and_not1_b32 vcc_lo, exec_lo, s1
	s_cbranch_vccnz .LBB87_1671
; %bb.1666:
	s_cmp_gt_i32 s0, 0
	s_mov_b32 s0, 0
	s_cbranch_scc0 .LBB87_1668
; %bb.1667:
	global_load_i8 v5, v[8:9], off
	s_wait_loadcnt 0x0
	s_wait_xcnt 0x1
	v_cvt_f16_i16_e32 v10, v5
	s_branch .LBB87_1669
.LBB87_1668:
	s_mov_b32 s0, -1
                                        ; implicit-def: $vgpr10
.LBB87_1669:
	s_delay_alu instid0(SALU_CYCLE_1)
	s_and_not1_b32 vcc_lo, exec_lo, s0
	s_cbranch_vccnz .LBB87_1671
; %bb.1670:
	global_load_u8 v5, v[8:9], off
	s_wait_loadcnt 0x0
	s_wait_xcnt 0x1
	v_cvt_f16_u16_e32 v10, v5
.LBB87_1671:
	s_mov_b32 s7, -1
.LBB87_1672:
	s_delay_alu instid0(SALU_CYCLE_1)
	s_and_not1_b32 vcc_lo, exec_lo, s7
	s_cbranch_vccnz .LBB87_2106
; %bb.1673:
	v_mov_b32_e32 v7, 0
	s_wait_loadcnt 0x0
	v_cmp_eq_f16_e64 s0, 0xfc00, v1
	global_load_u8 v5, v7, s[2:3] offset:345
	s_wait_xcnt 0x0
	v_add_nc_u64_e32 v[6:7], s[4:5], v[6:7]
	s_wait_loadcnt 0x0
	v_and_b32_e32 v8, 0xffff, v5
	v_readfirstlane_b32 s6, v5
	s_delay_alu instid0(VALU_DEP_2)
	v_cmp_gt_i32_e32 vcc_lo, 11, v8
	s_cbranch_vccnz .LBB87_1751
; %bb.1674:
	s_and_b32 s2, 0xffff, s6
	s_mov_b32 s11, -1
	s_mov_b32 s3, 0
	s_cmp_gt_i32 s2, 25
	s_mov_b32 s7, 0
	s_mov_b32 s1, 0
	s_cbranch_scc0 .LBB87_1707
; %bb.1675:
	s_cmp_gt_i32 s2, 28
	s_cbranch_scc0 .LBB87_1690
; %bb.1676:
	s_cmp_gt_i32 s2, 43
	;; [unrolled: 3-line block ×3, first 2 shown]
	s_cbranch_scc0 .LBB87_1680
; %bb.1678:
	s_mov_b32 s1, -1
	s_mov_b32 s11, 0
	s_cmp_eq_u32 s2, 46
	s_cbranch_scc0 .LBB87_1680
; %bb.1679:
	v_cndmask_b32_e64 v1, 0, 1.0, s0
	s_mov_b32 s1, 0
	s_mov_b32 s7, -1
	s_delay_alu instid0(VALU_DEP_1) | instskip(NEXT) | instid1(VALU_DEP_1)
	v_bfe_u32 v5, v1, 16, 1
	v_add3_u32 v1, v1, v5, 0x7fff
	s_delay_alu instid0(VALU_DEP_1)
	v_lshrrev_b32_e32 v1, 16, v1
	global_store_b32 v[6:7], v1, off
.LBB87_1680:
	s_and_b32 vcc_lo, exec_lo, s11
	s_cbranch_vccz .LBB87_1685
; %bb.1681:
	s_cmp_eq_u32 s2, 44
	s_mov_b32 s1, -1
	s_cbranch_scc0 .LBB87_1685
; %bb.1682:
	v_cndmask_b32_e64 v8, 0, 1.0, s0
	v_mov_b32_e32 v5, 0xff
	s_mov_b32 s7, exec_lo
	s_wait_xcnt 0x0
	s_delay_alu instid0(VALU_DEP_2) | instskip(NEXT) | instid1(VALU_DEP_1)
	v_lshrrev_b32_e32 v1, 23, v8
	v_cmpx_ne_u32_e32 0xff, v1
; %bb.1683:
	v_and_b32_e32 v5, 0x400000, v8
	v_and_or_b32 v8, 0x3fffff, v8, v1
	s_delay_alu instid0(VALU_DEP_2) | instskip(NEXT) | instid1(VALU_DEP_2)
	v_cmp_ne_u32_e32 vcc_lo, 0, v5
	v_cmp_ne_u32_e64 s1, 0, v8
	s_and_b32 s1, vcc_lo, s1
	s_delay_alu instid0(SALU_CYCLE_1) | instskip(NEXT) | instid1(VALU_DEP_1)
	v_cndmask_b32_e64 v5, 0, 1, s1
	v_add_nc_u32_e32 v5, v1, v5
; %bb.1684:
	s_or_b32 exec_lo, exec_lo, s7
	s_mov_b32 s1, 0
	s_mov_b32 s7, -1
	global_store_b8 v[6:7], v5, off
.LBB87_1685:
	s_mov_b32 s11, 0
.LBB87_1686:
	s_delay_alu instid0(SALU_CYCLE_1)
	s_and_b32 vcc_lo, exec_lo, s11
	s_cbranch_vccz .LBB87_1689
; %bb.1687:
	s_cmp_eq_u32 s2, 29
	s_mov_b32 s1, -1
	s_cbranch_scc0 .LBB87_1689
; %bb.1688:
	s_mov_b32 s1, 0
	v_cndmask_b32_e64 v8, 0, 1, s0
	v_mov_b32_e32 v9, s1
	s_mov_b32 s7, -1
	global_store_b64 v[6:7], v[8:9], off
.LBB87_1689:
	s_mov_b32 s11, 0
.LBB87_1690:
	s_delay_alu instid0(SALU_CYCLE_1)
	s_and_b32 vcc_lo, exec_lo, s11
	s_cbranch_vccz .LBB87_1706
; %bb.1691:
	s_cmp_lt_i32 s2, 27
	s_mov_b32 s7, -1
	s_cbranch_scc1 .LBB87_1697
; %bb.1692:
	s_cmp_gt_i32 s2, 27
	s_cbranch_scc0 .LBB87_1694
; %bb.1693:
	s_wait_xcnt 0x0
	v_cndmask_b32_e64 v1, 0, 1, s0
	s_mov_b32 s7, 0
	global_store_b32 v[6:7], v1, off
.LBB87_1694:
	s_and_not1_b32 vcc_lo, exec_lo, s7
	s_cbranch_vccnz .LBB87_1696
; %bb.1695:
	s_wait_xcnt 0x0
	v_cndmask_b32_e64 v1, 0, 1, s0
	global_store_b16 v[6:7], v1, off
.LBB87_1696:
	s_mov_b32 s7, 0
.LBB87_1697:
	s_delay_alu instid0(SALU_CYCLE_1)
	s_and_not1_b32 vcc_lo, exec_lo, s7
	s_cbranch_vccnz .LBB87_1705
; %bb.1698:
	s_wait_xcnt 0x0
	v_cndmask_b32_e64 v5, 0, 1.0, s0
	v_mov_b32_e32 v8, 0x80
	s_mov_b32 s7, exec_lo
	s_delay_alu instid0(VALU_DEP_2)
	v_cmpx_gt_u32_e32 0x43800000, v5
	s_cbranch_execz .LBB87_1704
; %bb.1699:
	s_mov_b32 s11, 0
	s_mov_b32 s12, exec_lo
                                        ; implicit-def: $vgpr1
	v_cmpx_lt_u32_e32 0x3bffffff, v5
	s_xor_b32 s12, exec_lo, s12
	s_cbranch_execz .LBB87_2153
; %bb.1700:
	v_bfe_u32 v1, v5, 20, 1
	s_mov_b32 s11, exec_lo
	s_delay_alu instid0(VALU_DEP_1) | instskip(NEXT) | instid1(VALU_DEP_1)
	v_add3_u32 v1, v5, v1, 0x487ffff
                                        ; implicit-def: $vgpr5
	v_lshrrev_b32_e32 v1, 20, v1
	s_and_not1_saveexec_b32 s12, s12
	s_cbranch_execnz .LBB87_2154
.LBB87_1701:
	s_or_b32 exec_lo, exec_lo, s12
	v_mov_b32_e32 v8, 0
	s_and_saveexec_b32 s12, s11
.LBB87_1702:
	v_mov_b32_e32 v8, v1
.LBB87_1703:
	s_or_b32 exec_lo, exec_lo, s12
.LBB87_1704:
	s_delay_alu instid0(SALU_CYCLE_1)
	s_or_b32 exec_lo, exec_lo, s7
	global_store_b8 v[6:7], v8, off
.LBB87_1705:
	s_mov_b32 s7, -1
.LBB87_1706:
	s_mov_b32 s11, 0
.LBB87_1707:
	s_delay_alu instid0(SALU_CYCLE_1)
	s_and_b32 vcc_lo, exec_lo, s11
	s_cbranch_vccz .LBB87_1747
; %bb.1708:
	s_cmp_gt_i32 s2, 22
	s_mov_b32 s3, -1
	s_cbranch_scc0 .LBB87_1740
; %bb.1709:
	s_cmp_lt_i32 s2, 24
	s_cbranch_scc1 .LBB87_1729
; %bb.1710:
	s_cmp_gt_i32 s2, 24
	s_cbranch_scc0 .LBB87_1718
; %bb.1711:
	s_wait_xcnt 0x0
	v_cndmask_b32_e64 v5, 0, 1.0, s0
	v_mov_b32_e32 v8, 0x80
	s_mov_b32 s3, exec_lo
	s_delay_alu instid0(VALU_DEP_2)
	v_cmpx_gt_u32_e32 0x47800000, v5
	s_cbranch_execz .LBB87_1717
; %bb.1712:
	s_mov_b32 s7, 0
	s_mov_b32 s11, exec_lo
                                        ; implicit-def: $vgpr1
	v_cmpx_lt_u32_e32 0x37ffffff, v5
	s_xor_b32 s11, exec_lo, s11
	s_cbranch_execz .LBB87_2156
; %bb.1713:
	v_bfe_u32 v1, v5, 21, 1
	s_mov_b32 s7, exec_lo
	s_delay_alu instid0(VALU_DEP_1) | instskip(NEXT) | instid1(VALU_DEP_1)
	v_add3_u32 v1, v5, v1, 0x88fffff
                                        ; implicit-def: $vgpr5
	v_lshrrev_b32_e32 v1, 21, v1
	s_and_not1_saveexec_b32 s11, s11
	s_cbranch_execnz .LBB87_2157
.LBB87_1714:
	s_or_b32 exec_lo, exec_lo, s11
	v_mov_b32_e32 v8, 0
	s_and_saveexec_b32 s11, s7
.LBB87_1715:
	v_mov_b32_e32 v8, v1
.LBB87_1716:
	s_or_b32 exec_lo, exec_lo, s11
.LBB87_1717:
	s_delay_alu instid0(SALU_CYCLE_1)
	s_or_b32 exec_lo, exec_lo, s3
	s_mov_b32 s3, 0
	global_store_b8 v[6:7], v8, off
.LBB87_1718:
	s_and_b32 vcc_lo, exec_lo, s3
	s_cbranch_vccz .LBB87_1728
; %bb.1719:
	s_wait_xcnt 0x0
	v_cndmask_b32_e64 v5, 0, 1.0, s0
	s_mov_b32 s3, exec_lo
                                        ; implicit-def: $vgpr1
	s_delay_alu instid0(VALU_DEP_1)
	v_cmpx_gt_u32_e32 0x43f00000, v5
	s_xor_b32 s3, exec_lo, s3
	s_cbranch_execz .LBB87_1725
; %bb.1720:
	s_mov_b32 s7, exec_lo
                                        ; implicit-def: $vgpr1
	v_cmpx_lt_u32_e32 0x3c7fffff, v5
	s_xor_b32 s7, exec_lo, s7
; %bb.1721:
	v_bfe_u32 v1, v5, 20, 1
	s_delay_alu instid0(VALU_DEP_1) | instskip(NEXT) | instid1(VALU_DEP_1)
	v_add3_u32 v1, v5, v1, 0x407ffff
	v_and_b32_e32 v5, 0xff00000, v1
	v_lshrrev_b32_e32 v1, 20, v1
	s_delay_alu instid0(VALU_DEP_2) | instskip(NEXT) | instid1(VALU_DEP_2)
	v_cmp_ne_u32_e32 vcc_lo, 0x7f00000, v5
                                        ; implicit-def: $vgpr5
	v_cndmask_b32_e32 v1, 0x7e, v1, vcc_lo
; %bb.1722:
	s_and_not1_saveexec_b32 s7, s7
; %bb.1723:
	v_add_f32_e32 v1, 0x46800000, v5
; %bb.1724:
	s_or_b32 exec_lo, exec_lo, s7
                                        ; implicit-def: $vgpr5
.LBB87_1725:
	s_and_not1_saveexec_b32 s3, s3
; %bb.1726:
	v_mov_b32_e32 v1, 0x7f
	v_cmp_lt_u32_e32 vcc_lo, 0x7f800000, v5
	s_delay_alu instid0(VALU_DEP_2)
	v_cndmask_b32_e32 v1, 0x7e, v1, vcc_lo
; %bb.1727:
	s_or_b32 exec_lo, exec_lo, s3
	global_store_b8 v[6:7], v1, off
.LBB87_1728:
	s_mov_b32 s3, 0
.LBB87_1729:
	s_delay_alu instid0(SALU_CYCLE_1)
	s_and_not1_b32 vcc_lo, exec_lo, s3
	s_cbranch_vccnz .LBB87_1739
; %bb.1730:
	s_wait_xcnt 0x0
	v_cndmask_b32_e64 v5, 0, 1.0, s0
	s_mov_b32 s3, exec_lo
                                        ; implicit-def: $vgpr1
	s_delay_alu instid0(VALU_DEP_1)
	v_cmpx_gt_u32_e32 0x47800000, v5
	s_xor_b32 s3, exec_lo, s3
	s_cbranch_execz .LBB87_1736
; %bb.1731:
	s_mov_b32 s7, exec_lo
                                        ; implicit-def: $vgpr1
	v_cmpx_lt_u32_e32 0x387fffff, v5
	s_xor_b32 s7, exec_lo, s7
; %bb.1732:
	v_bfe_u32 v1, v5, 21, 1
	s_delay_alu instid0(VALU_DEP_1) | instskip(NEXT) | instid1(VALU_DEP_1)
	v_add3_u32 v1, v5, v1, 0x80fffff
                                        ; implicit-def: $vgpr5
	v_lshrrev_b32_e32 v1, 21, v1
; %bb.1733:
	s_and_not1_saveexec_b32 s7, s7
; %bb.1734:
	v_add_f32_e32 v1, 0x43000000, v5
; %bb.1735:
	s_or_b32 exec_lo, exec_lo, s7
                                        ; implicit-def: $vgpr5
.LBB87_1736:
	s_and_not1_saveexec_b32 s3, s3
; %bb.1737:
	v_mov_b32_e32 v1, 0x7f
	v_cmp_lt_u32_e32 vcc_lo, 0x7f800000, v5
	s_delay_alu instid0(VALU_DEP_2)
	v_cndmask_b32_e32 v1, 0x7c, v1, vcc_lo
; %bb.1738:
	s_or_b32 exec_lo, exec_lo, s3
	global_store_b8 v[6:7], v1, off
.LBB87_1739:
	s_mov_b32 s3, 0
	s_mov_b32 s7, -1
.LBB87_1740:
	s_and_not1_b32 vcc_lo, exec_lo, s3
	s_mov_b32 s3, 0
	s_cbranch_vccnz .LBB87_1747
; %bb.1741:
	s_cmp_gt_i32 s2, 14
	s_mov_b32 s3, -1
	s_cbranch_scc0 .LBB87_1745
; %bb.1742:
	s_cmp_eq_u32 s2, 15
	s_mov_b32 s1, -1
	s_cbranch_scc0 .LBB87_1744
; %bb.1743:
	s_wait_xcnt 0x0
	v_cndmask_b32_e64 v1, 0, 1.0, s0
	s_mov_b32 s1, 0
	s_mov_b32 s7, -1
	s_delay_alu instid0(VALU_DEP_1) | instskip(NEXT) | instid1(VALU_DEP_1)
	v_bfe_u32 v5, v1, 16, 1
	v_add3_u32 v1, v1, v5, 0x7fff
	global_store_d16_hi_b16 v[6:7], v1, off
.LBB87_1744:
	s_mov_b32 s3, 0
.LBB87_1745:
	s_delay_alu instid0(SALU_CYCLE_1)
	s_and_b32 vcc_lo, exec_lo, s3
	s_mov_b32 s3, 0
	s_cbranch_vccz .LBB87_1747
; %bb.1746:
	s_cmp_lg_u32 s2, 11
	s_mov_b32 s3, -1
	s_cselect_b32 s1, -1, 0
.LBB87_1747:
	s_delay_alu instid0(SALU_CYCLE_1)
	s_and_b32 vcc_lo, exec_lo, s1
	s_cbranch_vccnz .LBB87_2155
; %bb.1748:
	s_and_not1_b32 vcc_lo, exec_lo, s3
	s_cbranch_vccnz .LBB87_1750
.LBB87_1749:
	s_wait_xcnt 0x0
	v_cndmask_b32_e64 v1, 0, 1, s0
	s_mov_b32 s7, -1
	global_store_b8 v[6:7], v1, off
.LBB87_1750:
	s_mov_b32 s1, 0
	s_branch .LBB87_1752
.LBB87_1751:
	s_mov_b32 s1, -1
	s_mov_b32 s7, 0
.LBB87_1752:
	s_and_b32 vcc_lo, exec_lo, s1
	s_cbranch_vccz .LBB87_1791
; %bb.1753:
	s_and_b32 s1, 0xffff, s6
	s_mov_b32 s2, -1
	s_cmp_lt_i32 s1, 5
	s_cbranch_scc1 .LBB87_1774
; %bb.1754:
	s_cmp_lt_i32 s1, 8
	s_cbranch_scc1 .LBB87_1764
; %bb.1755:
	;; [unrolled: 3-line block ×3, first 2 shown]
	s_cmp_gt_i32 s1, 9
	s_cbranch_scc0 .LBB87_1758
; %bb.1757:
	s_wait_xcnt 0x0
	v_cndmask_b32_e64 v1, 0, 1, s0
	v_mov_b32_e32 v16, 0
	s_mov_b32 s2, 0
	s_delay_alu instid0(VALU_DEP_2) | instskip(NEXT) | instid1(VALU_DEP_2)
	v_cvt_f64_u32_e32 v[14:15], v1
	v_mov_b32_e32 v17, v16
	global_store_b128 v[6:7], v[14:17], off
.LBB87_1758:
	s_and_not1_b32 vcc_lo, exec_lo, s2
	s_cbranch_vccnz .LBB87_1760
; %bb.1759:
	s_wait_xcnt 0x0
	v_cndmask_b32_e64 v8, 0, 1.0, s0
	v_mov_b32_e32 v9, 0
	global_store_b64 v[6:7], v[8:9], off
.LBB87_1760:
	s_mov_b32 s2, 0
.LBB87_1761:
	s_delay_alu instid0(SALU_CYCLE_1)
	s_and_not1_b32 vcc_lo, exec_lo, s2
	s_cbranch_vccnz .LBB87_1763
; %bb.1762:
	s_wait_xcnt 0x0
	v_cndmask_b32_e64 v1, 0, 1.0, s0
	s_delay_alu instid0(VALU_DEP_1) | instskip(NEXT) | instid1(VALU_DEP_1)
	v_cvt_f16_f32_e32 v1, v1
	v_and_b32_e32 v1, 0xffff, v1
	global_store_b32 v[6:7], v1, off
.LBB87_1763:
	s_mov_b32 s2, 0
.LBB87_1764:
	s_delay_alu instid0(SALU_CYCLE_1)
	s_and_not1_b32 vcc_lo, exec_lo, s2
	s_cbranch_vccnz .LBB87_1773
; %bb.1765:
	s_cmp_lt_i32 s1, 6
	s_mov_b32 s2, -1
	s_cbranch_scc1 .LBB87_1771
; %bb.1766:
	s_cmp_gt_i32 s1, 6
	s_cbranch_scc0 .LBB87_1768
; %bb.1767:
	s_wait_xcnt 0x0
	v_cndmask_b32_e64 v1, 0, 1, s0
	s_mov_b32 s2, 0
	s_delay_alu instid0(VALU_DEP_1)
	v_cvt_f64_u32_e32 v[8:9], v1
	global_store_b64 v[6:7], v[8:9], off
.LBB87_1768:
	s_and_not1_b32 vcc_lo, exec_lo, s2
	s_cbranch_vccnz .LBB87_1770
; %bb.1769:
	s_wait_xcnt 0x0
	v_cndmask_b32_e64 v1, 0, 1.0, s0
	global_store_b32 v[6:7], v1, off
.LBB87_1770:
	s_mov_b32 s2, 0
.LBB87_1771:
	s_delay_alu instid0(SALU_CYCLE_1)
	s_and_not1_b32 vcc_lo, exec_lo, s2
	s_cbranch_vccnz .LBB87_1773
; %bb.1772:
	s_wait_xcnt 0x0
	v_cndmask_b32_e64 v1, 0, 1.0, s0
	s_delay_alu instid0(VALU_DEP_1)
	v_cvt_f16_f32_e32 v1, v1
	global_store_b16 v[6:7], v1, off
.LBB87_1773:
	s_mov_b32 s2, 0
.LBB87_1774:
	s_delay_alu instid0(SALU_CYCLE_1)
	s_and_not1_b32 vcc_lo, exec_lo, s2
	s_cbranch_vccnz .LBB87_1790
; %bb.1775:
	s_cmp_lt_i32 s1, 2
	s_mov_b32 s2, -1
	s_cbranch_scc1 .LBB87_1785
; %bb.1776:
	s_cmp_lt_i32 s1, 3
	s_cbranch_scc1 .LBB87_1782
; %bb.1777:
	s_cmp_gt_i32 s1, 3
	s_cbranch_scc0 .LBB87_1779
; %bb.1778:
	s_mov_b32 s2, 0
	s_wait_xcnt 0x0
	v_cndmask_b32_e64 v8, 0, 1, s0
	v_mov_b32_e32 v9, s2
	global_store_b64 v[6:7], v[8:9], off
.LBB87_1779:
	s_and_not1_b32 vcc_lo, exec_lo, s2
	s_cbranch_vccnz .LBB87_1781
; %bb.1780:
	s_wait_xcnt 0x0
	v_cndmask_b32_e64 v1, 0, 1, s0
	global_store_b32 v[6:7], v1, off
.LBB87_1781:
	s_mov_b32 s2, 0
.LBB87_1782:
	s_delay_alu instid0(SALU_CYCLE_1)
	s_and_not1_b32 vcc_lo, exec_lo, s2
	s_cbranch_vccnz .LBB87_1784
; %bb.1783:
	s_wait_xcnt 0x0
	v_cndmask_b32_e64 v1, 0, 1, s0
	global_store_b16 v[6:7], v1, off
.LBB87_1784:
	s_mov_b32 s2, 0
.LBB87_1785:
	s_delay_alu instid0(SALU_CYCLE_1)
	s_and_not1_b32 vcc_lo, exec_lo, s2
	s_cbranch_vccnz .LBB87_1790
; %bb.1786:
	s_wait_xcnt 0x0
	v_cndmask_b32_e64 v1, 0, 1, s0
	s_cmp_gt_i32 s1, 0
	s_mov_b32 s0, -1
	s_cbranch_scc0 .LBB87_1788
; %bb.1787:
	s_mov_b32 s0, 0
	global_store_b8 v[6:7], v1, off
.LBB87_1788:
	s_and_not1_b32 vcc_lo, exec_lo, s0
	s_cbranch_vccnz .LBB87_1790
; %bb.1789:
	global_store_b8 v[6:7], v1, off
.LBB87_1790:
	s_mov_b32 s7, -1
.LBB87_1791:
	s_delay_alu instid0(SALU_CYCLE_1)
	s_and_not1_b32 vcc_lo, exec_lo, s7
	s_cbranch_vccnz .LBB87_2106
; %bb.1792:
	s_wait_xcnt 0x0
	v_mov_b32_e32 v5, 0
	v_cmp_eq_f16_e64 s0, 0xfc00, v3
	s_and_b32 s2, 0xffff, s6
	s_delay_alu instid0(SALU_CYCLE_1)
	s_cmp_lt_i32 s2, 11
	v_add_nc_u64_e32 v[4:5], s[4:5], v[4:5]
	s_cbranch_scc1 .LBB87_1870
; %bb.1793:
	s_mov_b32 s11, -1
	s_mov_b32 s3, 0
	s_cmp_gt_i32 s2, 25
	s_mov_b32 s7, 0
	s_mov_b32 s1, 0
	s_cbranch_scc0 .LBB87_1826
; %bb.1794:
	s_cmp_gt_i32 s2, 28
	s_cbranch_scc0 .LBB87_1809
; %bb.1795:
	s_cmp_gt_i32 s2, 43
	;; [unrolled: 3-line block ×3, first 2 shown]
	s_cbranch_scc0 .LBB87_1799
; %bb.1797:
	s_mov_b32 s1, -1
	s_mov_b32 s11, 0
	s_cmp_eq_u32 s2, 46
	s_cbranch_scc0 .LBB87_1799
; %bb.1798:
	v_cndmask_b32_e64 v1, 0, 1.0, s0
	s_mov_b32 s1, 0
	s_mov_b32 s7, -1
	s_delay_alu instid0(VALU_DEP_1) | instskip(NEXT) | instid1(VALU_DEP_1)
	v_bfe_u32 v3, v1, 16, 1
	v_add3_u32 v1, v1, v3, 0x7fff
	s_delay_alu instid0(VALU_DEP_1)
	v_lshrrev_b32_e32 v1, 16, v1
	global_store_b32 v[4:5], v1, off
.LBB87_1799:
	s_and_b32 vcc_lo, exec_lo, s11
	s_cbranch_vccz .LBB87_1804
; %bb.1800:
	s_cmp_eq_u32 s2, 44
	s_mov_b32 s1, -1
	s_cbranch_scc0 .LBB87_1804
; %bb.1801:
	v_cndmask_b32_e64 v6, 0, 1.0, s0
	v_mov_b32_e32 v3, 0xff
	s_mov_b32 s7, exec_lo
	s_wait_xcnt 0x0
	s_delay_alu instid0(VALU_DEP_2) | instskip(NEXT) | instid1(VALU_DEP_1)
	v_lshrrev_b32_e32 v1, 23, v6
	v_cmpx_ne_u32_e32 0xff, v1
; %bb.1802:
	v_and_b32_e32 v3, 0x400000, v6
	v_and_or_b32 v6, 0x3fffff, v6, v1
	s_delay_alu instid0(VALU_DEP_2) | instskip(NEXT) | instid1(VALU_DEP_2)
	v_cmp_ne_u32_e32 vcc_lo, 0, v3
	v_cmp_ne_u32_e64 s1, 0, v6
	s_and_b32 s1, vcc_lo, s1
	s_delay_alu instid0(SALU_CYCLE_1) | instskip(NEXT) | instid1(VALU_DEP_1)
	v_cndmask_b32_e64 v3, 0, 1, s1
	v_add_nc_u32_e32 v3, v1, v3
; %bb.1803:
	s_or_b32 exec_lo, exec_lo, s7
	s_mov_b32 s1, 0
	s_mov_b32 s7, -1
	global_store_b8 v[4:5], v3, off
.LBB87_1804:
	s_mov_b32 s11, 0
.LBB87_1805:
	s_delay_alu instid0(SALU_CYCLE_1)
	s_and_b32 vcc_lo, exec_lo, s11
	s_cbranch_vccz .LBB87_1808
; %bb.1806:
	s_cmp_eq_u32 s2, 29
	s_mov_b32 s1, -1
	s_cbranch_scc0 .LBB87_1808
; %bb.1807:
	s_mov_b32 s1, 0
	v_cndmask_b32_e64 v6, 0, 1, s0
	v_mov_b32_e32 v7, s1
	s_mov_b32 s7, -1
	global_store_b64 v[4:5], v[6:7], off
.LBB87_1808:
	s_mov_b32 s11, 0
.LBB87_1809:
	s_delay_alu instid0(SALU_CYCLE_1)
	s_and_b32 vcc_lo, exec_lo, s11
	s_cbranch_vccz .LBB87_1825
; %bb.1810:
	s_cmp_lt_i32 s2, 27
	s_mov_b32 s7, -1
	s_cbranch_scc1 .LBB87_1816
; %bb.1811:
	s_cmp_gt_i32 s2, 27
	s_cbranch_scc0 .LBB87_1813
; %bb.1812:
	s_wait_xcnt 0x0
	v_cndmask_b32_e64 v1, 0, 1, s0
	s_mov_b32 s7, 0
	global_store_b32 v[4:5], v1, off
.LBB87_1813:
	s_and_not1_b32 vcc_lo, exec_lo, s7
	s_cbranch_vccnz .LBB87_1815
; %bb.1814:
	s_wait_xcnt 0x0
	v_cndmask_b32_e64 v1, 0, 1, s0
	global_store_b16 v[4:5], v1, off
.LBB87_1815:
	s_mov_b32 s7, 0
.LBB87_1816:
	s_delay_alu instid0(SALU_CYCLE_1)
	s_and_not1_b32 vcc_lo, exec_lo, s7
	s_cbranch_vccnz .LBB87_1824
; %bb.1817:
	s_wait_xcnt 0x0
	v_cndmask_b32_e64 v3, 0, 1.0, s0
	v_mov_b32_e32 v6, 0x80
	s_mov_b32 s7, exec_lo
	s_delay_alu instid0(VALU_DEP_2)
	v_cmpx_gt_u32_e32 0x43800000, v3
	s_cbranch_execz .LBB87_1823
; %bb.1818:
	s_mov_b32 s11, 0
	s_mov_b32 s12, exec_lo
                                        ; implicit-def: $vgpr1
	v_cmpx_lt_u32_e32 0x3bffffff, v3
	s_xor_b32 s12, exec_lo, s12
	s_cbranch_execz .LBB87_2158
; %bb.1819:
	v_bfe_u32 v1, v3, 20, 1
	s_mov_b32 s11, exec_lo
	s_delay_alu instid0(VALU_DEP_1) | instskip(NEXT) | instid1(VALU_DEP_1)
	v_add3_u32 v1, v3, v1, 0x487ffff
                                        ; implicit-def: $vgpr3
	v_lshrrev_b32_e32 v1, 20, v1
	s_and_not1_saveexec_b32 s12, s12
	s_cbranch_execnz .LBB87_2159
.LBB87_1820:
	s_or_b32 exec_lo, exec_lo, s12
	v_mov_b32_e32 v6, 0
	s_and_saveexec_b32 s12, s11
.LBB87_1821:
	v_mov_b32_e32 v6, v1
.LBB87_1822:
	s_or_b32 exec_lo, exec_lo, s12
.LBB87_1823:
	s_delay_alu instid0(SALU_CYCLE_1)
	s_or_b32 exec_lo, exec_lo, s7
	global_store_b8 v[4:5], v6, off
.LBB87_1824:
	s_mov_b32 s7, -1
.LBB87_1825:
	s_mov_b32 s11, 0
.LBB87_1826:
	s_delay_alu instid0(SALU_CYCLE_1)
	s_and_b32 vcc_lo, exec_lo, s11
	s_cbranch_vccz .LBB87_1866
; %bb.1827:
	s_cmp_gt_i32 s2, 22
	s_mov_b32 s3, -1
	s_cbranch_scc0 .LBB87_1859
; %bb.1828:
	s_cmp_lt_i32 s2, 24
	s_cbranch_scc1 .LBB87_1848
; %bb.1829:
	s_cmp_gt_i32 s2, 24
	s_cbranch_scc0 .LBB87_1837
; %bb.1830:
	s_wait_xcnt 0x0
	v_cndmask_b32_e64 v3, 0, 1.0, s0
	v_mov_b32_e32 v6, 0x80
	s_mov_b32 s3, exec_lo
	s_delay_alu instid0(VALU_DEP_2)
	v_cmpx_gt_u32_e32 0x47800000, v3
	s_cbranch_execz .LBB87_1836
; %bb.1831:
	s_mov_b32 s7, 0
	s_mov_b32 s11, exec_lo
                                        ; implicit-def: $vgpr1
	v_cmpx_lt_u32_e32 0x37ffffff, v3
	s_xor_b32 s11, exec_lo, s11
	s_cbranch_execz .LBB87_2161
; %bb.1832:
	v_bfe_u32 v1, v3, 21, 1
	s_mov_b32 s7, exec_lo
	s_delay_alu instid0(VALU_DEP_1) | instskip(NEXT) | instid1(VALU_DEP_1)
	v_add3_u32 v1, v3, v1, 0x88fffff
                                        ; implicit-def: $vgpr3
	v_lshrrev_b32_e32 v1, 21, v1
	s_and_not1_saveexec_b32 s11, s11
	s_cbranch_execnz .LBB87_2162
.LBB87_1833:
	s_or_b32 exec_lo, exec_lo, s11
	v_mov_b32_e32 v6, 0
	s_and_saveexec_b32 s11, s7
.LBB87_1834:
	v_mov_b32_e32 v6, v1
.LBB87_1835:
	s_or_b32 exec_lo, exec_lo, s11
.LBB87_1836:
	s_delay_alu instid0(SALU_CYCLE_1)
	s_or_b32 exec_lo, exec_lo, s3
	s_mov_b32 s3, 0
	global_store_b8 v[4:5], v6, off
.LBB87_1837:
	s_and_b32 vcc_lo, exec_lo, s3
	s_cbranch_vccz .LBB87_1847
; %bb.1838:
	s_wait_xcnt 0x0
	v_cndmask_b32_e64 v3, 0, 1.0, s0
	s_mov_b32 s3, exec_lo
                                        ; implicit-def: $vgpr1
	s_delay_alu instid0(VALU_DEP_1)
	v_cmpx_gt_u32_e32 0x43f00000, v3
	s_xor_b32 s3, exec_lo, s3
	s_cbranch_execz .LBB87_1844
; %bb.1839:
	s_mov_b32 s7, exec_lo
                                        ; implicit-def: $vgpr1
	v_cmpx_lt_u32_e32 0x3c7fffff, v3
	s_xor_b32 s7, exec_lo, s7
; %bb.1840:
	v_bfe_u32 v1, v3, 20, 1
	s_delay_alu instid0(VALU_DEP_1) | instskip(NEXT) | instid1(VALU_DEP_1)
	v_add3_u32 v1, v3, v1, 0x407ffff
	v_and_b32_e32 v3, 0xff00000, v1
	v_lshrrev_b32_e32 v1, 20, v1
	s_delay_alu instid0(VALU_DEP_2) | instskip(NEXT) | instid1(VALU_DEP_2)
	v_cmp_ne_u32_e32 vcc_lo, 0x7f00000, v3
                                        ; implicit-def: $vgpr3
	v_cndmask_b32_e32 v1, 0x7e, v1, vcc_lo
; %bb.1841:
	s_and_not1_saveexec_b32 s7, s7
; %bb.1842:
	v_add_f32_e32 v1, 0x46800000, v3
; %bb.1843:
	s_or_b32 exec_lo, exec_lo, s7
                                        ; implicit-def: $vgpr3
.LBB87_1844:
	s_and_not1_saveexec_b32 s3, s3
; %bb.1845:
	v_mov_b32_e32 v1, 0x7f
	v_cmp_lt_u32_e32 vcc_lo, 0x7f800000, v3
	s_delay_alu instid0(VALU_DEP_2)
	v_cndmask_b32_e32 v1, 0x7e, v1, vcc_lo
; %bb.1846:
	s_or_b32 exec_lo, exec_lo, s3
	global_store_b8 v[4:5], v1, off
.LBB87_1847:
	s_mov_b32 s3, 0
.LBB87_1848:
	s_delay_alu instid0(SALU_CYCLE_1)
	s_and_not1_b32 vcc_lo, exec_lo, s3
	s_cbranch_vccnz .LBB87_1858
; %bb.1849:
	s_wait_xcnt 0x0
	v_cndmask_b32_e64 v3, 0, 1.0, s0
	s_mov_b32 s3, exec_lo
                                        ; implicit-def: $vgpr1
	s_delay_alu instid0(VALU_DEP_1)
	v_cmpx_gt_u32_e32 0x47800000, v3
	s_xor_b32 s3, exec_lo, s3
	s_cbranch_execz .LBB87_1855
; %bb.1850:
	s_mov_b32 s7, exec_lo
                                        ; implicit-def: $vgpr1
	v_cmpx_lt_u32_e32 0x387fffff, v3
	s_xor_b32 s7, exec_lo, s7
; %bb.1851:
	v_bfe_u32 v1, v3, 21, 1
	s_delay_alu instid0(VALU_DEP_1) | instskip(NEXT) | instid1(VALU_DEP_1)
	v_add3_u32 v1, v3, v1, 0x80fffff
                                        ; implicit-def: $vgpr3
	v_lshrrev_b32_e32 v1, 21, v1
; %bb.1852:
	s_and_not1_saveexec_b32 s7, s7
; %bb.1853:
	v_add_f32_e32 v1, 0x43000000, v3
; %bb.1854:
	s_or_b32 exec_lo, exec_lo, s7
                                        ; implicit-def: $vgpr3
.LBB87_1855:
	s_and_not1_saveexec_b32 s3, s3
; %bb.1856:
	v_mov_b32_e32 v1, 0x7f
	v_cmp_lt_u32_e32 vcc_lo, 0x7f800000, v3
	s_delay_alu instid0(VALU_DEP_2)
	v_cndmask_b32_e32 v1, 0x7c, v1, vcc_lo
; %bb.1857:
	s_or_b32 exec_lo, exec_lo, s3
	global_store_b8 v[4:5], v1, off
.LBB87_1858:
	s_mov_b32 s3, 0
	s_mov_b32 s7, -1
.LBB87_1859:
	s_and_not1_b32 vcc_lo, exec_lo, s3
	s_mov_b32 s3, 0
	s_cbranch_vccnz .LBB87_1866
; %bb.1860:
	s_cmp_gt_i32 s2, 14
	s_mov_b32 s3, -1
	s_cbranch_scc0 .LBB87_1864
; %bb.1861:
	s_cmp_eq_u32 s2, 15
	s_mov_b32 s1, -1
	s_cbranch_scc0 .LBB87_1863
; %bb.1862:
	s_wait_xcnt 0x0
	v_cndmask_b32_e64 v1, 0, 1.0, s0
	s_mov_b32 s1, 0
	s_mov_b32 s7, -1
	s_delay_alu instid0(VALU_DEP_1) | instskip(NEXT) | instid1(VALU_DEP_1)
	v_bfe_u32 v3, v1, 16, 1
	v_add3_u32 v1, v1, v3, 0x7fff
	global_store_d16_hi_b16 v[4:5], v1, off
.LBB87_1863:
	s_mov_b32 s3, 0
.LBB87_1864:
	s_delay_alu instid0(SALU_CYCLE_1)
	s_and_b32 vcc_lo, exec_lo, s3
	s_mov_b32 s3, 0
	s_cbranch_vccz .LBB87_1866
; %bb.1865:
	s_cmp_lg_u32 s2, 11
	s_mov_b32 s3, -1
	s_cselect_b32 s1, -1, 0
.LBB87_1866:
	s_delay_alu instid0(SALU_CYCLE_1)
	s_and_b32 vcc_lo, exec_lo, s1
	s_cbranch_vccnz .LBB87_2160
; %bb.1867:
	s_and_not1_b32 vcc_lo, exec_lo, s3
	s_cbranch_vccnz .LBB87_1869
.LBB87_1868:
	s_wait_xcnt 0x0
	v_cndmask_b32_e64 v1, 0, 1, s0
	s_mov_b32 s7, -1
	global_store_b8 v[4:5], v1, off
.LBB87_1869:
	s_mov_b32 s1, 0
	s_branch .LBB87_1871
.LBB87_1870:
	s_mov_b32 s1, -1
	s_mov_b32 s7, 0
.LBB87_1871:
	s_and_b32 vcc_lo, exec_lo, s1
	s_cbranch_vccz .LBB87_1910
; %bb.1872:
	s_cmp_lt_i32 s2, 5
	s_mov_b32 s1, -1
	s_cbranch_scc1 .LBB87_1893
; %bb.1873:
	s_cmp_lt_i32 s2, 8
	s_cbranch_scc1 .LBB87_1883
; %bb.1874:
	s_cmp_lt_i32 s2, 9
	s_cbranch_scc1 .LBB87_1880
; %bb.1875:
	s_cmp_gt_i32 s2, 9
	s_cbranch_scc0 .LBB87_1877
; %bb.1876:
	s_wait_xcnt 0x0
	v_cndmask_b32_e64 v1, 0, 1, s0
	v_mov_b32_e32 v8, 0
	s_mov_b32 s1, 0
	s_delay_alu instid0(VALU_DEP_2) | instskip(NEXT) | instid1(VALU_DEP_2)
	v_cvt_f64_u32_e32 v[6:7], v1
	v_mov_b32_e32 v9, v8
	global_store_b128 v[4:5], v[6:9], off
.LBB87_1877:
	s_and_not1_b32 vcc_lo, exec_lo, s1
	s_cbranch_vccnz .LBB87_1879
; %bb.1878:
	s_wait_xcnt 0x0
	v_cndmask_b32_e64 v6, 0, 1.0, s0
	v_mov_b32_e32 v7, 0
	global_store_b64 v[4:5], v[6:7], off
.LBB87_1879:
	s_mov_b32 s1, 0
.LBB87_1880:
	s_delay_alu instid0(SALU_CYCLE_1)
	s_and_not1_b32 vcc_lo, exec_lo, s1
	s_cbranch_vccnz .LBB87_1882
; %bb.1881:
	s_wait_xcnt 0x0
	v_cndmask_b32_e64 v1, 0, 1.0, s0
	s_delay_alu instid0(VALU_DEP_1) | instskip(NEXT) | instid1(VALU_DEP_1)
	v_cvt_f16_f32_e32 v1, v1
	v_and_b32_e32 v1, 0xffff, v1
	global_store_b32 v[4:5], v1, off
.LBB87_1882:
	s_mov_b32 s1, 0
.LBB87_1883:
	s_delay_alu instid0(SALU_CYCLE_1)
	s_and_not1_b32 vcc_lo, exec_lo, s1
	s_cbranch_vccnz .LBB87_1892
; %bb.1884:
	s_cmp_lt_i32 s2, 6
	s_mov_b32 s1, -1
	s_cbranch_scc1 .LBB87_1890
; %bb.1885:
	s_cmp_gt_i32 s2, 6
	s_cbranch_scc0 .LBB87_1887
; %bb.1886:
	s_wait_xcnt 0x0
	v_cndmask_b32_e64 v1, 0, 1, s0
	s_mov_b32 s1, 0
	s_delay_alu instid0(VALU_DEP_1)
	v_cvt_f64_u32_e32 v[6:7], v1
	global_store_b64 v[4:5], v[6:7], off
.LBB87_1887:
	s_and_not1_b32 vcc_lo, exec_lo, s1
	s_cbranch_vccnz .LBB87_1889
; %bb.1888:
	s_wait_xcnt 0x0
	v_cndmask_b32_e64 v1, 0, 1.0, s0
	global_store_b32 v[4:5], v1, off
.LBB87_1889:
	s_mov_b32 s1, 0
.LBB87_1890:
	s_delay_alu instid0(SALU_CYCLE_1)
	s_and_not1_b32 vcc_lo, exec_lo, s1
	s_cbranch_vccnz .LBB87_1892
; %bb.1891:
	s_wait_xcnt 0x0
	v_cndmask_b32_e64 v1, 0, 1.0, s0
	s_delay_alu instid0(VALU_DEP_1)
	v_cvt_f16_f32_e32 v1, v1
	global_store_b16 v[4:5], v1, off
.LBB87_1892:
	s_mov_b32 s1, 0
.LBB87_1893:
	s_delay_alu instid0(SALU_CYCLE_1)
	s_and_not1_b32 vcc_lo, exec_lo, s1
	s_cbranch_vccnz .LBB87_1909
; %bb.1894:
	s_cmp_lt_i32 s2, 2
	s_mov_b32 s1, -1
	s_cbranch_scc1 .LBB87_1904
; %bb.1895:
	s_cmp_lt_i32 s2, 3
	s_cbranch_scc1 .LBB87_1901
; %bb.1896:
	s_cmp_gt_i32 s2, 3
	s_cbranch_scc0 .LBB87_1898
; %bb.1897:
	s_mov_b32 s1, 0
	s_wait_xcnt 0x0
	v_cndmask_b32_e64 v6, 0, 1, s0
	v_mov_b32_e32 v7, s1
	global_store_b64 v[4:5], v[6:7], off
.LBB87_1898:
	s_and_not1_b32 vcc_lo, exec_lo, s1
	s_cbranch_vccnz .LBB87_1900
; %bb.1899:
	s_wait_xcnt 0x0
	v_cndmask_b32_e64 v1, 0, 1, s0
	global_store_b32 v[4:5], v1, off
.LBB87_1900:
	s_mov_b32 s1, 0
.LBB87_1901:
	s_delay_alu instid0(SALU_CYCLE_1)
	s_and_not1_b32 vcc_lo, exec_lo, s1
	s_cbranch_vccnz .LBB87_1903
; %bb.1902:
	s_wait_xcnt 0x0
	v_cndmask_b32_e64 v1, 0, 1, s0
	global_store_b16 v[4:5], v1, off
.LBB87_1903:
	s_mov_b32 s1, 0
.LBB87_1904:
	s_delay_alu instid0(SALU_CYCLE_1)
	s_and_not1_b32 vcc_lo, exec_lo, s1
	s_cbranch_vccnz .LBB87_1909
; %bb.1905:
	s_wait_xcnt 0x0
	v_cndmask_b32_e64 v1, 0, 1, s0
	s_cmp_gt_i32 s2, 0
	s_mov_b32 s0, -1
	s_cbranch_scc0 .LBB87_1907
; %bb.1906:
	s_mov_b32 s0, 0
	global_store_b8 v[4:5], v1, off
.LBB87_1907:
	s_and_not1_b32 vcc_lo, exec_lo, s0
	s_cbranch_vccnz .LBB87_1909
; %bb.1908:
	global_store_b8 v[4:5], v1, off
.LBB87_1909:
	s_mov_b32 s7, -1
.LBB87_1910:
	s_delay_alu instid0(SALU_CYCLE_1)
	s_and_not1_b32 vcc_lo, exec_lo, s7
	s_cbranch_vccnz .LBB87_2106
; %bb.1911:
	s_wait_xcnt 0x0
	v_mov_b32_e32 v3, 0
	v_cmp_eq_f16_e64 s0, 0xfc00, v12
	s_cmp_lt_i32 s2, 11
	v_add_nc_u64_e32 v[2:3], s[4:5], v[2:3]
	s_cbranch_scc1 .LBB87_1989
; %bb.1912:
	s_mov_b32 s11, -1
	s_mov_b32 s3, 0
	s_cmp_gt_i32 s2, 25
	s_mov_b32 s7, 0
	s_mov_b32 s1, 0
	s_cbranch_scc0 .LBB87_1945
; %bb.1913:
	s_cmp_gt_i32 s2, 28
	s_cbranch_scc0 .LBB87_1928
; %bb.1914:
	s_cmp_gt_i32 s2, 43
	;; [unrolled: 3-line block ×3, first 2 shown]
	s_cbranch_scc0 .LBB87_1918
; %bb.1916:
	s_mov_b32 s1, -1
	s_mov_b32 s11, 0
	s_cmp_eq_u32 s2, 46
	s_cbranch_scc0 .LBB87_1918
; %bb.1917:
	v_cndmask_b32_e64 v1, 0, 1.0, s0
	s_mov_b32 s1, 0
	s_mov_b32 s7, -1
	s_delay_alu instid0(VALU_DEP_1) | instskip(NEXT) | instid1(VALU_DEP_1)
	v_bfe_u32 v4, v1, 16, 1
	v_add3_u32 v1, v1, v4, 0x7fff
	s_delay_alu instid0(VALU_DEP_1)
	v_lshrrev_b32_e32 v1, 16, v1
	global_store_b32 v[2:3], v1, off
.LBB87_1918:
	s_and_b32 vcc_lo, exec_lo, s11
	s_cbranch_vccz .LBB87_1923
; %bb.1919:
	s_cmp_eq_u32 s2, 44
	s_mov_b32 s1, -1
	s_cbranch_scc0 .LBB87_1923
; %bb.1920:
	v_cndmask_b32_e64 v5, 0, 1.0, s0
	s_mov_b32 s7, exec_lo
	s_wait_xcnt 0x0
	s_delay_alu instid0(VALU_DEP_1) | instskip(NEXT) | instid1(VALU_DEP_1)
	v_dual_mov_b32 v4, 0xff :: v_dual_lshrrev_b32 v1, 23, v5
	v_cmpx_ne_u32_e32 0xff, v1
; %bb.1921:
	v_and_b32_e32 v4, 0x400000, v5
	v_and_or_b32 v5, 0x3fffff, v5, v1
	s_delay_alu instid0(VALU_DEP_2) | instskip(NEXT) | instid1(VALU_DEP_2)
	v_cmp_ne_u32_e32 vcc_lo, 0, v4
	v_cmp_ne_u32_e64 s1, 0, v5
	s_and_b32 s1, vcc_lo, s1
	s_delay_alu instid0(SALU_CYCLE_1) | instskip(NEXT) | instid1(VALU_DEP_1)
	v_cndmask_b32_e64 v4, 0, 1, s1
	v_add_nc_u32_e32 v4, v1, v4
; %bb.1922:
	s_or_b32 exec_lo, exec_lo, s7
	s_mov_b32 s1, 0
	s_mov_b32 s7, -1
	global_store_b8 v[2:3], v4, off
.LBB87_1923:
	s_mov_b32 s11, 0
.LBB87_1924:
	s_delay_alu instid0(SALU_CYCLE_1)
	s_and_b32 vcc_lo, exec_lo, s11
	s_cbranch_vccz .LBB87_1927
; %bb.1925:
	s_cmp_eq_u32 s2, 29
	s_mov_b32 s1, -1
	s_cbranch_scc0 .LBB87_1927
; %bb.1926:
	s_mov_b32 s1, 0
	s_wait_xcnt 0x0
	v_cndmask_b32_e64 v4, 0, 1, s0
	v_mov_b32_e32 v5, s1
	s_mov_b32 s7, -1
	global_store_b64 v[2:3], v[4:5], off
.LBB87_1927:
	s_mov_b32 s11, 0
.LBB87_1928:
	s_delay_alu instid0(SALU_CYCLE_1)
	s_and_b32 vcc_lo, exec_lo, s11
	s_cbranch_vccz .LBB87_1944
; %bb.1929:
	s_cmp_lt_i32 s2, 27
	s_mov_b32 s7, -1
	s_cbranch_scc1 .LBB87_1935
; %bb.1930:
	s_cmp_gt_i32 s2, 27
	s_cbranch_scc0 .LBB87_1932
; %bb.1931:
	s_wait_xcnt 0x0
	v_cndmask_b32_e64 v1, 0, 1, s0
	s_mov_b32 s7, 0
	global_store_b32 v[2:3], v1, off
.LBB87_1932:
	s_and_not1_b32 vcc_lo, exec_lo, s7
	s_cbranch_vccnz .LBB87_1934
; %bb.1933:
	s_wait_xcnt 0x0
	v_cndmask_b32_e64 v1, 0, 1, s0
	global_store_b16 v[2:3], v1, off
.LBB87_1934:
	s_mov_b32 s7, 0
.LBB87_1935:
	s_delay_alu instid0(SALU_CYCLE_1)
	s_and_not1_b32 vcc_lo, exec_lo, s7
	s_cbranch_vccnz .LBB87_1943
; %bb.1936:
	s_wait_xcnt 0x0
	v_cndmask_b32_e64 v4, 0, 1.0, s0
	v_mov_b32_e32 v5, 0x80
	s_mov_b32 s7, exec_lo
	s_delay_alu instid0(VALU_DEP_2)
	v_cmpx_gt_u32_e32 0x43800000, v4
	s_cbranch_execz .LBB87_1942
; %bb.1937:
	s_mov_b32 s11, 0
	s_mov_b32 s12, exec_lo
                                        ; implicit-def: $vgpr1
	v_cmpx_lt_u32_e32 0x3bffffff, v4
	s_xor_b32 s12, exec_lo, s12
	s_cbranch_execz .LBB87_2163
; %bb.1938:
	v_bfe_u32 v1, v4, 20, 1
	s_mov_b32 s11, exec_lo
	s_delay_alu instid0(VALU_DEP_1) | instskip(NEXT) | instid1(VALU_DEP_1)
	v_add3_u32 v1, v4, v1, 0x487ffff
                                        ; implicit-def: $vgpr4
	v_lshrrev_b32_e32 v1, 20, v1
	s_and_not1_saveexec_b32 s12, s12
	s_cbranch_execnz .LBB87_2164
.LBB87_1939:
	s_or_b32 exec_lo, exec_lo, s12
	v_mov_b32_e32 v5, 0
	s_and_saveexec_b32 s12, s11
.LBB87_1940:
	v_mov_b32_e32 v5, v1
.LBB87_1941:
	s_or_b32 exec_lo, exec_lo, s12
.LBB87_1942:
	s_delay_alu instid0(SALU_CYCLE_1)
	s_or_b32 exec_lo, exec_lo, s7
	global_store_b8 v[2:3], v5, off
.LBB87_1943:
	s_mov_b32 s7, -1
.LBB87_1944:
	s_mov_b32 s11, 0
.LBB87_1945:
	s_delay_alu instid0(SALU_CYCLE_1)
	s_and_b32 vcc_lo, exec_lo, s11
	s_cbranch_vccz .LBB87_1985
; %bb.1946:
	s_cmp_gt_i32 s2, 22
	s_mov_b32 s3, -1
	s_cbranch_scc0 .LBB87_1978
; %bb.1947:
	s_cmp_lt_i32 s2, 24
	s_cbranch_scc1 .LBB87_1967
; %bb.1948:
	s_cmp_gt_i32 s2, 24
	s_cbranch_scc0 .LBB87_1956
; %bb.1949:
	s_wait_xcnt 0x0
	v_cndmask_b32_e64 v4, 0, 1.0, s0
	v_mov_b32_e32 v5, 0x80
	s_mov_b32 s3, exec_lo
	s_delay_alu instid0(VALU_DEP_2)
	v_cmpx_gt_u32_e32 0x47800000, v4
	s_cbranch_execz .LBB87_1955
; %bb.1950:
	s_mov_b32 s7, 0
	s_mov_b32 s11, exec_lo
                                        ; implicit-def: $vgpr1
	v_cmpx_lt_u32_e32 0x37ffffff, v4
	s_xor_b32 s11, exec_lo, s11
	s_cbranch_execz .LBB87_2166
; %bb.1951:
	v_bfe_u32 v1, v4, 21, 1
	s_mov_b32 s7, exec_lo
	s_delay_alu instid0(VALU_DEP_1) | instskip(NEXT) | instid1(VALU_DEP_1)
	v_add3_u32 v1, v4, v1, 0x88fffff
                                        ; implicit-def: $vgpr4
	v_lshrrev_b32_e32 v1, 21, v1
	s_and_not1_saveexec_b32 s11, s11
	s_cbranch_execnz .LBB87_2167
.LBB87_1952:
	s_or_b32 exec_lo, exec_lo, s11
	v_mov_b32_e32 v5, 0
	s_and_saveexec_b32 s11, s7
.LBB87_1953:
	v_mov_b32_e32 v5, v1
.LBB87_1954:
	s_or_b32 exec_lo, exec_lo, s11
.LBB87_1955:
	s_delay_alu instid0(SALU_CYCLE_1)
	s_or_b32 exec_lo, exec_lo, s3
	s_mov_b32 s3, 0
	global_store_b8 v[2:3], v5, off
.LBB87_1956:
	s_and_b32 vcc_lo, exec_lo, s3
	s_cbranch_vccz .LBB87_1966
; %bb.1957:
	s_wait_xcnt 0x0
	v_cndmask_b32_e64 v4, 0, 1.0, s0
	s_mov_b32 s3, exec_lo
                                        ; implicit-def: $vgpr1
	s_delay_alu instid0(VALU_DEP_1)
	v_cmpx_gt_u32_e32 0x43f00000, v4
	s_xor_b32 s3, exec_lo, s3
	s_cbranch_execz .LBB87_1963
; %bb.1958:
	s_mov_b32 s7, exec_lo
                                        ; implicit-def: $vgpr1
	v_cmpx_lt_u32_e32 0x3c7fffff, v4
	s_xor_b32 s7, exec_lo, s7
; %bb.1959:
	v_bfe_u32 v1, v4, 20, 1
	s_delay_alu instid0(VALU_DEP_1) | instskip(NEXT) | instid1(VALU_DEP_1)
	v_add3_u32 v1, v4, v1, 0x407ffff
	v_and_b32_e32 v4, 0xff00000, v1
	v_lshrrev_b32_e32 v1, 20, v1
	s_delay_alu instid0(VALU_DEP_2) | instskip(NEXT) | instid1(VALU_DEP_2)
	v_cmp_ne_u32_e32 vcc_lo, 0x7f00000, v4
                                        ; implicit-def: $vgpr4
	v_cndmask_b32_e32 v1, 0x7e, v1, vcc_lo
; %bb.1960:
	s_and_not1_saveexec_b32 s7, s7
; %bb.1961:
	v_add_f32_e32 v1, 0x46800000, v4
; %bb.1962:
	s_or_b32 exec_lo, exec_lo, s7
                                        ; implicit-def: $vgpr4
.LBB87_1963:
	s_and_not1_saveexec_b32 s3, s3
; %bb.1964:
	v_mov_b32_e32 v1, 0x7f
	v_cmp_lt_u32_e32 vcc_lo, 0x7f800000, v4
	s_delay_alu instid0(VALU_DEP_2)
	v_cndmask_b32_e32 v1, 0x7e, v1, vcc_lo
; %bb.1965:
	s_or_b32 exec_lo, exec_lo, s3
	global_store_b8 v[2:3], v1, off
.LBB87_1966:
	s_mov_b32 s3, 0
.LBB87_1967:
	s_delay_alu instid0(SALU_CYCLE_1)
	s_and_not1_b32 vcc_lo, exec_lo, s3
	s_cbranch_vccnz .LBB87_1977
; %bb.1968:
	s_wait_xcnt 0x0
	v_cndmask_b32_e64 v4, 0, 1.0, s0
	s_mov_b32 s3, exec_lo
                                        ; implicit-def: $vgpr1
	s_delay_alu instid0(VALU_DEP_1)
	v_cmpx_gt_u32_e32 0x47800000, v4
	s_xor_b32 s3, exec_lo, s3
	s_cbranch_execz .LBB87_1974
; %bb.1969:
	s_mov_b32 s7, exec_lo
                                        ; implicit-def: $vgpr1
	v_cmpx_lt_u32_e32 0x387fffff, v4
	s_xor_b32 s7, exec_lo, s7
; %bb.1970:
	v_bfe_u32 v1, v4, 21, 1
	s_delay_alu instid0(VALU_DEP_1) | instskip(NEXT) | instid1(VALU_DEP_1)
	v_add3_u32 v1, v4, v1, 0x80fffff
                                        ; implicit-def: $vgpr4
	v_lshrrev_b32_e32 v1, 21, v1
; %bb.1971:
	s_and_not1_saveexec_b32 s7, s7
; %bb.1972:
	v_add_f32_e32 v1, 0x43000000, v4
; %bb.1973:
	s_or_b32 exec_lo, exec_lo, s7
                                        ; implicit-def: $vgpr4
.LBB87_1974:
	s_and_not1_saveexec_b32 s3, s3
; %bb.1975:
	v_mov_b32_e32 v1, 0x7f
	v_cmp_lt_u32_e32 vcc_lo, 0x7f800000, v4
	s_delay_alu instid0(VALU_DEP_2)
	v_cndmask_b32_e32 v1, 0x7c, v1, vcc_lo
; %bb.1976:
	s_or_b32 exec_lo, exec_lo, s3
	global_store_b8 v[2:3], v1, off
.LBB87_1977:
	s_mov_b32 s3, 0
	s_mov_b32 s7, -1
.LBB87_1978:
	s_and_not1_b32 vcc_lo, exec_lo, s3
	s_mov_b32 s3, 0
	s_cbranch_vccnz .LBB87_1985
; %bb.1979:
	s_cmp_gt_i32 s2, 14
	s_mov_b32 s3, -1
	s_cbranch_scc0 .LBB87_1983
; %bb.1980:
	s_cmp_eq_u32 s2, 15
	s_mov_b32 s1, -1
	s_cbranch_scc0 .LBB87_1982
; %bb.1981:
	s_wait_xcnt 0x0
	v_cndmask_b32_e64 v1, 0, 1.0, s0
	s_mov_b32 s1, 0
	s_mov_b32 s7, -1
	s_delay_alu instid0(VALU_DEP_1) | instskip(NEXT) | instid1(VALU_DEP_1)
	v_bfe_u32 v4, v1, 16, 1
	v_add3_u32 v1, v1, v4, 0x7fff
	global_store_d16_hi_b16 v[2:3], v1, off
.LBB87_1982:
	s_mov_b32 s3, 0
.LBB87_1983:
	s_delay_alu instid0(SALU_CYCLE_1)
	s_and_b32 vcc_lo, exec_lo, s3
	s_mov_b32 s3, 0
	s_cbranch_vccz .LBB87_1985
; %bb.1984:
	s_cmp_lg_u32 s2, 11
	s_mov_b32 s3, -1
	s_cselect_b32 s1, -1, 0
.LBB87_1985:
	s_delay_alu instid0(SALU_CYCLE_1)
	s_and_b32 vcc_lo, exec_lo, s1
	s_cbranch_vccnz .LBB87_2165
; %bb.1986:
	s_and_not1_b32 vcc_lo, exec_lo, s3
	s_cbranch_vccnz .LBB87_1988
.LBB87_1987:
	s_wait_xcnt 0x0
	v_cndmask_b32_e64 v1, 0, 1, s0
	s_mov_b32 s7, -1
	global_store_b8 v[2:3], v1, off
.LBB87_1988:
	s_mov_b32 s1, 0
	s_branch .LBB87_1990
.LBB87_1989:
	s_mov_b32 s1, -1
	s_mov_b32 s7, 0
.LBB87_1990:
	s_and_b32 vcc_lo, exec_lo, s1
	s_cbranch_vccz .LBB87_2029
; %bb.1991:
	s_cmp_lt_i32 s2, 5
	s_mov_b32 s1, -1
	s_cbranch_scc1 .LBB87_2012
; %bb.1992:
	s_cmp_lt_i32 s2, 8
	s_cbranch_scc1 .LBB87_2002
; %bb.1993:
	s_cmp_lt_i32 s2, 9
	s_cbranch_scc1 .LBB87_1999
; %bb.1994:
	s_cmp_gt_i32 s2, 9
	s_cbranch_scc0 .LBB87_1996
; %bb.1995:
	s_wait_xcnt 0x0
	v_cndmask_b32_e64 v1, 0, 1, s0
	v_mov_b32_e32 v6, 0
	s_mov_b32 s1, 0
	s_delay_alu instid0(VALU_DEP_2) | instskip(NEXT) | instid1(VALU_DEP_2)
	v_cvt_f64_u32_e32 v[4:5], v1
	v_mov_b32_e32 v7, v6
	global_store_b128 v[2:3], v[4:7], off
.LBB87_1996:
	s_and_not1_b32 vcc_lo, exec_lo, s1
	s_cbranch_vccnz .LBB87_1998
; %bb.1997:
	s_wait_xcnt 0x0
	v_cndmask_b32_e64 v4, 0, 1.0, s0
	v_mov_b32_e32 v5, 0
	global_store_b64 v[2:3], v[4:5], off
.LBB87_1998:
	s_mov_b32 s1, 0
.LBB87_1999:
	s_delay_alu instid0(SALU_CYCLE_1)
	s_and_not1_b32 vcc_lo, exec_lo, s1
	s_cbranch_vccnz .LBB87_2001
; %bb.2000:
	s_wait_xcnt 0x0
	v_cndmask_b32_e64 v1, 0, 1.0, s0
	s_delay_alu instid0(VALU_DEP_1) | instskip(NEXT) | instid1(VALU_DEP_1)
	v_cvt_f16_f32_e32 v1, v1
	v_and_b32_e32 v1, 0xffff, v1
	global_store_b32 v[2:3], v1, off
.LBB87_2001:
	s_mov_b32 s1, 0
.LBB87_2002:
	s_delay_alu instid0(SALU_CYCLE_1)
	s_and_not1_b32 vcc_lo, exec_lo, s1
	s_cbranch_vccnz .LBB87_2011
; %bb.2003:
	s_cmp_lt_i32 s2, 6
	s_mov_b32 s1, -1
	s_cbranch_scc1 .LBB87_2009
; %bb.2004:
	s_cmp_gt_i32 s2, 6
	s_cbranch_scc0 .LBB87_2006
; %bb.2005:
	s_wait_xcnt 0x0
	v_cndmask_b32_e64 v1, 0, 1, s0
	s_mov_b32 s1, 0
	s_delay_alu instid0(VALU_DEP_1)
	v_cvt_f64_u32_e32 v[4:5], v1
	global_store_b64 v[2:3], v[4:5], off
.LBB87_2006:
	s_and_not1_b32 vcc_lo, exec_lo, s1
	s_cbranch_vccnz .LBB87_2008
; %bb.2007:
	s_wait_xcnt 0x0
	v_cndmask_b32_e64 v1, 0, 1.0, s0
	global_store_b32 v[2:3], v1, off
.LBB87_2008:
	s_mov_b32 s1, 0
.LBB87_2009:
	s_delay_alu instid0(SALU_CYCLE_1)
	s_and_not1_b32 vcc_lo, exec_lo, s1
	s_cbranch_vccnz .LBB87_2011
; %bb.2010:
	s_wait_xcnt 0x0
	v_cndmask_b32_e64 v1, 0, 1.0, s0
	s_delay_alu instid0(VALU_DEP_1)
	v_cvt_f16_f32_e32 v1, v1
	global_store_b16 v[2:3], v1, off
.LBB87_2011:
	s_mov_b32 s1, 0
.LBB87_2012:
	s_delay_alu instid0(SALU_CYCLE_1)
	s_and_not1_b32 vcc_lo, exec_lo, s1
	s_cbranch_vccnz .LBB87_2028
; %bb.2013:
	s_cmp_lt_i32 s2, 2
	s_mov_b32 s1, -1
	s_cbranch_scc1 .LBB87_2023
; %bb.2014:
	s_cmp_lt_i32 s2, 3
	s_cbranch_scc1 .LBB87_2020
; %bb.2015:
	s_cmp_gt_i32 s2, 3
	s_cbranch_scc0 .LBB87_2017
; %bb.2016:
	s_mov_b32 s1, 0
	s_wait_xcnt 0x0
	v_cndmask_b32_e64 v4, 0, 1, s0
	v_mov_b32_e32 v5, s1
	global_store_b64 v[2:3], v[4:5], off
.LBB87_2017:
	s_and_not1_b32 vcc_lo, exec_lo, s1
	s_cbranch_vccnz .LBB87_2019
; %bb.2018:
	s_wait_xcnt 0x0
	v_cndmask_b32_e64 v1, 0, 1, s0
	global_store_b32 v[2:3], v1, off
.LBB87_2019:
	s_mov_b32 s1, 0
.LBB87_2020:
	s_delay_alu instid0(SALU_CYCLE_1)
	s_and_not1_b32 vcc_lo, exec_lo, s1
	s_cbranch_vccnz .LBB87_2022
; %bb.2021:
	s_wait_xcnt 0x0
	v_cndmask_b32_e64 v1, 0, 1, s0
	global_store_b16 v[2:3], v1, off
.LBB87_2022:
	s_mov_b32 s1, 0
.LBB87_2023:
	s_delay_alu instid0(SALU_CYCLE_1)
	s_and_not1_b32 vcc_lo, exec_lo, s1
	s_cbranch_vccnz .LBB87_2028
; %bb.2024:
	s_cmp_gt_i32 s2, 0
	s_mov_b32 s1, -1
	s_cbranch_scc0 .LBB87_2026
; %bb.2025:
	s_wait_xcnt 0x0
	v_cndmask_b32_e64 v1, 0, 1, s0
	s_mov_b32 s1, 0
	global_store_b8 v[2:3], v1, off
.LBB87_2026:
	s_and_not1_b32 vcc_lo, exec_lo, s1
	s_cbranch_vccnz .LBB87_2028
; %bb.2027:
	s_wait_xcnt 0x0
	v_cndmask_b32_e64 v1, 0, 1, s0
	global_store_b8 v[2:3], v1, off
.LBB87_2028:
	s_mov_b32 s7, -1
.LBB87_2029:
	s_delay_alu instid0(SALU_CYCLE_1)
	s_and_not1_b32 vcc_lo, exec_lo, s7
	s_cbranch_vccnz .LBB87_2106
; %bb.2030:
	s_wait_xcnt 0x0
	v_mov_b32_e32 v1, 0
	v_cmp_eq_f16_e64 s1, 0xfc00, v10
	s_cmp_lt_i32 s2, 11
	v_add_nc_u64_e32 v[2:3], s[4:5], v[0:1]
	s_cbranch_scc1 .LBB87_2151
; %bb.2031:
	s_mov_b32 s4, -1
	s_mov_b32 s3, 0
	s_cmp_gt_i32 s2, 25
	s_mov_b32 s0, 0
	s_cbranch_scc0 .LBB87_2064
; %bb.2032:
	s_cmp_gt_i32 s2, 28
	s_cbranch_scc0 .LBB87_2048
; %bb.2033:
	s_cmp_gt_i32 s2, 43
	;; [unrolled: 3-line block ×3, first 2 shown]
	s_cbranch_scc0 .LBB87_2038
; %bb.2035:
	s_cmp_eq_u32 s2, 46
	s_mov_b32 s0, -1
	s_cbranch_scc0 .LBB87_2037
; %bb.2036:
	v_cndmask_b32_e64 v0, 0, 1.0, s1
	s_mov_b32 s0, 0
	s_delay_alu instid0(VALU_DEP_1) | instskip(NEXT) | instid1(VALU_DEP_1)
	v_bfe_u32 v1, v0, 16, 1
	v_add3_u32 v0, v0, v1, 0x7fff
	s_delay_alu instid0(VALU_DEP_1)
	v_lshrrev_b32_e32 v0, 16, v0
	global_store_b32 v[2:3], v0, off
.LBB87_2037:
	s_mov_b32 s4, 0
.LBB87_2038:
	s_delay_alu instid0(SALU_CYCLE_1)
	s_and_b32 vcc_lo, exec_lo, s4
	s_cbranch_vccz .LBB87_2043
; %bb.2039:
	s_cmp_eq_u32 s2, 44
	s_mov_b32 s0, -1
	s_cbranch_scc0 .LBB87_2043
; %bb.2040:
	v_cndmask_b32_e64 v4, 0, 1.0, s1
	s_mov_b32 s4, exec_lo
	s_wait_xcnt 0x0
	s_delay_alu instid0(VALU_DEP_1) | instskip(NEXT) | instid1(VALU_DEP_1)
	v_dual_mov_b32 v1, 0xff :: v_dual_lshrrev_b32 v0, 23, v4
	v_cmpx_ne_u32_e32 0xff, v0
; %bb.2041:
	v_and_b32_e32 v1, 0x400000, v4
	v_and_or_b32 v4, 0x3fffff, v4, v0
	s_delay_alu instid0(VALU_DEP_2) | instskip(NEXT) | instid1(VALU_DEP_2)
	v_cmp_ne_u32_e32 vcc_lo, 0, v1
	v_cmp_ne_u32_e64 s0, 0, v4
	s_and_b32 s0, vcc_lo, s0
	s_delay_alu instid0(SALU_CYCLE_1) | instskip(NEXT) | instid1(VALU_DEP_1)
	v_cndmask_b32_e64 v1, 0, 1, s0
	v_add_nc_u32_e32 v1, v0, v1
; %bb.2042:
	s_or_b32 exec_lo, exec_lo, s4
	s_mov_b32 s0, 0
	global_store_b8 v[2:3], v1, off
.LBB87_2043:
	s_mov_b32 s4, 0
.LBB87_2044:
	s_delay_alu instid0(SALU_CYCLE_1)
	s_and_b32 vcc_lo, exec_lo, s4
	s_cbranch_vccz .LBB87_2047
; %bb.2045:
	s_cmp_eq_u32 s2, 29
	s_mov_b32 s0, -1
	s_cbranch_scc0 .LBB87_2047
; %bb.2046:
	s_mov_b32 s0, 0
	s_wait_xcnt 0x0
	v_cndmask_b32_e64 v0, 0, 1, s1
	v_mov_b32_e32 v1, s0
	global_store_b64 v[2:3], v[0:1], off
.LBB87_2047:
	s_mov_b32 s4, 0
.LBB87_2048:
	s_delay_alu instid0(SALU_CYCLE_1)
	s_and_b32 vcc_lo, exec_lo, s4
	s_cbranch_vccz .LBB87_2063
; %bb.2049:
	s_cmp_lt_i32 s2, 27
	s_mov_b32 s4, -1
	s_cbranch_scc1 .LBB87_2055
; %bb.2050:
	s_cmp_gt_i32 s2, 27
	s_cbranch_scc0 .LBB87_2052
; %bb.2051:
	s_wait_xcnt 0x0
	v_cndmask_b32_e64 v0, 0, 1, s1
	s_mov_b32 s4, 0
	global_store_b32 v[2:3], v0, off
.LBB87_2052:
	s_and_not1_b32 vcc_lo, exec_lo, s4
	s_cbranch_vccnz .LBB87_2054
; %bb.2053:
	s_wait_xcnt 0x0
	v_cndmask_b32_e64 v0, 0, 1, s1
	global_store_b16 v[2:3], v0, off
.LBB87_2054:
	s_mov_b32 s4, 0
.LBB87_2055:
	s_delay_alu instid0(SALU_CYCLE_1)
	s_and_not1_b32 vcc_lo, exec_lo, s4
	s_cbranch_vccnz .LBB87_2063
; %bb.2056:
	s_wait_xcnt 0x0
	v_cndmask_b32_e64 v1, 0, 1.0, s1
	v_mov_b32_e32 v4, 0x80
	s_mov_b32 s4, exec_lo
	s_delay_alu instid0(VALU_DEP_2)
	v_cmpx_gt_u32_e32 0x43800000, v1
	s_cbranch_execz .LBB87_2062
; %bb.2057:
	s_mov_b32 s5, 0
	s_mov_b32 s7, exec_lo
                                        ; implicit-def: $vgpr0
	v_cmpx_lt_u32_e32 0x3bffffff, v1
	s_xor_b32 s7, exec_lo, s7
	s_cbranch_execz .LBB87_2168
; %bb.2058:
	v_bfe_u32 v0, v1, 20, 1
	s_mov_b32 s5, exec_lo
	s_delay_alu instid0(VALU_DEP_1) | instskip(NEXT) | instid1(VALU_DEP_1)
	v_add3_u32 v0, v1, v0, 0x487ffff
                                        ; implicit-def: $vgpr1
	v_lshrrev_b32_e32 v0, 20, v0
	s_and_not1_saveexec_b32 s7, s7
	s_cbranch_execnz .LBB87_2169
.LBB87_2059:
	s_or_b32 exec_lo, exec_lo, s7
	v_mov_b32_e32 v4, 0
	s_and_saveexec_b32 s7, s5
.LBB87_2060:
	v_mov_b32_e32 v4, v0
.LBB87_2061:
	s_or_b32 exec_lo, exec_lo, s7
.LBB87_2062:
	s_delay_alu instid0(SALU_CYCLE_1)
	s_or_b32 exec_lo, exec_lo, s4
	global_store_b8 v[2:3], v4, off
.LBB87_2063:
	s_mov_b32 s4, 0
.LBB87_2064:
	s_delay_alu instid0(SALU_CYCLE_1)
	s_and_b32 vcc_lo, exec_lo, s4
	s_cbranch_vccz .LBB87_2104
; %bb.2065:
	s_cmp_gt_i32 s2, 22
	s_mov_b32 s3, -1
	s_cbranch_scc0 .LBB87_2097
; %bb.2066:
	s_cmp_lt_i32 s2, 24
	s_cbranch_scc1 .LBB87_2086
; %bb.2067:
	s_cmp_gt_i32 s2, 24
	s_cbranch_scc0 .LBB87_2075
; %bb.2068:
	s_wait_xcnt 0x0
	v_cndmask_b32_e64 v1, 0, 1.0, s1
	v_mov_b32_e32 v4, 0x80
	s_mov_b32 s3, exec_lo
	s_delay_alu instid0(VALU_DEP_2)
	v_cmpx_gt_u32_e32 0x47800000, v1
	s_cbranch_execz .LBB87_2074
; %bb.2069:
	s_mov_b32 s4, 0
	s_mov_b32 s5, exec_lo
                                        ; implicit-def: $vgpr0
	v_cmpx_lt_u32_e32 0x37ffffff, v1
	s_xor_b32 s5, exec_lo, s5
	s_cbranch_execz .LBB87_2171
; %bb.2070:
	v_bfe_u32 v0, v1, 21, 1
	s_mov_b32 s4, exec_lo
	s_delay_alu instid0(VALU_DEP_1) | instskip(NEXT) | instid1(VALU_DEP_1)
	v_add3_u32 v0, v1, v0, 0x88fffff
                                        ; implicit-def: $vgpr1
	v_lshrrev_b32_e32 v0, 21, v0
	s_and_not1_saveexec_b32 s5, s5
	s_cbranch_execnz .LBB87_2172
.LBB87_2071:
	s_or_b32 exec_lo, exec_lo, s5
	v_mov_b32_e32 v4, 0
	s_and_saveexec_b32 s5, s4
.LBB87_2072:
	v_mov_b32_e32 v4, v0
.LBB87_2073:
	s_or_b32 exec_lo, exec_lo, s5
.LBB87_2074:
	s_delay_alu instid0(SALU_CYCLE_1)
	s_or_b32 exec_lo, exec_lo, s3
	s_mov_b32 s3, 0
	global_store_b8 v[2:3], v4, off
.LBB87_2075:
	s_and_b32 vcc_lo, exec_lo, s3
	s_cbranch_vccz .LBB87_2085
; %bb.2076:
	s_wait_xcnt 0x0
	v_cndmask_b32_e64 v1, 0, 1.0, s1
	s_mov_b32 s3, exec_lo
                                        ; implicit-def: $vgpr0
	s_delay_alu instid0(VALU_DEP_1)
	v_cmpx_gt_u32_e32 0x43f00000, v1
	s_xor_b32 s3, exec_lo, s3
	s_cbranch_execz .LBB87_2082
; %bb.2077:
	s_mov_b32 s4, exec_lo
                                        ; implicit-def: $vgpr0
	v_cmpx_lt_u32_e32 0x3c7fffff, v1
	s_xor_b32 s4, exec_lo, s4
; %bb.2078:
	v_bfe_u32 v0, v1, 20, 1
	s_delay_alu instid0(VALU_DEP_1) | instskip(NEXT) | instid1(VALU_DEP_1)
	v_add3_u32 v0, v1, v0, 0x407ffff
	v_and_b32_e32 v1, 0xff00000, v0
	v_lshrrev_b32_e32 v0, 20, v0
	s_delay_alu instid0(VALU_DEP_2) | instskip(NEXT) | instid1(VALU_DEP_2)
	v_cmp_ne_u32_e32 vcc_lo, 0x7f00000, v1
                                        ; implicit-def: $vgpr1
	v_cndmask_b32_e32 v0, 0x7e, v0, vcc_lo
; %bb.2079:
	s_and_not1_saveexec_b32 s4, s4
; %bb.2080:
	v_add_f32_e32 v0, 0x46800000, v1
; %bb.2081:
	s_or_b32 exec_lo, exec_lo, s4
                                        ; implicit-def: $vgpr1
.LBB87_2082:
	s_and_not1_saveexec_b32 s3, s3
; %bb.2083:
	v_mov_b32_e32 v0, 0x7f
	v_cmp_lt_u32_e32 vcc_lo, 0x7f800000, v1
	s_delay_alu instid0(VALU_DEP_2)
	v_cndmask_b32_e32 v0, 0x7e, v0, vcc_lo
; %bb.2084:
	s_or_b32 exec_lo, exec_lo, s3
	global_store_b8 v[2:3], v0, off
.LBB87_2085:
	s_mov_b32 s3, 0
.LBB87_2086:
	s_delay_alu instid0(SALU_CYCLE_1)
	s_and_not1_b32 vcc_lo, exec_lo, s3
	s_cbranch_vccnz .LBB87_2096
; %bb.2087:
	s_wait_xcnt 0x0
	v_cndmask_b32_e64 v1, 0, 1.0, s1
	s_mov_b32 s3, exec_lo
                                        ; implicit-def: $vgpr0
	s_delay_alu instid0(VALU_DEP_1)
	v_cmpx_gt_u32_e32 0x47800000, v1
	s_xor_b32 s3, exec_lo, s3
	s_cbranch_execz .LBB87_2093
; %bb.2088:
	s_mov_b32 s4, exec_lo
                                        ; implicit-def: $vgpr0
	v_cmpx_lt_u32_e32 0x387fffff, v1
	s_xor_b32 s4, exec_lo, s4
; %bb.2089:
	v_bfe_u32 v0, v1, 21, 1
	s_delay_alu instid0(VALU_DEP_1) | instskip(NEXT) | instid1(VALU_DEP_1)
	v_add3_u32 v0, v1, v0, 0x80fffff
                                        ; implicit-def: $vgpr1
	v_lshrrev_b32_e32 v0, 21, v0
; %bb.2090:
	s_and_not1_saveexec_b32 s4, s4
; %bb.2091:
	v_add_f32_e32 v0, 0x43000000, v1
; %bb.2092:
	s_or_b32 exec_lo, exec_lo, s4
                                        ; implicit-def: $vgpr1
.LBB87_2093:
	s_and_not1_saveexec_b32 s3, s3
; %bb.2094:
	v_mov_b32_e32 v0, 0x7f
	v_cmp_lt_u32_e32 vcc_lo, 0x7f800000, v1
	s_delay_alu instid0(VALU_DEP_2)
	v_cndmask_b32_e32 v0, 0x7c, v0, vcc_lo
; %bb.2095:
	s_or_b32 exec_lo, exec_lo, s3
	global_store_b8 v[2:3], v0, off
.LBB87_2096:
	s_mov_b32 s3, 0
.LBB87_2097:
	s_delay_alu instid0(SALU_CYCLE_1)
	s_and_not1_b32 vcc_lo, exec_lo, s3
	s_mov_b32 s3, 0
	s_cbranch_vccnz .LBB87_2104
; %bb.2098:
	s_cmp_gt_i32 s2, 14
	s_mov_b32 s3, -1
	s_cbranch_scc0 .LBB87_2102
; %bb.2099:
	s_cmp_eq_u32 s2, 15
	s_mov_b32 s0, -1
	s_cbranch_scc0 .LBB87_2101
; %bb.2100:
	s_wait_xcnt 0x0
	v_cndmask_b32_e64 v0, 0, 1.0, s1
	s_mov_b32 s0, 0
	s_delay_alu instid0(VALU_DEP_1) | instskip(NEXT) | instid1(VALU_DEP_1)
	v_bfe_u32 v1, v0, 16, 1
	v_add3_u32 v0, v0, v1, 0x7fff
	global_store_d16_hi_b16 v[2:3], v0, off
.LBB87_2101:
	s_mov_b32 s3, 0
.LBB87_2102:
	s_delay_alu instid0(SALU_CYCLE_1)
	s_and_b32 vcc_lo, exec_lo, s3
	s_mov_b32 s3, 0
	s_cbranch_vccz .LBB87_2104
; %bb.2103:
	s_cmp_lg_u32 s2, 11
	s_mov_b32 s3, -1
	s_cselect_b32 s0, -1, 0
.LBB87_2104:
	s_delay_alu instid0(SALU_CYCLE_1)
	s_and_b32 vcc_lo, exec_lo, s0
	s_cbranch_vccnz .LBB87_2170
.LBB87_2105:
	s_mov_b32 s0, 0
	s_branch .LBB87_2107
.LBB87_2106:
	s_mov_b32 s0, 0
	s_mov_b32 s3, 0
                                        ; implicit-def: $sgpr1
                                        ; implicit-def: $vgpr2_vgpr3
                                        ; implicit-def: $sgpr6
.LBB87_2107:
	s_and_not1_b32 s2, s8, exec_lo
	s_and_b32 s4, s10, exec_lo
	s_and_b32 s0, s0, exec_lo
	;; [unrolled: 1-line block ×3, first 2 shown]
	s_or_b32 s8, s2, s4
.LBB87_2108:
	s_wait_xcnt 0x0
	s_or_b32 exec_lo, exec_lo, s9
	s_and_saveexec_b32 s2, s8
	s_cbranch_execz .LBB87_2111
; %bb.2109:
	; divergent unreachable
	s_or_b32 exec_lo, exec_lo, s2
	s_and_saveexec_b32 s2, s30
	s_delay_alu instid0(SALU_CYCLE_1)
	s_xor_b32 s2, exec_lo, s2
	s_cbranch_execnz .LBB87_2112
.LBB87_2110:
	s_or_b32 exec_lo, exec_lo, s2
	s_and_saveexec_b32 s2, s0
	s_cbranch_execnz .LBB87_2113
	s_branch .LBB87_2150
.LBB87_2111:
	s_or_b32 exec_lo, exec_lo, s2
	s_and_saveexec_b32 s2, s30
	s_delay_alu instid0(SALU_CYCLE_1)
	s_xor_b32 s2, exec_lo, s2
	s_cbranch_execz .LBB87_2110
.LBB87_2112:
	v_cndmask_b32_e64 v0, 0, 1, s1
	s_wait_loadcnt 0x0
	global_store_b8 v[2:3], v0, off
	s_wait_xcnt 0x0
	s_or_b32 exec_lo, exec_lo, s2
	s_and_saveexec_b32 s2, s0
	s_cbranch_execz .LBB87_2150
.LBB87_2113:
	s_sext_i32_i16 s2, s6
	s_mov_b32 s0, -1
	s_cmp_lt_i32 s2, 5
	s_cbranch_scc1 .LBB87_2134
; %bb.2114:
	s_cmp_lt_i32 s2, 8
	s_cbranch_scc1 .LBB87_2124
; %bb.2115:
	;; [unrolled: 3-line block ×3, first 2 shown]
	s_cmp_gt_i32 s2, 9
	s_cbranch_scc0 .LBB87_2118
; %bb.2117:
	v_cndmask_b32_e64 v0, 0, 1, s1
	s_wait_loadcnt 0x0
	v_mov_b32_e32 v6, 0
	s_mov_b32 s0, 0
	s_delay_alu instid0(VALU_DEP_2) | instskip(NEXT) | instid1(VALU_DEP_2)
	v_cvt_f64_u32_e32 v[4:5], v0
	v_mov_b32_e32 v7, v6
	global_store_b128 v[2:3], v[4:7], off
.LBB87_2118:
	s_and_not1_b32 vcc_lo, exec_lo, s0
	s_cbranch_vccnz .LBB87_2120
; %bb.2119:
	v_cndmask_b32_e64 v0, 0, 1.0, s1
	s_wait_loadcnt 0x0
	v_mov_b32_e32 v1, 0
	global_store_b64 v[2:3], v[0:1], off
.LBB87_2120:
	s_mov_b32 s0, 0
.LBB87_2121:
	s_delay_alu instid0(SALU_CYCLE_1)
	s_and_not1_b32 vcc_lo, exec_lo, s0
	s_cbranch_vccnz .LBB87_2123
; %bb.2122:
	s_wait_xcnt 0x0
	v_cndmask_b32_e64 v0, 0, 1.0, s1
	s_delay_alu instid0(VALU_DEP_1) | instskip(NEXT) | instid1(VALU_DEP_1)
	v_cvt_f16_f32_e32 v0, v0
	v_and_b32_e32 v0, 0xffff, v0
	s_wait_loadcnt 0x0
	global_store_b32 v[2:3], v0, off
.LBB87_2123:
	s_mov_b32 s0, 0
.LBB87_2124:
	s_delay_alu instid0(SALU_CYCLE_1)
	s_and_not1_b32 vcc_lo, exec_lo, s0
	s_cbranch_vccnz .LBB87_2133
; %bb.2125:
	s_sext_i32_i16 s2, s6
	s_mov_b32 s0, -1
	s_cmp_lt_i32 s2, 6
	s_cbranch_scc1 .LBB87_2131
; %bb.2126:
	s_cmp_gt_i32 s2, 6
	s_cbranch_scc0 .LBB87_2128
; %bb.2127:
	s_wait_xcnt 0x0
	v_cndmask_b32_e64 v0, 0, 1, s1
	s_mov_b32 s0, 0
	s_wait_loadcnt 0x0
	s_delay_alu instid0(VALU_DEP_1)
	v_cvt_f64_u32_e32 v[0:1], v0
	global_store_b64 v[2:3], v[0:1], off
.LBB87_2128:
	s_and_not1_b32 vcc_lo, exec_lo, s0
	s_cbranch_vccnz .LBB87_2130
; %bb.2129:
	s_wait_xcnt 0x0
	v_cndmask_b32_e64 v0, 0, 1.0, s1
	s_wait_loadcnt 0x0
	global_store_b32 v[2:3], v0, off
.LBB87_2130:
	s_mov_b32 s0, 0
.LBB87_2131:
	s_delay_alu instid0(SALU_CYCLE_1)
	s_and_not1_b32 vcc_lo, exec_lo, s0
	s_cbranch_vccnz .LBB87_2133
; %bb.2132:
	s_wait_xcnt 0x0
	v_cndmask_b32_e64 v0, 0, 1.0, s1
	s_delay_alu instid0(VALU_DEP_1)
	v_cvt_f16_f32_e32 v0, v0
	s_wait_loadcnt 0x0
	global_store_b16 v[2:3], v0, off
.LBB87_2133:
	s_mov_b32 s0, 0
.LBB87_2134:
	s_delay_alu instid0(SALU_CYCLE_1)
	s_and_not1_b32 vcc_lo, exec_lo, s0
	s_cbranch_vccnz .LBB87_2150
; %bb.2135:
	s_sext_i32_i16 s2, s6
	s_mov_b32 s0, -1
	s_cmp_lt_i32 s2, 2
	s_cbranch_scc1 .LBB87_2145
; %bb.2136:
	s_cmp_lt_i32 s2, 3
	s_cbranch_scc1 .LBB87_2142
; %bb.2137:
	s_cmp_gt_i32 s2, 3
	s_cbranch_scc0 .LBB87_2139
; %bb.2138:
	s_mov_b32 s0, 0
	s_wait_xcnt 0x0
	v_cndmask_b32_e64 v0, 0, 1, s1
	s_wait_loadcnt 0x0
	v_mov_b32_e32 v1, s0
	global_store_b64 v[2:3], v[0:1], off
.LBB87_2139:
	s_and_not1_b32 vcc_lo, exec_lo, s0
	s_cbranch_vccnz .LBB87_2141
; %bb.2140:
	s_wait_xcnt 0x0
	v_cndmask_b32_e64 v0, 0, 1, s1
	s_wait_loadcnt 0x0
	global_store_b32 v[2:3], v0, off
.LBB87_2141:
	s_mov_b32 s0, 0
.LBB87_2142:
	s_delay_alu instid0(SALU_CYCLE_1)
	s_and_not1_b32 vcc_lo, exec_lo, s0
	s_cbranch_vccnz .LBB87_2144
; %bb.2143:
	s_wait_xcnt 0x0
	v_cndmask_b32_e64 v0, 0, 1, s1
	s_wait_loadcnt 0x0
	global_store_b16 v[2:3], v0, off
.LBB87_2144:
	s_mov_b32 s0, 0
.LBB87_2145:
	s_delay_alu instid0(SALU_CYCLE_1)
	s_and_not1_b32 vcc_lo, exec_lo, s0
	s_cbranch_vccnz .LBB87_2150
; %bb.2146:
	s_sext_i32_i16 s0, s6
	s_delay_alu instid0(SALU_CYCLE_1)
	s_cmp_gt_i32 s0, 0
	s_mov_b32 s0, -1
	s_cbranch_scc0 .LBB87_2148
; %bb.2147:
	s_wait_xcnt 0x0
	v_cndmask_b32_e64 v0, 0, 1, s1
	s_mov_b32 s0, 0
	s_wait_loadcnt 0x0
	global_store_b8 v[2:3], v0, off
.LBB87_2148:
	s_and_not1_b32 vcc_lo, exec_lo, s0
	s_cbranch_vccnz .LBB87_2150
; %bb.2149:
	s_wait_xcnt 0x0
	v_cndmask_b32_e64 v0, 0, 1, s1
	s_wait_loadcnt 0x0
	global_store_b8 v[2:3], v0, off
	s_endpgm
.LBB87_2150:
	s_endpgm
.LBB87_2151:
	s_mov_b32 s3, 0
	s_mov_b32 s0, -1
	s_branch .LBB87_2107
.LBB87_2152:
	s_or_b32 s10, s10, exec_lo
	s_trap 2
	s_cbranch_execz .LBB87_1621
	s_branch .LBB87_1622
.LBB87_2153:
	s_and_not1_saveexec_b32 s12, s12
	s_cbranch_execz .LBB87_1701
.LBB87_2154:
	v_add_f32_e32 v1, 0x46000000, v5
	s_and_not1_b32 s11, s11, exec_lo
	s_delay_alu instid0(VALU_DEP_1) | instskip(NEXT) | instid1(VALU_DEP_1)
	v_and_b32_e32 v1, 0xff, v1
	v_cmp_ne_u32_e32 vcc_lo, 0, v1
	s_and_b32 s13, vcc_lo, exec_lo
	s_delay_alu instid0(SALU_CYCLE_1)
	s_or_b32 s11, s11, s13
	s_or_b32 exec_lo, exec_lo, s12
	v_mov_b32_e32 v8, 0
	s_and_saveexec_b32 s12, s11
	s_cbranch_execnz .LBB87_1702
	s_branch .LBB87_1703
.LBB87_2155:
	s_or_b32 s10, s10, exec_lo
	s_trap 2
	s_cbranch_execz .LBB87_1749
	s_branch .LBB87_1750
.LBB87_2156:
	s_and_not1_saveexec_b32 s11, s11
	s_cbranch_execz .LBB87_1714
.LBB87_2157:
	v_add_f32_e32 v1, 0x42800000, v5
	s_and_not1_b32 s7, s7, exec_lo
	s_delay_alu instid0(VALU_DEP_1) | instskip(NEXT) | instid1(VALU_DEP_1)
	v_and_b32_e32 v1, 0xff, v1
	v_cmp_ne_u32_e32 vcc_lo, 0, v1
	s_and_b32 s12, vcc_lo, exec_lo
	s_delay_alu instid0(SALU_CYCLE_1)
	s_or_b32 s7, s7, s12
	s_or_b32 exec_lo, exec_lo, s11
	v_mov_b32_e32 v8, 0
	s_and_saveexec_b32 s11, s7
	s_cbranch_execnz .LBB87_1715
	s_branch .LBB87_1716
.LBB87_2158:
	s_and_not1_saveexec_b32 s12, s12
	s_cbranch_execz .LBB87_1820
.LBB87_2159:
	v_add_f32_e32 v1, 0x46000000, v3
	s_and_not1_b32 s11, s11, exec_lo
	s_delay_alu instid0(VALU_DEP_1) | instskip(NEXT) | instid1(VALU_DEP_1)
	v_and_b32_e32 v1, 0xff, v1
	v_cmp_ne_u32_e32 vcc_lo, 0, v1
	s_and_b32 s13, vcc_lo, exec_lo
	s_delay_alu instid0(SALU_CYCLE_1)
	s_or_b32 s11, s11, s13
	s_or_b32 exec_lo, exec_lo, s12
	v_mov_b32_e32 v6, 0
	s_and_saveexec_b32 s12, s11
	s_cbranch_execnz .LBB87_1821
	s_branch .LBB87_1822
.LBB87_2160:
	s_or_b32 s10, s10, exec_lo
	s_trap 2
	s_cbranch_execz .LBB87_1868
	s_branch .LBB87_1869
.LBB87_2161:
	s_and_not1_saveexec_b32 s11, s11
	s_cbranch_execz .LBB87_1833
.LBB87_2162:
	v_add_f32_e32 v1, 0x42800000, v3
	s_and_not1_b32 s7, s7, exec_lo
	s_delay_alu instid0(VALU_DEP_1) | instskip(NEXT) | instid1(VALU_DEP_1)
	v_and_b32_e32 v1, 0xff, v1
	v_cmp_ne_u32_e32 vcc_lo, 0, v1
	s_and_b32 s12, vcc_lo, exec_lo
	s_delay_alu instid0(SALU_CYCLE_1)
	s_or_b32 s7, s7, s12
	s_or_b32 exec_lo, exec_lo, s11
	v_mov_b32_e32 v6, 0
	s_and_saveexec_b32 s11, s7
	s_cbranch_execnz .LBB87_1834
	s_branch .LBB87_1835
.LBB87_2163:
	s_and_not1_saveexec_b32 s12, s12
	s_cbranch_execz .LBB87_1939
.LBB87_2164:
	v_add_f32_e32 v1, 0x46000000, v4
	s_and_not1_b32 s11, s11, exec_lo
	s_delay_alu instid0(VALU_DEP_1) | instskip(NEXT) | instid1(VALU_DEP_1)
	v_and_b32_e32 v1, 0xff, v1
	v_cmp_ne_u32_e32 vcc_lo, 0, v1
	s_and_b32 s13, vcc_lo, exec_lo
	s_delay_alu instid0(SALU_CYCLE_1)
	s_or_b32 s11, s11, s13
	s_or_b32 exec_lo, exec_lo, s12
	v_mov_b32_e32 v5, 0
	s_and_saveexec_b32 s12, s11
	s_cbranch_execnz .LBB87_1940
	s_branch .LBB87_1941
.LBB87_2165:
	s_or_b32 s10, s10, exec_lo
	s_trap 2
	s_cbranch_execz .LBB87_1987
	s_branch .LBB87_1988
.LBB87_2166:
	s_and_not1_saveexec_b32 s11, s11
	s_cbranch_execz .LBB87_1952
.LBB87_2167:
	v_add_f32_e32 v1, 0x42800000, v4
	s_and_not1_b32 s7, s7, exec_lo
	s_delay_alu instid0(VALU_DEP_1) | instskip(NEXT) | instid1(VALU_DEP_1)
	v_and_b32_e32 v1, 0xff, v1
	v_cmp_ne_u32_e32 vcc_lo, 0, v1
	s_and_b32 s12, vcc_lo, exec_lo
	s_delay_alu instid0(SALU_CYCLE_1)
	s_or_b32 s7, s7, s12
	s_or_b32 exec_lo, exec_lo, s11
	v_mov_b32_e32 v5, 0
	s_and_saveexec_b32 s11, s7
	s_cbranch_execnz .LBB87_1953
	s_branch .LBB87_1954
.LBB87_2168:
	s_and_not1_saveexec_b32 s7, s7
	s_cbranch_execz .LBB87_2059
.LBB87_2169:
	v_add_f32_e32 v0, 0x46000000, v1
	s_and_not1_b32 s5, s5, exec_lo
	s_delay_alu instid0(VALU_DEP_1) | instskip(NEXT) | instid1(VALU_DEP_1)
	v_and_b32_e32 v0, 0xff, v0
	v_cmp_ne_u32_e32 vcc_lo, 0, v0
	s_and_b32 s11, vcc_lo, exec_lo
	s_delay_alu instid0(SALU_CYCLE_1)
	s_or_b32 s5, s5, s11
	s_or_b32 exec_lo, exec_lo, s7
	v_mov_b32_e32 v4, 0
	s_and_saveexec_b32 s7, s5
	s_cbranch_execnz .LBB87_2060
	s_branch .LBB87_2061
.LBB87_2170:
	s_mov_b32 s3, 0
	s_or_b32 s10, s10, exec_lo
	s_trap 2
	s_branch .LBB87_2105
.LBB87_2171:
	s_and_not1_saveexec_b32 s5, s5
	s_cbranch_execz .LBB87_2071
.LBB87_2172:
	v_add_f32_e32 v0, 0x42800000, v1
	s_and_not1_b32 s4, s4, exec_lo
	s_delay_alu instid0(VALU_DEP_1) | instskip(NEXT) | instid1(VALU_DEP_1)
	v_and_b32_e32 v0, 0xff, v0
	v_cmp_ne_u32_e32 vcc_lo, 0, v0
	s_and_b32 s7, vcc_lo, exec_lo
	s_delay_alu instid0(SALU_CYCLE_1)
	s_or_b32 s4, s4, s7
	s_or_b32 exec_lo, exec_lo, s5
	v_mov_b32_e32 v4, 0
	s_and_saveexec_b32 s5, s4
	s_cbranch_execnz .LBB87_2072
	s_branch .LBB87_2073
	.section	.rodata,"a",@progbits
	.p2align	6, 0x0
	.amdhsa_kernel _ZN2at6native32elementwise_kernel_manual_unrollILi128ELi4EZNS0_15gpu_kernel_implIZZZNS0_12_GLOBAL__N_120isneginf_kernel_implERNS_18TensorIteratorBaseEENKUlvE_clEvENKUlvE1_clEvEUlN3c104HalfEE_EEvS5_RKT_EUlibE0_EEviT1_
		.amdhsa_group_segment_fixed_size 0
		.amdhsa_private_segment_fixed_size 0
		.amdhsa_kernarg_size 360
		.amdhsa_user_sgpr_count 2
		.amdhsa_user_sgpr_dispatch_ptr 0
		.amdhsa_user_sgpr_queue_ptr 0
		.amdhsa_user_sgpr_kernarg_segment_ptr 1
		.amdhsa_user_sgpr_dispatch_id 0
		.amdhsa_user_sgpr_kernarg_preload_length 0
		.amdhsa_user_sgpr_kernarg_preload_offset 0
		.amdhsa_user_sgpr_private_segment_size 0
		.amdhsa_wavefront_size32 1
		.amdhsa_uses_dynamic_stack 0
		.amdhsa_enable_private_segment 0
		.amdhsa_system_sgpr_workgroup_id_x 1
		.amdhsa_system_sgpr_workgroup_id_y 0
		.amdhsa_system_sgpr_workgroup_id_z 0
		.amdhsa_system_sgpr_workgroup_info 0
		.amdhsa_system_vgpr_workitem_id 0
		.amdhsa_next_free_vgpr 18
		.amdhsa_next_free_sgpr 68
		.amdhsa_named_barrier_count 0
		.amdhsa_reserve_vcc 1
		.amdhsa_float_round_mode_32 0
		.amdhsa_float_round_mode_16_64 0
		.amdhsa_float_denorm_mode_32 3
		.amdhsa_float_denorm_mode_16_64 3
		.amdhsa_fp16_overflow 0
		.amdhsa_memory_ordered 1
		.amdhsa_forward_progress 1
		.amdhsa_inst_pref_size 255
		.amdhsa_round_robin_scheduling 0
		.amdhsa_exception_fp_ieee_invalid_op 0
		.amdhsa_exception_fp_denorm_src 0
		.amdhsa_exception_fp_ieee_div_zero 0
		.amdhsa_exception_fp_ieee_overflow 0
		.amdhsa_exception_fp_ieee_underflow 0
		.amdhsa_exception_fp_ieee_inexact 0
		.amdhsa_exception_int_div_zero 0
	.end_amdhsa_kernel
	.section	.text._ZN2at6native32elementwise_kernel_manual_unrollILi128ELi4EZNS0_15gpu_kernel_implIZZZNS0_12_GLOBAL__N_120isneginf_kernel_implERNS_18TensorIteratorBaseEENKUlvE_clEvENKUlvE1_clEvEUlN3c104HalfEE_EEvS5_RKT_EUlibE0_EEviT1_,"axG",@progbits,_ZN2at6native32elementwise_kernel_manual_unrollILi128ELi4EZNS0_15gpu_kernel_implIZZZNS0_12_GLOBAL__N_120isneginf_kernel_implERNS_18TensorIteratorBaseEENKUlvE_clEvENKUlvE1_clEvEUlN3c104HalfEE_EEvS5_RKT_EUlibE0_EEviT1_,comdat
.Lfunc_end87:
	.size	_ZN2at6native32elementwise_kernel_manual_unrollILi128ELi4EZNS0_15gpu_kernel_implIZZZNS0_12_GLOBAL__N_120isneginf_kernel_implERNS_18TensorIteratorBaseEENKUlvE_clEvENKUlvE1_clEvEUlN3c104HalfEE_EEvS5_RKT_EUlibE0_EEviT1_, .Lfunc_end87-_ZN2at6native32elementwise_kernel_manual_unrollILi128ELi4EZNS0_15gpu_kernel_implIZZZNS0_12_GLOBAL__N_120isneginf_kernel_implERNS_18TensorIteratorBaseEENKUlvE_clEvENKUlvE1_clEvEUlN3c104HalfEE_EEvS5_RKT_EUlibE0_EEviT1_
                                        ; -- End function
	.set _ZN2at6native32elementwise_kernel_manual_unrollILi128ELi4EZNS0_15gpu_kernel_implIZZZNS0_12_GLOBAL__N_120isneginf_kernel_implERNS_18TensorIteratorBaseEENKUlvE_clEvENKUlvE1_clEvEUlN3c104HalfEE_EEvS5_RKT_EUlibE0_EEviT1_.num_vgpr, 18
	.set _ZN2at6native32elementwise_kernel_manual_unrollILi128ELi4EZNS0_15gpu_kernel_implIZZZNS0_12_GLOBAL__N_120isneginf_kernel_implERNS_18TensorIteratorBaseEENKUlvE_clEvENKUlvE1_clEvEUlN3c104HalfEE_EEvS5_RKT_EUlibE0_EEviT1_.num_agpr, 0
	.set _ZN2at6native32elementwise_kernel_manual_unrollILi128ELi4EZNS0_15gpu_kernel_implIZZZNS0_12_GLOBAL__N_120isneginf_kernel_implERNS_18TensorIteratorBaseEENKUlvE_clEvENKUlvE1_clEvEUlN3c104HalfEE_EEvS5_RKT_EUlibE0_EEviT1_.numbered_sgpr, 68
	.set _ZN2at6native32elementwise_kernel_manual_unrollILi128ELi4EZNS0_15gpu_kernel_implIZZZNS0_12_GLOBAL__N_120isneginf_kernel_implERNS_18TensorIteratorBaseEENKUlvE_clEvENKUlvE1_clEvEUlN3c104HalfEE_EEvS5_RKT_EUlibE0_EEviT1_.num_named_barrier, 0
	.set _ZN2at6native32elementwise_kernel_manual_unrollILi128ELi4EZNS0_15gpu_kernel_implIZZZNS0_12_GLOBAL__N_120isneginf_kernel_implERNS_18TensorIteratorBaseEENKUlvE_clEvENKUlvE1_clEvEUlN3c104HalfEE_EEvS5_RKT_EUlibE0_EEviT1_.private_seg_size, 0
	.set _ZN2at6native32elementwise_kernel_manual_unrollILi128ELi4EZNS0_15gpu_kernel_implIZZZNS0_12_GLOBAL__N_120isneginf_kernel_implERNS_18TensorIteratorBaseEENKUlvE_clEvENKUlvE1_clEvEUlN3c104HalfEE_EEvS5_RKT_EUlibE0_EEviT1_.uses_vcc, 1
	.set _ZN2at6native32elementwise_kernel_manual_unrollILi128ELi4EZNS0_15gpu_kernel_implIZZZNS0_12_GLOBAL__N_120isneginf_kernel_implERNS_18TensorIteratorBaseEENKUlvE_clEvENKUlvE1_clEvEUlN3c104HalfEE_EEvS5_RKT_EUlibE0_EEviT1_.uses_flat_scratch, 0
	.set _ZN2at6native32elementwise_kernel_manual_unrollILi128ELi4EZNS0_15gpu_kernel_implIZZZNS0_12_GLOBAL__N_120isneginf_kernel_implERNS_18TensorIteratorBaseEENKUlvE_clEvENKUlvE1_clEvEUlN3c104HalfEE_EEvS5_RKT_EUlibE0_EEviT1_.has_dyn_sized_stack, 0
	.set _ZN2at6native32elementwise_kernel_manual_unrollILi128ELi4EZNS0_15gpu_kernel_implIZZZNS0_12_GLOBAL__N_120isneginf_kernel_implERNS_18TensorIteratorBaseEENKUlvE_clEvENKUlvE1_clEvEUlN3c104HalfEE_EEvS5_RKT_EUlibE0_EEviT1_.has_recursion, 0
	.set _ZN2at6native32elementwise_kernel_manual_unrollILi128ELi4EZNS0_15gpu_kernel_implIZZZNS0_12_GLOBAL__N_120isneginf_kernel_implERNS_18TensorIteratorBaseEENKUlvE_clEvENKUlvE1_clEvEUlN3c104HalfEE_EEvS5_RKT_EUlibE0_EEviT1_.has_indirect_call, 0
	.section	.AMDGPU.csdata,"",@progbits
; Kernel info:
; codeLenInByte = 46608
; TotalNumSgprs: 70
; NumVgprs: 18
; ScratchSize: 0
; MemoryBound: 0
; FloatMode: 240
; IeeeMode: 1
; LDSByteSize: 0 bytes/workgroup (compile time only)
; SGPRBlocks: 0
; VGPRBlocks: 1
; NumSGPRsForWavesPerEU: 70
; NumVGPRsForWavesPerEU: 18
; NamedBarCnt: 0
; Occupancy: 16
; WaveLimiterHint : 1
; COMPUTE_PGM_RSRC2:SCRATCH_EN: 0
; COMPUTE_PGM_RSRC2:USER_SGPR: 2
; COMPUTE_PGM_RSRC2:TRAP_HANDLER: 0
; COMPUTE_PGM_RSRC2:TGID_X_EN: 1
; COMPUTE_PGM_RSRC2:TGID_Y_EN: 0
; COMPUTE_PGM_RSRC2:TGID_Z_EN: 0
; COMPUTE_PGM_RSRC2:TIDIG_COMP_CNT: 0
	.section	.text._ZN2at6native29vectorized_elementwise_kernelILi16EZZZNS0_12_GLOBAL__N_120isneginf_kernel_implERNS_18TensorIteratorBaseEENKUlvE_clEvENKUlvE2_clEvEUlN3c108BFloat16EE_St5arrayIPcLm2EEEEviT0_T1_,"axG",@progbits,_ZN2at6native29vectorized_elementwise_kernelILi16EZZZNS0_12_GLOBAL__N_120isneginf_kernel_implERNS_18TensorIteratorBaseEENKUlvE_clEvENKUlvE2_clEvEUlN3c108BFloat16EE_St5arrayIPcLm2EEEEviT0_T1_,comdat
	.globl	_ZN2at6native29vectorized_elementwise_kernelILi16EZZZNS0_12_GLOBAL__N_120isneginf_kernel_implERNS_18TensorIteratorBaseEENKUlvE_clEvENKUlvE2_clEvEUlN3c108BFloat16EE_St5arrayIPcLm2EEEEviT0_T1_ ; -- Begin function _ZN2at6native29vectorized_elementwise_kernelILi16EZZZNS0_12_GLOBAL__N_120isneginf_kernel_implERNS_18TensorIteratorBaseEENKUlvE_clEvENKUlvE2_clEvEUlN3c108BFloat16EE_St5arrayIPcLm2EEEEviT0_T1_
	.p2align	8
	.type	_ZN2at6native29vectorized_elementwise_kernelILi16EZZZNS0_12_GLOBAL__N_120isneginf_kernel_implERNS_18TensorIteratorBaseEENKUlvE_clEvENKUlvE2_clEvEUlN3c108BFloat16EE_St5arrayIPcLm2EEEEviT0_T1_,@function
_ZN2at6native29vectorized_elementwise_kernelILi16EZZZNS0_12_GLOBAL__N_120isneginf_kernel_implERNS_18TensorIteratorBaseEENKUlvE_clEvENKUlvE2_clEvEUlN3c108BFloat16EE_St5arrayIPcLm2EEEEviT0_T1_: ; @_ZN2at6native29vectorized_elementwise_kernelILi16EZZZNS0_12_GLOBAL__N_120isneginf_kernel_implERNS_18TensorIteratorBaseEENKUlvE_clEvENKUlvE2_clEvEUlN3c108BFloat16EE_St5arrayIPcLm2EEEEviT0_T1_
; %bb.0:
	s_clause 0x1
	s_load_b32 s3, s[0:1], 0x0
	s_load_b128 s[4:7], s[0:1], 0x8
	s_wait_xcnt 0x0
	s_bfe_u32 s0, ttmp6, 0x4000c
	s_and_b32 s1, ttmp6, 15
	s_add_co_i32 s0, s0, 1
	s_getreg_b32 s2, hwreg(HW_REG_IB_STS2, 6, 4)
	s_mul_i32 s0, ttmp9, s0
	s_delay_alu instid0(SALU_CYCLE_1) | instskip(SKIP_2) | instid1(SALU_CYCLE_1)
	s_add_co_i32 s1, s1, s0
	s_cmp_eq_u32 s2, 0
	s_cselect_b32 s0, ttmp9, s1
	s_lshl_b32 s2, s0, 12
	s_mov_b32 s0, -1
	s_wait_kmcnt 0x0
	s_sub_co_i32 s1, s3, s2
	s_delay_alu instid0(SALU_CYCLE_1)
	s_cmp_gt_i32 s1, 0xfff
	s_cbranch_scc0 .LBB88_2
; %bb.1:
	s_ashr_i32 s3, s2, 31
	v_lshlrev_b32_e32 v1, 5, v0
	s_lshl_b64 s[8:9], s[2:3], 1
	s_mov_b32 s0, 0
	s_add_nc_u64 s[8:9], s[6:7], s[8:9]
	s_clause 0x1
	global_load_b128 v[2:5], v1, s[8:9]
	global_load_b128 v[6:9], v1, s[8:9] offset:16
	s_wait_xcnt 0x0
	s_add_nc_u64 s[8:9], s[4:5], s[2:3]
	s_wait_loadcnt 0x1
	v_and_b32_e32 v1, 0xffff0000, v4
	v_lshlrev_b32_e32 v4, 16, v4
	v_and_b32_e32 v10, 0xffff0000, v5
	v_and_b32_e32 v11, 0xffff0000, v2
	v_lshlrev_b32_e32 v2, 16, v2
	v_cmp_eq_f32_e32 vcc_lo, 0xff800000, v1
	v_lshlrev_b32_e32 v5, 16, v5
	v_and_b32_e32 v12, 0xffff0000, v3
	v_lshlrev_b32_e32 v3, 16, v3
	s_wait_loadcnt 0x0
	v_and_b32_e32 v13, 0xffff0000, v8
	v_cndmask_b32_e64 v1, 0, 1, vcc_lo
	v_cmp_eq_f32_e32 vcc_lo, 0xff800000, v4
	v_lshlrev_b32_e32 v8, 16, v8
	v_and_b32_e32 v14, 0xffff0000, v9
	v_lshlrev_b32_e32 v9, 16, v9
	v_and_b32_e32 v15, 0xffff0000, v6
	v_cndmask_b32_e64 v4, 0, 1, vcc_lo
	v_cmp_eq_f32_e32 vcc_lo, 0xff800000, v10
	v_lshlrev_b32_e32 v6, 16, v6
	v_and_b32_e32 v16, 0xffff0000, v7
	v_lshlrev_b16 v1, 8, v1
	v_lshlrev_b32_e32 v7, 16, v7
	v_cndmask_b32_e64 v10, 0, 1, vcc_lo
	v_cmp_eq_f32_e32 vcc_lo, 0xff800000, v5
	s_delay_alu instid0(VALU_DEP_4) | instskip(NEXT) | instid1(VALU_DEP_3)
	v_or_b32_e32 v1, v4, v1
	v_lshlrev_b16 v10, 8, v10
	v_cndmask_b32_e64 v5, 0, 1, vcc_lo
	v_cmp_eq_f32_e32 vcc_lo, 0xff800000, v11
	s_delay_alu instid0(VALU_DEP_4) | instskip(SKIP_2) | instid1(VALU_DEP_2)
	v_and_b32_e32 v1, 0xffff, v1
	v_cndmask_b32_e64 v11, 0, 1, vcc_lo
	v_cmp_eq_f32_e32 vcc_lo, 0xff800000, v2
	v_lshlrev_b16 v11, 8, v11
	v_cndmask_b32_e64 v2, 0, 1, vcc_lo
	v_cmp_eq_f32_e32 vcc_lo, 0xff800000, v12
	v_cndmask_b32_e64 v12, 0, 1, vcc_lo
	v_cmp_eq_f32_e32 vcc_lo, 0xff800000, v3
	s_delay_alu instid0(VALU_DEP_2) | instskip(SKIP_4) | instid1(VALU_DEP_2)
	v_lshlrev_b16 v12, 8, v12
	v_cndmask_b32_e64 v3, 0, 1, vcc_lo
	v_cmp_eq_f32_e32 vcc_lo, 0xff800000, v13
	v_cndmask_b32_e64 v13, 0, 1, vcc_lo
	v_cmp_eq_f32_e32 vcc_lo, 0xff800000, v8
	v_lshlrev_b16 v13, 8, v13
	v_cndmask_b32_e64 v8, 0, 1, vcc_lo
	v_cmp_eq_f32_e32 vcc_lo, 0xff800000, v14
	v_cndmask_b32_e64 v14, 0, 1, vcc_lo
	v_cmp_eq_f32_e32 vcc_lo, 0xff800000, v9
	s_delay_alu instid0(VALU_DEP_2) | instskip(SKIP_4) | instid1(VALU_DEP_2)
	v_lshlrev_b16 v14, 8, v14
	v_cndmask_b32_e64 v9, 0, 1, vcc_lo
	v_cmp_eq_f32_e32 vcc_lo, 0xff800000, v15
	v_cndmask_b32_e64 v15, 0, 1, vcc_lo
	v_cmp_eq_f32_e32 vcc_lo, 0xff800000, v6
	v_lshlrev_b16 v15, 8, v15
	v_cndmask_b32_e64 v6, 0, 1, vcc_lo
	v_cmp_eq_f32_e32 vcc_lo, 0xff800000, v16
	s_delay_alu instid0(VALU_DEP_2) | instskip(SKIP_2) | instid1(VALU_DEP_3)
	v_or_b32_e32 v6, v6, v15
	v_cndmask_b32_e64 v16, 0, 1, vcc_lo
	v_cmp_eq_f32_e32 vcc_lo, 0xff800000, v7
	v_and_b32_e32 v6, 0xffff, v6
	s_delay_alu instid0(VALU_DEP_3) | instskip(SKIP_1) | instid1(VALU_DEP_1)
	v_lshlrev_b16 v16, 8, v16
	v_cndmask_b32_e64 v7, 0, 1, vcc_lo
	v_or_b32_e32 v7, v7, v16
	s_delay_alu instid0(VALU_DEP_1) | instskip(SKIP_2) | instid1(VALU_DEP_3)
	v_dual_lshlrev_b32 v7, 16, v7 :: v_dual_bitop2_b32 v3, v3, v12 bitop3:0x54
	v_or_b32_e32 v4, v5, v10
	v_or_b32_e32 v5, v8, v13
	v_dual_lshlrev_b32 v9, 16, v3 :: v_dual_bitop2_b32 v8, v9, v14 bitop3:0x54
	s_delay_alu instid0(VALU_DEP_3) | instskip(NEXT) | instid1(VALU_DEP_2)
	v_dual_lshlrev_b32 v4, 16, v4 :: v_dual_bitop2_b32 v2, v2, v11 bitop3:0x54
	v_lshlrev_b32_e32 v8, 16, v8
	s_delay_alu instid0(VALU_DEP_4) | instskip(NEXT) | instid1(VALU_DEP_3)
	v_and_b32_e32 v5, 0xffff, v5
	v_and_b32_e32 v2, 0xffff, v2
	s_delay_alu instid0(VALU_DEP_4) | instskip(SKIP_1) | instid1(VALU_DEP_4)
	v_or_b32_e32 v3, v1, v4
	v_or_b32_e32 v4, v6, v7
	;; [unrolled: 1-line block ×3, first 2 shown]
	s_delay_alu instid0(VALU_DEP_4)
	v_or_b32_e32 v2, v2, v9
	global_store_b128 v0, v[2:5], s[8:9] scale_offset
.LBB88_2:
	s_and_not1_b32 vcc_lo, exec_lo, s0
	s_cbranch_vccnz .LBB88_52
; %bb.3:
	v_cmp_gt_i32_e32 vcc_lo, s1, v0
	s_wait_xcnt 0x0
	v_dual_mov_b32 v3, v0 :: v_dual_bitop2_b32 v1, s2, v0 bitop3:0x54
	v_or_b32_e32 v2, 0x100, v0
	s_mov_b32 s3, 0
	s_mov_b32 s9, 0
	s_and_saveexec_b32 s8, vcc_lo
	s_cbranch_execz .LBB88_5
; %bb.4:
	global_load_u16 v3, v1, s[6:7] scale_offset
	s_wait_loadcnt 0x0
	v_lshlrev_b32_e32 v3, 16, v3
	s_delay_alu instid0(VALU_DEP_1)
	v_cmp_eq_f32_e64 s0, 0xff800000, v3
	v_or_b32_e32 v3, 0x100, v0
	s_and_b32 s9, s0, exec_lo
.LBB88_5:
	s_wait_xcnt 0x0
	s_or_b32 exec_lo, exec_lo, s8
	s_delay_alu instid0(SALU_CYCLE_1)
	s_mov_b32 s8, exec_lo
	v_cmpx_gt_i32_e64 s1, v3
	s_cbranch_execz .LBB88_7
; %bb.6:
	v_add_nc_u32_e32 v4, s2, v3
	v_add_nc_u32_e32 v3, 0x100, v3
	global_load_u16 v4, v4, s[6:7] scale_offset
	s_wait_loadcnt 0x0
	v_lshlrev_b32_e32 v4, 16, v4
	s_delay_alu instid0(VALU_DEP_1)
	v_cmp_eq_f32_e64 s0, 0xff800000, v4
	s_and_b32 s3, s0, exec_lo
.LBB88_7:
	s_or_b32 exec_lo, exec_lo, s8
	s_mov_b32 s10, 0
	s_mov_b32 s11, 0
	s_mov_b32 s8, exec_lo
	v_cmpx_gt_i32_e64 s1, v3
	s_cbranch_execz .LBB88_9
; %bb.8:
	v_add_nc_u32_e32 v4, s2, v3
	v_add_nc_u32_e32 v3, 0x100, v3
	global_load_u16 v4, v4, s[6:7] scale_offset
	s_wait_loadcnt 0x0
	v_lshlrev_b32_e32 v4, 16, v4
	s_delay_alu instid0(VALU_DEP_1)
	v_cmp_eq_f32_e64 s0, 0xff800000, v4
	s_and_b32 s11, s0, exec_lo
.LBB88_9:
	s_or_b32 exec_lo, exec_lo, s8
	s_delay_alu instid0(SALU_CYCLE_1)
	s_mov_b32 s8, exec_lo
	v_cmpx_gt_i32_e64 s1, v3
	s_cbranch_execz .LBB88_11
; %bb.10:
	v_add_nc_u32_e32 v4, s2, v3
	v_add_nc_u32_e32 v3, 0x100, v3
	global_load_u16 v4, v4, s[6:7] scale_offset
	s_wait_loadcnt 0x0
	v_lshlrev_b32_e32 v4, 16, v4
	s_delay_alu instid0(VALU_DEP_1)
	v_cmp_eq_f32_e64 s0, 0xff800000, v4
	s_and_b32 s10, s0, exec_lo
.LBB88_11:
	s_or_b32 exec_lo, exec_lo, s8
	s_mov_b32 s12, 0
	s_mov_b32 s14, 0
	s_mov_b32 s8, exec_lo
	v_cmpx_gt_i32_e64 s1, v3
	s_cbranch_execz .LBB88_13
; %bb.12:
	v_add_nc_u32_e32 v4, s2, v3
	v_add_nc_u32_e32 v3, 0x100, v3
	global_load_u16 v4, v4, s[6:7] scale_offset
	s_wait_loadcnt 0x0
	v_lshlrev_b32_e32 v4, 16, v4
	s_delay_alu instid0(VALU_DEP_1)
	v_cmp_eq_f32_e64 s0, 0xff800000, v4
	s_and_b32 s14, s0, exec_lo
.LBB88_13:
	;; [unrolled: 31-line block ×7, first 2 shown]
	s_or_b32 exec_lo, exec_lo, s23
	s_delay_alu instid0(SALU_CYCLE_1)
	s_mov_b32 s23, exec_lo
	v_cmpx_gt_i32_e64 s1, v3
	s_cbranch_execz .LBB88_35
; %bb.34:
	v_add_nc_u32_e32 v3, s2, v3
	global_load_u16 v3, v3, s[6:7] scale_offset
	s_wait_loadcnt 0x0
	v_lshlrev_b32_e32 v3, 16, v3
	s_delay_alu instid0(VALU_DEP_1)
	v_cmp_eq_f32_e64 s0, 0xff800000, v3
	s_and_b32 s19, s0, exec_lo
.LBB88_35:
	s_or_b32 exec_lo, exec_lo, s23
	v_cndmask_b32_e64 v5, 0, 1, s14
	v_cndmask_b32_e64 v3, 0, 1, s9
	;; [unrolled: 1-line block ×3, first 2 shown]
	v_or_b32_e32 v10, 0x400, v0
	v_cndmask_b32_e64 v9, 0, 1, s12
	v_bitop3_b16 v5, v5, 0, 0xff00 bitop3:0xf8
	v_or_b32_e32 v6, 0x200, v0
	v_lshlrev_b16 v4, 8, v4
	v_cmp_gt_i32_e64 s0, s1, v10
	v_lshlrev_b16 v9, 8, v9
	v_and_b32_e32 v5, 0xffff, v5
	v_cndmask_b32_e32 v3, 0, v3, vcc_lo
	v_cndmask_b32_e64 v7, 0, 1, s11
	v_or_b32_e32 v10, 0xc00, v0
	v_or_b32_e32 v11, 0x500, v0
	s_delay_alu instid0(VALU_DEP_4) | instskip(SKIP_3) | instid1(VALU_DEP_4)
	v_dual_cndmask_b32 v5, 0, v5, s0 :: v_dual_bitop2_b32 v4, v3, v4 bitop3:0x54
	v_cmp_gt_i32_e64 s0, s1, v2
	v_cndmask_b32_e64 v12, 0, 1, s21
	v_cndmask_b32_e64 v8, 0, 1, s10
	v_bitop3_b16 v9, v5, v9, 0xff bitop3:0xec
	v_and_b32_e32 v4, 0xffff, v4
	v_cndmask_b32_e64 v13, 0, 1, s20
	v_cndmask_b32_e64 v14, 0, 1, s18
	v_lshlrev_b16 v8, 8, v8
	v_and_b32_e32 v9, 0xffff, v9
	v_cndmask_b32_e64 v3, v3, v4, s0
	v_cmp_gt_i32_e64 s0, s1, v6
	v_cndmask_b32_e64 v4, 0, 1, s17
	s_delay_alu instid0(VALU_DEP_3) | instskip(NEXT) | instid1(VALU_DEP_1)
	v_lshl_or_b32 v7, v7, 16, v3
	v_cndmask_b32_e64 v3, v3, v7, s0
	v_cmp_gt_i32_e64 s0, s1, v10
	v_lshlrev_b16 v7, 8, v13
	v_or_b32_e32 v10, 0x800, v0
	v_or_b32_e32 v13, 0xd00, v0
	s_delay_alu instid0(VALU_DEP_4) | instskip(SKIP_2) | instid1(VALU_DEP_2)
	v_cndmask_b32_e64 v6, 0, v12, s0
	v_cmp_gt_i32_e64 s0, s1, v11
	v_cndmask_b32_e64 v11, 0, 1, s15
	v_dual_cndmask_b32 v5, v5, v9, s0 :: v_dual_lshrrev_b32 v9, 16, v3
	s_delay_alu instid0(VALU_DEP_4) | instskip(SKIP_1) | instid1(VALU_DEP_3)
	v_bitop3_b16 v7, v6, v7, 0xff bitop3:0xec
	v_cmp_gt_i32_e64 s0, s1, v10
	v_bitop3_b16 v8, v9, v8, 0xff bitop3:0xec
	s_delay_alu instid0(VALU_DEP_4) | instskip(NEXT) | instid1(VALU_DEP_4)
	v_lshrrev_b32_e32 v12, 16, v5
	v_and_b32_e32 v7, 0xffff, v7
	v_cndmask_b32_e64 v9, 0, 1, s13
	s_delay_alu instid0(VALU_DEP_4) | instskip(NEXT) | instid1(VALU_DEP_4)
	v_lshlrev_b32_e32 v8, 16, v8
	v_bitop3_b16 v4, v4, v12, 0xff00 bitop3:0xf8
	v_cndmask_b32_e64 v10, 0, v11, s0
	v_cmp_gt_i32_e64 s0, s1, v13
	v_lshlrev_b16 v9, 8, v9
	v_or_b32_e32 v11, 0x900, v0
	v_lshlrev_b32_e32 v4, 16, v4
	v_cndmask_b32_e64 v13, 0, 1, s22
	v_and_or_b32 v8, 0xffff, v3, v8
	s_delay_alu instid0(VALU_DEP_3) | instskip(SKIP_2) | instid1(VALU_DEP_1)
	v_and_or_b32 v4, 0xffff, v5, v4
	v_cndmask_b32_e64 v6, v6, v7, s0
	v_or_b32_e32 v7, 0x600, v0
	v_cmp_gt_i32_e64 s0, s1, v7
	s_delay_alu instid0(VALU_DEP_1) | instskip(NEXT) | instid1(VALU_DEP_4)
	v_dual_cndmask_b32 v4, v5, v4, s0 :: v_dual_bitop2_b32 v9, v10, v9 bitop3:0x54
	v_lshrrev_b32_e32 v12, 16, v6
	v_cmp_gt_i32_e64 s0, s1, v11
	s_delay_alu instid0(VALU_DEP_3) | instskip(NEXT) | instid1(VALU_DEP_3)
	v_and_b32_e32 v9, 0xffff, v9
	v_bitop3_b16 v5, v13, v12, 0xff00 bitop3:0xf8
	v_or_b32_e32 v12, 0xa00, v0
	v_lshrrev_b32_e32 v11, 16, v4
	v_or_b32_e32 v13, 0xe00, v0
	v_dual_cndmask_b32 v7, v10, v9, s0 :: v_dual_lshlrev_b32 v9, 16, v14
	v_lshlrev_b32_e32 v5, 16, v5
	v_cmp_gt_i32_e64 s0, s1, v12
	v_cndmask_b32_e64 v10, 0, 1, s8
	s_delay_alu instid0(VALU_DEP_4) | instskip(NEXT) | instid1(VALU_DEP_4)
	v_and_or_b32 v9, 0x1ff, v7, v9
	v_and_or_b32 v5, 0xffff, v6, v5
	s_delay_alu instid0(VALU_DEP_3) | instskip(NEXT) | instid1(VALU_DEP_3)
	v_lshlrev_b16 v10, 8, v10
	v_cndmask_b32_e64 v7, v7, v9, s0
	v_cmp_gt_i32_e64 s0, s1, v13
	v_cndmask_b32_e64 v9, 0, 1, s16
	v_or_b32_e32 v13, 0x300, v0
	s_delay_alu instid0(VALU_DEP_3)
	v_cndmask_b32_e64 v12, v6, v5, s0
	v_cndmask_b32_e64 v5, 0, 1, s19
	v_bitop3_b16 v6, v11, v10, 0xff bitop3:0xec
	v_lshlrev_b16 v9, 8, v9
	v_cmp_gt_i32_e64 s0, s1, v13
	v_dual_lshrrev_b32 v11, 16, v12 :: v_dual_lshrrev_b32 v10, 16, v7
	v_lshlrev_b16 v5, 8, v5
	s_delay_alu instid0(VALU_DEP_2) | instskip(NEXT) | instid1(VALU_DEP_4)
	v_bitop3_b16 v9, v10, v9, 0xff bitop3:0xec
	v_dual_lshlrev_b32 v10, 16, v6 :: v_dual_cndmask_b32 v6, v3, v8, s0
	s_delay_alu instid0(VALU_DEP_3) | instskip(SKIP_2) | instid1(VALU_DEP_3)
	v_bitop3_b16 v5, v11, v5, 0xff bitop3:0xec
	v_or_b32_e32 v8, 0x700, v0
	v_or_b32_e32 v11, 0xf00, v0
	v_lshlrev_b32_e32 v5, 16, v5
	s_delay_alu instid0(VALU_DEP_3) | instskip(SKIP_4) | instid1(VALU_DEP_3)
	v_cmp_gt_i32_e64 s0, s1, v8
	v_lshlrev_b32_e32 v3, 16, v9
	v_and_or_b32 v9, 0xffff, v4, v10
	v_or_b32_e32 v10, 0xb00, v0
	v_and_or_b32 v13, 0xffff, v12, v5
	v_cndmask_b32_e64 v5, v4, v9, s0
	v_and_or_b32 v3, 0xffff, v7, v3
	s_delay_alu instid0(VALU_DEP_4) | instskip(NEXT) | instid1(VALU_DEP_1)
	v_cmp_gt_i32_e64 s0, s1, v10
	v_cndmask_b32_e64 v4, v7, v3, s0
	v_cmp_gt_i32_e64 s0, s1, v11
	s_delay_alu instid0(VALU_DEP_1)
	v_cndmask_b32_e64 v3, v12, v13, s0
	s_and_saveexec_b32 s0, vcc_lo
	s_cbranch_execnz .LBB88_53
; %bb.36:
	s_or_b32 exec_lo, exec_lo, s0
	s_delay_alu instid0(SALU_CYCLE_1)
	s_mov_b32 s0, exec_lo
	v_cmpx_gt_i32_e64 s1, v0
	s_cbranch_execnz .LBB88_54
.LBB88_37:
	s_or_b32 exec_lo, exec_lo, s0
	s_delay_alu instid0(SALU_CYCLE_1)
	s_mov_b32 s0, exec_lo
	v_cmpx_gt_i32_e64 s1, v0
	s_cbranch_execnz .LBB88_55
.LBB88_38:
	s_or_b32 exec_lo, exec_lo, s0
	s_delay_alu instid0(SALU_CYCLE_1)
	s_mov_b32 s0, exec_lo
	v_cmpx_gt_i32_e64 s1, v0
	s_cbranch_execnz .LBB88_56
.LBB88_39:
	s_or_b32 exec_lo, exec_lo, s0
	s_delay_alu instid0(SALU_CYCLE_1)
	s_mov_b32 s0, exec_lo
	v_cmpx_gt_i32_e64 s1, v0
	s_cbranch_execnz .LBB88_57
.LBB88_40:
	s_or_b32 exec_lo, exec_lo, s0
	s_delay_alu instid0(SALU_CYCLE_1)
	s_mov_b32 s0, exec_lo
	v_cmpx_gt_i32_e64 s1, v0
	s_cbranch_execnz .LBB88_58
.LBB88_41:
	s_or_b32 exec_lo, exec_lo, s0
	s_delay_alu instid0(SALU_CYCLE_1)
	s_mov_b32 s0, exec_lo
	v_cmpx_gt_i32_e64 s1, v0
	s_cbranch_execnz .LBB88_59
.LBB88_42:
	s_or_b32 exec_lo, exec_lo, s0
	s_delay_alu instid0(SALU_CYCLE_1)
	s_mov_b32 s0, exec_lo
	v_cmpx_gt_i32_e64 s1, v0
	s_cbranch_execnz .LBB88_60
.LBB88_43:
	s_or_b32 exec_lo, exec_lo, s0
	s_delay_alu instid0(SALU_CYCLE_1)
	s_mov_b32 s0, exec_lo
	v_cmpx_gt_i32_e64 s1, v0
	s_cbranch_execnz .LBB88_61
.LBB88_44:
	s_or_b32 exec_lo, exec_lo, s0
	s_delay_alu instid0(SALU_CYCLE_1)
	s_mov_b32 s0, exec_lo
	v_cmpx_gt_i32_e64 s1, v0
	s_cbranch_execnz .LBB88_62
.LBB88_45:
	s_or_b32 exec_lo, exec_lo, s0
	s_delay_alu instid0(SALU_CYCLE_1)
	s_mov_b32 s0, exec_lo
	v_cmpx_gt_i32_e64 s1, v0
	s_cbranch_execnz .LBB88_63
.LBB88_46:
	s_or_b32 exec_lo, exec_lo, s0
	s_delay_alu instid0(SALU_CYCLE_1)
	s_mov_b32 s0, exec_lo
	v_cmpx_gt_i32_e64 s1, v0
	s_cbranch_execnz .LBB88_64
.LBB88_47:
	s_or_b32 exec_lo, exec_lo, s0
	s_delay_alu instid0(SALU_CYCLE_1)
	s_mov_b32 s0, exec_lo
	v_cmpx_gt_i32_e64 s1, v0
	s_cbranch_execnz .LBB88_65
.LBB88_48:
	s_or_b32 exec_lo, exec_lo, s0
	s_delay_alu instid0(SALU_CYCLE_1)
	s_mov_b32 s0, exec_lo
	v_cmpx_gt_i32_e64 s1, v0
	s_cbranch_execnz .LBB88_66
.LBB88_49:
	s_or_b32 exec_lo, exec_lo, s0
	s_delay_alu instid0(SALU_CYCLE_1)
	s_mov_b32 s0, exec_lo
	v_cmpx_gt_i32_e64 s1, v0
	s_cbranch_execnz .LBB88_67
.LBB88_50:
	s_or_b32 exec_lo, exec_lo, s0
	s_delay_alu instid0(SALU_CYCLE_1)
	s_mov_b32 s0, exec_lo
	v_cmpx_gt_i32_e64 s1, v0
	s_cbranch_execz .LBB88_52
.LBB88_51:
	v_dual_lshrrev_b32 v1, 24, v3 :: v_dual_add_nc_u32 v0, s2, v0
	global_store_b8 v0, v1, s[4:5]
.LBB88_52:
	s_endpgm
.LBB88_53:
	v_mov_b32_e32 v0, v2
	global_store_b8 v1, v6, s[4:5]
	s_wait_xcnt 0x0
	s_or_b32 exec_lo, exec_lo, s0
	s_delay_alu instid0(SALU_CYCLE_1)
	s_mov_b32 s0, exec_lo
	v_cmpx_gt_i32_e64 s1, v0
	s_cbranch_execz .LBB88_37
.LBB88_54:
	v_dual_lshrrev_b32 v1, 8, v6 :: v_dual_add_nc_u32 v2, s2, v0
	v_add_nc_u32_e32 v0, 0x100, v0
	global_store_b8 v2, v1, s[4:5]
	s_wait_xcnt 0x0
	s_or_b32 exec_lo, exec_lo, s0
	s_delay_alu instid0(SALU_CYCLE_1)
	s_mov_b32 s0, exec_lo
	v_cmpx_gt_i32_e64 s1, v0
	s_cbranch_execz .LBB88_38
.LBB88_55:
	v_add_nc_u32_e32 v1, s2, v0
	v_add_nc_u32_e32 v0, 0x100, v0
	global_store_d16_hi_b8 v1, v6, s[4:5]
	s_wait_xcnt 0x0
	s_or_b32 exec_lo, exec_lo, s0
	s_delay_alu instid0(SALU_CYCLE_1)
	s_mov_b32 s0, exec_lo
	v_cmpx_gt_i32_e64 s1, v0
	s_cbranch_execz .LBB88_39
.LBB88_56:
	v_dual_lshrrev_b32 v1, 24, v6 :: v_dual_add_nc_u32 v2, s2, v0
	v_add_nc_u32_e32 v0, 0x100, v0
	global_store_b8 v2, v1, s[4:5]
	s_wait_xcnt 0x0
	s_or_b32 exec_lo, exec_lo, s0
	s_delay_alu instid0(SALU_CYCLE_1)
	s_mov_b32 s0, exec_lo
	v_cmpx_gt_i32_e64 s1, v0
	s_cbranch_execz .LBB88_40
.LBB88_57:
	v_add_nc_u32_e32 v1, s2, v0
	v_add_nc_u32_e32 v0, 0x100, v0
	global_store_b8 v1, v5, s[4:5]
	s_wait_xcnt 0x0
	s_or_b32 exec_lo, exec_lo, s0
	s_delay_alu instid0(SALU_CYCLE_1)
	s_mov_b32 s0, exec_lo
	v_cmpx_gt_i32_e64 s1, v0
	s_cbranch_execz .LBB88_41
.LBB88_58:
	v_dual_lshrrev_b32 v1, 8, v5 :: v_dual_add_nc_u32 v2, s2, v0
	v_add_nc_u32_e32 v0, 0x100, v0
	global_store_b8 v2, v1, s[4:5]
	s_wait_xcnt 0x0
	s_or_b32 exec_lo, exec_lo, s0
	s_delay_alu instid0(SALU_CYCLE_1)
	s_mov_b32 s0, exec_lo
	v_cmpx_gt_i32_e64 s1, v0
	s_cbranch_execz .LBB88_42
.LBB88_59:
	v_add_nc_u32_e32 v1, s2, v0
	v_add_nc_u32_e32 v0, 0x100, v0
	global_store_d16_hi_b8 v1, v5, s[4:5]
	s_wait_xcnt 0x0
	s_or_b32 exec_lo, exec_lo, s0
	s_delay_alu instid0(SALU_CYCLE_1)
	s_mov_b32 s0, exec_lo
	v_cmpx_gt_i32_e64 s1, v0
	s_cbranch_execz .LBB88_43
.LBB88_60:
	v_dual_lshrrev_b32 v1, 24, v5 :: v_dual_add_nc_u32 v2, s2, v0
	v_add_nc_u32_e32 v0, 0x100, v0
	global_store_b8 v2, v1, s[4:5]
	s_wait_xcnt 0x0
	s_or_b32 exec_lo, exec_lo, s0
	s_delay_alu instid0(SALU_CYCLE_1)
	s_mov_b32 s0, exec_lo
	v_cmpx_gt_i32_e64 s1, v0
	s_cbranch_execz .LBB88_44
.LBB88_61:
	v_add_nc_u32_e32 v1, s2, v0
	v_add_nc_u32_e32 v0, 0x100, v0
	global_store_b8 v1, v4, s[4:5]
	s_wait_xcnt 0x0
	s_or_b32 exec_lo, exec_lo, s0
	s_delay_alu instid0(SALU_CYCLE_1)
	s_mov_b32 s0, exec_lo
	v_cmpx_gt_i32_e64 s1, v0
	s_cbranch_execz .LBB88_45
.LBB88_62:
	v_lshrrev_b32_e32 v1, 8, v4
	v_add_nc_u32_e32 v2, s2, v0
	v_add_nc_u32_e32 v0, 0x100, v0
	global_store_b8 v2, v1, s[4:5]
	s_wait_xcnt 0x0
	s_or_b32 exec_lo, exec_lo, s0
	s_delay_alu instid0(SALU_CYCLE_1)
	s_mov_b32 s0, exec_lo
	v_cmpx_gt_i32_e64 s1, v0
	s_cbranch_execz .LBB88_46
.LBB88_63:
	v_add_nc_u32_e32 v1, s2, v0
	v_add_nc_u32_e32 v0, 0x100, v0
	global_store_d16_hi_b8 v1, v4, s[4:5]
	s_wait_xcnt 0x0
	s_or_b32 exec_lo, exec_lo, s0
	s_delay_alu instid0(SALU_CYCLE_1)
	s_mov_b32 s0, exec_lo
	v_cmpx_gt_i32_e64 s1, v0
	s_cbranch_execz .LBB88_47
.LBB88_64:
	v_lshrrev_b32_e32 v1, 24, v4
	v_add_nc_u32_e32 v2, s2, v0
	v_add_nc_u32_e32 v0, 0x100, v0
	global_store_b8 v2, v1, s[4:5]
	s_wait_xcnt 0x0
	s_or_b32 exec_lo, exec_lo, s0
	s_delay_alu instid0(SALU_CYCLE_1)
	s_mov_b32 s0, exec_lo
	v_cmpx_gt_i32_e64 s1, v0
	s_cbranch_execz .LBB88_48
.LBB88_65:
	v_add_nc_u32_e32 v1, s2, v0
	v_add_nc_u32_e32 v0, 0x100, v0
	global_store_b8 v1, v3, s[4:5]
	s_wait_xcnt 0x0
	s_or_b32 exec_lo, exec_lo, s0
	s_delay_alu instid0(SALU_CYCLE_1)
	s_mov_b32 s0, exec_lo
	v_cmpx_gt_i32_e64 s1, v0
	s_cbranch_execz .LBB88_49
.LBB88_66:
	v_dual_lshrrev_b32 v1, 8, v3 :: v_dual_add_nc_u32 v2, s2, v0
	v_add_nc_u32_e32 v0, 0x100, v0
	global_store_b8 v2, v1, s[4:5]
	s_wait_xcnt 0x0
	s_or_b32 exec_lo, exec_lo, s0
	s_delay_alu instid0(SALU_CYCLE_1)
	s_mov_b32 s0, exec_lo
	v_cmpx_gt_i32_e64 s1, v0
	s_cbranch_execz .LBB88_50
.LBB88_67:
	v_add_nc_u32_e32 v1, s2, v0
	v_add_nc_u32_e32 v0, 0x100, v0
	global_store_d16_hi_b8 v1, v3, s[4:5]
	s_wait_xcnt 0x0
	s_or_b32 exec_lo, exec_lo, s0
	s_delay_alu instid0(SALU_CYCLE_1)
	s_mov_b32 s0, exec_lo
	v_cmpx_gt_i32_e64 s1, v0
	s_cbranch_execnz .LBB88_51
	s_branch .LBB88_52
	.section	.rodata,"a",@progbits
	.p2align	6, 0x0
	.amdhsa_kernel _ZN2at6native29vectorized_elementwise_kernelILi16EZZZNS0_12_GLOBAL__N_120isneginf_kernel_implERNS_18TensorIteratorBaseEENKUlvE_clEvENKUlvE2_clEvEUlN3c108BFloat16EE_St5arrayIPcLm2EEEEviT0_T1_
		.amdhsa_group_segment_fixed_size 0
		.amdhsa_private_segment_fixed_size 0
		.amdhsa_kernarg_size 24
		.amdhsa_user_sgpr_count 2
		.amdhsa_user_sgpr_dispatch_ptr 0
		.amdhsa_user_sgpr_queue_ptr 0
		.amdhsa_user_sgpr_kernarg_segment_ptr 1
		.amdhsa_user_sgpr_dispatch_id 0
		.amdhsa_user_sgpr_kernarg_preload_length 0
		.amdhsa_user_sgpr_kernarg_preload_offset 0
		.amdhsa_user_sgpr_private_segment_size 0
		.amdhsa_wavefront_size32 1
		.amdhsa_uses_dynamic_stack 0
		.amdhsa_enable_private_segment 0
		.amdhsa_system_sgpr_workgroup_id_x 1
		.amdhsa_system_sgpr_workgroup_id_y 0
		.amdhsa_system_sgpr_workgroup_id_z 0
		.amdhsa_system_sgpr_workgroup_info 0
		.amdhsa_system_vgpr_workitem_id 0
		.amdhsa_next_free_vgpr 17
		.amdhsa_next_free_sgpr 24
		.amdhsa_named_barrier_count 0
		.amdhsa_reserve_vcc 1
		.amdhsa_float_round_mode_32 0
		.amdhsa_float_round_mode_16_64 0
		.amdhsa_float_denorm_mode_32 3
		.amdhsa_float_denorm_mode_16_64 3
		.amdhsa_fp16_overflow 0
		.amdhsa_memory_ordered 1
		.amdhsa_forward_progress 1
		.amdhsa_inst_pref_size 33
		.amdhsa_round_robin_scheduling 0
		.amdhsa_exception_fp_ieee_invalid_op 0
		.amdhsa_exception_fp_denorm_src 0
		.amdhsa_exception_fp_ieee_div_zero 0
		.amdhsa_exception_fp_ieee_overflow 0
		.amdhsa_exception_fp_ieee_underflow 0
		.amdhsa_exception_fp_ieee_inexact 0
		.amdhsa_exception_int_div_zero 0
	.end_amdhsa_kernel
	.section	.text._ZN2at6native29vectorized_elementwise_kernelILi16EZZZNS0_12_GLOBAL__N_120isneginf_kernel_implERNS_18TensorIteratorBaseEENKUlvE_clEvENKUlvE2_clEvEUlN3c108BFloat16EE_St5arrayIPcLm2EEEEviT0_T1_,"axG",@progbits,_ZN2at6native29vectorized_elementwise_kernelILi16EZZZNS0_12_GLOBAL__N_120isneginf_kernel_implERNS_18TensorIteratorBaseEENKUlvE_clEvENKUlvE2_clEvEUlN3c108BFloat16EE_St5arrayIPcLm2EEEEviT0_T1_,comdat
.Lfunc_end88:
	.size	_ZN2at6native29vectorized_elementwise_kernelILi16EZZZNS0_12_GLOBAL__N_120isneginf_kernel_implERNS_18TensorIteratorBaseEENKUlvE_clEvENKUlvE2_clEvEUlN3c108BFloat16EE_St5arrayIPcLm2EEEEviT0_T1_, .Lfunc_end88-_ZN2at6native29vectorized_elementwise_kernelILi16EZZZNS0_12_GLOBAL__N_120isneginf_kernel_implERNS_18TensorIteratorBaseEENKUlvE_clEvENKUlvE2_clEvEUlN3c108BFloat16EE_St5arrayIPcLm2EEEEviT0_T1_
                                        ; -- End function
	.set _ZN2at6native29vectorized_elementwise_kernelILi16EZZZNS0_12_GLOBAL__N_120isneginf_kernel_implERNS_18TensorIteratorBaseEENKUlvE_clEvENKUlvE2_clEvEUlN3c108BFloat16EE_St5arrayIPcLm2EEEEviT0_T1_.num_vgpr, 17
	.set _ZN2at6native29vectorized_elementwise_kernelILi16EZZZNS0_12_GLOBAL__N_120isneginf_kernel_implERNS_18TensorIteratorBaseEENKUlvE_clEvENKUlvE2_clEvEUlN3c108BFloat16EE_St5arrayIPcLm2EEEEviT0_T1_.num_agpr, 0
	.set _ZN2at6native29vectorized_elementwise_kernelILi16EZZZNS0_12_GLOBAL__N_120isneginf_kernel_implERNS_18TensorIteratorBaseEENKUlvE_clEvENKUlvE2_clEvEUlN3c108BFloat16EE_St5arrayIPcLm2EEEEviT0_T1_.numbered_sgpr, 24
	.set _ZN2at6native29vectorized_elementwise_kernelILi16EZZZNS0_12_GLOBAL__N_120isneginf_kernel_implERNS_18TensorIteratorBaseEENKUlvE_clEvENKUlvE2_clEvEUlN3c108BFloat16EE_St5arrayIPcLm2EEEEviT0_T1_.num_named_barrier, 0
	.set _ZN2at6native29vectorized_elementwise_kernelILi16EZZZNS0_12_GLOBAL__N_120isneginf_kernel_implERNS_18TensorIteratorBaseEENKUlvE_clEvENKUlvE2_clEvEUlN3c108BFloat16EE_St5arrayIPcLm2EEEEviT0_T1_.private_seg_size, 0
	.set _ZN2at6native29vectorized_elementwise_kernelILi16EZZZNS0_12_GLOBAL__N_120isneginf_kernel_implERNS_18TensorIteratorBaseEENKUlvE_clEvENKUlvE2_clEvEUlN3c108BFloat16EE_St5arrayIPcLm2EEEEviT0_T1_.uses_vcc, 1
	.set _ZN2at6native29vectorized_elementwise_kernelILi16EZZZNS0_12_GLOBAL__N_120isneginf_kernel_implERNS_18TensorIteratorBaseEENKUlvE_clEvENKUlvE2_clEvEUlN3c108BFloat16EE_St5arrayIPcLm2EEEEviT0_T1_.uses_flat_scratch, 0
	.set _ZN2at6native29vectorized_elementwise_kernelILi16EZZZNS0_12_GLOBAL__N_120isneginf_kernel_implERNS_18TensorIteratorBaseEENKUlvE_clEvENKUlvE2_clEvEUlN3c108BFloat16EE_St5arrayIPcLm2EEEEviT0_T1_.has_dyn_sized_stack, 0
	.set _ZN2at6native29vectorized_elementwise_kernelILi16EZZZNS0_12_GLOBAL__N_120isneginf_kernel_implERNS_18TensorIteratorBaseEENKUlvE_clEvENKUlvE2_clEvEUlN3c108BFloat16EE_St5arrayIPcLm2EEEEviT0_T1_.has_recursion, 0
	.set _ZN2at6native29vectorized_elementwise_kernelILi16EZZZNS0_12_GLOBAL__N_120isneginf_kernel_implERNS_18TensorIteratorBaseEENKUlvE_clEvENKUlvE2_clEvEUlN3c108BFloat16EE_St5arrayIPcLm2EEEEviT0_T1_.has_indirect_call, 0
	.section	.AMDGPU.csdata,"",@progbits
; Kernel info:
; codeLenInByte = 4148
; TotalNumSgprs: 26
; NumVgprs: 17
; ScratchSize: 0
; MemoryBound: 0
; FloatMode: 240
; IeeeMode: 1
; LDSByteSize: 0 bytes/workgroup (compile time only)
; SGPRBlocks: 0
; VGPRBlocks: 1
; NumSGPRsForWavesPerEU: 26
; NumVGPRsForWavesPerEU: 17
; NamedBarCnt: 0
; Occupancy: 16
; WaveLimiterHint : 0
; COMPUTE_PGM_RSRC2:SCRATCH_EN: 0
; COMPUTE_PGM_RSRC2:USER_SGPR: 2
; COMPUTE_PGM_RSRC2:TRAP_HANDLER: 0
; COMPUTE_PGM_RSRC2:TGID_X_EN: 1
; COMPUTE_PGM_RSRC2:TGID_Y_EN: 0
; COMPUTE_PGM_RSRC2:TGID_Z_EN: 0
; COMPUTE_PGM_RSRC2:TIDIG_COMP_CNT: 0
	.section	.text._ZN2at6native29vectorized_elementwise_kernelILi8EZZZNS0_12_GLOBAL__N_120isneginf_kernel_implERNS_18TensorIteratorBaseEENKUlvE_clEvENKUlvE2_clEvEUlN3c108BFloat16EE_St5arrayIPcLm2EEEEviT0_T1_,"axG",@progbits,_ZN2at6native29vectorized_elementwise_kernelILi8EZZZNS0_12_GLOBAL__N_120isneginf_kernel_implERNS_18TensorIteratorBaseEENKUlvE_clEvENKUlvE2_clEvEUlN3c108BFloat16EE_St5arrayIPcLm2EEEEviT0_T1_,comdat
	.globl	_ZN2at6native29vectorized_elementwise_kernelILi8EZZZNS0_12_GLOBAL__N_120isneginf_kernel_implERNS_18TensorIteratorBaseEENKUlvE_clEvENKUlvE2_clEvEUlN3c108BFloat16EE_St5arrayIPcLm2EEEEviT0_T1_ ; -- Begin function _ZN2at6native29vectorized_elementwise_kernelILi8EZZZNS0_12_GLOBAL__N_120isneginf_kernel_implERNS_18TensorIteratorBaseEENKUlvE_clEvENKUlvE2_clEvEUlN3c108BFloat16EE_St5arrayIPcLm2EEEEviT0_T1_
	.p2align	8
	.type	_ZN2at6native29vectorized_elementwise_kernelILi8EZZZNS0_12_GLOBAL__N_120isneginf_kernel_implERNS_18TensorIteratorBaseEENKUlvE_clEvENKUlvE2_clEvEUlN3c108BFloat16EE_St5arrayIPcLm2EEEEviT0_T1_,@function
_ZN2at6native29vectorized_elementwise_kernelILi8EZZZNS0_12_GLOBAL__N_120isneginf_kernel_implERNS_18TensorIteratorBaseEENKUlvE_clEvENKUlvE2_clEvEUlN3c108BFloat16EE_St5arrayIPcLm2EEEEviT0_T1_: ; @_ZN2at6native29vectorized_elementwise_kernelILi8EZZZNS0_12_GLOBAL__N_120isneginf_kernel_implERNS_18TensorIteratorBaseEENKUlvE_clEvENKUlvE2_clEvEUlN3c108BFloat16EE_St5arrayIPcLm2EEEEviT0_T1_
; %bb.0:
	s_clause 0x1
	s_load_b32 s3, s[0:1], 0x0
	s_load_b128 s[4:7], s[0:1], 0x8
	s_wait_xcnt 0x0
	s_bfe_u32 s0, ttmp6, 0x4000c
	s_and_b32 s1, ttmp6, 15
	s_add_co_i32 s0, s0, 1
	s_getreg_b32 s2, hwreg(HW_REG_IB_STS2, 6, 4)
	s_mul_i32 s0, ttmp9, s0
	s_delay_alu instid0(SALU_CYCLE_1) | instskip(SKIP_2) | instid1(SALU_CYCLE_1)
	s_add_co_i32 s1, s1, s0
	s_cmp_eq_u32 s2, 0
	s_cselect_b32 s0, ttmp9, s1
	s_lshl_b32 s2, s0, 12
	s_mov_b32 s0, -1
	s_wait_kmcnt 0x0
	s_sub_co_i32 s1, s3, s2
	s_delay_alu instid0(SALU_CYCLE_1)
	s_cmp_gt_i32 s1, 0xfff
	s_cbranch_scc0 .LBB89_2
; %bb.1:
	s_ashr_i32 s3, s2, 31
	s_mov_b32 s0, 0
	s_lshl_b64 s[8:9], s[2:3], 1
	s_delay_alu instid0(SALU_CYCLE_1)
	s_add_nc_u64 s[8:9], s[6:7], s[8:9]
	s_clause 0x1
	global_load_b128 v[2:5], v0, s[8:9] scale_offset
	global_load_b128 v[6:9], v0, s[8:9] offset:4096 scale_offset
	s_wait_xcnt 0x0
	s_add_nc_u64 s[8:9], s[4:5], s[2:3]
	s_wait_loadcnt 0x1
	v_and_b32_e32 v1, 0xffff0000, v2
	v_lshlrev_b32_e32 v2, 16, v2
	v_and_b32_e32 v10, 0xffff0000, v3
	v_lshlrev_b32_e32 v3, 16, v3
	v_and_b32_e32 v11, 0xffff0000, v4
	v_cmp_eq_f32_e32 vcc_lo, 0xff800000, v1
	v_lshlrev_b32_e32 v4, 16, v4
	v_and_b32_e32 v12, 0xffff0000, v5
	v_lshlrev_b32_e32 v5, 16, v5
	s_wait_loadcnt 0x0
	v_and_b32_e32 v13, 0xffff0000, v6
	v_cndmask_b32_e64 v1, 0, 1, vcc_lo
	v_cmp_eq_f32_e32 vcc_lo, 0xff800000, v2
	v_lshlrev_b32_e32 v6, 16, v6
	v_and_b32_e32 v14, 0xffff0000, v7
	v_lshlrev_b32_e32 v7, 16, v7
	v_and_b32_e32 v15, 0xffff0000, v8
	v_cndmask_b32_e64 v2, 0, 1, vcc_lo
	v_cmp_eq_f32_e32 vcc_lo, 0xff800000, v10
	v_lshlrev_b32_e32 v8, 16, v8
	v_and_b32_e32 v16, 0xffff0000, v9
	v_lshlrev_b32_e32 v9, 16, v9
	v_lshlrev_b16 v1, 8, v1
	v_cndmask_b32_e64 v10, 0, 1, vcc_lo
	v_cmp_eq_f32_e32 vcc_lo, 0xff800000, v3
	s_delay_alu instid0(VALU_DEP_3) | instskip(NEXT) | instid1(VALU_DEP_3)
	v_or_b32_e32 v1, v2, v1
	v_lshlrev_b16 v10, 8, v10
	v_cndmask_b32_e64 v3, 0, 1, vcc_lo
	v_cmp_eq_f32_e32 vcc_lo, 0xff800000, v11
	s_delay_alu instid0(VALU_DEP_2) | instskip(SKIP_2) | instid1(VALU_DEP_2)
	v_or_b32_e32 v2, v3, v10
	v_cndmask_b32_e64 v11, 0, 1, vcc_lo
	v_cmp_eq_f32_e32 vcc_lo, 0xff800000, v4
	v_lshlrev_b16 v11, 8, v11
	v_cndmask_b32_e64 v4, 0, 1, vcc_lo
	v_cmp_eq_f32_e32 vcc_lo, 0xff800000, v12
	s_delay_alu instid0(VALU_DEP_2) | instskip(SKIP_2) | instid1(VALU_DEP_2)
	v_or_b32_e32 v3, v4, v11
	v_cndmask_b32_e64 v12, 0, 1, vcc_lo
	v_cmp_eq_f32_e32 vcc_lo, 0xff800000, v5
	v_lshlrev_b16 v12, 8, v12
	v_cndmask_b32_e64 v5, 0, 1, vcc_lo
	v_cmp_eq_f32_e32 vcc_lo, 0xff800000, v13
	s_delay_alu instid0(VALU_DEP_2) | instskip(SKIP_2) | instid1(VALU_DEP_3)
	v_or_b32_e32 v4, v5, v12
	v_cndmask_b32_e64 v13, 0, 1, vcc_lo
	v_cmp_eq_f32_e32 vcc_lo, 0xff800000, v6
	v_lshlrev_b32_e32 v4, 16, v4
	s_delay_alu instid0(VALU_DEP_3) | instskip(SKIP_4) | instid1(VALU_DEP_4)
	v_lshlrev_b16 v13, 8, v13
	v_cndmask_b32_e64 v6, 0, 1, vcc_lo
	v_cmp_eq_f32_e32 vcc_lo, 0xff800000, v14
	v_lshlrev_b32_e32 v2, 16, v2
	v_and_b32_e32 v1, 0xffff, v1
	v_or_b32_e32 v5, v6, v13
	v_cndmask_b32_e64 v14, 0, 1, vcc_lo
	v_cmp_eq_f32_e32 vcc_lo, 0xff800000, v7
	s_delay_alu instid0(VALU_DEP_4) | instskip(NEXT) | instid1(VALU_DEP_3)
	v_or_b32_e32 v2, v1, v2
	v_lshlrev_b16 v14, 8, v14
	v_cndmask_b32_e64 v7, 0, 1, vcc_lo
	v_cmp_eq_f32_e32 vcc_lo, 0xff800000, v15
	s_delay_alu instid0(VALU_DEP_2) | instskip(SKIP_2) | instid1(VALU_DEP_3)
	v_or_b32_e32 v6, v7, v14
	v_cndmask_b32_e64 v15, 0, 1, vcc_lo
	v_cmp_eq_f32_e32 vcc_lo, 0xff800000, v8
	v_lshlrev_b32_e32 v6, 16, v6
	s_delay_alu instid0(VALU_DEP_3) | instskip(SKIP_3) | instid1(VALU_DEP_3)
	v_lshlrev_b16 v15, 8, v15
	v_cndmask_b32_e64 v8, 0, 1, vcc_lo
	v_cmp_eq_f32_e32 vcc_lo, 0xff800000, v16
	v_and_b32_e32 v3, 0xffff, v3
	v_or_b32_e32 v7, v8, v15
	v_cndmask_b32_e64 v16, 0, 1, vcc_lo
	v_cmp_eq_f32_e32 vcc_lo, 0xff800000, v9
	s_delay_alu instid0(VALU_DEP_4) | instskip(NEXT) | instid1(VALU_DEP_4)
	v_or_b32_e32 v3, v3, v4
	v_and_b32_e32 v7, 0xffff, v7
	s_delay_alu instid0(VALU_DEP_4) | instskip(SKIP_1) | instid1(VALU_DEP_1)
	v_lshlrev_b16 v16, 8, v16
	v_cndmask_b32_e64 v9, 0, 1, vcc_lo
	v_or_b32_e32 v8, v9, v16
	s_delay_alu instid0(VALU_DEP_1) | instskip(SKIP_1) | instid1(VALU_DEP_1)
	v_lshlrev_b32_e32 v8, 16, v8
	v_and_b32_e32 v5, 0xffff, v5
	v_or_b32_e32 v4, v5, v6
	s_delay_alu instid0(VALU_DEP_3)
	v_or_b32_e32 v5, v7, v8
	s_clause 0x1
	global_store_b64 v0, v[2:3], s[8:9] scale_offset
	global_store_b64 v0, v[4:5], s[8:9] offset:2048 scale_offset
.LBB89_2:
	s_and_not1_b32 vcc_lo, exec_lo, s0
	s_cbranch_vccnz .LBB89_52
; %bb.3:
	v_cmp_gt_i32_e32 vcc_lo, s1, v0
	s_wait_xcnt 0x1
	v_dual_mov_b32 v3, v0 :: v_dual_bitop2_b32 v1, s2, v0 bitop3:0x54
	v_or_b32_e32 v2, 0x100, v0
	s_mov_b32 s3, 0
	s_wait_xcnt 0x0
	s_mov_b32 s9, 0
	s_and_saveexec_b32 s8, vcc_lo
	s_cbranch_execz .LBB89_5
; %bb.4:
	global_load_u16 v3, v1, s[6:7] scale_offset
	s_wait_loadcnt 0x0
	v_lshlrev_b32_e32 v3, 16, v3
	s_delay_alu instid0(VALU_DEP_1)
	v_cmp_eq_f32_e64 s0, 0xff800000, v3
	v_or_b32_e32 v3, 0x100, v0
	s_and_b32 s9, s0, exec_lo
.LBB89_5:
	s_wait_xcnt 0x0
	s_or_b32 exec_lo, exec_lo, s8
	s_delay_alu instid0(SALU_CYCLE_1)
	s_mov_b32 s8, exec_lo
	v_cmpx_gt_i32_e64 s1, v3
	s_cbranch_execz .LBB89_7
; %bb.6:
	v_add_nc_u32_e32 v4, s2, v3
	v_add_nc_u32_e32 v3, 0x100, v3
	global_load_u16 v4, v4, s[6:7] scale_offset
	s_wait_loadcnt 0x0
	v_lshlrev_b32_e32 v4, 16, v4
	s_delay_alu instid0(VALU_DEP_1)
	v_cmp_eq_f32_e64 s0, 0xff800000, v4
	s_and_b32 s3, s0, exec_lo
.LBB89_7:
	s_or_b32 exec_lo, exec_lo, s8
	s_mov_b32 s10, 0
	s_mov_b32 s11, 0
	s_mov_b32 s8, exec_lo
	v_cmpx_gt_i32_e64 s1, v3
	s_cbranch_execz .LBB89_9
; %bb.8:
	v_add_nc_u32_e32 v4, s2, v3
	v_add_nc_u32_e32 v3, 0x100, v3
	global_load_u16 v4, v4, s[6:7] scale_offset
	s_wait_loadcnt 0x0
	v_lshlrev_b32_e32 v4, 16, v4
	s_delay_alu instid0(VALU_DEP_1)
	v_cmp_eq_f32_e64 s0, 0xff800000, v4
	s_and_b32 s11, s0, exec_lo
.LBB89_9:
	s_or_b32 exec_lo, exec_lo, s8
	s_delay_alu instid0(SALU_CYCLE_1)
	s_mov_b32 s8, exec_lo
	v_cmpx_gt_i32_e64 s1, v3
	s_cbranch_execz .LBB89_11
; %bb.10:
	v_add_nc_u32_e32 v4, s2, v3
	v_add_nc_u32_e32 v3, 0x100, v3
	global_load_u16 v4, v4, s[6:7] scale_offset
	s_wait_loadcnt 0x0
	v_lshlrev_b32_e32 v4, 16, v4
	s_delay_alu instid0(VALU_DEP_1)
	v_cmp_eq_f32_e64 s0, 0xff800000, v4
	s_and_b32 s10, s0, exec_lo
.LBB89_11:
	s_or_b32 exec_lo, exec_lo, s8
	s_mov_b32 s12, 0
	s_mov_b32 s14, 0
	s_mov_b32 s8, exec_lo
	v_cmpx_gt_i32_e64 s1, v3
	s_cbranch_execz .LBB89_13
; %bb.12:
	v_add_nc_u32_e32 v4, s2, v3
	v_add_nc_u32_e32 v3, 0x100, v3
	global_load_u16 v4, v4, s[6:7] scale_offset
	s_wait_loadcnt 0x0
	v_lshlrev_b32_e32 v4, 16, v4
	s_delay_alu instid0(VALU_DEP_1)
	v_cmp_eq_f32_e64 s0, 0xff800000, v4
	s_and_b32 s14, s0, exec_lo
.LBB89_13:
	;; [unrolled: 31-line block ×7, first 2 shown]
	s_or_b32 exec_lo, exec_lo, s23
	s_delay_alu instid0(SALU_CYCLE_1)
	s_mov_b32 s23, exec_lo
	v_cmpx_gt_i32_e64 s1, v3
	s_cbranch_execz .LBB89_35
; %bb.34:
	v_add_nc_u32_e32 v3, s2, v3
	global_load_u16 v3, v3, s[6:7] scale_offset
	s_wait_loadcnt 0x0
	v_lshlrev_b32_e32 v3, 16, v3
	s_delay_alu instid0(VALU_DEP_1)
	v_cmp_eq_f32_e64 s0, 0xff800000, v3
	s_and_b32 s19, s0, exec_lo
.LBB89_35:
	s_or_b32 exec_lo, exec_lo, s23
	v_cndmask_b32_e64 v5, 0, 1, s14
	v_cndmask_b32_e64 v3, 0, 1, s9
	;; [unrolled: 1-line block ×3, first 2 shown]
	v_or_b32_e32 v10, 0x400, v0
	v_cndmask_b32_e64 v9, 0, 1, s12
	v_bitop3_b16 v5, v5, 0, 0xff00 bitop3:0xf8
	v_or_b32_e32 v6, 0x200, v0
	v_lshlrev_b16 v4, 8, v4
	v_cmp_gt_i32_e64 s0, s1, v10
	v_lshlrev_b16 v9, 8, v9
	v_and_b32_e32 v5, 0xffff, v5
	v_cndmask_b32_e32 v3, 0, v3, vcc_lo
	v_cndmask_b32_e64 v7, 0, 1, s11
	v_or_b32_e32 v10, 0xc00, v0
	v_or_b32_e32 v11, 0x500, v0
	s_delay_alu instid0(VALU_DEP_4) | instskip(SKIP_3) | instid1(VALU_DEP_4)
	v_dual_cndmask_b32 v5, 0, v5, s0 :: v_dual_bitop2_b32 v4, v3, v4 bitop3:0x54
	v_cmp_gt_i32_e64 s0, s1, v2
	v_cndmask_b32_e64 v12, 0, 1, s21
	v_cndmask_b32_e64 v8, 0, 1, s10
	v_bitop3_b16 v9, v5, v9, 0xff bitop3:0xec
	v_and_b32_e32 v4, 0xffff, v4
	v_cndmask_b32_e64 v13, 0, 1, s20
	v_cndmask_b32_e64 v14, 0, 1, s18
	v_lshlrev_b16 v8, 8, v8
	v_and_b32_e32 v9, 0xffff, v9
	v_cndmask_b32_e64 v3, v3, v4, s0
	v_cmp_gt_i32_e64 s0, s1, v6
	v_cndmask_b32_e64 v4, 0, 1, s17
	s_delay_alu instid0(VALU_DEP_3) | instskip(NEXT) | instid1(VALU_DEP_1)
	v_lshl_or_b32 v7, v7, 16, v3
	v_cndmask_b32_e64 v3, v3, v7, s0
	v_cmp_gt_i32_e64 s0, s1, v10
	v_lshlrev_b16 v7, 8, v13
	v_or_b32_e32 v10, 0x800, v0
	v_or_b32_e32 v13, 0xd00, v0
	s_delay_alu instid0(VALU_DEP_4) | instskip(SKIP_2) | instid1(VALU_DEP_2)
	v_cndmask_b32_e64 v6, 0, v12, s0
	v_cmp_gt_i32_e64 s0, s1, v11
	v_cndmask_b32_e64 v11, 0, 1, s15
	v_dual_cndmask_b32 v5, v5, v9, s0 :: v_dual_lshrrev_b32 v9, 16, v3
	s_delay_alu instid0(VALU_DEP_4) | instskip(SKIP_1) | instid1(VALU_DEP_3)
	v_bitop3_b16 v7, v6, v7, 0xff bitop3:0xec
	v_cmp_gt_i32_e64 s0, s1, v10
	v_bitop3_b16 v8, v9, v8, 0xff bitop3:0xec
	s_delay_alu instid0(VALU_DEP_4) | instskip(NEXT) | instid1(VALU_DEP_4)
	v_lshrrev_b32_e32 v12, 16, v5
	v_and_b32_e32 v7, 0xffff, v7
	v_cndmask_b32_e64 v9, 0, 1, s13
	s_delay_alu instid0(VALU_DEP_4) | instskip(NEXT) | instid1(VALU_DEP_4)
	v_lshlrev_b32_e32 v8, 16, v8
	v_bitop3_b16 v4, v4, v12, 0xff00 bitop3:0xf8
	v_cndmask_b32_e64 v10, 0, v11, s0
	v_cmp_gt_i32_e64 s0, s1, v13
	v_lshlrev_b16 v9, 8, v9
	v_or_b32_e32 v11, 0x900, v0
	v_lshlrev_b32_e32 v4, 16, v4
	v_cndmask_b32_e64 v13, 0, 1, s22
	v_and_or_b32 v8, 0xffff, v3, v8
	s_delay_alu instid0(VALU_DEP_3) | instskip(SKIP_2) | instid1(VALU_DEP_1)
	v_and_or_b32 v4, 0xffff, v5, v4
	v_cndmask_b32_e64 v6, v6, v7, s0
	v_or_b32_e32 v7, 0x600, v0
	v_cmp_gt_i32_e64 s0, s1, v7
	s_delay_alu instid0(VALU_DEP_1) | instskip(NEXT) | instid1(VALU_DEP_4)
	v_dual_cndmask_b32 v4, v5, v4, s0 :: v_dual_bitop2_b32 v9, v10, v9 bitop3:0x54
	v_lshrrev_b32_e32 v12, 16, v6
	v_cmp_gt_i32_e64 s0, s1, v11
	s_delay_alu instid0(VALU_DEP_3) | instskip(NEXT) | instid1(VALU_DEP_3)
	v_and_b32_e32 v9, 0xffff, v9
	v_bitop3_b16 v5, v13, v12, 0xff00 bitop3:0xf8
	v_or_b32_e32 v12, 0xa00, v0
	v_lshrrev_b32_e32 v11, 16, v4
	v_or_b32_e32 v13, 0xe00, v0
	v_dual_cndmask_b32 v7, v10, v9, s0 :: v_dual_lshlrev_b32 v9, 16, v14
	v_lshlrev_b32_e32 v5, 16, v5
	v_cmp_gt_i32_e64 s0, s1, v12
	v_cndmask_b32_e64 v10, 0, 1, s8
	s_delay_alu instid0(VALU_DEP_4) | instskip(NEXT) | instid1(VALU_DEP_4)
	v_and_or_b32 v9, 0x1ff, v7, v9
	v_and_or_b32 v5, 0xffff, v6, v5
	s_delay_alu instid0(VALU_DEP_3) | instskip(NEXT) | instid1(VALU_DEP_3)
	v_lshlrev_b16 v10, 8, v10
	v_cndmask_b32_e64 v7, v7, v9, s0
	v_cmp_gt_i32_e64 s0, s1, v13
	v_cndmask_b32_e64 v9, 0, 1, s16
	v_or_b32_e32 v13, 0x300, v0
	s_delay_alu instid0(VALU_DEP_3)
	v_cndmask_b32_e64 v12, v6, v5, s0
	v_cndmask_b32_e64 v5, 0, 1, s19
	v_bitop3_b16 v6, v11, v10, 0xff bitop3:0xec
	v_lshlrev_b16 v9, 8, v9
	v_cmp_gt_i32_e64 s0, s1, v13
	v_dual_lshrrev_b32 v11, 16, v12 :: v_dual_lshrrev_b32 v10, 16, v7
	v_lshlrev_b16 v5, 8, v5
	s_delay_alu instid0(VALU_DEP_2) | instskip(NEXT) | instid1(VALU_DEP_4)
	v_bitop3_b16 v9, v10, v9, 0xff bitop3:0xec
	v_dual_lshlrev_b32 v10, 16, v6 :: v_dual_cndmask_b32 v6, v3, v8, s0
	s_delay_alu instid0(VALU_DEP_3) | instskip(SKIP_2) | instid1(VALU_DEP_3)
	v_bitop3_b16 v5, v11, v5, 0xff bitop3:0xec
	v_or_b32_e32 v8, 0x700, v0
	v_or_b32_e32 v11, 0xf00, v0
	v_lshlrev_b32_e32 v5, 16, v5
	s_delay_alu instid0(VALU_DEP_3) | instskip(SKIP_4) | instid1(VALU_DEP_3)
	v_cmp_gt_i32_e64 s0, s1, v8
	v_lshlrev_b32_e32 v3, 16, v9
	v_and_or_b32 v9, 0xffff, v4, v10
	v_or_b32_e32 v10, 0xb00, v0
	v_and_or_b32 v13, 0xffff, v12, v5
	v_cndmask_b32_e64 v5, v4, v9, s0
	v_and_or_b32 v3, 0xffff, v7, v3
	s_delay_alu instid0(VALU_DEP_4) | instskip(NEXT) | instid1(VALU_DEP_1)
	v_cmp_gt_i32_e64 s0, s1, v10
	v_cndmask_b32_e64 v4, v7, v3, s0
	v_cmp_gt_i32_e64 s0, s1, v11
	s_delay_alu instid0(VALU_DEP_1)
	v_cndmask_b32_e64 v3, v12, v13, s0
	s_and_saveexec_b32 s0, vcc_lo
	s_cbranch_execnz .LBB89_53
; %bb.36:
	s_or_b32 exec_lo, exec_lo, s0
	s_delay_alu instid0(SALU_CYCLE_1)
	s_mov_b32 s0, exec_lo
	v_cmpx_gt_i32_e64 s1, v0
	s_cbranch_execnz .LBB89_54
.LBB89_37:
	s_or_b32 exec_lo, exec_lo, s0
	s_delay_alu instid0(SALU_CYCLE_1)
	s_mov_b32 s0, exec_lo
	v_cmpx_gt_i32_e64 s1, v0
	s_cbranch_execnz .LBB89_55
.LBB89_38:
	s_or_b32 exec_lo, exec_lo, s0
	s_delay_alu instid0(SALU_CYCLE_1)
	s_mov_b32 s0, exec_lo
	v_cmpx_gt_i32_e64 s1, v0
	s_cbranch_execnz .LBB89_56
.LBB89_39:
	s_or_b32 exec_lo, exec_lo, s0
	s_delay_alu instid0(SALU_CYCLE_1)
	s_mov_b32 s0, exec_lo
	v_cmpx_gt_i32_e64 s1, v0
	s_cbranch_execnz .LBB89_57
.LBB89_40:
	s_or_b32 exec_lo, exec_lo, s0
	s_delay_alu instid0(SALU_CYCLE_1)
	s_mov_b32 s0, exec_lo
	v_cmpx_gt_i32_e64 s1, v0
	s_cbranch_execnz .LBB89_58
.LBB89_41:
	s_or_b32 exec_lo, exec_lo, s0
	s_delay_alu instid0(SALU_CYCLE_1)
	s_mov_b32 s0, exec_lo
	v_cmpx_gt_i32_e64 s1, v0
	s_cbranch_execnz .LBB89_59
.LBB89_42:
	s_or_b32 exec_lo, exec_lo, s0
	s_delay_alu instid0(SALU_CYCLE_1)
	s_mov_b32 s0, exec_lo
	v_cmpx_gt_i32_e64 s1, v0
	s_cbranch_execnz .LBB89_60
.LBB89_43:
	s_or_b32 exec_lo, exec_lo, s0
	s_delay_alu instid0(SALU_CYCLE_1)
	s_mov_b32 s0, exec_lo
	v_cmpx_gt_i32_e64 s1, v0
	s_cbranch_execnz .LBB89_61
.LBB89_44:
	s_or_b32 exec_lo, exec_lo, s0
	s_delay_alu instid0(SALU_CYCLE_1)
	s_mov_b32 s0, exec_lo
	v_cmpx_gt_i32_e64 s1, v0
	s_cbranch_execnz .LBB89_62
.LBB89_45:
	s_or_b32 exec_lo, exec_lo, s0
	s_delay_alu instid0(SALU_CYCLE_1)
	s_mov_b32 s0, exec_lo
	v_cmpx_gt_i32_e64 s1, v0
	s_cbranch_execnz .LBB89_63
.LBB89_46:
	s_or_b32 exec_lo, exec_lo, s0
	s_delay_alu instid0(SALU_CYCLE_1)
	s_mov_b32 s0, exec_lo
	v_cmpx_gt_i32_e64 s1, v0
	s_cbranch_execnz .LBB89_64
.LBB89_47:
	s_or_b32 exec_lo, exec_lo, s0
	s_delay_alu instid0(SALU_CYCLE_1)
	s_mov_b32 s0, exec_lo
	v_cmpx_gt_i32_e64 s1, v0
	s_cbranch_execnz .LBB89_65
.LBB89_48:
	s_or_b32 exec_lo, exec_lo, s0
	s_delay_alu instid0(SALU_CYCLE_1)
	s_mov_b32 s0, exec_lo
	v_cmpx_gt_i32_e64 s1, v0
	s_cbranch_execnz .LBB89_66
.LBB89_49:
	s_or_b32 exec_lo, exec_lo, s0
	s_delay_alu instid0(SALU_CYCLE_1)
	s_mov_b32 s0, exec_lo
	v_cmpx_gt_i32_e64 s1, v0
	s_cbranch_execnz .LBB89_67
.LBB89_50:
	s_or_b32 exec_lo, exec_lo, s0
	s_delay_alu instid0(SALU_CYCLE_1)
	s_mov_b32 s0, exec_lo
	v_cmpx_gt_i32_e64 s1, v0
	s_cbranch_execz .LBB89_52
.LBB89_51:
	v_dual_lshrrev_b32 v1, 24, v3 :: v_dual_add_nc_u32 v0, s2, v0
	global_store_b8 v0, v1, s[4:5]
.LBB89_52:
	s_endpgm
.LBB89_53:
	v_mov_b32_e32 v0, v2
	global_store_b8 v1, v6, s[4:5]
	s_wait_xcnt 0x0
	s_or_b32 exec_lo, exec_lo, s0
	s_delay_alu instid0(SALU_CYCLE_1)
	s_mov_b32 s0, exec_lo
	v_cmpx_gt_i32_e64 s1, v0
	s_cbranch_execz .LBB89_37
.LBB89_54:
	v_dual_lshrrev_b32 v1, 8, v6 :: v_dual_add_nc_u32 v2, s2, v0
	v_add_nc_u32_e32 v0, 0x100, v0
	global_store_b8 v2, v1, s[4:5]
	s_wait_xcnt 0x0
	s_or_b32 exec_lo, exec_lo, s0
	s_delay_alu instid0(SALU_CYCLE_1)
	s_mov_b32 s0, exec_lo
	v_cmpx_gt_i32_e64 s1, v0
	s_cbranch_execz .LBB89_38
.LBB89_55:
	v_add_nc_u32_e32 v1, s2, v0
	v_add_nc_u32_e32 v0, 0x100, v0
	global_store_d16_hi_b8 v1, v6, s[4:5]
	s_wait_xcnt 0x0
	s_or_b32 exec_lo, exec_lo, s0
	s_delay_alu instid0(SALU_CYCLE_1)
	s_mov_b32 s0, exec_lo
	v_cmpx_gt_i32_e64 s1, v0
	s_cbranch_execz .LBB89_39
.LBB89_56:
	v_dual_lshrrev_b32 v1, 24, v6 :: v_dual_add_nc_u32 v2, s2, v0
	v_add_nc_u32_e32 v0, 0x100, v0
	global_store_b8 v2, v1, s[4:5]
	s_wait_xcnt 0x0
	s_or_b32 exec_lo, exec_lo, s0
	s_delay_alu instid0(SALU_CYCLE_1)
	s_mov_b32 s0, exec_lo
	v_cmpx_gt_i32_e64 s1, v0
	s_cbranch_execz .LBB89_40
.LBB89_57:
	v_add_nc_u32_e32 v1, s2, v0
	v_add_nc_u32_e32 v0, 0x100, v0
	global_store_b8 v1, v5, s[4:5]
	s_wait_xcnt 0x0
	s_or_b32 exec_lo, exec_lo, s0
	s_delay_alu instid0(SALU_CYCLE_1)
	s_mov_b32 s0, exec_lo
	v_cmpx_gt_i32_e64 s1, v0
	s_cbranch_execz .LBB89_41
.LBB89_58:
	v_dual_lshrrev_b32 v1, 8, v5 :: v_dual_add_nc_u32 v2, s2, v0
	v_add_nc_u32_e32 v0, 0x100, v0
	global_store_b8 v2, v1, s[4:5]
	s_wait_xcnt 0x0
	s_or_b32 exec_lo, exec_lo, s0
	s_delay_alu instid0(SALU_CYCLE_1)
	s_mov_b32 s0, exec_lo
	v_cmpx_gt_i32_e64 s1, v0
	s_cbranch_execz .LBB89_42
.LBB89_59:
	v_add_nc_u32_e32 v1, s2, v0
	v_add_nc_u32_e32 v0, 0x100, v0
	global_store_d16_hi_b8 v1, v5, s[4:5]
	s_wait_xcnt 0x0
	s_or_b32 exec_lo, exec_lo, s0
	s_delay_alu instid0(SALU_CYCLE_1)
	s_mov_b32 s0, exec_lo
	v_cmpx_gt_i32_e64 s1, v0
	s_cbranch_execz .LBB89_43
.LBB89_60:
	v_dual_lshrrev_b32 v1, 24, v5 :: v_dual_add_nc_u32 v2, s2, v0
	v_add_nc_u32_e32 v0, 0x100, v0
	global_store_b8 v2, v1, s[4:5]
	s_wait_xcnt 0x0
	s_or_b32 exec_lo, exec_lo, s0
	s_delay_alu instid0(SALU_CYCLE_1)
	s_mov_b32 s0, exec_lo
	v_cmpx_gt_i32_e64 s1, v0
	s_cbranch_execz .LBB89_44
.LBB89_61:
	v_add_nc_u32_e32 v1, s2, v0
	v_add_nc_u32_e32 v0, 0x100, v0
	global_store_b8 v1, v4, s[4:5]
	s_wait_xcnt 0x0
	s_or_b32 exec_lo, exec_lo, s0
	s_delay_alu instid0(SALU_CYCLE_1)
	s_mov_b32 s0, exec_lo
	v_cmpx_gt_i32_e64 s1, v0
	s_cbranch_execz .LBB89_45
.LBB89_62:
	v_lshrrev_b32_e32 v1, 8, v4
	v_add_nc_u32_e32 v2, s2, v0
	v_add_nc_u32_e32 v0, 0x100, v0
	global_store_b8 v2, v1, s[4:5]
	s_wait_xcnt 0x0
	s_or_b32 exec_lo, exec_lo, s0
	s_delay_alu instid0(SALU_CYCLE_1)
	s_mov_b32 s0, exec_lo
	v_cmpx_gt_i32_e64 s1, v0
	s_cbranch_execz .LBB89_46
.LBB89_63:
	v_add_nc_u32_e32 v1, s2, v0
	v_add_nc_u32_e32 v0, 0x100, v0
	global_store_d16_hi_b8 v1, v4, s[4:5]
	s_wait_xcnt 0x0
	s_or_b32 exec_lo, exec_lo, s0
	s_delay_alu instid0(SALU_CYCLE_1)
	s_mov_b32 s0, exec_lo
	v_cmpx_gt_i32_e64 s1, v0
	s_cbranch_execz .LBB89_47
.LBB89_64:
	v_lshrrev_b32_e32 v1, 24, v4
	v_add_nc_u32_e32 v2, s2, v0
	v_add_nc_u32_e32 v0, 0x100, v0
	global_store_b8 v2, v1, s[4:5]
	s_wait_xcnt 0x0
	s_or_b32 exec_lo, exec_lo, s0
	s_delay_alu instid0(SALU_CYCLE_1)
	s_mov_b32 s0, exec_lo
	v_cmpx_gt_i32_e64 s1, v0
	s_cbranch_execz .LBB89_48
.LBB89_65:
	v_add_nc_u32_e32 v1, s2, v0
	v_add_nc_u32_e32 v0, 0x100, v0
	global_store_b8 v1, v3, s[4:5]
	s_wait_xcnt 0x0
	s_or_b32 exec_lo, exec_lo, s0
	s_delay_alu instid0(SALU_CYCLE_1)
	s_mov_b32 s0, exec_lo
	v_cmpx_gt_i32_e64 s1, v0
	s_cbranch_execz .LBB89_49
.LBB89_66:
	v_dual_lshrrev_b32 v1, 8, v3 :: v_dual_add_nc_u32 v2, s2, v0
	v_add_nc_u32_e32 v0, 0x100, v0
	global_store_b8 v2, v1, s[4:5]
	s_wait_xcnt 0x0
	s_or_b32 exec_lo, exec_lo, s0
	s_delay_alu instid0(SALU_CYCLE_1)
	s_mov_b32 s0, exec_lo
	v_cmpx_gt_i32_e64 s1, v0
	s_cbranch_execz .LBB89_50
.LBB89_67:
	v_add_nc_u32_e32 v1, s2, v0
	v_add_nc_u32_e32 v0, 0x100, v0
	global_store_d16_hi_b8 v1, v3, s[4:5]
	s_wait_xcnt 0x0
	s_or_b32 exec_lo, exec_lo, s0
	s_delay_alu instid0(SALU_CYCLE_1)
	s_mov_b32 s0, exec_lo
	v_cmpx_gt_i32_e64 s1, v0
	s_cbranch_execnz .LBB89_51
	s_branch .LBB89_52
	.section	.rodata,"a",@progbits
	.p2align	6, 0x0
	.amdhsa_kernel _ZN2at6native29vectorized_elementwise_kernelILi8EZZZNS0_12_GLOBAL__N_120isneginf_kernel_implERNS_18TensorIteratorBaseEENKUlvE_clEvENKUlvE2_clEvEUlN3c108BFloat16EE_St5arrayIPcLm2EEEEviT0_T1_
		.amdhsa_group_segment_fixed_size 0
		.amdhsa_private_segment_fixed_size 0
		.amdhsa_kernarg_size 24
		.amdhsa_user_sgpr_count 2
		.amdhsa_user_sgpr_dispatch_ptr 0
		.amdhsa_user_sgpr_queue_ptr 0
		.amdhsa_user_sgpr_kernarg_segment_ptr 1
		.amdhsa_user_sgpr_dispatch_id 0
		.amdhsa_user_sgpr_kernarg_preload_length 0
		.amdhsa_user_sgpr_kernarg_preload_offset 0
		.amdhsa_user_sgpr_private_segment_size 0
		.amdhsa_wavefront_size32 1
		.amdhsa_uses_dynamic_stack 0
		.amdhsa_enable_private_segment 0
		.amdhsa_system_sgpr_workgroup_id_x 1
		.amdhsa_system_sgpr_workgroup_id_y 0
		.amdhsa_system_sgpr_workgroup_id_z 0
		.amdhsa_system_sgpr_workgroup_info 0
		.amdhsa_system_vgpr_workitem_id 0
		.amdhsa_next_free_vgpr 17
		.amdhsa_next_free_sgpr 24
		.amdhsa_named_barrier_count 0
		.amdhsa_reserve_vcc 1
		.amdhsa_float_round_mode_32 0
		.amdhsa_float_round_mode_16_64 0
		.amdhsa_float_denorm_mode_32 3
		.amdhsa_float_denorm_mode_16_64 3
		.amdhsa_fp16_overflow 0
		.amdhsa_memory_ordered 1
		.amdhsa_forward_progress 1
		.amdhsa_inst_pref_size 33
		.amdhsa_round_robin_scheduling 0
		.amdhsa_exception_fp_ieee_invalid_op 0
		.amdhsa_exception_fp_denorm_src 0
		.amdhsa_exception_fp_ieee_div_zero 0
		.amdhsa_exception_fp_ieee_overflow 0
		.amdhsa_exception_fp_ieee_underflow 0
		.amdhsa_exception_fp_ieee_inexact 0
		.amdhsa_exception_int_div_zero 0
	.end_amdhsa_kernel
	.section	.text._ZN2at6native29vectorized_elementwise_kernelILi8EZZZNS0_12_GLOBAL__N_120isneginf_kernel_implERNS_18TensorIteratorBaseEENKUlvE_clEvENKUlvE2_clEvEUlN3c108BFloat16EE_St5arrayIPcLm2EEEEviT0_T1_,"axG",@progbits,_ZN2at6native29vectorized_elementwise_kernelILi8EZZZNS0_12_GLOBAL__N_120isneginf_kernel_implERNS_18TensorIteratorBaseEENKUlvE_clEvENKUlvE2_clEvEUlN3c108BFloat16EE_St5arrayIPcLm2EEEEviT0_T1_,comdat
.Lfunc_end89:
	.size	_ZN2at6native29vectorized_elementwise_kernelILi8EZZZNS0_12_GLOBAL__N_120isneginf_kernel_implERNS_18TensorIteratorBaseEENKUlvE_clEvENKUlvE2_clEvEUlN3c108BFloat16EE_St5arrayIPcLm2EEEEviT0_T1_, .Lfunc_end89-_ZN2at6native29vectorized_elementwise_kernelILi8EZZZNS0_12_GLOBAL__N_120isneginf_kernel_implERNS_18TensorIteratorBaseEENKUlvE_clEvENKUlvE2_clEvEUlN3c108BFloat16EE_St5arrayIPcLm2EEEEviT0_T1_
                                        ; -- End function
	.set _ZN2at6native29vectorized_elementwise_kernelILi8EZZZNS0_12_GLOBAL__N_120isneginf_kernel_implERNS_18TensorIteratorBaseEENKUlvE_clEvENKUlvE2_clEvEUlN3c108BFloat16EE_St5arrayIPcLm2EEEEviT0_T1_.num_vgpr, 17
	.set _ZN2at6native29vectorized_elementwise_kernelILi8EZZZNS0_12_GLOBAL__N_120isneginf_kernel_implERNS_18TensorIteratorBaseEENKUlvE_clEvENKUlvE2_clEvEUlN3c108BFloat16EE_St5arrayIPcLm2EEEEviT0_T1_.num_agpr, 0
	.set _ZN2at6native29vectorized_elementwise_kernelILi8EZZZNS0_12_GLOBAL__N_120isneginf_kernel_implERNS_18TensorIteratorBaseEENKUlvE_clEvENKUlvE2_clEvEUlN3c108BFloat16EE_St5arrayIPcLm2EEEEviT0_T1_.numbered_sgpr, 24
	.set _ZN2at6native29vectorized_elementwise_kernelILi8EZZZNS0_12_GLOBAL__N_120isneginf_kernel_implERNS_18TensorIteratorBaseEENKUlvE_clEvENKUlvE2_clEvEUlN3c108BFloat16EE_St5arrayIPcLm2EEEEviT0_T1_.num_named_barrier, 0
	.set _ZN2at6native29vectorized_elementwise_kernelILi8EZZZNS0_12_GLOBAL__N_120isneginf_kernel_implERNS_18TensorIteratorBaseEENKUlvE_clEvENKUlvE2_clEvEUlN3c108BFloat16EE_St5arrayIPcLm2EEEEviT0_T1_.private_seg_size, 0
	.set _ZN2at6native29vectorized_elementwise_kernelILi8EZZZNS0_12_GLOBAL__N_120isneginf_kernel_implERNS_18TensorIteratorBaseEENKUlvE_clEvENKUlvE2_clEvEUlN3c108BFloat16EE_St5arrayIPcLm2EEEEviT0_T1_.uses_vcc, 1
	.set _ZN2at6native29vectorized_elementwise_kernelILi8EZZZNS0_12_GLOBAL__N_120isneginf_kernel_implERNS_18TensorIteratorBaseEENKUlvE_clEvENKUlvE2_clEvEUlN3c108BFloat16EE_St5arrayIPcLm2EEEEviT0_T1_.uses_flat_scratch, 0
	.set _ZN2at6native29vectorized_elementwise_kernelILi8EZZZNS0_12_GLOBAL__N_120isneginf_kernel_implERNS_18TensorIteratorBaseEENKUlvE_clEvENKUlvE2_clEvEUlN3c108BFloat16EE_St5arrayIPcLm2EEEEviT0_T1_.has_dyn_sized_stack, 0
	.set _ZN2at6native29vectorized_elementwise_kernelILi8EZZZNS0_12_GLOBAL__N_120isneginf_kernel_implERNS_18TensorIteratorBaseEENKUlvE_clEvENKUlvE2_clEvEUlN3c108BFloat16EE_St5arrayIPcLm2EEEEviT0_T1_.has_recursion, 0
	.set _ZN2at6native29vectorized_elementwise_kernelILi8EZZZNS0_12_GLOBAL__N_120isneginf_kernel_implERNS_18TensorIteratorBaseEENKUlvE_clEvENKUlvE2_clEvEUlN3c108BFloat16EE_St5arrayIPcLm2EEEEviT0_T1_.has_indirect_call, 0
	.section	.AMDGPU.csdata,"",@progbits
; Kernel info:
; codeLenInByte = 4160
; TotalNumSgprs: 26
; NumVgprs: 17
; ScratchSize: 0
; MemoryBound: 0
; FloatMode: 240
; IeeeMode: 1
; LDSByteSize: 0 bytes/workgroup (compile time only)
; SGPRBlocks: 0
; VGPRBlocks: 1
; NumSGPRsForWavesPerEU: 26
; NumVGPRsForWavesPerEU: 17
; NamedBarCnt: 0
; Occupancy: 16
; WaveLimiterHint : 1
; COMPUTE_PGM_RSRC2:SCRATCH_EN: 0
; COMPUTE_PGM_RSRC2:USER_SGPR: 2
; COMPUTE_PGM_RSRC2:TRAP_HANDLER: 0
; COMPUTE_PGM_RSRC2:TGID_X_EN: 1
; COMPUTE_PGM_RSRC2:TGID_Y_EN: 0
; COMPUTE_PGM_RSRC2:TGID_Z_EN: 0
; COMPUTE_PGM_RSRC2:TIDIG_COMP_CNT: 0
	.section	.text._ZN2at6native29vectorized_elementwise_kernelILi4EZZZNS0_12_GLOBAL__N_120isneginf_kernel_implERNS_18TensorIteratorBaseEENKUlvE_clEvENKUlvE2_clEvEUlN3c108BFloat16EE_St5arrayIPcLm2EEEEviT0_T1_,"axG",@progbits,_ZN2at6native29vectorized_elementwise_kernelILi4EZZZNS0_12_GLOBAL__N_120isneginf_kernel_implERNS_18TensorIteratorBaseEENKUlvE_clEvENKUlvE2_clEvEUlN3c108BFloat16EE_St5arrayIPcLm2EEEEviT0_T1_,comdat
	.globl	_ZN2at6native29vectorized_elementwise_kernelILi4EZZZNS0_12_GLOBAL__N_120isneginf_kernel_implERNS_18TensorIteratorBaseEENKUlvE_clEvENKUlvE2_clEvEUlN3c108BFloat16EE_St5arrayIPcLm2EEEEviT0_T1_ ; -- Begin function _ZN2at6native29vectorized_elementwise_kernelILi4EZZZNS0_12_GLOBAL__N_120isneginf_kernel_implERNS_18TensorIteratorBaseEENKUlvE_clEvENKUlvE2_clEvEUlN3c108BFloat16EE_St5arrayIPcLm2EEEEviT0_T1_
	.p2align	8
	.type	_ZN2at6native29vectorized_elementwise_kernelILi4EZZZNS0_12_GLOBAL__N_120isneginf_kernel_implERNS_18TensorIteratorBaseEENKUlvE_clEvENKUlvE2_clEvEUlN3c108BFloat16EE_St5arrayIPcLm2EEEEviT0_T1_,@function
_ZN2at6native29vectorized_elementwise_kernelILi4EZZZNS0_12_GLOBAL__N_120isneginf_kernel_implERNS_18TensorIteratorBaseEENKUlvE_clEvENKUlvE2_clEvEUlN3c108BFloat16EE_St5arrayIPcLm2EEEEviT0_T1_: ; @_ZN2at6native29vectorized_elementwise_kernelILi4EZZZNS0_12_GLOBAL__N_120isneginf_kernel_implERNS_18TensorIteratorBaseEENKUlvE_clEvENKUlvE2_clEvEUlN3c108BFloat16EE_St5arrayIPcLm2EEEEviT0_T1_
; %bb.0:
	s_clause 0x1
	s_load_b32 s3, s[0:1], 0x0
	s_load_b128 s[4:7], s[0:1], 0x8
	s_wait_xcnt 0x0
	s_bfe_u32 s0, ttmp6, 0x4000c
	s_and_b32 s1, ttmp6, 15
	s_add_co_i32 s0, s0, 1
	s_getreg_b32 s2, hwreg(HW_REG_IB_STS2, 6, 4)
	s_mul_i32 s0, ttmp9, s0
	s_delay_alu instid0(SALU_CYCLE_1) | instskip(SKIP_2) | instid1(SALU_CYCLE_1)
	s_add_co_i32 s1, s1, s0
	s_cmp_eq_u32 s2, 0
	s_cselect_b32 s0, ttmp9, s1
	s_lshl_b32 s2, s0, 12
	s_mov_b32 s0, -1
	s_wait_kmcnt 0x0
	s_sub_co_i32 s1, s3, s2
	s_delay_alu instid0(SALU_CYCLE_1)
	s_cmp_gt_i32 s1, 0xfff
	s_cbranch_scc0 .LBB90_2
; %bb.1:
	s_ashr_i32 s3, s2, 31
	s_mov_b32 s0, 0
	s_lshl_b64 s[8:9], s[2:3], 1
	s_delay_alu instid0(SALU_CYCLE_1)
	s_add_nc_u64 s[8:9], s[6:7], s[8:9]
	s_clause 0x3
	global_load_b64 v[2:3], v0, s[8:9] scale_offset
	global_load_b64 v[4:5], v0, s[8:9] offset:2048 scale_offset
	global_load_b64 v[6:7], v0, s[8:9] offset:4096 scale_offset
	;; [unrolled: 1-line block ×3, first 2 shown]
	s_wait_xcnt 0x0
	s_add_nc_u64 s[8:9], s[4:5], s[2:3]
	s_wait_loadcnt 0x3
	v_dual_lshlrev_b32 v1, 16, v2 :: v_dual_lshlrev_b32 v10, 16, v3
	s_wait_loadcnt 0x1
	v_dual_lshlrev_b32 v13, 16, v6 :: v_dual_lshlrev_b32 v14, 16, v7
	s_wait_loadcnt 0x0
	v_and_b32_e32 v15, 0xffff0000, v8
	v_dual_lshlrev_b32 v8, 16, v8 :: v_dual_lshlrev_b32 v16, 16, v9
	v_and_b32_e32 v9, 0xffff0000, v9
	v_and_b32_e32 v6, 0xffff0000, v6
	s_delay_alu instid0(VALU_DEP_4)
	v_cmp_eq_f32_e32 vcc_lo, 0xff800000, v15
	v_and_b32_e32 v7, 0xffff0000, v7
	v_dual_lshlrev_b32 v11, 16, v4 :: v_dual_lshlrev_b32 v12, 16, v5
	v_and_b32_e32 v4, 0xffff0000, v4
	v_cndmask_b32_e64 v15, 0, 1, vcc_lo
	v_cmp_eq_f32_e32 vcc_lo, 0xff800000, v8
	v_and_b32_e32 v5, 0xffff0000, v5
	v_and_b32_e32 v2, 0xffff0000, v2
	;; [unrolled: 1-line block ×3, first 2 shown]
	v_lshlrev_b16 v15, 8, v15
	v_cndmask_b32_e64 v8, 0, 1, vcc_lo
	v_cmp_eq_f32_e32 vcc_lo, 0xff800000, v9
	v_cndmask_b32_e64 v9, 0, 1, vcc_lo
	v_cmp_eq_f32_e32 vcc_lo, 0xff800000, v16
	s_delay_alu instid0(VALU_DEP_2) | instskip(SKIP_4) | instid1(VALU_DEP_2)
	v_lshlrev_b16 v9, 8, v9
	v_cndmask_b32_e64 v16, 0, 1, vcc_lo
	v_cmp_eq_f32_e32 vcc_lo, 0xff800000, v6
	v_cndmask_b32_e64 v6, 0, 1, vcc_lo
	v_cmp_eq_f32_e32 vcc_lo, 0xff800000, v13
	v_lshlrev_b16 v6, 8, v6
	v_cndmask_b32_e64 v13, 0, 1, vcc_lo
	v_cmp_eq_f32_e32 vcc_lo, 0xff800000, v7
	v_cndmask_b32_e64 v7, 0, 1, vcc_lo
	v_cmp_eq_f32_e32 vcc_lo, 0xff800000, v14
	s_delay_alu instid0(VALU_DEP_2) | instskip(SKIP_2) | instid1(VALU_DEP_2)
	v_lshlrev_b16 v7, 8, v7
	v_cndmask_b32_e64 v14, 0, 1, vcc_lo
	v_cmp_eq_f32_e32 vcc_lo, 0xff800000, v4
	v_or_b32_e32 v7, v14, v7
	v_cndmask_b32_e64 v4, 0, 1, vcc_lo
	v_cmp_eq_f32_e32 vcc_lo, 0xff800000, v11
	s_delay_alu instid0(VALU_DEP_3) | instskip(NEXT) | instid1(VALU_DEP_3)
	v_dual_lshlrev_b32 v7, 16, v7 :: v_dual_bitop2_b32 v9, v16, v9 bitop3:0x54
	v_lshlrev_b16 v4, 8, v4
	v_cndmask_b32_e64 v11, 0, 1, vcc_lo
	v_cmp_eq_f32_e32 vcc_lo, 0xff800000, v5
	s_delay_alu instid0(VALU_DEP_2) | instskip(SKIP_2) | instid1(VALU_DEP_3)
	v_or_b32_e32 v4, v11, v4
	v_cndmask_b32_e64 v5, 0, 1, vcc_lo
	v_cmp_eq_f32_e32 vcc_lo, 0xff800000, v12
	v_and_b32_e32 v4, 0xffff, v4
	s_delay_alu instid0(VALU_DEP_3) | instskip(SKIP_2) | instid1(VALU_DEP_2)
	v_lshlrev_b16 v5, 8, v5
	v_cndmask_b32_e64 v12, 0, 1, vcc_lo
	v_cmp_eq_f32_e32 vcc_lo, 0xff800000, v2
	v_or_b32_e32 v5, v12, v5
	v_cndmask_b32_e64 v2, 0, 1, vcc_lo
	v_cmp_eq_f32_e32 vcc_lo, 0xff800000, v1
	s_delay_alu instid0(VALU_DEP_3) | instskip(NEXT) | instid1(VALU_DEP_3)
	v_dual_lshlrev_b32 v5, 16, v5 :: v_dual_bitop2_b32 v6, v13, v6 bitop3:0x54
	v_lshlrev_b16 v2, 8, v2
	v_cndmask_b32_e64 v1, 0, 1, vcc_lo
	v_cmp_eq_f32_e32 vcc_lo, 0xff800000, v3
	s_delay_alu instid0(VALU_DEP_4) | instskip(NEXT) | instid1(VALU_DEP_3)
	v_and_b32_e32 v6, 0xffff, v6
	v_or_b32_e32 v1, v1, v2
	v_cndmask_b32_e64 v3, 0, 1, vcc_lo
	v_cmp_eq_f32_e32 vcc_lo, 0xff800000, v10
	s_delay_alu instid0(VALU_DEP_3) | instskip(NEXT) | instid1(VALU_DEP_3)
	v_and_b32_e32 v1, 0xffff, v1
	v_lshlrev_b16 v3, 8, v3
	v_cndmask_b32_e64 v10, 0, 1, vcc_lo
	s_delay_alu instid0(VALU_DEP_1) | instskip(NEXT) | instid1(VALU_DEP_1)
	v_or_b32_e32 v2, v10, v3
	v_dual_lshlrev_b32 v2, 16, v2 :: v_dual_bitop2_b32 v8, v8, v15 bitop3:0x54
	s_delay_alu instid0(VALU_DEP_1) | instskip(NEXT) | instid1(VALU_DEP_2)
	v_and_b32_e32 v3, 0xffff, v8
	v_dual_lshlrev_b32 v8, 16, v9 :: v_dual_bitop2_b32 v1, v1, v2 bitop3:0x54
	v_or_b32_e32 v2, v4, v5
	v_or_b32_e32 v4, v6, v7
	s_delay_alu instid0(VALU_DEP_3)
	v_or_b32_e32 v3, v3, v8
	s_clause 0x3
	global_store_b32 v0, v1, s[8:9] scale_offset
	global_store_b32 v0, v2, s[8:9] offset:1024 scale_offset
	global_store_b32 v0, v4, s[8:9] offset:2048 scale_offset
	;; [unrolled: 1-line block ×3, first 2 shown]
.LBB90_2:
	s_and_not1_b32 vcc_lo, exec_lo, s0
	s_cbranch_vccnz .LBB90_52
; %bb.3:
	v_cmp_gt_i32_e32 vcc_lo, s1, v0
	s_wait_xcnt 0x0
	v_dual_mov_b32 v3, v0 :: v_dual_bitop2_b32 v1, s2, v0 bitop3:0x54
	v_or_b32_e32 v2, 0x100, v0
	s_mov_b32 s3, 0
	s_mov_b32 s9, 0
	s_and_saveexec_b32 s8, vcc_lo
	s_cbranch_execz .LBB90_5
; %bb.4:
	global_load_u16 v3, v1, s[6:7] scale_offset
	s_wait_loadcnt 0x0
	v_lshlrev_b32_e32 v3, 16, v3
	s_delay_alu instid0(VALU_DEP_1)
	v_cmp_eq_f32_e64 s0, 0xff800000, v3
	v_or_b32_e32 v3, 0x100, v0
	s_and_b32 s9, s0, exec_lo
.LBB90_5:
	s_wait_xcnt 0x0
	s_or_b32 exec_lo, exec_lo, s8
	s_delay_alu instid0(SALU_CYCLE_1)
	s_mov_b32 s8, exec_lo
	v_cmpx_gt_i32_e64 s1, v3
	s_cbranch_execz .LBB90_7
; %bb.6:
	v_add_nc_u32_e32 v4, s2, v3
	v_add_nc_u32_e32 v3, 0x100, v3
	global_load_u16 v4, v4, s[6:7] scale_offset
	s_wait_loadcnt 0x0
	v_lshlrev_b32_e32 v4, 16, v4
	s_delay_alu instid0(VALU_DEP_1)
	v_cmp_eq_f32_e64 s0, 0xff800000, v4
	s_and_b32 s3, s0, exec_lo
.LBB90_7:
	s_or_b32 exec_lo, exec_lo, s8
	s_mov_b32 s10, 0
	s_mov_b32 s11, 0
	s_mov_b32 s8, exec_lo
	v_cmpx_gt_i32_e64 s1, v3
	s_cbranch_execz .LBB90_9
; %bb.8:
	v_add_nc_u32_e32 v4, s2, v3
	v_add_nc_u32_e32 v3, 0x100, v3
	global_load_u16 v4, v4, s[6:7] scale_offset
	s_wait_loadcnt 0x0
	v_lshlrev_b32_e32 v4, 16, v4
	s_delay_alu instid0(VALU_DEP_1)
	v_cmp_eq_f32_e64 s0, 0xff800000, v4
	s_and_b32 s11, s0, exec_lo
.LBB90_9:
	s_or_b32 exec_lo, exec_lo, s8
	s_delay_alu instid0(SALU_CYCLE_1)
	s_mov_b32 s8, exec_lo
	v_cmpx_gt_i32_e64 s1, v3
	s_cbranch_execz .LBB90_11
; %bb.10:
	v_add_nc_u32_e32 v4, s2, v3
	v_add_nc_u32_e32 v3, 0x100, v3
	global_load_u16 v4, v4, s[6:7] scale_offset
	s_wait_loadcnt 0x0
	v_lshlrev_b32_e32 v4, 16, v4
	s_delay_alu instid0(VALU_DEP_1)
	v_cmp_eq_f32_e64 s0, 0xff800000, v4
	s_and_b32 s10, s0, exec_lo
.LBB90_11:
	s_or_b32 exec_lo, exec_lo, s8
	s_mov_b32 s12, 0
	s_mov_b32 s14, 0
	s_mov_b32 s8, exec_lo
	v_cmpx_gt_i32_e64 s1, v3
	s_cbranch_execz .LBB90_13
; %bb.12:
	v_add_nc_u32_e32 v4, s2, v3
	v_add_nc_u32_e32 v3, 0x100, v3
	global_load_u16 v4, v4, s[6:7] scale_offset
	s_wait_loadcnt 0x0
	v_lshlrev_b32_e32 v4, 16, v4
	s_delay_alu instid0(VALU_DEP_1)
	v_cmp_eq_f32_e64 s0, 0xff800000, v4
	s_and_b32 s14, s0, exec_lo
.LBB90_13:
	;; [unrolled: 31-line block ×7, first 2 shown]
	s_or_b32 exec_lo, exec_lo, s23
	s_delay_alu instid0(SALU_CYCLE_1)
	s_mov_b32 s23, exec_lo
	v_cmpx_gt_i32_e64 s1, v3
	s_cbranch_execz .LBB90_35
; %bb.34:
	v_add_nc_u32_e32 v3, s2, v3
	global_load_u16 v3, v3, s[6:7] scale_offset
	s_wait_loadcnt 0x0
	v_lshlrev_b32_e32 v3, 16, v3
	s_delay_alu instid0(VALU_DEP_1)
	v_cmp_eq_f32_e64 s0, 0xff800000, v3
	s_and_b32 s19, s0, exec_lo
.LBB90_35:
	s_or_b32 exec_lo, exec_lo, s23
	v_cndmask_b32_e64 v5, 0, 1, s14
	v_cndmask_b32_e64 v3, 0, 1, s9
	;; [unrolled: 1-line block ×3, first 2 shown]
	v_or_b32_e32 v10, 0x400, v0
	v_cndmask_b32_e64 v9, 0, 1, s12
	v_bitop3_b16 v5, v5, 0, 0xff00 bitop3:0xf8
	v_or_b32_e32 v6, 0x200, v0
	v_lshlrev_b16 v4, 8, v4
	v_cmp_gt_i32_e64 s0, s1, v10
	v_lshlrev_b16 v9, 8, v9
	v_and_b32_e32 v5, 0xffff, v5
	v_cndmask_b32_e32 v3, 0, v3, vcc_lo
	v_cndmask_b32_e64 v7, 0, 1, s11
	v_or_b32_e32 v10, 0xc00, v0
	v_or_b32_e32 v11, 0x500, v0
	s_delay_alu instid0(VALU_DEP_4) | instskip(SKIP_3) | instid1(VALU_DEP_4)
	v_dual_cndmask_b32 v5, 0, v5, s0 :: v_dual_bitop2_b32 v4, v3, v4 bitop3:0x54
	v_cmp_gt_i32_e64 s0, s1, v2
	v_cndmask_b32_e64 v12, 0, 1, s21
	v_cndmask_b32_e64 v8, 0, 1, s10
	v_bitop3_b16 v9, v5, v9, 0xff bitop3:0xec
	v_and_b32_e32 v4, 0xffff, v4
	v_cndmask_b32_e64 v13, 0, 1, s20
	v_cndmask_b32_e64 v14, 0, 1, s18
	v_lshlrev_b16 v8, 8, v8
	v_and_b32_e32 v9, 0xffff, v9
	v_cndmask_b32_e64 v3, v3, v4, s0
	v_cmp_gt_i32_e64 s0, s1, v6
	v_cndmask_b32_e64 v4, 0, 1, s17
	s_delay_alu instid0(VALU_DEP_3) | instskip(NEXT) | instid1(VALU_DEP_1)
	v_lshl_or_b32 v7, v7, 16, v3
	v_cndmask_b32_e64 v3, v3, v7, s0
	v_cmp_gt_i32_e64 s0, s1, v10
	v_lshlrev_b16 v7, 8, v13
	v_or_b32_e32 v10, 0x800, v0
	v_or_b32_e32 v13, 0xd00, v0
	s_delay_alu instid0(VALU_DEP_4) | instskip(SKIP_2) | instid1(VALU_DEP_2)
	v_cndmask_b32_e64 v6, 0, v12, s0
	v_cmp_gt_i32_e64 s0, s1, v11
	v_cndmask_b32_e64 v11, 0, 1, s15
	v_dual_cndmask_b32 v5, v5, v9, s0 :: v_dual_lshrrev_b32 v9, 16, v3
	s_delay_alu instid0(VALU_DEP_4) | instskip(SKIP_1) | instid1(VALU_DEP_3)
	v_bitop3_b16 v7, v6, v7, 0xff bitop3:0xec
	v_cmp_gt_i32_e64 s0, s1, v10
	v_bitop3_b16 v8, v9, v8, 0xff bitop3:0xec
	s_delay_alu instid0(VALU_DEP_4) | instskip(NEXT) | instid1(VALU_DEP_4)
	v_lshrrev_b32_e32 v12, 16, v5
	v_and_b32_e32 v7, 0xffff, v7
	v_cndmask_b32_e64 v9, 0, 1, s13
	s_delay_alu instid0(VALU_DEP_4) | instskip(NEXT) | instid1(VALU_DEP_4)
	v_lshlrev_b32_e32 v8, 16, v8
	v_bitop3_b16 v4, v4, v12, 0xff00 bitop3:0xf8
	v_cndmask_b32_e64 v10, 0, v11, s0
	v_cmp_gt_i32_e64 s0, s1, v13
	v_lshlrev_b16 v9, 8, v9
	v_or_b32_e32 v11, 0x900, v0
	v_lshlrev_b32_e32 v4, 16, v4
	v_cndmask_b32_e64 v13, 0, 1, s22
	v_and_or_b32 v8, 0xffff, v3, v8
	s_delay_alu instid0(VALU_DEP_3) | instskip(SKIP_2) | instid1(VALU_DEP_1)
	v_and_or_b32 v4, 0xffff, v5, v4
	v_cndmask_b32_e64 v6, v6, v7, s0
	v_or_b32_e32 v7, 0x600, v0
	v_cmp_gt_i32_e64 s0, s1, v7
	s_delay_alu instid0(VALU_DEP_1) | instskip(NEXT) | instid1(VALU_DEP_4)
	v_dual_cndmask_b32 v4, v5, v4, s0 :: v_dual_bitop2_b32 v9, v10, v9 bitop3:0x54
	v_lshrrev_b32_e32 v12, 16, v6
	v_cmp_gt_i32_e64 s0, s1, v11
	s_delay_alu instid0(VALU_DEP_3) | instskip(NEXT) | instid1(VALU_DEP_3)
	v_and_b32_e32 v9, 0xffff, v9
	v_bitop3_b16 v5, v13, v12, 0xff00 bitop3:0xf8
	v_or_b32_e32 v12, 0xa00, v0
	v_lshrrev_b32_e32 v11, 16, v4
	v_or_b32_e32 v13, 0xe00, v0
	v_dual_cndmask_b32 v7, v10, v9, s0 :: v_dual_lshlrev_b32 v9, 16, v14
	v_lshlrev_b32_e32 v5, 16, v5
	v_cmp_gt_i32_e64 s0, s1, v12
	v_cndmask_b32_e64 v10, 0, 1, s8
	s_delay_alu instid0(VALU_DEP_4) | instskip(NEXT) | instid1(VALU_DEP_4)
	v_and_or_b32 v9, 0x1ff, v7, v9
	v_and_or_b32 v5, 0xffff, v6, v5
	s_delay_alu instid0(VALU_DEP_3) | instskip(NEXT) | instid1(VALU_DEP_3)
	v_lshlrev_b16 v10, 8, v10
	v_cndmask_b32_e64 v7, v7, v9, s0
	v_cmp_gt_i32_e64 s0, s1, v13
	v_cndmask_b32_e64 v9, 0, 1, s16
	v_or_b32_e32 v13, 0x300, v0
	s_delay_alu instid0(VALU_DEP_3)
	v_cndmask_b32_e64 v12, v6, v5, s0
	v_cndmask_b32_e64 v5, 0, 1, s19
	v_bitop3_b16 v6, v11, v10, 0xff bitop3:0xec
	v_lshlrev_b16 v9, 8, v9
	v_cmp_gt_i32_e64 s0, s1, v13
	v_dual_lshrrev_b32 v11, 16, v12 :: v_dual_lshrrev_b32 v10, 16, v7
	v_lshlrev_b16 v5, 8, v5
	s_delay_alu instid0(VALU_DEP_2) | instskip(NEXT) | instid1(VALU_DEP_4)
	v_bitop3_b16 v9, v10, v9, 0xff bitop3:0xec
	v_dual_lshlrev_b32 v10, 16, v6 :: v_dual_cndmask_b32 v6, v3, v8, s0
	s_delay_alu instid0(VALU_DEP_3) | instskip(SKIP_2) | instid1(VALU_DEP_3)
	v_bitop3_b16 v5, v11, v5, 0xff bitop3:0xec
	v_or_b32_e32 v8, 0x700, v0
	v_or_b32_e32 v11, 0xf00, v0
	v_lshlrev_b32_e32 v5, 16, v5
	s_delay_alu instid0(VALU_DEP_3) | instskip(SKIP_4) | instid1(VALU_DEP_3)
	v_cmp_gt_i32_e64 s0, s1, v8
	v_lshlrev_b32_e32 v3, 16, v9
	v_and_or_b32 v9, 0xffff, v4, v10
	v_or_b32_e32 v10, 0xb00, v0
	v_and_or_b32 v13, 0xffff, v12, v5
	v_cndmask_b32_e64 v5, v4, v9, s0
	v_and_or_b32 v3, 0xffff, v7, v3
	s_delay_alu instid0(VALU_DEP_4) | instskip(NEXT) | instid1(VALU_DEP_1)
	v_cmp_gt_i32_e64 s0, s1, v10
	v_cndmask_b32_e64 v4, v7, v3, s0
	v_cmp_gt_i32_e64 s0, s1, v11
	s_delay_alu instid0(VALU_DEP_1)
	v_cndmask_b32_e64 v3, v12, v13, s0
	s_and_saveexec_b32 s0, vcc_lo
	s_cbranch_execnz .LBB90_53
; %bb.36:
	s_or_b32 exec_lo, exec_lo, s0
	s_delay_alu instid0(SALU_CYCLE_1)
	s_mov_b32 s0, exec_lo
	v_cmpx_gt_i32_e64 s1, v0
	s_cbranch_execnz .LBB90_54
.LBB90_37:
	s_or_b32 exec_lo, exec_lo, s0
	s_delay_alu instid0(SALU_CYCLE_1)
	s_mov_b32 s0, exec_lo
	v_cmpx_gt_i32_e64 s1, v0
	s_cbranch_execnz .LBB90_55
.LBB90_38:
	s_or_b32 exec_lo, exec_lo, s0
	s_delay_alu instid0(SALU_CYCLE_1)
	s_mov_b32 s0, exec_lo
	v_cmpx_gt_i32_e64 s1, v0
	s_cbranch_execnz .LBB90_56
.LBB90_39:
	s_or_b32 exec_lo, exec_lo, s0
	s_delay_alu instid0(SALU_CYCLE_1)
	s_mov_b32 s0, exec_lo
	v_cmpx_gt_i32_e64 s1, v0
	s_cbranch_execnz .LBB90_57
.LBB90_40:
	s_or_b32 exec_lo, exec_lo, s0
	s_delay_alu instid0(SALU_CYCLE_1)
	s_mov_b32 s0, exec_lo
	v_cmpx_gt_i32_e64 s1, v0
	s_cbranch_execnz .LBB90_58
.LBB90_41:
	s_or_b32 exec_lo, exec_lo, s0
	s_delay_alu instid0(SALU_CYCLE_1)
	s_mov_b32 s0, exec_lo
	v_cmpx_gt_i32_e64 s1, v0
	s_cbranch_execnz .LBB90_59
.LBB90_42:
	s_or_b32 exec_lo, exec_lo, s0
	s_delay_alu instid0(SALU_CYCLE_1)
	s_mov_b32 s0, exec_lo
	v_cmpx_gt_i32_e64 s1, v0
	s_cbranch_execnz .LBB90_60
.LBB90_43:
	s_or_b32 exec_lo, exec_lo, s0
	s_delay_alu instid0(SALU_CYCLE_1)
	s_mov_b32 s0, exec_lo
	v_cmpx_gt_i32_e64 s1, v0
	s_cbranch_execnz .LBB90_61
.LBB90_44:
	s_or_b32 exec_lo, exec_lo, s0
	s_delay_alu instid0(SALU_CYCLE_1)
	s_mov_b32 s0, exec_lo
	v_cmpx_gt_i32_e64 s1, v0
	s_cbranch_execnz .LBB90_62
.LBB90_45:
	s_or_b32 exec_lo, exec_lo, s0
	s_delay_alu instid0(SALU_CYCLE_1)
	s_mov_b32 s0, exec_lo
	v_cmpx_gt_i32_e64 s1, v0
	s_cbranch_execnz .LBB90_63
.LBB90_46:
	s_or_b32 exec_lo, exec_lo, s0
	s_delay_alu instid0(SALU_CYCLE_1)
	s_mov_b32 s0, exec_lo
	v_cmpx_gt_i32_e64 s1, v0
	s_cbranch_execnz .LBB90_64
.LBB90_47:
	s_or_b32 exec_lo, exec_lo, s0
	s_delay_alu instid0(SALU_CYCLE_1)
	s_mov_b32 s0, exec_lo
	v_cmpx_gt_i32_e64 s1, v0
	s_cbranch_execnz .LBB90_65
.LBB90_48:
	s_or_b32 exec_lo, exec_lo, s0
	s_delay_alu instid0(SALU_CYCLE_1)
	s_mov_b32 s0, exec_lo
	v_cmpx_gt_i32_e64 s1, v0
	s_cbranch_execnz .LBB90_66
.LBB90_49:
	s_or_b32 exec_lo, exec_lo, s0
	s_delay_alu instid0(SALU_CYCLE_1)
	s_mov_b32 s0, exec_lo
	v_cmpx_gt_i32_e64 s1, v0
	s_cbranch_execnz .LBB90_67
.LBB90_50:
	s_or_b32 exec_lo, exec_lo, s0
	s_delay_alu instid0(SALU_CYCLE_1)
	s_mov_b32 s0, exec_lo
	v_cmpx_gt_i32_e64 s1, v0
	s_cbranch_execz .LBB90_52
.LBB90_51:
	v_dual_lshrrev_b32 v1, 24, v3 :: v_dual_add_nc_u32 v0, s2, v0
	global_store_b8 v0, v1, s[4:5]
.LBB90_52:
	s_endpgm
.LBB90_53:
	v_mov_b32_e32 v0, v2
	global_store_b8 v1, v6, s[4:5]
	s_wait_xcnt 0x0
	s_or_b32 exec_lo, exec_lo, s0
	s_delay_alu instid0(SALU_CYCLE_1)
	s_mov_b32 s0, exec_lo
	v_cmpx_gt_i32_e64 s1, v0
	s_cbranch_execz .LBB90_37
.LBB90_54:
	v_dual_lshrrev_b32 v1, 8, v6 :: v_dual_add_nc_u32 v2, s2, v0
	v_add_nc_u32_e32 v0, 0x100, v0
	global_store_b8 v2, v1, s[4:5]
	s_wait_xcnt 0x0
	s_or_b32 exec_lo, exec_lo, s0
	s_delay_alu instid0(SALU_CYCLE_1)
	s_mov_b32 s0, exec_lo
	v_cmpx_gt_i32_e64 s1, v0
	s_cbranch_execz .LBB90_38
.LBB90_55:
	v_add_nc_u32_e32 v1, s2, v0
	v_add_nc_u32_e32 v0, 0x100, v0
	global_store_d16_hi_b8 v1, v6, s[4:5]
	s_wait_xcnt 0x0
	s_or_b32 exec_lo, exec_lo, s0
	s_delay_alu instid0(SALU_CYCLE_1)
	s_mov_b32 s0, exec_lo
	v_cmpx_gt_i32_e64 s1, v0
	s_cbranch_execz .LBB90_39
.LBB90_56:
	v_dual_lshrrev_b32 v1, 24, v6 :: v_dual_add_nc_u32 v2, s2, v0
	v_add_nc_u32_e32 v0, 0x100, v0
	global_store_b8 v2, v1, s[4:5]
	s_wait_xcnt 0x0
	s_or_b32 exec_lo, exec_lo, s0
	s_delay_alu instid0(SALU_CYCLE_1)
	s_mov_b32 s0, exec_lo
	v_cmpx_gt_i32_e64 s1, v0
	s_cbranch_execz .LBB90_40
.LBB90_57:
	v_add_nc_u32_e32 v1, s2, v0
	v_add_nc_u32_e32 v0, 0x100, v0
	global_store_b8 v1, v5, s[4:5]
	s_wait_xcnt 0x0
	s_or_b32 exec_lo, exec_lo, s0
	s_delay_alu instid0(SALU_CYCLE_1)
	s_mov_b32 s0, exec_lo
	v_cmpx_gt_i32_e64 s1, v0
	s_cbranch_execz .LBB90_41
.LBB90_58:
	v_dual_lshrrev_b32 v1, 8, v5 :: v_dual_add_nc_u32 v2, s2, v0
	v_add_nc_u32_e32 v0, 0x100, v0
	global_store_b8 v2, v1, s[4:5]
	s_wait_xcnt 0x0
	s_or_b32 exec_lo, exec_lo, s0
	s_delay_alu instid0(SALU_CYCLE_1)
	s_mov_b32 s0, exec_lo
	v_cmpx_gt_i32_e64 s1, v0
	s_cbranch_execz .LBB90_42
.LBB90_59:
	v_add_nc_u32_e32 v1, s2, v0
	v_add_nc_u32_e32 v0, 0x100, v0
	global_store_d16_hi_b8 v1, v5, s[4:5]
	s_wait_xcnt 0x0
	s_or_b32 exec_lo, exec_lo, s0
	s_delay_alu instid0(SALU_CYCLE_1)
	s_mov_b32 s0, exec_lo
	v_cmpx_gt_i32_e64 s1, v0
	s_cbranch_execz .LBB90_43
.LBB90_60:
	v_dual_lshrrev_b32 v1, 24, v5 :: v_dual_add_nc_u32 v2, s2, v0
	v_add_nc_u32_e32 v0, 0x100, v0
	global_store_b8 v2, v1, s[4:5]
	s_wait_xcnt 0x0
	s_or_b32 exec_lo, exec_lo, s0
	s_delay_alu instid0(SALU_CYCLE_1)
	s_mov_b32 s0, exec_lo
	v_cmpx_gt_i32_e64 s1, v0
	s_cbranch_execz .LBB90_44
.LBB90_61:
	v_add_nc_u32_e32 v1, s2, v0
	v_add_nc_u32_e32 v0, 0x100, v0
	global_store_b8 v1, v4, s[4:5]
	s_wait_xcnt 0x0
	s_or_b32 exec_lo, exec_lo, s0
	s_delay_alu instid0(SALU_CYCLE_1)
	s_mov_b32 s0, exec_lo
	v_cmpx_gt_i32_e64 s1, v0
	s_cbranch_execz .LBB90_45
.LBB90_62:
	v_lshrrev_b32_e32 v1, 8, v4
	v_add_nc_u32_e32 v2, s2, v0
	v_add_nc_u32_e32 v0, 0x100, v0
	global_store_b8 v2, v1, s[4:5]
	s_wait_xcnt 0x0
	s_or_b32 exec_lo, exec_lo, s0
	s_delay_alu instid0(SALU_CYCLE_1)
	s_mov_b32 s0, exec_lo
	v_cmpx_gt_i32_e64 s1, v0
	s_cbranch_execz .LBB90_46
.LBB90_63:
	v_add_nc_u32_e32 v1, s2, v0
	v_add_nc_u32_e32 v0, 0x100, v0
	global_store_d16_hi_b8 v1, v4, s[4:5]
	s_wait_xcnt 0x0
	s_or_b32 exec_lo, exec_lo, s0
	s_delay_alu instid0(SALU_CYCLE_1)
	s_mov_b32 s0, exec_lo
	v_cmpx_gt_i32_e64 s1, v0
	s_cbranch_execz .LBB90_47
.LBB90_64:
	v_lshrrev_b32_e32 v1, 24, v4
	v_add_nc_u32_e32 v2, s2, v0
	v_add_nc_u32_e32 v0, 0x100, v0
	global_store_b8 v2, v1, s[4:5]
	s_wait_xcnt 0x0
	s_or_b32 exec_lo, exec_lo, s0
	s_delay_alu instid0(SALU_CYCLE_1)
	s_mov_b32 s0, exec_lo
	v_cmpx_gt_i32_e64 s1, v0
	s_cbranch_execz .LBB90_48
.LBB90_65:
	v_add_nc_u32_e32 v1, s2, v0
	v_add_nc_u32_e32 v0, 0x100, v0
	global_store_b8 v1, v3, s[4:5]
	s_wait_xcnt 0x0
	s_or_b32 exec_lo, exec_lo, s0
	s_delay_alu instid0(SALU_CYCLE_1)
	s_mov_b32 s0, exec_lo
	v_cmpx_gt_i32_e64 s1, v0
	s_cbranch_execz .LBB90_49
.LBB90_66:
	v_dual_lshrrev_b32 v1, 8, v3 :: v_dual_add_nc_u32 v2, s2, v0
	v_add_nc_u32_e32 v0, 0x100, v0
	global_store_b8 v2, v1, s[4:5]
	s_wait_xcnt 0x0
	s_or_b32 exec_lo, exec_lo, s0
	s_delay_alu instid0(SALU_CYCLE_1)
	s_mov_b32 s0, exec_lo
	v_cmpx_gt_i32_e64 s1, v0
	s_cbranch_execz .LBB90_50
.LBB90_67:
	v_add_nc_u32_e32 v1, s2, v0
	v_add_nc_u32_e32 v0, 0x100, v0
	global_store_d16_hi_b8 v1, v3, s[4:5]
	s_wait_xcnt 0x0
	s_or_b32 exec_lo, exec_lo, s0
	s_delay_alu instid0(SALU_CYCLE_1)
	s_mov_b32 s0, exec_lo
	v_cmpx_gt_i32_e64 s1, v0
	s_cbranch_execnz .LBB90_51
	s_branch .LBB90_52
	.section	.rodata,"a",@progbits
	.p2align	6, 0x0
	.amdhsa_kernel _ZN2at6native29vectorized_elementwise_kernelILi4EZZZNS0_12_GLOBAL__N_120isneginf_kernel_implERNS_18TensorIteratorBaseEENKUlvE_clEvENKUlvE2_clEvEUlN3c108BFloat16EE_St5arrayIPcLm2EEEEviT0_T1_
		.amdhsa_group_segment_fixed_size 0
		.amdhsa_private_segment_fixed_size 0
		.amdhsa_kernarg_size 24
		.amdhsa_user_sgpr_count 2
		.amdhsa_user_sgpr_dispatch_ptr 0
		.amdhsa_user_sgpr_queue_ptr 0
		.amdhsa_user_sgpr_kernarg_segment_ptr 1
		.amdhsa_user_sgpr_dispatch_id 0
		.amdhsa_user_sgpr_kernarg_preload_length 0
		.amdhsa_user_sgpr_kernarg_preload_offset 0
		.amdhsa_user_sgpr_private_segment_size 0
		.amdhsa_wavefront_size32 1
		.amdhsa_uses_dynamic_stack 0
		.amdhsa_enable_private_segment 0
		.amdhsa_system_sgpr_workgroup_id_x 1
		.amdhsa_system_sgpr_workgroup_id_y 0
		.amdhsa_system_sgpr_workgroup_id_z 0
		.amdhsa_system_sgpr_workgroup_info 0
		.amdhsa_system_vgpr_workitem_id 0
		.amdhsa_next_free_vgpr 17
		.amdhsa_next_free_sgpr 24
		.amdhsa_named_barrier_count 0
		.amdhsa_reserve_vcc 1
		.amdhsa_float_round_mode_32 0
		.amdhsa_float_round_mode_16_64 0
		.amdhsa_float_denorm_mode_32 3
		.amdhsa_float_denorm_mode_16_64 3
		.amdhsa_fp16_overflow 0
		.amdhsa_memory_ordered 1
		.amdhsa_forward_progress 1
		.amdhsa_inst_pref_size 34
		.amdhsa_round_robin_scheduling 0
		.amdhsa_exception_fp_ieee_invalid_op 0
		.amdhsa_exception_fp_denorm_src 0
		.amdhsa_exception_fp_ieee_div_zero 0
		.amdhsa_exception_fp_ieee_overflow 0
		.amdhsa_exception_fp_ieee_underflow 0
		.amdhsa_exception_fp_ieee_inexact 0
		.amdhsa_exception_int_div_zero 0
	.end_amdhsa_kernel
	.section	.text._ZN2at6native29vectorized_elementwise_kernelILi4EZZZNS0_12_GLOBAL__N_120isneginf_kernel_implERNS_18TensorIteratorBaseEENKUlvE_clEvENKUlvE2_clEvEUlN3c108BFloat16EE_St5arrayIPcLm2EEEEviT0_T1_,"axG",@progbits,_ZN2at6native29vectorized_elementwise_kernelILi4EZZZNS0_12_GLOBAL__N_120isneginf_kernel_implERNS_18TensorIteratorBaseEENKUlvE_clEvENKUlvE2_clEvEUlN3c108BFloat16EE_St5arrayIPcLm2EEEEviT0_T1_,comdat
.Lfunc_end90:
	.size	_ZN2at6native29vectorized_elementwise_kernelILi4EZZZNS0_12_GLOBAL__N_120isneginf_kernel_implERNS_18TensorIteratorBaseEENKUlvE_clEvENKUlvE2_clEvEUlN3c108BFloat16EE_St5arrayIPcLm2EEEEviT0_T1_, .Lfunc_end90-_ZN2at6native29vectorized_elementwise_kernelILi4EZZZNS0_12_GLOBAL__N_120isneginf_kernel_implERNS_18TensorIteratorBaseEENKUlvE_clEvENKUlvE2_clEvEUlN3c108BFloat16EE_St5arrayIPcLm2EEEEviT0_T1_
                                        ; -- End function
	.set _ZN2at6native29vectorized_elementwise_kernelILi4EZZZNS0_12_GLOBAL__N_120isneginf_kernel_implERNS_18TensorIteratorBaseEENKUlvE_clEvENKUlvE2_clEvEUlN3c108BFloat16EE_St5arrayIPcLm2EEEEviT0_T1_.num_vgpr, 17
	.set _ZN2at6native29vectorized_elementwise_kernelILi4EZZZNS0_12_GLOBAL__N_120isneginf_kernel_implERNS_18TensorIteratorBaseEENKUlvE_clEvENKUlvE2_clEvEUlN3c108BFloat16EE_St5arrayIPcLm2EEEEviT0_T1_.num_agpr, 0
	.set _ZN2at6native29vectorized_elementwise_kernelILi4EZZZNS0_12_GLOBAL__N_120isneginf_kernel_implERNS_18TensorIteratorBaseEENKUlvE_clEvENKUlvE2_clEvEUlN3c108BFloat16EE_St5arrayIPcLm2EEEEviT0_T1_.numbered_sgpr, 24
	.set _ZN2at6native29vectorized_elementwise_kernelILi4EZZZNS0_12_GLOBAL__N_120isneginf_kernel_implERNS_18TensorIteratorBaseEENKUlvE_clEvENKUlvE2_clEvEUlN3c108BFloat16EE_St5arrayIPcLm2EEEEviT0_T1_.num_named_barrier, 0
	.set _ZN2at6native29vectorized_elementwise_kernelILi4EZZZNS0_12_GLOBAL__N_120isneginf_kernel_implERNS_18TensorIteratorBaseEENKUlvE_clEvENKUlvE2_clEvEUlN3c108BFloat16EE_St5arrayIPcLm2EEEEviT0_T1_.private_seg_size, 0
	.set _ZN2at6native29vectorized_elementwise_kernelILi4EZZZNS0_12_GLOBAL__N_120isneginf_kernel_implERNS_18TensorIteratorBaseEENKUlvE_clEvENKUlvE2_clEvEUlN3c108BFloat16EE_St5arrayIPcLm2EEEEviT0_T1_.uses_vcc, 1
	.set _ZN2at6native29vectorized_elementwise_kernelILi4EZZZNS0_12_GLOBAL__N_120isneginf_kernel_implERNS_18TensorIteratorBaseEENKUlvE_clEvENKUlvE2_clEvEUlN3c108BFloat16EE_St5arrayIPcLm2EEEEviT0_T1_.uses_flat_scratch, 0
	.set _ZN2at6native29vectorized_elementwise_kernelILi4EZZZNS0_12_GLOBAL__N_120isneginf_kernel_implERNS_18TensorIteratorBaseEENKUlvE_clEvENKUlvE2_clEvEUlN3c108BFloat16EE_St5arrayIPcLm2EEEEviT0_T1_.has_dyn_sized_stack, 0
	.set _ZN2at6native29vectorized_elementwise_kernelILi4EZZZNS0_12_GLOBAL__N_120isneginf_kernel_implERNS_18TensorIteratorBaseEENKUlvE_clEvENKUlvE2_clEvEUlN3c108BFloat16EE_St5arrayIPcLm2EEEEviT0_T1_.has_recursion, 0
	.set _ZN2at6native29vectorized_elementwise_kernelILi4EZZZNS0_12_GLOBAL__N_120isneginf_kernel_implERNS_18TensorIteratorBaseEENKUlvE_clEvENKUlvE2_clEvEUlN3c108BFloat16EE_St5arrayIPcLm2EEEEviT0_T1_.has_indirect_call, 0
	.section	.AMDGPU.csdata,"",@progbits
; Kernel info:
; codeLenInByte = 4240
; TotalNumSgprs: 26
; NumVgprs: 17
; ScratchSize: 0
; MemoryBound: 0
; FloatMode: 240
; IeeeMode: 1
; LDSByteSize: 0 bytes/workgroup (compile time only)
; SGPRBlocks: 0
; VGPRBlocks: 1
; NumSGPRsForWavesPerEU: 26
; NumVGPRsForWavesPerEU: 17
; NamedBarCnt: 0
; Occupancy: 16
; WaveLimiterHint : 1
; COMPUTE_PGM_RSRC2:SCRATCH_EN: 0
; COMPUTE_PGM_RSRC2:USER_SGPR: 2
; COMPUTE_PGM_RSRC2:TRAP_HANDLER: 0
; COMPUTE_PGM_RSRC2:TGID_X_EN: 1
; COMPUTE_PGM_RSRC2:TGID_Y_EN: 0
; COMPUTE_PGM_RSRC2:TGID_Z_EN: 0
; COMPUTE_PGM_RSRC2:TIDIG_COMP_CNT: 0
	.section	.text._ZN2at6native29vectorized_elementwise_kernelILi2EZZZNS0_12_GLOBAL__N_120isneginf_kernel_implERNS_18TensorIteratorBaseEENKUlvE_clEvENKUlvE2_clEvEUlN3c108BFloat16EE_St5arrayIPcLm2EEEEviT0_T1_,"axG",@progbits,_ZN2at6native29vectorized_elementwise_kernelILi2EZZZNS0_12_GLOBAL__N_120isneginf_kernel_implERNS_18TensorIteratorBaseEENKUlvE_clEvENKUlvE2_clEvEUlN3c108BFloat16EE_St5arrayIPcLm2EEEEviT0_T1_,comdat
	.globl	_ZN2at6native29vectorized_elementwise_kernelILi2EZZZNS0_12_GLOBAL__N_120isneginf_kernel_implERNS_18TensorIteratorBaseEENKUlvE_clEvENKUlvE2_clEvEUlN3c108BFloat16EE_St5arrayIPcLm2EEEEviT0_T1_ ; -- Begin function _ZN2at6native29vectorized_elementwise_kernelILi2EZZZNS0_12_GLOBAL__N_120isneginf_kernel_implERNS_18TensorIteratorBaseEENKUlvE_clEvENKUlvE2_clEvEUlN3c108BFloat16EE_St5arrayIPcLm2EEEEviT0_T1_
	.p2align	8
	.type	_ZN2at6native29vectorized_elementwise_kernelILi2EZZZNS0_12_GLOBAL__N_120isneginf_kernel_implERNS_18TensorIteratorBaseEENKUlvE_clEvENKUlvE2_clEvEUlN3c108BFloat16EE_St5arrayIPcLm2EEEEviT0_T1_,@function
_ZN2at6native29vectorized_elementwise_kernelILi2EZZZNS0_12_GLOBAL__N_120isneginf_kernel_implERNS_18TensorIteratorBaseEENKUlvE_clEvENKUlvE2_clEvEUlN3c108BFloat16EE_St5arrayIPcLm2EEEEviT0_T1_: ; @_ZN2at6native29vectorized_elementwise_kernelILi2EZZZNS0_12_GLOBAL__N_120isneginf_kernel_implERNS_18TensorIteratorBaseEENKUlvE_clEvENKUlvE2_clEvEUlN3c108BFloat16EE_St5arrayIPcLm2EEEEviT0_T1_
; %bb.0:
	s_clause 0x1
	s_load_b32 s3, s[0:1], 0x0
	s_load_b128 s[4:7], s[0:1], 0x8
	s_wait_xcnt 0x0
	s_bfe_u32 s0, ttmp6, 0x4000c
	s_and_b32 s1, ttmp6, 15
	s_add_co_i32 s0, s0, 1
	s_getreg_b32 s2, hwreg(HW_REG_IB_STS2, 6, 4)
	s_mul_i32 s0, ttmp9, s0
	s_delay_alu instid0(SALU_CYCLE_1) | instskip(SKIP_2) | instid1(SALU_CYCLE_1)
	s_add_co_i32 s1, s1, s0
	s_cmp_eq_u32 s2, 0
	s_cselect_b32 s0, ttmp9, s1
	s_lshl_b32 s2, s0, 12
	s_mov_b32 s0, -1
	s_wait_kmcnt 0x0
	s_sub_co_i32 s1, s3, s2
	s_delay_alu instid0(SALU_CYCLE_1)
	s_cmp_gt_i32 s1, 0xfff
	s_cbranch_scc0 .LBB91_2
; %bb.1:
	s_ashr_i32 s3, s2, 31
	s_mov_b32 s0, 0
	s_lshl_b64 s[8:9], s[2:3], 1
	s_delay_alu instid0(SALU_CYCLE_1)
	s_add_nc_u64 s[8:9], s[6:7], s[8:9]
	s_clause 0x7
	global_load_b32 v1, v0, s[8:9] scale_offset
	global_load_b32 v2, v0, s[8:9] offset:1024 scale_offset
	global_load_b32 v3, v0, s[8:9] offset:2048 scale_offset
	;; [unrolled: 1-line block ×7, first 2 shown]
	s_wait_xcnt 0x0
	s_add_nc_u64 s[8:9], s[4:5], s[2:3]
	s_wait_loadcnt 0x6
	v_dual_lshlrev_b32 v9, 16, v1 :: v_dual_lshlrev_b32 v10, 16, v2
	s_wait_loadcnt 0x4
	v_dual_lshlrev_b32 v11, 16, v3 :: v_dual_lshlrev_b32 v12, 16, v4
	;; [unrolled: 2-line block ×3, first 2 shown]
	s_wait_loadcnt 0x1
	v_and_b32_e32 v15, 0xffff0000, v7
	s_wait_loadcnt 0x0
	v_dual_lshlrev_b32 v7, 16, v7 :: v_dual_lshlrev_b32 v16, 16, v8
	v_and_b32_e32 v8, 0xffff0000, v8
	v_and_b32_e32 v6, 0xffff0000, v6
	v_cmp_eq_f32_e32 vcc_lo, 0xff800000, v15
	v_and_b32_e32 v5, 0xffff0000, v5
	v_and_b32_e32 v4, 0xffff0000, v4
	;; [unrolled: 1-line block ×4, first 2 shown]
	v_cndmask_b32_e64 v15, 0, 1, vcc_lo
	v_cmp_eq_f32_e32 vcc_lo, 0xff800000, v7
	v_and_b32_e32 v1, 0xffff0000, v1
	s_delay_alu instid0(VALU_DEP_3) | instskip(SKIP_2) | instid1(VALU_DEP_2)
	v_lshlrev_b16 v15, 8, v15
	v_cndmask_b32_e64 v7, 0, 1, vcc_lo
	v_cmp_eq_f32_e32 vcc_lo, 0xff800000, v8
	v_or_b32_e32 v7, v7, v15
	v_cndmask_b32_e64 v8, 0, 1, vcc_lo
	v_cmp_eq_f32_e32 vcc_lo, 0xff800000, v16
	s_delay_alu instid0(VALU_DEP_2) | instskip(SKIP_2) | instid1(VALU_DEP_2)
	v_lshlrev_b16 v8, 8, v8
	v_cndmask_b32_e64 v16, 0, 1, vcc_lo
	v_cmp_eq_f32_e32 vcc_lo, 0xff800000, v6
	v_or_b32_e32 v8, v16, v8
	v_cndmask_b32_e64 v6, 0, 1, vcc_lo
	v_cmp_eq_f32_e32 vcc_lo, 0xff800000, v14
	s_delay_alu instid0(VALU_DEP_2) | instskip(SKIP_2) | instid1(VALU_DEP_2)
	;; [unrolled: 7-line block ×6, first 2 shown]
	v_lshlrev_b16 v2, 8, v2
	v_cndmask_b32_e64 v10, 0, 1, vcc_lo
	v_cmp_eq_f32_e32 vcc_lo, 0xff800000, v1
	v_or_b32_e32 v2, v10, v2
	v_cndmask_b32_e64 v1, 0, 1, vcc_lo
	v_cmp_eq_f32_e32 vcc_lo, 0xff800000, v9
	s_delay_alu instid0(VALU_DEP_2) | instskip(SKIP_1) | instid1(VALU_DEP_1)
	v_lshlrev_b16 v1, 8, v1
	v_cndmask_b32_e64 v9, 0, 1, vcc_lo
	v_or_b32_e32 v1, v9, v1
	s_clause 0x7
	global_store_b16 v0, v1, s[8:9] scale_offset
	global_store_b16 v0, v2, s[8:9] offset:512 scale_offset
	global_store_b16 v0, v3, s[8:9] offset:1024 scale_offset
	global_store_b16 v0, v4, s[8:9] offset:1536 scale_offset
	global_store_b16 v0, v5, s[8:9] offset:2048 scale_offset
	global_store_b16 v0, v6, s[8:9] offset:2560 scale_offset
	global_store_b16 v0, v8, s[8:9] offset:3072 scale_offset
	global_store_b16 v0, v7, s[8:9] offset:3584 scale_offset
.LBB91_2:
	s_and_not1_b32 vcc_lo, exec_lo, s0
	s_cbranch_vccnz .LBB91_52
; %bb.3:
	v_cmp_gt_i32_e32 vcc_lo, s1, v0
	s_wait_xcnt 0x5
	v_dual_mov_b32 v3, v0 :: v_dual_bitop2_b32 v1, s2, v0 bitop3:0x54
	v_or_b32_e32 v2, 0x100, v0
	s_mov_b32 s3, 0
	s_wait_xcnt 0x0
	s_mov_b32 s9, 0
	s_and_saveexec_b32 s8, vcc_lo
	s_cbranch_execz .LBB91_5
; %bb.4:
	global_load_u16 v3, v1, s[6:7] scale_offset
	s_wait_loadcnt 0x0
	v_lshlrev_b32_e32 v3, 16, v3
	s_delay_alu instid0(VALU_DEP_1)
	v_cmp_eq_f32_e64 s0, 0xff800000, v3
	v_or_b32_e32 v3, 0x100, v0
	s_and_b32 s9, s0, exec_lo
.LBB91_5:
	s_wait_xcnt 0x0
	s_or_b32 exec_lo, exec_lo, s8
	s_delay_alu instid0(SALU_CYCLE_1)
	s_mov_b32 s8, exec_lo
	v_cmpx_gt_i32_e64 s1, v3
	s_cbranch_execz .LBB91_7
; %bb.6:
	v_add_nc_u32_e32 v4, s2, v3
	v_add_nc_u32_e32 v3, 0x100, v3
	global_load_u16 v4, v4, s[6:7] scale_offset
	s_wait_loadcnt 0x0
	v_lshlrev_b32_e32 v4, 16, v4
	s_delay_alu instid0(VALU_DEP_1)
	v_cmp_eq_f32_e64 s0, 0xff800000, v4
	s_and_b32 s3, s0, exec_lo
.LBB91_7:
	s_or_b32 exec_lo, exec_lo, s8
	s_mov_b32 s10, 0
	s_mov_b32 s11, 0
	s_mov_b32 s8, exec_lo
	v_cmpx_gt_i32_e64 s1, v3
	s_cbranch_execz .LBB91_9
; %bb.8:
	v_add_nc_u32_e32 v4, s2, v3
	v_add_nc_u32_e32 v3, 0x100, v3
	global_load_u16 v4, v4, s[6:7] scale_offset
	s_wait_loadcnt 0x0
	v_lshlrev_b32_e32 v4, 16, v4
	s_delay_alu instid0(VALU_DEP_1)
	v_cmp_eq_f32_e64 s0, 0xff800000, v4
	s_and_b32 s11, s0, exec_lo
.LBB91_9:
	s_or_b32 exec_lo, exec_lo, s8
	s_delay_alu instid0(SALU_CYCLE_1)
	s_mov_b32 s8, exec_lo
	v_cmpx_gt_i32_e64 s1, v3
	s_cbranch_execz .LBB91_11
; %bb.10:
	v_add_nc_u32_e32 v4, s2, v3
	v_add_nc_u32_e32 v3, 0x100, v3
	global_load_u16 v4, v4, s[6:7] scale_offset
	s_wait_loadcnt 0x0
	v_lshlrev_b32_e32 v4, 16, v4
	s_delay_alu instid0(VALU_DEP_1)
	v_cmp_eq_f32_e64 s0, 0xff800000, v4
	s_and_b32 s10, s0, exec_lo
.LBB91_11:
	s_or_b32 exec_lo, exec_lo, s8
	s_mov_b32 s12, 0
	s_mov_b32 s14, 0
	s_mov_b32 s8, exec_lo
	v_cmpx_gt_i32_e64 s1, v3
	s_cbranch_execz .LBB91_13
; %bb.12:
	v_add_nc_u32_e32 v4, s2, v3
	v_add_nc_u32_e32 v3, 0x100, v3
	global_load_u16 v4, v4, s[6:7] scale_offset
	s_wait_loadcnt 0x0
	v_lshlrev_b32_e32 v4, 16, v4
	s_delay_alu instid0(VALU_DEP_1)
	v_cmp_eq_f32_e64 s0, 0xff800000, v4
	s_and_b32 s14, s0, exec_lo
.LBB91_13:
	;; [unrolled: 31-line block ×7, first 2 shown]
	s_or_b32 exec_lo, exec_lo, s23
	s_delay_alu instid0(SALU_CYCLE_1)
	s_mov_b32 s23, exec_lo
	v_cmpx_gt_i32_e64 s1, v3
	s_cbranch_execz .LBB91_35
; %bb.34:
	v_add_nc_u32_e32 v3, s2, v3
	global_load_u16 v3, v3, s[6:7] scale_offset
	s_wait_loadcnt 0x0
	v_lshlrev_b32_e32 v3, 16, v3
	s_delay_alu instid0(VALU_DEP_1)
	v_cmp_eq_f32_e64 s0, 0xff800000, v3
	s_and_b32 s19, s0, exec_lo
.LBB91_35:
	s_or_b32 exec_lo, exec_lo, s23
	v_cndmask_b32_e64 v5, 0, 1, s14
	v_cndmask_b32_e64 v3, 0, 1, s9
	;; [unrolled: 1-line block ×3, first 2 shown]
	v_or_b32_e32 v10, 0x400, v0
	v_cndmask_b32_e64 v9, 0, 1, s12
	v_bitop3_b16 v5, v5, 0, 0xff00 bitop3:0xf8
	v_or_b32_e32 v6, 0x200, v0
	v_lshlrev_b16 v4, 8, v4
	v_cmp_gt_i32_e64 s0, s1, v10
	v_lshlrev_b16 v9, 8, v9
	v_and_b32_e32 v5, 0xffff, v5
	v_cndmask_b32_e32 v3, 0, v3, vcc_lo
	v_cndmask_b32_e64 v7, 0, 1, s11
	v_or_b32_e32 v10, 0xc00, v0
	v_or_b32_e32 v11, 0x500, v0
	s_delay_alu instid0(VALU_DEP_4) | instskip(SKIP_3) | instid1(VALU_DEP_4)
	v_dual_cndmask_b32 v5, 0, v5, s0 :: v_dual_bitop2_b32 v4, v3, v4 bitop3:0x54
	v_cmp_gt_i32_e64 s0, s1, v2
	v_cndmask_b32_e64 v12, 0, 1, s21
	v_cndmask_b32_e64 v8, 0, 1, s10
	v_bitop3_b16 v9, v5, v9, 0xff bitop3:0xec
	v_and_b32_e32 v4, 0xffff, v4
	v_cndmask_b32_e64 v13, 0, 1, s20
	v_cndmask_b32_e64 v14, 0, 1, s18
	v_lshlrev_b16 v8, 8, v8
	v_and_b32_e32 v9, 0xffff, v9
	v_cndmask_b32_e64 v3, v3, v4, s0
	v_cmp_gt_i32_e64 s0, s1, v6
	v_cndmask_b32_e64 v4, 0, 1, s17
	s_delay_alu instid0(VALU_DEP_3) | instskip(NEXT) | instid1(VALU_DEP_1)
	v_lshl_or_b32 v7, v7, 16, v3
	v_cndmask_b32_e64 v3, v3, v7, s0
	v_cmp_gt_i32_e64 s0, s1, v10
	v_lshlrev_b16 v7, 8, v13
	v_or_b32_e32 v10, 0x800, v0
	v_or_b32_e32 v13, 0xd00, v0
	s_delay_alu instid0(VALU_DEP_4) | instskip(SKIP_2) | instid1(VALU_DEP_2)
	v_cndmask_b32_e64 v6, 0, v12, s0
	v_cmp_gt_i32_e64 s0, s1, v11
	v_cndmask_b32_e64 v11, 0, 1, s15
	v_dual_cndmask_b32 v5, v5, v9, s0 :: v_dual_lshrrev_b32 v9, 16, v3
	s_delay_alu instid0(VALU_DEP_4) | instskip(SKIP_1) | instid1(VALU_DEP_3)
	v_bitop3_b16 v7, v6, v7, 0xff bitop3:0xec
	v_cmp_gt_i32_e64 s0, s1, v10
	v_bitop3_b16 v8, v9, v8, 0xff bitop3:0xec
	s_delay_alu instid0(VALU_DEP_4) | instskip(NEXT) | instid1(VALU_DEP_4)
	v_lshrrev_b32_e32 v12, 16, v5
	v_and_b32_e32 v7, 0xffff, v7
	v_cndmask_b32_e64 v9, 0, 1, s13
	s_delay_alu instid0(VALU_DEP_4) | instskip(NEXT) | instid1(VALU_DEP_4)
	v_lshlrev_b32_e32 v8, 16, v8
	v_bitop3_b16 v4, v4, v12, 0xff00 bitop3:0xf8
	v_cndmask_b32_e64 v10, 0, v11, s0
	v_cmp_gt_i32_e64 s0, s1, v13
	v_lshlrev_b16 v9, 8, v9
	v_or_b32_e32 v11, 0x900, v0
	v_lshlrev_b32_e32 v4, 16, v4
	v_cndmask_b32_e64 v13, 0, 1, s22
	v_and_or_b32 v8, 0xffff, v3, v8
	s_delay_alu instid0(VALU_DEP_3) | instskip(SKIP_2) | instid1(VALU_DEP_1)
	v_and_or_b32 v4, 0xffff, v5, v4
	v_cndmask_b32_e64 v6, v6, v7, s0
	v_or_b32_e32 v7, 0x600, v0
	v_cmp_gt_i32_e64 s0, s1, v7
	s_delay_alu instid0(VALU_DEP_1) | instskip(NEXT) | instid1(VALU_DEP_4)
	v_dual_cndmask_b32 v4, v5, v4, s0 :: v_dual_bitop2_b32 v9, v10, v9 bitop3:0x54
	v_lshrrev_b32_e32 v12, 16, v6
	v_cmp_gt_i32_e64 s0, s1, v11
	s_delay_alu instid0(VALU_DEP_3) | instskip(NEXT) | instid1(VALU_DEP_3)
	v_and_b32_e32 v9, 0xffff, v9
	v_bitop3_b16 v5, v13, v12, 0xff00 bitop3:0xf8
	v_or_b32_e32 v12, 0xa00, v0
	v_lshrrev_b32_e32 v11, 16, v4
	v_or_b32_e32 v13, 0xe00, v0
	v_dual_cndmask_b32 v7, v10, v9, s0 :: v_dual_lshlrev_b32 v9, 16, v14
	v_lshlrev_b32_e32 v5, 16, v5
	v_cmp_gt_i32_e64 s0, s1, v12
	v_cndmask_b32_e64 v10, 0, 1, s8
	s_delay_alu instid0(VALU_DEP_4) | instskip(NEXT) | instid1(VALU_DEP_4)
	v_and_or_b32 v9, 0x1ff, v7, v9
	v_and_or_b32 v5, 0xffff, v6, v5
	s_delay_alu instid0(VALU_DEP_3) | instskip(NEXT) | instid1(VALU_DEP_3)
	v_lshlrev_b16 v10, 8, v10
	v_cndmask_b32_e64 v7, v7, v9, s0
	v_cmp_gt_i32_e64 s0, s1, v13
	v_cndmask_b32_e64 v9, 0, 1, s16
	v_or_b32_e32 v13, 0x300, v0
	s_delay_alu instid0(VALU_DEP_3)
	v_cndmask_b32_e64 v12, v6, v5, s0
	v_cndmask_b32_e64 v5, 0, 1, s19
	v_bitop3_b16 v6, v11, v10, 0xff bitop3:0xec
	v_lshlrev_b16 v9, 8, v9
	v_cmp_gt_i32_e64 s0, s1, v13
	v_dual_lshrrev_b32 v11, 16, v12 :: v_dual_lshrrev_b32 v10, 16, v7
	v_lshlrev_b16 v5, 8, v5
	s_delay_alu instid0(VALU_DEP_2) | instskip(NEXT) | instid1(VALU_DEP_4)
	v_bitop3_b16 v9, v10, v9, 0xff bitop3:0xec
	v_dual_lshlrev_b32 v10, 16, v6 :: v_dual_cndmask_b32 v6, v3, v8, s0
	s_delay_alu instid0(VALU_DEP_3) | instskip(SKIP_2) | instid1(VALU_DEP_3)
	v_bitop3_b16 v5, v11, v5, 0xff bitop3:0xec
	v_or_b32_e32 v8, 0x700, v0
	v_or_b32_e32 v11, 0xf00, v0
	v_lshlrev_b32_e32 v5, 16, v5
	s_delay_alu instid0(VALU_DEP_3) | instskip(SKIP_4) | instid1(VALU_DEP_3)
	v_cmp_gt_i32_e64 s0, s1, v8
	v_lshlrev_b32_e32 v3, 16, v9
	v_and_or_b32 v9, 0xffff, v4, v10
	v_or_b32_e32 v10, 0xb00, v0
	v_and_or_b32 v13, 0xffff, v12, v5
	v_cndmask_b32_e64 v5, v4, v9, s0
	v_and_or_b32 v3, 0xffff, v7, v3
	s_delay_alu instid0(VALU_DEP_4) | instskip(NEXT) | instid1(VALU_DEP_1)
	v_cmp_gt_i32_e64 s0, s1, v10
	v_cndmask_b32_e64 v4, v7, v3, s0
	v_cmp_gt_i32_e64 s0, s1, v11
	s_delay_alu instid0(VALU_DEP_1)
	v_cndmask_b32_e64 v3, v12, v13, s0
	s_and_saveexec_b32 s0, vcc_lo
	s_cbranch_execnz .LBB91_53
; %bb.36:
	s_or_b32 exec_lo, exec_lo, s0
	s_delay_alu instid0(SALU_CYCLE_1)
	s_mov_b32 s0, exec_lo
	v_cmpx_gt_i32_e64 s1, v0
	s_cbranch_execnz .LBB91_54
.LBB91_37:
	s_or_b32 exec_lo, exec_lo, s0
	s_delay_alu instid0(SALU_CYCLE_1)
	s_mov_b32 s0, exec_lo
	v_cmpx_gt_i32_e64 s1, v0
	s_cbranch_execnz .LBB91_55
.LBB91_38:
	s_or_b32 exec_lo, exec_lo, s0
	s_delay_alu instid0(SALU_CYCLE_1)
	s_mov_b32 s0, exec_lo
	v_cmpx_gt_i32_e64 s1, v0
	s_cbranch_execnz .LBB91_56
.LBB91_39:
	s_or_b32 exec_lo, exec_lo, s0
	s_delay_alu instid0(SALU_CYCLE_1)
	s_mov_b32 s0, exec_lo
	v_cmpx_gt_i32_e64 s1, v0
	s_cbranch_execnz .LBB91_57
.LBB91_40:
	s_or_b32 exec_lo, exec_lo, s0
	s_delay_alu instid0(SALU_CYCLE_1)
	s_mov_b32 s0, exec_lo
	v_cmpx_gt_i32_e64 s1, v0
	s_cbranch_execnz .LBB91_58
.LBB91_41:
	s_or_b32 exec_lo, exec_lo, s0
	s_delay_alu instid0(SALU_CYCLE_1)
	s_mov_b32 s0, exec_lo
	v_cmpx_gt_i32_e64 s1, v0
	s_cbranch_execnz .LBB91_59
.LBB91_42:
	s_or_b32 exec_lo, exec_lo, s0
	s_delay_alu instid0(SALU_CYCLE_1)
	s_mov_b32 s0, exec_lo
	v_cmpx_gt_i32_e64 s1, v0
	s_cbranch_execnz .LBB91_60
.LBB91_43:
	s_or_b32 exec_lo, exec_lo, s0
	s_delay_alu instid0(SALU_CYCLE_1)
	s_mov_b32 s0, exec_lo
	v_cmpx_gt_i32_e64 s1, v0
	s_cbranch_execnz .LBB91_61
.LBB91_44:
	s_or_b32 exec_lo, exec_lo, s0
	s_delay_alu instid0(SALU_CYCLE_1)
	s_mov_b32 s0, exec_lo
	v_cmpx_gt_i32_e64 s1, v0
	s_cbranch_execnz .LBB91_62
.LBB91_45:
	s_or_b32 exec_lo, exec_lo, s0
	s_delay_alu instid0(SALU_CYCLE_1)
	s_mov_b32 s0, exec_lo
	v_cmpx_gt_i32_e64 s1, v0
	s_cbranch_execnz .LBB91_63
.LBB91_46:
	s_or_b32 exec_lo, exec_lo, s0
	s_delay_alu instid0(SALU_CYCLE_1)
	s_mov_b32 s0, exec_lo
	v_cmpx_gt_i32_e64 s1, v0
	s_cbranch_execnz .LBB91_64
.LBB91_47:
	s_or_b32 exec_lo, exec_lo, s0
	s_delay_alu instid0(SALU_CYCLE_1)
	s_mov_b32 s0, exec_lo
	v_cmpx_gt_i32_e64 s1, v0
	s_cbranch_execnz .LBB91_65
.LBB91_48:
	s_or_b32 exec_lo, exec_lo, s0
	s_delay_alu instid0(SALU_CYCLE_1)
	s_mov_b32 s0, exec_lo
	v_cmpx_gt_i32_e64 s1, v0
	s_cbranch_execnz .LBB91_66
.LBB91_49:
	s_or_b32 exec_lo, exec_lo, s0
	s_delay_alu instid0(SALU_CYCLE_1)
	s_mov_b32 s0, exec_lo
	v_cmpx_gt_i32_e64 s1, v0
	s_cbranch_execnz .LBB91_67
.LBB91_50:
	s_or_b32 exec_lo, exec_lo, s0
	s_delay_alu instid0(SALU_CYCLE_1)
	s_mov_b32 s0, exec_lo
	v_cmpx_gt_i32_e64 s1, v0
	s_cbranch_execz .LBB91_52
.LBB91_51:
	v_dual_lshrrev_b32 v1, 24, v3 :: v_dual_add_nc_u32 v0, s2, v0
	global_store_b8 v0, v1, s[4:5]
.LBB91_52:
	s_endpgm
.LBB91_53:
	v_mov_b32_e32 v0, v2
	global_store_b8 v1, v6, s[4:5]
	s_wait_xcnt 0x0
	s_or_b32 exec_lo, exec_lo, s0
	s_delay_alu instid0(SALU_CYCLE_1)
	s_mov_b32 s0, exec_lo
	v_cmpx_gt_i32_e64 s1, v0
	s_cbranch_execz .LBB91_37
.LBB91_54:
	v_dual_lshrrev_b32 v1, 8, v6 :: v_dual_add_nc_u32 v2, s2, v0
	v_add_nc_u32_e32 v0, 0x100, v0
	global_store_b8 v2, v1, s[4:5]
	s_wait_xcnt 0x0
	s_or_b32 exec_lo, exec_lo, s0
	s_delay_alu instid0(SALU_CYCLE_1)
	s_mov_b32 s0, exec_lo
	v_cmpx_gt_i32_e64 s1, v0
	s_cbranch_execz .LBB91_38
.LBB91_55:
	v_add_nc_u32_e32 v1, s2, v0
	v_add_nc_u32_e32 v0, 0x100, v0
	global_store_d16_hi_b8 v1, v6, s[4:5]
	s_wait_xcnt 0x0
	s_or_b32 exec_lo, exec_lo, s0
	s_delay_alu instid0(SALU_CYCLE_1)
	s_mov_b32 s0, exec_lo
	v_cmpx_gt_i32_e64 s1, v0
	s_cbranch_execz .LBB91_39
.LBB91_56:
	v_dual_lshrrev_b32 v1, 24, v6 :: v_dual_add_nc_u32 v2, s2, v0
	v_add_nc_u32_e32 v0, 0x100, v0
	global_store_b8 v2, v1, s[4:5]
	s_wait_xcnt 0x0
	s_or_b32 exec_lo, exec_lo, s0
	s_delay_alu instid0(SALU_CYCLE_1)
	s_mov_b32 s0, exec_lo
	v_cmpx_gt_i32_e64 s1, v0
	s_cbranch_execz .LBB91_40
.LBB91_57:
	v_add_nc_u32_e32 v1, s2, v0
	v_add_nc_u32_e32 v0, 0x100, v0
	global_store_b8 v1, v5, s[4:5]
	s_wait_xcnt 0x0
	s_or_b32 exec_lo, exec_lo, s0
	s_delay_alu instid0(SALU_CYCLE_1)
	s_mov_b32 s0, exec_lo
	v_cmpx_gt_i32_e64 s1, v0
	s_cbranch_execz .LBB91_41
.LBB91_58:
	v_dual_lshrrev_b32 v1, 8, v5 :: v_dual_add_nc_u32 v2, s2, v0
	v_add_nc_u32_e32 v0, 0x100, v0
	global_store_b8 v2, v1, s[4:5]
	s_wait_xcnt 0x0
	s_or_b32 exec_lo, exec_lo, s0
	s_delay_alu instid0(SALU_CYCLE_1)
	s_mov_b32 s0, exec_lo
	v_cmpx_gt_i32_e64 s1, v0
	s_cbranch_execz .LBB91_42
.LBB91_59:
	v_add_nc_u32_e32 v1, s2, v0
	v_add_nc_u32_e32 v0, 0x100, v0
	global_store_d16_hi_b8 v1, v5, s[4:5]
	s_wait_xcnt 0x0
	s_or_b32 exec_lo, exec_lo, s0
	s_delay_alu instid0(SALU_CYCLE_1)
	s_mov_b32 s0, exec_lo
	v_cmpx_gt_i32_e64 s1, v0
	s_cbranch_execz .LBB91_43
.LBB91_60:
	v_dual_lshrrev_b32 v1, 24, v5 :: v_dual_add_nc_u32 v2, s2, v0
	v_add_nc_u32_e32 v0, 0x100, v0
	global_store_b8 v2, v1, s[4:5]
	s_wait_xcnt 0x0
	s_or_b32 exec_lo, exec_lo, s0
	s_delay_alu instid0(SALU_CYCLE_1)
	s_mov_b32 s0, exec_lo
	v_cmpx_gt_i32_e64 s1, v0
	s_cbranch_execz .LBB91_44
.LBB91_61:
	v_add_nc_u32_e32 v1, s2, v0
	v_add_nc_u32_e32 v0, 0x100, v0
	global_store_b8 v1, v4, s[4:5]
	s_wait_xcnt 0x0
	s_or_b32 exec_lo, exec_lo, s0
	s_delay_alu instid0(SALU_CYCLE_1)
	s_mov_b32 s0, exec_lo
	v_cmpx_gt_i32_e64 s1, v0
	s_cbranch_execz .LBB91_45
.LBB91_62:
	v_lshrrev_b32_e32 v1, 8, v4
	v_add_nc_u32_e32 v2, s2, v0
	v_add_nc_u32_e32 v0, 0x100, v0
	global_store_b8 v2, v1, s[4:5]
	s_wait_xcnt 0x0
	s_or_b32 exec_lo, exec_lo, s0
	s_delay_alu instid0(SALU_CYCLE_1)
	s_mov_b32 s0, exec_lo
	v_cmpx_gt_i32_e64 s1, v0
	s_cbranch_execz .LBB91_46
.LBB91_63:
	v_add_nc_u32_e32 v1, s2, v0
	v_add_nc_u32_e32 v0, 0x100, v0
	global_store_d16_hi_b8 v1, v4, s[4:5]
	s_wait_xcnt 0x0
	s_or_b32 exec_lo, exec_lo, s0
	s_delay_alu instid0(SALU_CYCLE_1)
	s_mov_b32 s0, exec_lo
	v_cmpx_gt_i32_e64 s1, v0
	s_cbranch_execz .LBB91_47
.LBB91_64:
	v_lshrrev_b32_e32 v1, 24, v4
	v_add_nc_u32_e32 v2, s2, v0
	v_add_nc_u32_e32 v0, 0x100, v0
	global_store_b8 v2, v1, s[4:5]
	s_wait_xcnt 0x0
	s_or_b32 exec_lo, exec_lo, s0
	s_delay_alu instid0(SALU_CYCLE_1)
	s_mov_b32 s0, exec_lo
	v_cmpx_gt_i32_e64 s1, v0
	s_cbranch_execz .LBB91_48
.LBB91_65:
	v_add_nc_u32_e32 v1, s2, v0
	v_add_nc_u32_e32 v0, 0x100, v0
	global_store_b8 v1, v3, s[4:5]
	s_wait_xcnt 0x0
	s_or_b32 exec_lo, exec_lo, s0
	s_delay_alu instid0(SALU_CYCLE_1)
	s_mov_b32 s0, exec_lo
	v_cmpx_gt_i32_e64 s1, v0
	s_cbranch_execz .LBB91_49
.LBB91_66:
	v_dual_lshrrev_b32 v1, 8, v3 :: v_dual_add_nc_u32 v2, s2, v0
	v_add_nc_u32_e32 v0, 0x100, v0
	global_store_b8 v2, v1, s[4:5]
	s_wait_xcnt 0x0
	s_or_b32 exec_lo, exec_lo, s0
	s_delay_alu instid0(SALU_CYCLE_1)
	s_mov_b32 s0, exec_lo
	v_cmpx_gt_i32_e64 s1, v0
	s_cbranch_execz .LBB91_50
.LBB91_67:
	v_add_nc_u32_e32 v1, s2, v0
	v_add_nc_u32_e32 v0, 0x100, v0
	global_store_d16_hi_b8 v1, v3, s[4:5]
	s_wait_xcnt 0x0
	s_or_b32 exec_lo, exec_lo, s0
	s_delay_alu instid0(SALU_CYCLE_1)
	s_mov_b32 s0, exec_lo
	v_cmpx_gt_i32_e64 s1, v0
	s_cbranch_execnz .LBB91_51
	s_branch .LBB91_52
	.section	.rodata,"a",@progbits
	.p2align	6, 0x0
	.amdhsa_kernel _ZN2at6native29vectorized_elementwise_kernelILi2EZZZNS0_12_GLOBAL__N_120isneginf_kernel_implERNS_18TensorIteratorBaseEENKUlvE_clEvENKUlvE2_clEvEUlN3c108BFloat16EE_St5arrayIPcLm2EEEEviT0_T1_
		.amdhsa_group_segment_fixed_size 0
		.amdhsa_private_segment_fixed_size 0
		.amdhsa_kernarg_size 24
		.amdhsa_user_sgpr_count 2
		.amdhsa_user_sgpr_dispatch_ptr 0
		.amdhsa_user_sgpr_queue_ptr 0
		.amdhsa_user_sgpr_kernarg_segment_ptr 1
		.amdhsa_user_sgpr_dispatch_id 0
		.amdhsa_user_sgpr_kernarg_preload_length 0
		.amdhsa_user_sgpr_kernarg_preload_offset 0
		.amdhsa_user_sgpr_private_segment_size 0
		.amdhsa_wavefront_size32 1
		.amdhsa_uses_dynamic_stack 0
		.amdhsa_enable_private_segment 0
		.amdhsa_system_sgpr_workgroup_id_x 1
		.amdhsa_system_sgpr_workgroup_id_y 0
		.amdhsa_system_sgpr_workgroup_id_z 0
		.amdhsa_system_sgpr_workgroup_info 0
		.amdhsa_system_vgpr_workitem_id 0
		.amdhsa_next_free_vgpr 17
		.amdhsa_next_free_sgpr 24
		.amdhsa_named_barrier_count 0
		.amdhsa_reserve_vcc 1
		.amdhsa_float_round_mode_32 0
		.amdhsa_float_round_mode_16_64 0
		.amdhsa_float_denorm_mode_32 3
		.amdhsa_float_denorm_mode_16_64 3
		.amdhsa_fp16_overflow 0
		.amdhsa_memory_ordered 1
		.amdhsa_forward_progress 1
		.amdhsa_inst_pref_size 34
		.amdhsa_round_robin_scheduling 0
		.amdhsa_exception_fp_ieee_invalid_op 0
		.amdhsa_exception_fp_denorm_src 0
		.amdhsa_exception_fp_ieee_div_zero 0
		.amdhsa_exception_fp_ieee_overflow 0
		.amdhsa_exception_fp_ieee_underflow 0
		.amdhsa_exception_fp_ieee_inexact 0
		.amdhsa_exception_int_div_zero 0
	.end_amdhsa_kernel
	.section	.text._ZN2at6native29vectorized_elementwise_kernelILi2EZZZNS0_12_GLOBAL__N_120isneginf_kernel_implERNS_18TensorIteratorBaseEENKUlvE_clEvENKUlvE2_clEvEUlN3c108BFloat16EE_St5arrayIPcLm2EEEEviT0_T1_,"axG",@progbits,_ZN2at6native29vectorized_elementwise_kernelILi2EZZZNS0_12_GLOBAL__N_120isneginf_kernel_implERNS_18TensorIteratorBaseEENKUlvE_clEvENKUlvE2_clEvEUlN3c108BFloat16EE_St5arrayIPcLm2EEEEviT0_T1_,comdat
.Lfunc_end91:
	.size	_ZN2at6native29vectorized_elementwise_kernelILi2EZZZNS0_12_GLOBAL__N_120isneginf_kernel_implERNS_18TensorIteratorBaseEENKUlvE_clEvENKUlvE2_clEvEUlN3c108BFloat16EE_St5arrayIPcLm2EEEEviT0_T1_, .Lfunc_end91-_ZN2at6native29vectorized_elementwise_kernelILi2EZZZNS0_12_GLOBAL__N_120isneginf_kernel_implERNS_18TensorIteratorBaseEENKUlvE_clEvENKUlvE2_clEvEUlN3c108BFloat16EE_St5arrayIPcLm2EEEEviT0_T1_
                                        ; -- End function
	.set _ZN2at6native29vectorized_elementwise_kernelILi2EZZZNS0_12_GLOBAL__N_120isneginf_kernel_implERNS_18TensorIteratorBaseEENKUlvE_clEvENKUlvE2_clEvEUlN3c108BFloat16EE_St5arrayIPcLm2EEEEviT0_T1_.num_vgpr, 17
	.set _ZN2at6native29vectorized_elementwise_kernelILi2EZZZNS0_12_GLOBAL__N_120isneginf_kernel_implERNS_18TensorIteratorBaseEENKUlvE_clEvENKUlvE2_clEvEUlN3c108BFloat16EE_St5arrayIPcLm2EEEEviT0_T1_.num_agpr, 0
	.set _ZN2at6native29vectorized_elementwise_kernelILi2EZZZNS0_12_GLOBAL__N_120isneginf_kernel_implERNS_18TensorIteratorBaseEENKUlvE_clEvENKUlvE2_clEvEUlN3c108BFloat16EE_St5arrayIPcLm2EEEEviT0_T1_.numbered_sgpr, 24
	.set _ZN2at6native29vectorized_elementwise_kernelILi2EZZZNS0_12_GLOBAL__N_120isneginf_kernel_implERNS_18TensorIteratorBaseEENKUlvE_clEvENKUlvE2_clEvEUlN3c108BFloat16EE_St5arrayIPcLm2EEEEviT0_T1_.num_named_barrier, 0
	.set _ZN2at6native29vectorized_elementwise_kernelILi2EZZZNS0_12_GLOBAL__N_120isneginf_kernel_implERNS_18TensorIteratorBaseEENKUlvE_clEvENKUlvE2_clEvEUlN3c108BFloat16EE_St5arrayIPcLm2EEEEviT0_T1_.private_seg_size, 0
	.set _ZN2at6native29vectorized_elementwise_kernelILi2EZZZNS0_12_GLOBAL__N_120isneginf_kernel_implERNS_18TensorIteratorBaseEENKUlvE_clEvENKUlvE2_clEvEUlN3c108BFloat16EE_St5arrayIPcLm2EEEEviT0_T1_.uses_vcc, 1
	.set _ZN2at6native29vectorized_elementwise_kernelILi2EZZZNS0_12_GLOBAL__N_120isneginf_kernel_implERNS_18TensorIteratorBaseEENKUlvE_clEvENKUlvE2_clEvEUlN3c108BFloat16EE_St5arrayIPcLm2EEEEviT0_T1_.uses_flat_scratch, 0
	.set _ZN2at6native29vectorized_elementwise_kernelILi2EZZZNS0_12_GLOBAL__N_120isneginf_kernel_implERNS_18TensorIteratorBaseEENKUlvE_clEvENKUlvE2_clEvEUlN3c108BFloat16EE_St5arrayIPcLm2EEEEviT0_T1_.has_dyn_sized_stack, 0
	.set _ZN2at6native29vectorized_elementwise_kernelILi2EZZZNS0_12_GLOBAL__N_120isneginf_kernel_implERNS_18TensorIteratorBaseEENKUlvE_clEvENKUlvE2_clEvEUlN3c108BFloat16EE_St5arrayIPcLm2EEEEviT0_T1_.has_recursion, 0
	.set _ZN2at6native29vectorized_elementwise_kernelILi2EZZZNS0_12_GLOBAL__N_120isneginf_kernel_implERNS_18TensorIteratorBaseEENKUlvE_clEvENKUlvE2_clEvEUlN3c108BFloat16EE_St5arrayIPcLm2EEEEviT0_T1_.has_indirect_call, 0
	.section	.AMDGPU.csdata,"",@progbits
; Kernel info:
; codeLenInByte = 4252
; TotalNumSgprs: 26
; NumVgprs: 17
; ScratchSize: 0
; MemoryBound: 0
; FloatMode: 240
; IeeeMode: 1
; LDSByteSize: 0 bytes/workgroup (compile time only)
; SGPRBlocks: 0
; VGPRBlocks: 1
; NumSGPRsForWavesPerEU: 26
; NumVGPRsForWavesPerEU: 17
; NamedBarCnt: 0
; Occupancy: 16
; WaveLimiterHint : 1
; COMPUTE_PGM_RSRC2:SCRATCH_EN: 0
; COMPUTE_PGM_RSRC2:USER_SGPR: 2
; COMPUTE_PGM_RSRC2:TRAP_HANDLER: 0
; COMPUTE_PGM_RSRC2:TGID_X_EN: 1
; COMPUTE_PGM_RSRC2:TGID_Y_EN: 0
; COMPUTE_PGM_RSRC2:TGID_Z_EN: 0
; COMPUTE_PGM_RSRC2:TIDIG_COMP_CNT: 0
	.section	.text._ZN2at6native27unrolled_elementwise_kernelIZZZNS0_12_GLOBAL__N_120isneginf_kernel_implERNS_18TensorIteratorBaseEENKUlvE_clEvENKUlvE2_clEvEUlN3c108BFloat16EE_St5arrayIPcLm2EELi4E23TrivialOffsetCalculatorILi1EjESE_NS0_6memory15LoadWithoutCastENSF_16StoreWithoutCastEEEviT_T0_T2_T3_T4_T5_,"axG",@progbits,_ZN2at6native27unrolled_elementwise_kernelIZZZNS0_12_GLOBAL__N_120isneginf_kernel_implERNS_18TensorIteratorBaseEENKUlvE_clEvENKUlvE2_clEvEUlN3c108BFloat16EE_St5arrayIPcLm2EELi4E23TrivialOffsetCalculatorILi1EjESE_NS0_6memory15LoadWithoutCastENSF_16StoreWithoutCastEEEviT_T0_T2_T3_T4_T5_,comdat
	.globl	_ZN2at6native27unrolled_elementwise_kernelIZZZNS0_12_GLOBAL__N_120isneginf_kernel_implERNS_18TensorIteratorBaseEENKUlvE_clEvENKUlvE2_clEvEUlN3c108BFloat16EE_St5arrayIPcLm2EELi4E23TrivialOffsetCalculatorILi1EjESE_NS0_6memory15LoadWithoutCastENSF_16StoreWithoutCastEEEviT_T0_T2_T3_T4_T5_ ; -- Begin function _ZN2at6native27unrolled_elementwise_kernelIZZZNS0_12_GLOBAL__N_120isneginf_kernel_implERNS_18TensorIteratorBaseEENKUlvE_clEvENKUlvE2_clEvEUlN3c108BFloat16EE_St5arrayIPcLm2EELi4E23TrivialOffsetCalculatorILi1EjESE_NS0_6memory15LoadWithoutCastENSF_16StoreWithoutCastEEEviT_T0_T2_T3_T4_T5_
	.p2align	8
	.type	_ZN2at6native27unrolled_elementwise_kernelIZZZNS0_12_GLOBAL__N_120isneginf_kernel_implERNS_18TensorIteratorBaseEENKUlvE_clEvENKUlvE2_clEvEUlN3c108BFloat16EE_St5arrayIPcLm2EELi4E23TrivialOffsetCalculatorILi1EjESE_NS0_6memory15LoadWithoutCastENSF_16StoreWithoutCastEEEviT_T0_T2_T3_T4_T5_,@function
_ZN2at6native27unrolled_elementwise_kernelIZZZNS0_12_GLOBAL__N_120isneginf_kernel_implERNS_18TensorIteratorBaseEENKUlvE_clEvENKUlvE2_clEvEUlN3c108BFloat16EE_St5arrayIPcLm2EELi4E23TrivialOffsetCalculatorILi1EjESE_NS0_6memory15LoadWithoutCastENSF_16StoreWithoutCastEEEviT_T0_T2_T3_T4_T5_: ; @_ZN2at6native27unrolled_elementwise_kernelIZZZNS0_12_GLOBAL__N_120isneginf_kernel_implERNS_18TensorIteratorBaseEENKUlvE_clEvENKUlvE2_clEvEUlN3c108BFloat16EE_St5arrayIPcLm2EELi4E23TrivialOffsetCalculatorILi1EjESE_NS0_6memory15LoadWithoutCastENSF_16StoreWithoutCastEEEviT_T0_T2_T3_T4_T5_
; %bb.0:
	s_clause 0x1
	s_load_b32 s2, s[0:1], 0x0
	s_load_b128 s[4:7], s[0:1], 0x8
	s_bfe_u32 s3, ttmp6, 0x4000c
	s_wait_xcnt 0x0
	s_and_b32 s0, ttmp6, 15
	s_add_co_i32 s3, s3, 1
	v_or_b32_e32 v1, 0x100, v0
	s_mul_i32 s1, ttmp9, s3
	s_getreg_b32 s3, hwreg(HW_REG_IB_STS2, 6, 4)
	s_add_co_i32 s0, s0, s1
	s_cmp_eq_u32 s3, 0
	s_mov_b32 s3, 0
	s_cselect_b32 s0, ttmp9, s0
	s_mov_b32 s8, 0
	s_lshl_b32 s1, s0, 10
	s_delay_alu instid0(SALU_CYCLE_1) | instskip(SKIP_2) | instid1(SALU_CYCLE_1)
	v_dual_mov_b32 v3, v0 :: v_dual_bitop2_b32 v2, s1, v0 bitop3:0x54
	s_wait_kmcnt 0x0
	s_sub_co_i32 s2, s2, s1
	v_cmp_gt_i32_e32 vcc_lo, s2, v0
	s_and_saveexec_b32 s9, vcc_lo
	s_cbranch_execz .LBB92_2
; %bb.1:
	global_load_u16 v3, v2, s[6:7] scale_offset
	s_wait_loadcnt 0x0
	v_lshlrev_b32_e32 v3, 16, v3
	s_delay_alu instid0(VALU_DEP_1)
	v_cmp_eq_f32_e64 s0, 0xff800000, v3
	v_or_b32_e32 v3, 0x100, v0
	s_and_b32 s8, s0, exec_lo
.LBB92_2:
	s_or_b32 exec_lo, exec_lo, s9
	s_delay_alu instid0(SALU_CYCLE_1) | instskip(NEXT) | instid1(VALU_DEP_1)
	s_mov_b32 s9, exec_lo
	v_cmpx_gt_i32_e64 s2, v3
	s_cbranch_execz .LBB92_4
; %bb.3:
	v_add_nc_u32_e32 v4, s1, v3
	v_add_nc_u32_e32 v3, 0x100, v3
	global_load_u16 v4, v4, s[6:7] scale_offset
	s_wait_loadcnt 0x0
	v_lshlrev_b32_e32 v4, 16, v4
	s_delay_alu instid0(VALU_DEP_1)
	v_cmp_eq_f32_e64 s0, 0xff800000, v4
	s_and_b32 s3, s0, exec_lo
.LBB92_4:
	s_or_b32 exec_lo, exec_lo, s9
	s_mov_b32 s9, 0
	s_mov_b32 s10, 0
	s_mov_b32 s11, exec_lo
	v_cmpx_gt_i32_e64 s2, v3
	s_cbranch_execz .LBB92_6
; %bb.5:
	v_add_nc_u32_e32 v4, s1, v3
	v_add_nc_u32_e32 v3, 0x100, v3
	global_load_u16 v4, v4, s[6:7] scale_offset
	s_wait_loadcnt 0x0
	v_lshlrev_b32_e32 v4, 16, v4
	s_delay_alu instid0(VALU_DEP_1)
	v_cmp_eq_f32_e64 s0, 0xff800000, v4
	s_and_b32 s10, s0, exec_lo
.LBB92_6:
	s_or_b32 exec_lo, exec_lo, s11
	s_delay_alu instid0(SALU_CYCLE_1)
	s_mov_b32 s11, exec_lo
	v_cmpx_gt_i32_e64 s2, v3
	s_cbranch_execz .LBB92_8
; %bb.7:
	v_add_nc_u32_e32 v3, s1, v3
	global_load_u16 v3, v3, s[6:7] scale_offset
	s_wait_loadcnt 0x0
	v_lshlrev_b32_e32 v3, 16, v3
	s_delay_alu instid0(VALU_DEP_1)
	v_cmp_eq_f32_e64 s0, 0xff800000, v3
	s_and_b32 s9, s0, exec_lo
.LBB92_8:
	s_or_b32 exec_lo, exec_lo, s11
	v_cndmask_b32_e64 v3, 0, 1, s8
	v_cndmask_b32_e64 v4, 0, 1, s3
	;; [unrolled: 1-line block ×3, first 2 shown]
	v_cmp_gt_i32_e64 s0, s2, v1
	s_delay_alu instid0(VALU_DEP_4) | instskip(NEXT) | instid1(VALU_DEP_4)
	v_cndmask_b32_e32 v3, 0, v3, vcc_lo
	v_lshlrev_b16 v4, 8, v4
	s_delay_alu instid0(VALU_DEP_1) | instskip(NEXT) | instid1(VALU_DEP_1)
	v_dual_lshlrev_b32 v5, 16, v5 :: v_dual_bitop2_b32 v4, v3, v4 bitop3:0x54
	v_and_b32_e32 v4, 0xffff, v4
	s_delay_alu instid0(VALU_DEP_1) | instskip(SKIP_1) | instid1(VALU_DEP_2)
	v_cndmask_b32_e64 v3, v3, v4, s0
	v_or_b32_e32 v4, 0x200, v0
	v_or_b32_e32 v5, v3, v5
	s_delay_alu instid0(VALU_DEP_2) | instskip(SKIP_1) | instid1(VALU_DEP_2)
	v_cmp_gt_i32_e64 s0, s2, v4
	v_cndmask_b32_e64 v4, 0, 1, s9
	v_cndmask_b32_e64 v3, v3, v5, s0
	s_delay_alu instid0(VALU_DEP_2) | instskip(NEXT) | instid1(VALU_DEP_2)
	v_lshlrev_b16 v4, 8, v4
	v_lshrrev_b32_e32 v5, 16, v3
	s_delay_alu instid0(VALU_DEP_1) | instskip(SKIP_1) | instid1(VALU_DEP_2)
	v_bitop3_b16 v4, v5, v4, 0xff bitop3:0xec
	v_or_b32_e32 v5, 0x300, v0
	v_lshlrev_b32_e32 v4, 16, v4
	s_delay_alu instid0(VALU_DEP_2) | instskip(NEXT) | instid1(VALU_DEP_2)
	v_cmp_gt_i32_e64 s0, s2, v5
	v_and_or_b32 v4, 0xffff, v3, v4
	s_delay_alu instid0(VALU_DEP_1)
	v_cndmask_b32_e64 v3, v3, v4, s0
	s_and_saveexec_b32 s0, vcc_lo
	s_cbranch_execnz .LBB92_13
; %bb.9:
	s_or_b32 exec_lo, exec_lo, s0
	s_delay_alu instid0(SALU_CYCLE_1)
	s_mov_b32 s0, exec_lo
	v_cmpx_gt_i32_e64 s2, v0
	s_cbranch_execnz .LBB92_14
.LBB92_10:
	s_or_b32 exec_lo, exec_lo, s0
	s_delay_alu instid0(SALU_CYCLE_1)
	s_mov_b32 s0, exec_lo
	v_cmpx_gt_i32_e64 s2, v0
	s_cbranch_execnz .LBB92_15
.LBB92_11:
	s_or_b32 exec_lo, exec_lo, s0
	s_delay_alu instid0(SALU_CYCLE_1)
	s_mov_b32 s0, exec_lo
	v_cmpx_gt_i32_e64 s2, v0
	s_cbranch_execnz .LBB92_16
.LBB92_12:
	s_endpgm
.LBB92_13:
	v_mov_b32_e32 v0, v1
	global_store_b8 v2, v3, s[4:5]
	s_wait_xcnt 0x0
	s_or_b32 exec_lo, exec_lo, s0
	s_delay_alu instid0(SALU_CYCLE_1)
	s_mov_b32 s0, exec_lo
	v_cmpx_gt_i32_e64 s2, v0
	s_cbranch_execz .LBB92_10
.LBB92_14:
	v_add_nc_u32_e32 v1, 0x100, v0
	v_dual_add_nc_u32 v2, s1, v0 :: v_dual_lshrrev_b32 v4, 8, v3
	s_delay_alu instid0(VALU_DEP_2) | instskip(SKIP_3) | instid1(SALU_CYCLE_1)
	v_mov_b32_e32 v0, v1
	global_store_b8 v2, v4, s[4:5]
	s_wait_xcnt 0x0
	s_or_b32 exec_lo, exec_lo, s0
	s_mov_b32 s0, exec_lo
	v_cmpx_gt_i32_e64 s2, v0
	s_cbranch_execz .LBB92_11
.LBB92_15:
	v_add_nc_u32_e32 v1, 0x100, v0
	s_delay_alu instid0(VALU_DEP_1) | instskip(SKIP_3) | instid1(SALU_CYCLE_1)
	v_dual_add_nc_u32 v2, s1, v0 :: v_dual_mov_b32 v0, v1
	global_store_d16_hi_b8 v2, v3, s[4:5]
	s_wait_xcnt 0x0
	s_or_b32 exec_lo, exec_lo, s0
	s_mov_b32 s0, exec_lo
	v_cmpx_gt_i32_e64 s2, v0
	s_cbranch_execz .LBB92_12
.LBB92_16:
	v_dual_add_nc_u32 v0, s1, v0 :: v_dual_lshrrev_b32 v1, 24, v3
	global_store_b8 v0, v1, s[4:5]
	s_endpgm
	.section	.rodata,"a",@progbits
	.p2align	6, 0x0
	.amdhsa_kernel _ZN2at6native27unrolled_elementwise_kernelIZZZNS0_12_GLOBAL__N_120isneginf_kernel_implERNS_18TensorIteratorBaseEENKUlvE_clEvENKUlvE2_clEvEUlN3c108BFloat16EE_St5arrayIPcLm2EELi4E23TrivialOffsetCalculatorILi1EjESE_NS0_6memory15LoadWithoutCastENSF_16StoreWithoutCastEEEviT_T0_T2_T3_T4_T5_
		.amdhsa_group_segment_fixed_size 0
		.amdhsa_private_segment_fixed_size 0
		.amdhsa_kernarg_size 28
		.amdhsa_user_sgpr_count 2
		.amdhsa_user_sgpr_dispatch_ptr 0
		.amdhsa_user_sgpr_queue_ptr 0
		.amdhsa_user_sgpr_kernarg_segment_ptr 1
		.amdhsa_user_sgpr_dispatch_id 0
		.amdhsa_user_sgpr_kernarg_preload_length 0
		.amdhsa_user_sgpr_kernarg_preload_offset 0
		.amdhsa_user_sgpr_private_segment_size 0
		.amdhsa_wavefront_size32 1
		.amdhsa_uses_dynamic_stack 0
		.amdhsa_enable_private_segment 0
		.amdhsa_system_sgpr_workgroup_id_x 1
		.amdhsa_system_sgpr_workgroup_id_y 0
		.amdhsa_system_sgpr_workgroup_id_z 0
		.amdhsa_system_sgpr_workgroup_info 0
		.amdhsa_system_vgpr_workitem_id 0
		.amdhsa_next_free_vgpr 6
		.amdhsa_next_free_sgpr 12
		.amdhsa_named_barrier_count 0
		.amdhsa_reserve_vcc 1
		.amdhsa_float_round_mode_32 0
		.amdhsa_float_round_mode_16_64 0
		.amdhsa_float_denorm_mode_32 3
		.amdhsa_float_denorm_mode_16_64 3
		.amdhsa_fp16_overflow 0
		.amdhsa_memory_ordered 1
		.amdhsa_forward_progress 1
		.amdhsa_inst_pref_size 7
		.amdhsa_round_robin_scheduling 0
		.amdhsa_exception_fp_ieee_invalid_op 0
		.amdhsa_exception_fp_denorm_src 0
		.amdhsa_exception_fp_ieee_div_zero 0
		.amdhsa_exception_fp_ieee_overflow 0
		.amdhsa_exception_fp_ieee_underflow 0
		.amdhsa_exception_fp_ieee_inexact 0
		.amdhsa_exception_int_div_zero 0
	.end_amdhsa_kernel
	.section	.text._ZN2at6native27unrolled_elementwise_kernelIZZZNS0_12_GLOBAL__N_120isneginf_kernel_implERNS_18TensorIteratorBaseEENKUlvE_clEvENKUlvE2_clEvEUlN3c108BFloat16EE_St5arrayIPcLm2EELi4E23TrivialOffsetCalculatorILi1EjESE_NS0_6memory15LoadWithoutCastENSF_16StoreWithoutCastEEEviT_T0_T2_T3_T4_T5_,"axG",@progbits,_ZN2at6native27unrolled_elementwise_kernelIZZZNS0_12_GLOBAL__N_120isneginf_kernel_implERNS_18TensorIteratorBaseEENKUlvE_clEvENKUlvE2_clEvEUlN3c108BFloat16EE_St5arrayIPcLm2EELi4E23TrivialOffsetCalculatorILi1EjESE_NS0_6memory15LoadWithoutCastENSF_16StoreWithoutCastEEEviT_T0_T2_T3_T4_T5_,comdat
.Lfunc_end92:
	.size	_ZN2at6native27unrolled_elementwise_kernelIZZZNS0_12_GLOBAL__N_120isneginf_kernel_implERNS_18TensorIteratorBaseEENKUlvE_clEvENKUlvE2_clEvEUlN3c108BFloat16EE_St5arrayIPcLm2EELi4E23TrivialOffsetCalculatorILi1EjESE_NS0_6memory15LoadWithoutCastENSF_16StoreWithoutCastEEEviT_T0_T2_T3_T4_T5_, .Lfunc_end92-_ZN2at6native27unrolled_elementwise_kernelIZZZNS0_12_GLOBAL__N_120isneginf_kernel_implERNS_18TensorIteratorBaseEENKUlvE_clEvENKUlvE2_clEvEUlN3c108BFloat16EE_St5arrayIPcLm2EELi4E23TrivialOffsetCalculatorILi1EjESE_NS0_6memory15LoadWithoutCastENSF_16StoreWithoutCastEEEviT_T0_T2_T3_T4_T5_
                                        ; -- End function
	.set _ZN2at6native27unrolled_elementwise_kernelIZZZNS0_12_GLOBAL__N_120isneginf_kernel_implERNS_18TensorIteratorBaseEENKUlvE_clEvENKUlvE2_clEvEUlN3c108BFloat16EE_St5arrayIPcLm2EELi4E23TrivialOffsetCalculatorILi1EjESE_NS0_6memory15LoadWithoutCastENSF_16StoreWithoutCastEEEviT_T0_T2_T3_T4_T5_.num_vgpr, 6
	.set _ZN2at6native27unrolled_elementwise_kernelIZZZNS0_12_GLOBAL__N_120isneginf_kernel_implERNS_18TensorIteratorBaseEENKUlvE_clEvENKUlvE2_clEvEUlN3c108BFloat16EE_St5arrayIPcLm2EELi4E23TrivialOffsetCalculatorILi1EjESE_NS0_6memory15LoadWithoutCastENSF_16StoreWithoutCastEEEviT_T0_T2_T3_T4_T5_.num_agpr, 0
	.set _ZN2at6native27unrolled_elementwise_kernelIZZZNS0_12_GLOBAL__N_120isneginf_kernel_implERNS_18TensorIteratorBaseEENKUlvE_clEvENKUlvE2_clEvEUlN3c108BFloat16EE_St5arrayIPcLm2EELi4E23TrivialOffsetCalculatorILi1EjESE_NS0_6memory15LoadWithoutCastENSF_16StoreWithoutCastEEEviT_T0_T2_T3_T4_T5_.numbered_sgpr, 12
	.set _ZN2at6native27unrolled_elementwise_kernelIZZZNS0_12_GLOBAL__N_120isneginf_kernel_implERNS_18TensorIteratorBaseEENKUlvE_clEvENKUlvE2_clEvEUlN3c108BFloat16EE_St5arrayIPcLm2EELi4E23TrivialOffsetCalculatorILi1EjESE_NS0_6memory15LoadWithoutCastENSF_16StoreWithoutCastEEEviT_T0_T2_T3_T4_T5_.num_named_barrier, 0
	.set _ZN2at6native27unrolled_elementwise_kernelIZZZNS0_12_GLOBAL__N_120isneginf_kernel_implERNS_18TensorIteratorBaseEENKUlvE_clEvENKUlvE2_clEvEUlN3c108BFloat16EE_St5arrayIPcLm2EELi4E23TrivialOffsetCalculatorILi1EjESE_NS0_6memory15LoadWithoutCastENSF_16StoreWithoutCastEEEviT_T0_T2_T3_T4_T5_.private_seg_size, 0
	.set _ZN2at6native27unrolled_elementwise_kernelIZZZNS0_12_GLOBAL__N_120isneginf_kernel_implERNS_18TensorIteratorBaseEENKUlvE_clEvENKUlvE2_clEvEUlN3c108BFloat16EE_St5arrayIPcLm2EELi4E23TrivialOffsetCalculatorILi1EjESE_NS0_6memory15LoadWithoutCastENSF_16StoreWithoutCastEEEviT_T0_T2_T3_T4_T5_.uses_vcc, 1
	.set _ZN2at6native27unrolled_elementwise_kernelIZZZNS0_12_GLOBAL__N_120isneginf_kernel_implERNS_18TensorIteratorBaseEENKUlvE_clEvENKUlvE2_clEvEUlN3c108BFloat16EE_St5arrayIPcLm2EELi4E23TrivialOffsetCalculatorILi1EjESE_NS0_6memory15LoadWithoutCastENSF_16StoreWithoutCastEEEviT_T0_T2_T3_T4_T5_.uses_flat_scratch, 0
	.set _ZN2at6native27unrolled_elementwise_kernelIZZZNS0_12_GLOBAL__N_120isneginf_kernel_implERNS_18TensorIteratorBaseEENKUlvE_clEvENKUlvE2_clEvEUlN3c108BFloat16EE_St5arrayIPcLm2EELi4E23TrivialOffsetCalculatorILi1EjESE_NS0_6memory15LoadWithoutCastENSF_16StoreWithoutCastEEEviT_T0_T2_T3_T4_T5_.has_dyn_sized_stack, 0
	.set _ZN2at6native27unrolled_elementwise_kernelIZZZNS0_12_GLOBAL__N_120isneginf_kernel_implERNS_18TensorIteratorBaseEENKUlvE_clEvENKUlvE2_clEvEUlN3c108BFloat16EE_St5arrayIPcLm2EELi4E23TrivialOffsetCalculatorILi1EjESE_NS0_6memory15LoadWithoutCastENSF_16StoreWithoutCastEEEviT_T0_T2_T3_T4_T5_.has_recursion, 0
	.set _ZN2at6native27unrolled_elementwise_kernelIZZZNS0_12_GLOBAL__N_120isneginf_kernel_implERNS_18TensorIteratorBaseEENKUlvE_clEvENKUlvE2_clEvEUlN3c108BFloat16EE_St5arrayIPcLm2EELi4E23TrivialOffsetCalculatorILi1EjESE_NS0_6memory15LoadWithoutCastENSF_16StoreWithoutCastEEEviT_T0_T2_T3_T4_T5_.has_indirect_call, 0
	.section	.AMDGPU.csdata,"",@progbits
; Kernel info:
; codeLenInByte = 876
; TotalNumSgprs: 14
; NumVgprs: 6
; ScratchSize: 0
; MemoryBound: 0
; FloatMode: 240
; IeeeMode: 1
; LDSByteSize: 0 bytes/workgroup (compile time only)
; SGPRBlocks: 0
; VGPRBlocks: 0
; NumSGPRsForWavesPerEU: 14
; NumVGPRsForWavesPerEU: 6
; NamedBarCnt: 0
; Occupancy: 16
; WaveLimiterHint : 0
; COMPUTE_PGM_RSRC2:SCRATCH_EN: 0
; COMPUTE_PGM_RSRC2:USER_SGPR: 2
; COMPUTE_PGM_RSRC2:TRAP_HANDLER: 0
; COMPUTE_PGM_RSRC2:TGID_X_EN: 1
; COMPUTE_PGM_RSRC2:TGID_Y_EN: 0
; COMPUTE_PGM_RSRC2:TGID_Z_EN: 0
; COMPUTE_PGM_RSRC2:TIDIG_COMP_CNT: 0
	.section	.text._ZN2at6native32elementwise_kernel_manual_unrollILi128ELi8EZNS0_22gpu_kernel_impl_nocastIZZZNS0_12_GLOBAL__N_120isneginf_kernel_implERNS_18TensorIteratorBaseEENKUlvE_clEvENKUlvE2_clEvEUlN3c108BFloat16EE_EEvS5_RKT_EUlibE_EEviT1_,"axG",@progbits,_ZN2at6native32elementwise_kernel_manual_unrollILi128ELi8EZNS0_22gpu_kernel_impl_nocastIZZZNS0_12_GLOBAL__N_120isneginf_kernel_implERNS_18TensorIteratorBaseEENKUlvE_clEvENKUlvE2_clEvEUlN3c108BFloat16EE_EEvS5_RKT_EUlibE_EEviT1_,comdat
	.globl	_ZN2at6native32elementwise_kernel_manual_unrollILi128ELi8EZNS0_22gpu_kernel_impl_nocastIZZZNS0_12_GLOBAL__N_120isneginf_kernel_implERNS_18TensorIteratorBaseEENKUlvE_clEvENKUlvE2_clEvEUlN3c108BFloat16EE_EEvS5_RKT_EUlibE_EEviT1_ ; -- Begin function _ZN2at6native32elementwise_kernel_manual_unrollILi128ELi8EZNS0_22gpu_kernel_impl_nocastIZZZNS0_12_GLOBAL__N_120isneginf_kernel_implERNS_18TensorIteratorBaseEENKUlvE_clEvENKUlvE2_clEvEUlN3c108BFloat16EE_EEvS5_RKT_EUlibE_EEviT1_
	.p2align	8
	.type	_ZN2at6native32elementwise_kernel_manual_unrollILi128ELi8EZNS0_22gpu_kernel_impl_nocastIZZZNS0_12_GLOBAL__N_120isneginf_kernel_implERNS_18TensorIteratorBaseEENKUlvE_clEvENKUlvE2_clEvEUlN3c108BFloat16EE_EEvS5_RKT_EUlibE_EEviT1_,@function
_ZN2at6native32elementwise_kernel_manual_unrollILi128ELi8EZNS0_22gpu_kernel_impl_nocastIZZZNS0_12_GLOBAL__N_120isneginf_kernel_implERNS_18TensorIteratorBaseEENKUlvE_clEvENKUlvE2_clEvEUlN3c108BFloat16EE_EEvS5_RKT_EUlibE_EEviT1_: ; @_ZN2at6native32elementwise_kernel_manual_unrollILi128ELi8EZNS0_22gpu_kernel_impl_nocastIZZZNS0_12_GLOBAL__N_120isneginf_kernel_implERNS_18TensorIteratorBaseEENKUlvE_clEvENKUlvE2_clEvEUlN3c108BFloat16EE_EEvS5_RKT_EUlibE_EEviT1_
; %bb.0:
	s_clause 0x1
	s_load_b32 s28, s[0:1], 0x8
	s_load_b32 s34, s[0:1], 0x0
	s_bfe_u32 s2, ttmp6, 0x4000c
	s_and_b32 s3, ttmp6, 15
	s_add_co_i32 s2, s2, 1
	s_getreg_b32 s4, hwreg(HW_REG_IB_STS2, 6, 4)
	s_mul_i32 s2, ttmp9, s2
	s_add_nc_u64 s[12:13], s[0:1], 8
	s_add_co_i32 s3, s3, s2
	s_cmp_eq_u32 s4, 0
	s_mov_b32 s17, 0
	s_cselect_b32 s2, ttmp9, s3
	s_wait_xcnt 0x0
	s_mov_b32 s0, exec_lo
	v_lshl_or_b32 v0, s2, 10, v0
	s_delay_alu instid0(VALU_DEP_1) | instskip(SKIP_2) | instid1(SALU_CYCLE_1)
	v_or_b32_e32 v16, 0x380, v0
	s_wait_kmcnt 0x0
	s_add_co_i32 s29, s28, -1
	s_cmp_gt_u32 s29, 1
	s_cselect_b32 s30, -1, 0
	v_cmpx_le_i32_e64 s34, v16
	s_xor_b32 s31, exec_lo, s0
	s_cbranch_execz .LBB93_7
; %bb.1:
	s_clause 0x3
	s_load_b128 s[4:7], s[12:13], 0x4
	s_load_b64 s[14:15], s[12:13], 0x14
	s_load_b128 s[8:11], s[12:13], 0xc4
	s_load_b128 s[0:3], s[12:13], 0x148
	s_cmp_lg_u32 s28, 0
	s_add_nc_u64 s[20:21], s[12:13], 0xc4
	s_cselect_b32 s36, -1, 0
	s_min_u32 s35, s29, 15
	s_cmp_gt_u32 s28, 1
	s_mov_b32 s19, s17
	s_cselect_b32 s33, -1, 0
	s_wait_kmcnt 0x0
	s_mov_b32 s16, s5
	s_mov_b32 s18, s14
	s_mov_b32 s5, exec_lo
	v_cmpx_gt_i32_e64 s34, v0
	s_cbranch_execz .LBB93_14
; %bb.2:
	s_and_not1_b32 vcc_lo, exec_lo, s30
	s_cbranch_vccnz .LBB93_21
; %bb.3:
	s_and_not1_b32 vcc_lo, exec_lo, s36
	s_cbranch_vccnz .LBB93_129
; %bb.4:
	s_add_co_i32 s14, s35, 1
	s_cmp_eq_u32 s29, 2
	s_cbranch_scc1 .LBB93_131
; %bb.5:
	v_dual_mov_b32 v2, 0 :: v_dual_mov_b32 v3, 0
	v_mov_b32_e32 v1, v0
	s_and_b32 s22, s14, 28
	s_mov_b32 s23, 0
	s_mov_b64 s[24:25], s[12:13]
	s_mov_b64 s[26:27], s[20:21]
.LBB93_6:                               ; =>This Inner Loop Header: Depth=1
	s_clause 0x1
	s_load_b256 s[40:47], s[24:25], 0x4
	s_load_b128 s[56:59], s[24:25], 0x24
	s_load_b256 s[48:55], s[26:27], 0x0
	s_add_co_i32 s23, s23, 4
	s_wait_xcnt 0x0
	s_add_nc_u64 s[24:25], s[24:25], 48
	s_cmp_lg_u32 s22, s23
	s_add_nc_u64 s[26:27], s[26:27], 32
	s_wait_kmcnt 0x0
	v_mul_hi_u32 v4, s41, v1
	s_delay_alu instid0(VALU_DEP_1) | instskip(NEXT) | instid1(VALU_DEP_1)
	v_add_nc_u32_e32 v4, v1, v4
	v_lshrrev_b32_e32 v4, s42, v4
	s_delay_alu instid0(VALU_DEP_1) | instskip(NEXT) | instid1(VALU_DEP_1)
	v_mul_hi_u32 v5, s44, v4
	v_add_nc_u32_e32 v5, v4, v5
	s_delay_alu instid0(VALU_DEP_1) | instskip(NEXT) | instid1(VALU_DEP_1)
	v_lshrrev_b32_e32 v5, s45, v5
	v_mul_hi_u32 v6, s47, v5
	s_delay_alu instid0(VALU_DEP_1) | instskip(SKIP_1) | instid1(VALU_DEP_1)
	v_add_nc_u32_e32 v6, v5, v6
	v_mul_lo_u32 v7, v4, s40
	v_sub_nc_u32_e32 v1, v1, v7
	v_mul_lo_u32 v7, v5, s43
	s_delay_alu instid0(VALU_DEP_4) | instskip(NEXT) | instid1(VALU_DEP_3)
	v_lshrrev_b32_e32 v6, s56, v6
	v_mad_u32 v3, v1, s49, v3
	v_mad_u32 v1, v1, s48, v2
	s_delay_alu instid0(VALU_DEP_4) | instskip(NEXT) | instid1(VALU_DEP_4)
	v_sub_nc_u32_e32 v2, v4, v7
	v_mul_hi_u32 v8, s58, v6
	v_mul_lo_u32 v4, v6, s46
	s_delay_alu instid0(VALU_DEP_3) | instskip(SKIP_1) | instid1(VALU_DEP_4)
	v_mad_u32 v3, v2, s51, v3
	v_mad_u32 v2, v2, s50, v1
	v_add_nc_u32_e32 v7, v6, v8
	s_delay_alu instid0(VALU_DEP_1) | instskip(NEXT) | instid1(VALU_DEP_1)
	v_dual_sub_nc_u32 v4, v5, v4 :: v_dual_lshrrev_b32 v1, s59, v7
	v_mad_u32 v3, v4, s53, v3
	s_delay_alu instid0(VALU_DEP_4) | instskip(NEXT) | instid1(VALU_DEP_3)
	v_mad_u32 v2, v4, s52, v2
	v_mul_lo_u32 v5, v1, s57
	s_delay_alu instid0(VALU_DEP_1) | instskip(NEXT) | instid1(VALU_DEP_1)
	v_sub_nc_u32_e32 v4, v6, v5
	v_mad_u32 v3, v4, s55, v3
	s_delay_alu instid0(VALU_DEP_4)
	v_mad_u32 v2, v4, s54, v2
	s_cbranch_scc1 .LBB93_6
	s_branch .LBB93_132
.LBB93_7:
	s_and_not1_saveexec_b32 s0, s31
	s_cbranch_execz .LBB93_221
.LBB93_8:
	v_cndmask_b32_e64 v14, 0, 1, s30
	s_and_not1_b32 vcc_lo, exec_lo, s30
	s_cbranch_vccnz .LBB93_20
; %bb.9:
	s_cmp_lg_u32 s28, 0
	s_mov_b32 s6, 0
	s_cbranch_scc0 .LBB93_23
; %bb.10:
	s_min_u32 s1, s29, 15
	s_delay_alu instid0(SALU_CYCLE_1)
	s_add_co_i32 s1, s1, 1
	s_cmp_eq_u32 s29, 2
	s_cbranch_scc1 .LBB93_24
; %bb.11:
	v_dual_mov_b32 v2, 0 :: v_dual_mov_b32 v3, 0
	v_mov_b32_e32 v1, v0
	s_and_b32 s0, s1, 28
	s_add_nc_u64 s[2:3], s[12:13], 0xc4
	s_mov_b32 s7, 0
	s_mov_b64 s[4:5], s[12:13]
.LBB93_12:                              ; =>This Inner Loop Header: Depth=1
	s_clause 0x1
	s_load_b256 s[16:23], s[4:5], 0x4
	s_load_b128 s[8:11], s[4:5], 0x24
	s_load_b256 s[36:43], s[2:3], 0x0
	s_add_co_i32 s7, s7, 4
	s_wait_xcnt 0x0
	s_add_nc_u64 s[4:5], s[4:5], 48
	s_cmp_lg_u32 s0, s7
	s_add_nc_u64 s[2:3], s[2:3], 32
	s_wait_kmcnt 0x0
	v_mul_hi_u32 v4, s17, v1
	s_delay_alu instid0(VALU_DEP_1) | instskip(NEXT) | instid1(VALU_DEP_1)
	v_add_nc_u32_e32 v4, v1, v4
	v_lshrrev_b32_e32 v4, s18, v4
	s_delay_alu instid0(VALU_DEP_1) | instskip(NEXT) | instid1(VALU_DEP_1)
	v_mul_hi_u32 v5, s20, v4
	v_add_nc_u32_e32 v5, v4, v5
	s_delay_alu instid0(VALU_DEP_1) | instskip(NEXT) | instid1(VALU_DEP_1)
	v_lshrrev_b32_e32 v5, s21, v5
	v_mul_hi_u32 v6, s23, v5
	s_delay_alu instid0(VALU_DEP_1) | instskip(SKIP_1) | instid1(VALU_DEP_1)
	v_add_nc_u32_e32 v6, v5, v6
	v_mul_lo_u32 v7, v4, s16
	v_sub_nc_u32_e32 v1, v1, v7
	v_mul_lo_u32 v7, v5, s19
	s_delay_alu instid0(VALU_DEP_4) | instskip(NEXT) | instid1(VALU_DEP_3)
	v_lshrrev_b32_e32 v6, s8, v6
	v_mad_u32 v3, v1, s37, v3
	v_mad_u32 v1, v1, s36, v2
	s_delay_alu instid0(VALU_DEP_4) | instskip(NEXT) | instid1(VALU_DEP_4)
	v_sub_nc_u32_e32 v2, v4, v7
	v_mul_hi_u32 v8, s10, v6
	v_mul_lo_u32 v4, v6, s22
	s_delay_alu instid0(VALU_DEP_3) | instskip(SKIP_1) | instid1(VALU_DEP_4)
	v_mad_u32 v3, v2, s39, v3
	v_mad_u32 v2, v2, s38, v1
	v_add_nc_u32_e32 v7, v6, v8
	s_delay_alu instid0(VALU_DEP_1) | instskip(NEXT) | instid1(VALU_DEP_1)
	v_dual_sub_nc_u32 v4, v5, v4 :: v_dual_lshrrev_b32 v1, s11, v7
	v_mad_u32 v3, v4, s41, v3
	s_delay_alu instid0(VALU_DEP_4) | instskip(NEXT) | instid1(VALU_DEP_3)
	v_mad_u32 v2, v4, s40, v2
	v_mul_lo_u32 v5, v1, s9
	s_delay_alu instid0(VALU_DEP_1) | instskip(NEXT) | instid1(VALU_DEP_1)
	v_sub_nc_u32_e32 v4, v6, v5
	v_mad_u32 v3, v4, s43, v3
	s_delay_alu instid0(VALU_DEP_4)
	v_mad_u32 v2, v4, s42, v2
	s_cbranch_scc1 .LBB93_12
; %bb.13:
	s_and_b32 s4, s1, 3
	s_mov_b32 s1, 0
	s_cmp_eq_u32 s4, 0
	s_cbranch_scc0 .LBB93_25
	s_branch .LBB93_27
.LBB93_14:
	s_or_b32 exec_lo, exec_lo, s5
	s_delay_alu instid0(SALU_CYCLE_1)
	s_mov_b32 s5, exec_lo
	v_cmpx_gt_i32_e64 s34, v0
	s_cbranch_execz .LBB93_139
.LBB93_15:
	s_and_not1_b32 vcc_lo, exec_lo, s30
	s_cbranch_vccnz .LBB93_22
; %bb.16:
	s_and_not1_b32 vcc_lo, exec_lo, s36
	s_cbranch_vccnz .LBB93_130
; %bb.17:
	s_add_co_i32 s14, s35, 1
	s_cmp_eq_u32 s29, 2
	s_cbranch_scc1 .LBB93_147
; %bb.18:
	v_dual_mov_b32 v2, 0 :: v_dual_mov_b32 v3, 0
	v_mov_b32_e32 v1, v0
	s_and_b32 s22, s14, 28
	s_mov_b32 s23, 0
	s_mov_b64 s[24:25], s[12:13]
	s_mov_b64 s[26:27], s[20:21]
.LBB93_19:                              ; =>This Inner Loop Header: Depth=1
	s_clause 0x1
	s_load_b256 s[40:47], s[24:25], 0x4
	s_load_b128 s[56:59], s[24:25], 0x24
	s_load_b256 s[48:55], s[26:27], 0x0
	s_add_co_i32 s23, s23, 4
	s_wait_xcnt 0x0
	s_add_nc_u64 s[24:25], s[24:25], 48
	s_cmp_eq_u32 s22, s23
	s_add_nc_u64 s[26:27], s[26:27], 32
	s_wait_kmcnt 0x0
	v_mul_hi_u32 v4, s41, v1
	s_delay_alu instid0(VALU_DEP_1) | instskip(NEXT) | instid1(VALU_DEP_1)
	v_add_nc_u32_e32 v4, v1, v4
	v_lshrrev_b32_e32 v4, s42, v4
	s_delay_alu instid0(VALU_DEP_1) | instskip(NEXT) | instid1(VALU_DEP_1)
	v_mul_hi_u32 v5, s44, v4
	v_add_nc_u32_e32 v5, v4, v5
	s_delay_alu instid0(VALU_DEP_1) | instskip(NEXT) | instid1(VALU_DEP_1)
	v_lshrrev_b32_e32 v5, s45, v5
	v_mul_hi_u32 v6, s47, v5
	s_delay_alu instid0(VALU_DEP_1) | instskip(SKIP_1) | instid1(VALU_DEP_1)
	v_add_nc_u32_e32 v6, v5, v6
	v_mul_lo_u32 v7, v4, s40
	v_sub_nc_u32_e32 v1, v1, v7
	v_mul_lo_u32 v7, v5, s43
	s_delay_alu instid0(VALU_DEP_4) | instskip(NEXT) | instid1(VALU_DEP_3)
	v_lshrrev_b32_e32 v6, s56, v6
	v_mad_u32 v3, v1, s49, v3
	v_mad_u32 v1, v1, s48, v2
	s_delay_alu instid0(VALU_DEP_4) | instskip(NEXT) | instid1(VALU_DEP_4)
	v_sub_nc_u32_e32 v2, v4, v7
	v_mul_hi_u32 v8, s58, v6
	v_mul_lo_u32 v4, v6, s46
	s_delay_alu instid0(VALU_DEP_3) | instskip(SKIP_1) | instid1(VALU_DEP_4)
	v_mad_u32 v3, v2, s51, v3
	v_mad_u32 v2, v2, s50, v1
	v_add_nc_u32_e32 v7, v6, v8
	s_delay_alu instid0(VALU_DEP_1) | instskip(NEXT) | instid1(VALU_DEP_1)
	v_dual_sub_nc_u32 v4, v5, v4 :: v_dual_lshrrev_b32 v1, s59, v7
	v_mad_u32 v3, v4, s53, v3
	s_delay_alu instid0(VALU_DEP_4) | instskip(NEXT) | instid1(VALU_DEP_3)
	v_mad_u32 v2, v4, s52, v2
	v_mul_lo_u32 v5, v1, s57
	s_delay_alu instid0(VALU_DEP_1) | instskip(NEXT) | instid1(VALU_DEP_1)
	v_sub_nc_u32_e32 v4, v6, v5
	v_mad_u32 v3, v4, s55, v3
	s_delay_alu instid0(VALU_DEP_4)
	v_mad_u32 v2, v4, s54, v2
	s_cbranch_scc0 .LBB93_19
	s_branch .LBB93_148
.LBB93_20:
	s_mov_b32 s6, -1
                                        ; implicit-def: $vgpr3
	s_branch .LBB93_27
.LBB93_21:
                                        ; implicit-def: $vgpr3
	s_branch .LBB93_136
.LBB93_22:
                                        ; implicit-def: $vgpr3
	s_branch .LBB93_152
.LBB93_23:
	v_dual_mov_b32 v3, 0 :: v_dual_mov_b32 v2, 0
	s_branch .LBB93_27
.LBB93_24:
	v_mov_b64_e32 v[2:3], 0
	v_mov_b32_e32 v1, v0
	s_mov_b32 s0, 0
	s_and_b32 s4, s1, 3
	s_mov_b32 s1, 0
	s_cmp_eq_u32 s4, 0
	s_cbranch_scc1 .LBB93_27
.LBB93_25:
	s_lshl_b32 s2, s0, 3
	s_mov_b32 s3, s1
	s_mul_u64 s[8:9], s[0:1], 12
	s_add_nc_u64 s[2:3], s[12:13], s[2:3]
	s_delay_alu instid0(SALU_CYCLE_1)
	s_add_nc_u64 s[0:1], s[2:3], 0xc4
	s_add_nc_u64 s[2:3], s[12:13], s[8:9]
.LBB93_26:                              ; =>This Inner Loop Header: Depth=1
	s_load_b96 s[8:10], s[2:3], 0x4
	s_add_co_i32 s4, s4, -1
	s_wait_xcnt 0x0
	s_add_nc_u64 s[2:3], s[2:3], 12
	s_cmp_lg_u32 s4, 0
	s_wait_kmcnt 0x0
	v_mul_hi_u32 v4, s9, v1
	s_delay_alu instid0(VALU_DEP_1) | instskip(NEXT) | instid1(VALU_DEP_1)
	v_add_nc_u32_e32 v4, v1, v4
	v_lshrrev_b32_e32 v4, s10, v4
	s_load_b64 s[10:11], s[0:1], 0x0
	s_wait_xcnt 0x0
	s_add_nc_u64 s[0:1], s[0:1], 8
	s_delay_alu instid0(VALU_DEP_1) | instskip(NEXT) | instid1(VALU_DEP_1)
	v_mul_lo_u32 v5, v4, s8
	v_sub_nc_u32_e32 v1, v1, v5
	s_wait_kmcnt 0x0
	s_delay_alu instid0(VALU_DEP_1)
	v_mad_u32 v3, v1, s11, v3
	v_mad_u32 v2, v1, s10, v2
	v_mov_b32_e32 v1, v4
	s_cbranch_scc1 .LBB93_26
.LBB93_27:
	s_and_not1_b32 vcc_lo, exec_lo, s6
	s_cbranch_vccnz .LBB93_30
; %bb.28:
	s_clause 0x1
	s_load_b96 s[0:2], s[12:13], 0x4
	s_load_b64 s[4:5], s[12:13], 0xc4
	s_cmp_lt_u32 s28, 2
	s_wait_kmcnt 0x0
	v_mul_hi_u32 v1, s1, v0
	s_delay_alu instid0(VALU_DEP_1) | instskip(NEXT) | instid1(VALU_DEP_1)
	v_add_nc_u32_e32 v1, v0, v1
	v_lshrrev_b32_e32 v1, s2, v1
	s_delay_alu instid0(VALU_DEP_1) | instskip(NEXT) | instid1(VALU_DEP_1)
	v_mul_lo_u32 v2, v1, s0
	v_sub_nc_u32_e32 v2, v0, v2
	s_delay_alu instid0(VALU_DEP_1)
	v_mul_lo_u32 v3, v2, s5
	v_mul_lo_u32 v2, v2, s4
	s_cbranch_scc1 .LBB93_30
; %bb.29:
	s_clause 0x1
	s_load_b96 s[0:2], s[12:13], 0x10
	s_load_b64 s[4:5], s[12:13], 0xcc
	s_wait_kmcnt 0x0
	v_mul_hi_u32 v4, s1, v1
	s_delay_alu instid0(VALU_DEP_1) | instskip(NEXT) | instid1(VALU_DEP_1)
	v_add_nc_u32_e32 v4, v1, v4
	v_lshrrev_b32_e32 v4, s2, v4
	s_delay_alu instid0(VALU_DEP_1) | instskip(NEXT) | instid1(VALU_DEP_1)
	v_mul_lo_u32 v4, v4, s0
	v_sub_nc_u32_e32 v1, v1, v4
	s_delay_alu instid0(VALU_DEP_1)
	v_mad_u32 v2, v1, s4, v2
	v_mad_u32 v3, v1, s5, v3
.LBB93_30:
	v_cmp_ne_u32_e32 vcc_lo, 1, v14
	v_add_nc_u32_e32 v1, 0x80, v0
	s_cbranch_vccnz .LBB93_36
; %bb.31:
	s_cmp_lg_u32 s28, 0
	s_mov_b32 s6, 0
	s_cbranch_scc0 .LBB93_37
; %bb.32:
	s_min_u32 s1, s29, 15
	s_delay_alu instid0(SALU_CYCLE_1)
	s_add_co_i32 s1, s1, 1
	s_cmp_eq_u32 s29, 2
	s_cbranch_scc1 .LBB93_38
; %bb.33:
	v_dual_mov_b32 v4, 0 :: v_dual_mov_b32 v5, 0
	v_mov_b32_e32 v6, v1
	s_and_b32 s0, s1, 28
	s_add_nc_u64 s[2:3], s[12:13], 0xc4
	s_mov_b32 s7, 0
	s_mov_b64 s[4:5], s[12:13]
.LBB93_34:                              ; =>This Inner Loop Header: Depth=1
	s_clause 0x1
	s_load_b256 s[16:23], s[4:5], 0x4
	s_load_b128 s[8:11], s[4:5], 0x24
	s_load_b256 s[36:43], s[2:3], 0x0
	s_add_co_i32 s7, s7, 4
	s_wait_xcnt 0x0
	s_add_nc_u64 s[4:5], s[4:5], 48
	s_cmp_lg_u32 s0, s7
	s_add_nc_u64 s[2:3], s[2:3], 32
	s_wait_kmcnt 0x0
	v_mul_hi_u32 v7, s17, v6
	s_delay_alu instid0(VALU_DEP_1) | instskip(NEXT) | instid1(VALU_DEP_1)
	v_add_nc_u32_e32 v7, v6, v7
	v_lshrrev_b32_e32 v7, s18, v7
	s_delay_alu instid0(VALU_DEP_1) | instskip(NEXT) | instid1(VALU_DEP_1)
	v_mul_hi_u32 v8, s20, v7
	v_add_nc_u32_e32 v8, v7, v8
	s_delay_alu instid0(VALU_DEP_1) | instskip(NEXT) | instid1(VALU_DEP_1)
	v_lshrrev_b32_e32 v8, s21, v8
	v_mul_hi_u32 v9, s23, v8
	s_delay_alu instid0(VALU_DEP_1) | instskip(SKIP_1) | instid1(VALU_DEP_1)
	v_add_nc_u32_e32 v9, v8, v9
	v_mul_lo_u32 v10, v7, s16
	v_sub_nc_u32_e32 v6, v6, v10
	v_mul_lo_u32 v10, v8, s19
	s_delay_alu instid0(VALU_DEP_4) | instskip(NEXT) | instid1(VALU_DEP_3)
	v_lshrrev_b32_e32 v9, s8, v9
	v_mad_u32 v5, v6, s37, v5
	v_mad_u32 v4, v6, s36, v4
	s_delay_alu instid0(VALU_DEP_4) | instskip(NEXT) | instid1(VALU_DEP_4)
	v_sub_nc_u32_e32 v6, v7, v10
	v_mul_hi_u32 v11, s10, v9
	v_mul_lo_u32 v7, v9, s22
	s_delay_alu instid0(VALU_DEP_3) | instskip(SKIP_1) | instid1(VALU_DEP_4)
	v_mad_u32 v5, v6, s39, v5
	v_mad_u32 v4, v6, s38, v4
	v_add_nc_u32_e32 v10, v9, v11
	s_delay_alu instid0(VALU_DEP_1) | instskip(NEXT) | instid1(VALU_DEP_1)
	v_dual_sub_nc_u32 v7, v8, v7 :: v_dual_lshrrev_b32 v6, s11, v10
	v_mad_u32 v5, v7, s41, v5
	s_delay_alu instid0(VALU_DEP_4) | instskip(NEXT) | instid1(VALU_DEP_3)
	v_mad_u32 v4, v7, s40, v4
	v_mul_lo_u32 v8, v6, s9
	s_delay_alu instid0(VALU_DEP_1) | instskip(NEXT) | instid1(VALU_DEP_1)
	v_sub_nc_u32_e32 v7, v9, v8
	v_mad_u32 v5, v7, s43, v5
	s_delay_alu instid0(VALU_DEP_4)
	v_mad_u32 v4, v7, s42, v4
	s_cbranch_scc1 .LBB93_34
; %bb.35:
	s_and_b32 s4, s1, 3
	s_mov_b32 s1, 0
	s_cmp_eq_u32 s4, 0
	s_cbranch_scc0 .LBB93_39
	s_branch .LBB93_41
.LBB93_36:
	s_mov_b32 s6, -1
                                        ; implicit-def: $vgpr5
	s_branch .LBB93_41
.LBB93_37:
	v_dual_mov_b32 v5, 0 :: v_dual_mov_b32 v4, 0
	s_branch .LBB93_41
.LBB93_38:
	v_mov_b64_e32 v[4:5], 0
	v_mov_b32_e32 v6, v1
	s_mov_b32 s0, 0
	s_and_b32 s4, s1, 3
	s_mov_b32 s1, 0
	s_cmp_eq_u32 s4, 0
	s_cbranch_scc1 .LBB93_41
.LBB93_39:
	s_lshl_b32 s2, s0, 3
	s_mov_b32 s3, s1
	s_mul_u64 s[8:9], s[0:1], 12
	s_add_nc_u64 s[2:3], s[12:13], s[2:3]
	s_delay_alu instid0(SALU_CYCLE_1)
	s_add_nc_u64 s[0:1], s[2:3], 0xc4
	s_add_nc_u64 s[2:3], s[12:13], s[8:9]
.LBB93_40:                              ; =>This Inner Loop Header: Depth=1
	s_load_b96 s[8:10], s[2:3], 0x4
	s_add_co_i32 s4, s4, -1
	s_wait_xcnt 0x0
	s_add_nc_u64 s[2:3], s[2:3], 12
	s_cmp_lg_u32 s4, 0
	s_wait_kmcnt 0x0
	v_mul_hi_u32 v7, s9, v6
	s_delay_alu instid0(VALU_DEP_1) | instskip(NEXT) | instid1(VALU_DEP_1)
	v_add_nc_u32_e32 v7, v6, v7
	v_lshrrev_b32_e32 v7, s10, v7
	s_load_b64 s[10:11], s[0:1], 0x0
	s_wait_xcnt 0x0
	s_add_nc_u64 s[0:1], s[0:1], 8
	s_delay_alu instid0(VALU_DEP_1) | instskip(NEXT) | instid1(VALU_DEP_1)
	v_mul_lo_u32 v8, v7, s8
	v_sub_nc_u32_e32 v6, v6, v8
	s_wait_kmcnt 0x0
	s_delay_alu instid0(VALU_DEP_1)
	v_mad_u32 v5, v6, s11, v5
	v_mad_u32 v4, v6, s10, v4
	v_mov_b32_e32 v6, v7
	s_cbranch_scc1 .LBB93_40
.LBB93_41:
	s_and_not1_b32 vcc_lo, exec_lo, s6
	s_cbranch_vccnz .LBB93_44
; %bb.42:
	s_clause 0x1
	s_load_b96 s[0:2], s[12:13], 0x4
	s_load_b64 s[4:5], s[12:13], 0xc4
	s_cmp_lt_u32 s28, 2
	s_wait_kmcnt 0x0
	v_mul_hi_u32 v4, s1, v1
	s_delay_alu instid0(VALU_DEP_1) | instskip(NEXT) | instid1(VALU_DEP_1)
	v_add_nc_u32_e32 v4, v1, v4
	v_lshrrev_b32_e32 v6, s2, v4
	s_delay_alu instid0(VALU_DEP_1) | instskip(NEXT) | instid1(VALU_DEP_1)
	v_mul_lo_u32 v4, v6, s0
	v_sub_nc_u32_e32 v1, v1, v4
	s_delay_alu instid0(VALU_DEP_1)
	v_mul_lo_u32 v5, v1, s5
	v_mul_lo_u32 v4, v1, s4
	s_cbranch_scc1 .LBB93_44
; %bb.43:
	s_clause 0x1
	s_load_b96 s[0:2], s[12:13], 0x10
	s_load_b64 s[4:5], s[12:13], 0xcc
	s_wait_kmcnt 0x0
	v_mul_hi_u32 v1, s1, v6
	s_delay_alu instid0(VALU_DEP_1) | instskip(NEXT) | instid1(VALU_DEP_1)
	v_add_nc_u32_e32 v1, v6, v1
	v_lshrrev_b32_e32 v1, s2, v1
	s_delay_alu instid0(VALU_DEP_1) | instskip(NEXT) | instid1(VALU_DEP_1)
	v_mul_lo_u32 v1, v1, s0
	v_sub_nc_u32_e32 v1, v6, v1
	s_delay_alu instid0(VALU_DEP_1)
	v_mad_u32 v4, v1, s4, v4
	v_mad_u32 v5, v1, s5, v5
.LBB93_44:
	v_cmp_ne_u32_e32 vcc_lo, 1, v14
	v_add_nc_u32_e32 v1, 0x100, v0
	s_cbranch_vccnz .LBB93_50
; %bb.45:
	s_cmp_lg_u32 s28, 0
	s_mov_b32 s6, 0
	s_cbranch_scc0 .LBB93_51
; %bb.46:
	s_min_u32 s1, s29, 15
	s_delay_alu instid0(SALU_CYCLE_1)
	s_add_co_i32 s1, s1, 1
	s_cmp_eq_u32 s29, 2
	s_cbranch_scc1 .LBB93_52
; %bb.47:
	v_dual_mov_b32 v6, 0 :: v_dual_mov_b32 v7, 0
	v_mov_b32_e32 v8, v1
	s_and_b32 s0, s1, 28
	s_add_nc_u64 s[2:3], s[12:13], 0xc4
	s_mov_b32 s7, 0
	s_mov_b64 s[4:5], s[12:13]
.LBB93_48:                              ; =>This Inner Loop Header: Depth=1
	s_clause 0x1
	s_load_b256 s[16:23], s[4:5], 0x4
	s_load_b128 s[8:11], s[4:5], 0x24
	s_load_b256 s[36:43], s[2:3], 0x0
	s_add_co_i32 s7, s7, 4
	s_wait_xcnt 0x0
	s_add_nc_u64 s[4:5], s[4:5], 48
	s_cmp_lg_u32 s0, s7
	s_add_nc_u64 s[2:3], s[2:3], 32
	s_wait_kmcnt 0x0
	v_mul_hi_u32 v9, s17, v8
	s_delay_alu instid0(VALU_DEP_1) | instskip(NEXT) | instid1(VALU_DEP_1)
	v_add_nc_u32_e32 v9, v8, v9
	v_lshrrev_b32_e32 v9, s18, v9
	s_delay_alu instid0(VALU_DEP_1) | instskip(NEXT) | instid1(VALU_DEP_1)
	v_mul_hi_u32 v10, s20, v9
	v_add_nc_u32_e32 v10, v9, v10
	s_delay_alu instid0(VALU_DEP_1) | instskip(NEXT) | instid1(VALU_DEP_1)
	v_lshrrev_b32_e32 v10, s21, v10
	v_mul_hi_u32 v11, s23, v10
	s_delay_alu instid0(VALU_DEP_1) | instskip(SKIP_1) | instid1(VALU_DEP_1)
	v_add_nc_u32_e32 v11, v10, v11
	v_mul_lo_u32 v12, v9, s16
	v_sub_nc_u32_e32 v8, v8, v12
	v_mul_lo_u32 v12, v10, s19
	s_delay_alu instid0(VALU_DEP_4) | instskip(NEXT) | instid1(VALU_DEP_3)
	v_lshrrev_b32_e32 v11, s8, v11
	v_mad_u32 v7, v8, s37, v7
	v_mad_u32 v6, v8, s36, v6
	s_delay_alu instid0(VALU_DEP_4) | instskip(NEXT) | instid1(VALU_DEP_4)
	v_sub_nc_u32_e32 v8, v9, v12
	v_mul_hi_u32 v13, s10, v11
	v_mul_lo_u32 v9, v11, s22
	s_delay_alu instid0(VALU_DEP_3) | instskip(SKIP_1) | instid1(VALU_DEP_4)
	v_mad_u32 v7, v8, s39, v7
	v_mad_u32 v6, v8, s38, v6
	v_add_nc_u32_e32 v12, v11, v13
	s_delay_alu instid0(VALU_DEP_1) | instskip(NEXT) | instid1(VALU_DEP_1)
	v_dual_sub_nc_u32 v9, v10, v9 :: v_dual_lshrrev_b32 v8, s11, v12
	v_mad_u32 v7, v9, s41, v7
	s_delay_alu instid0(VALU_DEP_4) | instskip(NEXT) | instid1(VALU_DEP_3)
	v_mad_u32 v6, v9, s40, v6
	v_mul_lo_u32 v10, v8, s9
	s_delay_alu instid0(VALU_DEP_1) | instskip(NEXT) | instid1(VALU_DEP_1)
	v_sub_nc_u32_e32 v9, v11, v10
	v_mad_u32 v7, v9, s43, v7
	s_delay_alu instid0(VALU_DEP_4)
	v_mad_u32 v6, v9, s42, v6
	s_cbranch_scc1 .LBB93_48
; %bb.49:
	s_and_b32 s4, s1, 3
	s_mov_b32 s1, 0
	s_cmp_eq_u32 s4, 0
	s_cbranch_scc0 .LBB93_53
	s_branch .LBB93_55
.LBB93_50:
	s_mov_b32 s6, -1
                                        ; implicit-def: $vgpr7
	s_branch .LBB93_55
.LBB93_51:
	v_dual_mov_b32 v7, 0 :: v_dual_mov_b32 v6, 0
	s_branch .LBB93_55
.LBB93_52:
	v_mov_b64_e32 v[6:7], 0
	v_mov_b32_e32 v8, v1
	s_mov_b32 s0, 0
	s_and_b32 s4, s1, 3
	s_mov_b32 s1, 0
	s_cmp_eq_u32 s4, 0
	s_cbranch_scc1 .LBB93_55
.LBB93_53:
	s_lshl_b32 s2, s0, 3
	s_mov_b32 s3, s1
	s_mul_u64 s[8:9], s[0:1], 12
	s_add_nc_u64 s[2:3], s[12:13], s[2:3]
	s_delay_alu instid0(SALU_CYCLE_1)
	s_add_nc_u64 s[0:1], s[2:3], 0xc4
	s_add_nc_u64 s[2:3], s[12:13], s[8:9]
.LBB93_54:                              ; =>This Inner Loop Header: Depth=1
	s_load_b96 s[8:10], s[2:3], 0x4
	s_add_co_i32 s4, s4, -1
	s_wait_xcnt 0x0
	s_add_nc_u64 s[2:3], s[2:3], 12
	s_cmp_lg_u32 s4, 0
	s_wait_kmcnt 0x0
	v_mul_hi_u32 v9, s9, v8
	s_delay_alu instid0(VALU_DEP_1) | instskip(NEXT) | instid1(VALU_DEP_1)
	v_add_nc_u32_e32 v9, v8, v9
	v_lshrrev_b32_e32 v9, s10, v9
	s_load_b64 s[10:11], s[0:1], 0x0
	s_wait_xcnt 0x0
	s_add_nc_u64 s[0:1], s[0:1], 8
	s_delay_alu instid0(VALU_DEP_1) | instskip(NEXT) | instid1(VALU_DEP_1)
	v_mul_lo_u32 v10, v9, s8
	v_sub_nc_u32_e32 v8, v8, v10
	s_wait_kmcnt 0x0
	s_delay_alu instid0(VALU_DEP_1)
	v_mad_u32 v7, v8, s11, v7
	v_mad_u32 v6, v8, s10, v6
	v_mov_b32_e32 v8, v9
	s_cbranch_scc1 .LBB93_54
.LBB93_55:
	s_and_not1_b32 vcc_lo, exec_lo, s6
	s_cbranch_vccnz .LBB93_58
; %bb.56:
	s_clause 0x1
	s_load_b96 s[0:2], s[12:13], 0x4
	s_load_b64 s[4:5], s[12:13], 0xc4
	s_cmp_lt_u32 s28, 2
	s_wait_kmcnt 0x0
	v_mul_hi_u32 v6, s1, v1
	s_delay_alu instid0(VALU_DEP_1) | instskip(NEXT) | instid1(VALU_DEP_1)
	v_add_nc_u32_e32 v6, v1, v6
	v_lshrrev_b32_e32 v8, s2, v6
	s_delay_alu instid0(VALU_DEP_1) | instskip(NEXT) | instid1(VALU_DEP_1)
	v_mul_lo_u32 v6, v8, s0
	v_sub_nc_u32_e32 v1, v1, v6
	s_delay_alu instid0(VALU_DEP_1)
	v_mul_lo_u32 v7, v1, s5
	v_mul_lo_u32 v6, v1, s4
	s_cbranch_scc1 .LBB93_58
; %bb.57:
	s_clause 0x1
	s_load_b96 s[0:2], s[12:13], 0x10
	s_load_b64 s[4:5], s[12:13], 0xcc
	s_wait_kmcnt 0x0
	v_mul_hi_u32 v1, s1, v8
	s_delay_alu instid0(VALU_DEP_1) | instskip(NEXT) | instid1(VALU_DEP_1)
	v_add_nc_u32_e32 v1, v8, v1
	v_lshrrev_b32_e32 v1, s2, v1
	s_delay_alu instid0(VALU_DEP_1) | instskip(NEXT) | instid1(VALU_DEP_1)
	v_mul_lo_u32 v1, v1, s0
	v_sub_nc_u32_e32 v1, v8, v1
	s_delay_alu instid0(VALU_DEP_1)
	v_mad_u32 v6, v1, s4, v6
	v_mad_u32 v7, v1, s5, v7
.LBB93_58:
	v_cmp_ne_u32_e32 vcc_lo, 1, v14
	v_add_nc_u32_e32 v1, 0x180, v0
	s_cbranch_vccnz .LBB93_64
; %bb.59:
	s_cmp_lg_u32 s28, 0
	s_mov_b32 s6, 0
	s_cbranch_scc0 .LBB93_65
; %bb.60:
	s_min_u32 s1, s29, 15
	s_delay_alu instid0(SALU_CYCLE_1)
	s_add_co_i32 s1, s1, 1
	s_cmp_eq_u32 s29, 2
	s_cbranch_scc1 .LBB93_66
; %bb.61:
	v_dual_mov_b32 v8, 0 :: v_dual_mov_b32 v9, 0
	v_mov_b32_e32 v10, v1
	s_and_b32 s0, s1, 28
	s_add_nc_u64 s[2:3], s[12:13], 0xc4
	s_mov_b32 s7, 0
	s_mov_b64 s[4:5], s[12:13]
.LBB93_62:                              ; =>This Inner Loop Header: Depth=1
	s_clause 0x1
	s_load_b256 s[16:23], s[4:5], 0x4
	s_load_b128 s[8:11], s[4:5], 0x24
	s_load_b256 s[36:43], s[2:3], 0x0
	s_add_co_i32 s7, s7, 4
	s_wait_xcnt 0x0
	s_add_nc_u64 s[4:5], s[4:5], 48
	s_cmp_lg_u32 s0, s7
	s_add_nc_u64 s[2:3], s[2:3], 32
	s_wait_kmcnt 0x0
	v_mul_hi_u32 v11, s17, v10
	s_delay_alu instid0(VALU_DEP_1) | instskip(NEXT) | instid1(VALU_DEP_1)
	v_add_nc_u32_e32 v11, v10, v11
	v_lshrrev_b32_e32 v11, s18, v11
	s_delay_alu instid0(VALU_DEP_1) | instskip(NEXT) | instid1(VALU_DEP_1)
	v_mul_hi_u32 v12, s20, v11
	v_add_nc_u32_e32 v12, v11, v12
	s_delay_alu instid0(VALU_DEP_1) | instskip(NEXT) | instid1(VALU_DEP_1)
	v_lshrrev_b32_e32 v12, s21, v12
	v_mul_hi_u32 v13, s23, v12
	s_delay_alu instid0(VALU_DEP_1) | instskip(SKIP_1) | instid1(VALU_DEP_1)
	v_add_nc_u32_e32 v13, v12, v13
	v_mul_lo_u32 v15, v11, s16
	v_sub_nc_u32_e32 v10, v10, v15
	v_mul_lo_u32 v15, v12, s19
	s_delay_alu instid0(VALU_DEP_4) | instskip(NEXT) | instid1(VALU_DEP_3)
	v_lshrrev_b32_e32 v13, s8, v13
	v_mad_u32 v9, v10, s37, v9
	v_mad_u32 v8, v10, s36, v8
	s_delay_alu instid0(VALU_DEP_4) | instskip(NEXT) | instid1(VALU_DEP_4)
	v_sub_nc_u32_e32 v10, v11, v15
	v_mul_hi_u32 v17, s10, v13
	v_mul_lo_u32 v11, v13, s22
	s_delay_alu instid0(VALU_DEP_3) | instskip(SKIP_1) | instid1(VALU_DEP_3)
	v_mad_u32 v9, v10, s39, v9
	v_mad_u32 v8, v10, s38, v8
	v_dual_add_nc_u32 v15, v13, v17 :: v_dual_sub_nc_u32 v11, v12, v11
	s_delay_alu instid0(VALU_DEP_1) | instskip(NEXT) | instid1(VALU_DEP_2)
	v_lshrrev_b32_e32 v10, s11, v15
	v_mad_u32 v9, v11, s41, v9
	s_delay_alu instid0(VALU_DEP_4) | instskip(NEXT) | instid1(VALU_DEP_3)
	v_mad_u32 v8, v11, s40, v8
	v_mul_lo_u32 v12, v10, s9
	s_delay_alu instid0(VALU_DEP_1) | instskip(NEXT) | instid1(VALU_DEP_1)
	v_sub_nc_u32_e32 v11, v13, v12
	v_mad_u32 v9, v11, s43, v9
	s_delay_alu instid0(VALU_DEP_4)
	v_mad_u32 v8, v11, s42, v8
	s_cbranch_scc1 .LBB93_62
; %bb.63:
	s_and_b32 s4, s1, 3
	s_mov_b32 s1, 0
	s_cmp_eq_u32 s4, 0
	s_cbranch_scc0 .LBB93_67
	s_branch .LBB93_69
.LBB93_64:
	s_mov_b32 s6, -1
                                        ; implicit-def: $vgpr9
	s_branch .LBB93_69
.LBB93_65:
	v_dual_mov_b32 v9, 0 :: v_dual_mov_b32 v8, 0
	s_branch .LBB93_69
.LBB93_66:
	v_mov_b64_e32 v[8:9], 0
	v_mov_b32_e32 v10, v1
	s_mov_b32 s0, 0
	s_and_b32 s4, s1, 3
	s_mov_b32 s1, 0
	s_cmp_eq_u32 s4, 0
	s_cbranch_scc1 .LBB93_69
.LBB93_67:
	s_lshl_b32 s2, s0, 3
	s_mov_b32 s3, s1
	s_mul_u64 s[8:9], s[0:1], 12
	s_add_nc_u64 s[2:3], s[12:13], s[2:3]
	s_delay_alu instid0(SALU_CYCLE_1)
	s_add_nc_u64 s[0:1], s[2:3], 0xc4
	s_add_nc_u64 s[2:3], s[12:13], s[8:9]
.LBB93_68:                              ; =>This Inner Loop Header: Depth=1
	s_load_b96 s[8:10], s[2:3], 0x4
	s_add_co_i32 s4, s4, -1
	s_wait_xcnt 0x0
	s_add_nc_u64 s[2:3], s[2:3], 12
	s_cmp_lg_u32 s4, 0
	s_wait_kmcnt 0x0
	v_mul_hi_u32 v11, s9, v10
	s_delay_alu instid0(VALU_DEP_1) | instskip(NEXT) | instid1(VALU_DEP_1)
	v_add_nc_u32_e32 v11, v10, v11
	v_lshrrev_b32_e32 v11, s10, v11
	s_load_b64 s[10:11], s[0:1], 0x0
	s_wait_xcnt 0x0
	s_add_nc_u64 s[0:1], s[0:1], 8
	s_delay_alu instid0(VALU_DEP_1) | instskip(NEXT) | instid1(VALU_DEP_1)
	v_mul_lo_u32 v12, v11, s8
	v_sub_nc_u32_e32 v10, v10, v12
	s_wait_kmcnt 0x0
	s_delay_alu instid0(VALU_DEP_1)
	v_mad_u32 v9, v10, s11, v9
	v_mad_u32 v8, v10, s10, v8
	v_mov_b32_e32 v10, v11
	s_cbranch_scc1 .LBB93_68
.LBB93_69:
	s_and_not1_b32 vcc_lo, exec_lo, s6
	s_cbranch_vccnz .LBB93_72
; %bb.70:
	s_clause 0x1
	s_load_b96 s[0:2], s[12:13], 0x4
	s_load_b64 s[4:5], s[12:13], 0xc4
	s_cmp_lt_u32 s28, 2
	s_wait_kmcnt 0x0
	v_mul_hi_u32 v8, s1, v1
	s_delay_alu instid0(VALU_DEP_1) | instskip(NEXT) | instid1(VALU_DEP_1)
	v_add_nc_u32_e32 v8, v1, v8
	v_lshrrev_b32_e32 v10, s2, v8
	s_delay_alu instid0(VALU_DEP_1) | instskip(NEXT) | instid1(VALU_DEP_1)
	v_mul_lo_u32 v8, v10, s0
	v_sub_nc_u32_e32 v1, v1, v8
	s_delay_alu instid0(VALU_DEP_1)
	v_mul_lo_u32 v9, v1, s5
	v_mul_lo_u32 v8, v1, s4
	s_cbranch_scc1 .LBB93_72
; %bb.71:
	s_clause 0x1
	s_load_b96 s[0:2], s[12:13], 0x10
	s_load_b64 s[4:5], s[12:13], 0xcc
	s_wait_kmcnt 0x0
	v_mul_hi_u32 v1, s1, v10
	s_delay_alu instid0(VALU_DEP_1) | instskip(NEXT) | instid1(VALU_DEP_1)
	v_add_nc_u32_e32 v1, v10, v1
	v_lshrrev_b32_e32 v1, s2, v1
	s_delay_alu instid0(VALU_DEP_1) | instskip(NEXT) | instid1(VALU_DEP_1)
	v_mul_lo_u32 v1, v1, s0
	v_sub_nc_u32_e32 v1, v10, v1
	s_delay_alu instid0(VALU_DEP_1)
	v_mad_u32 v8, v1, s4, v8
	v_mad_u32 v9, v1, s5, v9
.LBB93_72:
	v_cmp_ne_u32_e32 vcc_lo, 1, v14
	v_add_nc_u32_e32 v1, 0x200, v0
	s_cbranch_vccnz .LBB93_78
; %bb.73:
	s_cmp_lg_u32 s28, 0
	s_mov_b32 s6, 0
	s_cbranch_scc0 .LBB93_79
; %bb.74:
	s_min_u32 s1, s29, 15
	s_delay_alu instid0(SALU_CYCLE_1)
	s_add_co_i32 s1, s1, 1
	s_cmp_eq_u32 s29, 2
	s_cbranch_scc1 .LBB93_80
; %bb.75:
	v_dual_mov_b32 v10, 0 :: v_dual_mov_b32 v11, 0
	v_mov_b32_e32 v12, v1
	s_and_b32 s0, s1, 28
	s_add_nc_u64 s[2:3], s[12:13], 0xc4
	s_mov_b32 s7, 0
	s_mov_b64 s[4:5], s[12:13]
.LBB93_76:                              ; =>This Inner Loop Header: Depth=1
	s_clause 0x1
	s_load_b256 s[16:23], s[4:5], 0x4
	s_load_b128 s[8:11], s[4:5], 0x24
	s_load_b256 s[36:43], s[2:3], 0x0
	s_add_co_i32 s7, s7, 4
	s_wait_xcnt 0x0
	s_add_nc_u64 s[4:5], s[4:5], 48
	s_cmp_lg_u32 s0, s7
	s_add_nc_u64 s[2:3], s[2:3], 32
	s_wait_kmcnt 0x0
	v_mul_hi_u32 v13, s17, v12
	s_delay_alu instid0(VALU_DEP_1) | instskip(NEXT) | instid1(VALU_DEP_1)
	v_add_nc_u32_e32 v13, v12, v13
	v_lshrrev_b32_e32 v13, s18, v13
	s_delay_alu instid0(VALU_DEP_1) | instskip(NEXT) | instid1(VALU_DEP_1)
	v_mul_lo_u32 v18, v13, s16
	v_sub_nc_u32_e32 v12, v12, v18
	v_mul_hi_u32 v15, s20, v13
	s_delay_alu instid0(VALU_DEP_2) | instskip(SKIP_1) | instid1(VALU_DEP_3)
	v_mad_u32 v11, v12, s37, v11
	v_mad_u32 v10, v12, s36, v10
	v_add_nc_u32_e32 v15, v13, v15
	s_delay_alu instid0(VALU_DEP_1) | instskip(NEXT) | instid1(VALU_DEP_1)
	v_lshrrev_b32_e32 v15, s21, v15
	v_mul_hi_u32 v17, s23, v15
	v_mul_lo_u32 v18, v15, s19
	s_delay_alu instid0(VALU_DEP_1) | instskip(NEXT) | instid1(VALU_DEP_1)
	v_dual_add_nc_u32 v17, v15, v17 :: v_dual_sub_nc_u32 v12, v13, v18
	v_lshrrev_b32_e32 v17, s8, v17
	s_delay_alu instid0(VALU_DEP_2) | instskip(SKIP_1) | instid1(VALU_DEP_3)
	v_mad_u32 v11, v12, s39, v11
	v_mad_u32 v10, v12, s38, v10
	v_mul_hi_u32 v19, s10, v17
	v_mul_lo_u32 v13, v17, s22
	s_delay_alu instid0(VALU_DEP_1) | instskip(NEXT) | instid1(VALU_DEP_1)
	v_dual_add_nc_u32 v18, v17, v19 :: v_dual_sub_nc_u32 v13, v15, v13
	v_lshrrev_b32_e32 v12, s11, v18
	s_delay_alu instid0(VALU_DEP_2) | instskip(SKIP_1) | instid1(VALU_DEP_3)
	v_mad_u32 v11, v13, s41, v11
	v_mad_u32 v10, v13, s40, v10
	v_mul_lo_u32 v15, v12, s9
	s_delay_alu instid0(VALU_DEP_1) | instskip(NEXT) | instid1(VALU_DEP_1)
	v_sub_nc_u32_e32 v13, v17, v15
	v_mad_u32 v11, v13, s43, v11
	s_delay_alu instid0(VALU_DEP_4)
	v_mad_u32 v10, v13, s42, v10
	s_cbranch_scc1 .LBB93_76
; %bb.77:
	s_and_b32 s4, s1, 3
	s_mov_b32 s1, 0
	s_cmp_eq_u32 s4, 0
	s_cbranch_scc0 .LBB93_81
	s_branch .LBB93_83
.LBB93_78:
	s_mov_b32 s6, -1
                                        ; implicit-def: $vgpr11
	s_branch .LBB93_83
.LBB93_79:
	v_dual_mov_b32 v11, 0 :: v_dual_mov_b32 v10, 0
	s_branch .LBB93_83
.LBB93_80:
	v_mov_b64_e32 v[10:11], 0
	v_mov_b32_e32 v12, v1
	s_mov_b32 s0, 0
	s_and_b32 s4, s1, 3
	s_mov_b32 s1, 0
	s_cmp_eq_u32 s4, 0
	s_cbranch_scc1 .LBB93_83
.LBB93_81:
	s_lshl_b32 s2, s0, 3
	s_mov_b32 s3, s1
	s_mul_u64 s[8:9], s[0:1], 12
	s_add_nc_u64 s[2:3], s[12:13], s[2:3]
	s_delay_alu instid0(SALU_CYCLE_1)
	s_add_nc_u64 s[0:1], s[2:3], 0xc4
	s_add_nc_u64 s[2:3], s[12:13], s[8:9]
.LBB93_82:                              ; =>This Inner Loop Header: Depth=1
	s_load_b96 s[8:10], s[2:3], 0x4
	s_add_co_i32 s4, s4, -1
	s_wait_xcnt 0x0
	s_add_nc_u64 s[2:3], s[2:3], 12
	s_cmp_lg_u32 s4, 0
	s_wait_kmcnt 0x0
	v_mul_hi_u32 v13, s9, v12
	s_delay_alu instid0(VALU_DEP_1) | instskip(NEXT) | instid1(VALU_DEP_1)
	v_add_nc_u32_e32 v13, v12, v13
	v_lshrrev_b32_e32 v13, s10, v13
	s_load_b64 s[10:11], s[0:1], 0x0
	s_wait_xcnt 0x0
	s_add_nc_u64 s[0:1], s[0:1], 8
	s_delay_alu instid0(VALU_DEP_1) | instskip(NEXT) | instid1(VALU_DEP_1)
	v_mul_lo_u32 v15, v13, s8
	v_sub_nc_u32_e32 v12, v12, v15
	s_wait_kmcnt 0x0
	s_delay_alu instid0(VALU_DEP_1)
	v_mad_u32 v11, v12, s11, v11
	v_mad_u32 v10, v12, s10, v10
	v_mov_b32_e32 v12, v13
	s_cbranch_scc1 .LBB93_82
.LBB93_83:
	s_and_not1_b32 vcc_lo, exec_lo, s6
	s_cbranch_vccnz .LBB93_86
; %bb.84:
	s_clause 0x1
	s_load_b96 s[0:2], s[12:13], 0x4
	s_load_b64 s[4:5], s[12:13], 0xc4
	s_cmp_lt_u32 s28, 2
	s_wait_kmcnt 0x0
	v_mul_hi_u32 v10, s1, v1
	s_delay_alu instid0(VALU_DEP_1) | instskip(NEXT) | instid1(VALU_DEP_1)
	v_add_nc_u32_e32 v10, v1, v10
	v_lshrrev_b32_e32 v12, s2, v10
	s_delay_alu instid0(VALU_DEP_1) | instskip(NEXT) | instid1(VALU_DEP_1)
	v_mul_lo_u32 v10, v12, s0
	v_sub_nc_u32_e32 v1, v1, v10
	s_delay_alu instid0(VALU_DEP_1)
	v_mul_lo_u32 v11, v1, s5
	v_mul_lo_u32 v10, v1, s4
	s_cbranch_scc1 .LBB93_86
; %bb.85:
	s_clause 0x1
	s_load_b96 s[0:2], s[12:13], 0x10
	s_load_b64 s[4:5], s[12:13], 0xcc
	s_wait_kmcnt 0x0
	v_mul_hi_u32 v1, s1, v12
	s_delay_alu instid0(VALU_DEP_1) | instskip(NEXT) | instid1(VALU_DEP_1)
	v_add_nc_u32_e32 v1, v12, v1
	v_lshrrev_b32_e32 v1, s2, v1
	s_delay_alu instid0(VALU_DEP_1) | instskip(NEXT) | instid1(VALU_DEP_1)
	v_mul_lo_u32 v1, v1, s0
	v_sub_nc_u32_e32 v1, v12, v1
	s_delay_alu instid0(VALU_DEP_1)
	v_mad_u32 v10, v1, s4, v10
	v_mad_u32 v11, v1, s5, v11
.LBB93_86:
	v_cmp_ne_u32_e32 vcc_lo, 1, v14
	v_add_nc_u32_e32 v1, 0x280, v0
	s_cbranch_vccnz .LBB93_92
; %bb.87:
	s_cmp_lg_u32 s28, 0
	s_mov_b32 s6, 0
	s_cbranch_scc0 .LBB93_93
; %bb.88:
	s_min_u32 s1, s29, 15
	s_delay_alu instid0(SALU_CYCLE_1)
	s_add_co_i32 s1, s1, 1
	s_cmp_eq_u32 s29, 2
	s_cbranch_scc1 .LBB93_94
; %bb.89:
	v_dual_mov_b32 v12, 0 :: v_dual_mov_b32 v13, 0
	v_mov_b32_e32 v15, v1
	s_and_b32 s0, s1, 28
	s_add_nc_u64 s[2:3], s[12:13], 0xc4
	s_mov_b32 s7, 0
	s_mov_b64 s[4:5], s[12:13]
.LBB93_90:                              ; =>This Inner Loop Header: Depth=1
	s_clause 0x1
	s_load_b256 s[16:23], s[4:5], 0x4
	s_load_b128 s[8:11], s[4:5], 0x24
	s_load_b256 s[36:43], s[2:3], 0x0
	s_add_co_i32 s7, s7, 4
	s_wait_xcnt 0x0
	s_add_nc_u64 s[4:5], s[4:5], 48
	s_cmp_lg_u32 s0, s7
	s_add_nc_u64 s[2:3], s[2:3], 32
	s_wait_kmcnt 0x0
	v_mul_hi_u32 v17, s17, v15
	s_delay_alu instid0(VALU_DEP_1) | instskip(NEXT) | instid1(VALU_DEP_1)
	v_add_nc_u32_e32 v17, v15, v17
	v_lshrrev_b32_e32 v17, s18, v17
	s_delay_alu instid0(VALU_DEP_1) | instskip(NEXT) | instid1(VALU_DEP_1)
	v_mul_hi_u32 v18, s20, v17
	v_add_nc_u32_e32 v18, v17, v18
	s_delay_alu instid0(VALU_DEP_1) | instskip(NEXT) | instid1(VALU_DEP_1)
	v_lshrrev_b32_e32 v18, s21, v18
	v_mul_hi_u32 v19, s23, v18
	s_delay_alu instid0(VALU_DEP_1) | instskip(SKIP_1) | instid1(VALU_DEP_1)
	v_add_nc_u32_e32 v19, v18, v19
	v_mul_lo_u32 v20, v17, s16
	v_sub_nc_u32_e32 v15, v15, v20
	v_mul_lo_u32 v20, v18, s19
	s_delay_alu instid0(VALU_DEP_4) | instskip(NEXT) | instid1(VALU_DEP_3)
	v_lshrrev_b32_e32 v19, s8, v19
	v_mad_u32 v13, v15, s37, v13
	v_mad_u32 v12, v15, s36, v12
	s_delay_alu instid0(VALU_DEP_4) | instskip(NEXT) | instid1(VALU_DEP_4)
	v_sub_nc_u32_e32 v15, v17, v20
	v_mul_hi_u32 v21, s10, v19
	v_mul_lo_u32 v17, v19, s22
	s_delay_alu instid0(VALU_DEP_3) | instskip(SKIP_1) | instid1(VALU_DEP_4)
	v_mad_u32 v13, v15, s39, v13
	v_mad_u32 v12, v15, s38, v12
	v_add_nc_u32_e32 v20, v19, v21
	s_delay_alu instid0(VALU_DEP_1) | instskip(NEXT) | instid1(VALU_DEP_1)
	v_dual_sub_nc_u32 v17, v18, v17 :: v_dual_lshrrev_b32 v15, s11, v20
	v_mad_u32 v13, v17, s41, v13
	s_delay_alu instid0(VALU_DEP_4) | instskip(NEXT) | instid1(VALU_DEP_3)
	v_mad_u32 v12, v17, s40, v12
	v_mul_lo_u32 v18, v15, s9
	s_delay_alu instid0(VALU_DEP_1) | instskip(NEXT) | instid1(VALU_DEP_1)
	v_sub_nc_u32_e32 v17, v19, v18
	v_mad_u32 v13, v17, s43, v13
	s_delay_alu instid0(VALU_DEP_4)
	v_mad_u32 v12, v17, s42, v12
	s_cbranch_scc1 .LBB93_90
; %bb.91:
	s_and_b32 s4, s1, 3
	s_mov_b32 s1, 0
	s_cmp_eq_u32 s4, 0
	s_cbranch_scc0 .LBB93_95
	s_branch .LBB93_97
.LBB93_92:
	s_mov_b32 s6, -1
                                        ; implicit-def: $vgpr13
	s_branch .LBB93_97
.LBB93_93:
	v_dual_mov_b32 v13, 0 :: v_dual_mov_b32 v12, 0
	s_branch .LBB93_97
.LBB93_94:
	v_mov_b64_e32 v[12:13], 0
	v_mov_b32_e32 v15, v1
	s_mov_b32 s0, 0
	s_and_b32 s4, s1, 3
	s_mov_b32 s1, 0
	s_cmp_eq_u32 s4, 0
	s_cbranch_scc1 .LBB93_97
.LBB93_95:
	s_lshl_b32 s2, s0, 3
	s_mov_b32 s3, s1
	s_mul_u64 s[8:9], s[0:1], 12
	s_add_nc_u64 s[2:3], s[12:13], s[2:3]
	s_delay_alu instid0(SALU_CYCLE_1)
	s_add_nc_u64 s[0:1], s[2:3], 0xc4
	s_add_nc_u64 s[2:3], s[12:13], s[8:9]
.LBB93_96:                              ; =>This Inner Loop Header: Depth=1
	s_load_b96 s[8:10], s[2:3], 0x4
	s_add_co_i32 s4, s4, -1
	s_wait_xcnt 0x0
	s_add_nc_u64 s[2:3], s[2:3], 12
	s_cmp_lg_u32 s4, 0
	s_wait_kmcnt 0x0
	v_mul_hi_u32 v17, s9, v15
	s_delay_alu instid0(VALU_DEP_1) | instskip(NEXT) | instid1(VALU_DEP_1)
	v_add_nc_u32_e32 v17, v15, v17
	v_lshrrev_b32_e32 v17, s10, v17
	s_load_b64 s[10:11], s[0:1], 0x0
	s_wait_xcnt 0x0
	s_add_nc_u64 s[0:1], s[0:1], 8
	s_delay_alu instid0(VALU_DEP_1) | instskip(NEXT) | instid1(VALU_DEP_1)
	v_mul_lo_u32 v18, v17, s8
	v_sub_nc_u32_e32 v15, v15, v18
	s_wait_kmcnt 0x0
	s_delay_alu instid0(VALU_DEP_1)
	v_mad_u32 v13, v15, s11, v13
	v_mad_u32 v12, v15, s10, v12
	v_mov_b32_e32 v15, v17
	s_cbranch_scc1 .LBB93_96
.LBB93_97:
	s_and_not1_b32 vcc_lo, exec_lo, s6
	s_cbranch_vccnz .LBB93_100
; %bb.98:
	s_clause 0x1
	s_load_b96 s[0:2], s[12:13], 0x4
	s_load_b64 s[4:5], s[12:13], 0xc4
	s_cmp_lt_u32 s28, 2
	s_wait_kmcnt 0x0
	v_mul_hi_u32 v12, s1, v1
	s_delay_alu instid0(VALU_DEP_1) | instskip(NEXT) | instid1(VALU_DEP_1)
	v_add_nc_u32_e32 v12, v1, v12
	v_lshrrev_b32_e32 v15, s2, v12
	s_delay_alu instid0(VALU_DEP_1) | instskip(NEXT) | instid1(VALU_DEP_1)
	v_mul_lo_u32 v12, v15, s0
	v_sub_nc_u32_e32 v1, v1, v12
	s_delay_alu instid0(VALU_DEP_1)
	v_mul_lo_u32 v13, v1, s5
	v_mul_lo_u32 v12, v1, s4
	s_cbranch_scc1 .LBB93_100
; %bb.99:
	s_clause 0x1
	s_load_b96 s[0:2], s[12:13], 0x10
	s_load_b64 s[4:5], s[12:13], 0xcc
	s_wait_kmcnt 0x0
	v_mul_hi_u32 v1, s1, v15
	s_delay_alu instid0(VALU_DEP_1) | instskip(NEXT) | instid1(VALU_DEP_1)
	v_add_nc_u32_e32 v1, v15, v1
	v_lshrrev_b32_e32 v1, s2, v1
	s_delay_alu instid0(VALU_DEP_1) | instskip(NEXT) | instid1(VALU_DEP_1)
	v_mul_lo_u32 v1, v1, s0
	v_sub_nc_u32_e32 v1, v15, v1
	s_delay_alu instid0(VALU_DEP_1)
	v_mad_u32 v12, v1, s4, v12
	v_mad_u32 v13, v1, s5, v13
.LBB93_100:
	v_cmp_ne_u32_e32 vcc_lo, 1, v14
	v_add_nc_u32_e32 v15, 0x300, v0
	s_cbranch_vccnz .LBB93_106
; %bb.101:
	s_cmp_lg_u32 s28, 0
	s_mov_b32 s6, 0
	s_cbranch_scc0 .LBB93_107
; %bb.102:
	s_min_u32 s1, s29, 15
	s_delay_alu instid0(SALU_CYCLE_1)
	s_add_co_i32 s1, s1, 1
	s_cmp_eq_u32 s29, 2
	s_cbranch_scc1 .LBB93_108
; %bb.103:
	v_dual_mov_b32 v0, 0 :: v_dual_mov_b32 v1, 0
	v_mov_b32_e32 v17, v15
	s_and_b32 s0, s1, 28
	s_add_nc_u64 s[2:3], s[12:13], 0xc4
	s_mov_b32 s7, 0
	s_mov_b64 s[4:5], s[12:13]
.LBB93_104:                             ; =>This Inner Loop Header: Depth=1
	s_clause 0x1
	s_load_b256 s[16:23], s[4:5], 0x4
	s_load_b128 s[8:11], s[4:5], 0x24
	s_load_b256 s[36:43], s[2:3], 0x0
	s_add_co_i32 s7, s7, 4
	s_wait_xcnt 0x0
	s_add_nc_u64 s[4:5], s[4:5], 48
	s_cmp_lg_u32 s0, s7
	s_add_nc_u64 s[2:3], s[2:3], 32
	s_wait_kmcnt 0x0
	v_mul_hi_u32 v18, s17, v17
	s_delay_alu instid0(VALU_DEP_1) | instskip(NEXT) | instid1(VALU_DEP_1)
	v_add_nc_u32_e32 v18, v17, v18
	v_lshrrev_b32_e32 v18, s18, v18
	s_delay_alu instid0(VALU_DEP_1) | instskip(NEXT) | instid1(VALU_DEP_1)
	v_mul_hi_u32 v19, s20, v18
	v_add_nc_u32_e32 v19, v18, v19
	s_delay_alu instid0(VALU_DEP_1) | instskip(NEXT) | instid1(VALU_DEP_1)
	v_lshrrev_b32_e32 v19, s21, v19
	v_mul_hi_u32 v20, s23, v19
	s_delay_alu instid0(VALU_DEP_1) | instskip(SKIP_1) | instid1(VALU_DEP_1)
	v_add_nc_u32_e32 v20, v19, v20
	v_mul_lo_u32 v21, v18, s16
	v_sub_nc_u32_e32 v17, v17, v21
	v_mul_lo_u32 v21, v19, s19
	s_delay_alu instid0(VALU_DEP_4) | instskip(NEXT) | instid1(VALU_DEP_3)
	v_lshrrev_b32_e32 v20, s8, v20
	v_mad_u32 v1, v17, s37, v1
	v_mad_u32 v0, v17, s36, v0
	s_delay_alu instid0(VALU_DEP_4) | instskip(NEXT) | instid1(VALU_DEP_4)
	v_sub_nc_u32_e32 v17, v18, v21
	v_mul_hi_u32 v22, s10, v20
	v_mul_lo_u32 v18, v20, s22
	s_delay_alu instid0(VALU_DEP_3) | instskip(SKIP_1) | instid1(VALU_DEP_4)
	v_mad_u32 v1, v17, s39, v1
	v_mad_u32 v0, v17, s38, v0
	v_add_nc_u32_e32 v21, v20, v22
	s_delay_alu instid0(VALU_DEP_1) | instskip(NEXT) | instid1(VALU_DEP_1)
	v_dual_sub_nc_u32 v18, v19, v18 :: v_dual_lshrrev_b32 v17, s11, v21
	v_mad_u32 v1, v18, s41, v1
	s_delay_alu instid0(VALU_DEP_4) | instskip(NEXT) | instid1(VALU_DEP_3)
	v_mad_u32 v0, v18, s40, v0
	v_mul_lo_u32 v19, v17, s9
	s_delay_alu instid0(VALU_DEP_1) | instskip(NEXT) | instid1(VALU_DEP_1)
	v_sub_nc_u32_e32 v18, v20, v19
	v_mad_u32 v1, v18, s43, v1
	s_delay_alu instid0(VALU_DEP_4)
	v_mad_u32 v0, v18, s42, v0
	s_cbranch_scc1 .LBB93_104
; %bb.105:
	s_and_b32 s4, s1, 3
	s_mov_b32 s1, 0
	s_cmp_eq_u32 s4, 0
	s_cbranch_scc0 .LBB93_109
	s_branch .LBB93_111
.LBB93_106:
	s_mov_b32 s6, -1
                                        ; implicit-def: $vgpr1
	s_branch .LBB93_111
.LBB93_107:
	v_dual_mov_b32 v1, 0 :: v_dual_mov_b32 v0, 0
	s_branch .LBB93_111
.LBB93_108:
	v_mov_b64_e32 v[0:1], 0
	v_mov_b32_e32 v17, v15
	s_mov_b32 s0, 0
	s_and_b32 s4, s1, 3
	s_mov_b32 s1, 0
	s_cmp_eq_u32 s4, 0
	s_cbranch_scc1 .LBB93_111
.LBB93_109:
	s_lshl_b32 s2, s0, 3
	s_mov_b32 s3, s1
	s_mul_u64 s[8:9], s[0:1], 12
	s_add_nc_u64 s[2:3], s[12:13], s[2:3]
	s_delay_alu instid0(SALU_CYCLE_1)
	s_add_nc_u64 s[0:1], s[2:3], 0xc4
	s_add_nc_u64 s[2:3], s[12:13], s[8:9]
.LBB93_110:                             ; =>This Inner Loop Header: Depth=1
	s_load_b96 s[8:10], s[2:3], 0x4
	s_add_co_i32 s4, s4, -1
	s_wait_xcnt 0x0
	s_add_nc_u64 s[2:3], s[2:3], 12
	s_cmp_lg_u32 s4, 0
	s_wait_kmcnt 0x0
	v_mul_hi_u32 v18, s9, v17
	s_delay_alu instid0(VALU_DEP_1) | instskip(NEXT) | instid1(VALU_DEP_1)
	v_add_nc_u32_e32 v18, v17, v18
	v_lshrrev_b32_e32 v18, s10, v18
	s_load_b64 s[10:11], s[0:1], 0x0
	s_wait_xcnt 0x0
	s_add_nc_u64 s[0:1], s[0:1], 8
	s_delay_alu instid0(VALU_DEP_1) | instskip(NEXT) | instid1(VALU_DEP_1)
	v_mul_lo_u32 v19, v18, s8
	v_sub_nc_u32_e32 v17, v17, v19
	s_wait_kmcnt 0x0
	s_delay_alu instid0(VALU_DEP_1)
	v_mad_u32 v1, v17, s11, v1
	v_mad_u32 v0, v17, s10, v0
	v_mov_b32_e32 v17, v18
	s_cbranch_scc1 .LBB93_110
.LBB93_111:
	s_and_not1_b32 vcc_lo, exec_lo, s6
	s_cbranch_vccnz .LBB93_114
; %bb.112:
	s_clause 0x1
	s_load_b96 s[0:2], s[12:13], 0x4
	s_load_b64 s[4:5], s[12:13], 0xc4
	s_cmp_lt_u32 s28, 2
	s_wait_kmcnt 0x0
	v_mul_hi_u32 v0, s1, v15
	s_delay_alu instid0(VALU_DEP_1) | instskip(NEXT) | instid1(VALU_DEP_1)
	v_add_nc_u32_e32 v0, v15, v0
	v_lshrrev_b32_e32 v17, s2, v0
	s_delay_alu instid0(VALU_DEP_1) | instskip(NEXT) | instid1(VALU_DEP_1)
	v_mul_lo_u32 v0, v17, s0
	v_sub_nc_u32_e32 v0, v15, v0
	s_delay_alu instid0(VALU_DEP_1)
	v_mul_lo_u32 v1, v0, s5
	v_mul_lo_u32 v0, v0, s4
	s_cbranch_scc1 .LBB93_114
; %bb.113:
	s_clause 0x1
	s_load_b96 s[0:2], s[12:13], 0x10
	s_load_b64 s[4:5], s[12:13], 0xcc
	s_wait_kmcnt 0x0
	v_mul_hi_u32 v15, s1, v17
	s_delay_alu instid0(VALU_DEP_1) | instskip(NEXT) | instid1(VALU_DEP_1)
	v_add_nc_u32_e32 v15, v17, v15
	v_lshrrev_b32_e32 v15, s2, v15
	s_delay_alu instid0(VALU_DEP_1) | instskip(NEXT) | instid1(VALU_DEP_1)
	v_mul_lo_u32 v15, v15, s0
	v_sub_nc_u32_e32 v15, v17, v15
	s_delay_alu instid0(VALU_DEP_1)
	v_mad_u32 v0, v15, s4, v0
	v_mad_u32 v1, v15, s5, v1
.LBB93_114:
	v_cmp_ne_u32_e32 vcc_lo, 1, v14
	s_cbranch_vccnz .LBB93_120
; %bb.115:
	s_cmp_lg_u32 s28, 0
	s_mov_b32 s6, 0
	s_cbranch_scc0 .LBB93_121
; %bb.116:
	s_min_u32 s1, s29, 15
	s_delay_alu instid0(SALU_CYCLE_1)
	s_add_co_i32 s1, s1, 1
	s_cmp_eq_u32 s29, 2
	s_cbranch_scc1 .LBB93_122
; %bb.117:
	v_dual_mov_b32 v14, 0 :: v_dual_mov_b32 v15, 0
	v_mov_b32_e32 v17, v16
	s_and_b32 s0, s1, 28
	s_add_nc_u64 s[2:3], s[12:13], 0xc4
	s_mov_b32 s7, 0
	s_mov_b64 s[4:5], s[12:13]
.LBB93_118:                             ; =>This Inner Loop Header: Depth=1
	s_clause 0x1
	s_load_b256 s[16:23], s[4:5], 0x4
	s_load_b128 s[8:11], s[4:5], 0x24
	s_load_b256 s[36:43], s[2:3], 0x0
	s_add_co_i32 s7, s7, 4
	s_wait_xcnt 0x0
	s_add_nc_u64 s[4:5], s[4:5], 48
	s_cmp_lg_u32 s0, s7
	s_add_nc_u64 s[2:3], s[2:3], 32
	s_wait_kmcnt 0x0
	v_mul_hi_u32 v18, s17, v17
	s_delay_alu instid0(VALU_DEP_1) | instskip(NEXT) | instid1(VALU_DEP_1)
	v_add_nc_u32_e32 v18, v17, v18
	v_lshrrev_b32_e32 v18, s18, v18
	s_delay_alu instid0(VALU_DEP_1) | instskip(NEXT) | instid1(VALU_DEP_1)
	v_mul_hi_u32 v19, s20, v18
	v_add_nc_u32_e32 v19, v18, v19
	s_delay_alu instid0(VALU_DEP_1) | instskip(NEXT) | instid1(VALU_DEP_1)
	v_lshrrev_b32_e32 v19, s21, v19
	v_mul_hi_u32 v20, s23, v19
	s_delay_alu instid0(VALU_DEP_1) | instskip(SKIP_1) | instid1(VALU_DEP_1)
	v_add_nc_u32_e32 v20, v19, v20
	v_mul_lo_u32 v21, v18, s16
	v_sub_nc_u32_e32 v17, v17, v21
	v_mul_lo_u32 v21, v19, s19
	s_delay_alu instid0(VALU_DEP_4) | instskip(NEXT) | instid1(VALU_DEP_3)
	v_lshrrev_b32_e32 v20, s8, v20
	v_mad_u32 v15, v17, s37, v15
	v_mad_u32 v14, v17, s36, v14
	s_delay_alu instid0(VALU_DEP_4) | instskip(NEXT) | instid1(VALU_DEP_4)
	v_sub_nc_u32_e32 v17, v18, v21
	v_mul_hi_u32 v22, s10, v20
	v_mul_lo_u32 v18, v20, s22
	s_delay_alu instid0(VALU_DEP_3) | instskip(SKIP_1) | instid1(VALU_DEP_4)
	v_mad_u32 v15, v17, s39, v15
	v_mad_u32 v14, v17, s38, v14
	v_add_nc_u32_e32 v21, v20, v22
	s_delay_alu instid0(VALU_DEP_1) | instskip(NEXT) | instid1(VALU_DEP_1)
	v_dual_sub_nc_u32 v18, v19, v18 :: v_dual_lshrrev_b32 v17, s11, v21
	v_mad_u32 v15, v18, s41, v15
	s_delay_alu instid0(VALU_DEP_4) | instskip(NEXT) | instid1(VALU_DEP_3)
	v_mad_u32 v14, v18, s40, v14
	v_mul_lo_u32 v19, v17, s9
	s_delay_alu instid0(VALU_DEP_1) | instskip(NEXT) | instid1(VALU_DEP_1)
	v_sub_nc_u32_e32 v18, v20, v19
	v_mad_u32 v15, v18, s43, v15
	s_delay_alu instid0(VALU_DEP_4)
	v_mad_u32 v14, v18, s42, v14
	s_cbranch_scc1 .LBB93_118
; %bb.119:
	s_and_b32 s4, s1, 3
	s_mov_b32 s1, 0
	s_cmp_eq_u32 s4, 0
	s_cbranch_scc0 .LBB93_123
	s_branch .LBB93_125
.LBB93_120:
	s_mov_b32 s6, -1
                                        ; implicit-def: $vgpr15
	s_branch .LBB93_125
.LBB93_121:
	v_dual_mov_b32 v15, 0 :: v_dual_mov_b32 v14, 0
	s_branch .LBB93_125
.LBB93_122:
	v_mov_b64_e32 v[14:15], 0
	v_mov_b32_e32 v17, v16
	s_mov_b32 s0, 0
	s_and_b32 s4, s1, 3
	s_mov_b32 s1, 0
	s_cmp_eq_u32 s4, 0
	s_cbranch_scc1 .LBB93_125
.LBB93_123:
	s_lshl_b32 s2, s0, 3
	s_mov_b32 s3, s1
	s_mul_u64 s[8:9], s[0:1], 12
	s_add_nc_u64 s[2:3], s[12:13], s[2:3]
	s_delay_alu instid0(SALU_CYCLE_1)
	s_add_nc_u64 s[0:1], s[2:3], 0xc4
	s_add_nc_u64 s[2:3], s[12:13], s[8:9]
.LBB93_124:                             ; =>This Inner Loop Header: Depth=1
	s_load_b96 s[8:10], s[2:3], 0x4
	s_add_co_i32 s4, s4, -1
	s_wait_xcnt 0x0
	s_add_nc_u64 s[2:3], s[2:3], 12
	s_cmp_lg_u32 s4, 0
	s_wait_kmcnt 0x0
	v_mul_hi_u32 v18, s9, v17
	s_delay_alu instid0(VALU_DEP_1) | instskip(NEXT) | instid1(VALU_DEP_1)
	v_add_nc_u32_e32 v18, v17, v18
	v_lshrrev_b32_e32 v18, s10, v18
	s_load_b64 s[10:11], s[0:1], 0x0
	s_wait_xcnt 0x0
	s_add_nc_u64 s[0:1], s[0:1], 8
	s_delay_alu instid0(VALU_DEP_1) | instskip(NEXT) | instid1(VALU_DEP_1)
	v_mul_lo_u32 v19, v18, s8
	v_sub_nc_u32_e32 v17, v17, v19
	s_wait_kmcnt 0x0
	s_delay_alu instid0(VALU_DEP_1)
	v_mad_u32 v15, v17, s11, v15
	v_mad_u32 v14, v17, s10, v14
	v_mov_b32_e32 v17, v18
	s_cbranch_scc1 .LBB93_124
.LBB93_125:
	s_and_not1_b32 vcc_lo, exec_lo, s6
	s_cbranch_vccnz .LBB93_128
; %bb.126:
	s_clause 0x1
	s_load_b96 s[0:2], s[12:13], 0x4
	s_load_b64 s[4:5], s[12:13], 0xc4
	s_cmp_lt_u32 s28, 2
	s_wait_kmcnt 0x0
	v_mul_hi_u32 v14, s1, v16
	s_delay_alu instid0(VALU_DEP_1) | instskip(NEXT) | instid1(VALU_DEP_1)
	v_add_nc_u32_e32 v14, v16, v14
	v_lshrrev_b32_e32 v17, s2, v14
	s_delay_alu instid0(VALU_DEP_1) | instskip(NEXT) | instid1(VALU_DEP_1)
	v_mul_lo_u32 v14, v17, s0
	v_sub_nc_u32_e32 v14, v16, v14
	s_delay_alu instid0(VALU_DEP_1)
	v_mul_lo_u32 v15, v14, s5
	v_mul_lo_u32 v14, v14, s4
	s_cbranch_scc1 .LBB93_128
; %bb.127:
	s_clause 0x1
	s_load_b96 s[0:2], s[12:13], 0x10
	s_load_b64 s[4:5], s[12:13], 0xcc
	s_wait_kmcnt 0x0
	v_mul_hi_u32 v16, s1, v17
	s_delay_alu instid0(VALU_DEP_1) | instskip(NEXT) | instid1(VALU_DEP_1)
	v_add_nc_u32_e32 v16, v17, v16
	v_lshrrev_b32_e32 v16, s2, v16
	s_delay_alu instid0(VALU_DEP_1) | instskip(NEXT) | instid1(VALU_DEP_1)
	v_mul_lo_u32 v16, v16, s0
	v_sub_nc_u32_e32 v16, v17, v16
	s_delay_alu instid0(VALU_DEP_1)
	v_mad_u32 v14, v16, s4, v14
	v_mad_u32 v15, v16, s5, v15
.LBB93_128:
	s_load_b128 s[0:3], s[12:13], 0x148
	s_wait_kmcnt 0x0
	s_clause 0x7
	global_load_u16 v16, v3, s[2:3]
	global_load_u16 v17, v5, s[2:3]
	;; [unrolled: 1-line block ×8, first 2 shown]
	s_wait_loadcnt 0x6
	s_wait_xcnt 0x1
	v_dual_lshlrev_b32 v1, 16, v16 :: v_dual_lshlrev_b32 v3, 16, v17
	s_wait_loadcnt 0x4
	v_dual_lshlrev_b32 v5, 16, v18 :: v_dual_lshlrev_b32 v7, 16, v19
	s_wait_loadcnt 0x2
	v_dual_lshlrev_b32 v9, 16, v20 :: v_dual_lshlrev_b32 v11, 16, v21
	v_cmp_eq_f32_e32 vcc_lo, 0xff800000, v1
	s_wait_loadcnt 0x0
	v_dual_lshlrev_b32 v13, 16, v22 :: v_dual_lshlrev_b32 v15, 16, v23
	v_cndmask_b32_e64 v1, 0, 1, vcc_lo
	v_cmp_eq_f32_e32 vcc_lo, 0xff800000, v3
	v_cndmask_b32_e64 v3, 0, 1, vcc_lo
	v_cmp_eq_f32_e32 vcc_lo, 0xff800000, v5
	;; [unrolled: 2-line block ×7, first 2 shown]
	v_cndmask_b32_e64 v15, 0, 1, vcc_lo
	s_clause 0x7
	global_store_b8 v2, v1, s[0:1]
	global_store_b8 v4, v3, s[0:1]
	;; [unrolled: 1-line block ×8, first 2 shown]
	s_endpgm
.LBB93_129:
	v_dual_mov_b32 v3, 0 :: v_dual_mov_b32 v2, 0
	s_branch .LBB93_135
.LBB93_130:
	v_dual_mov_b32 v3, 0 :: v_dual_mov_b32 v2, 0
	s_branch .LBB93_151
.LBB93_131:
	v_mov_b64_e32 v[2:3], 0
	v_mov_b32_e32 v1, v0
	s_mov_b32 s22, 0
.LBB93_132:
	s_and_b32 s14, s14, 3
	s_mov_b32 s23, 0
	s_cmp_eq_u32 s14, 0
	s_cbranch_scc1 .LBB93_135
; %bb.133:
	s_lshl_b32 s24, s22, 3
	s_mov_b32 s25, s23
	s_mul_u64 s[26:27], s[22:23], 12
	s_add_nc_u64 s[24:25], s[12:13], s[24:25]
	s_delay_alu instid0(SALU_CYCLE_1)
	s_add_nc_u64 s[22:23], s[24:25], 0xc4
	s_add_nc_u64 s[24:25], s[12:13], s[26:27]
.LBB93_134:                             ; =>This Inner Loop Header: Depth=1
	s_load_b96 s[40:42], s[24:25], 0x4
	s_load_b64 s[26:27], s[22:23], 0x0
	s_add_co_i32 s14, s14, -1
	s_wait_xcnt 0x0
	s_add_nc_u64 s[24:25], s[24:25], 12
	s_cmp_lg_u32 s14, 0
	s_add_nc_u64 s[22:23], s[22:23], 8
	s_wait_kmcnt 0x0
	v_mul_hi_u32 v4, s41, v1
	s_delay_alu instid0(VALU_DEP_1) | instskip(NEXT) | instid1(VALU_DEP_1)
	v_add_nc_u32_e32 v4, v1, v4
	v_lshrrev_b32_e32 v4, s42, v4
	s_delay_alu instid0(VALU_DEP_1) | instskip(NEXT) | instid1(VALU_DEP_1)
	v_mul_lo_u32 v5, v4, s40
	v_sub_nc_u32_e32 v1, v1, v5
	s_delay_alu instid0(VALU_DEP_1)
	v_mad_u32 v3, v1, s27, v3
	v_mad_u32 v2, v1, s26, v2
	v_mov_b32_e32 v1, v4
	s_cbranch_scc1 .LBB93_134
.LBB93_135:
	s_cbranch_execnz .LBB93_138
.LBB93_136:
	v_mov_b32_e32 v1, 0
	s_and_not1_b32 vcc_lo, exec_lo, s33
	s_delay_alu instid0(VALU_DEP_1) | instskip(NEXT) | instid1(VALU_DEP_1)
	v_mul_u64_e32 v[2:3], s[16:17], v[0:1]
	v_add_nc_u32_e32 v2, v0, v3
	s_delay_alu instid0(VALU_DEP_1) | instskip(NEXT) | instid1(VALU_DEP_1)
	v_lshrrev_b32_e32 v4, s6, v2
	v_mul_lo_u32 v2, v4, s4
	s_delay_alu instid0(VALU_DEP_1) | instskip(NEXT) | instid1(VALU_DEP_1)
	v_sub_nc_u32_e32 v2, v0, v2
	v_mul_lo_u32 v3, v2, s9
	v_mul_lo_u32 v2, v2, s8
	s_cbranch_vccnz .LBB93_138
; %bb.137:
	v_mov_b32_e32 v5, v1
	s_delay_alu instid0(VALU_DEP_1) | instskip(NEXT) | instid1(VALU_DEP_1)
	v_mul_u64_e32 v[6:7], s[18:19], v[4:5]
	v_add_nc_u32_e32 v1, v4, v7
	s_delay_alu instid0(VALU_DEP_1) | instskip(NEXT) | instid1(VALU_DEP_1)
	v_lshrrev_b32_e32 v1, s15, v1
	v_mul_lo_u32 v1, v1, s7
	s_delay_alu instid0(VALU_DEP_1) | instskip(NEXT) | instid1(VALU_DEP_1)
	v_sub_nc_u32_e32 v1, v4, v1
	v_mad_u32 v2, v1, s10, v2
	v_mad_u32 v3, v1, s11, v3
.LBB93_138:
	global_load_u16 v1, v3, s[2:3]
	v_add_nc_u32_e32 v0, 0x80, v0
	s_wait_loadcnt 0x0
	v_lshlrev_b32_e32 v1, 16, v1
	s_delay_alu instid0(VALU_DEP_1) | instskip(SKIP_4) | instid1(SALU_CYCLE_1)
	v_cmp_eq_f32_e32 vcc_lo, 0xff800000, v1
	v_cndmask_b32_e64 v1, 0, 1, vcc_lo
	global_store_b8 v2, v1, s[0:1]
	s_wait_xcnt 0x0
	s_or_b32 exec_lo, exec_lo, s5
	s_mov_b32 s5, exec_lo
	v_cmpx_gt_i32_e64 s34, v0
	s_cbranch_execnz .LBB93_15
.LBB93_139:
	s_or_b32 exec_lo, exec_lo, s5
	s_delay_alu instid0(SALU_CYCLE_1)
	s_mov_b32 s5, exec_lo
	v_cmpx_gt_i32_e64 s34, v0
	s_cbranch_execz .LBB93_155
.LBB93_140:
	s_and_not1_b32 vcc_lo, exec_lo, s30
	s_cbranch_vccnz .LBB93_145
; %bb.141:
	s_and_not1_b32 vcc_lo, exec_lo, s36
	s_cbranch_vccnz .LBB93_146
; %bb.142:
	s_add_co_i32 s14, s35, 1
	s_cmp_eq_u32 s29, 2
	s_cbranch_scc1 .LBB93_163
; %bb.143:
	v_dual_mov_b32 v2, 0 :: v_dual_mov_b32 v3, 0
	v_mov_b32_e32 v1, v0
	s_and_b32 s22, s14, 28
	s_mov_b32 s23, 0
	s_mov_b64 s[24:25], s[12:13]
	s_mov_b64 s[26:27], s[20:21]
.LBB93_144:                             ; =>This Inner Loop Header: Depth=1
	s_clause 0x1
	s_load_b256 s[40:47], s[24:25], 0x4
	s_load_b128 s[56:59], s[24:25], 0x24
	s_load_b256 s[48:55], s[26:27], 0x0
	s_add_co_i32 s23, s23, 4
	s_wait_xcnt 0x0
	s_add_nc_u64 s[24:25], s[24:25], 48
	s_cmp_eq_u32 s22, s23
	s_add_nc_u64 s[26:27], s[26:27], 32
	s_wait_kmcnt 0x0
	v_mul_hi_u32 v4, s41, v1
	s_delay_alu instid0(VALU_DEP_1) | instskip(NEXT) | instid1(VALU_DEP_1)
	v_add_nc_u32_e32 v4, v1, v4
	v_lshrrev_b32_e32 v4, s42, v4
	s_delay_alu instid0(VALU_DEP_1) | instskip(NEXT) | instid1(VALU_DEP_1)
	v_mul_hi_u32 v5, s44, v4
	v_add_nc_u32_e32 v5, v4, v5
	s_delay_alu instid0(VALU_DEP_1) | instskip(NEXT) | instid1(VALU_DEP_1)
	v_lshrrev_b32_e32 v5, s45, v5
	v_mul_hi_u32 v6, s47, v5
	s_delay_alu instid0(VALU_DEP_1) | instskip(SKIP_1) | instid1(VALU_DEP_1)
	v_add_nc_u32_e32 v6, v5, v6
	v_mul_lo_u32 v7, v4, s40
	v_sub_nc_u32_e32 v1, v1, v7
	v_mul_lo_u32 v7, v5, s43
	s_delay_alu instid0(VALU_DEP_4) | instskip(NEXT) | instid1(VALU_DEP_3)
	v_lshrrev_b32_e32 v6, s56, v6
	v_mad_u32 v3, v1, s49, v3
	v_mad_u32 v1, v1, s48, v2
	s_delay_alu instid0(VALU_DEP_4) | instskip(NEXT) | instid1(VALU_DEP_4)
	v_sub_nc_u32_e32 v2, v4, v7
	v_mul_hi_u32 v8, s58, v6
	v_mul_lo_u32 v4, v6, s46
	s_delay_alu instid0(VALU_DEP_3) | instskip(SKIP_1) | instid1(VALU_DEP_4)
	v_mad_u32 v3, v2, s51, v3
	v_mad_u32 v2, v2, s50, v1
	v_add_nc_u32_e32 v7, v6, v8
	s_delay_alu instid0(VALU_DEP_1) | instskip(NEXT) | instid1(VALU_DEP_1)
	v_dual_sub_nc_u32 v4, v5, v4 :: v_dual_lshrrev_b32 v1, s59, v7
	v_mad_u32 v3, v4, s53, v3
	s_delay_alu instid0(VALU_DEP_4) | instskip(NEXT) | instid1(VALU_DEP_3)
	v_mad_u32 v2, v4, s52, v2
	v_mul_lo_u32 v5, v1, s57
	s_delay_alu instid0(VALU_DEP_1) | instskip(NEXT) | instid1(VALU_DEP_1)
	v_sub_nc_u32_e32 v4, v6, v5
	v_mad_u32 v3, v4, s55, v3
	s_delay_alu instid0(VALU_DEP_4)
	v_mad_u32 v2, v4, s54, v2
	s_cbranch_scc0 .LBB93_144
	s_branch .LBB93_164
.LBB93_145:
                                        ; implicit-def: $vgpr3
	s_branch .LBB93_168
.LBB93_146:
	v_dual_mov_b32 v3, 0 :: v_dual_mov_b32 v2, 0
	s_branch .LBB93_167
.LBB93_147:
	v_mov_b64_e32 v[2:3], 0
	v_mov_b32_e32 v1, v0
	s_mov_b32 s22, 0
.LBB93_148:
	s_and_b32 s14, s14, 3
	s_mov_b32 s23, 0
	s_cmp_eq_u32 s14, 0
	s_cbranch_scc1 .LBB93_151
; %bb.149:
	s_lshl_b32 s24, s22, 3
	s_mov_b32 s25, s23
	s_mul_u64 s[26:27], s[22:23], 12
	s_add_nc_u64 s[24:25], s[12:13], s[24:25]
	s_delay_alu instid0(SALU_CYCLE_1)
	s_add_nc_u64 s[22:23], s[24:25], 0xc4
	s_add_nc_u64 s[24:25], s[12:13], s[26:27]
.LBB93_150:                             ; =>This Inner Loop Header: Depth=1
	s_load_b96 s[40:42], s[24:25], 0x4
	s_load_b64 s[26:27], s[22:23], 0x0
	s_add_co_i32 s14, s14, -1
	s_wait_xcnt 0x0
	s_add_nc_u64 s[24:25], s[24:25], 12
	s_cmp_lg_u32 s14, 0
	s_add_nc_u64 s[22:23], s[22:23], 8
	s_wait_kmcnt 0x0
	v_mul_hi_u32 v4, s41, v1
	s_delay_alu instid0(VALU_DEP_1) | instskip(NEXT) | instid1(VALU_DEP_1)
	v_add_nc_u32_e32 v4, v1, v4
	v_lshrrev_b32_e32 v4, s42, v4
	s_delay_alu instid0(VALU_DEP_1) | instskip(NEXT) | instid1(VALU_DEP_1)
	v_mul_lo_u32 v5, v4, s40
	v_sub_nc_u32_e32 v1, v1, v5
	s_delay_alu instid0(VALU_DEP_1)
	v_mad_u32 v3, v1, s27, v3
	v_mad_u32 v2, v1, s26, v2
	v_mov_b32_e32 v1, v4
	s_cbranch_scc1 .LBB93_150
.LBB93_151:
	s_cbranch_execnz .LBB93_154
.LBB93_152:
	v_mov_b32_e32 v1, 0
	s_and_not1_b32 vcc_lo, exec_lo, s33
	s_delay_alu instid0(VALU_DEP_1) | instskip(NEXT) | instid1(VALU_DEP_1)
	v_mul_u64_e32 v[2:3], s[16:17], v[0:1]
	v_add_nc_u32_e32 v2, v0, v3
	s_delay_alu instid0(VALU_DEP_1) | instskip(NEXT) | instid1(VALU_DEP_1)
	v_lshrrev_b32_e32 v4, s6, v2
	v_mul_lo_u32 v2, v4, s4
	s_delay_alu instid0(VALU_DEP_1) | instskip(NEXT) | instid1(VALU_DEP_1)
	v_sub_nc_u32_e32 v2, v0, v2
	v_mul_lo_u32 v3, v2, s9
	v_mul_lo_u32 v2, v2, s8
	s_cbranch_vccnz .LBB93_154
; %bb.153:
	v_mov_b32_e32 v5, v1
	s_delay_alu instid0(VALU_DEP_1) | instskip(NEXT) | instid1(VALU_DEP_1)
	v_mul_u64_e32 v[6:7], s[18:19], v[4:5]
	v_add_nc_u32_e32 v1, v4, v7
	s_delay_alu instid0(VALU_DEP_1) | instskip(NEXT) | instid1(VALU_DEP_1)
	v_lshrrev_b32_e32 v1, s15, v1
	v_mul_lo_u32 v1, v1, s7
	s_delay_alu instid0(VALU_DEP_1) | instskip(NEXT) | instid1(VALU_DEP_1)
	v_sub_nc_u32_e32 v1, v4, v1
	v_mad_u32 v2, v1, s10, v2
	v_mad_u32 v3, v1, s11, v3
.LBB93_154:
	global_load_u16 v1, v3, s[2:3]
	v_add_nc_u32_e32 v0, 0x80, v0
	s_wait_loadcnt 0x0
	v_lshlrev_b32_e32 v1, 16, v1
	s_delay_alu instid0(VALU_DEP_1) | instskip(SKIP_4) | instid1(SALU_CYCLE_1)
	v_cmp_eq_f32_e32 vcc_lo, 0xff800000, v1
	v_cndmask_b32_e64 v1, 0, 1, vcc_lo
	global_store_b8 v2, v1, s[0:1]
	s_wait_xcnt 0x0
	s_or_b32 exec_lo, exec_lo, s5
	s_mov_b32 s5, exec_lo
	v_cmpx_gt_i32_e64 s34, v0
	s_cbranch_execnz .LBB93_140
.LBB93_155:
	s_or_b32 exec_lo, exec_lo, s5
	s_delay_alu instid0(SALU_CYCLE_1)
	s_mov_b32 s5, exec_lo
	v_cmpx_gt_i32_e64 s34, v0
	s_cbranch_execz .LBB93_171
.LBB93_156:
	s_and_not1_b32 vcc_lo, exec_lo, s30
	s_cbranch_vccnz .LBB93_161
; %bb.157:
	s_and_not1_b32 vcc_lo, exec_lo, s36
	s_cbranch_vccnz .LBB93_162
; %bb.158:
	s_add_co_i32 s14, s35, 1
	s_cmp_eq_u32 s29, 2
	s_cbranch_scc1 .LBB93_179
; %bb.159:
	v_dual_mov_b32 v2, 0 :: v_dual_mov_b32 v3, 0
	v_mov_b32_e32 v1, v0
	s_and_b32 s22, s14, 28
	s_mov_b32 s23, 0
	s_mov_b64 s[24:25], s[12:13]
	s_mov_b64 s[26:27], s[20:21]
.LBB93_160:                             ; =>This Inner Loop Header: Depth=1
	s_clause 0x1
	s_load_b256 s[40:47], s[24:25], 0x4
	s_load_b128 s[56:59], s[24:25], 0x24
	s_load_b256 s[48:55], s[26:27], 0x0
	s_add_co_i32 s23, s23, 4
	s_wait_xcnt 0x0
	s_add_nc_u64 s[24:25], s[24:25], 48
	s_cmp_eq_u32 s22, s23
	s_add_nc_u64 s[26:27], s[26:27], 32
	s_wait_kmcnt 0x0
	v_mul_hi_u32 v4, s41, v1
	s_delay_alu instid0(VALU_DEP_1) | instskip(NEXT) | instid1(VALU_DEP_1)
	v_add_nc_u32_e32 v4, v1, v4
	v_lshrrev_b32_e32 v4, s42, v4
	s_delay_alu instid0(VALU_DEP_1) | instskip(NEXT) | instid1(VALU_DEP_1)
	v_mul_hi_u32 v5, s44, v4
	v_add_nc_u32_e32 v5, v4, v5
	s_delay_alu instid0(VALU_DEP_1) | instskip(NEXT) | instid1(VALU_DEP_1)
	v_lshrrev_b32_e32 v5, s45, v5
	v_mul_hi_u32 v6, s47, v5
	s_delay_alu instid0(VALU_DEP_1) | instskip(SKIP_1) | instid1(VALU_DEP_1)
	v_add_nc_u32_e32 v6, v5, v6
	v_mul_lo_u32 v7, v4, s40
	v_sub_nc_u32_e32 v1, v1, v7
	v_mul_lo_u32 v7, v5, s43
	s_delay_alu instid0(VALU_DEP_4) | instskip(NEXT) | instid1(VALU_DEP_3)
	v_lshrrev_b32_e32 v6, s56, v6
	v_mad_u32 v3, v1, s49, v3
	v_mad_u32 v1, v1, s48, v2
	s_delay_alu instid0(VALU_DEP_4) | instskip(NEXT) | instid1(VALU_DEP_4)
	v_sub_nc_u32_e32 v2, v4, v7
	v_mul_hi_u32 v8, s58, v6
	v_mul_lo_u32 v4, v6, s46
	s_delay_alu instid0(VALU_DEP_3) | instskip(SKIP_1) | instid1(VALU_DEP_4)
	v_mad_u32 v3, v2, s51, v3
	v_mad_u32 v2, v2, s50, v1
	v_add_nc_u32_e32 v7, v6, v8
	s_delay_alu instid0(VALU_DEP_1) | instskip(NEXT) | instid1(VALU_DEP_1)
	v_dual_sub_nc_u32 v4, v5, v4 :: v_dual_lshrrev_b32 v1, s59, v7
	v_mad_u32 v3, v4, s53, v3
	s_delay_alu instid0(VALU_DEP_4) | instskip(NEXT) | instid1(VALU_DEP_3)
	v_mad_u32 v2, v4, s52, v2
	v_mul_lo_u32 v5, v1, s57
	s_delay_alu instid0(VALU_DEP_1) | instskip(NEXT) | instid1(VALU_DEP_1)
	v_sub_nc_u32_e32 v4, v6, v5
	v_mad_u32 v3, v4, s55, v3
	s_delay_alu instid0(VALU_DEP_4)
	v_mad_u32 v2, v4, s54, v2
	s_cbranch_scc0 .LBB93_160
	s_branch .LBB93_180
.LBB93_161:
                                        ; implicit-def: $vgpr3
	s_branch .LBB93_184
.LBB93_162:
	v_dual_mov_b32 v3, 0 :: v_dual_mov_b32 v2, 0
	s_branch .LBB93_183
.LBB93_163:
	v_mov_b64_e32 v[2:3], 0
	v_mov_b32_e32 v1, v0
	s_mov_b32 s22, 0
.LBB93_164:
	s_and_b32 s14, s14, 3
	s_mov_b32 s23, 0
	s_cmp_eq_u32 s14, 0
	s_cbranch_scc1 .LBB93_167
; %bb.165:
	s_lshl_b32 s24, s22, 3
	s_mov_b32 s25, s23
	s_mul_u64 s[26:27], s[22:23], 12
	s_add_nc_u64 s[24:25], s[12:13], s[24:25]
	s_delay_alu instid0(SALU_CYCLE_1)
	s_add_nc_u64 s[22:23], s[24:25], 0xc4
	s_add_nc_u64 s[24:25], s[12:13], s[26:27]
.LBB93_166:                             ; =>This Inner Loop Header: Depth=1
	s_load_b96 s[40:42], s[24:25], 0x4
	s_load_b64 s[26:27], s[22:23], 0x0
	s_add_co_i32 s14, s14, -1
	s_wait_xcnt 0x0
	s_add_nc_u64 s[24:25], s[24:25], 12
	s_cmp_lg_u32 s14, 0
	s_add_nc_u64 s[22:23], s[22:23], 8
	s_wait_kmcnt 0x0
	v_mul_hi_u32 v4, s41, v1
	s_delay_alu instid0(VALU_DEP_1) | instskip(NEXT) | instid1(VALU_DEP_1)
	v_add_nc_u32_e32 v4, v1, v4
	v_lshrrev_b32_e32 v4, s42, v4
	s_delay_alu instid0(VALU_DEP_1) | instskip(NEXT) | instid1(VALU_DEP_1)
	v_mul_lo_u32 v5, v4, s40
	v_sub_nc_u32_e32 v1, v1, v5
	s_delay_alu instid0(VALU_DEP_1)
	v_mad_u32 v3, v1, s27, v3
	v_mad_u32 v2, v1, s26, v2
	v_mov_b32_e32 v1, v4
	s_cbranch_scc1 .LBB93_166
.LBB93_167:
	s_cbranch_execnz .LBB93_170
.LBB93_168:
	v_mov_b32_e32 v1, 0
	s_and_not1_b32 vcc_lo, exec_lo, s33
	s_delay_alu instid0(VALU_DEP_1) | instskip(NEXT) | instid1(VALU_DEP_1)
	v_mul_u64_e32 v[2:3], s[16:17], v[0:1]
	v_add_nc_u32_e32 v2, v0, v3
	s_delay_alu instid0(VALU_DEP_1) | instskip(NEXT) | instid1(VALU_DEP_1)
	v_lshrrev_b32_e32 v4, s6, v2
	v_mul_lo_u32 v2, v4, s4
	s_delay_alu instid0(VALU_DEP_1) | instskip(NEXT) | instid1(VALU_DEP_1)
	v_sub_nc_u32_e32 v2, v0, v2
	v_mul_lo_u32 v3, v2, s9
	v_mul_lo_u32 v2, v2, s8
	s_cbranch_vccnz .LBB93_170
; %bb.169:
	v_mov_b32_e32 v5, v1
	s_delay_alu instid0(VALU_DEP_1) | instskip(NEXT) | instid1(VALU_DEP_1)
	v_mul_u64_e32 v[6:7], s[18:19], v[4:5]
	v_add_nc_u32_e32 v1, v4, v7
	s_delay_alu instid0(VALU_DEP_1) | instskip(NEXT) | instid1(VALU_DEP_1)
	v_lshrrev_b32_e32 v1, s15, v1
	v_mul_lo_u32 v1, v1, s7
	s_delay_alu instid0(VALU_DEP_1) | instskip(NEXT) | instid1(VALU_DEP_1)
	v_sub_nc_u32_e32 v1, v4, v1
	v_mad_u32 v2, v1, s10, v2
	v_mad_u32 v3, v1, s11, v3
.LBB93_170:
	global_load_u16 v1, v3, s[2:3]
	v_add_nc_u32_e32 v0, 0x80, v0
	s_wait_loadcnt 0x0
	v_lshlrev_b32_e32 v1, 16, v1
	s_delay_alu instid0(VALU_DEP_1) | instskip(SKIP_4) | instid1(SALU_CYCLE_1)
	v_cmp_eq_f32_e32 vcc_lo, 0xff800000, v1
	v_cndmask_b32_e64 v1, 0, 1, vcc_lo
	global_store_b8 v2, v1, s[0:1]
	s_wait_xcnt 0x0
	s_or_b32 exec_lo, exec_lo, s5
	s_mov_b32 s5, exec_lo
	v_cmpx_gt_i32_e64 s34, v0
	s_cbranch_execnz .LBB93_156
.LBB93_171:
	s_or_b32 exec_lo, exec_lo, s5
	s_delay_alu instid0(SALU_CYCLE_1)
	s_mov_b32 s5, exec_lo
	v_cmpx_gt_i32_e64 s34, v0
	s_cbranch_execz .LBB93_187
.LBB93_172:
	s_and_not1_b32 vcc_lo, exec_lo, s30
	s_cbranch_vccnz .LBB93_177
; %bb.173:
	s_and_not1_b32 vcc_lo, exec_lo, s36
	s_cbranch_vccnz .LBB93_178
; %bb.174:
	s_add_co_i32 s14, s35, 1
	s_cmp_eq_u32 s29, 2
	s_cbranch_scc1 .LBB93_195
; %bb.175:
	v_dual_mov_b32 v2, 0 :: v_dual_mov_b32 v3, 0
	v_mov_b32_e32 v1, v0
	s_and_b32 s22, s14, 28
	s_mov_b32 s23, 0
	s_mov_b64 s[24:25], s[12:13]
	s_mov_b64 s[26:27], s[20:21]
.LBB93_176:                             ; =>This Inner Loop Header: Depth=1
	s_clause 0x1
	s_load_b256 s[40:47], s[24:25], 0x4
	s_load_b128 s[56:59], s[24:25], 0x24
	s_load_b256 s[48:55], s[26:27], 0x0
	s_add_co_i32 s23, s23, 4
	s_wait_xcnt 0x0
	s_add_nc_u64 s[24:25], s[24:25], 48
	s_cmp_eq_u32 s22, s23
	s_add_nc_u64 s[26:27], s[26:27], 32
	s_wait_kmcnt 0x0
	v_mul_hi_u32 v4, s41, v1
	s_delay_alu instid0(VALU_DEP_1) | instskip(NEXT) | instid1(VALU_DEP_1)
	v_add_nc_u32_e32 v4, v1, v4
	v_lshrrev_b32_e32 v4, s42, v4
	s_delay_alu instid0(VALU_DEP_1) | instskip(NEXT) | instid1(VALU_DEP_1)
	v_mul_hi_u32 v5, s44, v4
	v_add_nc_u32_e32 v5, v4, v5
	s_delay_alu instid0(VALU_DEP_1) | instskip(NEXT) | instid1(VALU_DEP_1)
	v_lshrrev_b32_e32 v5, s45, v5
	v_mul_hi_u32 v6, s47, v5
	s_delay_alu instid0(VALU_DEP_1) | instskip(SKIP_1) | instid1(VALU_DEP_1)
	v_add_nc_u32_e32 v6, v5, v6
	v_mul_lo_u32 v7, v4, s40
	v_sub_nc_u32_e32 v1, v1, v7
	v_mul_lo_u32 v7, v5, s43
	s_delay_alu instid0(VALU_DEP_4) | instskip(NEXT) | instid1(VALU_DEP_3)
	v_lshrrev_b32_e32 v6, s56, v6
	v_mad_u32 v3, v1, s49, v3
	v_mad_u32 v1, v1, s48, v2
	s_delay_alu instid0(VALU_DEP_4) | instskip(NEXT) | instid1(VALU_DEP_4)
	v_sub_nc_u32_e32 v2, v4, v7
	v_mul_hi_u32 v8, s58, v6
	v_mul_lo_u32 v4, v6, s46
	s_delay_alu instid0(VALU_DEP_3) | instskip(SKIP_1) | instid1(VALU_DEP_4)
	v_mad_u32 v3, v2, s51, v3
	v_mad_u32 v2, v2, s50, v1
	v_add_nc_u32_e32 v7, v6, v8
	s_delay_alu instid0(VALU_DEP_1) | instskip(NEXT) | instid1(VALU_DEP_1)
	v_dual_sub_nc_u32 v4, v5, v4 :: v_dual_lshrrev_b32 v1, s59, v7
	v_mad_u32 v3, v4, s53, v3
	s_delay_alu instid0(VALU_DEP_4) | instskip(NEXT) | instid1(VALU_DEP_3)
	v_mad_u32 v2, v4, s52, v2
	v_mul_lo_u32 v5, v1, s57
	s_delay_alu instid0(VALU_DEP_1) | instskip(NEXT) | instid1(VALU_DEP_1)
	v_sub_nc_u32_e32 v4, v6, v5
	v_mad_u32 v3, v4, s55, v3
	s_delay_alu instid0(VALU_DEP_4)
	v_mad_u32 v2, v4, s54, v2
	s_cbranch_scc0 .LBB93_176
	s_branch .LBB93_196
.LBB93_177:
                                        ; implicit-def: $vgpr3
	s_branch .LBB93_200
.LBB93_178:
	v_dual_mov_b32 v3, 0 :: v_dual_mov_b32 v2, 0
	s_branch .LBB93_199
.LBB93_179:
	v_mov_b64_e32 v[2:3], 0
	v_mov_b32_e32 v1, v0
	s_mov_b32 s22, 0
.LBB93_180:
	s_and_b32 s14, s14, 3
	s_mov_b32 s23, 0
	s_cmp_eq_u32 s14, 0
	s_cbranch_scc1 .LBB93_183
; %bb.181:
	s_lshl_b32 s24, s22, 3
	s_mov_b32 s25, s23
	s_mul_u64 s[26:27], s[22:23], 12
	s_add_nc_u64 s[24:25], s[12:13], s[24:25]
	s_delay_alu instid0(SALU_CYCLE_1)
	s_add_nc_u64 s[22:23], s[24:25], 0xc4
	s_add_nc_u64 s[24:25], s[12:13], s[26:27]
.LBB93_182:                             ; =>This Inner Loop Header: Depth=1
	s_load_b96 s[40:42], s[24:25], 0x4
	s_load_b64 s[26:27], s[22:23], 0x0
	s_add_co_i32 s14, s14, -1
	s_wait_xcnt 0x0
	s_add_nc_u64 s[24:25], s[24:25], 12
	s_cmp_lg_u32 s14, 0
	s_add_nc_u64 s[22:23], s[22:23], 8
	s_wait_kmcnt 0x0
	v_mul_hi_u32 v4, s41, v1
	s_delay_alu instid0(VALU_DEP_1) | instskip(NEXT) | instid1(VALU_DEP_1)
	v_add_nc_u32_e32 v4, v1, v4
	v_lshrrev_b32_e32 v4, s42, v4
	s_delay_alu instid0(VALU_DEP_1) | instskip(NEXT) | instid1(VALU_DEP_1)
	v_mul_lo_u32 v5, v4, s40
	v_sub_nc_u32_e32 v1, v1, v5
	s_delay_alu instid0(VALU_DEP_1)
	v_mad_u32 v3, v1, s27, v3
	v_mad_u32 v2, v1, s26, v2
	v_mov_b32_e32 v1, v4
	s_cbranch_scc1 .LBB93_182
.LBB93_183:
	s_cbranch_execnz .LBB93_186
.LBB93_184:
	v_mov_b32_e32 v1, 0
	s_and_not1_b32 vcc_lo, exec_lo, s33
	s_delay_alu instid0(VALU_DEP_1) | instskip(NEXT) | instid1(VALU_DEP_1)
	v_mul_u64_e32 v[2:3], s[16:17], v[0:1]
	v_add_nc_u32_e32 v2, v0, v3
	s_delay_alu instid0(VALU_DEP_1) | instskip(NEXT) | instid1(VALU_DEP_1)
	v_lshrrev_b32_e32 v4, s6, v2
	v_mul_lo_u32 v2, v4, s4
	s_delay_alu instid0(VALU_DEP_1) | instskip(NEXT) | instid1(VALU_DEP_1)
	v_sub_nc_u32_e32 v2, v0, v2
	v_mul_lo_u32 v3, v2, s9
	v_mul_lo_u32 v2, v2, s8
	s_cbranch_vccnz .LBB93_186
; %bb.185:
	v_mov_b32_e32 v5, v1
	s_delay_alu instid0(VALU_DEP_1) | instskip(NEXT) | instid1(VALU_DEP_1)
	v_mul_u64_e32 v[6:7], s[18:19], v[4:5]
	v_add_nc_u32_e32 v1, v4, v7
	s_delay_alu instid0(VALU_DEP_1) | instskip(NEXT) | instid1(VALU_DEP_1)
	v_lshrrev_b32_e32 v1, s15, v1
	v_mul_lo_u32 v1, v1, s7
	s_delay_alu instid0(VALU_DEP_1) | instskip(NEXT) | instid1(VALU_DEP_1)
	v_sub_nc_u32_e32 v1, v4, v1
	v_mad_u32 v2, v1, s10, v2
	v_mad_u32 v3, v1, s11, v3
.LBB93_186:
	global_load_u16 v1, v3, s[2:3]
	v_add_nc_u32_e32 v0, 0x80, v0
	s_wait_loadcnt 0x0
	v_lshlrev_b32_e32 v1, 16, v1
	s_delay_alu instid0(VALU_DEP_1) | instskip(SKIP_4) | instid1(SALU_CYCLE_1)
	v_cmp_eq_f32_e32 vcc_lo, 0xff800000, v1
	v_cndmask_b32_e64 v1, 0, 1, vcc_lo
	global_store_b8 v2, v1, s[0:1]
	s_wait_xcnt 0x0
	s_or_b32 exec_lo, exec_lo, s5
	s_mov_b32 s5, exec_lo
	v_cmpx_gt_i32_e64 s34, v0
	s_cbranch_execnz .LBB93_172
.LBB93_187:
	s_or_b32 exec_lo, exec_lo, s5
	s_delay_alu instid0(SALU_CYCLE_1)
	s_mov_b32 s5, exec_lo
	v_cmpx_gt_i32_e64 s34, v0
	s_cbranch_execz .LBB93_203
.LBB93_188:
	s_and_not1_b32 vcc_lo, exec_lo, s30
	s_cbranch_vccnz .LBB93_193
; %bb.189:
	s_and_not1_b32 vcc_lo, exec_lo, s36
	s_cbranch_vccnz .LBB93_194
; %bb.190:
	s_add_co_i32 s14, s35, 1
	s_cmp_eq_u32 s29, 2
	s_cbranch_scc1 .LBB93_211
; %bb.191:
	v_dual_mov_b32 v2, 0 :: v_dual_mov_b32 v3, 0
	v_mov_b32_e32 v1, v0
	s_and_b32 s22, s14, 28
	s_mov_b32 s23, 0
	s_mov_b64 s[24:25], s[12:13]
	s_mov_b64 s[26:27], s[20:21]
.LBB93_192:                             ; =>This Inner Loop Header: Depth=1
	s_clause 0x1
	s_load_b256 s[40:47], s[24:25], 0x4
	s_load_b128 s[56:59], s[24:25], 0x24
	s_load_b256 s[48:55], s[26:27], 0x0
	s_add_co_i32 s23, s23, 4
	s_wait_xcnt 0x0
	s_add_nc_u64 s[24:25], s[24:25], 48
	s_cmp_eq_u32 s22, s23
	s_add_nc_u64 s[26:27], s[26:27], 32
	s_wait_kmcnt 0x0
	v_mul_hi_u32 v4, s41, v1
	s_delay_alu instid0(VALU_DEP_1) | instskip(NEXT) | instid1(VALU_DEP_1)
	v_add_nc_u32_e32 v4, v1, v4
	v_lshrrev_b32_e32 v4, s42, v4
	s_delay_alu instid0(VALU_DEP_1) | instskip(NEXT) | instid1(VALU_DEP_1)
	v_mul_hi_u32 v5, s44, v4
	v_add_nc_u32_e32 v5, v4, v5
	s_delay_alu instid0(VALU_DEP_1) | instskip(NEXT) | instid1(VALU_DEP_1)
	v_lshrrev_b32_e32 v5, s45, v5
	v_mul_hi_u32 v6, s47, v5
	s_delay_alu instid0(VALU_DEP_1) | instskip(SKIP_1) | instid1(VALU_DEP_1)
	v_add_nc_u32_e32 v6, v5, v6
	v_mul_lo_u32 v7, v4, s40
	v_sub_nc_u32_e32 v1, v1, v7
	v_mul_lo_u32 v7, v5, s43
	s_delay_alu instid0(VALU_DEP_4) | instskip(NEXT) | instid1(VALU_DEP_3)
	v_lshrrev_b32_e32 v6, s56, v6
	v_mad_u32 v3, v1, s49, v3
	v_mad_u32 v1, v1, s48, v2
	s_delay_alu instid0(VALU_DEP_4) | instskip(NEXT) | instid1(VALU_DEP_4)
	v_sub_nc_u32_e32 v2, v4, v7
	v_mul_hi_u32 v8, s58, v6
	v_mul_lo_u32 v4, v6, s46
	s_delay_alu instid0(VALU_DEP_3) | instskip(SKIP_1) | instid1(VALU_DEP_4)
	v_mad_u32 v3, v2, s51, v3
	v_mad_u32 v2, v2, s50, v1
	v_add_nc_u32_e32 v7, v6, v8
	s_delay_alu instid0(VALU_DEP_1) | instskip(NEXT) | instid1(VALU_DEP_1)
	v_dual_sub_nc_u32 v4, v5, v4 :: v_dual_lshrrev_b32 v1, s59, v7
	v_mad_u32 v3, v4, s53, v3
	s_delay_alu instid0(VALU_DEP_4) | instskip(NEXT) | instid1(VALU_DEP_3)
	v_mad_u32 v2, v4, s52, v2
	v_mul_lo_u32 v5, v1, s57
	s_delay_alu instid0(VALU_DEP_1) | instskip(NEXT) | instid1(VALU_DEP_1)
	v_sub_nc_u32_e32 v4, v6, v5
	v_mad_u32 v3, v4, s55, v3
	s_delay_alu instid0(VALU_DEP_4)
	v_mad_u32 v2, v4, s54, v2
	s_cbranch_scc0 .LBB93_192
	s_branch .LBB93_212
.LBB93_193:
                                        ; implicit-def: $vgpr3
	s_branch .LBB93_216
.LBB93_194:
	v_dual_mov_b32 v3, 0 :: v_dual_mov_b32 v2, 0
	s_branch .LBB93_215
.LBB93_195:
	v_mov_b64_e32 v[2:3], 0
	v_mov_b32_e32 v1, v0
	s_mov_b32 s22, 0
.LBB93_196:
	s_and_b32 s14, s14, 3
	s_mov_b32 s23, 0
	s_cmp_eq_u32 s14, 0
	s_cbranch_scc1 .LBB93_199
; %bb.197:
	s_lshl_b32 s24, s22, 3
	s_mov_b32 s25, s23
	s_mul_u64 s[26:27], s[22:23], 12
	s_add_nc_u64 s[24:25], s[12:13], s[24:25]
	s_delay_alu instid0(SALU_CYCLE_1)
	s_add_nc_u64 s[22:23], s[24:25], 0xc4
	s_add_nc_u64 s[24:25], s[12:13], s[26:27]
.LBB93_198:                             ; =>This Inner Loop Header: Depth=1
	s_load_b96 s[40:42], s[24:25], 0x4
	s_load_b64 s[26:27], s[22:23], 0x0
	s_add_co_i32 s14, s14, -1
	s_wait_xcnt 0x0
	s_add_nc_u64 s[24:25], s[24:25], 12
	s_cmp_lg_u32 s14, 0
	s_add_nc_u64 s[22:23], s[22:23], 8
	s_wait_kmcnt 0x0
	v_mul_hi_u32 v4, s41, v1
	s_delay_alu instid0(VALU_DEP_1) | instskip(NEXT) | instid1(VALU_DEP_1)
	v_add_nc_u32_e32 v4, v1, v4
	v_lshrrev_b32_e32 v4, s42, v4
	s_delay_alu instid0(VALU_DEP_1) | instskip(NEXT) | instid1(VALU_DEP_1)
	v_mul_lo_u32 v5, v4, s40
	v_sub_nc_u32_e32 v1, v1, v5
	s_delay_alu instid0(VALU_DEP_1)
	v_mad_u32 v3, v1, s27, v3
	v_mad_u32 v2, v1, s26, v2
	v_mov_b32_e32 v1, v4
	s_cbranch_scc1 .LBB93_198
.LBB93_199:
	s_cbranch_execnz .LBB93_202
.LBB93_200:
	v_mov_b32_e32 v1, 0
	s_and_not1_b32 vcc_lo, exec_lo, s33
	s_delay_alu instid0(VALU_DEP_1) | instskip(NEXT) | instid1(VALU_DEP_1)
	v_mul_u64_e32 v[2:3], s[16:17], v[0:1]
	v_add_nc_u32_e32 v2, v0, v3
	s_delay_alu instid0(VALU_DEP_1) | instskip(NEXT) | instid1(VALU_DEP_1)
	v_lshrrev_b32_e32 v4, s6, v2
	v_mul_lo_u32 v2, v4, s4
	s_delay_alu instid0(VALU_DEP_1) | instskip(NEXT) | instid1(VALU_DEP_1)
	v_sub_nc_u32_e32 v2, v0, v2
	v_mul_lo_u32 v3, v2, s9
	v_mul_lo_u32 v2, v2, s8
	s_cbranch_vccnz .LBB93_202
; %bb.201:
	v_mov_b32_e32 v5, v1
	s_delay_alu instid0(VALU_DEP_1) | instskip(NEXT) | instid1(VALU_DEP_1)
	v_mul_u64_e32 v[6:7], s[18:19], v[4:5]
	v_add_nc_u32_e32 v1, v4, v7
	s_delay_alu instid0(VALU_DEP_1) | instskip(NEXT) | instid1(VALU_DEP_1)
	v_lshrrev_b32_e32 v1, s15, v1
	v_mul_lo_u32 v1, v1, s7
	s_delay_alu instid0(VALU_DEP_1) | instskip(NEXT) | instid1(VALU_DEP_1)
	v_sub_nc_u32_e32 v1, v4, v1
	v_mad_u32 v2, v1, s10, v2
	v_mad_u32 v3, v1, s11, v3
.LBB93_202:
	global_load_u16 v1, v3, s[2:3]
	v_add_nc_u32_e32 v0, 0x80, v0
	s_wait_loadcnt 0x0
	v_lshlrev_b32_e32 v1, 16, v1
	s_delay_alu instid0(VALU_DEP_1) | instskip(SKIP_4) | instid1(SALU_CYCLE_1)
	v_cmp_eq_f32_e32 vcc_lo, 0xff800000, v1
	v_cndmask_b32_e64 v1, 0, 1, vcc_lo
	global_store_b8 v2, v1, s[0:1]
	s_wait_xcnt 0x0
	s_or_b32 exec_lo, exec_lo, s5
	s_mov_b32 s5, exec_lo
	v_cmpx_gt_i32_e64 s34, v0
	s_cbranch_execnz .LBB93_188
.LBB93_203:
	s_or_b32 exec_lo, exec_lo, s5
	s_delay_alu instid0(SALU_CYCLE_1)
	s_mov_b32 s5, exec_lo
	v_cmpx_gt_i32_e64 s34, v0
	s_cbranch_execz .LBB93_219
.LBB93_204:
	s_and_not1_b32 vcc_lo, exec_lo, s30
	s_cbranch_vccnz .LBB93_209
; %bb.205:
	s_and_not1_b32 vcc_lo, exec_lo, s36
	s_cbranch_vccnz .LBB93_210
; %bb.206:
	s_add_co_i32 s14, s35, 1
	s_cmp_eq_u32 s29, 2
	s_cbranch_scc1 .LBB93_222
; %bb.207:
	v_dual_mov_b32 v2, 0 :: v_dual_mov_b32 v3, 0
	v_mov_b32_e32 v1, v0
	s_and_b32 s22, s14, 28
	s_mov_b32 s23, 0
	s_mov_b64 s[24:25], s[12:13]
	s_mov_b64 s[26:27], s[20:21]
.LBB93_208:                             ; =>This Inner Loop Header: Depth=1
	s_clause 0x1
	s_load_b256 s[40:47], s[24:25], 0x4
	s_load_b128 s[56:59], s[24:25], 0x24
	s_load_b256 s[48:55], s[26:27], 0x0
	s_add_co_i32 s23, s23, 4
	s_wait_xcnt 0x0
	s_add_nc_u64 s[24:25], s[24:25], 48
	s_cmp_eq_u32 s22, s23
	s_add_nc_u64 s[26:27], s[26:27], 32
	s_wait_kmcnt 0x0
	v_mul_hi_u32 v4, s41, v1
	s_delay_alu instid0(VALU_DEP_1) | instskip(NEXT) | instid1(VALU_DEP_1)
	v_add_nc_u32_e32 v4, v1, v4
	v_lshrrev_b32_e32 v4, s42, v4
	s_delay_alu instid0(VALU_DEP_1) | instskip(NEXT) | instid1(VALU_DEP_1)
	v_mul_hi_u32 v5, s44, v4
	v_add_nc_u32_e32 v5, v4, v5
	s_delay_alu instid0(VALU_DEP_1) | instskip(NEXT) | instid1(VALU_DEP_1)
	v_lshrrev_b32_e32 v5, s45, v5
	v_mul_hi_u32 v6, s47, v5
	s_delay_alu instid0(VALU_DEP_1) | instskip(SKIP_1) | instid1(VALU_DEP_1)
	v_add_nc_u32_e32 v6, v5, v6
	v_mul_lo_u32 v7, v4, s40
	v_sub_nc_u32_e32 v1, v1, v7
	v_mul_lo_u32 v7, v5, s43
	s_delay_alu instid0(VALU_DEP_4) | instskip(NEXT) | instid1(VALU_DEP_3)
	v_lshrrev_b32_e32 v6, s56, v6
	v_mad_u32 v3, v1, s49, v3
	v_mad_u32 v1, v1, s48, v2
	s_delay_alu instid0(VALU_DEP_4) | instskip(NEXT) | instid1(VALU_DEP_4)
	v_sub_nc_u32_e32 v2, v4, v7
	v_mul_hi_u32 v8, s58, v6
	v_mul_lo_u32 v4, v6, s46
	s_delay_alu instid0(VALU_DEP_3) | instskip(SKIP_1) | instid1(VALU_DEP_4)
	v_mad_u32 v3, v2, s51, v3
	v_mad_u32 v2, v2, s50, v1
	v_add_nc_u32_e32 v7, v6, v8
	s_delay_alu instid0(VALU_DEP_1) | instskip(NEXT) | instid1(VALU_DEP_1)
	v_dual_sub_nc_u32 v4, v5, v4 :: v_dual_lshrrev_b32 v1, s59, v7
	v_mad_u32 v3, v4, s53, v3
	s_delay_alu instid0(VALU_DEP_4) | instskip(NEXT) | instid1(VALU_DEP_3)
	v_mad_u32 v2, v4, s52, v2
	v_mul_lo_u32 v5, v1, s57
	s_delay_alu instid0(VALU_DEP_1) | instskip(NEXT) | instid1(VALU_DEP_1)
	v_sub_nc_u32_e32 v4, v6, v5
	v_mad_u32 v3, v4, s55, v3
	s_delay_alu instid0(VALU_DEP_4)
	v_mad_u32 v2, v4, s54, v2
	s_cbranch_scc0 .LBB93_208
	s_branch .LBB93_223
.LBB93_209:
                                        ; implicit-def: $vgpr3
	s_branch .LBB93_227
.LBB93_210:
	v_dual_mov_b32 v3, 0 :: v_dual_mov_b32 v2, 0
	s_branch .LBB93_226
.LBB93_211:
	v_mov_b64_e32 v[2:3], 0
	v_mov_b32_e32 v1, v0
	s_mov_b32 s22, 0
.LBB93_212:
	s_and_b32 s14, s14, 3
	s_mov_b32 s23, 0
	s_cmp_eq_u32 s14, 0
	s_cbranch_scc1 .LBB93_215
; %bb.213:
	s_lshl_b32 s24, s22, 3
	s_mov_b32 s25, s23
	s_mul_u64 s[26:27], s[22:23], 12
	s_add_nc_u64 s[24:25], s[12:13], s[24:25]
	s_delay_alu instid0(SALU_CYCLE_1)
	s_add_nc_u64 s[22:23], s[24:25], 0xc4
	s_add_nc_u64 s[24:25], s[12:13], s[26:27]
.LBB93_214:                             ; =>This Inner Loop Header: Depth=1
	s_load_b96 s[40:42], s[24:25], 0x4
	s_load_b64 s[26:27], s[22:23], 0x0
	s_add_co_i32 s14, s14, -1
	s_wait_xcnt 0x0
	s_add_nc_u64 s[24:25], s[24:25], 12
	s_cmp_lg_u32 s14, 0
	s_add_nc_u64 s[22:23], s[22:23], 8
	s_wait_kmcnt 0x0
	v_mul_hi_u32 v4, s41, v1
	s_delay_alu instid0(VALU_DEP_1) | instskip(NEXT) | instid1(VALU_DEP_1)
	v_add_nc_u32_e32 v4, v1, v4
	v_lshrrev_b32_e32 v4, s42, v4
	s_delay_alu instid0(VALU_DEP_1) | instskip(NEXT) | instid1(VALU_DEP_1)
	v_mul_lo_u32 v5, v4, s40
	v_sub_nc_u32_e32 v1, v1, v5
	s_delay_alu instid0(VALU_DEP_1)
	v_mad_u32 v3, v1, s27, v3
	v_mad_u32 v2, v1, s26, v2
	v_mov_b32_e32 v1, v4
	s_cbranch_scc1 .LBB93_214
.LBB93_215:
	s_cbranch_execnz .LBB93_218
.LBB93_216:
	v_mov_b32_e32 v1, 0
	s_and_not1_b32 vcc_lo, exec_lo, s33
	s_delay_alu instid0(VALU_DEP_1) | instskip(NEXT) | instid1(VALU_DEP_1)
	v_mul_u64_e32 v[2:3], s[16:17], v[0:1]
	v_add_nc_u32_e32 v2, v0, v3
	s_delay_alu instid0(VALU_DEP_1) | instskip(NEXT) | instid1(VALU_DEP_1)
	v_lshrrev_b32_e32 v4, s6, v2
	v_mul_lo_u32 v2, v4, s4
	s_delay_alu instid0(VALU_DEP_1) | instskip(NEXT) | instid1(VALU_DEP_1)
	v_sub_nc_u32_e32 v2, v0, v2
	v_mul_lo_u32 v3, v2, s9
	v_mul_lo_u32 v2, v2, s8
	s_cbranch_vccnz .LBB93_218
; %bb.217:
	v_mov_b32_e32 v5, v1
	s_delay_alu instid0(VALU_DEP_1) | instskip(NEXT) | instid1(VALU_DEP_1)
	v_mul_u64_e32 v[6:7], s[18:19], v[4:5]
	v_add_nc_u32_e32 v1, v4, v7
	s_delay_alu instid0(VALU_DEP_1) | instskip(NEXT) | instid1(VALU_DEP_1)
	v_lshrrev_b32_e32 v1, s15, v1
	v_mul_lo_u32 v1, v1, s7
	s_delay_alu instid0(VALU_DEP_1) | instskip(NEXT) | instid1(VALU_DEP_1)
	v_sub_nc_u32_e32 v1, v4, v1
	v_mad_u32 v2, v1, s10, v2
	v_mad_u32 v3, v1, s11, v3
.LBB93_218:
	global_load_u16 v1, v3, s[2:3]
	v_add_nc_u32_e32 v0, 0x80, v0
	s_wait_loadcnt 0x0
	v_lshlrev_b32_e32 v1, 16, v1
	s_delay_alu instid0(VALU_DEP_1) | instskip(SKIP_4) | instid1(SALU_CYCLE_1)
	v_cmp_eq_f32_e32 vcc_lo, 0xff800000, v1
	v_cndmask_b32_e64 v1, 0, 1, vcc_lo
	global_store_b8 v2, v1, s[0:1]
	s_wait_xcnt 0x0
	s_or_b32 exec_lo, exec_lo, s5
	s_mov_b32 s5, exec_lo
	v_cmpx_gt_i32_e64 s34, v0
	s_cbranch_execnz .LBB93_204
.LBB93_219:
	s_or_b32 exec_lo, exec_lo, s5
	s_delay_alu instid0(SALU_CYCLE_1)
	s_mov_b32 s5, exec_lo
	v_cmpx_gt_i32_e64 s34, v0
	s_cbranch_execnz .LBB93_230
.LBB93_220:
	s_or_b32 exec_lo, exec_lo, s5
                                        ; implicit-def: $vgpr16
                                        ; implicit-def: $vgpr0
	s_and_not1_saveexec_b32 s0, s31
	s_cbranch_execnz .LBB93_8
.LBB93_221:
	s_endpgm
.LBB93_222:
	v_mov_b64_e32 v[2:3], 0
	v_mov_b32_e32 v1, v0
	s_mov_b32 s22, 0
.LBB93_223:
	s_and_b32 s14, s14, 3
	s_mov_b32 s23, 0
	s_cmp_eq_u32 s14, 0
	s_cbranch_scc1 .LBB93_226
; %bb.224:
	s_lshl_b32 s24, s22, 3
	s_mov_b32 s25, s23
	s_mul_u64 s[26:27], s[22:23], 12
	s_add_nc_u64 s[24:25], s[12:13], s[24:25]
	s_delay_alu instid0(SALU_CYCLE_1)
	s_add_nc_u64 s[22:23], s[24:25], 0xc4
	s_add_nc_u64 s[24:25], s[12:13], s[26:27]
.LBB93_225:                             ; =>This Inner Loop Header: Depth=1
	s_load_b96 s[40:42], s[24:25], 0x4
	s_load_b64 s[26:27], s[22:23], 0x0
	s_add_co_i32 s14, s14, -1
	s_wait_xcnt 0x0
	s_add_nc_u64 s[24:25], s[24:25], 12
	s_cmp_lg_u32 s14, 0
	s_add_nc_u64 s[22:23], s[22:23], 8
	s_wait_kmcnt 0x0
	v_mul_hi_u32 v4, s41, v1
	s_delay_alu instid0(VALU_DEP_1) | instskip(NEXT) | instid1(VALU_DEP_1)
	v_add_nc_u32_e32 v4, v1, v4
	v_lshrrev_b32_e32 v4, s42, v4
	s_delay_alu instid0(VALU_DEP_1) | instskip(NEXT) | instid1(VALU_DEP_1)
	v_mul_lo_u32 v5, v4, s40
	v_sub_nc_u32_e32 v1, v1, v5
	s_delay_alu instid0(VALU_DEP_1)
	v_mad_u32 v3, v1, s27, v3
	v_mad_u32 v2, v1, s26, v2
	v_mov_b32_e32 v1, v4
	s_cbranch_scc1 .LBB93_225
.LBB93_226:
	s_cbranch_execnz .LBB93_229
.LBB93_227:
	v_mov_b32_e32 v1, 0
	s_and_not1_b32 vcc_lo, exec_lo, s33
	s_delay_alu instid0(VALU_DEP_1) | instskip(NEXT) | instid1(VALU_DEP_1)
	v_mul_u64_e32 v[2:3], s[16:17], v[0:1]
	v_add_nc_u32_e32 v2, v0, v3
	s_delay_alu instid0(VALU_DEP_1) | instskip(NEXT) | instid1(VALU_DEP_1)
	v_lshrrev_b32_e32 v4, s6, v2
	v_mul_lo_u32 v2, v4, s4
	s_delay_alu instid0(VALU_DEP_1) | instskip(NEXT) | instid1(VALU_DEP_1)
	v_sub_nc_u32_e32 v2, v0, v2
	v_mul_lo_u32 v3, v2, s9
	v_mul_lo_u32 v2, v2, s8
	s_cbranch_vccnz .LBB93_229
; %bb.228:
	v_mov_b32_e32 v5, v1
	s_delay_alu instid0(VALU_DEP_1) | instskip(NEXT) | instid1(VALU_DEP_1)
	v_mul_u64_e32 v[6:7], s[18:19], v[4:5]
	v_add_nc_u32_e32 v1, v4, v7
	s_delay_alu instid0(VALU_DEP_1) | instskip(NEXT) | instid1(VALU_DEP_1)
	v_lshrrev_b32_e32 v1, s15, v1
	v_mul_lo_u32 v1, v1, s7
	s_delay_alu instid0(VALU_DEP_1) | instskip(NEXT) | instid1(VALU_DEP_1)
	v_sub_nc_u32_e32 v1, v4, v1
	v_mad_u32 v2, v1, s10, v2
	v_mad_u32 v3, v1, s11, v3
.LBB93_229:
	global_load_u16 v1, v3, s[2:3]
	v_add_nc_u32_e32 v0, 0x80, v0
	s_wait_loadcnt 0x0
	v_lshlrev_b32_e32 v1, 16, v1
	s_delay_alu instid0(VALU_DEP_1) | instskip(SKIP_4) | instid1(SALU_CYCLE_1)
	v_cmp_eq_f32_e32 vcc_lo, 0xff800000, v1
	v_cndmask_b32_e64 v1, 0, 1, vcc_lo
	global_store_b8 v2, v1, s[0:1]
	s_wait_xcnt 0x0
	s_or_b32 exec_lo, exec_lo, s5
	s_mov_b32 s5, exec_lo
	v_cmpx_gt_i32_e64 s34, v0
	s_cbranch_execz .LBB93_220
.LBB93_230:
	s_and_not1_b32 vcc_lo, exec_lo, s30
	s_cbranch_vccnz .LBB93_235
; %bb.231:
	s_and_not1_b32 vcc_lo, exec_lo, s36
	s_cbranch_vccnz .LBB93_236
; %bb.232:
	s_add_co_i32 s35, s35, 1
	s_cmp_eq_u32 s29, 2
	s_cbranch_scc1 .LBB93_237
; %bb.233:
	v_dual_mov_b32 v2, 0 :: v_dual_mov_b32 v3, 0
	v_mov_b32_e32 v1, v0
	s_and_b32 s22, s35, 28
	s_mov_b32 s14, 0
	s_mov_b64 s[24:25], s[12:13]
.LBB93_234:                             ; =>This Inner Loop Header: Depth=1
	s_clause 0x1
	s_load_b256 s[36:43], s[24:25], 0x4
	s_load_b128 s[52:55], s[24:25], 0x24
	s_load_b256 s[44:51], s[20:21], 0x0
	s_add_co_i32 s14, s14, 4
	s_wait_xcnt 0x0
	s_add_nc_u64 s[24:25], s[24:25], 48
	s_cmp_eq_u32 s22, s14
	s_add_nc_u64 s[20:21], s[20:21], 32
	s_wait_kmcnt 0x0
	v_mul_hi_u32 v4, s37, v1
	s_delay_alu instid0(VALU_DEP_1) | instskip(NEXT) | instid1(VALU_DEP_1)
	v_add_nc_u32_e32 v4, v1, v4
	v_lshrrev_b32_e32 v4, s38, v4
	s_delay_alu instid0(VALU_DEP_1) | instskip(NEXT) | instid1(VALU_DEP_1)
	v_mul_hi_u32 v5, s40, v4
	v_add_nc_u32_e32 v5, v4, v5
	s_delay_alu instid0(VALU_DEP_1) | instskip(NEXT) | instid1(VALU_DEP_1)
	v_lshrrev_b32_e32 v5, s41, v5
	v_mul_hi_u32 v6, s43, v5
	s_delay_alu instid0(VALU_DEP_1) | instskip(SKIP_1) | instid1(VALU_DEP_1)
	v_add_nc_u32_e32 v6, v5, v6
	v_mul_lo_u32 v7, v4, s36
	v_sub_nc_u32_e32 v1, v1, v7
	v_mul_lo_u32 v7, v5, s39
	s_delay_alu instid0(VALU_DEP_4) | instskip(NEXT) | instid1(VALU_DEP_3)
	v_lshrrev_b32_e32 v6, s52, v6
	v_mad_u32 v3, v1, s45, v3
	v_mad_u32 v1, v1, s44, v2
	s_delay_alu instid0(VALU_DEP_4) | instskip(NEXT) | instid1(VALU_DEP_4)
	v_sub_nc_u32_e32 v2, v4, v7
	v_mul_hi_u32 v8, s54, v6
	v_mul_lo_u32 v4, v6, s42
	s_delay_alu instid0(VALU_DEP_3) | instskip(SKIP_1) | instid1(VALU_DEP_4)
	v_mad_u32 v3, v2, s47, v3
	v_mad_u32 v2, v2, s46, v1
	v_add_nc_u32_e32 v7, v6, v8
	s_delay_alu instid0(VALU_DEP_1) | instskip(NEXT) | instid1(VALU_DEP_1)
	v_dual_sub_nc_u32 v4, v5, v4 :: v_dual_lshrrev_b32 v1, s55, v7
	v_mad_u32 v3, v4, s49, v3
	s_delay_alu instid0(VALU_DEP_4) | instskip(NEXT) | instid1(VALU_DEP_3)
	v_mad_u32 v2, v4, s48, v2
	v_mul_lo_u32 v5, v1, s53
	s_delay_alu instid0(VALU_DEP_1) | instskip(NEXT) | instid1(VALU_DEP_1)
	v_sub_nc_u32_e32 v4, v6, v5
	v_mad_u32 v3, v4, s51, v3
	s_delay_alu instid0(VALU_DEP_4)
	v_mad_u32 v2, v4, s50, v2
	s_cbranch_scc0 .LBB93_234
	s_branch .LBB93_238
.LBB93_235:
                                        ; implicit-def: $vgpr3
	s_branch .LBB93_242
.LBB93_236:
	v_dual_mov_b32 v3, 0 :: v_dual_mov_b32 v2, 0
	s_branch .LBB93_241
.LBB93_237:
	v_mov_b64_e32 v[2:3], 0
	v_mov_b32_e32 v1, v0
	s_mov_b32 s22, 0
.LBB93_238:
	s_and_b32 s14, s35, 3
	s_mov_b32 s23, 0
	s_cmp_eq_u32 s14, 0
	s_cbranch_scc1 .LBB93_241
; %bb.239:
	s_lshl_b32 s20, s22, 3
	s_mov_b32 s21, s23
	s_mul_u64 s[22:23], s[22:23], 12
	s_add_nc_u64 s[20:21], s[12:13], s[20:21]
	s_add_nc_u64 s[22:23], s[12:13], s[22:23]
	;; [unrolled: 1-line block ×3, first 2 shown]
.LBB93_240:                             ; =>This Inner Loop Header: Depth=1
	s_load_b96 s[24:26], s[22:23], 0x4
	s_add_co_i32 s14, s14, -1
	s_wait_xcnt 0x0
	s_add_nc_u64 s[22:23], s[22:23], 12
	s_cmp_lg_u32 s14, 0
	s_wait_kmcnt 0x0
	v_mul_hi_u32 v4, s25, v1
	s_delay_alu instid0(VALU_DEP_1) | instskip(NEXT) | instid1(VALU_DEP_1)
	v_add_nc_u32_e32 v4, v1, v4
	v_lshrrev_b32_e32 v4, s26, v4
	s_load_b64 s[26:27], s[20:21], 0x0
	s_wait_xcnt 0x0
	s_add_nc_u64 s[20:21], s[20:21], 8
	s_delay_alu instid0(VALU_DEP_1) | instskip(NEXT) | instid1(VALU_DEP_1)
	v_mul_lo_u32 v5, v4, s24
	v_sub_nc_u32_e32 v1, v1, v5
	s_wait_kmcnt 0x0
	s_delay_alu instid0(VALU_DEP_1)
	v_mad_u32 v3, v1, s27, v3
	v_mad_u32 v2, v1, s26, v2
	v_mov_b32_e32 v1, v4
	s_cbranch_scc1 .LBB93_240
.LBB93_241:
	s_cbranch_execnz .LBB93_244
.LBB93_242:
	v_mov_b32_e32 v1, 0
	s_and_not1_b32 vcc_lo, exec_lo, s33
	s_delay_alu instid0(VALU_DEP_1) | instskip(NEXT) | instid1(VALU_DEP_1)
	v_mul_u64_e32 v[2:3], s[16:17], v[0:1]
	v_add_nc_u32_e32 v2, v0, v3
	s_delay_alu instid0(VALU_DEP_1) | instskip(NEXT) | instid1(VALU_DEP_1)
	v_lshrrev_b32_e32 v4, s6, v2
	v_mul_lo_u32 v2, v4, s4
	s_delay_alu instid0(VALU_DEP_1) | instskip(NEXT) | instid1(VALU_DEP_1)
	v_sub_nc_u32_e32 v0, v0, v2
	v_mul_lo_u32 v3, v0, s9
	v_mul_lo_u32 v2, v0, s8
	s_cbranch_vccnz .LBB93_244
; %bb.243:
	v_mov_b32_e32 v5, v1
	s_delay_alu instid0(VALU_DEP_1) | instskip(NEXT) | instid1(VALU_DEP_1)
	v_mul_u64_e32 v[0:1], s[18:19], v[4:5]
	v_add_nc_u32_e32 v0, v4, v1
	s_delay_alu instid0(VALU_DEP_1) | instskip(NEXT) | instid1(VALU_DEP_1)
	v_lshrrev_b32_e32 v0, s15, v0
	v_mul_lo_u32 v0, v0, s7
	s_delay_alu instid0(VALU_DEP_1) | instskip(NEXT) | instid1(VALU_DEP_1)
	v_sub_nc_u32_e32 v0, v4, v0
	v_mad_u32 v2, v0, s10, v2
	v_mad_u32 v3, v0, s11, v3
.LBB93_244:
	global_load_u16 v0, v3, s[2:3]
	s_wait_loadcnt 0x0
	v_lshlrev_b32_e32 v0, 16, v0
	s_delay_alu instid0(VALU_DEP_1)
	v_cmp_eq_f32_e32 vcc_lo, 0xff800000, v0
	v_cndmask_b32_e64 v0, 0, 1, vcc_lo
	global_store_b8 v2, v0, s[0:1]
	s_wait_xcnt 0x0
	s_or_b32 exec_lo, exec_lo, s5
                                        ; implicit-def: $vgpr16
                                        ; implicit-def: $vgpr0
	s_and_not1_saveexec_b32 s0, s31
	s_cbranch_execz .LBB93_221
	s_branch .LBB93_8
	.section	.rodata,"a",@progbits
	.p2align	6, 0x0
	.amdhsa_kernel _ZN2at6native32elementwise_kernel_manual_unrollILi128ELi8EZNS0_22gpu_kernel_impl_nocastIZZZNS0_12_GLOBAL__N_120isneginf_kernel_implERNS_18TensorIteratorBaseEENKUlvE_clEvENKUlvE2_clEvEUlN3c108BFloat16EE_EEvS5_RKT_EUlibE_EEviT1_
		.amdhsa_group_segment_fixed_size 0
		.amdhsa_private_segment_fixed_size 0
		.amdhsa_kernarg_size 360
		.amdhsa_user_sgpr_count 2
		.amdhsa_user_sgpr_dispatch_ptr 0
		.amdhsa_user_sgpr_queue_ptr 0
		.amdhsa_user_sgpr_kernarg_segment_ptr 1
		.amdhsa_user_sgpr_dispatch_id 0
		.amdhsa_user_sgpr_kernarg_preload_length 0
		.amdhsa_user_sgpr_kernarg_preload_offset 0
		.amdhsa_user_sgpr_private_segment_size 0
		.amdhsa_wavefront_size32 1
		.amdhsa_uses_dynamic_stack 0
		.amdhsa_enable_private_segment 0
		.amdhsa_system_sgpr_workgroup_id_x 1
		.amdhsa_system_sgpr_workgroup_id_y 0
		.amdhsa_system_sgpr_workgroup_id_z 0
		.amdhsa_system_sgpr_workgroup_info 0
		.amdhsa_system_vgpr_workitem_id 0
		.amdhsa_next_free_vgpr 24
		.amdhsa_next_free_sgpr 60
		.amdhsa_named_barrier_count 0
		.amdhsa_reserve_vcc 1
		.amdhsa_float_round_mode_32 0
		.amdhsa_float_round_mode_16_64 0
		.amdhsa_float_denorm_mode_32 3
		.amdhsa_float_denorm_mode_16_64 3
		.amdhsa_fp16_overflow 0
		.amdhsa_memory_ordered 1
		.amdhsa_forward_progress 1
		.amdhsa_inst_pref_size 99
		.amdhsa_round_robin_scheduling 0
		.amdhsa_exception_fp_ieee_invalid_op 0
		.amdhsa_exception_fp_denorm_src 0
		.amdhsa_exception_fp_ieee_div_zero 0
		.amdhsa_exception_fp_ieee_overflow 0
		.amdhsa_exception_fp_ieee_underflow 0
		.amdhsa_exception_fp_ieee_inexact 0
		.amdhsa_exception_int_div_zero 0
	.end_amdhsa_kernel
	.section	.text._ZN2at6native32elementwise_kernel_manual_unrollILi128ELi8EZNS0_22gpu_kernel_impl_nocastIZZZNS0_12_GLOBAL__N_120isneginf_kernel_implERNS_18TensorIteratorBaseEENKUlvE_clEvENKUlvE2_clEvEUlN3c108BFloat16EE_EEvS5_RKT_EUlibE_EEviT1_,"axG",@progbits,_ZN2at6native32elementwise_kernel_manual_unrollILi128ELi8EZNS0_22gpu_kernel_impl_nocastIZZZNS0_12_GLOBAL__N_120isneginf_kernel_implERNS_18TensorIteratorBaseEENKUlvE_clEvENKUlvE2_clEvEUlN3c108BFloat16EE_EEvS5_RKT_EUlibE_EEviT1_,comdat
.Lfunc_end93:
	.size	_ZN2at6native32elementwise_kernel_manual_unrollILi128ELi8EZNS0_22gpu_kernel_impl_nocastIZZZNS0_12_GLOBAL__N_120isneginf_kernel_implERNS_18TensorIteratorBaseEENKUlvE_clEvENKUlvE2_clEvEUlN3c108BFloat16EE_EEvS5_RKT_EUlibE_EEviT1_, .Lfunc_end93-_ZN2at6native32elementwise_kernel_manual_unrollILi128ELi8EZNS0_22gpu_kernel_impl_nocastIZZZNS0_12_GLOBAL__N_120isneginf_kernel_implERNS_18TensorIteratorBaseEENKUlvE_clEvENKUlvE2_clEvEUlN3c108BFloat16EE_EEvS5_RKT_EUlibE_EEviT1_
                                        ; -- End function
	.set _ZN2at6native32elementwise_kernel_manual_unrollILi128ELi8EZNS0_22gpu_kernel_impl_nocastIZZZNS0_12_GLOBAL__N_120isneginf_kernel_implERNS_18TensorIteratorBaseEENKUlvE_clEvENKUlvE2_clEvEUlN3c108BFloat16EE_EEvS5_RKT_EUlibE_EEviT1_.num_vgpr, 24
	.set _ZN2at6native32elementwise_kernel_manual_unrollILi128ELi8EZNS0_22gpu_kernel_impl_nocastIZZZNS0_12_GLOBAL__N_120isneginf_kernel_implERNS_18TensorIteratorBaseEENKUlvE_clEvENKUlvE2_clEvEUlN3c108BFloat16EE_EEvS5_RKT_EUlibE_EEviT1_.num_agpr, 0
	.set _ZN2at6native32elementwise_kernel_manual_unrollILi128ELi8EZNS0_22gpu_kernel_impl_nocastIZZZNS0_12_GLOBAL__N_120isneginf_kernel_implERNS_18TensorIteratorBaseEENKUlvE_clEvENKUlvE2_clEvEUlN3c108BFloat16EE_EEvS5_RKT_EUlibE_EEviT1_.numbered_sgpr, 60
	.set _ZN2at6native32elementwise_kernel_manual_unrollILi128ELi8EZNS0_22gpu_kernel_impl_nocastIZZZNS0_12_GLOBAL__N_120isneginf_kernel_implERNS_18TensorIteratorBaseEENKUlvE_clEvENKUlvE2_clEvEUlN3c108BFloat16EE_EEvS5_RKT_EUlibE_EEviT1_.num_named_barrier, 0
	.set _ZN2at6native32elementwise_kernel_manual_unrollILi128ELi8EZNS0_22gpu_kernel_impl_nocastIZZZNS0_12_GLOBAL__N_120isneginf_kernel_implERNS_18TensorIteratorBaseEENKUlvE_clEvENKUlvE2_clEvEUlN3c108BFloat16EE_EEvS5_RKT_EUlibE_EEviT1_.private_seg_size, 0
	.set _ZN2at6native32elementwise_kernel_manual_unrollILi128ELi8EZNS0_22gpu_kernel_impl_nocastIZZZNS0_12_GLOBAL__N_120isneginf_kernel_implERNS_18TensorIteratorBaseEENKUlvE_clEvENKUlvE2_clEvEUlN3c108BFloat16EE_EEvS5_RKT_EUlibE_EEviT1_.uses_vcc, 1
	.set _ZN2at6native32elementwise_kernel_manual_unrollILi128ELi8EZNS0_22gpu_kernel_impl_nocastIZZZNS0_12_GLOBAL__N_120isneginf_kernel_implERNS_18TensorIteratorBaseEENKUlvE_clEvENKUlvE2_clEvEUlN3c108BFloat16EE_EEvS5_RKT_EUlibE_EEviT1_.uses_flat_scratch, 0
	.set _ZN2at6native32elementwise_kernel_manual_unrollILi128ELi8EZNS0_22gpu_kernel_impl_nocastIZZZNS0_12_GLOBAL__N_120isneginf_kernel_implERNS_18TensorIteratorBaseEENKUlvE_clEvENKUlvE2_clEvEUlN3c108BFloat16EE_EEvS5_RKT_EUlibE_EEviT1_.has_dyn_sized_stack, 0
	.set _ZN2at6native32elementwise_kernel_manual_unrollILi128ELi8EZNS0_22gpu_kernel_impl_nocastIZZZNS0_12_GLOBAL__N_120isneginf_kernel_implERNS_18TensorIteratorBaseEENKUlvE_clEvENKUlvE2_clEvEUlN3c108BFloat16EE_EEvS5_RKT_EUlibE_EEviT1_.has_recursion, 0
	.set _ZN2at6native32elementwise_kernel_manual_unrollILi128ELi8EZNS0_22gpu_kernel_impl_nocastIZZZNS0_12_GLOBAL__N_120isneginf_kernel_implERNS_18TensorIteratorBaseEENKUlvE_clEvENKUlvE2_clEvEUlN3c108BFloat16EE_EEvS5_RKT_EUlibE_EEviT1_.has_indirect_call, 0
	.section	.AMDGPU.csdata,"",@progbits
; Kernel info:
; codeLenInByte = 12612
; TotalNumSgprs: 62
; NumVgprs: 24
; ScratchSize: 0
; MemoryBound: 0
; FloatMode: 240
; IeeeMode: 1
; LDSByteSize: 0 bytes/workgroup (compile time only)
; SGPRBlocks: 0
; VGPRBlocks: 1
; NumSGPRsForWavesPerEU: 62
; NumVGPRsForWavesPerEU: 24
; NamedBarCnt: 0
; Occupancy: 16
; WaveLimiterHint : 1
; COMPUTE_PGM_RSRC2:SCRATCH_EN: 0
; COMPUTE_PGM_RSRC2:USER_SGPR: 2
; COMPUTE_PGM_RSRC2:TRAP_HANDLER: 0
; COMPUTE_PGM_RSRC2:TGID_X_EN: 1
; COMPUTE_PGM_RSRC2:TGID_Y_EN: 0
; COMPUTE_PGM_RSRC2:TGID_Z_EN: 0
; COMPUTE_PGM_RSRC2:TIDIG_COMP_CNT: 0
	.section	.text._ZN2at6native32elementwise_kernel_manual_unrollILi128ELi4EZNS0_15gpu_kernel_implIZZZNS0_12_GLOBAL__N_120isneginf_kernel_implERNS_18TensorIteratorBaseEENKUlvE_clEvENKUlvE2_clEvEUlN3c108BFloat16EE_EEvS5_RKT_EUlibE_EEviT1_,"axG",@progbits,_ZN2at6native32elementwise_kernel_manual_unrollILi128ELi4EZNS0_15gpu_kernel_implIZZZNS0_12_GLOBAL__N_120isneginf_kernel_implERNS_18TensorIteratorBaseEENKUlvE_clEvENKUlvE2_clEvEUlN3c108BFloat16EE_EEvS5_RKT_EUlibE_EEviT1_,comdat
	.globl	_ZN2at6native32elementwise_kernel_manual_unrollILi128ELi4EZNS0_15gpu_kernel_implIZZZNS0_12_GLOBAL__N_120isneginf_kernel_implERNS_18TensorIteratorBaseEENKUlvE_clEvENKUlvE2_clEvEUlN3c108BFloat16EE_EEvS5_RKT_EUlibE_EEviT1_ ; -- Begin function _ZN2at6native32elementwise_kernel_manual_unrollILi128ELi4EZNS0_15gpu_kernel_implIZZZNS0_12_GLOBAL__N_120isneginf_kernel_implERNS_18TensorIteratorBaseEENKUlvE_clEvENKUlvE2_clEvEUlN3c108BFloat16EE_EEvS5_RKT_EUlibE_EEviT1_
	.p2align	8
	.type	_ZN2at6native32elementwise_kernel_manual_unrollILi128ELi4EZNS0_15gpu_kernel_implIZZZNS0_12_GLOBAL__N_120isneginf_kernel_implERNS_18TensorIteratorBaseEENKUlvE_clEvENKUlvE2_clEvEUlN3c108BFloat16EE_EEvS5_RKT_EUlibE_EEviT1_,@function
_ZN2at6native32elementwise_kernel_manual_unrollILi128ELi4EZNS0_15gpu_kernel_implIZZZNS0_12_GLOBAL__N_120isneginf_kernel_implERNS_18TensorIteratorBaseEENKUlvE_clEvENKUlvE2_clEvEUlN3c108BFloat16EE_EEvS5_RKT_EUlibE_EEviT1_: ; @_ZN2at6native32elementwise_kernel_manual_unrollILi128ELi4EZNS0_15gpu_kernel_implIZZZNS0_12_GLOBAL__N_120isneginf_kernel_implERNS_18TensorIteratorBaseEENKUlvE_clEvENKUlvE2_clEvEUlN3c108BFloat16EE_EEvS5_RKT_EUlibE_EEviT1_
; %bb.0:
	v_mov_b32_e32 v1, 0
	s_bfe_u32 s10, ttmp6, 0x4000c
	s_clause 0x1
	s_load_b32 s13, s[0:1], 0x0
	s_load_b128 s[4:7], s[0:1], 0x8
	s_add_co_i32 s10, s10, 1
	s_and_b32 s9, ttmp6, 15
	global_load_u16 v1, v1, s[0:1] offset:33
	s_load_b64 s[2:3], s[0:1], 0x18
	s_wait_xcnt 0x0
	s_mul_i32 s1, ttmp9, s10
	s_getreg_b32 s11, hwreg(HW_REG_IB_STS2, 6, 4)
	s_add_co_i32 s9, s9, s1
	s_mov_b32 s12, 0
	s_wait_loadcnt 0x0
	v_readfirstlane_b32 s8, v1
	s_and_b32 s0, 0xffff, s8
	s_delay_alu instid0(SALU_CYCLE_1)
	s_lshr_b32 s10, s0, 8
	s_cmp_eq_u32 s11, 0
	s_cselect_b32 s0, ttmp9, s9
	s_mov_b32 s9, 0
	v_lshl_or_b32 v4, s0, 9, v0
	s_mov_b32 s0, exec_lo
	s_delay_alu instid0(VALU_DEP_1) | instskip(SKIP_1) | instid1(VALU_DEP_1)
	v_or_b32_e32 v0, 0x180, v4
	s_wait_kmcnt 0x0
	v_cmpx_le_i32_e64 s13, v0
	s_xor_b32 s11, exec_lo, s0
	s_cbranch_execz .LBB94_1031
; %bb.1:
	s_mov_b32 s1, -1
	s_mov_b32 s16, 0
	s_mov_b32 s14, 0
	s_mov_b32 s15, exec_lo
	v_cmpx_gt_i32_e64 s13, v4
	s_cbranch_execz .LBB94_252
; %bb.2:
	v_mul_lo_u32 v0, v4, s3
	s_and_b32 s0, 0xffff, s10
	s_delay_alu instid0(SALU_CYCLE_1) | instskip(NEXT) | instid1(VALU_DEP_1)
	s_cmp_lt_i32 s0, 11
	v_ashrrev_i32_e32 v1, 31, v0
	s_delay_alu instid0(VALU_DEP_1)
	v_add_nc_u64_e32 v[0:1], s[6:7], v[0:1]
	s_cbranch_scc1 .LBB94_9
; %bb.3:
	s_cmp_gt_i32 s0, 25
	s_cbranch_scc0 .LBB94_18
; %bb.4:
	s_cmp_gt_i32 s0, 28
	s_cbranch_scc0 .LBB94_21
	;; [unrolled: 3-line block ×4, first 2 shown]
; %bb.7:
	s_cmp_eq_u32 s0, 46
	s_cbranch_scc0 .LBB94_27
; %bb.8:
	global_load_b32 v2, v[0:1], off
	s_branch .LBB94_29
.LBB94_9:
	s_mov_b32 s1, 0
                                        ; implicit-def: $vgpr2
	s_cbranch_execnz .LBB94_202
.LBB94_10:
	s_and_not1_b32 vcc_lo, exec_lo, s1
	s_cbranch_vccnz .LBB94_249
.LBB94_11:
	s_wait_xcnt 0x0
	v_mul_lo_u32 v0, v4, s2
	s_and_b32 s12, s8, 0xff
	s_wait_loadcnt 0x0
	v_lshlrev_b32_e32 v2, 16, v2
	s_cmp_lt_i32 s12, 11
	s_delay_alu instid0(VALU_DEP_1) | instskip(NEXT) | instid1(VALU_DEP_3)
	v_cmp_eq_f32_e64 s0, 0xff800000, v2
	v_ashrrev_i32_e32 v1, 31, v0
	s_delay_alu instid0(VALU_DEP_1)
	v_add_nc_u64_e32 v[0:1], s[4:5], v[0:1]
	s_cbranch_scc1 .LBB94_19
; %bb.12:
	s_and_b32 s17, 0xffff, s12
	s_delay_alu instid0(SALU_CYCLE_1)
	s_cmp_gt_i32 s17, 25
	s_cbranch_scc0 .LBB94_22
; %bb.13:
	s_cmp_gt_i32 s17, 28
	s_cbranch_scc0 .LBB94_24
; %bb.14:
	;; [unrolled: 3-line block ×4, first 2 shown]
	s_mov_b32 s19, 0
	s_mov_b32 s1, -1
	s_cmp_eq_u32 s17, 46
	s_mov_b32 s18, 0
	s_cbranch_scc0 .LBB94_33
; %bb.17:
	v_cndmask_b32_e64 v2, 0, 1.0, s0
	s_mov_b32 s18, -1
	s_mov_b32 s1, 0
	s_delay_alu instid0(VALU_DEP_1) | instskip(NEXT) | instid1(VALU_DEP_1)
	v_bfe_u32 v3, v2, 16, 1
	v_add3_u32 v2, v2, v3, 0x7fff
	s_delay_alu instid0(VALU_DEP_1)
	v_lshrrev_b32_e32 v2, 16, v2
	global_store_b32 v[0:1], v2, off
	s_branch .LBB94_33
.LBB94_18:
	s_mov_b32 s1, 0
                                        ; implicit-def: $vgpr2
	s_cbranch_execnz .LBB94_167
	s_branch .LBB94_201
.LBB94_19:
	s_mov_b32 s1, 0
	s_mov_b32 s18, 0
	s_cbranch_execnz .LBB94_102
.LBB94_20:
	s_and_not1_b32 vcc_lo, exec_lo, s18
	s_cbranch_vccnz .LBB94_250
	s_branch .LBB94_140
.LBB94_21:
	s_mov_b32 s12, -1
	s_mov_b32 s1, 0
                                        ; implicit-def: $vgpr2
	s_branch .LBB94_148
.LBB94_22:
	s_mov_b32 s19, -1
	s_mov_b32 s1, 0
	s_mov_b32 s18, 0
	s_branch .LBB94_60
.LBB94_23:
	s_mov_b32 s12, -1
	s_mov_b32 s1, 0
                                        ; implicit-def: $vgpr2
	s_branch .LBB94_143
.LBB94_24:
	s_mov_b32 s19, -1
	s_mov_b32 s1, 0
	s_mov_b32 s18, 0
	s_branch .LBB94_43
.LBB94_25:
	s_mov_b32 s12, -1
	s_branch .LBB94_28
.LBB94_26:
	s_mov_b32 s19, -1
	s_mov_b32 s1, 0
	s_mov_b32 s18, 0
	s_branch .LBB94_39
.LBB94_27:
	s_mov_b32 s14, -1
.LBB94_28:
	s_mov_b32 s1, 0
                                        ; implicit-def: $vgpr2
.LBB94_29:
	s_and_b32 vcc_lo, exec_lo, s12
	s_cbranch_vccz .LBB94_142
; %bb.30:
	s_cmp_eq_u32 s0, 44
	s_cbranch_scc0 .LBB94_141
; %bb.31:
	s_wait_loadcnt 0x0
	global_load_u8 v2, v[0:1], off
	s_mov_b32 s14, 0
	s_mov_b32 s1, -1
	s_wait_loadcnt 0x0
	v_lshlrev_b32_e32 v3, 23, v2
	v_cmp_ne_u32_e32 vcc_lo, 0xff, v2
	s_delay_alu instid0(VALU_DEP_2) | instskip(SKIP_1) | instid1(VALU_DEP_2)
	v_cndmask_b32_e32 v3, 0x7f800001, v3, vcc_lo
	v_cmp_ne_u32_e32 vcc_lo, 0, v2
	v_cndmask_b32_e32 v2, 0x400000, v3, vcc_lo
	s_delay_alu instid0(VALU_DEP_1) | instskip(NEXT) | instid1(VALU_DEP_1)
	v_add_nc_u32_e32 v3, 0x7fff, v2
	v_lshrrev_b32_e32 v3, 16, v3
	v_cmp_o_f32_e32 vcc_lo, v2, v2
	s_delay_alu instid0(VALU_DEP_2)
	v_cndmask_b32_e32 v2, 0x7fc0, v3, vcc_lo
	s_branch .LBB94_142
.LBB94_32:
	s_mov_b32 s19, -1
	s_mov_b32 s1, 0
	s_mov_b32 s18, 0
.LBB94_33:
	s_and_b32 vcc_lo, exec_lo, s19
	s_cbranch_vccz .LBB94_38
; %bb.34:
	s_cmp_eq_u32 s17, 44
	s_mov_b32 s1, -1
	s_cbranch_scc0 .LBB94_38
; %bb.35:
	v_cndmask_b32_e64 v5, 0, 1.0, s0
	s_mov_b32 s18, exec_lo
	s_wait_xcnt 0x0
	s_delay_alu instid0(VALU_DEP_1) | instskip(NEXT) | instid1(VALU_DEP_1)
	v_dual_mov_b32 v3, 0xff :: v_dual_lshrrev_b32 v2, 23, v5
	v_cmpx_ne_u32_e32 0xff, v2
; %bb.36:
	v_and_b32_e32 v3, 0x400000, v5
	v_and_or_b32 v5, 0x3fffff, v5, v2
	s_delay_alu instid0(VALU_DEP_2) | instskip(NEXT) | instid1(VALU_DEP_2)
	v_cmp_ne_u32_e32 vcc_lo, 0, v3
	v_cmp_ne_u32_e64 s1, 0, v5
	s_and_b32 s1, vcc_lo, s1
	s_delay_alu instid0(SALU_CYCLE_1) | instskip(NEXT) | instid1(VALU_DEP_1)
	v_cndmask_b32_e64 v3, 0, 1, s1
	v_add_nc_u32_e32 v3, v2, v3
; %bb.37:
	s_or_b32 exec_lo, exec_lo, s18
	s_mov_b32 s18, -1
	s_mov_b32 s1, 0
	global_store_b8 v[0:1], v3, off
.LBB94_38:
	s_mov_b32 s19, 0
.LBB94_39:
	s_delay_alu instid0(SALU_CYCLE_1)
	s_and_b32 vcc_lo, exec_lo, s19
	s_cbranch_vccz .LBB94_42
; %bb.40:
	s_cmp_eq_u32 s17, 29
	s_mov_b32 s1, -1
	s_cbranch_scc0 .LBB94_42
; %bb.41:
	s_mov_b32 s1, 0
	s_wait_xcnt 0x0
	v_cndmask_b32_e64 v2, 0, 1, s0
	v_mov_b32_e32 v3, s1
	s_mov_b32 s18, -1
	s_mov_b32 s19, 0
	global_store_b64 v[0:1], v[2:3], off
	s_branch .LBB94_43
.LBB94_42:
	s_mov_b32 s19, 0
.LBB94_43:
	s_delay_alu instid0(SALU_CYCLE_1)
	s_and_b32 vcc_lo, exec_lo, s19
	s_cbranch_vccz .LBB94_59
; %bb.44:
	s_cmp_lt_i32 s17, 27
	s_mov_b32 s18, -1
	s_cbranch_scc1 .LBB94_50
; %bb.45:
	s_cmp_gt_i32 s17, 27
	s_cbranch_scc0 .LBB94_47
; %bb.46:
	s_wait_xcnt 0x0
	v_cndmask_b32_e64 v2, 0, 1, s0
	s_mov_b32 s18, 0
	global_store_b32 v[0:1], v2, off
.LBB94_47:
	s_and_not1_b32 vcc_lo, exec_lo, s18
	s_cbranch_vccnz .LBB94_49
; %bb.48:
	s_wait_xcnt 0x0
	v_cndmask_b32_e64 v2, 0, 1, s0
	global_store_b16 v[0:1], v2, off
.LBB94_49:
	s_mov_b32 s18, 0
.LBB94_50:
	s_delay_alu instid0(SALU_CYCLE_1)
	s_and_not1_b32 vcc_lo, exec_lo, s18
	s_cbranch_vccnz .LBB94_58
; %bb.51:
	s_wait_xcnt 0x0
	v_cndmask_b32_e64 v3, 0, 1.0, s0
	v_mov_b32_e32 v5, 0x80
	s_mov_b32 s18, exec_lo
	s_delay_alu instid0(VALU_DEP_2)
	v_cmpx_gt_u32_e32 0x43800000, v3
	s_cbranch_execz .LBB94_57
; %bb.52:
	s_mov_b32 s19, 0
	s_mov_b32 s20, exec_lo
                                        ; implicit-def: $vgpr2
	v_cmpx_lt_u32_e32 0x3bffffff, v3
	s_xor_b32 s20, exec_lo, s20
	s_cbranch_execz .LBB94_279
; %bb.53:
	v_bfe_u32 v2, v3, 20, 1
	s_mov_b32 s19, exec_lo
	s_delay_alu instid0(VALU_DEP_1) | instskip(NEXT) | instid1(VALU_DEP_1)
	v_add3_u32 v2, v3, v2, 0x487ffff
                                        ; implicit-def: $vgpr3
	v_lshrrev_b32_e32 v2, 20, v2
	s_and_not1_saveexec_b32 s20, s20
	s_cbranch_execnz .LBB94_280
.LBB94_54:
	s_or_b32 exec_lo, exec_lo, s20
	v_mov_b32_e32 v5, 0
	s_and_saveexec_b32 s20, s19
.LBB94_55:
	v_mov_b32_e32 v5, v2
.LBB94_56:
	s_or_b32 exec_lo, exec_lo, s20
.LBB94_57:
	s_delay_alu instid0(SALU_CYCLE_1)
	s_or_b32 exec_lo, exec_lo, s18
	global_store_b8 v[0:1], v5, off
.LBB94_58:
	s_mov_b32 s18, -1
.LBB94_59:
	s_mov_b32 s19, 0
.LBB94_60:
	s_delay_alu instid0(SALU_CYCLE_1)
	s_and_b32 vcc_lo, exec_lo, s19
	s_cbranch_vccz .LBB94_101
; %bb.61:
	s_cmp_gt_i32 s17, 22
	s_mov_b32 s19, -1
	s_cbranch_scc0 .LBB94_93
; %bb.62:
	s_cmp_lt_i32 s17, 24
	s_mov_b32 s18, -1
	s_cbranch_scc1 .LBB94_82
; %bb.63:
	s_cmp_gt_i32 s17, 24
	s_cbranch_scc0 .LBB94_71
; %bb.64:
	s_wait_xcnt 0x0
	v_cndmask_b32_e64 v3, 0, 1.0, s0
	v_mov_b32_e32 v5, 0x80
	s_mov_b32 s18, exec_lo
	s_delay_alu instid0(VALU_DEP_2)
	v_cmpx_gt_u32_e32 0x47800000, v3
	s_cbranch_execz .LBB94_70
; %bb.65:
	s_mov_b32 s19, 0
	s_mov_b32 s20, exec_lo
                                        ; implicit-def: $vgpr2
	v_cmpx_lt_u32_e32 0x37ffffff, v3
	s_xor_b32 s20, exec_lo, s20
	s_cbranch_execz .LBB94_283
; %bb.66:
	v_bfe_u32 v2, v3, 21, 1
	s_mov_b32 s19, exec_lo
	s_delay_alu instid0(VALU_DEP_1) | instskip(NEXT) | instid1(VALU_DEP_1)
	v_add3_u32 v2, v3, v2, 0x88fffff
                                        ; implicit-def: $vgpr3
	v_lshrrev_b32_e32 v2, 21, v2
	s_and_not1_saveexec_b32 s20, s20
	s_cbranch_execnz .LBB94_284
.LBB94_67:
	s_or_b32 exec_lo, exec_lo, s20
	v_mov_b32_e32 v5, 0
	s_and_saveexec_b32 s20, s19
.LBB94_68:
	v_mov_b32_e32 v5, v2
.LBB94_69:
	s_or_b32 exec_lo, exec_lo, s20
.LBB94_70:
	s_delay_alu instid0(SALU_CYCLE_1)
	s_or_b32 exec_lo, exec_lo, s18
	s_mov_b32 s18, 0
	global_store_b8 v[0:1], v5, off
.LBB94_71:
	s_and_b32 vcc_lo, exec_lo, s18
	s_cbranch_vccz .LBB94_81
; %bb.72:
	s_wait_xcnt 0x0
	v_cndmask_b32_e64 v3, 0, 1.0, s0
	s_mov_b32 s18, exec_lo
                                        ; implicit-def: $vgpr2
	s_delay_alu instid0(VALU_DEP_1)
	v_cmpx_gt_u32_e32 0x43f00000, v3
	s_xor_b32 s18, exec_lo, s18
	s_cbranch_execz .LBB94_78
; %bb.73:
	s_mov_b32 s19, exec_lo
                                        ; implicit-def: $vgpr2
	v_cmpx_lt_u32_e32 0x3c7fffff, v3
	s_xor_b32 s19, exec_lo, s19
; %bb.74:
	v_bfe_u32 v2, v3, 20, 1
	s_delay_alu instid0(VALU_DEP_1) | instskip(NEXT) | instid1(VALU_DEP_1)
	v_add3_u32 v2, v3, v2, 0x407ffff
	v_and_b32_e32 v3, 0xff00000, v2
	v_lshrrev_b32_e32 v2, 20, v2
	s_delay_alu instid0(VALU_DEP_2) | instskip(NEXT) | instid1(VALU_DEP_2)
	v_cmp_ne_u32_e32 vcc_lo, 0x7f00000, v3
                                        ; implicit-def: $vgpr3
	v_cndmask_b32_e32 v2, 0x7e, v2, vcc_lo
; %bb.75:
	s_and_not1_saveexec_b32 s19, s19
; %bb.76:
	v_add_f32_e32 v2, 0x46800000, v3
; %bb.77:
	s_or_b32 exec_lo, exec_lo, s19
                                        ; implicit-def: $vgpr3
.LBB94_78:
	s_and_not1_saveexec_b32 s18, s18
; %bb.79:
	v_mov_b32_e32 v2, 0x7f
	v_cmp_lt_u32_e32 vcc_lo, 0x7f800000, v3
	s_delay_alu instid0(VALU_DEP_2)
	v_cndmask_b32_e32 v2, 0x7e, v2, vcc_lo
; %bb.80:
	s_or_b32 exec_lo, exec_lo, s18
	global_store_b8 v[0:1], v2, off
.LBB94_81:
	s_mov_b32 s18, 0
.LBB94_82:
	s_delay_alu instid0(SALU_CYCLE_1)
	s_and_not1_b32 vcc_lo, exec_lo, s18
	s_cbranch_vccnz .LBB94_92
; %bb.83:
	s_wait_xcnt 0x0
	v_cndmask_b32_e64 v3, 0, 1.0, s0
	s_mov_b32 s18, exec_lo
                                        ; implicit-def: $vgpr2
	s_delay_alu instid0(VALU_DEP_1)
	v_cmpx_gt_u32_e32 0x47800000, v3
	s_xor_b32 s18, exec_lo, s18
	s_cbranch_execz .LBB94_89
; %bb.84:
	s_mov_b32 s19, exec_lo
                                        ; implicit-def: $vgpr2
	v_cmpx_lt_u32_e32 0x387fffff, v3
	s_xor_b32 s19, exec_lo, s19
; %bb.85:
	v_bfe_u32 v2, v3, 21, 1
	s_delay_alu instid0(VALU_DEP_1) | instskip(NEXT) | instid1(VALU_DEP_1)
	v_add3_u32 v2, v3, v2, 0x80fffff
                                        ; implicit-def: $vgpr3
	v_lshrrev_b32_e32 v2, 21, v2
; %bb.86:
	s_and_not1_saveexec_b32 s19, s19
; %bb.87:
	v_add_f32_e32 v2, 0x43000000, v3
; %bb.88:
	s_or_b32 exec_lo, exec_lo, s19
                                        ; implicit-def: $vgpr3
.LBB94_89:
	s_and_not1_saveexec_b32 s18, s18
; %bb.90:
	v_mov_b32_e32 v2, 0x7f
	v_cmp_lt_u32_e32 vcc_lo, 0x7f800000, v3
	s_delay_alu instid0(VALU_DEP_2)
	v_cndmask_b32_e32 v2, 0x7c, v2, vcc_lo
; %bb.91:
	s_or_b32 exec_lo, exec_lo, s18
	global_store_b8 v[0:1], v2, off
.LBB94_92:
	s_mov_b32 s19, 0
	s_mov_b32 s18, -1
.LBB94_93:
	s_and_not1_b32 vcc_lo, exec_lo, s19
	s_cbranch_vccnz .LBB94_101
; %bb.94:
	s_cmp_gt_i32 s17, 14
	s_mov_b32 s19, -1
	s_cbranch_scc0 .LBB94_98
; %bb.95:
	s_cmp_eq_u32 s17, 15
	s_mov_b32 s1, -1
	s_cbranch_scc0 .LBB94_97
; %bb.96:
	s_wait_xcnt 0x0
	v_cndmask_b32_e64 v2, 0, 1.0, s0
	s_mov_b32 s18, -1
	s_mov_b32 s1, 0
	s_delay_alu instid0(VALU_DEP_1) | instskip(NEXT) | instid1(VALU_DEP_1)
	v_bfe_u32 v3, v2, 16, 1
	v_add3_u32 v2, v2, v3, 0x7fff
	global_store_d16_hi_b16 v[0:1], v2, off
.LBB94_97:
	s_mov_b32 s19, 0
.LBB94_98:
	s_delay_alu instid0(SALU_CYCLE_1)
	s_and_b32 vcc_lo, exec_lo, s19
	s_cbranch_vccz .LBB94_101
; %bb.99:
	s_cmp_eq_u32 s17, 11
	s_mov_b32 s1, -1
	s_cbranch_scc0 .LBB94_101
; %bb.100:
	s_wait_xcnt 0x0
	v_cndmask_b32_e64 v2, 0, 1, s0
	s_mov_b32 s18, -1
	s_mov_b32 s1, 0
	global_store_b8 v[0:1], v2, off
.LBB94_101:
	s_branch .LBB94_20
.LBB94_102:
	s_and_b32 s12, 0xffff, s12
	s_mov_b32 s17, -1
	s_cmp_lt_i32 s12, 5
	s_cbranch_scc1 .LBB94_123
; %bb.103:
	s_cmp_lt_i32 s12, 8
	s_cbranch_scc1 .LBB94_113
; %bb.104:
	s_cmp_lt_i32 s12, 9
	s_cbranch_scc1 .LBB94_110
; %bb.105:
	s_cmp_gt_i32 s12, 9
	s_cbranch_scc0 .LBB94_107
; %bb.106:
	s_wait_xcnt 0x0
	v_cndmask_b32_e64 v2, 0, 1, s0
	v_mov_b32_e32 v8, 0
	s_mov_b32 s17, 0
	s_delay_alu instid0(VALU_DEP_2) | instskip(NEXT) | instid1(VALU_DEP_2)
	v_cvt_f64_u32_e32 v[6:7], v2
	v_mov_b32_e32 v9, v8
	global_store_b128 v[0:1], v[6:9], off
.LBB94_107:
	s_and_not1_b32 vcc_lo, exec_lo, s17
	s_cbranch_vccnz .LBB94_109
; %bb.108:
	s_wait_xcnt 0x0
	v_cndmask_b32_e64 v2, 0, 1.0, s0
	v_mov_b32_e32 v3, 0
	global_store_b64 v[0:1], v[2:3], off
.LBB94_109:
	s_mov_b32 s17, 0
.LBB94_110:
	s_delay_alu instid0(SALU_CYCLE_1)
	s_and_not1_b32 vcc_lo, exec_lo, s17
	s_cbranch_vccnz .LBB94_112
; %bb.111:
	s_wait_xcnt 0x0
	v_cndmask_b32_e64 v2, 0, 1.0, s0
	s_delay_alu instid0(VALU_DEP_1) | instskip(NEXT) | instid1(VALU_DEP_1)
	v_cvt_f16_f32_e32 v2, v2
	v_and_b32_e32 v2, 0xffff, v2
	global_store_b32 v[0:1], v2, off
.LBB94_112:
	s_mov_b32 s17, 0
.LBB94_113:
	s_delay_alu instid0(SALU_CYCLE_1)
	s_and_not1_b32 vcc_lo, exec_lo, s17
	s_cbranch_vccnz .LBB94_122
; %bb.114:
	s_cmp_lt_i32 s12, 6
	s_mov_b32 s17, -1
	s_cbranch_scc1 .LBB94_120
; %bb.115:
	s_cmp_gt_i32 s12, 6
	s_cbranch_scc0 .LBB94_117
; %bb.116:
	s_wait_xcnt 0x0
	v_cndmask_b32_e64 v2, 0, 1, s0
	s_mov_b32 s17, 0
	s_delay_alu instid0(VALU_DEP_1)
	v_cvt_f64_u32_e32 v[2:3], v2
	global_store_b64 v[0:1], v[2:3], off
.LBB94_117:
	s_and_not1_b32 vcc_lo, exec_lo, s17
	s_cbranch_vccnz .LBB94_119
; %bb.118:
	s_wait_xcnt 0x0
	v_cndmask_b32_e64 v2, 0, 1.0, s0
	global_store_b32 v[0:1], v2, off
.LBB94_119:
	s_mov_b32 s17, 0
.LBB94_120:
	s_delay_alu instid0(SALU_CYCLE_1)
	s_and_not1_b32 vcc_lo, exec_lo, s17
	s_cbranch_vccnz .LBB94_122
; %bb.121:
	s_wait_xcnt 0x0
	v_cndmask_b32_e64 v2, 0, 1.0, s0
	s_delay_alu instid0(VALU_DEP_1)
	v_cvt_f16_f32_e32 v2, v2
	global_store_b16 v[0:1], v2, off
.LBB94_122:
	s_mov_b32 s17, 0
.LBB94_123:
	s_delay_alu instid0(SALU_CYCLE_1)
	s_and_not1_b32 vcc_lo, exec_lo, s17
	s_cbranch_vccnz .LBB94_139
; %bb.124:
	s_cmp_lt_i32 s12, 2
	s_mov_b32 s17, -1
	s_cbranch_scc1 .LBB94_134
; %bb.125:
	s_cmp_lt_i32 s12, 3
	s_cbranch_scc1 .LBB94_131
; %bb.126:
	s_cmp_gt_i32 s12, 3
	s_cbranch_scc0 .LBB94_128
; %bb.127:
	s_mov_b32 s17, 0
	s_wait_xcnt 0x0
	v_cndmask_b32_e64 v2, 0, 1, s0
	v_mov_b32_e32 v3, s17
	global_store_b64 v[0:1], v[2:3], off
.LBB94_128:
	s_and_not1_b32 vcc_lo, exec_lo, s17
	s_cbranch_vccnz .LBB94_130
; %bb.129:
	s_wait_xcnt 0x0
	v_cndmask_b32_e64 v2, 0, 1, s0
	global_store_b32 v[0:1], v2, off
.LBB94_130:
	s_mov_b32 s17, 0
.LBB94_131:
	s_delay_alu instid0(SALU_CYCLE_1)
	s_and_not1_b32 vcc_lo, exec_lo, s17
	s_cbranch_vccnz .LBB94_133
; %bb.132:
	s_wait_xcnt 0x0
	v_cndmask_b32_e64 v2, 0, 1, s0
	global_store_b16 v[0:1], v2, off
.LBB94_133:
	s_mov_b32 s17, 0
.LBB94_134:
	s_delay_alu instid0(SALU_CYCLE_1)
	s_and_not1_b32 vcc_lo, exec_lo, s17
	s_cbranch_vccnz .LBB94_139
; %bb.135:
	s_wait_xcnt 0x0
	v_cndmask_b32_e64 v2, 0, 1, s0
	s_cmp_gt_i32 s12, 0
	s_mov_b32 s0, -1
	s_cbranch_scc0 .LBB94_137
; %bb.136:
	s_mov_b32 s0, 0
	global_store_b8 v[0:1], v2, off
.LBB94_137:
	s_and_not1_b32 vcc_lo, exec_lo, s0
	s_cbranch_vccnz .LBB94_139
; %bb.138:
	global_store_b8 v[0:1], v2, off
.LBB94_139:
.LBB94_140:
	v_add_nc_u32_e32 v4, 0x80, v4
	s_mov_b32 s0, -1
	s_branch .LBB94_251
.LBB94_141:
	s_mov_b32 s14, -1
                                        ; implicit-def: $vgpr2
.LBB94_142:
	s_mov_b32 s12, 0
.LBB94_143:
	s_delay_alu instid0(SALU_CYCLE_1)
	s_and_b32 vcc_lo, exec_lo, s12
	s_cbranch_vccz .LBB94_147
; %bb.144:
	s_cmp_eq_u32 s0, 29
	s_cbranch_scc0 .LBB94_146
; %bb.145:
	s_wait_loadcnt 0x0
	global_load_b64 v[2:3], v[0:1], off
	s_mov_b32 s1, -1
	s_mov_b32 s14, 0
	s_mov_b32 s12, 0
	s_wait_loadcnt 0x0
	v_clz_i32_u32_e32 v5, v3
	s_delay_alu instid0(VALU_DEP_1) | instskip(NEXT) | instid1(VALU_DEP_1)
	v_min_u32_e32 v5, 32, v5
	v_lshlrev_b64_e32 v[2:3], v5, v[2:3]
	s_delay_alu instid0(VALU_DEP_1) | instskip(NEXT) | instid1(VALU_DEP_1)
	v_min_u32_e32 v2, 1, v2
	v_dual_sub_nc_u32 v3, 32, v5 :: v_dual_bitop2_b32 v2, v3, v2 bitop3:0x54
	s_delay_alu instid0(VALU_DEP_1) | instskip(NEXT) | instid1(VALU_DEP_1)
	v_cvt_f32_u32_e32 v2, v2
	v_ldexp_f32 v2, v2, v3
	s_delay_alu instid0(VALU_DEP_1) | instskip(NEXT) | instid1(VALU_DEP_1)
	v_bfe_u32 v3, v2, 16, 1
	v_add3_u32 v2, v2, v3, 0x7fff
	s_delay_alu instid0(VALU_DEP_1)
	v_lshrrev_b32_e32 v2, 16, v2
	s_branch .LBB94_148
.LBB94_146:
	s_mov_b32 s14, -1
                                        ; implicit-def: $vgpr2
.LBB94_147:
	s_mov_b32 s12, 0
.LBB94_148:
	s_delay_alu instid0(SALU_CYCLE_1)
	s_and_b32 vcc_lo, exec_lo, s12
	s_cbranch_vccz .LBB94_166
; %bb.149:
	s_cmp_lt_i32 s0, 27
	s_cbranch_scc1 .LBB94_152
; %bb.150:
	s_cmp_gt_i32 s0, 27
	s_cbranch_scc0 .LBB94_153
; %bb.151:
	s_wait_loadcnt 0x0
	global_load_b32 v2, v[0:1], off
	s_mov_b32 s1, 0
	s_wait_loadcnt 0x0
	v_cvt_f32_u32_e32 v2, v2
	s_delay_alu instid0(VALU_DEP_1) | instskip(NEXT) | instid1(VALU_DEP_1)
	v_bfe_u32 v3, v2, 16, 1
	v_add3_u32 v2, v2, v3, 0x7fff
	s_delay_alu instid0(VALU_DEP_1)
	v_lshrrev_b32_e32 v2, 16, v2
	s_branch .LBB94_154
.LBB94_152:
	s_mov_b32 s1, -1
                                        ; implicit-def: $vgpr2
	s_branch .LBB94_157
.LBB94_153:
	s_mov_b32 s1, -1
                                        ; implicit-def: $vgpr2
.LBB94_154:
	s_delay_alu instid0(SALU_CYCLE_1)
	s_and_not1_b32 vcc_lo, exec_lo, s1
	s_cbranch_vccnz .LBB94_156
; %bb.155:
	s_wait_loadcnt 0x0
	global_load_u16 v2, v[0:1], off
	s_wait_loadcnt 0x0
	v_cvt_f32_u32_e32 v2, v2
	s_delay_alu instid0(VALU_DEP_1) | instskip(NEXT) | instid1(VALU_DEP_1)
	v_bfe_u32 v3, v2, 16, 1
	v_add3_u32 v2, v2, v3, 0x7fff
	s_delay_alu instid0(VALU_DEP_1)
	v_lshrrev_b32_e32 v2, 16, v2
.LBB94_156:
	s_mov_b32 s1, 0
.LBB94_157:
	s_delay_alu instid0(SALU_CYCLE_1)
	s_and_not1_b32 vcc_lo, exec_lo, s1
	s_cbranch_vccnz .LBB94_165
; %bb.158:
	s_wait_loadcnt 0x0
	global_load_u8 v2, v[0:1], off
	s_mov_b32 s1, 0
	s_mov_b32 s12, exec_lo
	s_wait_loadcnt 0x0
	v_cmpx_lt_i16_e32 0x7f, v2
	s_xor_b32 s12, exec_lo, s12
	s_cbranch_execz .LBB94_178
; %bb.159:
	s_mov_b32 s1, -1
	s_mov_b32 s17, exec_lo
	v_cmpx_eq_u16_e32 0x80, v2
; %bb.160:
	s_xor_b32 s1, exec_lo, -1
; %bb.161:
	s_or_b32 exec_lo, exec_lo, s17
	s_delay_alu instid0(SALU_CYCLE_1)
	s_and_b32 s1, s1, exec_lo
	s_or_saveexec_b32 s12, s12
	v_mov_b32_e32 v3, 0x7f800001
	s_xor_b32 exec_lo, exec_lo, s12
	s_cbranch_execnz .LBB94_179
.LBB94_162:
	s_or_b32 exec_lo, exec_lo, s12
	s_and_saveexec_b32 s12, s1
	s_cbranch_execz .LBB94_164
.LBB94_163:
	v_and_b32_e32 v3, 0xffff, v2
	s_delay_alu instid0(VALU_DEP_1) | instskip(SKIP_1) | instid1(VALU_DEP_2)
	v_and_b32_e32 v5, 7, v3
	v_bfe_u32 v8, v3, 3, 4
	v_clz_i32_u32_e32 v6, v5
	s_delay_alu instid0(VALU_DEP_2) | instskip(NEXT) | instid1(VALU_DEP_2)
	v_cmp_eq_u32_e32 vcc_lo, 0, v8
	v_min_u32_e32 v6, 32, v6
	s_delay_alu instid0(VALU_DEP_1) | instskip(NEXT) | instid1(VALU_DEP_1)
	v_subrev_nc_u32_e32 v7, 28, v6
	v_dual_lshlrev_b32 v3, v7, v3 :: v_dual_sub_nc_u32 v6, 29, v6
	s_delay_alu instid0(VALU_DEP_1) | instskip(NEXT) | instid1(VALU_DEP_1)
	v_dual_lshlrev_b32 v2, 24, v2 :: v_dual_bitop2_b32 v3, 7, v3 bitop3:0x40
	v_dual_cndmask_b32 v3, v5, v3 :: v_dual_cndmask_b32 v6, v8, v6
	s_delay_alu instid0(VALU_DEP_2) | instskip(NEXT) | instid1(VALU_DEP_2)
	v_and_b32_e32 v2, 0x80000000, v2
	v_lshlrev_b32_e32 v3, 20, v3
	s_delay_alu instid0(VALU_DEP_3) | instskip(NEXT) | instid1(VALU_DEP_1)
	v_lshl_add_u32 v5, v6, 23, 0x3b800000
	v_or3_b32 v3, v2, v5, v3
.LBB94_164:
	s_or_b32 exec_lo, exec_lo, s12
	s_delay_alu instid0(VALU_DEP_1) | instskip(SKIP_1) | instid1(VALU_DEP_2)
	v_bfe_u32 v2, v3, 16, 1
	v_cmp_o_f32_e32 vcc_lo, v3, v3
	v_add3_u32 v2, v3, v2, 0x7fff
	s_delay_alu instid0(VALU_DEP_1) | instskip(NEXT) | instid1(VALU_DEP_1)
	v_lshrrev_b32_e32 v2, 16, v2
	v_cndmask_b32_e32 v2, 0x7fc0, v2, vcc_lo
.LBB94_165:
	s_mov_b32 s1, -1
.LBB94_166:
	s_branch .LBB94_201
.LBB94_167:
	s_cmp_gt_i32 s0, 22
	s_cbranch_scc0 .LBB94_177
; %bb.168:
	s_cmp_lt_i32 s0, 24
	s_cbranch_scc1 .LBB94_180
; %bb.169:
	s_cmp_gt_i32 s0, 24
	s_cbranch_scc0 .LBB94_181
; %bb.170:
	s_wait_loadcnt 0x0
	global_load_u8 v2, v[0:1], off
	s_mov_b32 s1, 0
	s_mov_b32 s12, exec_lo
	s_wait_loadcnt 0x0
	v_cmpx_lt_i16_e32 0x7f, v2
	s_xor_b32 s12, exec_lo, s12
	s_cbranch_execz .LBB94_193
; %bb.171:
	s_mov_b32 s1, -1
	s_mov_b32 s17, exec_lo
	v_cmpx_eq_u16_e32 0x80, v2
; %bb.172:
	s_xor_b32 s1, exec_lo, -1
; %bb.173:
	s_or_b32 exec_lo, exec_lo, s17
	s_delay_alu instid0(SALU_CYCLE_1)
	s_and_b32 s1, s1, exec_lo
	s_or_saveexec_b32 s12, s12
	v_mov_b32_e32 v3, 0x7f800001
	s_xor_b32 exec_lo, exec_lo, s12
	s_cbranch_execnz .LBB94_194
.LBB94_174:
	s_or_b32 exec_lo, exec_lo, s12
	s_and_saveexec_b32 s12, s1
	s_cbranch_execz .LBB94_176
.LBB94_175:
	v_and_b32_e32 v3, 0xffff, v2
	s_delay_alu instid0(VALU_DEP_1) | instskip(SKIP_1) | instid1(VALU_DEP_2)
	v_and_b32_e32 v5, 3, v3
	v_bfe_u32 v8, v3, 2, 5
	v_clz_i32_u32_e32 v6, v5
	s_delay_alu instid0(VALU_DEP_2) | instskip(NEXT) | instid1(VALU_DEP_2)
	v_cmp_eq_u32_e32 vcc_lo, 0, v8
	v_min_u32_e32 v6, 32, v6
	s_delay_alu instid0(VALU_DEP_1) | instskip(NEXT) | instid1(VALU_DEP_1)
	v_subrev_nc_u32_e32 v7, 29, v6
	v_dual_lshlrev_b32 v3, v7, v3 :: v_dual_sub_nc_u32 v6, 30, v6
	s_delay_alu instid0(VALU_DEP_1) | instskip(NEXT) | instid1(VALU_DEP_1)
	v_dual_lshlrev_b32 v2, 24, v2 :: v_dual_bitop2_b32 v3, 3, v3 bitop3:0x40
	v_dual_cndmask_b32 v3, v5, v3 :: v_dual_cndmask_b32 v6, v8, v6
	s_delay_alu instid0(VALU_DEP_2) | instskip(NEXT) | instid1(VALU_DEP_2)
	v_and_b32_e32 v2, 0x80000000, v2
	v_lshlrev_b32_e32 v3, 21, v3
	s_delay_alu instid0(VALU_DEP_3) | instskip(NEXT) | instid1(VALU_DEP_1)
	v_lshl_add_u32 v5, v6, 23, 0x37800000
	v_or3_b32 v3, v2, v5, v3
.LBB94_176:
	s_or_b32 exec_lo, exec_lo, s12
	s_delay_alu instid0(VALU_DEP_1) | instskip(SKIP_2) | instid1(VALU_DEP_2)
	v_bfe_u32 v2, v3, 16, 1
	v_cmp_o_f32_e32 vcc_lo, v3, v3
	s_mov_b32 s1, 0
	v_add3_u32 v2, v3, v2, 0x7fff
	s_delay_alu instid0(VALU_DEP_1) | instskip(NEXT) | instid1(VALU_DEP_1)
	v_lshrrev_b32_e32 v2, 16, v2
	v_cndmask_b32_e32 v2, 0x7fc0, v2, vcc_lo
	s_branch .LBB94_182
.LBB94_177:
	s_mov_b32 s12, -1
                                        ; implicit-def: $vgpr2
	s_branch .LBB94_188
.LBB94_178:
	s_or_saveexec_b32 s12, s12
	v_mov_b32_e32 v3, 0x7f800001
	s_xor_b32 exec_lo, exec_lo, s12
	s_cbranch_execz .LBB94_162
.LBB94_179:
	v_cmp_ne_u16_e32 vcc_lo, 0, v2
	v_mov_b32_e32 v3, 0
	s_and_not1_b32 s1, s1, exec_lo
	s_and_b32 s17, vcc_lo, exec_lo
	s_delay_alu instid0(SALU_CYCLE_1)
	s_or_b32 s1, s1, s17
	s_or_b32 exec_lo, exec_lo, s12
	s_and_saveexec_b32 s12, s1
	s_cbranch_execnz .LBB94_163
	s_branch .LBB94_164
.LBB94_180:
	s_mov_b32 s1, -1
                                        ; implicit-def: $vgpr2
	s_branch .LBB94_185
.LBB94_181:
	s_mov_b32 s1, -1
                                        ; implicit-def: $vgpr2
.LBB94_182:
	s_delay_alu instid0(SALU_CYCLE_1)
	s_and_b32 vcc_lo, exec_lo, s1
	s_cbranch_vccz .LBB94_184
; %bb.183:
	s_wait_loadcnt 0x0
	global_load_u8 v2, v[0:1], off
	s_wait_loadcnt 0x0
	v_lshlrev_b32_e32 v2, 24, v2
	s_delay_alu instid0(VALU_DEP_1) | instskip(NEXT) | instid1(VALU_DEP_1)
	v_and_b32_e32 v3, 0x7f000000, v2
	v_clz_i32_u32_e32 v5, v3
	v_add_nc_u32_e32 v7, 0x1000000, v3
	v_cmp_ne_u32_e32 vcc_lo, 0, v3
	s_delay_alu instid0(VALU_DEP_3) | instskip(NEXT) | instid1(VALU_DEP_1)
	v_min_u32_e32 v5, 32, v5
	v_sub_nc_u32_e64 v5, v5, 4 clamp
	s_delay_alu instid0(VALU_DEP_1) | instskip(NEXT) | instid1(VALU_DEP_1)
	v_dual_lshlrev_b32 v6, v5, v3 :: v_dual_lshlrev_b32 v5, 23, v5
	v_lshrrev_b32_e32 v6, 4, v6
	s_delay_alu instid0(VALU_DEP_1) | instskip(NEXT) | instid1(VALU_DEP_1)
	v_dual_sub_nc_u32 v5, v6, v5 :: v_dual_ashrrev_i32 v6, 8, v7
	v_add_nc_u32_e32 v5, 0x3c000000, v5
	s_delay_alu instid0(VALU_DEP_1) | instskip(NEXT) | instid1(VALU_DEP_1)
	v_and_or_b32 v5, 0x7f800000, v6, v5
	v_cndmask_b32_e32 v3, 0, v5, vcc_lo
	s_delay_alu instid0(VALU_DEP_1) | instskip(SKIP_1) | instid1(VALU_DEP_2)
	v_and_or_b32 v2, 0x80000000, v2, v3
	v_bfe_u32 v3, v3, 16, 1
	v_cmp_o_f32_e32 vcc_lo, v2, v2
	s_delay_alu instid0(VALU_DEP_2) | instskip(NEXT) | instid1(VALU_DEP_1)
	v_add3_u32 v3, v2, v3, 0x7fff
	v_lshrrev_b32_e32 v3, 16, v3
	s_delay_alu instid0(VALU_DEP_1)
	v_cndmask_b32_e32 v2, 0x7fc0, v3, vcc_lo
.LBB94_184:
	s_mov_b32 s1, 0
.LBB94_185:
	s_delay_alu instid0(SALU_CYCLE_1)
	s_and_not1_b32 vcc_lo, exec_lo, s1
	s_cbranch_vccnz .LBB94_187
; %bb.186:
	s_wait_loadcnt 0x0
	global_load_u8 v2, v[0:1], off
	s_wait_loadcnt 0x0
	v_lshlrev_b32_e32 v3, 25, v2
	v_lshlrev_b16 v2, 8, v2
	s_delay_alu instid0(VALU_DEP_2) | instskip(NEXT) | instid1(VALU_DEP_2)
	v_cmp_gt_u32_e32 vcc_lo, 0x8000000, v3
	v_and_or_b32 v6, 0x7f00, v2, 0.5
	v_lshrrev_b32_e32 v5, 4, v3
	v_bfe_i32 v2, v2, 0, 16
	s_delay_alu instid0(VALU_DEP_3) | instskip(NEXT) | instid1(VALU_DEP_3)
	v_add_f32_e32 v6, -0.5, v6
	v_or_b32_e32 v5, 0x70000000, v5
	s_delay_alu instid0(VALU_DEP_1) | instskip(NEXT) | instid1(VALU_DEP_1)
	v_mul_f32_e32 v5, 0x7800000, v5
	v_cndmask_b32_e32 v3, v5, v6, vcc_lo
	s_delay_alu instid0(VALU_DEP_1) | instskip(SKIP_1) | instid1(VALU_DEP_2)
	v_and_or_b32 v2, 0x80000000, v2, v3
	v_bfe_u32 v3, v3, 16, 1
	v_cmp_o_f32_e32 vcc_lo, v2, v2
	s_delay_alu instid0(VALU_DEP_2) | instskip(NEXT) | instid1(VALU_DEP_1)
	v_add3_u32 v3, v2, v3, 0x7fff
	v_lshrrev_b32_e32 v3, 16, v3
	s_delay_alu instid0(VALU_DEP_1)
	v_cndmask_b32_e32 v2, 0x7fc0, v3, vcc_lo
.LBB94_187:
	s_mov_b32 s12, 0
	s_mov_b32 s1, -1
.LBB94_188:
	s_and_not1_b32 vcc_lo, exec_lo, s12
	s_cbranch_vccnz .LBB94_201
; %bb.189:
	s_cmp_gt_i32 s0, 14
	s_cbranch_scc0 .LBB94_192
; %bb.190:
	s_cmp_eq_u32 s0, 15
	s_cbranch_scc0 .LBB94_195
; %bb.191:
	s_wait_loadcnt 0x0
	global_load_u16 v2, v[0:1], off
	s_mov_b32 s1, -1
	s_mov_b32 s14, 0
	s_branch .LBB94_196
.LBB94_192:
	s_mov_b32 s12, -1
                                        ; implicit-def: $vgpr2
	s_branch .LBB94_197
.LBB94_193:
	s_or_saveexec_b32 s12, s12
	v_mov_b32_e32 v3, 0x7f800001
	s_xor_b32 exec_lo, exec_lo, s12
	s_cbranch_execz .LBB94_174
.LBB94_194:
	v_cmp_ne_u16_e32 vcc_lo, 0, v2
	v_mov_b32_e32 v3, 0
	s_and_not1_b32 s1, s1, exec_lo
	s_and_b32 s17, vcc_lo, exec_lo
	s_delay_alu instid0(SALU_CYCLE_1)
	s_or_b32 s1, s1, s17
	s_or_b32 exec_lo, exec_lo, s12
	s_and_saveexec_b32 s12, s1
	s_cbranch_execnz .LBB94_175
	s_branch .LBB94_176
.LBB94_195:
	s_mov_b32 s14, -1
                                        ; implicit-def: $vgpr2
.LBB94_196:
	s_mov_b32 s12, 0
.LBB94_197:
	s_delay_alu instid0(SALU_CYCLE_1)
	s_and_b32 vcc_lo, exec_lo, s12
	s_cbranch_vccz .LBB94_201
; %bb.198:
	s_cmp_eq_u32 s0, 11
	s_cbranch_scc0 .LBB94_200
; %bb.199:
	s_wait_loadcnt 0x0
	global_load_u8 v2, v[0:1], off
	s_mov_b32 s14, 0
	s_mov_b32 s1, -1
	s_wait_loadcnt 0x0
	v_cmp_ne_u16_e32 vcc_lo, 0, v2
	v_cndmask_b32_e64 v2, 0, 1.0, vcc_lo
	s_delay_alu instid0(VALU_DEP_1)
	v_lshrrev_b32_e32 v2, 16, v2
	s_branch .LBB94_201
.LBB94_200:
	s_mov_b32 s14, -1
                                        ; implicit-def: $vgpr2
.LBB94_201:
	s_branch .LBB94_10
.LBB94_202:
	s_cmp_lt_i32 s0, 5
	s_cbranch_scc1 .LBB94_207
; %bb.203:
	s_cmp_lt_i32 s0, 8
	s_cbranch_scc1 .LBB94_208
; %bb.204:
	;; [unrolled: 3-line block ×3, first 2 shown]
	s_cmp_gt_i32 s0, 9
	s_cbranch_scc0 .LBB94_210
; %bb.206:
	s_wait_loadcnt 0x0
	global_load_b64 v[2:3], v[0:1], off
	s_mov_b32 s1, 0
	s_wait_loadcnt 0x0
	v_cvt_f32_f64_e32 v2, v[2:3]
	s_delay_alu instid0(VALU_DEP_1) | instskip(SKIP_1) | instid1(VALU_DEP_2)
	v_bfe_u32 v3, v2, 16, 1
	v_cmp_o_f32_e32 vcc_lo, v2, v2
	v_add3_u32 v3, v2, v3, 0x7fff
	s_delay_alu instid0(VALU_DEP_1) | instskip(NEXT) | instid1(VALU_DEP_1)
	v_lshrrev_b32_e32 v3, 16, v3
	v_cndmask_b32_e32 v2, 0x7fc0, v3, vcc_lo
	s_branch .LBB94_211
.LBB94_207:
                                        ; implicit-def: $vgpr2
	s_branch .LBB94_229
.LBB94_208:
	s_mov_b32 s1, -1
                                        ; implicit-def: $vgpr2
	s_branch .LBB94_217
.LBB94_209:
	s_mov_b32 s1, -1
                                        ; implicit-def: $vgpr2
	s_branch .LBB94_214
.LBB94_210:
	s_mov_b32 s1, -1
                                        ; implicit-def: $vgpr2
.LBB94_211:
	s_delay_alu instid0(SALU_CYCLE_1)
	s_and_not1_b32 vcc_lo, exec_lo, s1
	s_cbranch_vccnz .LBB94_213
; %bb.212:
	s_wait_loadcnt 0x0
	global_load_b32 v2, v[0:1], off
	s_wait_loadcnt 0x0
	v_bfe_u32 v3, v2, 16, 1
	v_cmp_o_f32_e32 vcc_lo, v2, v2
	s_delay_alu instid0(VALU_DEP_2) | instskip(NEXT) | instid1(VALU_DEP_1)
	v_add3_u32 v3, v2, v3, 0x7fff
	v_lshrrev_b32_e32 v3, 16, v3
	s_delay_alu instid0(VALU_DEP_1)
	v_cndmask_b32_e32 v2, 0x7fc0, v3, vcc_lo
.LBB94_213:
	s_mov_b32 s1, 0
.LBB94_214:
	s_delay_alu instid0(SALU_CYCLE_1)
	s_and_not1_b32 vcc_lo, exec_lo, s1
	s_cbranch_vccnz .LBB94_216
; %bb.215:
	s_wait_loadcnt 0x0
	global_load_b32 v2, v[0:1], off
	s_wait_loadcnt 0x0
	v_cvt_f32_f16_e32 v3, v2
	v_cmp_o_f16_e32 vcc_lo, v2, v2
	s_delay_alu instid0(VALU_DEP_2) | instskip(NEXT) | instid1(VALU_DEP_1)
	v_bfe_u32 v5, v3, 16, 1
	v_add3_u32 v3, v3, v5, 0x7fff
	s_delay_alu instid0(VALU_DEP_1) | instskip(NEXT) | instid1(VALU_DEP_1)
	v_lshrrev_b32_e32 v3, 16, v3
	v_cndmask_b32_e32 v2, 0x7fc0, v3, vcc_lo
.LBB94_216:
	s_mov_b32 s1, 0
.LBB94_217:
	s_delay_alu instid0(SALU_CYCLE_1)
	s_and_not1_b32 vcc_lo, exec_lo, s1
	s_cbranch_vccnz .LBB94_228
; %bb.218:
	s_cmp_lt_i32 s0, 6
	s_cbranch_scc1 .LBB94_221
; %bb.219:
	s_cmp_gt_i32 s0, 6
	s_cbranch_scc0 .LBB94_222
; %bb.220:
	s_wait_loadcnt 0x0
	global_load_b64 v[2:3], v[0:1], off
	s_mov_b32 s1, 0
	s_wait_loadcnt 0x0
	v_cvt_f32_f64_e32 v2, v[2:3]
	s_delay_alu instid0(VALU_DEP_1) | instskip(SKIP_1) | instid1(VALU_DEP_2)
	v_bfe_u32 v3, v2, 16, 1
	v_cmp_o_f32_e32 vcc_lo, v2, v2
	v_add3_u32 v3, v2, v3, 0x7fff
	s_delay_alu instid0(VALU_DEP_1) | instskip(NEXT) | instid1(VALU_DEP_1)
	v_lshrrev_b32_e32 v3, 16, v3
	v_cndmask_b32_e32 v2, 0x7fc0, v3, vcc_lo
	s_branch .LBB94_223
.LBB94_221:
	s_mov_b32 s1, -1
                                        ; implicit-def: $vgpr2
	s_branch .LBB94_226
.LBB94_222:
	s_mov_b32 s1, -1
                                        ; implicit-def: $vgpr2
.LBB94_223:
	s_delay_alu instid0(SALU_CYCLE_1)
	s_and_not1_b32 vcc_lo, exec_lo, s1
	s_cbranch_vccnz .LBB94_225
; %bb.224:
	s_wait_loadcnt 0x0
	global_load_b32 v2, v[0:1], off
	s_wait_loadcnt 0x0
	v_bfe_u32 v3, v2, 16, 1
	v_cmp_o_f32_e32 vcc_lo, v2, v2
	s_delay_alu instid0(VALU_DEP_2) | instskip(NEXT) | instid1(VALU_DEP_1)
	v_add3_u32 v3, v2, v3, 0x7fff
	v_lshrrev_b32_e32 v3, 16, v3
	s_delay_alu instid0(VALU_DEP_1)
	v_cndmask_b32_e32 v2, 0x7fc0, v3, vcc_lo
.LBB94_225:
	s_mov_b32 s1, 0
.LBB94_226:
	s_delay_alu instid0(SALU_CYCLE_1)
	s_and_not1_b32 vcc_lo, exec_lo, s1
	s_cbranch_vccnz .LBB94_228
; %bb.227:
	s_wait_loadcnt 0x0
	global_load_u16 v2, v[0:1], off
	s_wait_loadcnt 0x0
	v_cvt_f32_f16_e32 v3, v2
	v_cmp_o_f16_e32 vcc_lo, v2, v2
	s_delay_alu instid0(VALU_DEP_2) | instskip(NEXT) | instid1(VALU_DEP_1)
	v_bfe_u32 v5, v3, 16, 1
	v_add3_u32 v3, v3, v5, 0x7fff
	s_delay_alu instid0(VALU_DEP_1) | instskip(NEXT) | instid1(VALU_DEP_1)
	v_lshrrev_b32_e32 v3, 16, v3
	v_cndmask_b32_e32 v2, 0x7fc0, v3, vcc_lo
.LBB94_228:
	s_cbranch_execnz .LBB94_248
.LBB94_229:
	s_cmp_lt_i32 s0, 2
	s_cbranch_scc1 .LBB94_233
; %bb.230:
	s_cmp_lt_i32 s0, 3
	s_cbranch_scc1 .LBB94_234
; %bb.231:
	s_cmp_gt_i32 s0, 3
	s_cbranch_scc0 .LBB94_235
; %bb.232:
	s_wait_loadcnt 0x0
	global_load_b64 v[2:3], v[0:1], off
	s_mov_b32 s1, 0
	s_wait_loadcnt 0x0
	v_xor_b32_e32 v5, v2, v3
	v_cls_i32_e32 v6, v3
	s_delay_alu instid0(VALU_DEP_2) | instskip(NEXT) | instid1(VALU_DEP_1)
	v_ashrrev_i32_e32 v5, 31, v5
	v_add_nc_u32_e32 v5, 32, v5
	s_delay_alu instid0(VALU_DEP_1) | instskip(NEXT) | instid1(VALU_DEP_1)
	v_add_min_u32_e64 v5, v6, -1, v5
	v_lshlrev_b64_e32 v[2:3], v5, v[2:3]
	s_delay_alu instid0(VALU_DEP_1) | instskip(NEXT) | instid1(VALU_DEP_1)
	v_min_u32_e32 v2, 1, v2
	v_dual_sub_nc_u32 v3, 32, v5 :: v_dual_bitop2_b32 v2, v3, v2 bitop3:0x54
	s_delay_alu instid0(VALU_DEP_1) | instskip(NEXT) | instid1(VALU_DEP_1)
	v_cvt_f32_i32_e32 v2, v2
	v_ldexp_f32 v2, v2, v3
	s_delay_alu instid0(VALU_DEP_1) | instskip(NEXT) | instid1(VALU_DEP_1)
	v_bfe_u32 v3, v2, 16, 1
	v_add3_u32 v2, v2, v3, 0x7fff
	s_delay_alu instid0(VALU_DEP_1)
	v_lshrrev_b32_e32 v2, 16, v2
	s_branch .LBB94_236
.LBB94_233:
	s_mov_b32 s1, -1
                                        ; implicit-def: $vgpr2
	s_branch .LBB94_242
.LBB94_234:
	s_mov_b32 s1, -1
                                        ; implicit-def: $vgpr2
	s_branch .LBB94_239
.LBB94_235:
	s_mov_b32 s1, -1
                                        ; implicit-def: $vgpr2
.LBB94_236:
	s_delay_alu instid0(SALU_CYCLE_1)
	s_and_not1_b32 vcc_lo, exec_lo, s1
	s_cbranch_vccnz .LBB94_238
; %bb.237:
	s_wait_loadcnt 0x0
	global_load_b32 v2, v[0:1], off
	s_wait_loadcnt 0x0
	v_cvt_f32_i32_e32 v2, v2
	s_delay_alu instid0(VALU_DEP_1) | instskip(NEXT) | instid1(VALU_DEP_1)
	v_bfe_u32 v3, v2, 16, 1
	v_add3_u32 v2, v2, v3, 0x7fff
	s_delay_alu instid0(VALU_DEP_1)
	v_lshrrev_b32_e32 v2, 16, v2
.LBB94_238:
	s_mov_b32 s1, 0
.LBB94_239:
	s_delay_alu instid0(SALU_CYCLE_1)
	s_and_not1_b32 vcc_lo, exec_lo, s1
	s_cbranch_vccnz .LBB94_241
; %bb.240:
	s_wait_loadcnt 0x0
	global_load_i16 v2, v[0:1], off
	s_wait_loadcnt 0x0
	v_cvt_f32_i32_e32 v2, v2
	s_delay_alu instid0(VALU_DEP_1) | instskip(NEXT) | instid1(VALU_DEP_1)
	v_bfe_u32 v3, v2, 16, 1
	v_add3_u32 v2, v2, v3, 0x7fff
	s_delay_alu instid0(VALU_DEP_1)
	v_lshrrev_b32_e32 v2, 16, v2
.LBB94_241:
	s_mov_b32 s1, 0
.LBB94_242:
	s_delay_alu instid0(SALU_CYCLE_1)
	s_and_not1_b32 vcc_lo, exec_lo, s1
	s_cbranch_vccnz .LBB94_248
; %bb.243:
	s_cmp_gt_i32 s0, 0
	s_mov_b32 s0, 0
	s_cbranch_scc0 .LBB94_245
; %bb.244:
	s_wait_loadcnt 0x0
	global_load_i8 v2, v[0:1], off
	s_wait_loadcnt 0x0
	v_cvt_f32_i32_e32 v2, v2
	s_delay_alu instid0(VALU_DEP_1) | instskip(NEXT) | instid1(VALU_DEP_1)
	v_bfe_u32 v3, v2, 16, 1
	v_add3_u32 v2, v2, v3, 0x7fff
	s_delay_alu instid0(VALU_DEP_1)
	v_lshrrev_b32_e32 v2, 16, v2
	s_branch .LBB94_246
.LBB94_245:
	s_mov_b32 s0, -1
                                        ; implicit-def: $vgpr2
.LBB94_246:
	s_delay_alu instid0(SALU_CYCLE_1)
	s_and_not1_b32 vcc_lo, exec_lo, s0
	s_cbranch_vccnz .LBB94_248
; %bb.247:
	global_load_u8 v0, v[0:1], off
	s_wait_loadcnt 0x0
	v_cvt_f32_ubyte0_e32 v0, v0
	s_delay_alu instid0(VALU_DEP_1) | instskip(NEXT) | instid1(VALU_DEP_1)
	v_bfe_u32 v1, v0, 16, 1
	v_add3_u32 v0, v0, v1, 0x7fff
	s_delay_alu instid0(VALU_DEP_1)
	v_lshrrev_b32_e32 v2, 16, v0
.LBB94_248:
	s_branch .LBB94_11
.LBB94_249:
	s_mov_b32 s1, 0
.LBB94_250:
	s_mov_b32 s0, 0
                                        ; implicit-def: $vgpr4
.LBB94_251:
	s_and_b32 s12, s1, exec_lo
	s_and_b32 s14, s14, exec_lo
	s_or_not1_b32 s1, s0, exec_lo
.LBB94_252:
	s_wait_xcnt 0x0
	s_or_b32 exec_lo, exec_lo, s15
	s_mov_b32 s17, 0
	s_mov_b32 s0, 0
                                        ; implicit-def: $vgpr0_vgpr1
                                        ; implicit-def: $vgpr2
	s_and_saveexec_b32 s15, s1
	s_cbranch_execz .LBB94_261
; %bb.253:
	s_mov_b32 s0, -1
	s_mov_b32 s16, s14
	s_mov_b32 s17, s12
	s_mov_b32 s18, exec_lo
	v_cmpx_gt_i32_e64 s13, v4
	s_cbranch_execz .LBB94_515
; %bb.254:
	v_mul_lo_u32 v0, v4, s3
	s_and_b32 s0, 0xffff, s10
	s_delay_alu instid0(SALU_CYCLE_1) | instskip(NEXT) | instid1(VALU_DEP_1)
	s_cmp_lt_i32 s0, 11
	v_ashrrev_i32_e32 v1, 31, v0
	s_delay_alu instid0(VALU_DEP_1)
	v_add_nc_u64_e32 v[0:1], s[6:7], v[0:1]
	s_cbranch_scc1 .LBB94_264
; %bb.255:
	s_cmp_gt_i32 s0, 25
	s_cbranch_scc0 .LBB94_273
; %bb.256:
	s_cmp_gt_i32 s0, 28
	s_cbranch_scc0 .LBB94_275
; %bb.257:
	s_cmp_gt_i32 s0, 43
	s_cbranch_scc0 .LBB94_277
; %bb.258:
	s_cmp_gt_i32 s0, 45
	s_cbranch_scc0 .LBB94_281
; %bb.259:
	s_cmp_eq_u32 s0, 46
	s_mov_b32 s17, 0
	s_cbranch_scc0 .LBB94_285
; %bb.260:
	s_wait_loadcnt 0x0
	global_load_b32 v2, v[0:1], off
	s_mov_b32 s1, -1
	s_mov_b32 s16, 0
	s_branch .LBB94_287
.LBB94_261:
	s_or_b32 exec_lo, exec_lo, s15
	s_mov_b32 s1, 0
	s_and_saveexec_b32 s13, s14
	s_cbranch_execnz .LBB94_863
.LBB94_262:
	s_or_b32 exec_lo, exec_lo, s13
	s_and_saveexec_b32 s13, s16
	s_delay_alu instid0(SALU_CYCLE_1)
	s_xor_b32 s13, exec_lo, s13
	s_cbranch_execz .LBB94_864
.LBB94_263:
	s_wait_loadcnt 0x0
	global_load_u8 v2, v[0:1], off
	s_or_b32 s0, s0, exec_lo
	s_wait_loadcnt 0x0
	v_cmp_ne_u16_e32 vcc_lo, 0, v2
	v_cndmask_b32_e64 v2, 0, 1.0, vcc_lo
	s_delay_alu instid0(VALU_DEP_1)
	v_lshrrev_b32_e32 v2, 16, v2
	s_wait_xcnt 0x0
	s_or_b32 exec_lo, exec_lo, s13
	s_and_saveexec_b32 s13, s17
	s_cbranch_execz .LBB94_910
	s_branch .LBB94_865
.LBB94_264:
	s_mov_b32 s1, 0
	s_mov_b32 s16, s14
                                        ; implicit-def: $vgpr2
	s_cbranch_execnz .LBB94_464
.LBB94_265:
	s_and_not1_b32 vcc_lo, exec_lo, s1
	s_cbranch_vccnz .LBB94_512
.LBB94_266:
	s_wait_xcnt 0x0
	v_mul_lo_u32 v0, v4, s2
	s_and_b32 s17, s8, 0xff
	s_wait_loadcnt 0x0
	v_lshlrev_b32_e32 v2, 16, v2
	s_cmp_lt_i32 s17, 11
	s_delay_alu instid0(VALU_DEP_1) | instskip(NEXT) | instid1(VALU_DEP_3)
	v_cmp_eq_f32_e64 s0, 0xff800000, v2
	v_ashrrev_i32_e32 v1, 31, v0
	s_delay_alu instid0(VALU_DEP_1)
	v_add_nc_u64_e32 v[0:1], s[4:5], v[0:1]
	s_cbranch_scc1 .LBB94_274
; %bb.267:
	s_and_b32 s19, 0xffff, s17
	s_delay_alu instid0(SALU_CYCLE_1)
	s_cmp_gt_i32 s19, 25
	s_cbranch_scc0 .LBB94_276
; %bb.268:
	s_cmp_gt_i32 s19, 28
	s_cbranch_scc0 .LBB94_278
; %bb.269:
	;; [unrolled: 3-line block ×4, first 2 shown]
	s_mov_b32 s21, 0
	s_mov_b32 s1, -1
	s_cmp_eq_u32 s19, 46
	s_mov_b32 s20, 0
	s_cbranch_scc0 .LBB94_291
; %bb.272:
	v_cndmask_b32_e64 v2, 0, 1.0, s0
	s_mov_b32 s20, -1
	s_mov_b32 s1, 0
	s_delay_alu instid0(VALU_DEP_1) | instskip(NEXT) | instid1(VALU_DEP_1)
	v_bfe_u32 v3, v2, 16, 1
	v_add3_u32 v2, v2, v3, 0x7fff
	s_delay_alu instid0(VALU_DEP_1)
	v_lshrrev_b32_e32 v2, 16, v2
	global_store_b32 v[0:1], v2, off
	s_branch .LBB94_291
.LBB94_273:
	s_mov_b32 s17, -1
	s_mov_b32 s1, 0
	s_mov_b32 s16, s14
                                        ; implicit-def: $vgpr2
	s_branch .LBB94_428
.LBB94_274:
	s_mov_b32 s19, -1
	s_mov_b32 s20, 0
	s_mov_b32 s1, s12
	s_branch .LBB94_360
.LBB94_275:
	s_mov_b32 s17, -1
	s_mov_b32 s1, 0
	s_mov_b32 s16, s14
                                        ; implicit-def: $vgpr2
	s_branch .LBB94_409
.LBB94_276:
	s_mov_b32 s21, -1
	s_mov_b32 s20, 0
	s_mov_b32 s1, s12
	s_branch .LBB94_318
.LBB94_277:
	s_mov_b32 s17, -1
	s_mov_b32 s1, 0
	s_mov_b32 s16, s14
                                        ; implicit-def: $vgpr2
	s_branch .LBB94_404
.LBB94_278:
	s_mov_b32 s21, -1
	s_mov_b32 s20, 0
	s_mov_b32 s1, s12
	s_branch .LBB94_301
.LBB94_279:
	s_and_not1_saveexec_b32 s20, s20
	s_cbranch_execz .LBB94_54
.LBB94_280:
	v_add_f32_e32 v2, 0x46000000, v3
	s_and_not1_b32 s19, s19, exec_lo
	s_delay_alu instid0(VALU_DEP_1) | instskip(NEXT) | instid1(VALU_DEP_1)
	v_and_b32_e32 v2, 0xff, v2
	v_cmp_ne_u32_e32 vcc_lo, 0, v2
	s_and_b32 s21, vcc_lo, exec_lo
	s_delay_alu instid0(SALU_CYCLE_1)
	s_or_b32 s19, s19, s21
	s_or_b32 exec_lo, exec_lo, s20
	v_mov_b32_e32 v5, 0
	s_and_saveexec_b32 s20, s19
	s_cbranch_execnz .LBB94_55
	s_branch .LBB94_56
.LBB94_281:
	s_mov_b32 s17, -1
	s_mov_b32 s1, 0
	s_mov_b32 s16, s14
	s_branch .LBB94_286
.LBB94_282:
	s_mov_b32 s21, -1
	s_mov_b32 s20, 0
	s_mov_b32 s1, s12
	s_branch .LBB94_297
.LBB94_283:
	s_and_not1_saveexec_b32 s20, s20
	s_cbranch_execz .LBB94_67
.LBB94_284:
	v_add_f32_e32 v2, 0x42800000, v3
	s_and_not1_b32 s19, s19, exec_lo
	s_delay_alu instid0(VALU_DEP_1) | instskip(NEXT) | instid1(VALU_DEP_1)
	v_and_b32_e32 v2, 0xff, v2
	v_cmp_ne_u32_e32 vcc_lo, 0, v2
	s_and_b32 s21, vcc_lo, exec_lo
	s_delay_alu instid0(SALU_CYCLE_1)
	s_or_b32 s19, s19, s21
	s_or_b32 exec_lo, exec_lo, s20
	v_mov_b32_e32 v5, 0
	s_and_saveexec_b32 s20, s19
	s_cbranch_execnz .LBB94_68
	s_branch .LBB94_69
.LBB94_285:
	s_mov_b32 s16, -1
	s_mov_b32 s1, 0
.LBB94_286:
                                        ; implicit-def: $vgpr2
.LBB94_287:
	s_and_b32 vcc_lo, exec_lo, s17
	s_cbranch_vccz .LBB94_403
; %bb.288:
	s_cmp_eq_u32 s0, 44
	s_cbranch_scc0 .LBB94_402
; %bb.289:
	s_wait_loadcnt 0x0
	global_load_u8 v2, v[0:1], off
	s_mov_b32 s16, 0
	s_mov_b32 s1, -1
	s_wait_loadcnt 0x0
	v_lshlrev_b32_e32 v3, 23, v2
	v_cmp_ne_u32_e32 vcc_lo, 0xff, v2
	s_delay_alu instid0(VALU_DEP_2) | instskip(SKIP_1) | instid1(VALU_DEP_2)
	v_cndmask_b32_e32 v3, 0x7f800001, v3, vcc_lo
	v_cmp_ne_u32_e32 vcc_lo, 0, v2
	v_cndmask_b32_e32 v2, 0x400000, v3, vcc_lo
	s_delay_alu instid0(VALU_DEP_1) | instskip(NEXT) | instid1(VALU_DEP_1)
	v_add_nc_u32_e32 v3, 0x7fff, v2
	v_lshrrev_b32_e32 v3, 16, v3
	v_cmp_o_f32_e32 vcc_lo, v2, v2
	s_delay_alu instid0(VALU_DEP_2)
	v_cndmask_b32_e32 v2, 0x7fc0, v3, vcc_lo
	s_branch .LBB94_403
.LBB94_290:
	s_mov_b32 s21, -1
	s_mov_b32 s20, 0
	s_mov_b32 s1, s12
.LBB94_291:
	s_and_b32 vcc_lo, exec_lo, s21
	s_cbranch_vccz .LBB94_296
; %bb.292:
	s_cmp_eq_u32 s19, 44
	s_mov_b32 s1, -1
	s_cbranch_scc0 .LBB94_296
; %bb.293:
	v_cndmask_b32_e64 v5, 0, 1.0, s0
	s_mov_b32 s20, exec_lo
	s_wait_xcnt 0x0
	s_delay_alu instid0(VALU_DEP_1) | instskip(NEXT) | instid1(VALU_DEP_1)
	v_dual_mov_b32 v3, 0xff :: v_dual_lshrrev_b32 v2, 23, v5
	v_cmpx_ne_u32_e32 0xff, v2
; %bb.294:
	v_and_b32_e32 v3, 0x400000, v5
	v_and_or_b32 v5, 0x3fffff, v5, v2
	s_delay_alu instid0(VALU_DEP_2) | instskip(NEXT) | instid1(VALU_DEP_2)
	v_cmp_ne_u32_e32 vcc_lo, 0, v3
	v_cmp_ne_u32_e64 s1, 0, v5
	s_and_b32 s1, vcc_lo, s1
	s_delay_alu instid0(SALU_CYCLE_1) | instskip(NEXT) | instid1(VALU_DEP_1)
	v_cndmask_b32_e64 v3, 0, 1, s1
	v_add_nc_u32_e32 v3, v2, v3
; %bb.295:
	s_or_b32 exec_lo, exec_lo, s20
	s_mov_b32 s20, -1
	s_mov_b32 s1, 0
	global_store_b8 v[0:1], v3, off
.LBB94_296:
	s_mov_b32 s21, 0
.LBB94_297:
	s_delay_alu instid0(SALU_CYCLE_1)
	s_and_b32 vcc_lo, exec_lo, s21
	s_cbranch_vccz .LBB94_300
; %bb.298:
	s_cmp_eq_u32 s19, 29
	s_mov_b32 s1, -1
	s_cbranch_scc0 .LBB94_300
; %bb.299:
	s_mov_b32 s1, 0
	s_wait_xcnt 0x0
	v_cndmask_b32_e64 v2, 0, 1, s0
	v_mov_b32_e32 v3, s1
	s_mov_b32 s20, -1
	s_mov_b32 s21, 0
	global_store_b64 v[0:1], v[2:3], off
	s_branch .LBB94_301
.LBB94_300:
	s_mov_b32 s21, 0
.LBB94_301:
	s_delay_alu instid0(SALU_CYCLE_1)
	s_and_b32 vcc_lo, exec_lo, s21
	s_cbranch_vccz .LBB94_317
; %bb.302:
	s_cmp_lt_i32 s19, 27
	s_mov_b32 s20, -1
	s_cbranch_scc1 .LBB94_308
; %bb.303:
	s_cmp_gt_i32 s19, 27
	s_cbranch_scc0 .LBB94_305
; %bb.304:
	s_wait_xcnt 0x0
	v_cndmask_b32_e64 v2, 0, 1, s0
	s_mov_b32 s20, 0
	global_store_b32 v[0:1], v2, off
.LBB94_305:
	s_and_not1_b32 vcc_lo, exec_lo, s20
	s_cbranch_vccnz .LBB94_307
; %bb.306:
	s_wait_xcnt 0x0
	v_cndmask_b32_e64 v2, 0, 1, s0
	global_store_b16 v[0:1], v2, off
.LBB94_307:
	s_mov_b32 s20, 0
.LBB94_308:
	s_delay_alu instid0(SALU_CYCLE_1)
	s_and_not1_b32 vcc_lo, exec_lo, s20
	s_cbranch_vccnz .LBB94_316
; %bb.309:
	s_wait_xcnt 0x0
	v_cndmask_b32_e64 v3, 0, 1.0, s0
	v_mov_b32_e32 v5, 0x80
	s_mov_b32 s20, exec_lo
	s_delay_alu instid0(VALU_DEP_2)
	v_cmpx_gt_u32_e32 0x43800000, v3
	s_cbranch_execz .LBB94_315
; %bb.310:
	s_mov_b32 s21, 0
	s_mov_b32 s22, exec_lo
                                        ; implicit-def: $vgpr2
	v_cmpx_lt_u32_e32 0x3bffffff, v3
	s_xor_b32 s22, exec_lo, s22
	s_cbranch_execz .LBB94_528
; %bb.311:
	v_bfe_u32 v2, v3, 20, 1
	s_mov_b32 s21, exec_lo
	s_delay_alu instid0(VALU_DEP_1) | instskip(NEXT) | instid1(VALU_DEP_1)
	v_add3_u32 v2, v3, v2, 0x487ffff
                                        ; implicit-def: $vgpr3
	v_lshrrev_b32_e32 v2, 20, v2
	s_and_not1_saveexec_b32 s22, s22
	s_cbranch_execnz .LBB94_529
.LBB94_312:
	s_or_b32 exec_lo, exec_lo, s22
	v_mov_b32_e32 v5, 0
	s_and_saveexec_b32 s22, s21
.LBB94_313:
	v_mov_b32_e32 v5, v2
.LBB94_314:
	s_or_b32 exec_lo, exec_lo, s22
.LBB94_315:
	s_delay_alu instid0(SALU_CYCLE_1)
	s_or_b32 exec_lo, exec_lo, s20
	global_store_b8 v[0:1], v5, off
.LBB94_316:
	s_mov_b32 s20, -1
.LBB94_317:
	s_mov_b32 s21, 0
.LBB94_318:
	s_delay_alu instid0(SALU_CYCLE_1)
	s_and_b32 vcc_lo, exec_lo, s21
	s_cbranch_vccz .LBB94_359
; %bb.319:
	s_cmp_gt_i32 s19, 22
	s_mov_b32 s21, -1
	s_cbranch_scc0 .LBB94_351
; %bb.320:
	s_cmp_lt_i32 s19, 24
	s_mov_b32 s20, -1
	s_cbranch_scc1 .LBB94_340
; %bb.321:
	s_cmp_gt_i32 s19, 24
	s_cbranch_scc0 .LBB94_329
; %bb.322:
	s_wait_xcnt 0x0
	v_cndmask_b32_e64 v3, 0, 1.0, s0
	v_mov_b32_e32 v5, 0x80
	s_mov_b32 s20, exec_lo
	s_delay_alu instid0(VALU_DEP_2)
	v_cmpx_gt_u32_e32 0x47800000, v3
	s_cbranch_execz .LBB94_328
; %bb.323:
	s_mov_b32 s21, 0
	s_mov_b32 s22, exec_lo
                                        ; implicit-def: $vgpr2
	v_cmpx_lt_u32_e32 0x37ffffff, v3
	s_xor_b32 s22, exec_lo, s22
	s_cbranch_execz .LBB94_531
; %bb.324:
	v_bfe_u32 v2, v3, 21, 1
	s_mov_b32 s21, exec_lo
	s_delay_alu instid0(VALU_DEP_1) | instskip(NEXT) | instid1(VALU_DEP_1)
	v_add3_u32 v2, v3, v2, 0x88fffff
                                        ; implicit-def: $vgpr3
	v_lshrrev_b32_e32 v2, 21, v2
	s_and_not1_saveexec_b32 s22, s22
	s_cbranch_execnz .LBB94_532
.LBB94_325:
	s_or_b32 exec_lo, exec_lo, s22
	v_mov_b32_e32 v5, 0
	s_and_saveexec_b32 s22, s21
.LBB94_326:
	v_mov_b32_e32 v5, v2
.LBB94_327:
	s_or_b32 exec_lo, exec_lo, s22
.LBB94_328:
	s_delay_alu instid0(SALU_CYCLE_1)
	s_or_b32 exec_lo, exec_lo, s20
	s_mov_b32 s20, 0
	global_store_b8 v[0:1], v5, off
.LBB94_329:
	s_and_b32 vcc_lo, exec_lo, s20
	s_cbranch_vccz .LBB94_339
; %bb.330:
	s_wait_xcnt 0x0
	v_cndmask_b32_e64 v3, 0, 1.0, s0
	s_mov_b32 s20, exec_lo
                                        ; implicit-def: $vgpr2
	s_delay_alu instid0(VALU_DEP_1)
	v_cmpx_gt_u32_e32 0x43f00000, v3
	s_xor_b32 s20, exec_lo, s20
	s_cbranch_execz .LBB94_336
; %bb.331:
	s_mov_b32 s21, exec_lo
                                        ; implicit-def: $vgpr2
	v_cmpx_lt_u32_e32 0x3c7fffff, v3
	s_xor_b32 s21, exec_lo, s21
; %bb.332:
	v_bfe_u32 v2, v3, 20, 1
	s_delay_alu instid0(VALU_DEP_1) | instskip(NEXT) | instid1(VALU_DEP_1)
	v_add3_u32 v2, v3, v2, 0x407ffff
	v_and_b32_e32 v3, 0xff00000, v2
	v_lshrrev_b32_e32 v2, 20, v2
	s_delay_alu instid0(VALU_DEP_2) | instskip(NEXT) | instid1(VALU_DEP_2)
	v_cmp_ne_u32_e32 vcc_lo, 0x7f00000, v3
                                        ; implicit-def: $vgpr3
	v_cndmask_b32_e32 v2, 0x7e, v2, vcc_lo
; %bb.333:
	s_and_not1_saveexec_b32 s21, s21
; %bb.334:
	v_add_f32_e32 v2, 0x46800000, v3
; %bb.335:
	s_or_b32 exec_lo, exec_lo, s21
                                        ; implicit-def: $vgpr3
.LBB94_336:
	s_and_not1_saveexec_b32 s20, s20
; %bb.337:
	v_mov_b32_e32 v2, 0x7f
	v_cmp_lt_u32_e32 vcc_lo, 0x7f800000, v3
	s_delay_alu instid0(VALU_DEP_2)
	v_cndmask_b32_e32 v2, 0x7e, v2, vcc_lo
; %bb.338:
	s_or_b32 exec_lo, exec_lo, s20
	global_store_b8 v[0:1], v2, off
.LBB94_339:
	s_mov_b32 s20, 0
.LBB94_340:
	s_delay_alu instid0(SALU_CYCLE_1)
	s_and_not1_b32 vcc_lo, exec_lo, s20
	s_cbranch_vccnz .LBB94_350
; %bb.341:
	s_wait_xcnt 0x0
	v_cndmask_b32_e64 v3, 0, 1.0, s0
	s_mov_b32 s20, exec_lo
                                        ; implicit-def: $vgpr2
	s_delay_alu instid0(VALU_DEP_1)
	v_cmpx_gt_u32_e32 0x47800000, v3
	s_xor_b32 s20, exec_lo, s20
	s_cbranch_execz .LBB94_347
; %bb.342:
	s_mov_b32 s21, exec_lo
                                        ; implicit-def: $vgpr2
	v_cmpx_lt_u32_e32 0x387fffff, v3
	s_xor_b32 s21, exec_lo, s21
; %bb.343:
	v_bfe_u32 v2, v3, 21, 1
	s_delay_alu instid0(VALU_DEP_1) | instskip(NEXT) | instid1(VALU_DEP_1)
	v_add3_u32 v2, v3, v2, 0x80fffff
                                        ; implicit-def: $vgpr3
	v_lshrrev_b32_e32 v2, 21, v2
; %bb.344:
	s_and_not1_saveexec_b32 s21, s21
; %bb.345:
	v_add_f32_e32 v2, 0x43000000, v3
; %bb.346:
	s_or_b32 exec_lo, exec_lo, s21
                                        ; implicit-def: $vgpr3
.LBB94_347:
	s_and_not1_saveexec_b32 s20, s20
; %bb.348:
	v_mov_b32_e32 v2, 0x7f
	v_cmp_lt_u32_e32 vcc_lo, 0x7f800000, v3
	s_delay_alu instid0(VALU_DEP_2)
	v_cndmask_b32_e32 v2, 0x7c, v2, vcc_lo
; %bb.349:
	s_or_b32 exec_lo, exec_lo, s20
	global_store_b8 v[0:1], v2, off
.LBB94_350:
	s_mov_b32 s21, 0
	s_mov_b32 s20, -1
.LBB94_351:
	s_and_not1_b32 vcc_lo, exec_lo, s21
	s_cbranch_vccnz .LBB94_359
; %bb.352:
	s_cmp_gt_i32 s19, 14
	s_mov_b32 s21, -1
	s_cbranch_scc0 .LBB94_356
; %bb.353:
	s_cmp_eq_u32 s19, 15
	s_mov_b32 s1, -1
	s_cbranch_scc0 .LBB94_355
; %bb.354:
	s_wait_xcnt 0x0
	v_cndmask_b32_e64 v2, 0, 1.0, s0
	s_mov_b32 s20, -1
	s_mov_b32 s1, 0
	s_delay_alu instid0(VALU_DEP_1) | instskip(NEXT) | instid1(VALU_DEP_1)
	v_bfe_u32 v3, v2, 16, 1
	v_add3_u32 v2, v2, v3, 0x7fff
	global_store_d16_hi_b16 v[0:1], v2, off
.LBB94_355:
	s_mov_b32 s21, 0
.LBB94_356:
	s_delay_alu instid0(SALU_CYCLE_1)
	s_and_b32 vcc_lo, exec_lo, s21
	s_cbranch_vccz .LBB94_359
; %bb.357:
	s_cmp_eq_u32 s19, 11
	s_mov_b32 s1, -1
	s_cbranch_scc0 .LBB94_359
; %bb.358:
	s_wait_xcnt 0x0
	v_cndmask_b32_e64 v2, 0, 1, s0
	s_mov_b32 s20, -1
	s_mov_b32 s1, 0
	global_store_b8 v[0:1], v2, off
.LBB94_359:
	s_mov_b32 s19, 0
.LBB94_360:
	s_delay_alu instid0(SALU_CYCLE_1)
	s_and_b32 vcc_lo, exec_lo, s19
	s_cbranch_vccz .LBB94_399
; %bb.361:
	s_and_b32 s17, 0xffff, s17
	s_mov_b32 s19, -1
	s_cmp_lt_i32 s17, 5
	s_cbranch_scc1 .LBB94_382
; %bb.362:
	s_cmp_lt_i32 s17, 8
	s_cbranch_scc1 .LBB94_372
; %bb.363:
	;; [unrolled: 3-line block ×3, first 2 shown]
	s_cmp_gt_i32 s17, 9
	s_cbranch_scc0 .LBB94_366
; %bb.365:
	s_wait_xcnt 0x0
	v_cndmask_b32_e64 v2, 0, 1, s0
	v_mov_b32_e32 v8, 0
	s_mov_b32 s19, 0
	s_delay_alu instid0(VALU_DEP_2) | instskip(NEXT) | instid1(VALU_DEP_2)
	v_cvt_f64_u32_e32 v[6:7], v2
	v_mov_b32_e32 v9, v8
	global_store_b128 v[0:1], v[6:9], off
.LBB94_366:
	s_and_not1_b32 vcc_lo, exec_lo, s19
	s_cbranch_vccnz .LBB94_368
; %bb.367:
	s_wait_xcnt 0x0
	v_cndmask_b32_e64 v2, 0, 1.0, s0
	v_mov_b32_e32 v3, 0
	global_store_b64 v[0:1], v[2:3], off
.LBB94_368:
	s_mov_b32 s19, 0
.LBB94_369:
	s_delay_alu instid0(SALU_CYCLE_1)
	s_and_not1_b32 vcc_lo, exec_lo, s19
	s_cbranch_vccnz .LBB94_371
; %bb.370:
	s_wait_xcnt 0x0
	v_cndmask_b32_e64 v2, 0, 1.0, s0
	s_delay_alu instid0(VALU_DEP_1) | instskip(NEXT) | instid1(VALU_DEP_1)
	v_cvt_f16_f32_e32 v2, v2
	v_and_b32_e32 v2, 0xffff, v2
	global_store_b32 v[0:1], v2, off
.LBB94_371:
	s_mov_b32 s19, 0
.LBB94_372:
	s_delay_alu instid0(SALU_CYCLE_1)
	s_and_not1_b32 vcc_lo, exec_lo, s19
	s_cbranch_vccnz .LBB94_381
; %bb.373:
	s_cmp_lt_i32 s17, 6
	s_mov_b32 s19, -1
	s_cbranch_scc1 .LBB94_379
; %bb.374:
	s_cmp_gt_i32 s17, 6
	s_cbranch_scc0 .LBB94_376
; %bb.375:
	s_wait_xcnt 0x0
	v_cndmask_b32_e64 v2, 0, 1, s0
	s_mov_b32 s19, 0
	s_delay_alu instid0(VALU_DEP_1)
	v_cvt_f64_u32_e32 v[2:3], v2
	global_store_b64 v[0:1], v[2:3], off
.LBB94_376:
	s_and_not1_b32 vcc_lo, exec_lo, s19
	s_cbranch_vccnz .LBB94_378
; %bb.377:
	s_wait_xcnt 0x0
	v_cndmask_b32_e64 v2, 0, 1.0, s0
	global_store_b32 v[0:1], v2, off
.LBB94_378:
	s_mov_b32 s19, 0
.LBB94_379:
	s_delay_alu instid0(SALU_CYCLE_1)
	s_and_not1_b32 vcc_lo, exec_lo, s19
	s_cbranch_vccnz .LBB94_381
; %bb.380:
	s_wait_xcnt 0x0
	v_cndmask_b32_e64 v2, 0, 1.0, s0
	s_delay_alu instid0(VALU_DEP_1)
	v_cvt_f16_f32_e32 v2, v2
	global_store_b16 v[0:1], v2, off
.LBB94_381:
	s_mov_b32 s19, 0
.LBB94_382:
	s_delay_alu instid0(SALU_CYCLE_1)
	s_and_not1_b32 vcc_lo, exec_lo, s19
	s_cbranch_vccnz .LBB94_398
; %bb.383:
	s_cmp_lt_i32 s17, 2
	s_mov_b32 s19, -1
	s_cbranch_scc1 .LBB94_393
; %bb.384:
	s_cmp_lt_i32 s17, 3
	s_cbranch_scc1 .LBB94_390
; %bb.385:
	s_cmp_gt_i32 s17, 3
	s_cbranch_scc0 .LBB94_387
; %bb.386:
	s_mov_b32 s19, 0
	s_wait_xcnt 0x0
	v_cndmask_b32_e64 v2, 0, 1, s0
	v_mov_b32_e32 v3, s19
	global_store_b64 v[0:1], v[2:3], off
.LBB94_387:
	s_and_not1_b32 vcc_lo, exec_lo, s19
	s_cbranch_vccnz .LBB94_389
; %bb.388:
	s_wait_xcnt 0x0
	v_cndmask_b32_e64 v2, 0, 1, s0
	global_store_b32 v[0:1], v2, off
.LBB94_389:
	s_mov_b32 s19, 0
.LBB94_390:
	s_delay_alu instid0(SALU_CYCLE_1)
	s_and_not1_b32 vcc_lo, exec_lo, s19
	s_cbranch_vccnz .LBB94_392
; %bb.391:
	s_wait_xcnt 0x0
	v_cndmask_b32_e64 v2, 0, 1, s0
	global_store_b16 v[0:1], v2, off
.LBB94_392:
	s_mov_b32 s19, 0
.LBB94_393:
	s_delay_alu instid0(SALU_CYCLE_1)
	s_and_not1_b32 vcc_lo, exec_lo, s19
	s_cbranch_vccnz .LBB94_398
; %bb.394:
	s_wait_xcnt 0x0
	v_cndmask_b32_e64 v2, 0, 1, s0
	s_cmp_gt_i32 s17, 0
	s_mov_b32 s0, -1
	s_cbranch_scc0 .LBB94_396
; %bb.395:
	s_mov_b32 s0, 0
	global_store_b8 v[0:1], v2, off
.LBB94_396:
	s_and_not1_b32 vcc_lo, exec_lo, s0
	s_cbranch_vccnz .LBB94_398
; %bb.397:
	global_store_b8 v[0:1], v2, off
.LBB94_398:
	s_mov_b32 s20, -1
.LBB94_399:
	s_delay_alu instid0(SALU_CYCLE_1)
	s_and_not1_b32 vcc_lo, exec_lo, s20
	s_cbranch_vccnz .LBB94_401
; %bb.400:
	v_add_nc_u32_e32 v4, 0x80, v4
	s_mov_b32 s0, -1
	s_branch .LBB94_514
.LBB94_401:
	s_mov_b32 s0, 0
	s_branch .LBB94_513
.LBB94_402:
	s_mov_b32 s16, -1
                                        ; implicit-def: $vgpr2
.LBB94_403:
	s_mov_b32 s17, 0
.LBB94_404:
	s_delay_alu instid0(SALU_CYCLE_1)
	s_and_b32 vcc_lo, exec_lo, s17
	s_cbranch_vccz .LBB94_408
; %bb.405:
	s_cmp_eq_u32 s0, 29
	s_cbranch_scc0 .LBB94_407
; %bb.406:
	s_wait_loadcnt 0x0
	global_load_b64 v[2:3], v[0:1], off
	s_mov_b32 s1, -1
	s_mov_b32 s16, 0
	s_mov_b32 s17, 0
	s_wait_loadcnt 0x0
	v_clz_i32_u32_e32 v5, v3
	s_delay_alu instid0(VALU_DEP_1) | instskip(NEXT) | instid1(VALU_DEP_1)
	v_min_u32_e32 v5, 32, v5
	v_lshlrev_b64_e32 v[2:3], v5, v[2:3]
	s_delay_alu instid0(VALU_DEP_1) | instskip(NEXT) | instid1(VALU_DEP_1)
	v_min_u32_e32 v2, 1, v2
	v_dual_sub_nc_u32 v3, 32, v5 :: v_dual_bitop2_b32 v2, v3, v2 bitop3:0x54
	s_delay_alu instid0(VALU_DEP_1) | instskip(NEXT) | instid1(VALU_DEP_1)
	v_cvt_f32_u32_e32 v2, v2
	v_ldexp_f32 v2, v2, v3
	s_delay_alu instid0(VALU_DEP_1) | instskip(NEXT) | instid1(VALU_DEP_1)
	v_bfe_u32 v3, v2, 16, 1
	v_add3_u32 v2, v2, v3, 0x7fff
	s_delay_alu instid0(VALU_DEP_1)
	v_lshrrev_b32_e32 v2, 16, v2
	s_branch .LBB94_409
.LBB94_407:
	s_mov_b32 s16, -1
                                        ; implicit-def: $vgpr2
.LBB94_408:
	s_mov_b32 s17, 0
.LBB94_409:
	s_delay_alu instid0(SALU_CYCLE_1)
	s_and_b32 vcc_lo, exec_lo, s17
	s_cbranch_vccz .LBB94_427
; %bb.410:
	s_cmp_lt_i32 s0, 27
	s_cbranch_scc1 .LBB94_413
; %bb.411:
	s_cmp_gt_i32 s0, 27
	s_cbranch_scc0 .LBB94_414
; %bb.412:
	s_wait_loadcnt 0x0
	global_load_b32 v2, v[0:1], off
	s_mov_b32 s1, 0
	s_wait_loadcnt 0x0
	v_cvt_f32_u32_e32 v2, v2
	s_delay_alu instid0(VALU_DEP_1) | instskip(NEXT) | instid1(VALU_DEP_1)
	v_bfe_u32 v3, v2, 16, 1
	v_add3_u32 v2, v2, v3, 0x7fff
	s_delay_alu instid0(VALU_DEP_1)
	v_lshrrev_b32_e32 v2, 16, v2
	s_branch .LBB94_415
.LBB94_413:
	s_mov_b32 s1, -1
                                        ; implicit-def: $vgpr2
	s_branch .LBB94_418
.LBB94_414:
	s_mov_b32 s1, -1
                                        ; implicit-def: $vgpr2
.LBB94_415:
	s_delay_alu instid0(SALU_CYCLE_1)
	s_and_not1_b32 vcc_lo, exec_lo, s1
	s_cbranch_vccnz .LBB94_417
; %bb.416:
	s_wait_loadcnt 0x0
	global_load_u16 v2, v[0:1], off
	s_wait_loadcnt 0x0
	v_cvt_f32_u32_e32 v2, v2
	s_delay_alu instid0(VALU_DEP_1) | instskip(NEXT) | instid1(VALU_DEP_1)
	v_bfe_u32 v3, v2, 16, 1
	v_add3_u32 v2, v2, v3, 0x7fff
	s_delay_alu instid0(VALU_DEP_1)
	v_lshrrev_b32_e32 v2, 16, v2
.LBB94_417:
	s_mov_b32 s1, 0
.LBB94_418:
	s_delay_alu instid0(SALU_CYCLE_1)
	s_and_not1_b32 vcc_lo, exec_lo, s1
	s_cbranch_vccnz .LBB94_426
; %bb.419:
	s_wait_loadcnt 0x0
	global_load_u8 v2, v[0:1], off
	s_mov_b32 s1, 0
	s_mov_b32 s17, exec_lo
	s_wait_loadcnt 0x0
	v_cmpx_lt_i16_e32 0x7f, v2
	s_xor_b32 s17, exec_lo, s17
	s_cbranch_execz .LBB94_440
; %bb.420:
	s_mov_b32 s1, -1
	s_mov_b32 s19, exec_lo
	v_cmpx_eq_u16_e32 0x80, v2
; %bb.421:
	s_xor_b32 s1, exec_lo, -1
; %bb.422:
	s_or_b32 exec_lo, exec_lo, s19
	s_delay_alu instid0(SALU_CYCLE_1)
	s_and_b32 s1, s1, exec_lo
	s_or_saveexec_b32 s17, s17
	v_mov_b32_e32 v3, 0x7f800001
	s_xor_b32 exec_lo, exec_lo, s17
	s_cbranch_execnz .LBB94_441
.LBB94_423:
	s_or_b32 exec_lo, exec_lo, s17
	s_and_saveexec_b32 s17, s1
	s_cbranch_execz .LBB94_425
.LBB94_424:
	v_and_b32_e32 v3, 0xffff, v2
	s_delay_alu instid0(VALU_DEP_1) | instskip(SKIP_1) | instid1(VALU_DEP_2)
	v_and_b32_e32 v5, 7, v3
	v_bfe_u32 v8, v3, 3, 4
	v_clz_i32_u32_e32 v6, v5
	s_delay_alu instid0(VALU_DEP_2) | instskip(NEXT) | instid1(VALU_DEP_2)
	v_cmp_eq_u32_e32 vcc_lo, 0, v8
	v_min_u32_e32 v6, 32, v6
	s_delay_alu instid0(VALU_DEP_1) | instskip(NEXT) | instid1(VALU_DEP_1)
	v_subrev_nc_u32_e32 v7, 28, v6
	v_dual_lshlrev_b32 v3, v7, v3 :: v_dual_sub_nc_u32 v6, 29, v6
	s_delay_alu instid0(VALU_DEP_1) | instskip(NEXT) | instid1(VALU_DEP_1)
	v_dual_lshlrev_b32 v2, 24, v2 :: v_dual_bitop2_b32 v3, 7, v3 bitop3:0x40
	v_dual_cndmask_b32 v3, v5, v3 :: v_dual_cndmask_b32 v6, v8, v6
	s_delay_alu instid0(VALU_DEP_2) | instskip(NEXT) | instid1(VALU_DEP_2)
	v_and_b32_e32 v2, 0x80000000, v2
	v_lshlrev_b32_e32 v3, 20, v3
	s_delay_alu instid0(VALU_DEP_3) | instskip(NEXT) | instid1(VALU_DEP_1)
	v_lshl_add_u32 v5, v6, 23, 0x3b800000
	v_or3_b32 v3, v2, v5, v3
.LBB94_425:
	s_or_b32 exec_lo, exec_lo, s17
	s_delay_alu instid0(VALU_DEP_1) | instskip(SKIP_1) | instid1(VALU_DEP_2)
	v_bfe_u32 v2, v3, 16, 1
	v_cmp_o_f32_e32 vcc_lo, v3, v3
	v_add3_u32 v2, v3, v2, 0x7fff
	s_delay_alu instid0(VALU_DEP_1) | instskip(NEXT) | instid1(VALU_DEP_1)
	v_lshrrev_b32_e32 v2, 16, v2
	v_cndmask_b32_e32 v2, 0x7fc0, v2, vcc_lo
.LBB94_426:
	s_mov_b32 s1, -1
.LBB94_427:
	s_mov_b32 s17, 0
.LBB94_428:
	s_delay_alu instid0(SALU_CYCLE_1)
	s_and_b32 vcc_lo, exec_lo, s17
	s_cbranch_vccz .LBB94_463
; %bb.429:
	s_cmp_gt_i32 s0, 22
	s_cbranch_scc0 .LBB94_439
; %bb.430:
	s_cmp_lt_i32 s0, 24
	s_cbranch_scc1 .LBB94_442
; %bb.431:
	s_cmp_gt_i32 s0, 24
	s_cbranch_scc0 .LBB94_443
; %bb.432:
	s_wait_loadcnt 0x0
	global_load_u8 v2, v[0:1], off
	s_mov_b32 s1, 0
	s_mov_b32 s17, exec_lo
	s_wait_loadcnt 0x0
	v_cmpx_lt_i16_e32 0x7f, v2
	s_xor_b32 s17, exec_lo, s17
	s_cbranch_execz .LBB94_455
; %bb.433:
	s_mov_b32 s1, -1
	s_mov_b32 s19, exec_lo
	v_cmpx_eq_u16_e32 0x80, v2
; %bb.434:
	s_xor_b32 s1, exec_lo, -1
; %bb.435:
	s_or_b32 exec_lo, exec_lo, s19
	s_delay_alu instid0(SALU_CYCLE_1)
	s_and_b32 s1, s1, exec_lo
	s_or_saveexec_b32 s17, s17
	v_mov_b32_e32 v3, 0x7f800001
	s_xor_b32 exec_lo, exec_lo, s17
	s_cbranch_execnz .LBB94_456
.LBB94_436:
	s_or_b32 exec_lo, exec_lo, s17
	s_and_saveexec_b32 s17, s1
	s_cbranch_execz .LBB94_438
.LBB94_437:
	v_and_b32_e32 v3, 0xffff, v2
	s_delay_alu instid0(VALU_DEP_1) | instskip(SKIP_1) | instid1(VALU_DEP_2)
	v_and_b32_e32 v5, 3, v3
	v_bfe_u32 v8, v3, 2, 5
	v_clz_i32_u32_e32 v6, v5
	s_delay_alu instid0(VALU_DEP_2) | instskip(NEXT) | instid1(VALU_DEP_2)
	v_cmp_eq_u32_e32 vcc_lo, 0, v8
	v_min_u32_e32 v6, 32, v6
	s_delay_alu instid0(VALU_DEP_1) | instskip(NEXT) | instid1(VALU_DEP_1)
	v_subrev_nc_u32_e32 v7, 29, v6
	v_dual_lshlrev_b32 v3, v7, v3 :: v_dual_sub_nc_u32 v6, 30, v6
	s_delay_alu instid0(VALU_DEP_1) | instskip(NEXT) | instid1(VALU_DEP_1)
	v_dual_lshlrev_b32 v2, 24, v2 :: v_dual_bitop2_b32 v3, 3, v3 bitop3:0x40
	v_dual_cndmask_b32 v3, v5, v3 :: v_dual_cndmask_b32 v6, v8, v6
	s_delay_alu instid0(VALU_DEP_2) | instskip(NEXT) | instid1(VALU_DEP_2)
	v_and_b32_e32 v2, 0x80000000, v2
	v_lshlrev_b32_e32 v3, 21, v3
	s_delay_alu instid0(VALU_DEP_3) | instskip(NEXT) | instid1(VALU_DEP_1)
	v_lshl_add_u32 v5, v6, 23, 0x37800000
	v_or3_b32 v3, v2, v5, v3
.LBB94_438:
	s_or_b32 exec_lo, exec_lo, s17
	s_delay_alu instid0(VALU_DEP_1) | instskip(SKIP_2) | instid1(VALU_DEP_2)
	v_bfe_u32 v2, v3, 16, 1
	v_cmp_o_f32_e32 vcc_lo, v3, v3
	s_mov_b32 s1, 0
	v_add3_u32 v2, v3, v2, 0x7fff
	s_delay_alu instid0(VALU_DEP_1) | instskip(NEXT) | instid1(VALU_DEP_1)
	v_lshrrev_b32_e32 v2, 16, v2
	v_cndmask_b32_e32 v2, 0x7fc0, v2, vcc_lo
	s_branch .LBB94_444
.LBB94_439:
	s_mov_b32 s17, -1
                                        ; implicit-def: $vgpr2
	s_branch .LBB94_450
.LBB94_440:
	s_or_saveexec_b32 s17, s17
	v_mov_b32_e32 v3, 0x7f800001
	s_xor_b32 exec_lo, exec_lo, s17
	s_cbranch_execz .LBB94_423
.LBB94_441:
	v_cmp_ne_u16_e32 vcc_lo, 0, v2
	v_mov_b32_e32 v3, 0
	s_and_not1_b32 s1, s1, exec_lo
	s_and_b32 s19, vcc_lo, exec_lo
	s_delay_alu instid0(SALU_CYCLE_1)
	s_or_b32 s1, s1, s19
	s_or_b32 exec_lo, exec_lo, s17
	s_and_saveexec_b32 s17, s1
	s_cbranch_execnz .LBB94_424
	s_branch .LBB94_425
.LBB94_442:
	s_mov_b32 s1, -1
                                        ; implicit-def: $vgpr2
	s_branch .LBB94_447
.LBB94_443:
	s_mov_b32 s1, -1
                                        ; implicit-def: $vgpr2
.LBB94_444:
	s_delay_alu instid0(SALU_CYCLE_1)
	s_and_b32 vcc_lo, exec_lo, s1
	s_cbranch_vccz .LBB94_446
; %bb.445:
	s_wait_loadcnt 0x0
	global_load_u8 v2, v[0:1], off
	s_wait_loadcnt 0x0
	v_lshlrev_b32_e32 v2, 24, v2
	s_delay_alu instid0(VALU_DEP_1) | instskip(NEXT) | instid1(VALU_DEP_1)
	v_and_b32_e32 v3, 0x7f000000, v2
	v_clz_i32_u32_e32 v5, v3
	v_add_nc_u32_e32 v7, 0x1000000, v3
	v_cmp_ne_u32_e32 vcc_lo, 0, v3
	s_delay_alu instid0(VALU_DEP_3) | instskip(NEXT) | instid1(VALU_DEP_1)
	v_min_u32_e32 v5, 32, v5
	v_sub_nc_u32_e64 v5, v5, 4 clamp
	s_delay_alu instid0(VALU_DEP_1) | instskip(NEXT) | instid1(VALU_DEP_1)
	v_dual_lshlrev_b32 v6, v5, v3 :: v_dual_lshlrev_b32 v5, 23, v5
	v_lshrrev_b32_e32 v6, 4, v6
	s_delay_alu instid0(VALU_DEP_1) | instskip(NEXT) | instid1(VALU_DEP_1)
	v_dual_sub_nc_u32 v5, v6, v5 :: v_dual_ashrrev_i32 v6, 8, v7
	v_add_nc_u32_e32 v5, 0x3c000000, v5
	s_delay_alu instid0(VALU_DEP_1) | instskip(NEXT) | instid1(VALU_DEP_1)
	v_and_or_b32 v5, 0x7f800000, v6, v5
	v_cndmask_b32_e32 v3, 0, v5, vcc_lo
	s_delay_alu instid0(VALU_DEP_1) | instskip(SKIP_1) | instid1(VALU_DEP_2)
	v_and_or_b32 v2, 0x80000000, v2, v3
	v_bfe_u32 v3, v3, 16, 1
	v_cmp_o_f32_e32 vcc_lo, v2, v2
	s_delay_alu instid0(VALU_DEP_2) | instskip(NEXT) | instid1(VALU_DEP_1)
	v_add3_u32 v3, v2, v3, 0x7fff
	v_lshrrev_b32_e32 v3, 16, v3
	s_delay_alu instid0(VALU_DEP_1)
	v_cndmask_b32_e32 v2, 0x7fc0, v3, vcc_lo
.LBB94_446:
	s_mov_b32 s1, 0
.LBB94_447:
	s_delay_alu instid0(SALU_CYCLE_1)
	s_and_not1_b32 vcc_lo, exec_lo, s1
	s_cbranch_vccnz .LBB94_449
; %bb.448:
	s_wait_loadcnt 0x0
	global_load_u8 v2, v[0:1], off
	s_wait_loadcnt 0x0
	v_lshlrev_b32_e32 v3, 25, v2
	v_lshlrev_b16 v2, 8, v2
	s_delay_alu instid0(VALU_DEP_2) | instskip(NEXT) | instid1(VALU_DEP_2)
	v_cmp_gt_u32_e32 vcc_lo, 0x8000000, v3
	v_and_or_b32 v6, 0x7f00, v2, 0.5
	v_lshrrev_b32_e32 v5, 4, v3
	v_bfe_i32 v2, v2, 0, 16
	s_delay_alu instid0(VALU_DEP_3) | instskip(NEXT) | instid1(VALU_DEP_3)
	v_add_f32_e32 v6, -0.5, v6
	v_or_b32_e32 v5, 0x70000000, v5
	s_delay_alu instid0(VALU_DEP_1) | instskip(NEXT) | instid1(VALU_DEP_1)
	v_mul_f32_e32 v5, 0x7800000, v5
	v_cndmask_b32_e32 v3, v5, v6, vcc_lo
	s_delay_alu instid0(VALU_DEP_1) | instskip(SKIP_1) | instid1(VALU_DEP_2)
	v_and_or_b32 v2, 0x80000000, v2, v3
	v_bfe_u32 v3, v3, 16, 1
	v_cmp_o_f32_e32 vcc_lo, v2, v2
	s_delay_alu instid0(VALU_DEP_2) | instskip(NEXT) | instid1(VALU_DEP_1)
	v_add3_u32 v3, v2, v3, 0x7fff
	v_lshrrev_b32_e32 v3, 16, v3
	s_delay_alu instid0(VALU_DEP_1)
	v_cndmask_b32_e32 v2, 0x7fc0, v3, vcc_lo
.LBB94_449:
	s_mov_b32 s17, 0
	s_mov_b32 s1, -1
.LBB94_450:
	s_and_not1_b32 vcc_lo, exec_lo, s17
	s_cbranch_vccnz .LBB94_463
; %bb.451:
	s_cmp_gt_i32 s0, 14
	s_cbranch_scc0 .LBB94_454
; %bb.452:
	s_cmp_eq_u32 s0, 15
	s_cbranch_scc0 .LBB94_457
; %bb.453:
	s_wait_loadcnt 0x0
	global_load_u16 v2, v[0:1], off
	s_mov_b32 s1, -1
	s_mov_b32 s16, 0
	s_branch .LBB94_458
.LBB94_454:
	s_mov_b32 s17, -1
                                        ; implicit-def: $vgpr2
	s_branch .LBB94_459
.LBB94_455:
	s_or_saveexec_b32 s17, s17
	v_mov_b32_e32 v3, 0x7f800001
	s_xor_b32 exec_lo, exec_lo, s17
	s_cbranch_execz .LBB94_436
.LBB94_456:
	v_cmp_ne_u16_e32 vcc_lo, 0, v2
	v_mov_b32_e32 v3, 0
	s_and_not1_b32 s1, s1, exec_lo
	s_and_b32 s19, vcc_lo, exec_lo
	s_delay_alu instid0(SALU_CYCLE_1)
	s_or_b32 s1, s1, s19
	s_or_b32 exec_lo, exec_lo, s17
	s_and_saveexec_b32 s17, s1
	s_cbranch_execnz .LBB94_437
	s_branch .LBB94_438
.LBB94_457:
	s_mov_b32 s16, -1
                                        ; implicit-def: $vgpr2
.LBB94_458:
	s_mov_b32 s17, 0
.LBB94_459:
	s_delay_alu instid0(SALU_CYCLE_1)
	s_and_b32 vcc_lo, exec_lo, s17
	s_cbranch_vccz .LBB94_463
; %bb.460:
	s_cmp_eq_u32 s0, 11
	s_cbranch_scc0 .LBB94_462
; %bb.461:
	s_wait_loadcnt 0x0
	global_load_u8 v2, v[0:1], off
	s_mov_b32 s16, 0
	s_mov_b32 s1, -1
	s_wait_loadcnt 0x0
	v_cmp_ne_u16_e32 vcc_lo, 0, v2
	v_cndmask_b32_e64 v2, 0, 1.0, vcc_lo
	s_delay_alu instid0(VALU_DEP_1)
	v_lshrrev_b32_e32 v2, 16, v2
	s_branch .LBB94_463
.LBB94_462:
	s_mov_b32 s16, -1
                                        ; implicit-def: $vgpr2
.LBB94_463:
	s_branch .LBB94_265
.LBB94_464:
	s_cmp_lt_i32 s0, 5
	s_cbranch_scc1 .LBB94_469
; %bb.465:
	s_cmp_lt_i32 s0, 8
	s_cbranch_scc1 .LBB94_470
; %bb.466:
	;; [unrolled: 3-line block ×3, first 2 shown]
	s_cmp_gt_i32 s0, 9
	s_cbranch_scc0 .LBB94_472
; %bb.468:
	s_wait_loadcnt 0x0
	global_load_b64 v[2:3], v[0:1], off
	s_mov_b32 s1, 0
	s_wait_loadcnt 0x0
	v_cvt_f32_f64_e32 v2, v[2:3]
	s_delay_alu instid0(VALU_DEP_1) | instskip(SKIP_1) | instid1(VALU_DEP_2)
	v_bfe_u32 v3, v2, 16, 1
	v_cmp_o_f32_e32 vcc_lo, v2, v2
	v_add3_u32 v3, v2, v3, 0x7fff
	s_delay_alu instid0(VALU_DEP_1) | instskip(NEXT) | instid1(VALU_DEP_1)
	v_lshrrev_b32_e32 v3, 16, v3
	v_cndmask_b32_e32 v2, 0x7fc0, v3, vcc_lo
	s_branch .LBB94_473
.LBB94_469:
	s_mov_b32 s1, -1
                                        ; implicit-def: $vgpr2
	s_branch .LBB94_491
.LBB94_470:
	s_mov_b32 s1, -1
                                        ; implicit-def: $vgpr2
	s_branch .LBB94_479
.LBB94_471:
	s_mov_b32 s1, -1
                                        ; implicit-def: $vgpr2
	s_branch .LBB94_476
.LBB94_472:
	s_mov_b32 s1, -1
                                        ; implicit-def: $vgpr2
.LBB94_473:
	s_delay_alu instid0(SALU_CYCLE_1)
	s_and_not1_b32 vcc_lo, exec_lo, s1
	s_cbranch_vccnz .LBB94_475
; %bb.474:
	s_wait_loadcnt 0x0
	global_load_b32 v2, v[0:1], off
	s_wait_loadcnt 0x0
	v_bfe_u32 v3, v2, 16, 1
	v_cmp_o_f32_e32 vcc_lo, v2, v2
	s_delay_alu instid0(VALU_DEP_2) | instskip(NEXT) | instid1(VALU_DEP_1)
	v_add3_u32 v3, v2, v3, 0x7fff
	v_lshrrev_b32_e32 v3, 16, v3
	s_delay_alu instid0(VALU_DEP_1)
	v_cndmask_b32_e32 v2, 0x7fc0, v3, vcc_lo
.LBB94_475:
	s_mov_b32 s1, 0
.LBB94_476:
	s_delay_alu instid0(SALU_CYCLE_1)
	s_and_not1_b32 vcc_lo, exec_lo, s1
	s_cbranch_vccnz .LBB94_478
; %bb.477:
	s_wait_loadcnt 0x0
	global_load_b32 v2, v[0:1], off
	s_wait_loadcnt 0x0
	v_cvt_f32_f16_e32 v3, v2
	v_cmp_o_f16_e32 vcc_lo, v2, v2
	s_delay_alu instid0(VALU_DEP_2) | instskip(NEXT) | instid1(VALU_DEP_1)
	v_bfe_u32 v5, v3, 16, 1
	v_add3_u32 v3, v3, v5, 0x7fff
	s_delay_alu instid0(VALU_DEP_1) | instskip(NEXT) | instid1(VALU_DEP_1)
	v_lshrrev_b32_e32 v3, 16, v3
	v_cndmask_b32_e32 v2, 0x7fc0, v3, vcc_lo
.LBB94_478:
	s_mov_b32 s1, 0
.LBB94_479:
	s_delay_alu instid0(SALU_CYCLE_1)
	s_and_not1_b32 vcc_lo, exec_lo, s1
	s_cbranch_vccnz .LBB94_490
; %bb.480:
	s_cmp_lt_i32 s0, 6
	s_cbranch_scc1 .LBB94_483
; %bb.481:
	s_cmp_gt_i32 s0, 6
	s_cbranch_scc0 .LBB94_484
; %bb.482:
	s_wait_loadcnt 0x0
	global_load_b64 v[2:3], v[0:1], off
	s_mov_b32 s1, 0
	s_wait_loadcnt 0x0
	v_cvt_f32_f64_e32 v2, v[2:3]
	s_delay_alu instid0(VALU_DEP_1) | instskip(SKIP_1) | instid1(VALU_DEP_2)
	v_bfe_u32 v3, v2, 16, 1
	v_cmp_o_f32_e32 vcc_lo, v2, v2
	v_add3_u32 v3, v2, v3, 0x7fff
	s_delay_alu instid0(VALU_DEP_1) | instskip(NEXT) | instid1(VALU_DEP_1)
	v_lshrrev_b32_e32 v3, 16, v3
	v_cndmask_b32_e32 v2, 0x7fc0, v3, vcc_lo
	s_branch .LBB94_485
.LBB94_483:
	s_mov_b32 s1, -1
                                        ; implicit-def: $vgpr2
	s_branch .LBB94_488
.LBB94_484:
	s_mov_b32 s1, -1
                                        ; implicit-def: $vgpr2
.LBB94_485:
	s_delay_alu instid0(SALU_CYCLE_1)
	s_and_not1_b32 vcc_lo, exec_lo, s1
	s_cbranch_vccnz .LBB94_487
; %bb.486:
	s_wait_loadcnt 0x0
	global_load_b32 v2, v[0:1], off
	s_wait_loadcnt 0x0
	v_bfe_u32 v3, v2, 16, 1
	v_cmp_o_f32_e32 vcc_lo, v2, v2
	s_delay_alu instid0(VALU_DEP_2) | instskip(NEXT) | instid1(VALU_DEP_1)
	v_add3_u32 v3, v2, v3, 0x7fff
	v_lshrrev_b32_e32 v3, 16, v3
	s_delay_alu instid0(VALU_DEP_1)
	v_cndmask_b32_e32 v2, 0x7fc0, v3, vcc_lo
.LBB94_487:
	s_mov_b32 s1, 0
.LBB94_488:
	s_delay_alu instid0(SALU_CYCLE_1)
	s_and_not1_b32 vcc_lo, exec_lo, s1
	s_cbranch_vccnz .LBB94_490
; %bb.489:
	s_wait_loadcnt 0x0
	global_load_u16 v2, v[0:1], off
	s_wait_loadcnt 0x0
	v_cvt_f32_f16_e32 v3, v2
	v_cmp_o_f16_e32 vcc_lo, v2, v2
	s_delay_alu instid0(VALU_DEP_2) | instskip(NEXT) | instid1(VALU_DEP_1)
	v_bfe_u32 v5, v3, 16, 1
	v_add3_u32 v3, v3, v5, 0x7fff
	s_delay_alu instid0(VALU_DEP_1) | instskip(NEXT) | instid1(VALU_DEP_1)
	v_lshrrev_b32_e32 v3, 16, v3
	v_cndmask_b32_e32 v2, 0x7fc0, v3, vcc_lo
.LBB94_490:
	s_mov_b32 s1, 0
.LBB94_491:
	s_delay_alu instid0(SALU_CYCLE_1)
	s_and_not1_b32 vcc_lo, exec_lo, s1
	s_cbranch_vccnz .LBB94_511
; %bb.492:
	s_cmp_lt_i32 s0, 2
	s_cbranch_scc1 .LBB94_496
; %bb.493:
	s_cmp_lt_i32 s0, 3
	s_cbranch_scc1 .LBB94_497
; %bb.494:
	s_cmp_gt_i32 s0, 3
	s_cbranch_scc0 .LBB94_498
; %bb.495:
	s_wait_loadcnt 0x0
	global_load_b64 v[2:3], v[0:1], off
	s_mov_b32 s1, 0
	s_wait_loadcnt 0x0
	v_xor_b32_e32 v5, v2, v3
	v_cls_i32_e32 v6, v3
	s_delay_alu instid0(VALU_DEP_2) | instskip(NEXT) | instid1(VALU_DEP_1)
	v_ashrrev_i32_e32 v5, 31, v5
	v_add_nc_u32_e32 v5, 32, v5
	s_delay_alu instid0(VALU_DEP_1) | instskip(NEXT) | instid1(VALU_DEP_1)
	v_add_min_u32_e64 v5, v6, -1, v5
	v_lshlrev_b64_e32 v[2:3], v5, v[2:3]
	s_delay_alu instid0(VALU_DEP_1) | instskip(NEXT) | instid1(VALU_DEP_1)
	v_min_u32_e32 v2, 1, v2
	v_dual_sub_nc_u32 v3, 32, v5 :: v_dual_bitop2_b32 v2, v3, v2 bitop3:0x54
	s_delay_alu instid0(VALU_DEP_1) | instskip(NEXT) | instid1(VALU_DEP_1)
	v_cvt_f32_i32_e32 v2, v2
	v_ldexp_f32 v2, v2, v3
	s_delay_alu instid0(VALU_DEP_1) | instskip(NEXT) | instid1(VALU_DEP_1)
	v_bfe_u32 v3, v2, 16, 1
	v_add3_u32 v2, v2, v3, 0x7fff
	s_delay_alu instid0(VALU_DEP_1)
	v_lshrrev_b32_e32 v2, 16, v2
	s_branch .LBB94_499
.LBB94_496:
	s_mov_b32 s1, -1
                                        ; implicit-def: $vgpr2
	s_branch .LBB94_505
.LBB94_497:
	s_mov_b32 s1, -1
                                        ; implicit-def: $vgpr2
	s_branch .LBB94_502
.LBB94_498:
	s_mov_b32 s1, -1
                                        ; implicit-def: $vgpr2
.LBB94_499:
	s_delay_alu instid0(SALU_CYCLE_1)
	s_and_not1_b32 vcc_lo, exec_lo, s1
	s_cbranch_vccnz .LBB94_501
; %bb.500:
	s_wait_loadcnt 0x0
	global_load_b32 v2, v[0:1], off
	s_wait_loadcnt 0x0
	v_cvt_f32_i32_e32 v2, v2
	s_delay_alu instid0(VALU_DEP_1) | instskip(NEXT) | instid1(VALU_DEP_1)
	v_bfe_u32 v3, v2, 16, 1
	v_add3_u32 v2, v2, v3, 0x7fff
	s_delay_alu instid0(VALU_DEP_1)
	v_lshrrev_b32_e32 v2, 16, v2
.LBB94_501:
	s_mov_b32 s1, 0
.LBB94_502:
	s_delay_alu instid0(SALU_CYCLE_1)
	s_and_not1_b32 vcc_lo, exec_lo, s1
	s_cbranch_vccnz .LBB94_504
; %bb.503:
	s_wait_loadcnt 0x0
	global_load_i16 v2, v[0:1], off
	s_wait_loadcnt 0x0
	v_cvt_f32_i32_e32 v2, v2
	s_delay_alu instid0(VALU_DEP_1) | instskip(NEXT) | instid1(VALU_DEP_1)
	v_bfe_u32 v3, v2, 16, 1
	v_add3_u32 v2, v2, v3, 0x7fff
	s_delay_alu instid0(VALU_DEP_1)
	v_lshrrev_b32_e32 v2, 16, v2
.LBB94_504:
	s_mov_b32 s1, 0
.LBB94_505:
	s_delay_alu instid0(SALU_CYCLE_1)
	s_and_not1_b32 vcc_lo, exec_lo, s1
	s_cbranch_vccnz .LBB94_511
; %bb.506:
	s_cmp_gt_i32 s0, 0
	s_mov_b32 s0, 0
	s_cbranch_scc0 .LBB94_508
; %bb.507:
	s_wait_loadcnt 0x0
	global_load_i8 v2, v[0:1], off
	s_wait_loadcnt 0x0
	v_cvt_f32_i32_e32 v2, v2
	s_delay_alu instid0(VALU_DEP_1) | instskip(NEXT) | instid1(VALU_DEP_1)
	v_bfe_u32 v3, v2, 16, 1
	v_add3_u32 v2, v2, v3, 0x7fff
	s_delay_alu instid0(VALU_DEP_1)
	v_lshrrev_b32_e32 v2, 16, v2
	s_branch .LBB94_509
.LBB94_508:
	s_mov_b32 s0, -1
                                        ; implicit-def: $vgpr2
.LBB94_509:
	s_delay_alu instid0(SALU_CYCLE_1)
	s_and_not1_b32 vcc_lo, exec_lo, s0
	s_cbranch_vccnz .LBB94_511
; %bb.510:
	global_load_u8 v0, v[0:1], off
	s_wait_loadcnt 0x0
	v_cvt_f32_ubyte0_e32 v0, v0
	s_delay_alu instid0(VALU_DEP_1) | instskip(NEXT) | instid1(VALU_DEP_1)
	v_bfe_u32 v1, v0, 16, 1
	v_add3_u32 v0, v0, v1, 0x7fff
	s_delay_alu instid0(VALU_DEP_1)
	v_lshrrev_b32_e32 v2, 16, v0
.LBB94_511:
	s_branch .LBB94_266
.LBB94_512:
	s_mov_b32 s0, 0
	s_mov_b32 s1, s12
.LBB94_513:
                                        ; implicit-def: $vgpr4
.LBB94_514:
	s_and_not1_b32 s17, s12, exec_lo
	s_and_b32 s1, s1, exec_lo
	s_and_not1_b32 s19, s14, exec_lo
	s_and_b32 s16, s16, exec_lo
	s_or_b32 s17, s17, s1
	s_or_b32 s16, s19, s16
	s_or_not1_b32 s0, s0, exec_lo
.LBB94_515:
	s_wait_xcnt 0x0
	s_or_b32 exec_lo, exec_lo, s18
	s_mov_b32 s1, 0
	s_mov_b32 s19, 0
	;; [unrolled: 1-line block ×3, first 2 shown]
                                        ; implicit-def: $vgpr0_vgpr1
                                        ; implicit-def: $vgpr2
	s_and_saveexec_b32 s18, s0
	s_cbranch_execz .LBB94_862
; %bb.516:
	s_mov_b32 s20, -1
	s_mov_b32 s0, s16
	s_mov_b32 s1, s17
	s_mov_b32 s19, exec_lo
	v_cmpx_gt_i32_e64 s13, v4
	s_cbranch_execz .LBB94_776
; %bb.517:
	v_mul_lo_u32 v0, v4, s3
	s_and_b32 s0, 0xffff, s10
	s_delay_alu instid0(SALU_CYCLE_1) | instskip(NEXT) | instid1(VALU_DEP_1)
	s_cmp_lt_i32 s0, 11
	v_ashrrev_i32_e32 v1, 31, v0
	s_delay_alu instid0(VALU_DEP_1)
	v_add_nc_u64_e32 v[0:1], s[6:7], v[0:1]
	s_cbranch_scc1 .LBB94_524
; %bb.518:
	s_cmp_gt_i32 s0, 25
	s_cbranch_scc0 .LBB94_525
; %bb.519:
	s_cmp_gt_i32 s0, 28
	s_cbranch_scc0 .LBB94_526
	;; [unrolled: 3-line block ×4, first 2 shown]
; %bb.522:
	s_cmp_eq_u32 s0, 46
	s_mov_b32 s21, 0
	s_cbranch_scc0 .LBB94_533
; %bb.523:
	s_wait_loadcnt 0x0
	global_load_b32 v2, v[0:1], off
	s_mov_b32 s1, -1
	s_mov_b32 s20, 0
	s_branch .LBB94_535
.LBB94_524:
	s_mov_b32 s21, -1
	s_mov_b32 s1, 0
	s_mov_b32 s20, s16
                                        ; implicit-def: $vgpr2
	s_branch .LBB94_600
.LBB94_525:
	s_mov_b32 s21, -1
	s_mov_b32 s1, 0
	s_mov_b32 s20, s16
                                        ; implicit-def: $vgpr2
	s_branch .LBB94_564
.LBB94_526:
	s_mov_b32 s21, -1
	s_mov_b32 s1, 0
	s_mov_b32 s20, s16
                                        ; implicit-def: $vgpr2
	s_branch .LBB94_545
.LBB94_527:
	s_mov_b32 s21, -1
	s_mov_b32 s1, 0
	s_mov_b32 s20, s16
                                        ; implicit-def: $vgpr2
	s_branch .LBB94_540
.LBB94_528:
	s_and_not1_saveexec_b32 s22, s22
	s_cbranch_execz .LBB94_312
.LBB94_529:
	v_add_f32_e32 v2, 0x46000000, v3
	s_and_not1_b32 s21, s21, exec_lo
	s_delay_alu instid0(VALU_DEP_1) | instskip(NEXT) | instid1(VALU_DEP_1)
	v_and_b32_e32 v2, 0xff, v2
	v_cmp_ne_u32_e32 vcc_lo, 0, v2
	s_and_b32 s23, vcc_lo, exec_lo
	s_delay_alu instid0(SALU_CYCLE_1)
	s_or_b32 s21, s21, s23
	s_or_b32 exec_lo, exec_lo, s22
	v_mov_b32_e32 v5, 0
	s_and_saveexec_b32 s22, s21
	s_cbranch_execnz .LBB94_313
	s_branch .LBB94_314
.LBB94_530:
	s_mov_b32 s21, -1
	s_mov_b32 s1, 0
	s_mov_b32 s20, s16
	s_branch .LBB94_534
.LBB94_531:
	s_and_not1_saveexec_b32 s22, s22
	s_cbranch_execz .LBB94_325
.LBB94_532:
	v_add_f32_e32 v2, 0x42800000, v3
	s_and_not1_b32 s21, s21, exec_lo
	s_delay_alu instid0(VALU_DEP_1) | instskip(NEXT) | instid1(VALU_DEP_1)
	v_and_b32_e32 v2, 0xff, v2
	v_cmp_ne_u32_e32 vcc_lo, 0, v2
	s_and_b32 s23, vcc_lo, exec_lo
	s_delay_alu instid0(SALU_CYCLE_1)
	s_or_b32 s21, s21, s23
	s_or_b32 exec_lo, exec_lo, s22
	v_mov_b32_e32 v5, 0
	s_and_saveexec_b32 s22, s21
	s_cbranch_execnz .LBB94_326
	s_branch .LBB94_327
.LBB94_533:
	s_mov_b32 s1, 0
.LBB94_534:
                                        ; implicit-def: $vgpr2
.LBB94_535:
	s_and_b32 vcc_lo, exec_lo, s21
	s_cbranch_vccz .LBB94_539
; %bb.536:
	s_cmp_eq_u32 s0, 44
	s_cbranch_scc0 .LBB94_538
; %bb.537:
	s_wait_loadcnt 0x0
	global_load_u8 v2, v[0:1], off
	s_mov_b32 s20, 0
	s_mov_b32 s1, -1
	s_wait_loadcnt 0x0
	v_lshlrev_b32_e32 v3, 23, v2
	v_cmp_ne_u32_e32 vcc_lo, 0xff, v2
	s_delay_alu instid0(VALU_DEP_2) | instskip(SKIP_1) | instid1(VALU_DEP_2)
	v_cndmask_b32_e32 v3, 0x7f800001, v3, vcc_lo
	v_cmp_ne_u32_e32 vcc_lo, 0, v2
	v_cndmask_b32_e32 v2, 0x400000, v3, vcc_lo
	s_delay_alu instid0(VALU_DEP_1) | instskip(NEXT) | instid1(VALU_DEP_1)
	v_add_nc_u32_e32 v3, 0x7fff, v2
	v_lshrrev_b32_e32 v3, 16, v3
	v_cmp_o_f32_e32 vcc_lo, v2, v2
	s_delay_alu instid0(VALU_DEP_2)
	v_cndmask_b32_e32 v2, 0x7fc0, v3, vcc_lo
	s_branch .LBB94_539
.LBB94_538:
	s_mov_b32 s20, -1
                                        ; implicit-def: $vgpr2
.LBB94_539:
	s_mov_b32 s21, 0
.LBB94_540:
	s_delay_alu instid0(SALU_CYCLE_1)
	s_and_b32 vcc_lo, exec_lo, s21
	s_cbranch_vccz .LBB94_544
; %bb.541:
	s_cmp_eq_u32 s0, 29
	s_cbranch_scc0 .LBB94_543
; %bb.542:
	s_wait_loadcnt 0x0
	global_load_b64 v[2:3], v[0:1], off
	s_mov_b32 s1, -1
	s_mov_b32 s20, 0
	s_mov_b32 s21, 0
	s_wait_loadcnt 0x0
	v_clz_i32_u32_e32 v5, v3
	s_delay_alu instid0(VALU_DEP_1) | instskip(NEXT) | instid1(VALU_DEP_1)
	v_min_u32_e32 v5, 32, v5
	v_lshlrev_b64_e32 v[2:3], v5, v[2:3]
	s_delay_alu instid0(VALU_DEP_1) | instskip(NEXT) | instid1(VALU_DEP_1)
	v_min_u32_e32 v2, 1, v2
	v_dual_sub_nc_u32 v3, 32, v5 :: v_dual_bitop2_b32 v2, v3, v2 bitop3:0x54
	s_delay_alu instid0(VALU_DEP_1) | instskip(NEXT) | instid1(VALU_DEP_1)
	v_cvt_f32_u32_e32 v2, v2
	v_ldexp_f32 v2, v2, v3
	s_delay_alu instid0(VALU_DEP_1) | instskip(NEXT) | instid1(VALU_DEP_1)
	v_bfe_u32 v3, v2, 16, 1
	v_add3_u32 v2, v2, v3, 0x7fff
	s_delay_alu instid0(VALU_DEP_1)
	v_lshrrev_b32_e32 v2, 16, v2
	s_branch .LBB94_545
.LBB94_543:
	s_mov_b32 s20, -1
                                        ; implicit-def: $vgpr2
.LBB94_544:
	s_mov_b32 s21, 0
.LBB94_545:
	s_delay_alu instid0(SALU_CYCLE_1)
	s_and_b32 vcc_lo, exec_lo, s21
	s_cbranch_vccz .LBB94_563
; %bb.546:
	s_cmp_lt_i32 s0, 27
	s_cbranch_scc1 .LBB94_549
; %bb.547:
	s_cmp_gt_i32 s0, 27
	s_cbranch_scc0 .LBB94_550
; %bb.548:
	s_wait_loadcnt 0x0
	global_load_b32 v2, v[0:1], off
	s_mov_b32 s1, 0
	s_wait_loadcnt 0x0
	v_cvt_f32_u32_e32 v2, v2
	s_delay_alu instid0(VALU_DEP_1) | instskip(NEXT) | instid1(VALU_DEP_1)
	v_bfe_u32 v3, v2, 16, 1
	v_add3_u32 v2, v2, v3, 0x7fff
	s_delay_alu instid0(VALU_DEP_1)
	v_lshrrev_b32_e32 v2, 16, v2
	s_branch .LBB94_551
.LBB94_549:
	s_mov_b32 s1, -1
                                        ; implicit-def: $vgpr2
	s_branch .LBB94_554
.LBB94_550:
	s_mov_b32 s1, -1
                                        ; implicit-def: $vgpr2
.LBB94_551:
	s_delay_alu instid0(SALU_CYCLE_1)
	s_and_not1_b32 vcc_lo, exec_lo, s1
	s_cbranch_vccnz .LBB94_553
; %bb.552:
	s_wait_loadcnt 0x0
	global_load_u16 v2, v[0:1], off
	s_wait_loadcnt 0x0
	v_cvt_f32_u32_e32 v2, v2
	s_delay_alu instid0(VALU_DEP_1) | instskip(NEXT) | instid1(VALU_DEP_1)
	v_bfe_u32 v3, v2, 16, 1
	v_add3_u32 v2, v2, v3, 0x7fff
	s_delay_alu instid0(VALU_DEP_1)
	v_lshrrev_b32_e32 v2, 16, v2
.LBB94_553:
	s_mov_b32 s1, 0
.LBB94_554:
	s_delay_alu instid0(SALU_CYCLE_1)
	s_and_not1_b32 vcc_lo, exec_lo, s1
	s_cbranch_vccnz .LBB94_562
; %bb.555:
	s_wait_loadcnt 0x0
	global_load_u8 v2, v[0:1], off
	s_mov_b32 s1, 0
	s_mov_b32 s21, exec_lo
	s_wait_loadcnt 0x0
	v_cmpx_lt_i16_e32 0x7f, v2
	s_xor_b32 s21, exec_lo, s21
	s_cbranch_execz .LBB94_576
; %bb.556:
	s_mov_b32 s1, -1
	s_mov_b32 s22, exec_lo
	v_cmpx_eq_u16_e32 0x80, v2
; %bb.557:
	s_xor_b32 s1, exec_lo, -1
; %bb.558:
	s_or_b32 exec_lo, exec_lo, s22
	s_delay_alu instid0(SALU_CYCLE_1)
	s_and_b32 s1, s1, exec_lo
	s_or_saveexec_b32 s21, s21
	v_mov_b32_e32 v3, 0x7f800001
	s_xor_b32 exec_lo, exec_lo, s21
	s_cbranch_execnz .LBB94_577
.LBB94_559:
	s_or_b32 exec_lo, exec_lo, s21
	s_and_saveexec_b32 s21, s1
	s_cbranch_execz .LBB94_561
.LBB94_560:
	v_and_b32_e32 v3, 0xffff, v2
	s_delay_alu instid0(VALU_DEP_1) | instskip(SKIP_1) | instid1(VALU_DEP_2)
	v_and_b32_e32 v5, 7, v3
	v_bfe_u32 v8, v3, 3, 4
	v_clz_i32_u32_e32 v6, v5
	s_delay_alu instid0(VALU_DEP_2) | instskip(NEXT) | instid1(VALU_DEP_2)
	v_cmp_eq_u32_e32 vcc_lo, 0, v8
	v_min_u32_e32 v6, 32, v6
	s_delay_alu instid0(VALU_DEP_1) | instskip(NEXT) | instid1(VALU_DEP_1)
	v_subrev_nc_u32_e32 v7, 28, v6
	v_dual_lshlrev_b32 v3, v7, v3 :: v_dual_sub_nc_u32 v6, 29, v6
	s_delay_alu instid0(VALU_DEP_1) | instskip(NEXT) | instid1(VALU_DEP_1)
	v_dual_lshlrev_b32 v2, 24, v2 :: v_dual_bitop2_b32 v3, 7, v3 bitop3:0x40
	v_dual_cndmask_b32 v3, v5, v3 :: v_dual_cndmask_b32 v6, v8, v6
	s_delay_alu instid0(VALU_DEP_2) | instskip(NEXT) | instid1(VALU_DEP_2)
	v_and_b32_e32 v2, 0x80000000, v2
	v_lshlrev_b32_e32 v3, 20, v3
	s_delay_alu instid0(VALU_DEP_3) | instskip(NEXT) | instid1(VALU_DEP_1)
	v_lshl_add_u32 v5, v6, 23, 0x3b800000
	v_or3_b32 v3, v2, v5, v3
.LBB94_561:
	s_or_b32 exec_lo, exec_lo, s21
	s_delay_alu instid0(VALU_DEP_1) | instskip(SKIP_1) | instid1(VALU_DEP_2)
	v_bfe_u32 v2, v3, 16, 1
	v_cmp_o_f32_e32 vcc_lo, v3, v3
	v_add3_u32 v2, v3, v2, 0x7fff
	s_delay_alu instid0(VALU_DEP_1) | instskip(NEXT) | instid1(VALU_DEP_1)
	v_lshrrev_b32_e32 v2, 16, v2
	v_cndmask_b32_e32 v2, 0x7fc0, v2, vcc_lo
.LBB94_562:
	s_mov_b32 s1, -1
.LBB94_563:
	s_mov_b32 s21, 0
.LBB94_564:
	s_delay_alu instid0(SALU_CYCLE_1)
	s_and_b32 vcc_lo, exec_lo, s21
	s_cbranch_vccz .LBB94_599
; %bb.565:
	s_cmp_gt_i32 s0, 22
	s_cbranch_scc0 .LBB94_575
; %bb.566:
	s_cmp_lt_i32 s0, 24
	s_cbranch_scc1 .LBB94_578
; %bb.567:
	s_cmp_gt_i32 s0, 24
	s_cbranch_scc0 .LBB94_579
; %bb.568:
	s_wait_loadcnt 0x0
	global_load_u8 v2, v[0:1], off
	s_mov_b32 s1, 0
	s_mov_b32 s21, exec_lo
	s_wait_loadcnt 0x0
	v_cmpx_lt_i16_e32 0x7f, v2
	s_xor_b32 s21, exec_lo, s21
	s_cbranch_execz .LBB94_591
; %bb.569:
	s_mov_b32 s1, -1
	s_mov_b32 s22, exec_lo
	v_cmpx_eq_u16_e32 0x80, v2
; %bb.570:
	s_xor_b32 s1, exec_lo, -1
; %bb.571:
	s_or_b32 exec_lo, exec_lo, s22
	s_delay_alu instid0(SALU_CYCLE_1)
	s_and_b32 s1, s1, exec_lo
	s_or_saveexec_b32 s21, s21
	v_mov_b32_e32 v3, 0x7f800001
	s_xor_b32 exec_lo, exec_lo, s21
	s_cbranch_execnz .LBB94_592
.LBB94_572:
	s_or_b32 exec_lo, exec_lo, s21
	s_and_saveexec_b32 s21, s1
	s_cbranch_execz .LBB94_574
.LBB94_573:
	v_and_b32_e32 v3, 0xffff, v2
	s_delay_alu instid0(VALU_DEP_1) | instskip(SKIP_1) | instid1(VALU_DEP_2)
	v_and_b32_e32 v5, 3, v3
	v_bfe_u32 v8, v3, 2, 5
	v_clz_i32_u32_e32 v6, v5
	s_delay_alu instid0(VALU_DEP_2) | instskip(NEXT) | instid1(VALU_DEP_2)
	v_cmp_eq_u32_e32 vcc_lo, 0, v8
	v_min_u32_e32 v6, 32, v6
	s_delay_alu instid0(VALU_DEP_1) | instskip(NEXT) | instid1(VALU_DEP_1)
	v_subrev_nc_u32_e32 v7, 29, v6
	v_dual_lshlrev_b32 v3, v7, v3 :: v_dual_sub_nc_u32 v6, 30, v6
	s_delay_alu instid0(VALU_DEP_1) | instskip(NEXT) | instid1(VALU_DEP_1)
	v_dual_lshlrev_b32 v2, 24, v2 :: v_dual_bitop2_b32 v3, 3, v3 bitop3:0x40
	v_dual_cndmask_b32 v3, v5, v3 :: v_dual_cndmask_b32 v6, v8, v6
	s_delay_alu instid0(VALU_DEP_2) | instskip(NEXT) | instid1(VALU_DEP_2)
	v_and_b32_e32 v2, 0x80000000, v2
	v_lshlrev_b32_e32 v3, 21, v3
	s_delay_alu instid0(VALU_DEP_3) | instskip(NEXT) | instid1(VALU_DEP_1)
	v_lshl_add_u32 v5, v6, 23, 0x37800000
	v_or3_b32 v3, v2, v5, v3
.LBB94_574:
	s_or_b32 exec_lo, exec_lo, s21
	s_delay_alu instid0(VALU_DEP_1) | instskip(SKIP_2) | instid1(VALU_DEP_2)
	v_bfe_u32 v2, v3, 16, 1
	v_cmp_o_f32_e32 vcc_lo, v3, v3
	s_mov_b32 s1, 0
	v_add3_u32 v2, v3, v2, 0x7fff
	s_delay_alu instid0(VALU_DEP_1) | instskip(NEXT) | instid1(VALU_DEP_1)
	v_lshrrev_b32_e32 v2, 16, v2
	v_cndmask_b32_e32 v2, 0x7fc0, v2, vcc_lo
	s_branch .LBB94_580
.LBB94_575:
	s_mov_b32 s21, -1
                                        ; implicit-def: $vgpr2
	s_branch .LBB94_586
.LBB94_576:
	s_or_saveexec_b32 s21, s21
	v_mov_b32_e32 v3, 0x7f800001
	s_xor_b32 exec_lo, exec_lo, s21
	s_cbranch_execz .LBB94_559
.LBB94_577:
	v_cmp_ne_u16_e32 vcc_lo, 0, v2
	v_mov_b32_e32 v3, 0
	s_and_not1_b32 s1, s1, exec_lo
	s_and_b32 s22, vcc_lo, exec_lo
	s_delay_alu instid0(SALU_CYCLE_1)
	s_or_b32 s1, s1, s22
	s_or_b32 exec_lo, exec_lo, s21
	s_and_saveexec_b32 s21, s1
	s_cbranch_execnz .LBB94_560
	s_branch .LBB94_561
.LBB94_578:
	s_mov_b32 s1, -1
                                        ; implicit-def: $vgpr2
	s_branch .LBB94_583
.LBB94_579:
	s_mov_b32 s1, -1
                                        ; implicit-def: $vgpr2
.LBB94_580:
	s_delay_alu instid0(SALU_CYCLE_1)
	s_and_b32 vcc_lo, exec_lo, s1
	s_cbranch_vccz .LBB94_582
; %bb.581:
	s_wait_loadcnt 0x0
	global_load_u8 v2, v[0:1], off
	s_wait_loadcnt 0x0
	v_lshlrev_b32_e32 v2, 24, v2
	s_delay_alu instid0(VALU_DEP_1) | instskip(NEXT) | instid1(VALU_DEP_1)
	v_and_b32_e32 v3, 0x7f000000, v2
	v_clz_i32_u32_e32 v5, v3
	v_add_nc_u32_e32 v7, 0x1000000, v3
	v_cmp_ne_u32_e32 vcc_lo, 0, v3
	s_delay_alu instid0(VALU_DEP_3) | instskip(NEXT) | instid1(VALU_DEP_1)
	v_min_u32_e32 v5, 32, v5
	v_sub_nc_u32_e64 v5, v5, 4 clamp
	s_delay_alu instid0(VALU_DEP_1) | instskip(NEXT) | instid1(VALU_DEP_1)
	v_dual_lshlrev_b32 v6, v5, v3 :: v_dual_lshlrev_b32 v5, 23, v5
	v_lshrrev_b32_e32 v6, 4, v6
	s_delay_alu instid0(VALU_DEP_1) | instskip(NEXT) | instid1(VALU_DEP_1)
	v_dual_sub_nc_u32 v5, v6, v5 :: v_dual_ashrrev_i32 v6, 8, v7
	v_add_nc_u32_e32 v5, 0x3c000000, v5
	s_delay_alu instid0(VALU_DEP_1) | instskip(NEXT) | instid1(VALU_DEP_1)
	v_and_or_b32 v5, 0x7f800000, v6, v5
	v_cndmask_b32_e32 v3, 0, v5, vcc_lo
	s_delay_alu instid0(VALU_DEP_1) | instskip(SKIP_1) | instid1(VALU_DEP_2)
	v_and_or_b32 v2, 0x80000000, v2, v3
	v_bfe_u32 v3, v3, 16, 1
	v_cmp_o_f32_e32 vcc_lo, v2, v2
	s_delay_alu instid0(VALU_DEP_2) | instskip(NEXT) | instid1(VALU_DEP_1)
	v_add3_u32 v3, v2, v3, 0x7fff
	v_lshrrev_b32_e32 v3, 16, v3
	s_delay_alu instid0(VALU_DEP_1)
	v_cndmask_b32_e32 v2, 0x7fc0, v3, vcc_lo
.LBB94_582:
	s_mov_b32 s1, 0
.LBB94_583:
	s_delay_alu instid0(SALU_CYCLE_1)
	s_and_not1_b32 vcc_lo, exec_lo, s1
	s_cbranch_vccnz .LBB94_585
; %bb.584:
	s_wait_loadcnt 0x0
	global_load_u8 v2, v[0:1], off
	s_wait_loadcnt 0x0
	v_lshlrev_b32_e32 v3, 25, v2
	v_lshlrev_b16 v2, 8, v2
	s_delay_alu instid0(VALU_DEP_2) | instskip(NEXT) | instid1(VALU_DEP_2)
	v_cmp_gt_u32_e32 vcc_lo, 0x8000000, v3
	v_and_or_b32 v6, 0x7f00, v2, 0.5
	v_lshrrev_b32_e32 v5, 4, v3
	v_bfe_i32 v2, v2, 0, 16
	s_delay_alu instid0(VALU_DEP_3) | instskip(NEXT) | instid1(VALU_DEP_3)
	v_add_f32_e32 v6, -0.5, v6
	v_or_b32_e32 v5, 0x70000000, v5
	s_delay_alu instid0(VALU_DEP_1) | instskip(NEXT) | instid1(VALU_DEP_1)
	v_mul_f32_e32 v5, 0x7800000, v5
	v_cndmask_b32_e32 v3, v5, v6, vcc_lo
	s_delay_alu instid0(VALU_DEP_1) | instskip(SKIP_1) | instid1(VALU_DEP_2)
	v_and_or_b32 v2, 0x80000000, v2, v3
	v_bfe_u32 v3, v3, 16, 1
	v_cmp_o_f32_e32 vcc_lo, v2, v2
	s_delay_alu instid0(VALU_DEP_2) | instskip(NEXT) | instid1(VALU_DEP_1)
	v_add3_u32 v3, v2, v3, 0x7fff
	v_lshrrev_b32_e32 v3, 16, v3
	s_delay_alu instid0(VALU_DEP_1)
	v_cndmask_b32_e32 v2, 0x7fc0, v3, vcc_lo
.LBB94_585:
	s_mov_b32 s21, 0
	s_mov_b32 s1, -1
.LBB94_586:
	s_and_not1_b32 vcc_lo, exec_lo, s21
	s_cbranch_vccnz .LBB94_599
; %bb.587:
	s_cmp_gt_i32 s0, 14
	s_cbranch_scc0 .LBB94_590
; %bb.588:
	s_cmp_eq_u32 s0, 15
	s_cbranch_scc0 .LBB94_593
; %bb.589:
	s_wait_loadcnt 0x0
	global_load_u16 v2, v[0:1], off
	s_mov_b32 s1, -1
	s_mov_b32 s20, 0
	s_branch .LBB94_594
.LBB94_590:
	s_mov_b32 s21, -1
                                        ; implicit-def: $vgpr2
	s_branch .LBB94_595
.LBB94_591:
	s_or_saveexec_b32 s21, s21
	v_mov_b32_e32 v3, 0x7f800001
	s_xor_b32 exec_lo, exec_lo, s21
	s_cbranch_execz .LBB94_572
.LBB94_592:
	v_cmp_ne_u16_e32 vcc_lo, 0, v2
	v_mov_b32_e32 v3, 0
	s_and_not1_b32 s1, s1, exec_lo
	s_and_b32 s22, vcc_lo, exec_lo
	s_delay_alu instid0(SALU_CYCLE_1)
	s_or_b32 s1, s1, s22
	s_or_b32 exec_lo, exec_lo, s21
	s_and_saveexec_b32 s21, s1
	s_cbranch_execnz .LBB94_573
	s_branch .LBB94_574
.LBB94_593:
	s_mov_b32 s20, -1
                                        ; implicit-def: $vgpr2
.LBB94_594:
	s_mov_b32 s21, 0
.LBB94_595:
	s_delay_alu instid0(SALU_CYCLE_1)
	s_and_b32 vcc_lo, exec_lo, s21
	s_cbranch_vccz .LBB94_599
; %bb.596:
	s_cmp_eq_u32 s0, 11
	s_cbranch_scc0 .LBB94_598
; %bb.597:
	s_wait_loadcnt 0x0
	global_load_u8 v2, v[0:1], off
	s_mov_b32 s20, 0
	s_mov_b32 s1, -1
	s_wait_loadcnt 0x0
	v_cmp_ne_u16_e32 vcc_lo, 0, v2
	v_cndmask_b32_e64 v2, 0, 1.0, vcc_lo
	s_delay_alu instid0(VALU_DEP_1)
	v_lshrrev_b32_e32 v2, 16, v2
	s_branch .LBB94_599
.LBB94_598:
	s_mov_b32 s20, -1
                                        ; implicit-def: $vgpr2
.LBB94_599:
	s_mov_b32 s21, 0
.LBB94_600:
	s_delay_alu instid0(SALU_CYCLE_1)
	s_and_b32 vcc_lo, exec_lo, s21
	s_cbranch_vccz .LBB94_649
; %bb.601:
	s_cmp_lt_i32 s0, 5
	s_cbranch_scc1 .LBB94_606
; %bb.602:
	s_cmp_lt_i32 s0, 8
	s_cbranch_scc1 .LBB94_607
	;; [unrolled: 3-line block ×3, first 2 shown]
; %bb.604:
	s_cmp_gt_i32 s0, 9
	s_cbranch_scc0 .LBB94_609
; %bb.605:
	s_wait_loadcnt 0x0
	global_load_b64 v[2:3], v[0:1], off
	s_mov_b32 s1, 0
	s_wait_loadcnt 0x0
	v_cvt_f32_f64_e32 v2, v[2:3]
	s_delay_alu instid0(VALU_DEP_1) | instskip(SKIP_1) | instid1(VALU_DEP_2)
	v_bfe_u32 v3, v2, 16, 1
	v_cmp_o_f32_e32 vcc_lo, v2, v2
	v_add3_u32 v3, v2, v3, 0x7fff
	s_delay_alu instid0(VALU_DEP_1) | instskip(NEXT) | instid1(VALU_DEP_1)
	v_lshrrev_b32_e32 v3, 16, v3
	v_cndmask_b32_e32 v2, 0x7fc0, v3, vcc_lo
	s_branch .LBB94_610
.LBB94_606:
	s_mov_b32 s1, -1
                                        ; implicit-def: $vgpr2
	s_branch .LBB94_628
.LBB94_607:
	s_mov_b32 s1, -1
                                        ; implicit-def: $vgpr2
	s_branch .LBB94_616
.LBB94_608:
	s_mov_b32 s1, -1
                                        ; implicit-def: $vgpr2
	s_branch .LBB94_613
.LBB94_609:
	s_mov_b32 s1, -1
                                        ; implicit-def: $vgpr2
.LBB94_610:
	s_delay_alu instid0(SALU_CYCLE_1)
	s_and_not1_b32 vcc_lo, exec_lo, s1
	s_cbranch_vccnz .LBB94_612
; %bb.611:
	s_wait_loadcnt 0x0
	global_load_b32 v2, v[0:1], off
	s_wait_loadcnt 0x0
	v_bfe_u32 v3, v2, 16, 1
	v_cmp_o_f32_e32 vcc_lo, v2, v2
	s_delay_alu instid0(VALU_DEP_2) | instskip(NEXT) | instid1(VALU_DEP_1)
	v_add3_u32 v3, v2, v3, 0x7fff
	v_lshrrev_b32_e32 v3, 16, v3
	s_delay_alu instid0(VALU_DEP_1)
	v_cndmask_b32_e32 v2, 0x7fc0, v3, vcc_lo
.LBB94_612:
	s_mov_b32 s1, 0
.LBB94_613:
	s_delay_alu instid0(SALU_CYCLE_1)
	s_and_not1_b32 vcc_lo, exec_lo, s1
	s_cbranch_vccnz .LBB94_615
; %bb.614:
	s_wait_loadcnt 0x0
	global_load_b32 v2, v[0:1], off
	s_wait_loadcnt 0x0
	v_cvt_f32_f16_e32 v3, v2
	v_cmp_o_f16_e32 vcc_lo, v2, v2
	s_delay_alu instid0(VALU_DEP_2) | instskip(NEXT) | instid1(VALU_DEP_1)
	v_bfe_u32 v5, v3, 16, 1
	v_add3_u32 v3, v3, v5, 0x7fff
	s_delay_alu instid0(VALU_DEP_1) | instskip(NEXT) | instid1(VALU_DEP_1)
	v_lshrrev_b32_e32 v3, 16, v3
	v_cndmask_b32_e32 v2, 0x7fc0, v3, vcc_lo
.LBB94_615:
	s_mov_b32 s1, 0
.LBB94_616:
	s_delay_alu instid0(SALU_CYCLE_1)
	s_and_not1_b32 vcc_lo, exec_lo, s1
	s_cbranch_vccnz .LBB94_627
; %bb.617:
	s_cmp_lt_i32 s0, 6
	s_cbranch_scc1 .LBB94_620
; %bb.618:
	s_cmp_gt_i32 s0, 6
	s_cbranch_scc0 .LBB94_621
; %bb.619:
	s_wait_loadcnt 0x0
	global_load_b64 v[2:3], v[0:1], off
	s_mov_b32 s1, 0
	s_wait_loadcnt 0x0
	v_cvt_f32_f64_e32 v2, v[2:3]
	s_delay_alu instid0(VALU_DEP_1) | instskip(SKIP_1) | instid1(VALU_DEP_2)
	v_bfe_u32 v3, v2, 16, 1
	v_cmp_o_f32_e32 vcc_lo, v2, v2
	v_add3_u32 v3, v2, v3, 0x7fff
	s_delay_alu instid0(VALU_DEP_1) | instskip(NEXT) | instid1(VALU_DEP_1)
	v_lshrrev_b32_e32 v3, 16, v3
	v_cndmask_b32_e32 v2, 0x7fc0, v3, vcc_lo
	s_branch .LBB94_622
.LBB94_620:
	s_mov_b32 s1, -1
                                        ; implicit-def: $vgpr2
	s_branch .LBB94_625
.LBB94_621:
	s_mov_b32 s1, -1
                                        ; implicit-def: $vgpr2
.LBB94_622:
	s_delay_alu instid0(SALU_CYCLE_1)
	s_and_not1_b32 vcc_lo, exec_lo, s1
	s_cbranch_vccnz .LBB94_624
; %bb.623:
	s_wait_loadcnt 0x0
	global_load_b32 v2, v[0:1], off
	s_wait_loadcnt 0x0
	v_bfe_u32 v3, v2, 16, 1
	v_cmp_o_f32_e32 vcc_lo, v2, v2
	s_delay_alu instid0(VALU_DEP_2) | instskip(NEXT) | instid1(VALU_DEP_1)
	v_add3_u32 v3, v2, v3, 0x7fff
	v_lshrrev_b32_e32 v3, 16, v3
	s_delay_alu instid0(VALU_DEP_1)
	v_cndmask_b32_e32 v2, 0x7fc0, v3, vcc_lo
.LBB94_624:
	s_mov_b32 s1, 0
.LBB94_625:
	s_delay_alu instid0(SALU_CYCLE_1)
	s_and_not1_b32 vcc_lo, exec_lo, s1
	s_cbranch_vccnz .LBB94_627
; %bb.626:
	s_wait_loadcnt 0x0
	global_load_u16 v2, v[0:1], off
	s_wait_loadcnt 0x0
	v_cvt_f32_f16_e32 v3, v2
	v_cmp_o_f16_e32 vcc_lo, v2, v2
	s_delay_alu instid0(VALU_DEP_2) | instskip(NEXT) | instid1(VALU_DEP_1)
	v_bfe_u32 v5, v3, 16, 1
	v_add3_u32 v3, v3, v5, 0x7fff
	s_delay_alu instid0(VALU_DEP_1) | instskip(NEXT) | instid1(VALU_DEP_1)
	v_lshrrev_b32_e32 v3, 16, v3
	v_cndmask_b32_e32 v2, 0x7fc0, v3, vcc_lo
.LBB94_627:
	s_mov_b32 s1, 0
.LBB94_628:
	s_delay_alu instid0(SALU_CYCLE_1)
	s_and_not1_b32 vcc_lo, exec_lo, s1
	s_cbranch_vccnz .LBB94_648
; %bb.629:
	s_cmp_lt_i32 s0, 2
	s_cbranch_scc1 .LBB94_633
; %bb.630:
	s_cmp_lt_i32 s0, 3
	s_cbranch_scc1 .LBB94_634
; %bb.631:
	s_cmp_gt_i32 s0, 3
	s_cbranch_scc0 .LBB94_635
; %bb.632:
	s_wait_loadcnt 0x0
	global_load_b64 v[2:3], v[0:1], off
	s_mov_b32 s1, 0
	s_wait_loadcnt 0x0
	v_xor_b32_e32 v5, v2, v3
	v_cls_i32_e32 v6, v3
	s_delay_alu instid0(VALU_DEP_2) | instskip(NEXT) | instid1(VALU_DEP_1)
	v_ashrrev_i32_e32 v5, 31, v5
	v_add_nc_u32_e32 v5, 32, v5
	s_delay_alu instid0(VALU_DEP_1) | instskip(NEXT) | instid1(VALU_DEP_1)
	v_add_min_u32_e64 v5, v6, -1, v5
	v_lshlrev_b64_e32 v[2:3], v5, v[2:3]
	s_delay_alu instid0(VALU_DEP_1) | instskip(NEXT) | instid1(VALU_DEP_1)
	v_min_u32_e32 v2, 1, v2
	v_dual_sub_nc_u32 v3, 32, v5 :: v_dual_bitop2_b32 v2, v3, v2 bitop3:0x54
	s_delay_alu instid0(VALU_DEP_1) | instskip(NEXT) | instid1(VALU_DEP_1)
	v_cvt_f32_i32_e32 v2, v2
	v_ldexp_f32 v2, v2, v3
	s_delay_alu instid0(VALU_DEP_1) | instskip(NEXT) | instid1(VALU_DEP_1)
	v_bfe_u32 v3, v2, 16, 1
	v_add3_u32 v2, v2, v3, 0x7fff
	s_delay_alu instid0(VALU_DEP_1)
	v_lshrrev_b32_e32 v2, 16, v2
	s_branch .LBB94_636
.LBB94_633:
	s_mov_b32 s1, -1
                                        ; implicit-def: $vgpr2
	s_branch .LBB94_642
.LBB94_634:
	s_mov_b32 s1, -1
                                        ; implicit-def: $vgpr2
	s_branch .LBB94_639
.LBB94_635:
	s_mov_b32 s1, -1
                                        ; implicit-def: $vgpr2
.LBB94_636:
	s_delay_alu instid0(SALU_CYCLE_1)
	s_and_not1_b32 vcc_lo, exec_lo, s1
	s_cbranch_vccnz .LBB94_638
; %bb.637:
	s_wait_loadcnt 0x0
	global_load_b32 v2, v[0:1], off
	s_wait_loadcnt 0x0
	v_cvt_f32_i32_e32 v2, v2
	s_delay_alu instid0(VALU_DEP_1) | instskip(NEXT) | instid1(VALU_DEP_1)
	v_bfe_u32 v3, v2, 16, 1
	v_add3_u32 v2, v2, v3, 0x7fff
	s_delay_alu instid0(VALU_DEP_1)
	v_lshrrev_b32_e32 v2, 16, v2
.LBB94_638:
	s_mov_b32 s1, 0
.LBB94_639:
	s_delay_alu instid0(SALU_CYCLE_1)
	s_and_not1_b32 vcc_lo, exec_lo, s1
	s_cbranch_vccnz .LBB94_641
; %bb.640:
	s_wait_loadcnt 0x0
	global_load_i16 v2, v[0:1], off
	s_wait_loadcnt 0x0
	v_cvt_f32_i32_e32 v2, v2
	s_delay_alu instid0(VALU_DEP_1) | instskip(NEXT) | instid1(VALU_DEP_1)
	v_bfe_u32 v3, v2, 16, 1
	v_add3_u32 v2, v2, v3, 0x7fff
	s_delay_alu instid0(VALU_DEP_1)
	v_lshrrev_b32_e32 v2, 16, v2
.LBB94_641:
	s_mov_b32 s1, 0
.LBB94_642:
	s_delay_alu instid0(SALU_CYCLE_1)
	s_and_not1_b32 vcc_lo, exec_lo, s1
	s_cbranch_vccnz .LBB94_648
; %bb.643:
	s_cmp_gt_i32 s0, 0
	s_mov_b32 s0, 0
	s_cbranch_scc0 .LBB94_645
; %bb.644:
	s_wait_loadcnt 0x0
	global_load_i8 v2, v[0:1], off
	s_wait_loadcnt 0x0
	v_cvt_f32_i32_e32 v2, v2
	s_delay_alu instid0(VALU_DEP_1) | instskip(NEXT) | instid1(VALU_DEP_1)
	v_bfe_u32 v3, v2, 16, 1
	v_add3_u32 v2, v2, v3, 0x7fff
	s_delay_alu instid0(VALU_DEP_1)
	v_lshrrev_b32_e32 v2, 16, v2
	s_branch .LBB94_646
.LBB94_645:
	s_mov_b32 s0, -1
                                        ; implicit-def: $vgpr2
.LBB94_646:
	s_delay_alu instid0(SALU_CYCLE_1)
	s_and_not1_b32 vcc_lo, exec_lo, s0
	s_cbranch_vccnz .LBB94_648
; %bb.647:
	global_load_u8 v0, v[0:1], off
	s_wait_loadcnt 0x0
	v_cvt_f32_ubyte0_e32 v0, v0
	s_delay_alu instid0(VALU_DEP_1) | instskip(NEXT) | instid1(VALU_DEP_1)
	v_bfe_u32 v1, v0, 16, 1
	v_add3_u32 v0, v0, v1, 0x7fff
	s_delay_alu instid0(VALU_DEP_1)
	v_lshrrev_b32_e32 v2, 16, v0
.LBB94_648:
	s_mov_b32 s1, -1
.LBB94_649:
	s_delay_alu instid0(SALU_CYCLE_1)
	s_and_not1_b32 vcc_lo, exec_lo, s1
	s_cbranch_vccnz .LBB94_657
; %bb.650:
	s_wait_xcnt 0x0
	v_mul_lo_u32 v0, v4, s2
	s_and_b32 s21, s8, 0xff
	s_wait_loadcnt 0x0
	v_lshlrev_b32_e32 v2, 16, v2
	s_cmp_lt_i32 s21, 11
	s_delay_alu instid0(VALU_DEP_1) | instskip(NEXT) | instid1(VALU_DEP_3)
	v_cmp_eq_f32_e64 s0, 0xff800000, v2
	v_ashrrev_i32_e32 v1, 31, v0
	s_delay_alu instid0(VALU_DEP_1)
	v_add_nc_u64_e32 v[0:1], s[4:5], v[0:1]
	s_cbranch_scc1 .LBB94_658
; %bb.651:
	s_and_b32 s22, 0xffff, s21
	s_delay_alu instid0(SALU_CYCLE_1)
	s_cmp_gt_i32 s22, 25
	s_cbranch_scc0 .LBB94_659
; %bb.652:
	s_cmp_gt_i32 s22, 28
	s_cbranch_scc0 .LBB94_660
; %bb.653:
	;; [unrolled: 3-line block ×4, first 2 shown]
	s_mov_b32 s24, 0
	s_mov_b32 s1, -1
	s_cmp_eq_u32 s22, 46
	s_mov_b32 s23, 0
	s_cbranch_scc0 .LBB94_663
; %bb.656:
	v_cndmask_b32_e64 v2, 0, 1.0, s0
	s_mov_b32 s23, -1
	s_mov_b32 s1, 0
	s_delay_alu instid0(VALU_DEP_1) | instskip(NEXT) | instid1(VALU_DEP_1)
	v_bfe_u32 v3, v2, 16, 1
	v_add3_u32 v2, v2, v3, 0x7fff
	s_delay_alu instid0(VALU_DEP_1)
	v_lshrrev_b32_e32 v2, 16, v2
	global_store_b32 v[0:1], v2, off
	s_branch .LBB94_663
.LBB94_657:
	s_mov_b32 s21, 0
	s_mov_b32 s1, s17
	s_branch .LBB94_774
.LBB94_658:
	s_mov_b32 s22, -1
	s_mov_b32 s23, 0
	s_mov_b32 s1, s17
	s_branch .LBB94_732
.LBB94_659:
	s_mov_b32 s24, -1
	s_mov_b32 s23, 0
	s_mov_b32 s1, s17
	s_branch .LBB94_690
.LBB94_660:
	s_mov_b32 s24, -1
	s_mov_b32 s23, 0
	s_mov_b32 s1, s17
	s_branch .LBB94_673
.LBB94_661:
	s_mov_b32 s24, -1
	s_mov_b32 s23, 0
	s_mov_b32 s1, s17
	s_branch .LBB94_669
.LBB94_662:
	s_mov_b32 s24, -1
	s_mov_b32 s23, 0
	s_mov_b32 s1, s17
.LBB94_663:
	s_and_b32 vcc_lo, exec_lo, s24
	s_cbranch_vccz .LBB94_668
; %bb.664:
	s_cmp_eq_u32 s22, 44
	s_mov_b32 s1, -1
	s_cbranch_scc0 .LBB94_668
; %bb.665:
	v_cndmask_b32_e64 v5, 0, 1.0, s0
	s_mov_b32 s23, exec_lo
	s_wait_xcnt 0x0
	s_delay_alu instid0(VALU_DEP_1) | instskip(NEXT) | instid1(VALU_DEP_1)
	v_dual_mov_b32 v3, 0xff :: v_dual_lshrrev_b32 v2, 23, v5
	v_cmpx_ne_u32_e32 0xff, v2
; %bb.666:
	v_and_b32_e32 v3, 0x400000, v5
	v_and_or_b32 v5, 0x3fffff, v5, v2
	s_delay_alu instid0(VALU_DEP_2) | instskip(NEXT) | instid1(VALU_DEP_2)
	v_cmp_ne_u32_e32 vcc_lo, 0, v3
	v_cmp_ne_u32_e64 s1, 0, v5
	s_and_b32 s1, vcc_lo, s1
	s_delay_alu instid0(SALU_CYCLE_1) | instskip(NEXT) | instid1(VALU_DEP_1)
	v_cndmask_b32_e64 v3, 0, 1, s1
	v_add_nc_u32_e32 v3, v2, v3
; %bb.667:
	s_or_b32 exec_lo, exec_lo, s23
	s_mov_b32 s23, -1
	s_mov_b32 s1, 0
	global_store_b8 v[0:1], v3, off
.LBB94_668:
	s_mov_b32 s24, 0
.LBB94_669:
	s_delay_alu instid0(SALU_CYCLE_1)
	s_and_b32 vcc_lo, exec_lo, s24
	s_cbranch_vccz .LBB94_672
; %bb.670:
	s_cmp_eq_u32 s22, 29
	s_mov_b32 s1, -1
	s_cbranch_scc0 .LBB94_672
; %bb.671:
	s_mov_b32 s1, 0
	s_wait_xcnt 0x0
	v_cndmask_b32_e64 v2, 0, 1, s0
	v_mov_b32_e32 v3, s1
	s_mov_b32 s23, -1
	s_mov_b32 s24, 0
	global_store_b64 v[0:1], v[2:3], off
	s_branch .LBB94_673
.LBB94_672:
	s_mov_b32 s24, 0
.LBB94_673:
	s_delay_alu instid0(SALU_CYCLE_1)
	s_and_b32 vcc_lo, exec_lo, s24
	s_cbranch_vccz .LBB94_689
; %bb.674:
	s_cmp_lt_i32 s22, 27
	s_mov_b32 s23, -1
	s_cbranch_scc1 .LBB94_680
; %bb.675:
	s_cmp_gt_i32 s22, 27
	s_cbranch_scc0 .LBB94_677
; %bb.676:
	s_wait_xcnt 0x0
	v_cndmask_b32_e64 v2, 0, 1, s0
	s_mov_b32 s23, 0
	global_store_b32 v[0:1], v2, off
.LBB94_677:
	s_and_not1_b32 vcc_lo, exec_lo, s23
	s_cbranch_vccnz .LBB94_679
; %bb.678:
	s_wait_xcnt 0x0
	v_cndmask_b32_e64 v2, 0, 1, s0
	global_store_b16 v[0:1], v2, off
.LBB94_679:
	s_mov_b32 s23, 0
.LBB94_680:
	s_delay_alu instid0(SALU_CYCLE_1)
	s_and_not1_b32 vcc_lo, exec_lo, s23
	s_cbranch_vccnz .LBB94_688
; %bb.681:
	s_wait_xcnt 0x0
	v_cndmask_b32_e64 v3, 0, 1.0, s0
	v_mov_b32_e32 v5, 0x80
	s_mov_b32 s23, exec_lo
	s_delay_alu instid0(VALU_DEP_2)
	v_cmpx_gt_u32_e32 0x43800000, v3
	s_cbranch_execz .LBB94_687
; %bb.682:
	s_mov_b32 s24, 0
	s_mov_b32 s25, exec_lo
                                        ; implicit-def: $vgpr2
	v_cmpx_lt_u32_e32 0x3bffffff, v3
	s_xor_b32 s25, exec_lo, s25
	s_cbranch_execz .LBB94_789
; %bb.683:
	v_bfe_u32 v2, v3, 20, 1
	s_mov_b32 s24, exec_lo
	s_delay_alu instid0(VALU_DEP_1) | instskip(NEXT) | instid1(VALU_DEP_1)
	v_add3_u32 v2, v3, v2, 0x487ffff
                                        ; implicit-def: $vgpr3
	v_lshrrev_b32_e32 v2, 20, v2
	s_and_not1_saveexec_b32 s25, s25
	s_cbranch_execnz .LBB94_790
.LBB94_684:
	s_or_b32 exec_lo, exec_lo, s25
	v_mov_b32_e32 v5, 0
	s_and_saveexec_b32 s25, s24
.LBB94_685:
	v_mov_b32_e32 v5, v2
.LBB94_686:
	s_or_b32 exec_lo, exec_lo, s25
.LBB94_687:
	s_delay_alu instid0(SALU_CYCLE_1)
	s_or_b32 exec_lo, exec_lo, s23
	global_store_b8 v[0:1], v5, off
.LBB94_688:
	s_mov_b32 s23, -1
.LBB94_689:
	s_mov_b32 s24, 0
.LBB94_690:
	s_delay_alu instid0(SALU_CYCLE_1)
	s_and_b32 vcc_lo, exec_lo, s24
	s_cbranch_vccz .LBB94_731
; %bb.691:
	s_cmp_gt_i32 s22, 22
	s_mov_b32 s24, -1
	s_cbranch_scc0 .LBB94_723
; %bb.692:
	s_cmp_lt_i32 s22, 24
	s_mov_b32 s23, -1
	s_cbranch_scc1 .LBB94_712
; %bb.693:
	s_cmp_gt_i32 s22, 24
	s_cbranch_scc0 .LBB94_701
; %bb.694:
	s_wait_xcnt 0x0
	v_cndmask_b32_e64 v3, 0, 1.0, s0
	v_mov_b32_e32 v5, 0x80
	s_mov_b32 s23, exec_lo
	s_delay_alu instid0(VALU_DEP_2)
	v_cmpx_gt_u32_e32 0x47800000, v3
	s_cbranch_execz .LBB94_700
; %bb.695:
	s_mov_b32 s24, 0
	s_mov_b32 s25, exec_lo
                                        ; implicit-def: $vgpr2
	v_cmpx_lt_u32_e32 0x37ffffff, v3
	s_xor_b32 s25, exec_lo, s25
	s_cbranch_execz .LBB94_792
; %bb.696:
	v_bfe_u32 v2, v3, 21, 1
	s_mov_b32 s24, exec_lo
	s_delay_alu instid0(VALU_DEP_1) | instskip(NEXT) | instid1(VALU_DEP_1)
	v_add3_u32 v2, v3, v2, 0x88fffff
                                        ; implicit-def: $vgpr3
	v_lshrrev_b32_e32 v2, 21, v2
	s_and_not1_saveexec_b32 s25, s25
	s_cbranch_execnz .LBB94_793
.LBB94_697:
	s_or_b32 exec_lo, exec_lo, s25
	v_mov_b32_e32 v5, 0
	s_and_saveexec_b32 s25, s24
.LBB94_698:
	v_mov_b32_e32 v5, v2
.LBB94_699:
	s_or_b32 exec_lo, exec_lo, s25
.LBB94_700:
	s_delay_alu instid0(SALU_CYCLE_1)
	s_or_b32 exec_lo, exec_lo, s23
	s_mov_b32 s23, 0
	global_store_b8 v[0:1], v5, off
.LBB94_701:
	s_and_b32 vcc_lo, exec_lo, s23
	s_cbranch_vccz .LBB94_711
; %bb.702:
	s_wait_xcnt 0x0
	v_cndmask_b32_e64 v3, 0, 1.0, s0
	s_mov_b32 s23, exec_lo
                                        ; implicit-def: $vgpr2
	s_delay_alu instid0(VALU_DEP_1)
	v_cmpx_gt_u32_e32 0x43f00000, v3
	s_xor_b32 s23, exec_lo, s23
	s_cbranch_execz .LBB94_708
; %bb.703:
	s_mov_b32 s24, exec_lo
                                        ; implicit-def: $vgpr2
	v_cmpx_lt_u32_e32 0x3c7fffff, v3
	s_xor_b32 s24, exec_lo, s24
; %bb.704:
	v_bfe_u32 v2, v3, 20, 1
	s_delay_alu instid0(VALU_DEP_1) | instskip(NEXT) | instid1(VALU_DEP_1)
	v_add3_u32 v2, v3, v2, 0x407ffff
	v_and_b32_e32 v3, 0xff00000, v2
	v_lshrrev_b32_e32 v2, 20, v2
	s_delay_alu instid0(VALU_DEP_2) | instskip(NEXT) | instid1(VALU_DEP_2)
	v_cmp_ne_u32_e32 vcc_lo, 0x7f00000, v3
                                        ; implicit-def: $vgpr3
	v_cndmask_b32_e32 v2, 0x7e, v2, vcc_lo
; %bb.705:
	s_and_not1_saveexec_b32 s24, s24
; %bb.706:
	v_add_f32_e32 v2, 0x46800000, v3
; %bb.707:
	s_or_b32 exec_lo, exec_lo, s24
                                        ; implicit-def: $vgpr3
.LBB94_708:
	s_and_not1_saveexec_b32 s23, s23
; %bb.709:
	v_mov_b32_e32 v2, 0x7f
	v_cmp_lt_u32_e32 vcc_lo, 0x7f800000, v3
	s_delay_alu instid0(VALU_DEP_2)
	v_cndmask_b32_e32 v2, 0x7e, v2, vcc_lo
; %bb.710:
	s_or_b32 exec_lo, exec_lo, s23
	global_store_b8 v[0:1], v2, off
.LBB94_711:
	s_mov_b32 s23, 0
.LBB94_712:
	s_delay_alu instid0(SALU_CYCLE_1)
	s_and_not1_b32 vcc_lo, exec_lo, s23
	s_cbranch_vccnz .LBB94_722
; %bb.713:
	s_wait_xcnt 0x0
	v_cndmask_b32_e64 v3, 0, 1.0, s0
	s_mov_b32 s23, exec_lo
                                        ; implicit-def: $vgpr2
	s_delay_alu instid0(VALU_DEP_1)
	v_cmpx_gt_u32_e32 0x47800000, v3
	s_xor_b32 s23, exec_lo, s23
	s_cbranch_execz .LBB94_719
; %bb.714:
	s_mov_b32 s24, exec_lo
                                        ; implicit-def: $vgpr2
	v_cmpx_lt_u32_e32 0x387fffff, v3
	s_xor_b32 s24, exec_lo, s24
; %bb.715:
	v_bfe_u32 v2, v3, 21, 1
	s_delay_alu instid0(VALU_DEP_1) | instskip(NEXT) | instid1(VALU_DEP_1)
	v_add3_u32 v2, v3, v2, 0x80fffff
                                        ; implicit-def: $vgpr3
	v_lshrrev_b32_e32 v2, 21, v2
; %bb.716:
	s_and_not1_saveexec_b32 s24, s24
; %bb.717:
	v_add_f32_e32 v2, 0x43000000, v3
; %bb.718:
	s_or_b32 exec_lo, exec_lo, s24
                                        ; implicit-def: $vgpr3
.LBB94_719:
	s_and_not1_saveexec_b32 s23, s23
; %bb.720:
	v_mov_b32_e32 v2, 0x7f
	v_cmp_lt_u32_e32 vcc_lo, 0x7f800000, v3
	s_delay_alu instid0(VALU_DEP_2)
	v_cndmask_b32_e32 v2, 0x7c, v2, vcc_lo
; %bb.721:
	s_or_b32 exec_lo, exec_lo, s23
	global_store_b8 v[0:1], v2, off
.LBB94_722:
	s_mov_b32 s24, 0
	s_mov_b32 s23, -1
.LBB94_723:
	s_and_not1_b32 vcc_lo, exec_lo, s24
	s_cbranch_vccnz .LBB94_731
; %bb.724:
	s_cmp_gt_i32 s22, 14
	s_mov_b32 s24, -1
	s_cbranch_scc0 .LBB94_728
; %bb.725:
	s_cmp_eq_u32 s22, 15
	s_mov_b32 s1, -1
	s_cbranch_scc0 .LBB94_727
; %bb.726:
	s_wait_xcnt 0x0
	v_cndmask_b32_e64 v2, 0, 1.0, s0
	s_mov_b32 s23, -1
	s_mov_b32 s1, 0
	s_delay_alu instid0(VALU_DEP_1) | instskip(NEXT) | instid1(VALU_DEP_1)
	v_bfe_u32 v3, v2, 16, 1
	v_add3_u32 v2, v2, v3, 0x7fff
	global_store_d16_hi_b16 v[0:1], v2, off
.LBB94_727:
	s_mov_b32 s24, 0
.LBB94_728:
	s_delay_alu instid0(SALU_CYCLE_1)
	s_and_b32 vcc_lo, exec_lo, s24
	s_cbranch_vccz .LBB94_731
; %bb.729:
	s_cmp_eq_u32 s22, 11
	s_mov_b32 s1, -1
	s_cbranch_scc0 .LBB94_731
; %bb.730:
	s_wait_xcnt 0x0
	v_cndmask_b32_e64 v2, 0, 1, s0
	s_mov_b32 s23, -1
	s_mov_b32 s1, 0
	global_store_b8 v[0:1], v2, off
.LBB94_731:
	s_mov_b32 s22, 0
.LBB94_732:
	s_delay_alu instid0(SALU_CYCLE_1)
	s_and_b32 vcc_lo, exec_lo, s22
	s_cbranch_vccz .LBB94_771
; %bb.733:
	s_and_b32 s21, 0xffff, s21
	s_mov_b32 s22, -1
	s_cmp_lt_i32 s21, 5
	s_cbranch_scc1 .LBB94_754
; %bb.734:
	s_cmp_lt_i32 s21, 8
	s_cbranch_scc1 .LBB94_744
; %bb.735:
	;; [unrolled: 3-line block ×3, first 2 shown]
	s_cmp_gt_i32 s21, 9
	s_cbranch_scc0 .LBB94_738
; %bb.737:
	s_wait_xcnt 0x0
	v_cndmask_b32_e64 v2, 0, 1, s0
	v_mov_b32_e32 v8, 0
	s_mov_b32 s22, 0
	s_delay_alu instid0(VALU_DEP_2) | instskip(NEXT) | instid1(VALU_DEP_2)
	v_cvt_f64_u32_e32 v[6:7], v2
	v_mov_b32_e32 v9, v8
	global_store_b128 v[0:1], v[6:9], off
.LBB94_738:
	s_and_not1_b32 vcc_lo, exec_lo, s22
	s_cbranch_vccnz .LBB94_740
; %bb.739:
	s_wait_xcnt 0x0
	v_cndmask_b32_e64 v2, 0, 1.0, s0
	v_mov_b32_e32 v3, 0
	global_store_b64 v[0:1], v[2:3], off
.LBB94_740:
	s_mov_b32 s22, 0
.LBB94_741:
	s_delay_alu instid0(SALU_CYCLE_1)
	s_and_not1_b32 vcc_lo, exec_lo, s22
	s_cbranch_vccnz .LBB94_743
; %bb.742:
	s_wait_xcnt 0x0
	v_cndmask_b32_e64 v2, 0, 1.0, s0
	s_delay_alu instid0(VALU_DEP_1) | instskip(NEXT) | instid1(VALU_DEP_1)
	v_cvt_f16_f32_e32 v2, v2
	v_and_b32_e32 v2, 0xffff, v2
	global_store_b32 v[0:1], v2, off
.LBB94_743:
	s_mov_b32 s22, 0
.LBB94_744:
	s_delay_alu instid0(SALU_CYCLE_1)
	s_and_not1_b32 vcc_lo, exec_lo, s22
	s_cbranch_vccnz .LBB94_753
; %bb.745:
	s_cmp_lt_i32 s21, 6
	s_mov_b32 s22, -1
	s_cbranch_scc1 .LBB94_751
; %bb.746:
	s_cmp_gt_i32 s21, 6
	s_cbranch_scc0 .LBB94_748
; %bb.747:
	s_wait_xcnt 0x0
	v_cndmask_b32_e64 v2, 0, 1, s0
	s_mov_b32 s22, 0
	s_delay_alu instid0(VALU_DEP_1)
	v_cvt_f64_u32_e32 v[2:3], v2
	global_store_b64 v[0:1], v[2:3], off
.LBB94_748:
	s_and_not1_b32 vcc_lo, exec_lo, s22
	s_cbranch_vccnz .LBB94_750
; %bb.749:
	s_wait_xcnt 0x0
	v_cndmask_b32_e64 v2, 0, 1.0, s0
	global_store_b32 v[0:1], v2, off
.LBB94_750:
	s_mov_b32 s22, 0
.LBB94_751:
	s_delay_alu instid0(SALU_CYCLE_1)
	s_and_not1_b32 vcc_lo, exec_lo, s22
	s_cbranch_vccnz .LBB94_753
; %bb.752:
	s_wait_xcnt 0x0
	v_cndmask_b32_e64 v2, 0, 1.0, s0
	s_delay_alu instid0(VALU_DEP_1)
	v_cvt_f16_f32_e32 v2, v2
	global_store_b16 v[0:1], v2, off
.LBB94_753:
	s_mov_b32 s22, 0
.LBB94_754:
	s_delay_alu instid0(SALU_CYCLE_1)
	s_and_not1_b32 vcc_lo, exec_lo, s22
	s_cbranch_vccnz .LBB94_770
; %bb.755:
	s_cmp_lt_i32 s21, 2
	s_mov_b32 s22, -1
	s_cbranch_scc1 .LBB94_765
; %bb.756:
	s_cmp_lt_i32 s21, 3
	s_cbranch_scc1 .LBB94_762
; %bb.757:
	s_cmp_gt_i32 s21, 3
	s_cbranch_scc0 .LBB94_759
; %bb.758:
	s_mov_b32 s22, 0
	s_wait_xcnt 0x0
	v_cndmask_b32_e64 v2, 0, 1, s0
	v_mov_b32_e32 v3, s22
	global_store_b64 v[0:1], v[2:3], off
.LBB94_759:
	s_and_not1_b32 vcc_lo, exec_lo, s22
	s_cbranch_vccnz .LBB94_761
; %bb.760:
	s_wait_xcnt 0x0
	v_cndmask_b32_e64 v2, 0, 1, s0
	global_store_b32 v[0:1], v2, off
.LBB94_761:
	s_mov_b32 s22, 0
.LBB94_762:
	s_delay_alu instid0(SALU_CYCLE_1)
	s_and_not1_b32 vcc_lo, exec_lo, s22
	s_cbranch_vccnz .LBB94_764
; %bb.763:
	s_wait_xcnt 0x0
	v_cndmask_b32_e64 v2, 0, 1, s0
	global_store_b16 v[0:1], v2, off
.LBB94_764:
	s_mov_b32 s22, 0
.LBB94_765:
	s_delay_alu instid0(SALU_CYCLE_1)
	s_and_not1_b32 vcc_lo, exec_lo, s22
	s_cbranch_vccnz .LBB94_770
; %bb.766:
	s_wait_xcnt 0x0
	v_cndmask_b32_e64 v2, 0, 1, s0
	s_cmp_gt_i32 s21, 0
	s_mov_b32 s0, -1
	s_cbranch_scc0 .LBB94_768
; %bb.767:
	s_mov_b32 s0, 0
	global_store_b8 v[0:1], v2, off
.LBB94_768:
	s_and_not1_b32 vcc_lo, exec_lo, s0
	s_cbranch_vccnz .LBB94_770
; %bb.769:
	global_store_b8 v[0:1], v2, off
.LBB94_770:
	s_mov_b32 s23, -1
.LBB94_771:
	s_delay_alu instid0(SALU_CYCLE_1)
	s_and_not1_b32 vcc_lo, exec_lo, s23
	s_cbranch_vccnz .LBB94_773
; %bb.772:
	v_add_nc_u32_e32 v4, 0x80, v4
	s_mov_b32 s21, -1
	s_branch .LBB94_775
.LBB94_773:
	s_mov_b32 s21, 0
.LBB94_774:
                                        ; implicit-def: $vgpr4
.LBB94_775:
	s_and_not1_b32 s0, s17, exec_lo
	s_and_b32 s1, s1, exec_lo
	s_and_not1_b32 s22, s16, exec_lo
	s_and_b32 s20, s20, exec_lo
	s_or_b32 s1, s0, s1
	s_or_b32 s0, s22, s20
	s_or_not1_b32 s20, s21, exec_lo
.LBB94_776:
	s_wait_xcnt 0x0
	s_or_b32 exec_lo, exec_lo, s19
	s_mov_b32 s21, 0
	s_mov_b32 s22, 0
	;; [unrolled: 1-line block ×3, first 2 shown]
                                        ; implicit-def: $vgpr0_vgpr1
                                        ; implicit-def: $vgpr2
	s_and_saveexec_b32 s19, s20
	s_cbranch_execz .LBB94_861
; %bb.777:
	v_cmp_gt_i32_e32 vcc_lo, s13, v4
	s_mov_b32 s20, 0
	s_mov_b32 s21, s0
	;; [unrolled: 1-line block ×3, first 2 shown]
                                        ; implicit-def: $vgpr0_vgpr1
                                        ; implicit-def: $vgpr2
	s_and_saveexec_b32 s13, vcc_lo
	s_cbranch_execz .LBB94_860
; %bb.778:
	v_mul_lo_u32 v0, v4, s3
	s_and_b32 s20, 0xffff, s10
	s_delay_alu instid0(SALU_CYCLE_1) | instskip(NEXT) | instid1(VALU_DEP_1)
	s_cmp_lt_i32 s20, 11
	v_ashrrev_i32_e32 v1, 31, v0
	s_delay_alu instid0(VALU_DEP_1)
	v_add_nc_u64_e32 v[0:1], s[6:7], v[0:1]
	s_cbranch_scc1 .LBB94_785
; %bb.779:
	s_cmp_gt_i32 s20, 25
	s_cbranch_scc0 .LBB94_786
; %bb.780:
	s_cmp_gt_i32 s20, 28
	s_cbranch_scc0 .LBB94_787
	;; [unrolled: 3-line block ×4, first 2 shown]
; %bb.783:
	s_cmp_eq_u32 s20, 46
	s_cbranch_scc0 .LBB94_794
; %bb.784:
	s_wait_loadcnt 0x0
	global_load_b32 v2, v[0:1], off
	s_mov_b32 s21, 0
	s_mov_b32 s23, -1
	s_branch .LBB94_796
.LBB94_785:
	s_mov_b32 s20, -1
	s_mov_b32 s21, s0
                                        ; implicit-def: $vgpr2
	s_branch .LBB94_859
.LBB94_786:
	s_mov_b32 s24, -1
	s_mov_b32 s21, s0
                                        ; implicit-def: $vgpr2
	s_branch .LBB94_825
.LBB94_787:
	s_mov_b32 s24, -1
	s_mov_b32 s21, s0
                                        ; implicit-def: $vgpr2
	s_branch .LBB94_806
.LBB94_788:
	s_mov_b32 s24, -1
	s_mov_b32 s21, s0
                                        ; implicit-def: $vgpr2
	s_branch .LBB94_801
.LBB94_789:
	s_and_not1_saveexec_b32 s25, s25
	s_cbranch_execz .LBB94_684
.LBB94_790:
	v_add_f32_e32 v2, 0x46000000, v3
	s_and_not1_b32 s24, s24, exec_lo
	s_delay_alu instid0(VALU_DEP_1) | instskip(NEXT) | instid1(VALU_DEP_1)
	v_and_b32_e32 v2, 0xff, v2
	v_cmp_ne_u32_e32 vcc_lo, 0, v2
	s_and_b32 s26, vcc_lo, exec_lo
	s_delay_alu instid0(SALU_CYCLE_1)
	s_or_b32 s24, s24, s26
	s_or_b32 exec_lo, exec_lo, s25
	v_mov_b32_e32 v5, 0
	s_and_saveexec_b32 s25, s24
	s_cbranch_execnz .LBB94_685
	s_branch .LBB94_686
.LBB94_791:
	s_mov_b32 s24, -1
	s_mov_b32 s21, s0
	s_branch .LBB94_795
.LBB94_792:
	s_and_not1_saveexec_b32 s25, s25
	s_cbranch_execz .LBB94_697
.LBB94_793:
	v_add_f32_e32 v2, 0x42800000, v3
	s_and_not1_b32 s24, s24, exec_lo
	s_delay_alu instid0(VALU_DEP_1) | instskip(NEXT) | instid1(VALU_DEP_1)
	v_and_b32_e32 v2, 0xff, v2
	v_cmp_ne_u32_e32 vcc_lo, 0, v2
	s_and_b32 s26, vcc_lo, exec_lo
	s_delay_alu instid0(SALU_CYCLE_1)
	s_or_b32 s24, s24, s26
	s_or_b32 exec_lo, exec_lo, s25
	v_mov_b32_e32 v5, 0
	s_and_saveexec_b32 s25, s24
	s_cbranch_execnz .LBB94_698
	s_branch .LBB94_699
.LBB94_794:
	s_mov_b32 s21, -1
.LBB94_795:
                                        ; implicit-def: $vgpr2
.LBB94_796:
	s_and_b32 vcc_lo, exec_lo, s24
	s_cbranch_vccz .LBB94_800
; %bb.797:
	s_cmp_eq_u32 s20, 44
	s_cbranch_scc0 .LBB94_799
; %bb.798:
	s_wait_loadcnt 0x0
	global_load_u8 v2, v[0:1], off
	s_mov_b32 s21, 0
	s_mov_b32 s23, -1
	s_wait_loadcnt 0x0
	v_lshlrev_b32_e32 v3, 23, v2
	v_cmp_ne_u32_e32 vcc_lo, 0xff, v2
	s_delay_alu instid0(VALU_DEP_2) | instskip(SKIP_1) | instid1(VALU_DEP_2)
	v_cndmask_b32_e32 v3, 0x7f800001, v3, vcc_lo
	v_cmp_ne_u32_e32 vcc_lo, 0, v2
	v_cndmask_b32_e32 v2, 0x400000, v3, vcc_lo
	s_delay_alu instid0(VALU_DEP_1) | instskip(NEXT) | instid1(VALU_DEP_1)
	v_add_nc_u32_e32 v3, 0x7fff, v2
	v_lshrrev_b32_e32 v3, 16, v3
	v_cmp_o_f32_e32 vcc_lo, v2, v2
	s_delay_alu instid0(VALU_DEP_2)
	v_cndmask_b32_e32 v2, 0x7fc0, v3, vcc_lo
	s_branch .LBB94_800
.LBB94_799:
	s_mov_b32 s21, -1
                                        ; implicit-def: $vgpr2
.LBB94_800:
	s_mov_b32 s24, 0
.LBB94_801:
	s_delay_alu instid0(SALU_CYCLE_1)
	s_and_b32 vcc_lo, exec_lo, s24
	s_cbranch_vccz .LBB94_805
; %bb.802:
	s_cmp_eq_u32 s20, 29
	s_cbranch_scc0 .LBB94_804
; %bb.803:
	s_wait_loadcnt 0x0
	global_load_b64 v[2:3], v[0:1], off
	s_mov_b32 s21, 0
	s_mov_b32 s23, -1
	s_mov_b32 s24, 0
	s_wait_loadcnt 0x0
	v_clz_i32_u32_e32 v5, v3
	s_delay_alu instid0(VALU_DEP_1) | instskip(NEXT) | instid1(VALU_DEP_1)
	v_min_u32_e32 v5, 32, v5
	v_lshlrev_b64_e32 v[2:3], v5, v[2:3]
	s_delay_alu instid0(VALU_DEP_1) | instskip(NEXT) | instid1(VALU_DEP_1)
	v_min_u32_e32 v2, 1, v2
	v_dual_sub_nc_u32 v3, 32, v5 :: v_dual_bitop2_b32 v2, v3, v2 bitop3:0x54
	s_delay_alu instid0(VALU_DEP_1) | instskip(NEXT) | instid1(VALU_DEP_1)
	v_cvt_f32_u32_e32 v2, v2
	v_ldexp_f32 v2, v2, v3
	s_delay_alu instid0(VALU_DEP_1) | instskip(NEXT) | instid1(VALU_DEP_1)
	v_bfe_u32 v3, v2, 16, 1
	v_add3_u32 v2, v2, v3, 0x7fff
	s_delay_alu instid0(VALU_DEP_1)
	v_lshrrev_b32_e32 v2, 16, v2
	s_branch .LBB94_806
.LBB94_804:
	s_mov_b32 s21, -1
                                        ; implicit-def: $vgpr2
.LBB94_805:
	s_mov_b32 s24, 0
.LBB94_806:
	s_delay_alu instid0(SALU_CYCLE_1)
	s_and_b32 vcc_lo, exec_lo, s24
	s_cbranch_vccz .LBB94_824
; %bb.807:
	s_cmp_lt_i32 s20, 27
	s_cbranch_scc1 .LBB94_810
; %bb.808:
	s_cmp_gt_i32 s20, 27
	s_cbranch_scc0 .LBB94_811
; %bb.809:
	s_wait_loadcnt 0x0
	global_load_b32 v2, v[0:1], off
	s_mov_b32 s23, 0
	s_wait_loadcnt 0x0
	v_cvt_f32_u32_e32 v2, v2
	s_delay_alu instid0(VALU_DEP_1) | instskip(NEXT) | instid1(VALU_DEP_1)
	v_bfe_u32 v3, v2, 16, 1
	v_add3_u32 v2, v2, v3, 0x7fff
	s_delay_alu instid0(VALU_DEP_1)
	v_lshrrev_b32_e32 v2, 16, v2
	s_branch .LBB94_812
.LBB94_810:
	s_mov_b32 s23, -1
                                        ; implicit-def: $vgpr2
	s_branch .LBB94_815
.LBB94_811:
	s_mov_b32 s23, -1
                                        ; implicit-def: $vgpr2
.LBB94_812:
	s_delay_alu instid0(SALU_CYCLE_1)
	s_and_not1_b32 vcc_lo, exec_lo, s23
	s_cbranch_vccnz .LBB94_814
; %bb.813:
	s_wait_loadcnt 0x0
	global_load_u16 v2, v[0:1], off
	s_wait_loadcnt 0x0
	v_cvt_f32_u32_e32 v2, v2
	s_delay_alu instid0(VALU_DEP_1) | instskip(NEXT) | instid1(VALU_DEP_1)
	v_bfe_u32 v3, v2, 16, 1
	v_add3_u32 v2, v2, v3, 0x7fff
	s_delay_alu instid0(VALU_DEP_1)
	v_lshrrev_b32_e32 v2, 16, v2
.LBB94_814:
	s_mov_b32 s23, 0
.LBB94_815:
	s_delay_alu instid0(SALU_CYCLE_1)
	s_and_not1_b32 vcc_lo, exec_lo, s23
	s_cbranch_vccnz .LBB94_823
; %bb.816:
	s_wait_loadcnt 0x0
	global_load_u8 v2, v[0:1], off
	s_mov_b32 s23, 0
	s_mov_b32 s24, exec_lo
	s_wait_loadcnt 0x0
	v_cmpx_lt_i16_e32 0x7f, v2
	s_xor_b32 s24, exec_lo, s24
	s_cbranch_execz .LBB94_837
; %bb.817:
	s_mov_b32 s23, -1
	s_mov_b32 s25, exec_lo
	v_cmpx_eq_u16_e32 0x80, v2
; %bb.818:
	s_xor_b32 s23, exec_lo, -1
; %bb.819:
	s_or_b32 exec_lo, exec_lo, s25
	s_delay_alu instid0(SALU_CYCLE_1)
	s_and_b32 s23, s23, exec_lo
	s_or_saveexec_b32 s24, s24
	v_mov_b32_e32 v3, 0x7f800001
	s_xor_b32 exec_lo, exec_lo, s24
	s_cbranch_execnz .LBB94_838
.LBB94_820:
	s_or_b32 exec_lo, exec_lo, s24
	s_and_saveexec_b32 s24, s23
	s_cbranch_execz .LBB94_822
.LBB94_821:
	v_and_b32_e32 v3, 0xffff, v2
	s_delay_alu instid0(VALU_DEP_1) | instskip(SKIP_1) | instid1(VALU_DEP_2)
	v_and_b32_e32 v5, 7, v3
	v_bfe_u32 v8, v3, 3, 4
	v_clz_i32_u32_e32 v6, v5
	s_delay_alu instid0(VALU_DEP_2) | instskip(NEXT) | instid1(VALU_DEP_2)
	v_cmp_eq_u32_e32 vcc_lo, 0, v8
	v_min_u32_e32 v6, 32, v6
	s_delay_alu instid0(VALU_DEP_1) | instskip(NEXT) | instid1(VALU_DEP_1)
	v_subrev_nc_u32_e32 v7, 28, v6
	v_dual_lshlrev_b32 v3, v7, v3 :: v_dual_sub_nc_u32 v6, 29, v6
	s_delay_alu instid0(VALU_DEP_1) | instskip(NEXT) | instid1(VALU_DEP_1)
	v_dual_lshlrev_b32 v2, 24, v2 :: v_dual_bitop2_b32 v3, 7, v3 bitop3:0x40
	v_dual_cndmask_b32 v3, v5, v3 :: v_dual_cndmask_b32 v6, v8, v6
	s_delay_alu instid0(VALU_DEP_2) | instskip(NEXT) | instid1(VALU_DEP_2)
	v_and_b32_e32 v2, 0x80000000, v2
	v_lshlrev_b32_e32 v3, 20, v3
	s_delay_alu instid0(VALU_DEP_3) | instskip(NEXT) | instid1(VALU_DEP_1)
	v_lshl_add_u32 v5, v6, 23, 0x3b800000
	v_or3_b32 v3, v2, v5, v3
.LBB94_822:
	s_or_b32 exec_lo, exec_lo, s24
	s_delay_alu instid0(VALU_DEP_1) | instskip(SKIP_1) | instid1(VALU_DEP_2)
	v_bfe_u32 v2, v3, 16, 1
	v_cmp_o_f32_e32 vcc_lo, v3, v3
	v_add3_u32 v2, v3, v2, 0x7fff
	s_delay_alu instid0(VALU_DEP_1) | instskip(NEXT) | instid1(VALU_DEP_1)
	v_lshrrev_b32_e32 v2, 16, v2
	v_cndmask_b32_e32 v2, 0x7fc0, v2, vcc_lo
.LBB94_823:
	s_mov_b32 s23, -1
.LBB94_824:
	s_mov_b32 s24, 0
.LBB94_825:
	s_delay_alu instid0(SALU_CYCLE_1)
	s_and_b32 vcc_lo, exec_lo, s24
	s_cbranch_vccz .LBB94_858
; %bb.826:
	s_cmp_gt_i32 s20, 22
	s_cbranch_scc0 .LBB94_836
; %bb.827:
	s_cmp_lt_i32 s20, 24
	s_cbranch_scc1 .LBB94_839
; %bb.828:
	s_cmp_gt_i32 s20, 24
	s_cbranch_scc0 .LBB94_840
; %bb.829:
	s_wait_loadcnt 0x0
	global_load_u8 v2, v[0:1], off
	s_mov_b32 s23, exec_lo
	s_wait_loadcnt 0x0
	v_cmpx_lt_i16_e32 0x7f, v2
	s_xor_b32 s23, exec_lo, s23
	s_cbranch_execz .LBB94_852
; %bb.830:
	s_mov_b32 s22, -1
	s_mov_b32 s24, exec_lo
	v_cmpx_eq_u16_e32 0x80, v2
; %bb.831:
	s_xor_b32 s22, exec_lo, -1
; %bb.832:
	s_or_b32 exec_lo, exec_lo, s24
	s_delay_alu instid0(SALU_CYCLE_1)
	s_and_b32 s22, s22, exec_lo
	s_or_saveexec_b32 s23, s23
	v_mov_b32_e32 v3, 0x7f800001
	s_xor_b32 exec_lo, exec_lo, s23
	s_cbranch_execnz .LBB94_853
.LBB94_833:
	s_or_b32 exec_lo, exec_lo, s23
	s_and_saveexec_b32 s23, s22
	s_cbranch_execz .LBB94_835
.LBB94_834:
	v_and_b32_e32 v3, 0xffff, v2
	s_delay_alu instid0(VALU_DEP_1) | instskip(SKIP_1) | instid1(VALU_DEP_2)
	v_and_b32_e32 v5, 3, v3
	v_bfe_u32 v8, v3, 2, 5
	v_clz_i32_u32_e32 v6, v5
	s_delay_alu instid0(VALU_DEP_2) | instskip(NEXT) | instid1(VALU_DEP_2)
	v_cmp_eq_u32_e32 vcc_lo, 0, v8
	v_min_u32_e32 v6, 32, v6
	s_delay_alu instid0(VALU_DEP_1) | instskip(NEXT) | instid1(VALU_DEP_1)
	v_subrev_nc_u32_e32 v7, 29, v6
	v_dual_lshlrev_b32 v3, v7, v3 :: v_dual_sub_nc_u32 v6, 30, v6
	s_delay_alu instid0(VALU_DEP_1) | instskip(NEXT) | instid1(VALU_DEP_1)
	v_dual_lshlrev_b32 v2, 24, v2 :: v_dual_bitop2_b32 v3, 3, v3 bitop3:0x40
	v_dual_cndmask_b32 v3, v5, v3 :: v_dual_cndmask_b32 v6, v8, v6
	s_delay_alu instid0(VALU_DEP_2) | instskip(NEXT) | instid1(VALU_DEP_2)
	v_and_b32_e32 v2, 0x80000000, v2
	v_lshlrev_b32_e32 v3, 21, v3
	s_delay_alu instid0(VALU_DEP_3) | instskip(NEXT) | instid1(VALU_DEP_1)
	v_lshl_add_u32 v5, v6, 23, 0x37800000
	v_or3_b32 v3, v2, v5, v3
.LBB94_835:
	s_or_b32 exec_lo, exec_lo, s23
	s_delay_alu instid0(VALU_DEP_1) | instskip(SKIP_2) | instid1(VALU_DEP_2)
	v_bfe_u32 v2, v3, 16, 1
	v_cmp_o_f32_e32 vcc_lo, v3, v3
	s_mov_b32 s22, 0
	v_add3_u32 v2, v3, v2, 0x7fff
	s_delay_alu instid0(VALU_DEP_1) | instskip(NEXT) | instid1(VALU_DEP_1)
	v_lshrrev_b32_e32 v2, 16, v2
	v_cndmask_b32_e32 v2, 0x7fc0, v2, vcc_lo
	s_branch .LBB94_841
.LBB94_836:
	s_mov_b32 s22, -1
                                        ; implicit-def: $vgpr2
	s_branch .LBB94_847
.LBB94_837:
	s_or_saveexec_b32 s24, s24
	v_mov_b32_e32 v3, 0x7f800001
	s_xor_b32 exec_lo, exec_lo, s24
	s_cbranch_execz .LBB94_820
.LBB94_838:
	v_cmp_ne_u16_e32 vcc_lo, 0, v2
	v_mov_b32_e32 v3, 0
	s_and_not1_b32 s23, s23, exec_lo
	s_and_b32 s25, vcc_lo, exec_lo
	s_delay_alu instid0(SALU_CYCLE_1)
	s_or_b32 s23, s23, s25
	s_or_b32 exec_lo, exec_lo, s24
	s_and_saveexec_b32 s24, s23
	s_cbranch_execnz .LBB94_821
	s_branch .LBB94_822
.LBB94_839:
	s_mov_b32 s22, -1
                                        ; implicit-def: $vgpr2
	s_branch .LBB94_844
.LBB94_840:
	s_mov_b32 s22, -1
                                        ; implicit-def: $vgpr2
.LBB94_841:
	s_delay_alu instid0(SALU_CYCLE_1)
	s_and_b32 vcc_lo, exec_lo, s22
	s_cbranch_vccz .LBB94_843
; %bb.842:
	s_wait_loadcnt 0x0
	global_load_u8 v2, v[0:1], off
	s_wait_loadcnt 0x0
	v_lshlrev_b32_e32 v2, 24, v2
	s_delay_alu instid0(VALU_DEP_1) | instskip(NEXT) | instid1(VALU_DEP_1)
	v_and_b32_e32 v3, 0x7f000000, v2
	v_clz_i32_u32_e32 v5, v3
	v_add_nc_u32_e32 v7, 0x1000000, v3
	v_cmp_ne_u32_e32 vcc_lo, 0, v3
	s_delay_alu instid0(VALU_DEP_3) | instskip(NEXT) | instid1(VALU_DEP_1)
	v_min_u32_e32 v5, 32, v5
	v_sub_nc_u32_e64 v5, v5, 4 clamp
	s_delay_alu instid0(VALU_DEP_1) | instskip(NEXT) | instid1(VALU_DEP_1)
	v_dual_lshlrev_b32 v6, v5, v3 :: v_dual_lshlrev_b32 v5, 23, v5
	v_lshrrev_b32_e32 v6, 4, v6
	s_delay_alu instid0(VALU_DEP_1) | instskip(NEXT) | instid1(VALU_DEP_1)
	v_dual_sub_nc_u32 v5, v6, v5 :: v_dual_ashrrev_i32 v6, 8, v7
	v_add_nc_u32_e32 v5, 0x3c000000, v5
	s_delay_alu instid0(VALU_DEP_1) | instskip(NEXT) | instid1(VALU_DEP_1)
	v_and_or_b32 v5, 0x7f800000, v6, v5
	v_cndmask_b32_e32 v3, 0, v5, vcc_lo
	s_delay_alu instid0(VALU_DEP_1) | instskip(SKIP_1) | instid1(VALU_DEP_2)
	v_and_or_b32 v2, 0x80000000, v2, v3
	v_bfe_u32 v3, v3, 16, 1
	v_cmp_o_f32_e32 vcc_lo, v2, v2
	s_delay_alu instid0(VALU_DEP_2) | instskip(NEXT) | instid1(VALU_DEP_1)
	v_add3_u32 v3, v2, v3, 0x7fff
	v_lshrrev_b32_e32 v3, 16, v3
	s_delay_alu instid0(VALU_DEP_1)
	v_cndmask_b32_e32 v2, 0x7fc0, v3, vcc_lo
.LBB94_843:
	s_mov_b32 s22, 0
.LBB94_844:
	s_delay_alu instid0(SALU_CYCLE_1)
	s_and_not1_b32 vcc_lo, exec_lo, s22
	s_cbranch_vccnz .LBB94_846
; %bb.845:
	s_wait_loadcnt 0x0
	global_load_u8 v2, v[0:1], off
	s_wait_loadcnt 0x0
	v_lshlrev_b32_e32 v3, 25, v2
	v_lshlrev_b16 v2, 8, v2
	s_delay_alu instid0(VALU_DEP_2) | instskip(NEXT) | instid1(VALU_DEP_2)
	v_cmp_gt_u32_e32 vcc_lo, 0x8000000, v3
	v_and_or_b32 v6, 0x7f00, v2, 0.5
	v_lshrrev_b32_e32 v5, 4, v3
	v_bfe_i32 v2, v2, 0, 16
	s_delay_alu instid0(VALU_DEP_3) | instskip(NEXT) | instid1(VALU_DEP_3)
	v_add_f32_e32 v6, -0.5, v6
	v_or_b32_e32 v5, 0x70000000, v5
	s_delay_alu instid0(VALU_DEP_1) | instskip(NEXT) | instid1(VALU_DEP_1)
	v_mul_f32_e32 v5, 0x7800000, v5
	v_cndmask_b32_e32 v3, v5, v6, vcc_lo
	s_delay_alu instid0(VALU_DEP_1) | instskip(SKIP_1) | instid1(VALU_DEP_2)
	v_and_or_b32 v2, 0x80000000, v2, v3
	v_bfe_u32 v3, v3, 16, 1
	v_cmp_o_f32_e32 vcc_lo, v2, v2
	s_delay_alu instid0(VALU_DEP_2) | instskip(NEXT) | instid1(VALU_DEP_1)
	v_add3_u32 v3, v2, v3, 0x7fff
	v_lshrrev_b32_e32 v3, 16, v3
	s_delay_alu instid0(VALU_DEP_1)
	v_cndmask_b32_e32 v2, 0x7fc0, v3, vcc_lo
.LBB94_846:
	s_mov_b32 s22, 0
	s_mov_b32 s23, -1
.LBB94_847:
	s_and_not1_b32 vcc_lo, exec_lo, s22
	s_mov_b32 s22, 0
	s_cbranch_vccnz .LBB94_858
; %bb.848:
	s_cmp_gt_i32 s20, 14
	s_cbranch_scc0 .LBB94_851
; %bb.849:
	s_cmp_eq_u32 s20, 15
	s_cbranch_scc0 .LBB94_854
; %bb.850:
	s_wait_loadcnt 0x0
	global_load_u16 v2, v[0:1], off
	s_mov_b32 s21, 0
	s_mov_b32 s23, -1
	s_branch .LBB94_856
.LBB94_851:
	s_mov_b32 s22, -1
	s_branch .LBB94_855
.LBB94_852:
	s_or_saveexec_b32 s23, s23
	v_mov_b32_e32 v3, 0x7f800001
	s_xor_b32 exec_lo, exec_lo, s23
	s_cbranch_execz .LBB94_833
.LBB94_853:
	v_cmp_ne_u16_e32 vcc_lo, 0, v2
	v_mov_b32_e32 v3, 0
	s_and_not1_b32 s22, s22, exec_lo
	s_and_b32 s24, vcc_lo, exec_lo
	s_delay_alu instid0(SALU_CYCLE_1)
	s_or_b32 s22, s22, s24
	s_or_b32 exec_lo, exec_lo, s23
	s_and_saveexec_b32 s23, s22
	s_cbranch_execnz .LBB94_834
	s_branch .LBB94_835
.LBB94_854:
	s_mov_b32 s21, -1
.LBB94_855:
                                        ; implicit-def: $vgpr2
.LBB94_856:
	s_and_b32 vcc_lo, exec_lo, s22
	s_mov_b32 s22, 0
	s_cbranch_vccz .LBB94_858
; %bb.857:
	s_cmp_lg_u32 s20, 11
	s_mov_b32 s22, -1
	s_cselect_b32 s20, -1, 0
	s_and_not1_b32 s21, s21, exec_lo
	s_and_b32 s20, s20, exec_lo
	s_delay_alu instid0(SALU_CYCLE_1)
	s_or_b32 s21, s21, s20
.LBB94_858:
	s_mov_b32 s20, 0
.LBB94_859:
	s_and_not1_b32 s25, s0, exec_lo
	s_and_b32 s21, s21, exec_lo
	s_and_b32 s23, s23, exec_lo
	;; [unrolled: 1-line block ×4, first 2 shown]
	s_or_b32 s21, s25, s21
.LBB94_860:
	s_wait_xcnt 0x0
	s_or_b32 exec_lo, exec_lo, s13
	s_delay_alu instid0(SALU_CYCLE_1)
	s_and_not1_b32 s0, s0, exec_lo
	s_and_b32 s13, s21, exec_lo
	s_and_b32 s23, s23, exec_lo
	s_and_b32 s22, s24, exec_lo
	s_and_b32 s21, s20, exec_lo
	s_or_b32 s0, s0, s13
.LBB94_861:
	s_or_b32 exec_lo, exec_lo, s19
	s_delay_alu instid0(SALU_CYCLE_1)
	s_and_not1_b32 s13, s17, exec_lo
	s_and_b32 s1, s1, exec_lo
	s_and_b32 s0, s0, exec_lo
	s_or_b32 s17, s13, s1
	s_and_not1_b32 s13, s16, exec_lo
	s_and_b32 s20, s23, exec_lo
	s_and_b32 s19, s22, exec_lo
	;; [unrolled: 1-line block ×3, first 2 shown]
	s_or_b32 s16, s13, s0
.LBB94_862:
	s_or_b32 exec_lo, exec_lo, s18
	s_delay_alu instid0(SALU_CYCLE_1)
	s_and_not1_b32 s0, s12, exec_lo
	s_and_b32 s12, s17, exec_lo
	s_and_not1_b32 s13, s14, exec_lo
	s_and_b32 s14, s16, exec_lo
	s_or_b32 s12, s0, s12
	s_and_b32 s0, s20, exec_lo
	s_and_b32 s17, s19, exec_lo
	;; [unrolled: 1-line block ×3, first 2 shown]
	s_or_b32 s14, s13, s14
	s_or_b32 exec_lo, exec_lo, s15
	s_mov_b32 s1, 0
	s_and_saveexec_b32 s13, s14
	s_cbranch_execz .LBB94_262
.LBB94_863:
	s_mov_b32 s1, exec_lo
	s_and_not1_b32 s16, s16, exec_lo
	s_trap 2
	s_or_b32 exec_lo, exec_lo, s13
	s_and_saveexec_b32 s13, s16
	s_delay_alu instid0(SALU_CYCLE_1)
	s_xor_b32 s13, exec_lo, s13
	s_cbranch_execnz .LBB94_263
.LBB94_864:
	s_or_b32 exec_lo, exec_lo, s13
	s_and_saveexec_b32 s13, s17
	s_cbranch_execz .LBB94_910
.LBB94_865:
	s_sext_i32_i16 s14, s10
	s_delay_alu instid0(SALU_CYCLE_1)
	s_cmp_lt_i32 s14, 5
	s_cbranch_scc1 .LBB94_870
; %bb.866:
	s_cmp_lt_i32 s14, 8
	s_cbranch_scc1 .LBB94_871
; %bb.867:
	;; [unrolled: 3-line block ×3, first 2 shown]
	s_cmp_gt_i32 s14, 9
	s_cbranch_scc0 .LBB94_873
; %bb.869:
	s_wait_loadcnt 0x0
	global_load_b64 v[2:3], v[0:1], off
	s_mov_b32 s14, 0
	s_wait_loadcnt 0x0
	v_cvt_f32_f64_e32 v2, v[2:3]
	s_delay_alu instid0(VALU_DEP_1) | instskip(SKIP_1) | instid1(VALU_DEP_2)
	v_bfe_u32 v3, v2, 16, 1
	v_cmp_o_f32_e32 vcc_lo, v2, v2
	v_add3_u32 v3, v2, v3, 0x7fff
	s_delay_alu instid0(VALU_DEP_1) | instskip(NEXT) | instid1(VALU_DEP_1)
	v_lshrrev_b32_e32 v3, 16, v3
	v_cndmask_b32_e32 v2, 0x7fc0, v3, vcc_lo
	s_branch .LBB94_874
.LBB94_870:
                                        ; implicit-def: $vgpr2
	s_branch .LBB94_891
.LBB94_871:
                                        ; implicit-def: $vgpr2
	s_branch .LBB94_880
.LBB94_872:
	s_mov_b32 s14, -1
                                        ; implicit-def: $vgpr2
	s_branch .LBB94_877
.LBB94_873:
	s_mov_b32 s14, -1
                                        ; implicit-def: $vgpr2
.LBB94_874:
	s_delay_alu instid0(SALU_CYCLE_1)
	s_and_not1_b32 vcc_lo, exec_lo, s14
	s_cbranch_vccnz .LBB94_876
; %bb.875:
	s_wait_loadcnt 0x0
	global_load_b32 v2, v[0:1], off
	s_wait_loadcnt 0x0
	v_bfe_u32 v3, v2, 16, 1
	v_cmp_o_f32_e32 vcc_lo, v2, v2
	s_delay_alu instid0(VALU_DEP_2) | instskip(NEXT) | instid1(VALU_DEP_1)
	v_add3_u32 v3, v2, v3, 0x7fff
	v_lshrrev_b32_e32 v3, 16, v3
	s_delay_alu instid0(VALU_DEP_1)
	v_cndmask_b32_e32 v2, 0x7fc0, v3, vcc_lo
.LBB94_876:
	s_mov_b32 s14, 0
.LBB94_877:
	s_delay_alu instid0(SALU_CYCLE_1)
	s_and_not1_b32 vcc_lo, exec_lo, s14
	s_cbranch_vccnz .LBB94_879
; %bb.878:
	s_wait_loadcnt 0x0
	global_load_b32 v2, v[0:1], off
	s_wait_loadcnt 0x0
	v_cvt_f32_f16_e32 v3, v2
	v_cmp_o_f16_e32 vcc_lo, v2, v2
	s_delay_alu instid0(VALU_DEP_2) | instskip(NEXT) | instid1(VALU_DEP_1)
	v_bfe_u32 v5, v3, 16, 1
	v_add3_u32 v3, v3, v5, 0x7fff
	s_delay_alu instid0(VALU_DEP_1) | instskip(NEXT) | instid1(VALU_DEP_1)
	v_lshrrev_b32_e32 v3, 16, v3
	v_cndmask_b32_e32 v2, 0x7fc0, v3, vcc_lo
.LBB94_879:
	s_cbranch_execnz .LBB94_890
.LBB94_880:
	s_sext_i32_i16 s14, s10
	s_delay_alu instid0(SALU_CYCLE_1)
	s_cmp_lt_i32 s14, 6
	s_cbranch_scc1 .LBB94_883
; %bb.881:
	s_cmp_gt_i32 s14, 6
	s_cbranch_scc0 .LBB94_884
; %bb.882:
	s_wait_loadcnt 0x0
	global_load_b64 v[2:3], v[0:1], off
	s_mov_b32 s14, 0
	s_wait_loadcnt 0x0
	v_cvt_f32_f64_e32 v2, v[2:3]
	s_delay_alu instid0(VALU_DEP_1) | instskip(SKIP_1) | instid1(VALU_DEP_2)
	v_bfe_u32 v3, v2, 16, 1
	v_cmp_o_f32_e32 vcc_lo, v2, v2
	v_add3_u32 v3, v2, v3, 0x7fff
	s_delay_alu instid0(VALU_DEP_1) | instskip(NEXT) | instid1(VALU_DEP_1)
	v_lshrrev_b32_e32 v3, 16, v3
	v_cndmask_b32_e32 v2, 0x7fc0, v3, vcc_lo
	s_branch .LBB94_885
.LBB94_883:
	s_mov_b32 s14, -1
                                        ; implicit-def: $vgpr2
	s_branch .LBB94_888
.LBB94_884:
	s_mov_b32 s14, -1
                                        ; implicit-def: $vgpr2
.LBB94_885:
	s_delay_alu instid0(SALU_CYCLE_1)
	s_and_not1_b32 vcc_lo, exec_lo, s14
	s_cbranch_vccnz .LBB94_887
; %bb.886:
	s_wait_loadcnt 0x0
	global_load_b32 v2, v[0:1], off
	s_wait_loadcnt 0x0
	v_bfe_u32 v3, v2, 16, 1
	v_cmp_o_f32_e32 vcc_lo, v2, v2
	s_delay_alu instid0(VALU_DEP_2) | instskip(NEXT) | instid1(VALU_DEP_1)
	v_add3_u32 v3, v2, v3, 0x7fff
	v_lshrrev_b32_e32 v3, 16, v3
	s_delay_alu instid0(VALU_DEP_1)
	v_cndmask_b32_e32 v2, 0x7fc0, v3, vcc_lo
.LBB94_887:
	s_mov_b32 s14, 0
.LBB94_888:
	s_delay_alu instid0(SALU_CYCLE_1)
	s_and_not1_b32 vcc_lo, exec_lo, s14
	s_cbranch_vccnz .LBB94_890
; %bb.889:
	s_wait_loadcnt 0x0
	global_load_u16 v2, v[0:1], off
	s_wait_loadcnt 0x0
	v_cvt_f32_f16_e32 v3, v2
	v_cmp_o_f16_e32 vcc_lo, v2, v2
	s_delay_alu instid0(VALU_DEP_2) | instskip(NEXT) | instid1(VALU_DEP_1)
	v_bfe_u32 v5, v3, 16, 1
	v_add3_u32 v3, v3, v5, 0x7fff
	s_delay_alu instid0(VALU_DEP_1) | instskip(NEXT) | instid1(VALU_DEP_1)
	v_lshrrev_b32_e32 v3, 16, v3
	v_cndmask_b32_e32 v2, 0x7fc0, v3, vcc_lo
.LBB94_890:
	s_cbranch_execnz .LBB94_909
.LBB94_891:
	s_sext_i32_i16 s14, s10
	s_delay_alu instid0(SALU_CYCLE_1)
	s_cmp_lt_i32 s14, 2
	s_cbranch_scc1 .LBB94_895
; %bb.892:
	s_cmp_lt_i32 s14, 3
	s_cbranch_scc1 .LBB94_896
; %bb.893:
	s_cmp_gt_i32 s14, 3
	s_cbranch_scc0 .LBB94_897
; %bb.894:
	s_wait_loadcnt 0x0
	global_load_b64 v[2:3], v[0:1], off
	s_mov_b32 s14, 0
	s_wait_loadcnt 0x0
	v_xor_b32_e32 v5, v2, v3
	v_cls_i32_e32 v6, v3
	s_delay_alu instid0(VALU_DEP_2) | instskip(NEXT) | instid1(VALU_DEP_1)
	v_ashrrev_i32_e32 v5, 31, v5
	v_add_nc_u32_e32 v5, 32, v5
	s_delay_alu instid0(VALU_DEP_1) | instskip(NEXT) | instid1(VALU_DEP_1)
	v_add_min_u32_e64 v5, v6, -1, v5
	v_lshlrev_b64_e32 v[2:3], v5, v[2:3]
	s_delay_alu instid0(VALU_DEP_1) | instskip(NEXT) | instid1(VALU_DEP_1)
	v_min_u32_e32 v2, 1, v2
	v_dual_sub_nc_u32 v3, 32, v5 :: v_dual_bitop2_b32 v2, v3, v2 bitop3:0x54
	s_delay_alu instid0(VALU_DEP_1) | instskip(NEXT) | instid1(VALU_DEP_1)
	v_cvt_f32_i32_e32 v2, v2
	v_ldexp_f32 v2, v2, v3
	s_delay_alu instid0(VALU_DEP_1) | instskip(NEXT) | instid1(VALU_DEP_1)
	v_bfe_u32 v3, v2, 16, 1
	v_add3_u32 v2, v2, v3, 0x7fff
	s_delay_alu instid0(VALU_DEP_1)
	v_lshrrev_b32_e32 v2, 16, v2
	s_branch .LBB94_898
.LBB94_895:
                                        ; implicit-def: $vgpr2
	s_branch .LBB94_904
.LBB94_896:
	s_mov_b32 s14, -1
                                        ; implicit-def: $vgpr2
	s_branch .LBB94_901
.LBB94_897:
	s_mov_b32 s14, -1
                                        ; implicit-def: $vgpr2
.LBB94_898:
	s_delay_alu instid0(SALU_CYCLE_1)
	s_and_not1_b32 vcc_lo, exec_lo, s14
	s_cbranch_vccnz .LBB94_900
; %bb.899:
	s_wait_loadcnt 0x0
	global_load_b32 v2, v[0:1], off
	s_wait_loadcnt 0x0
	v_cvt_f32_i32_e32 v2, v2
	s_delay_alu instid0(VALU_DEP_1) | instskip(NEXT) | instid1(VALU_DEP_1)
	v_bfe_u32 v3, v2, 16, 1
	v_add3_u32 v2, v2, v3, 0x7fff
	s_delay_alu instid0(VALU_DEP_1)
	v_lshrrev_b32_e32 v2, 16, v2
.LBB94_900:
	s_mov_b32 s14, 0
.LBB94_901:
	s_delay_alu instid0(SALU_CYCLE_1)
	s_and_not1_b32 vcc_lo, exec_lo, s14
	s_cbranch_vccnz .LBB94_903
; %bb.902:
	s_wait_loadcnt 0x0
	global_load_i16 v2, v[0:1], off
	s_wait_loadcnt 0x0
	v_cvt_f32_i32_e32 v2, v2
	s_delay_alu instid0(VALU_DEP_1) | instskip(NEXT) | instid1(VALU_DEP_1)
	v_bfe_u32 v3, v2, 16, 1
	v_add3_u32 v2, v2, v3, 0x7fff
	s_delay_alu instid0(VALU_DEP_1)
	v_lshrrev_b32_e32 v2, 16, v2
.LBB94_903:
	s_cbranch_execnz .LBB94_909
.LBB94_904:
	s_sext_i32_i16 s14, s10
	s_delay_alu instid0(SALU_CYCLE_1)
	s_cmp_gt_i32 s14, 0
	s_mov_b32 s14, 0
	s_cbranch_scc0 .LBB94_906
; %bb.905:
	s_wait_loadcnt 0x0
	global_load_i8 v2, v[0:1], off
	s_wait_loadcnt 0x0
	v_cvt_f32_i32_e32 v2, v2
	s_delay_alu instid0(VALU_DEP_1) | instskip(NEXT) | instid1(VALU_DEP_1)
	v_bfe_u32 v3, v2, 16, 1
	v_add3_u32 v2, v2, v3, 0x7fff
	s_delay_alu instid0(VALU_DEP_1)
	v_lshrrev_b32_e32 v2, 16, v2
	s_branch .LBB94_907
.LBB94_906:
	s_mov_b32 s14, -1
                                        ; implicit-def: $vgpr2
.LBB94_907:
	s_delay_alu instid0(SALU_CYCLE_1)
	s_and_not1_b32 vcc_lo, exec_lo, s14
	s_cbranch_vccnz .LBB94_909
; %bb.908:
	global_load_u8 v0, v[0:1], off
	s_wait_loadcnt 0x0
	v_cvt_f32_ubyte0_e32 v0, v0
	s_delay_alu instid0(VALU_DEP_1) | instskip(NEXT) | instid1(VALU_DEP_1)
	v_bfe_u32 v1, v0, 16, 1
	v_add3_u32 v0, v0, v1, 0x7fff
	s_delay_alu instid0(VALU_DEP_1)
	v_lshrrev_b32_e32 v2, 16, v0
.LBB94_909:
	s_or_b32 s0, s0, exec_lo
.LBB94_910:
	s_wait_xcnt 0x0
	s_or_b32 exec_lo, exec_lo, s13
	s_mov_b32 s17, 0
	s_mov_b32 s16, 0
                                        ; implicit-def: $sgpr13
                                        ; implicit-def: $sgpr14
                                        ; implicit-def: $vgpr0_vgpr1
	s_and_saveexec_b32 s15, s0
	s_cbranch_execz .LBB94_918
; %bb.911:
	v_mul_lo_u32 v0, v4, s2
	s_and_b32 s14, s8, 0xff
	s_wait_loadcnt 0x0
	v_lshlrev_b32_e32 v2, 16, v2
	s_cmp_lt_i32 s14, 11
	s_delay_alu instid0(VALU_DEP_1) | instskip(NEXT) | instid1(VALU_DEP_3)
	v_cmp_eq_f32_e64 s13, 0xff800000, v2
	v_ashrrev_i32_e32 v1, 31, v0
	s_delay_alu instid0(VALU_DEP_1)
	v_add_nc_u64_e32 v[0:1], s[4:5], v[0:1]
	s_cbranch_scc1 .LBB94_921
; %bb.912:
	s_and_b32 s16, 0xffff, s14
	s_mov_b32 s17, -1
	s_cmp_gt_i32 s16, 25
	s_mov_b32 s0, s12
	s_cbranch_scc0 .LBB94_949
; %bb.913:
	s_cmp_gt_i32 s16, 28
	s_mov_b32 s0, s12
	s_cbranch_scc0 .LBB94_933
; %bb.914:
	;; [unrolled: 4-line block ×4, first 2 shown]
	s_cmp_eq_u32 s16, 46
	s_mov_b32 s0, -1
	s_cbranch_scc0 .LBB94_922
; %bb.917:
	v_cndmask_b32_e64 v2, 0, 1.0, s13
	s_mov_b32 s0, 0
	s_mov_b32 s17, 0
	s_delay_alu instid0(VALU_DEP_1) | instskip(NEXT) | instid1(VALU_DEP_1)
	v_bfe_u32 v3, v2, 16, 1
	v_add3_u32 v2, v2, v3, 0x7fff
	s_delay_alu instid0(VALU_DEP_1)
	v_lshrrev_b32_e32 v2, 16, v2
	global_store_b32 v[0:1], v2, off
	s_branch .LBB94_923
.LBB94_918:
	s_or_b32 exec_lo, exec_lo, s15
	s_and_saveexec_b32 s0, s12
	s_cbranch_execnz .LBB94_991
.LBB94_919:
	s_or_b32 exec_lo, exec_lo, s0
	s_and_saveexec_b32 s0, s17
	s_delay_alu instid0(SALU_CYCLE_1)
	s_xor_b32 s0, exec_lo, s0
	s_cbranch_execz .LBB94_992
.LBB94_920:
	s_wait_loadcnt 0x0
	v_cndmask_b32_e64 v2, 0, 1, s13
	global_store_b8 v[0:1], v2, off
	s_wait_xcnt 0x0
	s_or_b32 exec_lo, exec_lo, s0
	s_and_saveexec_b32 s0, s16
	s_delay_alu instid0(SALU_CYCLE_1)
	s_xor_b32 s0, exec_lo, s0
	s_cbranch_execz .LBB94_1030
	s_branch .LBB94_993
.LBB94_921:
	s_mov_b32 s18, 0
	s_mov_b32 s17, -1
	s_mov_b32 s0, s12
	s_branch .LBB94_990
.LBB94_922:
	s_mov_b32 s17, 0
.LBB94_923:
	s_delay_alu instid0(SALU_CYCLE_1)
	s_and_b32 vcc_lo, exec_lo, s17
	s_cbranch_vccz .LBB94_928
; %bb.924:
	s_cmp_eq_u32 s16, 44
	s_mov_b32 s0, -1
	s_cbranch_scc0 .LBB94_928
; %bb.925:
	v_cndmask_b32_e64 v4, 0, 1.0, s13
	s_mov_b32 s17, exec_lo
	s_wait_xcnt 0x0
	s_delay_alu instid0(VALU_DEP_1) | instskip(NEXT) | instid1(VALU_DEP_1)
	v_dual_mov_b32 v3, 0xff :: v_dual_lshrrev_b32 v2, 23, v4
	v_cmpx_ne_u32_e32 0xff, v2
; %bb.926:
	v_and_b32_e32 v3, 0x400000, v4
	v_and_or_b32 v4, 0x3fffff, v4, v2
	s_delay_alu instid0(VALU_DEP_2) | instskip(NEXT) | instid1(VALU_DEP_2)
	v_cmp_ne_u32_e32 vcc_lo, 0, v3
	v_cmp_ne_u32_e64 s0, 0, v4
	s_and_b32 s0, vcc_lo, s0
	s_delay_alu instid0(SALU_CYCLE_1) | instskip(NEXT) | instid1(VALU_DEP_1)
	v_cndmask_b32_e64 v3, 0, 1, s0
	v_add_nc_u32_e32 v3, v2, v3
; %bb.927:
	s_or_b32 exec_lo, exec_lo, s17
	s_mov_b32 s0, 0
	global_store_b8 v[0:1], v3, off
.LBB94_928:
	s_mov_b32 s17, 0
.LBB94_929:
	s_delay_alu instid0(SALU_CYCLE_1)
	s_and_b32 vcc_lo, exec_lo, s17
	s_cbranch_vccz .LBB94_932
; %bb.930:
	s_cmp_eq_u32 s16, 29
	s_mov_b32 s0, -1
	s_cbranch_scc0 .LBB94_932
; %bb.931:
	s_mov_b32 s0, 0
	s_wait_xcnt 0x0
	v_cndmask_b32_e64 v2, 0, 1, s13
	v_mov_b32_e32 v3, s0
	s_mov_b32 s17, 0
	global_store_b64 v[0:1], v[2:3], off
	s_branch .LBB94_933
.LBB94_932:
	s_mov_b32 s17, 0
.LBB94_933:
	s_delay_alu instid0(SALU_CYCLE_1)
	s_and_b32 vcc_lo, exec_lo, s17
	s_cbranch_vccz .LBB94_948
; %bb.934:
	s_cmp_lt_i32 s16, 27
	s_mov_b32 s17, -1
	s_cbranch_scc1 .LBB94_940
; %bb.935:
	s_wait_xcnt 0x0
	v_cndmask_b32_e64 v2, 0, 1, s13
	s_cmp_gt_i32 s16, 27
	s_cbranch_scc0 .LBB94_937
; %bb.936:
	s_mov_b32 s17, 0
	global_store_b32 v[0:1], v2, off
.LBB94_937:
	s_and_not1_b32 vcc_lo, exec_lo, s17
	s_cbranch_vccnz .LBB94_939
; %bb.938:
	global_store_b16 v[0:1], v2, off
.LBB94_939:
	s_mov_b32 s17, 0
.LBB94_940:
	s_delay_alu instid0(SALU_CYCLE_1)
	s_and_not1_b32 vcc_lo, exec_lo, s17
	s_cbranch_vccnz .LBB94_948
; %bb.941:
	s_wait_xcnt 0x0
	v_cndmask_b32_e64 v3, 0, 1.0, s13
	v_mov_b32_e32 v4, 0x80
	s_mov_b32 s17, exec_lo
	s_delay_alu instid0(VALU_DEP_2)
	v_cmpx_gt_u32_e32 0x43800000, v3
	s_cbranch_execz .LBB94_947
; %bb.942:
	s_mov_b32 s18, 0
	s_mov_b32 s19, exec_lo
                                        ; implicit-def: $vgpr2
	v_cmpx_lt_u32_e32 0x3bffffff, v3
	s_xor_b32 s19, exec_lo, s19
	s_cbranch_execz .LBB94_1045
; %bb.943:
	v_bfe_u32 v2, v3, 20, 1
	s_mov_b32 s18, exec_lo
	s_delay_alu instid0(VALU_DEP_1) | instskip(NEXT) | instid1(VALU_DEP_1)
	v_add3_u32 v2, v3, v2, 0x487ffff
                                        ; implicit-def: $vgpr3
	v_lshrrev_b32_e32 v2, 20, v2
	s_and_not1_saveexec_b32 s19, s19
	s_cbranch_execnz .LBB94_1046
.LBB94_944:
	s_or_b32 exec_lo, exec_lo, s19
	v_mov_b32_e32 v4, 0
	s_and_saveexec_b32 s19, s18
.LBB94_945:
	v_mov_b32_e32 v4, v2
.LBB94_946:
	s_or_b32 exec_lo, exec_lo, s19
.LBB94_947:
	s_delay_alu instid0(SALU_CYCLE_1)
	s_or_b32 exec_lo, exec_lo, s17
	global_store_b8 v[0:1], v4, off
.LBB94_948:
	s_mov_b32 s17, 0
.LBB94_949:
	s_delay_alu instid0(SALU_CYCLE_1)
	s_and_b32 vcc_lo, exec_lo, s17
	s_mov_b32 s17, 0
	s_cbranch_vccz .LBB94_989
; %bb.950:
	s_cmp_gt_i32 s16, 22
	s_mov_b32 s18, -1
	s_cbranch_scc0 .LBB94_982
; %bb.951:
	s_cmp_lt_i32 s16, 24
	s_cbranch_scc1 .LBB94_971
; %bb.952:
	s_cmp_gt_i32 s16, 24
	s_cbranch_scc0 .LBB94_960
; %bb.953:
	s_wait_xcnt 0x0
	v_cndmask_b32_e64 v3, 0, 1.0, s13
	v_mov_b32_e32 v4, 0x80
	s_mov_b32 s18, exec_lo
	s_delay_alu instid0(VALU_DEP_2)
	v_cmpx_gt_u32_e32 0x47800000, v3
	s_cbranch_execz .LBB94_959
; %bb.954:
	s_mov_b32 s19, 0
	s_mov_b32 s20, exec_lo
                                        ; implicit-def: $vgpr2
	v_cmpx_lt_u32_e32 0x37ffffff, v3
	s_xor_b32 s20, exec_lo, s20
	s_cbranch_execz .LBB94_1171
; %bb.955:
	v_bfe_u32 v2, v3, 21, 1
	s_mov_b32 s19, exec_lo
	s_delay_alu instid0(VALU_DEP_1) | instskip(NEXT) | instid1(VALU_DEP_1)
	v_add3_u32 v2, v3, v2, 0x88fffff
                                        ; implicit-def: $vgpr3
	v_lshrrev_b32_e32 v2, 21, v2
	s_and_not1_saveexec_b32 s20, s20
	s_cbranch_execnz .LBB94_1172
.LBB94_956:
	s_or_b32 exec_lo, exec_lo, s20
	v_mov_b32_e32 v4, 0
	s_and_saveexec_b32 s20, s19
.LBB94_957:
	v_mov_b32_e32 v4, v2
.LBB94_958:
	s_or_b32 exec_lo, exec_lo, s20
.LBB94_959:
	s_delay_alu instid0(SALU_CYCLE_1)
	s_or_b32 exec_lo, exec_lo, s18
	s_mov_b32 s18, 0
	global_store_b8 v[0:1], v4, off
.LBB94_960:
	s_and_b32 vcc_lo, exec_lo, s18
	s_cbranch_vccz .LBB94_970
; %bb.961:
	s_wait_xcnt 0x0
	v_cndmask_b32_e64 v3, 0, 1.0, s13
	s_mov_b32 s18, exec_lo
                                        ; implicit-def: $vgpr2
	s_delay_alu instid0(VALU_DEP_1)
	v_cmpx_gt_u32_e32 0x43f00000, v3
	s_xor_b32 s18, exec_lo, s18
	s_cbranch_execz .LBB94_967
; %bb.962:
	s_mov_b32 s19, exec_lo
                                        ; implicit-def: $vgpr2
	v_cmpx_lt_u32_e32 0x3c7fffff, v3
	s_xor_b32 s19, exec_lo, s19
; %bb.963:
	v_bfe_u32 v2, v3, 20, 1
	s_delay_alu instid0(VALU_DEP_1) | instskip(NEXT) | instid1(VALU_DEP_1)
	v_add3_u32 v2, v3, v2, 0x407ffff
	v_and_b32_e32 v3, 0xff00000, v2
	v_lshrrev_b32_e32 v2, 20, v2
	s_delay_alu instid0(VALU_DEP_2) | instskip(NEXT) | instid1(VALU_DEP_2)
	v_cmp_ne_u32_e32 vcc_lo, 0x7f00000, v3
                                        ; implicit-def: $vgpr3
	v_cndmask_b32_e32 v2, 0x7e, v2, vcc_lo
; %bb.964:
	s_and_not1_saveexec_b32 s19, s19
; %bb.965:
	v_add_f32_e32 v2, 0x46800000, v3
; %bb.966:
	s_or_b32 exec_lo, exec_lo, s19
                                        ; implicit-def: $vgpr3
.LBB94_967:
	s_and_not1_saveexec_b32 s18, s18
; %bb.968:
	v_mov_b32_e32 v2, 0x7f
	v_cmp_lt_u32_e32 vcc_lo, 0x7f800000, v3
	s_delay_alu instid0(VALU_DEP_2)
	v_cndmask_b32_e32 v2, 0x7e, v2, vcc_lo
; %bb.969:
	s_or_b32 exec_lo, exec_lo, s18
	global_store_b8 v[0:1], v2, off
.LBB94_970:
	s_mov_b32 s18, 0
.LBB94_971:
	s_delay_alu instid0(SALU_CYCLE_1)
	s_and_not1_b32 vcc_lo, exec_lo, s18
	s_cbranch_vccnz .LBB94_981
; %bb.972:
	s_wait_xcnt 0x0
	v_cndmask_b32_e64 v3, 0, 1.0, s13
	s_mov_b32 s18, exec_lo
                                        ; implicit-def: $vgpr2
	s_delay_alu instid0(VALU_DEP_1)
	v_cmpx_gt_u32_e32 0x47800000, v3
	s_xor_b32 s18, exec_lo, s18
	s_cbranch_execz .LBB94_978
; %bb.973:
	s_mov_b32 s19, exec_lo
                                        ; implicit-def: $vgpr2
	v_cmpx_lt_u32_e32 0x387fffff, v3
	s_xor_b32 s19, exec_lo, s19
; %bb.974:
	v_bfe_u32 v2, v3, 21, 1
	s_delay_alu instid0(VALU_DEP_1) | instskip(NEXT) | instid1(VALU_DEP_1)
	v_add3_u32 v2, v3, v2, 0x80fffff
                                        ; implicit-def: $vgpr3
	v_lshrrev_b32_e32 v2, 21, v2
; %bb.975:
	s_and_not1_saveexec_b32 s19, s19
; %bb.976:
	v_add_f32_e32 v2, 0x43000000, v3
; %bb.977:
	s_or_b32 exec_lo, exec_lo, s19
                                        ; implicit-def: $vgpr3
.LBB94_978:
	s_and_not1_saveexec_b32 s18, s18
; %bb.979:
	v_mov_b32_e32 v2, 0x7f
	v_cmp_lt_u32_e32 vcc_lo, 0x7f800000, v3
	s_delay_alu instid0(VALU_DEP_2)
	v_cndmask_b32_e32 v2, 0x7c, v2, vcc_lo
; %bb.980:
	s_or_b32 exec_lo, exec_lo, s18
	global_store_b8 v[0:1], v2, off
.LBB94_981:
	s_mov_b32 s18, 0
.LBB94_982:
	s_delay_alu instid0(SALU_CYCLE_1)
	s_and_not1_b32 vcc_lo, exec_lo, s18
	s_mov_b32 s18, 0
	s_cbranch_vccnz .LBB94_990
; %bb.983:
	s_cmp_gt_i32 s16, 14
	s_mov_b32 s18, -1
	s_cbranch_scc0 .LBB94_987
; %bb.984:
	s_cmp_eq_u32 s16, 15
	s_mov_b32 s0, -1
	s_cbranch_scc0 .LBB94_986
; %bb.985:
	s_wait_xcnt 0x0
	v_cndmask_b32_e64 v2, 0, 1.0, s13
	s_mov_b32 s0, 0
	s_delay_alu instid0(VALU_DEP_1) | instskip(NEXT) | instid1(VALU_DEP_1)
	v_bfe_u32 v3, v2, 16, 1
	v_add3_u32 v2, v2, v3, 0x7fff
	global_store_d16_hi_b16 v[0:1], v2, off
.LBB94_986:
	s_mov_b32 s18, 0
.LBB94_987:
	s_delay_alu instid0(SALU_CYCLE_1)
	s_and_b32 vcc_lo, exec_lo, s18
	s_mov_b32 s18, 0
	s_cbranch_vccz .LBB94_990
; %bb.988:
	s_cmp_lg_u32 s16, 11
	s_mov_b32 s18, -1
	s_cselect_b32 s16, -1, 0
	s_and_not1_b32 s0, s0, exec_lo
	s_and_b32 s16, s16, exec_lo
	s_delay_alu instid0(SALU_CYCLE_1)
	s_or_b32 s0, s0, s16
	s_branch .LBB94_990
.LBB94_989:
	s_mov_b32 s18, 0
.LBB94_990:
	s_and_not1_b32 s12, s12, exec_lo
	s_and_b32 s0, s0, exec_lo
	s_and_b32 s16, s17, exec_lo
	;; [unrolled: 1-line block ×3, first 2 shown]
	s_or_b32 s12, s12, s0
	s_wait_xcnt 0x0
	s_or_b32 exec_lo, exec_lo, s15
	s_and_saveexec_b32 s0, s12
	s_cbranch_execz .LBB94_919
.LBB94_991:
	s_or_b32 s1, s1, exec_lo
	s_and_not1_b32 s17, s17, exec_lo
	s_trap 2
	s_or_b32 exec_lo, exec_lo, s0
	s_and_saveexec_b32 s0, s17
	s_delay_alu instid0(SALU_CYCLE_1)
	s_xor_b32 s0, exec_lo, s0
	s_cbranch_execnz .LBB94_920
.LBB94_992:
	s_or_b32 exec_lo, exec_lo, s0
	s_and_saveexec_b32 s0, s16
	s_delay_alu instid0(SALU_CYCLE_1)
	s_xor_b32 s0, exec_lo, s0
	s_cbranch_execz .LBB94_1030
.LBB94_993:
	s_sext_i32_i16 s15, s14
	s_mov_b32 s12, -1
	s_cmp_lt_i32 s15, 5
	s_cbranch_scc1 .LBB94_1014
; %bb.994:
	s_cmp_lt_i32 s15, 8
	s_cbranch_scc1 .LBB94_1004
; %bb.995:
	;; [unrolled: 3-line block ×3, first 2 shown]
	s_cmp_gt_i32 s15, 9
	s_cbranch_scc0 .LBB94_998
; %bb.997:
	s_wait_loadcnt 0x0
	v_cndmask_b32_e64 v2, 0, 1, s13
	v_mov_b32_e32 v4, 0
	s_mov_b32 s12, 0
	s_delay_alu instid0(VALU_DEP_2) | instskip(NEXT) | instid1(VALU_DEP_2)
	v_cvt_f64_u32_e32 v[2:3], v2
	v_mov_b32_e32 v5, v4
	global_store_b128 v[0:1], v[2:5], off
.LBB94_998:
	s_and_not1_b32 vcc_lo, exec_lo, s12
	s_cbranch_vccnz .LBB94_1000
; %bb.999:
	s_wait_loadcnt 0x0
	v_cndmask_b32_e64 v2, 0, 1.0, s13
	v_mov_b32_e32 v3, 0
	global_store_b64 v[0:1], v[2:3], off
.LBB94_1000:
	s_mov_b32 s12, 0
.LBB94_1001:
	s_delay_alu instid0(SALU_CYCLE_1)
	s_and_not1_b32 vcc_lo, exec_lo, s12
	s_cbranch_vccnz .LBB94_1003
; %bb.1002:
	s_wait_loadcnt 0x0
	v_cndmask_b32_e64 v2, 0, 1.0, s13
	s_delay_alu instid0(VALU_DEP_1) | instskip(NEXT) | instid1(VALU_DEP_1)
	v_cvt_f16_f32_e32 v2, v2
	v_and_b32_e32 v2, 0xffff, v2
	global_store_b32 v[0:1], v2, off
.LBB94_1003:
	s_mov_b32 s12, 0
.LBB94_1004:
	s_delay_alu instid0(SALU_CYCLE_1)
	s_and_not1_b32 vcc_lo, exec_lo, s12
	s_cbranch_vccnz .LBB94_1013
; %bb.1005:
	s_sext_i32_i16 s15, s14
	s_mov_b32 s12, -1
	s_cmp_lt_i32 s15, 6
	s_cbranch_scc1 .LBB94_1011
; %bb.1006:
	s_cmp_gt_i32 s15, 6
	s_cbranch_scc0 .LBB94_1008
; %bb.1007:
	s_wait_loadcnt 0x0
	v_cndmask_b32_e64 v2, 0, 1, s13
	s_mov_b32 s12, 0
	s_delay_alu instid0(VALU_DEP_1)
	v_cvt_f64_u32_e32 v[2:3], v2
	global_store_b64 v[0:1], v[2:3], off
.LBB94_1008:
	s_and_not1_b32 vcc_lo, exec_lo, s12
	s_cbranch_vccnz .LBB94_1010
; %bb.1009:
	s_wait_loadcnt 0x0
	v_cndmask_b32_e64 v2, 0, 1.0, s13
	global_store_b32 v[0:1], v2, off
.LBB94_1010:
	s_mov_b32 s12, 0
.LBB94_1011:
	s_delay_alu instid0(SALU_CYCLE_1)
	s_and_not1_b32 vcc_lo, exec_lo, s12
	s_cbranch_vccnz .LBB94_1013
; %bb.1012:
	s_wait_loadcnt 0x0
	v_cndmask_b32_e64 v2, 0, 1.0, s13
	s_delay_alu instid0(VALU_DEP_1)
	v_cvt_f16_f32_e32 v2, v2
	global_store_b16 v[0:1], v2, off
.LBB94_1013:
	s_mov_b32 s12, 0
.LBB94_1014:
	s_delay_alu instid0(SALU_CYCLE_1)
	s_and_not1_b32 vcc_lo, exec_lo, s12
	s_cbranch_vccnz .LBB94_1030
; %bb.1015:
	s_sext_i32_i16 s15, s14
	s_mov_b32 s12, -1
	s_cmp_lt_i32 s15, 2
	s_cbranch_scc1 .LBB94_1025
; %bb.1016:
	s_cmp_lt_i32 s15, 3
	s_cbranch_scc1 .LBB94_1022
; %bb.1017:
	s_cmp_gt_i32 s15, 3
	s_cbranch_scc0 .LBB94_1019
; %bb.1018:
	s_mov_b32 s12, 0
	s_wait_loadcnt 0x0
	v_cndmask_b32_e64 v2, 0, 1, s13
	v_mov_b32_e32 v3, s12
	global_store_b64 v[0:1], v[2:3], off
.LBB94_1019:
	s_and_not1_b32 vcc_lo, exec_lo, s12
	s_cbranch_vccnz .LBB94_1021
; %bb.1020:
	s_wait_loadcnt 0x0
	v_cndmask_b32_e64 v2, 0, 1, s13
	global_store_b32 v[0:1], v2, off
.LBB94_1021:
	s_mov_b32 s12, 0
.LBB94_1022:
	s_delay_alu instid0(SALU_CYCLE_1)
	s_and_not1_b32 vcc_lo, exec_lo, s12
	s_cbranch_vccnz .LBB94_1024
; %bb.1023:
	s_wait_loadcnt 0x0
	v_cndmask_b32_e64 v2, 0, 1, s13
	global_store_b16 v[0:1], v2, off
.LBB94_1024:
	s_mov_b32 s12, 0
.LBB94_1025:
	s_delay_alu instid0(SALU_CYCLE_1)
	s_and_not1_b32 vcc_lo, exec_lo, s12
	s_cbranch_vccnz .LBB94_1030
; %bb.1026:
	s_wait_loadcnt 0x0
	v_cndmask_b32_e64 v2, 0, 1, s13
	s_sext_i32_i16 s12, s14
	s_delay_alu instid0(SALU_CYCLE_1)
	s_cmp_gt_i32 s12, 0
	s_mov_b32 s12, -1
	s_cbranch_scc0 .LBB94_1028
; %bb.1027:
	s_mov_b32 s12, 0
	global_store_b8 v[0:1], v2, off
.LBB94_1028:
	s_and_not1_b32 vcc_lo, exec_lo, s12
	s_cbranch_vccnz .LBB94_1030
; %bb.1029:
	global_store_b8 v[0:1], v2, off
.LBB94_1030:
	s_wait_xcnt 0x0
	s_or_b32 exec_lo, exec_lo, s0
	s_delay_alu instid0(SALU_CYCLE_1)
	s_and_b32 s12, s1, exec_lo
                                        ; implicit-def: $vgpr4
.LBB94_1031:
	s_or_saveexec_b32 s11, s11
	s_mov_b32 s0, 0
                                        ; implicit-def: $sgpr1
                                        ; implicit-def: $sgpr13
                                        ; implicit-def: $vgpr0_vgpr1
	s_xor_b32 exec_lo, exec_lo, s11
	s_cbranch_execz .LBB94_1983
; %bb.1032:
	v_mul_lo_u32 v0, s3, v4
	s_and_b32 s0, 0xffff, s10
	s_delay_alu instid0(SALU_CYCLE_1) | instskip(NEXT) | instid1(VALU_DEP_1)
	s_cmp_lt_i32 s0, 11
	v_ashrrev_i32_e32 v1, 31, v0
	s_wait_loadcnt 0x0
	s_delay_alu instid0(VALU_DEP_1)
	v_add_nc_u64_e32 v[2:3], s[6:7], v[0:1]
	s_cbranch_scc1 .LBB94_1039
; %bb.1033:
	s_cmp_gt_i32 s0, 25
	s_mov_b32 s10, 0
	s_cbranch_scc0 .LBB94_1041
; %bb.1034:
	s_cmp_gt_i32 s0, 28
	s_cbranch_scc0 .LBB94_1042
; %bb.1035:
	s_cmp_gt_i32 s0, 43
	;; [unrolled: 3-line block ×3, first 2 shown]
	s_cbranch_scc0 .LBB94_1044
; %bb.1037:
	s_cmp_eq_u32 s0, 46
	s_cbranch_scc0 .LBB94_1047
; %bb.1038:
	global_load_b32 v5, v[2:3], off
	s_mov_b32 s1, 0
	s_mov_b32 s13, -1
	s_branch .LBB94_1049
.LBB94_1039:
	s_mov_b32 s13, 0
	s_mov_b32 s9, s12
                                        ; implicit-def: $vgpr5
	s_cbranch_execnz .LBB94_1112
.LBB94_1040:
	s_and_not1_b32 vcc_lo, exec_lo, s13
	s_cbranch_vccz .LBB94_1157
	s_branch .LBB94_1981
.LBB94_1041:
	s_mov_b32 s13, 0
	s_mov_b32 s1, 0
                                        ; implicit-def: $vgpr5
	s_cbranch_execnz .LBB94_1077
	s_branch .LBB94_1108
.LBB94_1042:
	s_mov_b32 s9, -1
	s_mov_b32 s13, 0
	s_mov_b32 s1, 0
                                        ; implicit-def: $vgpr5
	s_branch .LBB94_1058
.LBB94_1043:
	s_mov_b32 s13, 0
	s_mov_b32 s1, 0
                                        ; implicit-def: $vgpr5
	s_cbranch_execnz .LBB94_1054
	s_branch .LBB94_1057
.LBB94_1044:
	s_mov_b32 s9, -1
	s_mov_b32 s13, 0
	s_mov_b32 s1, 0
	s_branch .LBB94_1048
.LBB94_1045:
	s_and_not1_saveexec_b32 s19, s19
	s_cbranch_execz .LBB94_944
.LBB94_1046:
	v_add_f32_e32 v2, 0x46000000, v3
	s_and_not1_b32 s18, s18, exec_lo
	s_delay_alu instid0(VALU_DEP_1) | instskip(NEXT) | instid1(VALU_DEP_1)
	v_and_b32_e32 v2, 0xff, v2
	v_cmp_ne_u32_e32 vcc_lo, 0, v2
	s_and_b32 s20, vcc_lo, exec_lo
	s_delay_alu instid0(SALU_CYCLE_1)
	s_or_b32 s18, s18, s20
	s_or_b32 exec_lo, exec_lo, s19
	v_mov_b32_e32 v4, 0
	s_and_saveexec_b32 s19, s18
	s_cbranch_execnz .LBB94_945
	s_branch .LBB94_946
.LBB94_1047:
	s_mov_b32 s1, -1
	s_mov_b32 s13, 0
.LBB94_1048:
                                        ; implicit-def: $vgpr5
.LBB94_1049:
	s_and_b32 vcc_lo, exec_lo, s9
	s_cbranch_vccz .LBB94_1052
; %bb.1050:
	s_cmp_eq_u32 s0, 44
	s_cbranch_scc0 .LBB94_1053
; %bb.1051:
	global_load_u8 v1, v[2:3], off
	s_mov_b32 s1, 0
	s_mov_b32 s13, -1
	s_wait_loadcnt 0x0
	v_lshlrev_b32_e32 v5, 23, v1
	v_cmp_ne_u32_e32 vcc_lo, 0xff, v1
	s_delay_alu instid0(VALU_DEP_2) | instskip(SKIP_1) | instid1(VALU_DEP_2)
	v_cndmask_b32_e32 v5, 0x7f800001, v5, vcc_lo
	v_cmp_ne_u32_e32 vcc_lo, 0, v1
	v_cndmask_b32_e32 v1, 0x400000, v5, vcc_lo
	s_delay_alu instid0(VALU_DEP_1) | instskip(SKIP_1) | instid1(VALU_DEP_2)
	v_add_nc_u32_e32 v5, 0x7fff, v1
	v_cmp_o_f32_e32 vcc_lo, v1, v1
	v_lshrrev_b32_e32 v5, 16, v5
	s_delay_alu instid0(VALU_DEP_1)
	v_cndmask_b32_e32 v5, 0x7fc0, v5, vcc_lo
.LBB94_1052:
	s_branch .LBB94_1057
.LBB94_1053:
	s_mov_b32 s1, -1
                                        ; implicit-def: $vgpr5
	s_branch .LBB94_1057
.LBB94_1054:
	s_cmp_eq_u32 s0, 29
	s_cbranch_scc0 .LBB94_1056
; %bb.1055:
	global_load_b64 v[6:7], v[2:3], off
	s_mov_b32 s1, 0
	s_mov_b32 s13, -1
	s_mov_b32 s9, 0
	s_wait_loadcnt 0x0
	v_clz_i32_u32_e32 v1, v7
	s_delay_alu instid0(VALU_DEP_1) | instskip(NEXT) | instid1(VALU_DEP_1)
	v_min_u32_e32 v1, 32, v1
	v_lshlrev_b64_e32 v[6:7], v1, v[6:7]
	v_sub_nc_u32_e32 v1, 32, v1
	s_delay_alu instid0(VALU_DEP_2) | instskip(NEXT) | instid1(VALU_DEP_1)
	v_min_u32_e32 v5, 1, v6
	v_or_b32_e32 v5, v7, v5
	s_delay_alu instid0(VALU_DEP_1) | instskip(NEXT) | instid1(VALU_DEP_1)
	v_cvt_f32_u32_e32 v5, v5
	v_ldexp_f32 v1, v5, v1
	s_delay_alu instid0(VALU_DEP_1) | instskip(NEXT) | instid1(VALU_DEP_1)
	v_bfe_u32 v5, v1, 16, 1
	v_add3_u32 v1, v1, v5, 0x7fff
	s_delay_alu instid0(VALU_DEP_1)
	v_lshrrev_b32_e32 v5, 16, v1
	s_branch .LBB94_1058
.LBB94_1056:
	s_mov_b32 s1, -1
                                        ; implicit-def: $vgpr5
.LBB94_1057:
	s_mov_b32 s9, 0
.LBB94_1058:
	s_delay_alu instid0(SALU_CYCLE_1)
	s_and_b32 vcc_lo, exec_lo, s9
	s_cbranch_vccz .LBB94_1076
; %bb.1059:
	s_cmp_lt_i32 s0, 27
	s_cbranch_scc1 .LBB94_1062
; %bb.1060:
	s_cmp_gt_i32 s0, 27
	s_cbranch_scc0 .LBB94_1063
; %bb.1061:
	global_load_b32 v1, v[2:3], off
	s_mov_b32 s9, 0
	s_wait_loadcnt 0x0
	v_cvt_f32_u32_e32 v1, v1
	s_delay_alu instid0(VALU_DEP_1) | instskip(NEXT) | instid1(VALU_DEP_1)
	v_bfe_u32 v5, v1, 16, 1
	v_add3_u32 v1, v1, v5, 0x7fff
	s_delay_alu instid0(VALU_DEP_1)
	v_lshrrev_b32_e32 v5, 16, v1
	s_branch .LBB94_1064
.LBB94_1062:
	s_mov_b32 s9, -1
                                        ; implicit-def: $vgpr5
	s_branch .LBB94_1067
.LBB94_1063:
	s_mov_b32 s9, -1
                                        ; implicit-def: $vgpr5
.LBB94_1064:
	s_delay_alu instid0(SALU_CYCLE_1)
	s_and_not1_b32 vcc_lo, exec_lo, s9
	s_cbranch_vccnz .LBB94_1066
; %bb.1065:
	global_load_u16 v1, v[2:3], off
	s_wait_loadcnt 0x0
	v_cvt_f32_u32_e32 v1, v1
	s_delay_alu instid0(VALU_DEP_1) | instskip(NEXT) | instid1(VALU_DEP_1)
	v_bfe_u32 v5, v1, 16, 1
	v_add3_u32 v1, v1, v5, 0x7fff
	s_delay_alu instid0(VALU_DEP_1)
	v_lshrrev_b32_e32 v5, 16, v1
.LBB94_1066:
	s_mov_b32 s9, 0
.LBB94_1067:
	s_delay_alu instid0(SALU_CYCLE_1)
	s_and_not1_b32 vcc_lo, exec_lo, s9
	s_cbranch_vccnz .LBB94_1075
; %bb.1068:
	global_load_u8 v1, v[2:3], off
	s_mov_b32 s9, 0
	s_mov_b32 s13, exec_lo
	s_wait_loadcnt 0x0
	v_cmpx_lt_i16_e32 0x7f, v1
	s_xor_b32 s13, exec_lo, s13
	s_cbranch_execz .LBB94_1088
; %bb.1069:
	s_mov_b32 s9, -1
	s_mov_b32 s14, exec_lo
	v_cmpx_eq_u16_e32 0x80, v1
; %bb.1070:
	s_xor_b32 s9, exec_lo, -1
; %bb.1071:
	s_or_b32 exec_lo, exec_lo, s14
	s_delay_alu instid0(SALU_CYCLE_1)
	s_and_b32 s9, s9, exec_lo
	s_or_saveexec_b32 s13, s13
	v_mov_b32_e32 v5, 0x7f800001
	s_xor_b32 exec_lo, exec_lo, s13
	s_cbranch_execnz .LBB94_1089
.LBB94_1072:
	s_or_b32 exec_lo, exec_lo, s13
	s_and_saveexec_b32 s13, s9
	s_cbranch_execz .LBB94_1074
.LBB94_1073:
	v_and_b32_e32 v5, 0xffff, v1
	s_delay_alu instid0(VALU_DEP_1) | instskip(SKIP_1) | instid1(VALU_DEP_2)
	v_and_b32_e32 v6, 7, v5
	v_bfe_u32 v9, v5, 3, 4
	v_clz_i32_u32_e32 v7, v6
	s_delay_alu instid0(VALU_DEP_2) | instskip(NEXT) | instid1(VALU_DEP_2)
	v_cmp_eq_u32_e32 vcc_lo, 0, v9
	v_min_u32_e32 v7, 32, v7
	s_delay_alu instid0(VALU_DEP_1) | instskip(NEXT) | instid1(VALU_DEP_1)
	v_subrev_nc_u32_e32 v8, 28, v7
	v_dual_lshlrev_b32 v5, v8, v5 :: v_dual_sub_nc_u32 v7, 29, v7
	s_delay_alu instid0(VALU_DEP_1) | instskip(NEXT) | instid1(VALU_DEP_2)
	v_and_b32_e32 v5, 7, v5
	v_dual_lshlrev_b32 v1, 24, v1 :: v_dual_cndmask_b32 v7, v9, v7, vcc_lo
	s_delay_alu instid0(VALU_DEP_2) | instskip(NEXT) | instid1(VALU_DEP_2)
	v_cndmask_b32_e32 v5, v6, v5, vcc_lo
	v_and_b32_e32 v1, 0x80000000, v1
	s_delay_alu instid0(VALU_DEP_3) | instskip(NEXT) | instid1(VALU_DEP_3)
	v_lshl_add_u32 v6, v7, 23, 0x3b800000
	v_lshlrev_b32_e32 v5, 20, v5
	s_delay_alu instid0(VALU_DEP_1)
	v_or3_b32 v5, v1, v6, v5
.LBB94_1074:
	s_or_b32 exec_lo, exec_lo, s13
	s_delay_alu instid0(VALU_DEP_1) | instskip(SKIP_1) | instid1(VALU_DEP_2)
	v_bfe_u32 v1, v5, 16, 1
	v_cmp_o_f32_e32 vcc_lo, v5, v5
	v_add3_u32 v1, v5, v1, 0x7fff
	s_delay_alu instid0(VALU_DEP_1) | instskip(NEXT) | instid1(VALU_DEP_1)
	v_lshrrev_b32_e32 v1, 16, v1
	v_cndmask_b32_e32 v5, 0x7fc0, v1, vcc_lo
.LBB94_1075:
	s_mov_b32 s13, -1
.LBB94_1076:
	s_branch .LBB94_1108
.LBB94_1077:
	s_cmp_gt_i32 s0, 22
	s_cbranch_scc0 .LBB94_1087
; %bb.1078:
	s_cmp_lt_i32 s0, 24
	s_cbranch_scc1 .LBB94_1090
; %bb.1079:
	s_cmp_gt_i32 s0, 24
	s_cbranch_scc0 .LBB94_1091
; %bb.1080:
	global_load_u8 v1, v[2:3], off
	s_mov_b32 s9, 0
	s_mov_b32 s10, exec_lo
	s_wait_loadcnt 0x0
	v_cmpx_lt_i16_e32 0x7f, v1
	s_xor_b32 s10, exec_lo, s10
	s_cbranch_execz .LBB94_1102
; %bb.1081:
	s_mov_b32 s9, -1
	s_mov_b32 s13, exec_lo
	v_cmpx_eq_u16_e32 0x80, v1
; %bb.1082:
	s_xor_b32 s9, exec_lo, -1
; %bb.1083:
	s_or_b32 exec_lo, exec_lo, s13
	s_delay_alu instid0(SALU_CYCLE_1)
	s_and_b32 s9, s9, exec_lo
	s_or_saveexec_b32 s10, s10
	v_mov_b32_e32 v5, 0x7f800001
	s_xor_b32 exec_lo, exec_lo, s10
	s_cbranch_execnz .LBB94_1103
.LBB94_1084:
	s_or_b32 exec_lo, exec_lo, s10
	s_and_saveexec_b32 s10, s9
	s_cbranch_execz .LBB94_1086
.LBB94_1085:
	v_and_b32_e32 v5, 0xffff, v1
	s_delay_alu instid0(VALU_DEP_1) | instskip(SKIP_1) | instid1(VALU_DEP_2)
	v_and_b32_e32 v6, 3, v5
	v_bfe_u32 v9, v5, 2, 5
	v_clz_i32_u32_e32 v7, v6
	s_delay_alu instid0(VALU_DEP_2) | instskip(NEXT) | instid1(VALU_DEP_2)
	v_cmp_eq_u32_e32 vcc_lo, 0, v9
	v_min_u32_e32 v7, 32, v7
	s_delay_alu instid0(VALU_DEP_1) | instskip(NEXT) | instid1(VALU_DEP_1)
	v_subrev_nc_u32_e32 v8, 29, v7
	v_dual_lshlrev_b32 v5, v8, v5 :: v_dual_sub_nc_u32 v7, 30, v7
	s_delay_alu instid0(VALU_DEP_1) | instskip(NEXT) | instid1(VALU_DEP_2)
	v_and_b32_e32 v5, 3, v5
	v_dual_lshlrev_b32 v1, 24, v1 :: v_dual_cndmask_b32 v7, v9, v7, vcc_lo
	s_delay_alu instid0(VALU_DEP_2) | instskip(NEXT) | instid1(VALU_DEP_2)
	v_cndmask_b32_e32 v5, v6, v5, vcc_lo
	v_and_b32_e32 v1, 0x80000000, v1
	s_delay_alu instid0(VALU_DEP_3) | instskip(NEXT) | instid1(VALU_DEP_3)
	v_lshl_add_u32 v6, v7, 23, 0x37800000
	v_lshlrev_b32_e32 v5, 21, v5
	s_delay_alu instid0(VALU_DEP_1)
	v_or3_b32 v5, v1, v6, v5
.LBB94_1086:
	s_or_b32 exec_lo, exec_lo, s10
	s_delay_alu instid0(VALU_DEP_1) | instskip(SKIP_2) | instid1(VALU_DEP_2)
	v_bfe_u32 v1, v5, 16, 1
	v_cmp_o_f32_e32 vcc_lo, v5, v5
	s_mov_b32 s9, 0
	v_add3_u32 v1, v5, v1, 0x7fff
	s_delay_alu instid0(VALU_DEP_1) | instskip(NEXT) | instid1(VALU_DEP_1)
	v_lshrrev_b32_e32 v1, 16, v1
	v_cndmask_b32_e32 v5, 0x7fc0, v1, vcc_lo
	s_branch .LBB94_1092
.LBB94_1087:
                                        ; implicit-def: $vgpr5
	s_mov_b32 s10, 0
	s_branch .LBB94_1098
.LBB94_1088:
	s_or_saveexec_b32 s13, s13
	v_mov_b32_e32 v5, 0x7f800001
	s_xor_b32 exec_lo, exec_lo, s13
	s_cbranch_execz .LBB94_1072
.LBB94_1089:
	v_cmp_ne_u16_e32 vcc_lo, 0, v1
	v_mov_b32_e32 v5, 0
	s_and_not1_b32 s9, s9, exec_lo
	s_and_b32 s14, vcc_lo, exec_lo
	s_delay_alu instid0(SALU_CYCLE_1)
	s_or_b32 s9, s9, s14
	s_or_b32 exec_lo, exec_lo, s13
	s_and_saveexec_b32 s13, s9
	s_cbranch_execnz .LBB94_1073
	s_branch .LBB94_1074
.LBB94_1090:
	s_mov_b32 s9, -1
                                        ; implicit-def: $vgpr5
	s_branch .LBB94_1095
.LBB94_1091:
	s_mov_b32 s9, -1
                                        ; implicit-def: $vgpr5
.LBB94_1092:
	s_delay_alu instid0(SALU_CYCLE_1)
	s_and_b32 vcc_lo, exec_lo, s9
	s_cbranch_vccz .LBB94_1094
; %bb.1093:
	global_load_u8 v1, v[2:3], off
	s_wait_loadcnt 0x0
	v_lshlrev_b32_e32 v1, 24, v1
	s_delay_alu instid0(VALU_DEP_1) | instskip(NEXT) | instid1(VALU_DEP_1)
	v_and_b32_e32 v5, 0x7f000000, v1
	v_clz_i32_u32_e32 v6, v5
	v_cmp_ne_u32_e32 vcc_lo, 0, v5
	v_add_nc_u32_e32 v8, 0x1000000, v5
	s_delay_alu instid0(VALU_DEP_3) | instskip(NEXT) | instid1(VALU_DEP_1)
	v_min_u32_e32 v6, 32, v6
	v_sub_nc_u32_e64 v6, v6, 4 clamp
	s_delay_alu instid0(VALU_DEP_1) | instskip(NEXT) | instid1(VALU_DEP_1)
	v_dual_lshlrev_b32 v7, v6, v5 :: v_dual_lshlrev_b32 v6, 23, v6
	v_lshrrev_b32_e32 v7, 4, v7
	s_delay_alu instid0(VALU_DEP_1) | instskip(NEXT) | instid1(VALU_DEP_1)
	v_dual_sub_nc_u32 v6, v7, v6 :: v_dual_ashrrev_i32 v7, 8, v8
	v_add_nc_u32_e32 v6, 0x3c000000, v6
	s_delay_alu instid0(VALU_DEP_1) | instskip(NEXT) | instid1(VALU_DEP_1)
	v_and_or_b32 v6, 0x7f800000, v7, v6
	v_cndmask_b32_e32 v5, 0, v6, vcc_lo
	s_delay_alu instid0(VALU_DEP_1) | instskip(SKIP_1) | instid1(VALU_DEP_2)
	v_and_or_b32 v1, 0x80000000, v1, v5
	v_bfe_u32 v5, v5, 16, 1
	v_cmp_o_f32_e32 vcc_lo, v1, v1
	s_delay_alu instid0(VALU_DEP_2) | instskip(NEXT) | instid1(VALU_DEP_1)
	v_add3_u32 v5, v1, v5, 0x7fff
	v_lshrrev_b32_e32 v5, 16, v5
	s_delay_alu instid0(VALU_DEP_1)
	v_cndmask_b32_e32 v5, 0x7fc0, v5, vcc_lo
.LBB94_1094:
	s_mov_b32 s9, 0
.LBB94_1095:
	s_delay_alu instid0(SALU_CYCLE_1)
	s_and_not1_b32 vcc_lo, exec_lo, s9
	s_cbranch_vccnz .LBB94_1097
; %bb.1096:
	global_load_u8 v1, v[2:3], off
	s_wait_loadcnt 0x0
	v_lshlrev_b32_e32 v5, 25, v1
	v_lshlrev_b16 v1, 8, v1
	s_delay_alu instid0(VALU_DEP_1) | instskip(SKIP_1) | instid1(VALU_DEP_2)
	v_and_or_b32 v7, 0x7f00, v1, 0.5
	v_bfe_i32 v1, v1, 0, 16
	v_dual_add_f32 v7, -0.5, v7 :: v_dual_lshrrev_b32 v6, 4, v5
	v_cmp_gt_u32_e32 vcc_lo, 0x8000000, v5
	s_delay_alu instid0(VALU_DEP_2) | instskip(NEXT) | instid1(VALU_DEP_1)
	v_or_b32_e32 v6, 0x70000000, v6
	v_mul_f32_e32 v6, 0x7800000, v6
	s_delay_alu instid0(VALU_DEP_1) | instskip(NEXT) | instid1(VALU_DEP_1)
	v_cndmask_b32_e32 v5, v6, v7, vcc_lo
	v_and_or_b32 v1, 0x80000000, v1, v5
	v_bfe_u32 v5, v5, 16, 1
	s_delay_alu instid0(VALU_DEP_2) | instskip(NEXT) | instid1(VALU_DEP_2)
	v_cmp_o_f32_e32 vcc_lo, v1, v1
	v_add3_u32 v5, v1, v5, 0x7fff
	s_delay_alu instid0(VALU_DEP_1) | instskip(NEXT) | instid1(VALU_DEP_1)
	v_lshrrev_b32_e32 v5, 16, v5
	v_cndmask_b32_e32 v5, 0x7fc0, v5, vcc_lo
.LBB94_1097:
	s_mov_b32 s13, -1
	s_mov_b32 s10, 0
	s_cbranch_execnz .LBB94_1108
.LBB94_1098:
	s_cmp_gt_i32 s0, 14
	s_cbranch_scc0 .LBB94_1101
; %bb.1099:
	s_cmp_eq_u32 s0, 15
	s_cbranch_scc0 .LBB94_1104
; %bb.1100:
	s_wait_loadcnt 0x0
	global_load_u16 v5, v[2:3], off
	s_mov_b32 s1, 0
	s_mov_b32 s13, -1
	s_branch .LBB94_1105
.LBB94_1101:
	s_mov_b32 s9, -1
                                        ; implicit-def: $vgpr5
	s_branch .LBB94_1106
.LBB94_1102:
	s_or_saveexec_b32 s10, s10
	v_mov_b32_e32 v5, 0x7f800001
	s_xor_b32 exec_lo, exec_lo, s10
	s_cbranch_execz .LBB94_1084
.LBB94_1103:
	v_cmp_ne_u16_e32 vcc_lo, 0, v1
	v_mov_b32_e32 v5, 0
	s_and_not1_b32 s9, s9, exec_lo
	s_and_b32 s13, vcc_lo, exec_lo
	s_delay_alu instid0(SALU_CYCLE_1)
	s_or_b32 s9, s9, s13
	s_or_b32 exec_lo, exec_lo, s10
	s_and_saveexec_b32 s10, s9
	s_cbranch_execnz .LBB94_1085
	s_branch .LBB94_1086
.LBB94_1104:
	s_mov_b32 s1, -1
                                        ; implicit-def: $vgpr5
.LBB94_1105:
	s_mov_b32 s9, 0
.LBB94_1106:
	s_delay_alu instid0(SALU_CYCLE_1)
	s_and_b32 vcc_lo, exec_lo, s9
	s_cbranch_vccz .LBB94_1108
; %bb.1107:
	s_cmp_lg_u32 s0, 11
	s_mov_b32 s10, -1
	s_cselect_b32 s1, -1, 0
.LBB94_1108:
	s_delay_alu instid0(SALU_CYCLE_1)
	s_and_b32 vcc_lo, exec_lo, s1
	s_mov_b32 s9, s12
	s_cbranch_vccnz .LBB94_1169
; %bb.1109:
	s_and_not1_b32 vcc_lo, exec_lo, s10
	s_cbranch_vccnz .LBB94_1111
.LBB94_1110:
	global_load_u8 v1, v[2:3], off
	s_mov_b32 s13, -1
	s_wait_loadcnt 0x0
	v_cmp_ne_u16_e32 vcc_lo, 0, v1
	v_cndmask_b32_e64 v1, 0, 1.0, vcc_lo
	s_delay_alu instid0(VALU_DEP_1)
	v_lshrrev_b32_e32 v5, 16, v1
.LBB94_1111:
	s_branch .LBB94_1040
.LBB94_1112:
	s_cmp_lt_i32 s0, 5
	s_cbranch_scc1 .LBB94_1117
; %bb.1113:
	s_cmp_lt_i32 s0, 8
	s_cbranch_scc1 .LBB94_1118
; %bb.1114:
	;; [unrolled: 3-line block ×3, first 2 shown]
	s_cmp_gt_i32 s0, 9
	s_cbranch_scc0 .LBB94_1120
; %bb.1116:
	global_load_b64 v[6:7], v[2:3], off
	s_mov_b32 s1, 0
	s_wait_loadcnt 0x0
	v_cvt_f32_f64_e32 v1, v[6:7]
	s_delay_alu instid0(VALU_DEP_1) | instskip(SKIP_1) | instid1(VALU_DEP_2)
	v_bfe_u32 v5, v1, 16, 1
	v_cmp_o_f32_e32 vcc_lo, v1, v1
	v_add3_u32 v5, v1, v5, 0x7fff
	s_delay_alu instid0(VALU_DEP_1) | instskip(NEXT) | instid1(VALU_DEP_1)
	v_lshrrev_b32_e32 v5, 16, v5
	v_cndmask_b32_e32 v5, 0x7fc0, v5, vcc_lo
	s_branch .LBB94_1121
.LBB94_1117:
                                        ; implicit-def: $vgpr5
	s_branch .LBB94_1138
.LBB94_1118:
                                        ; implicit-def: $vgpr5
	s_branch .LBB94_1127
.LBB94_1119:
	s_mov_b32 s1, -1
                                        ; implicit-def: $vgpr5
	s_branch .LBB94_1124
.LBB94_1120:
	s_mov_b32 s1, -1
                                        ; implicit-def: $vgpr5
.LBB94_1121:
	s_delay_alu instid0(SALU_CYCLE_1)
	s_and_not1_b32 vcc_lo, exec_lo, s1
	s_cbranch_vccnz .LBB94_1123
; %bb.1122:
	global_load_b32 v1, v[2:3], off
	s_wait_loadcnt 0x0
	v_bfe_u32 v5, v1, 16, 1
	v_cmp_o_f32_e32 vcc_lo, v1, v1
	s_delay_alu instid0(VALU_DEP_2) | instskip(NEXT) | instid1(VALU_DEP_1)
	v_add3_u32 v5, v1, v5, 0x7fff
	v_lshrrev_b32_e32 v5, 16, v5
	s_delay_alu instid0(VALU_DEP_1)
	v_cndmask_b32_e32 v5, 0x7fc0, v5, vcc_lo
.LBB94_1123:
	s_mov_b32 s1, 0
.LBB94_1124:
	s_delay_alu instid0(SALU_CYCLE_1)
	s_and_not1_b32 vcc_lo, exec_lo, s1
	s_cbranch_vccnz .LBB94_1126
; %bb.1125:
	global_load_b32 v1, v[2:3], off
	s_wait_loadcnt 0x0
	v_cvt_f32_f16_e32 v5, v1
	v_cmp_o_f16_e32 vcc_lo, v1, v1
	s_delay_alu instid0(VALU_DEP_2) | instskip(NEXT) | instid1(VALU_DEP_1)
	v_bfe_u32 v6, v5, 16, 1
	v_add3_u32 v5, v5, v6, 0x7fff
	s_delay_alu instid0(VALU_DEP_1) | instskip(NEXT) | instid1(VALU_DEP_1)
	v_lshrrev_b32_e32 v5, 16, v5
	v_cndmask_b32_e32 v5, 0x7fc0, v5, vcc_lo
.LBB94_1126:
	s_cbranch_execnz .LBB94_1137
.LBB94_1127:
	s_cmp_lt_i32 s0, 6
	s_cbranch_scc1 .LBB94_1130
; %bb.1128:
	s_cmp_gt_i32 s0, 6
	s_cbranch_scc0 .LBB94_1131
; %bb.1129:
	global_load_b64 v[6:7], v[2:3], off
	s_mov_b32 s1, 0
	s_wait_loadcnt 0x0
	v_cvt_f32_f64_e32 v1, v[6:7]
	s_delay_alu instid0(VALU_DEP_1) | instskip(SKIP_1) | instid1(VALU_DEP_2)
	v_bfe_u32 v5, v1, 16, 1
	v_cmp_o_f32_e32 vcc_lo, v1, v1
	v_add3_u32 v5, v1, v5, 0x7fff
	s_delay_alu instid0(VALU_DEP_1) | instskip(NEXT) | instid1(VALU_DEP_1)
	v_lshrrev_b32_e32 v5, 16, v5
	v_cndmask_b32_e32 v5, 0x7fc0, v5, vcc_lo
	s_branch .LBB94_1132
.LBB94_1130:
	s_mov_b32 s1, -1
                                        ; implicit-def: $vgpr5
	s_branch .LBB94_1135
.LBB94_1131:
	s_mov_b32 s1, -1
                                        ; implicit-def: $vgpr5
.LBB94_1132:
	s_delay_alu instid0(SALU_CYCLE_1)
	s_and_not1_b32 vcc_lo, exec_lo, s1
	s_cbranch_vccnz .LBB94_1134
; %bb.1133:
	global_load_b32 v1, v[2:3], off
	s_wait_loadcnt 0x0
	v_bfe_u32 v5, v1, 16, 1
	v_cmp_o_f32_e32 vcc_lo, v1, v1
	s_delay_alu instid0(VALU_DEP_2) | instskip(NEXT) | instid1(VALU_DEP_1)
	v_add3_u32 v5, v1, v5, 0x7fff
	v_lshrrev_b32_e32 v5, 16, v5
	s_delay_alu instid0(VALU_DEP_1)
	v_cndmask_b32_e32 v5, 0x7fc0, v5, vcc_lo
.LBB94_1134:
	s_mov_b32 s1, 0
.LBB94_1135:
	s_delay_alu instid0(SALU_CYCLE_1)
	s_and_not1_b32 vcc_lo, exec_lo, s1
	s_cbranch_vccnz .LBB94_1137
; %bb.1136:
	global_load_u16 v1, v[2:3], off
	s_wait_loadcnt 0x0
	v_cvt_f32_f16_e32 v5, v1
	v_cmp_o_f16_e32 vcc_lo, v1, v1
	s_delay_alu instid0(VALU_DEP_2) | instskip(NEXT) | instid1(VALU_DEP_1)
	v_bfe_u32 v6, v5, 16, 1
	v_add3_u32 v5, v5, v6, 0x7fff
	s_delay_alu instid0(VALU_DEP_1) | instskip(NEXT) | instid1(VALU_DEP_1)
	v_lshrrev_b32_e32 v5, 16, v5
	v_cndmask_b32_e32 v5, 0x7fc0, v5, vcc_lo
.LBB94_1137:
	s_cbranch_execnz .LBB94_1156
.LBB94_1138:
	s_cmp_lt_i32 s0, 2
	s_cbranch_scc1 .LBB94_1142
; %bb.1139:
	s_cmp_lt_i32 s0, 3
	s_cbranch_scc1 .LBB94_1143
; %bb.1140:
	s_cmp_gt_i32 s0, 3
	s_cbranch_scc0 .LBB94_1144
; %bb.1141:
	global_load_b64 v[6:7], v[2:3], off
	s_mov_b32 s1, 0
	s_wait_loadcnt 0x0
	v_xor_b32_e32 v1, v6, v7
	v_cls_i32_e32 v5, v7
	s_delay_alu instid0(VALU_DEP_2) | instskip(NEXT) | instid1(VALU_DEP_1)
	v_ashrrev_i32_e32 v1, 31, v1
	v_add_nc_u32_e32 v1, 32, v1
	s_delay_alu instid0(VALU_DEP_1) | instskip(NEXT) | instid1(VALU_DEP_1)
	v_add_min_u32_e64 v1, v5, -1, v1
	v_lshlrev_b64_e32 v[6:7], v1, v[6:7]
	v_sub_nc_u32_e32 v1, 32, v1
	s_delay_alu instid0(VALU_DEP_2) | instskip(NEXT) | instid1(VALU_DEP_1)
	v_min_u32_e32 v5, 1, v6
	v_or_b32_e32 v5, v7, v5
	s_delay_alu instid0(VALU_DEP_1) | instskip(NEXT) | instid1(VALU_DEP_1)
	v_cvt_f32_i32_e32 v5, v5
	v_ldexp_f32 v1, v5, v1
	s_delay_alu instid0(VALU_DEP_1) | instskip(NEXT) | instid1(VALU_DEP_1)
	v_bfe_u32 v5, v1, 16, 1
	v_add3_u32 v1, v1, v5, 0x7fff
	s_delay_alu instid0(VALU_DEP_1)
	v_lshrrev_b32_e32 v5, 16, v1
	s_branch .LBB94_1145
.LBB94_1142:
                                        ; implicit-def: $vgpr5
	s_branch .LBB94_1151
.LBB94_1143:
	s_mov_b32 s1, -1
                                        ; implicit-def: $vgpr5
	s_branch .LBB94_1148
.LBB94_1144:
	s_mov_b32 s1, -1
                                        ; implicit-def: $vgpr5
.LBB94_1145:
	s_delay_alu instid0(SALU_CYCLE_1)
	s_and_not1_b32 vcc_lo, exec_lo, s1
	s_cbranch_vccnz .LBB94_1147
; %bb.1146:
	global_load_b32 v1, v[2:3], off
	s_wait_loadcnt 0x0
	v_cvt_f32_i32_e32 v1, v1
	s_delay_alu instid0(VALU_DEP_1) | instskip(NEXT) | instid1(VALU_DEP_1)
	v_bfe_u32 v5, v1, 16, 1
	v_add3_u32 v1, v1, v5, 0x7fff
	s_delay_alu instid0(VALU_DEP_1)
	v_lshrrev_b32_e32 v5, 16, v1
.LBB94_1147:
	s_mov_b32 s1, 0
.LBB94_1148:
	s_delay_alu instid0(SALU_CYCLE_1)
	s_and_not1_b32 vcc_lo, exec_lo, s1
	s_cbranch_vccnz .LBB94_1150
; %bb.1149:
	global_load_i16 v1, v[2:3], off
	s_wait_loadcnt 0x0
	v_cvt_f32_i32_e32 v1, v1
	s_delay_alu instid0(VALU_DEP_1) | instskip(NEXT) | instid1(VALU_DEP_1)
	v_bfe_u32 v5, v1, 16, 1
	v_add3_u32 v1, v1, v5, 0x7fff
	s_delay_alu instid0(VALU_DEP_1)
	v_lshrrev_b32_e32 v5, 16, v1
.LBB94_1150:
	s_cbranch_execnz .LBB94_1156
.LBB94_1151:
	s_cmp_gt_i32 s0, 0
	s_mov_b32 s1, 0
	s_cbranch_scc0 .LBB94_1153
; %bb.1152:
	global_load_i8 v1, v[2:3], off
	s_wait_loadcnt 0x0
	v_cvt_f32_i32_e32 v1, v1
	s_delay_alu instid0(VALU_DEP_1) | instskip(NEXT) | instid1(VALU_DEP_1)
	v_bfe_u32 v5, v1, 16, 1
	v_add3_u32 v1, v1, v5, 0x7fff
	s_delay_alu instid0(VALU_DEP_1)
	v_lshrrev_b32_e32 v5, 16, v1
	s_branch .LBB94_1154
.LBB94_1153:
	s_mov_b32 s1, -1
                                        ; implicit-def: $vgpr5
.LBB94_1154:
	s_delay_alu instid0(SALU_CYCLE_1)
	s_and_not1_b32 vcc_lo, exec_lo, s1
	s_cbranch_vccnz .LBB94_1156
; %bb.1155:
	global_load_u8 v1, v[2:3], off
	s_wait_loadcnt 0x0
	v_cvt_f32_ubyte0_e32 v1, v1
	s_wait_xcnt 0x0
	s_delay_alu instid0(VALU_DEP_1) | instskip(NEXT) | instid1(VALU_DEP_1)
	v_bfe_u32 v2, v1, 16, 1
	v_add3_u32 v1, v1, v2, 0x7fff
	s_delay_alu instid0(VALU_DEP_1)
	v_lshrrev_b32_e32 v5, 16, v1
.LBB94_1156:
.LBB94_1157:
	s_lshl_b32 s1, s3, 7
	s_cmp_lt_i32 s0, 11
	v_add_nc_u32_e32 v0, s1, v0
	s_delay_alu instid0(VALU_DEP_1) | instskip(SKIP_1) | instid1(VALU_DEP_1)
	v_ashrrev_i32_e32 v1, 31, v0
	s_wait_xcnt 0x0
	v_add_nc_u64_e32 v[2:3], s[6:7], v[0:1]
	s_cbranch_scc1 .LBB94_1164
; %bb.1158:
	s_cmp_gt_i32 s0, 25
	s_mov_b32 s10, 0
	s_cbranch_scc0 .LBB94_1166
; %bb.1159:
	s_cmp_gt_i32 s0, 28
	s_cbranch_scc0 .LBB94_1167
; %bb.1160:
	s_cmp_gt_i32 s0, 43
	;; [unrolled: 3-line block ×3, first 2 shown]
	s_cbranch_scc0 .LBB94_1170
; %bb.1162:
	s_cmp_eq_u32 s0, 46
	s_mov_b32 s14, 0
	s_cbranch_scc0 .LBB94_1173
; %bb.1163:
	global_load_b32 v6, v[2:3], off
	s_mov_b32 s3, 0
	s_mov_b32 s13, -1
	s_branch .LBB94_1175
.LBB94_1164:
	s_mov_b32 s13, 0
                                        ; implicit-def: $vgpr6
	s_cbranch_execnz .LBB94_1240
.LBB94_1165:
	s_and_not1_b32 vcc_lo, exec_lo, s13
	s_cbranch_vccnz .LBB94_1981
	s_branch .LBB94_1287
.LBB94_1166:
	s_mov_b32 s13, 0
	s_mov_b32 s3, 0
                                        ; implicit-def: $vgpr6
	s_cbranch_execnz .LBB94_1204
	s_branch .LBB94_1236
.LBB94_1167:
	s_mov_b32 s14, -1
	s_mov_b32 s13, 0
	s_mov_b32 s3, 0
                                        ; implicit-def: $vgpr6
	s_branch .LBB94_1185
.LBB94_1168:
	s_mov_b32 s14, -1
	s_mov_b32 s13, 0
	s_mov_b32 s3, 0
                                        ; implicit-def: $vgpr6
	s_branch .LBB94_1180
.LBB94_1169:
	s_or_b32 s9, s12, exec_lo
	s_trap 2
	s_cbranch_execz .LBB94_1110
	s_branch .LBB94_1111
.LBB94_1170:
	s_mov_b32 s14, -1
	s_mov_b32 s13, 0
	s_mov_b32 s3, 0
	s_branch .LBB94_1174
.LBB94_1171:
	s_and_not1_saveexec_b32 s20, s20
	s_cbranch_execz .LBB94_956
.LBB94_1172:
	v_add_f32_e32 v2, 0x42800000, v3
	s_and_not1_b32 s19, s19, exec_lo
	s_delay_alu instid0(VALU_DEP_1) | instskip(NEXT) | instid1(VALU_DEP_1)
	v_and_b32_e32 v2, 0xff, v2
	v_cmp_ne_u32_e32 vcc_lo, 0, v2
	s_and_b32 s21, vcc_lo, exec_lo
	s_delay_alu instid0(SALU_CYCLE_1)
	s_or_b32 s19, s19, s21
	s_or_b32 exec_lo, exec_lo, s20
	v_mov_b32_e32 v4, 0
	s_and_saveexec_b32 s20, s19
	s_cbranch_execnz .LBB94_957
	s_branch .LBB94_958
.LBB94_1173:
	s_mov_b32 s3, -1
	s_mov_b32 s13, 0
.LBB94_1174:
                                        ; implicit-def: $vgpr6
.LBB94_1175:
	s_and_b32 vcc_lo, exec_lo, s14
	s_cbranch_vccz .LBB94_1179
; %bb.1176:
	s_cmp_eq_u32 s0, 44
	s_cbranch_scc0 .LBB94_1178
; %bb.1177:
	global_load_u8 v1, v[2:3], off
	s_mov_b32 s3, 0
	s_mov_b32 s13, -1
	s_wait_loadcnt 0x0
	v_lshlrev_b32_e32 v6, 23, v1
	v_cmp_ne_u32_e32 vcc_lo, 0xff, v1
	s_delay_alu instid0(VALU_DEP_2) | instskip(SKIP_1) | instid1(VALU_DEP_2)
	v_cndmask_b32_e32 v6, 0x7f800001, v6, vcc_lo
	v_cmp_ne_u32_e32 vcc_lo, 0, v1
	v_cndmask_b32_e32 v1, 0x400000, v6, vcc_lo
	s_delay_alu instid0(VALU_DEP_1) | instskip(NEXT) | instid1(VALU_DEP_1)
	v_add_nc_u32_e32 v6, 0x7fff, v1
	v_lshrrev_b32_e32 v6, 16, v6
	v_cmp_o_f32_e32 vcc_lo, v1, v1
	s_delay_alu instid0(VALU_DEP_2)
	v_cndmask_b32_e32 v6, 0x7fc0, v6, vcc_lo
	s_branch .LBB94_1179
.LBB94_1178:
	s_mov_b32 s3, -1
                                        ; implicit-def: $vgpr6
.LBB94_1179:
	s_mov_b32 s14, 0
.LBB94_1180:
	s_delay_alu instid0(SALU_CYCLE_1)
	s_and_b32 vcc_lo, exec_lo, s14
	s_cbranch_vccz .LBB94_1184
; %bb.1181:
	s_cmp_eq_u32 s0, 29
	s_cbranch_scc0 .LBB94_1183
; %bb.1182:
	s_wait_loadcnt 0x0
	global_load_b64 v[6:7], v[2:3], off
	s_mov_b32 s3, 0
	s_mov_b32 s13, -1
	s_mov_b32 s14, 0
	s_wait_loadcnt 0x0
	v_clz_i32_u32_e32 v1, v7
	s_delay_alu instid0(VALU_DEP_1) | instskip(NEXT) | instid1(VALU_DEP_1)
	v_min_u32_e32 v1, 32, v1
	v_lshlrev_b64_e32 v[6:7], v1, v[6:7]
	v_sub_nc_u32_e32 v1, 32, v1
	s_delay_alu instid0(VALU_DEP_2) | instskip(NEXT) | instid1(VALU_DEP_1)
	v_min_u32_e32 v6, 1, v6
	v_or_b32_e32 v6, v7, v6
	s_delay_alu instid0(VALU_DEP_1) | instskip(NEXT) | instid1(VALU_DEP_1)
	v_cvt_f32_u32_e32 v6, v6
	v_ldexp_f32 v1, v6, v1
	s_delay_alu instid0(VALU_DEP_1) | instskip(NEXT) | instid1(VALU_DEP_1)
	v_bfe_u32 v6, v1, 16, 1
	v_add3_u32 v1, v1, v6, 0x7fff
	s_delay_alu instid0(VALU_DEP_1)
	v_lshrrev_b32_e32 v6, 16, v1
	s_branch .LBB94_1185
.LBB94_1183:
	s_mov_b32 s3, -1
                                        ; implicit-def: $vgpr6
.LBB94_1184:
	s_mov_b32 s14, 0
.LBB94_1185:
	s_delay_alu instid0(SALU_CYCLE_1)
	s_and_b32 vcc_lo, exec_lo, s14
	s_cbranch_vccz .LBB94_1203
; %bb.1186:
	s_cmp_lt_i32 s0, 27
	s_cbranch_scc1 .LBB94_1189
; %bb.1187:
	s_cmp_gt_i32 s0, 27
	s_cbranch_scc0 .LBB94_1190
; %bb.1188:
	global_load_b32 v1, v[2:3], off
	s_mov_b32 s13, 0
	s_wait_loadcnt 0x0
	v_cvt_f32_u32_e32 v1, v1
	s_delay_alu instid0(VALU_DEP_1) | instskip(NEXT) | instid1(VALU_DEP_1)
	v_bfe_u32 v6, v1, 16, 1
	v_add3_u32 v1, v1, v6, 0x7fff
	s_delay_alu instid0(VALU_DEP_1)
	v_lshrrev_b32_e32 v6, 16, v1
	s_branch .LBB94_1191
.LBB94_1189:
	s_mov_b32 s13, -1
                                        ; implicit-def: $vgpr6
	s_branch .LBB94_1194
.LBB94_1190:
	s_mov_b32 s13, -1
                                        ; implicit-def: $vgpr6
.LBB94_1191:
	s_delay_alu instid0(SALU_CYCLE_1)
	s_and_not1_b32 vcc_lo, exec_lo, s13
	s_cbranch_vccnz .LBB94_1193
; %bb.1192:
	global_load_u16 v1, v[2:3], off
	s_wait_loadcnt 0x0
	v_cvt_f32_u32_e32 v1, v1
	s_delay_alu instid0(VALU_DEP_1) | instskip(NEXT) | instid1(VALU_DEP_1)
	v_bfe_u32 v6, v1, 16, 1
	v_add3_u32 v1, v1, v6, 0x7fff
	s_delay_alu instid0(VALU_DEP_1)
	v_lshrrev_b32_e32 v6, 16, v1
.LBB94_1193:
	s_mov_b32 s13, 0
.LBB94_1194:
	s_delay_alu instid0(SALU_CYCLE_1)
	s_and_not1_b32 vcc_lo, exec_lo, s13
	s_cbranch_vccnz .LBB94_1202
; %bb.1195:
	global_load_u8 v1, v[2:3], off
	s_mov_b32 s13, 0
	s_mov_b32 s14, exec_lo
	s_wait_loadcnt 0x0
	v_cmpx_lt_i16_e32 0x7f, v1
	s_xor_b32 s14, exec_lo, s14
	s_cbranch_execz .LBB94_1215
; %bb.1196:
	s_mov_b32 s13, -1
	s_mov_b32 s15, exec_lo
	v_cmpx_eq_u16_e32 0x80, v1
; %bb.1197:
	s_xor_b32 s13, exec_lo, -1
; %bb.1198:
	s_or_b32 exec_lo, exec_lo, s15
	s_delay_alu instid0(SALU_CYCLE_1)
	s_and_b32 s13, s13, exec_lo
	s_or_saveexec_b32 s14, s14
	v_mov_b32_e32 v6, 0x7f800001
	s_xor_b32 exec_lo, exec_lo, s14
	s_cbranch_execnz .LBB94_1216
.LBB94_1199:
	s_or_b32 exec_lo, exec_lo, s14
	s_and_saveexec_b32 s14, s13
	s_cbranch_execz .LBB94_1201
.LBB94_1200:
	v_and_b32_e32 v6, 0xffff, v1
	s_delay_alu instid0(VALU_DEP_1) | instskip(SKIP_1) | instid1(VALU_DEP_2)
	v_and_b32_e32 v7, 7, v6
	v_bfe_u32 v10, v6, 3, 4
	v_clz_i32_u32_e32 v8, v7
	s_delay_alu instid0(VALU_DEP_2) | instskip(NEXT) | instid1(VALU_DEP_2)
	v_cmp_eq_u32_e32 vcc_lo, 0, v10
	v_min_u32_e32 v8, 32, v8
	s_delay_alu instid0(VALU_DEP_1) | instskip(NEXT) | instid1(VALU_DEP_1)
	v_subrev_nc_u32_e32 v9, 28, v8
	v_dual_lshlrev_b32 v6, v9, v6 :: v_dual_sub_nc_u32 v8, 29, v8
	s_delay_alu instid0(VALU_DEP_1) | instskip(NEXT) | instid1(VALU_DEP_1)
	v_dual_lshlrev_b32 v1, 24, v1 :: v_dual_bitop2_b32 v6, 7, v6 bitop3:0x40
	v_dual_cndmask_b32 v8, v10, v8, vcc_lo :: v_dual_cndmask_b32 v6, v7, v6, vcc_lo
	s_delay_alu instid0(VALU_DEP_2) | instskip(NEXT) | instid1(VALU_DEP_2)
	v_and_b32_e32 v1, 0x80000000, v1
	v_lshl_add_u32 v7, v8, 23, 0x3b800000
	s_delay_alu instid0(VALU_DEP_3) | instskip(NEXT) | instid1(VALU_DEP_1)
	v_lshlrev_b32_e32 v6, 20, v6
	v_or3_b32 v6, v1, v7, v6
.LBB94_1201:
	s_or_b32 exec_lo, exec_lo, s14
	s_delay_alu instid0(VALU_DEP_1) | instskip(SKIP_1) | instid1(VALU_DEP_2)
	v_bfe_u32 v1, v6, 16, 1
	v_cmp_o_f32_e32 vcc_lo, v6, v6
	v_add3_u32 v1, v6, v1, 0x7fff
	s_delay_alu instid0(VALU_DEP_1) | instskip(NEXT) | instid1(VALU_DEP_1)
	v_lshrrev_b32_e32 v1, 16, v1
	v_cndmask_b32_e32 v6, 0x7fc0, v1, vcc_lo
.LBB94_1202:
	s_mov_b32 s13, -1
.LBB94_1203:
	s_branch .LBB94_1236
.LBB94_1204:
	s_cmp_gt_i32 s0, 22
	s_cbranch_scc0 .LBB94_1214
; %bb.1205:
	s_cmp_lt_i32 s0, 24
	s_cbranch_scc1 .LBB94_1217
; %bb.1206:
	s_cmp_gt_i32 s0, 24
	s_cbranch_scc0 .LBB94_1218
; %bb.1207:
	global_load_u8 v1, v[2:3], off
	s_mov_b32 s13, exec_lo
	s_wait_loadcnt 0x0
	v_cmpx_lt_i16_e32 0x7f, v1
	s_xor_b32 s13, exec_lo, s13
	s_cbranch_execz .LBB94_1230
; %bb.1208:
	s_mov_b32 s10, -1
	s_mov_b32 s14, exec_lo
	v_cmpx_eq_u16_e32 0x80, v1
; %bb.1209:
	s_xor_b32 s10, exec_lo, -1
; %bb.1210:
	s_or_b32 exec_lo, exec_lo, s14
	s_delay_alu instid0(SALU_CYCLE_1)
	s_and_b32 s10, s10, exec_lo
	s_or_saveexec_b32 s13, s13
	v_mov_b32_e32 v6, 0x7f800001
	s_xor_b32 exec_lo, exec_lo, s13
	s_cbranch_execnz .LBB94_1231
.LBB94_1211:
	s_or_b32 exec_lo, exec_lo, s13
	s_and_saveexec_b32 s13, s10
	s_cbranch_execz .LBB94_1213
.LBB94_1212:
	v_and_b32_e32 v6, 0xffff, v1
	s_delay_alu instid0(VALU_DEP_1) | instskip(SKIP_1) | instid1(VALU_DEP_2)
	v_and_b32_e32 v7, 3, v6
	v_bfe_u32 v10, v6, 2, 5
	v_clz_i32_u32_e32 v8, v7
	s_delay_alu instid0(VALU_DEP_2) | instskip(NEXT) | instid1(VALU_DEP_2)
	v_cmp_eq_u32_e32 vcc_lo, 0, v10
	v_min_u32_e32 v8, 32, v8
	s_delay_alu instid0(VALU_DEP_1) | instskip(NEXT) | instid1(VALU_DEP_1)
	v_subrev_nc_u32_e32 v9, 29, v8
	v_dual_lshlrev_b32 v6, v9, v6 :: v_dual_sub_nc_u32 v8, 30, v8
	s_delay_alu instid0(VALU_DEP_1) | instskip(NEXT) | instid1(VALU_DEP_1)
	v_dual_lshlrev_b32 v1, 24, v1 :: v_dual_bitop2_b32 v6, 3, v6 bitop3:0x40
	v_dual_cndmask_b32 v8, v10, v8, vcc_lo :: v_dual_cndmask_b32 v6, v7, v6, vcc_lo
	s_delay_alu instid0(VALU_DEP_2) | instskip(NEXT) | instid1(VALU_DEP_2)
	v_and_b32_e32 v1, 0x80000000, v1
	v_lshl_add_u32 v7, v8, 23, 0x37800000
	s_delay_alu instid0(VALU_DEP_3) | instskip(NEXT) | instid1(VALU_DEP_1)
	v_lshlrev_b32_e32 v6, 21, v6
	v_or3_b32 v6, v1, v7, v6
.LBB94_1213:
	s_or_b32 exec_lo, exec_lo, s13
	s_delay_alu instid0(VALU_DEP_1) | instskip(SKIP_2) | instid1(VALU_DEP_2)
	v_bfe_u32 v1, v6, 16, 1
	v_cmp_o_f32_e32 vcc_lo, v6, v6
	s_mov_b32 s10, 0
	v_add3_u32 v1, v6, v1, 0x7fff
	s_delay_alu instid0(VALU_DEP_1) | instskip(NEXT) | instid1(VALU_DEP_1)
	v_lshrrev_b32_e32 v1, 16, v1
	v_cndmask_b32_e32 v6, 0x7fc0, v1, vcc_lo
	s_branch .LBB94_1219
.LBB94_1214:
	s_mov_b32 s10, -1
                                        ; implicit-def: $vgpr6
	s_branch .LBB94_1225
.LBB94_1215:
	s_or_saveexec_b32 s14, s14
	v_mov_b32_e32 v6, 0x7f800001
	s_xor_b32 exec_lo, exec_lo, s14
	s_cbranch_execz .LBB94_1199
.LBB94_1216:
	v_cmp_ne_u16_e32 vcc_lo, 0, v1
	v_mov_b32_e32 v6, 0
	s_and_not1_b32 s13, s13, exec_lo
	s_and_b32 s15, vcc_lo, exec_lo
	s_delay_alu instid0(SALU_CYCLE_1)
	s_or_b32 s13, s13, s15
	s_or_b32 exec_lo, exec_lo, s14
	s_and_saveexec_b32 s14, s13
	s_cbranch_execnz .LBB94_1200
	s_branch .LBB94_1201
.LBB94_1217:
	s_mov_b32 s10, -1
                                        ; implicit-def: $vgpr6
	s_branch .LBB94_1222
.LBB94_1218:
	s_mov_b32 s10, -1
                                        ; implicit-def: $vgpr6
.LBB94_1219:
	s_delay_alu instid0(SALU_CYCLE_1)
	s_and_b32 vcc_lo, exec_lo, s10
	s_cbranch_vccz .LBB94_1221
; %bb.1220:
	global_load_u8 v1, v[2:3], off
	s_wait_loadcnt 0x0
	v_lshlrev_b32_e32 v1, 24, v1
	s_delay_alu instid0(VALU_DEP_1) | instskip(NEXT) | instid1(VALU_DEP_1)
	v_and_b32_e32 v6, 0x7f000000, v1
	v_clz_i32_u32_e32 v7, v6
	v_cmp_ne_u32_e32 vcc_lo, 0, v6
	v_add_nc_u32_e32 v9, 0x1000000, v6
	s_delay_alu instid0(VALU_DEP_3) | instskip(NEXT) | instid1(VALU_DEP_1)
	v_min_u32_e32 v7, 32, v7
	v_sub_nc_u32_e64 v7, v7, 4 clamp
	s_delay_alu instid0(VALU_DEP_1) | instskip(NEXT) | instid1(VALU_DEP_1)
	v_dual_lshlrev_b32 v8, v7, v6 :: v_dual_lshlrev_b32 v7, 23, v7
	v_lshrrev_b32_e32 v8, 4, v8
	s_delay_alu instid0(VALU_DEP_1) | instskip(NEXT) | instid1(VALU_DEP_1)
	v_dual_sub_nc_u32 v7, v8, v7 :: v_dual_ashrrev_i32 v8, 8, v9
	v_add_nc_u32_e32 v7, 0x3c000000, v7
	s_delay_alu instid0(VALU_DEP_1) | instskip(NEXT) | instid1(VALU_DEP_1)
	v_and_or_b32 v7, 0x7f800000, v8, v7
	v_cndmask_b32_e32 v6, 0, v7, vcc_lo
	s_delay_alu instid0(VALU_DEP_1) | instskip(SKIP_1) | instid1(VALU_DEP_2)
	v_and_or_b32 v1, 0x80000000, v1, v6
	v_bfe_u32 v6, v6, 16, 1
	v_cmp_o_f32_e32 vcc_lo, v1, v1
	s_delay_alu instid0(VALU_DEP_2) | instskip(NEXT) | instid1(VALU_DEP_1)
	v_add3_u32 v6, v1, v6, 0x7fff
	v_lshrrev_b32_e32 v6, 16, v6
	s_delay_alu instid0(VALU_DEP_1)
	v_cndmask_b32_e32 v6, 0x7fc0, v6, vcc_lo
.LBB94_1221:
	s_mov_b32 s10, 0
.LBB94_1222:
	s_delay_alu instid0(SALU_CYCLE_1)
	s_and_not1_b32 vcc_lo, exec_lo, s10
	s_cbranch_vccnz .LBB94_1224
; %bb.1223:
	global_load_u8 v1, v[2:3], off
	s_wait_loadcnt 0x0
	v_lshlrev_b32_e32 v6, 25, v1
	v_lshlrev_b16 v1, 8, v1
	s_delay_alu instid0(VALU_DEP_1) | instskip(SKIP_1) | instid1(VALU_DEP_2)
	v_and_or_b32 v8, 0x7f00, v1, 0.5
	v_bfe_i32 v1, v1, 0, 16
	v_dual_add_f32 v8, -0.5, v8 :: v_dual_lshrrev_b32 v7, 4, v6
	v_cmp_gt_u32_e32 vcc_lo, 0x8000000, v6
	s_delay_alu instid0(VALU_DEP_2) | instskip(NEXT) | instid1(VALU_DEP_1)
	v_or_b32_e32 v7, 0x70000000, v7
	v_mul_f32_e32 v7, 0x7800000, v7
	s_delay_alu instid0(VALU_DEP_1) | instskip(NEXT) | instid1(VALU_DEP_1)
	v_cndmask_b32_e32 v6, v7, v8, vcc_lo
	v_and_or_b32 v1, 0x80000000, v1, v6
	v_bfe_u32 v6, v6, 16, 1
	s_delay_alu instid0(VALU_DEP_2) | instskip(NEXT) | instid1(VALU_DEP_2)
	v_cmp_o_f32_e32 vcc_lo, v1, v1
	v_add3_u32 v6, v1, v6, 0x7fff
	s_delay_alu instid0(VALU_DEP_1) | instskip(NEXT) | instid1(VALU_DEP_1)
	v_lshrrev_b32_e32 v6, 16, v6
	v_cndmask_b32_e32 v6, 0x7fc0, v6, vcc_lo
.LBB94_1224:
	s_mov_b32 s10, 0
	s_mov_b32 s13, -1
.LBB94_1225:
	s_and_not1_b32 vcc_lo, exec_lo, s10
	s_mov_b32 s10, 0
	s_cbranch_vccnz .LBB94_1236
; %bb.1226:
	s_cmp_gt_i32 s0, 14
	s_cbranch_scc0 .LBB94_1229
; %bb.1227:
	s_cmp_eq_u32 s0, 15
	s_cbranch_scc0 .LBB94_1232
; %bb.1228:
	s_wait_loadcnt 0x0
	global_load_u16 v6, v[2:3], off
	s_mov_b32 s3, 0
	s_mov_b32 s13, -1
	s_branch .LBB94_1234
.LBB94_1229:
	s_mov_b32 s10, -1
	s_branch .LBB94_1233
.LBB94_1230:
	s_or_saveexec_b32 s13, s13
	v_mov_b32_e32 v6, 0x7f800001
	s_xor_b32 exec_lo, exec_lo, s13
	s_cbranch_execz .LBB94_1211
.LBB94_1231:
	v_cmp_ne_u16_e32 vcc_lo, 0, v1
	v_mov_b32_e32 v6, 0
	s_and_not1_b32 s10, s10, exec_lo
	s_and_b32 s14, vcc_lo, exec_lo
	s_delay_alu instid0(SALU_CYCLE_1)
	s_or_b32 s10, s10, s14
	s_or_b32 exec_lo, exec_lo, s13
	s_and_saveexec_b32 s13, s10
	s_cbranch_execnz .LBB94_1212
	s_branch .LBB94_1213
.LBB94_1232:
	s_mov_b32 s3, -1
.LBB94_1233:
                                        ; implicit-def: $vgpr6
.LBB94_1234:
	s_and_b32 vcc_lo, exec_lo, s10
	s_mov_b32 s10, 0
	s_cbranch_vccz .LBB94_1236
; %bb.1235:
	s_cmp_lg_u32 s0, 11
	s_mov_b32 s10, -1
	s_cselect_b32 s3, -1, 0
.LBB94_1236:
	s_delay_alu instid0(SALU_CYCLE_1)
	s_and_b32 vcc_lo, exec_lo, s3
	s_cbranch_vccnz .LBB94_1299
; %bb.1237:
	s_and_not1_b32 vcc_lo, exec_lo, s10
	s_cbranch_vccnz .LBB94_1239
.LBB94_1238:
	global_load_u8 v1, v[2:3], off
	s_mov_b32 s13, -1
	s_wait_loadcnt 0x0
	v_cmp_ne_u16_e32 vcc_lo, 0, v1
	v_cndmask_b32_e64 v1, 0, 1.0, vcc_lo
	s_delay_alu instid0(VALU_DEP_1)
	v_lshrrev_b32_e32 v6, 16, v1
.LBB94_1239:
	s_branch .LBB94_1165
.LBB94_1240:
	s_cmp_lt_i32 s0, 5
	s_cbranch_scc1 .LBB94_1245
; %bb.1241:
	s_cmp_lt_i32 s0, 8
	s_cbranch_scc1 .LBB94_1246
; %bb.1242:
	;; [unrolled: 3-line block ×3, first 2 shown]
	s_cmp_gt_i32 s0, 9
	s_cbranch_scc0 .LBB94_1248
; %bb.1244:
	s_wait_loadcnt 0x0
	global_load_b64 v[6:7], v[2:3], off
	s_mov_b32 s3, 0
	s_wait_loadcnt 0x0
	v_cvt_f32_f64_e32 v1, v[6:7]
	s_delay_alu instid0(VALU_DEP_1) | instskip(SKIP_1) | instid1(VALU_DEP_2)
	v_bfe_u32 v6, v1, 16, 1
	v_cmp_o_f32_e32 vcc_lo, v1, v1
	v_add3_u32 v6, v1, v6, 0x7fff
	s_delay_alu instid0(VALU_DEP_1) | instskip(NEXT) | instid1(VALU_DEP_1)
	v_lshrrev_b32_e32 v6, 16, v6
	v_cndmask_b32_e32 v6, 0x7fc0, v6, vcc_lo
	s_branch .LBB94_1249
.LBB94_1245:
                                        ; implicit-def: $vgpr6
	s_branch .LBB94_1267
.LBB94_1246:
	s_mov_b32 s3, -1
                                        ; implicit-def: $vgpr6
	s_branch .LBB94_1255
.LBB94_1247:
	s_mov_b32 s3, -1
                                        ; implicit-def: $vgpr6
	s_branch .LBB94_1252
.LBB94_1248:
	s_mov_b32 s3, -1
                                        ; implicit-def: $vgpr6
.LBB94_1249:
	s_delay_alu instid0(SALU_CYCLE_1)
	s_and_not1_b32 vcc_lo, exec_lo, s3
	s_cbranch_vccnz .LBB94_1251
; %bb.1250:
	global_load_b32 v1, v[2:3], off
	s_wait_loadcnt 0x0
	v_bfe_u32 v6, v1, 16, 1
	v_cmp_o_f32_e32 vcc_lo, v1, v1
	s_delay_alu instid0(VALU_DEP_2) | instskip(NEXT) | instid1(VALU_DEP_1)
	v_add3_u32 v6, v1, v6, 0x7fff
	v_lshrrev_b32_e32 v6, 16, v6
	s_delay_alu instid0(VALU_DEP_1)
	v_cndmask_b32_e32 v6, 0x7fc0, v6, vcc_lo
.LBB94_1251:
	s_mov_b32 s3, 0
.LBB94_1252:
	s_delay_alu instid0(SALU_CYCLE_1)
	s_and_not1_b32 vcc_lo, exec_lo, s3
	s_cbranch_vccnz .LBB94_1254
; %bb.1253:
	global_load_b32 v1, v[2:3], off
	s_wait_loadcnt 0x0
	v_cvt_f32_f16_e32 v6, v1
	v_cmp_o_f16_e32 vcc_lo, v1, v1
	s_delay_alu instid0(VALU_DEP_2) | instskip(NEXT) | instid1(VALU_DEP_1)
	v_bfe_u32 v7, v6, 16, 1
	v_add3_u32 v6, v6, v7, 0x7fff
	s_delay_alu instid0(VALU_DEP_1) | instskip(NEXT) | instid1(VALU_DEP_1)
	v_lshrrev_b32_e32 v6, 16, v6
	v_cndmask_b32_e32 v6, 0x7fc0, v6, vcc_lo
.LBB94_1254:
	s_mov_b32 s3, 0
.LBB94_1255:
	s_delay_alu instid0(SALU_CYCLE_1)
	s_and_not1_b32 vcc_lo, exec_lo, s3
	s_cbranch_vccnz .LBB94_1266
; %bb.1256:
	s_cmp_lt_i32 s0, 6
	s_cbranch_scc1 .LBB94_1259
; %bb.1257:
	s_cmp_gt_i32 s0, 6
	s_cbranch_scc0 .LBB94_1260
; %bb.1258:
	s_wait_loadcnt 0x0
	global_load_b64 v[6:7], v[2:3], off
	s_mov_b32 s3, 0
	s_wait_loadcnt 0x0
	v_cvt_f32_f64_e32 v1, v[6:7]
	s_delay_alu instid0(VALU_DEP_1) | instskip(SKIP_1) | instid1(VALU_DEP_2)
	v_bfe_u32 v6, v1, 16, 1
	v_cmp_o_f32_e32 vcc_lo, v1, v1
	v_add3_u32 v6, v1, v6, 0x7fff
	s_delay_alu instid0(VALU_DEP_1) | instskip(NEXT) | instid1(VALU_DEP_1)
	v_lshrrev_b32_e32 v6, 16, v6
	v_cndmask_b32_e32 v6, 0x7fc0, v6, vcc_lo
	s_branch .LBB94_1261
.LBB94_1259:
	s_mov_b32 s3, -1
                                        ; implicit-def: $vgpr6
	s_branch .LBB94_1264
.LBB94_1260:
	s_mov_b32 s3, -1
                                        ; implicit-def: $vgpr6
.LBB94_1261:
	s_delay_alu instid0(SALU_CYCLE_1)
	s_and_not1_b32 vcc_lo, exec_lo, s3
	s_cbranch_vccnz .LBB94_1263
; %bb.1262:
	global_load_b32 v1, v[2:3], off
	s_wait_loadcnt 0x0
	v_bfe_u32 v6, v1, 16, 1
	v_cmp_o_f32_e32 vcc_lo, v1, v1
	s_delay_alu instid0(VALU_DEP_2) | instskip(NEXT) | instid1(VALU_DEP_1)
	v_add3_u32 v6, v1, v6, 0x7fff
	v_lshrrev_b32_e32 v6, 16, v6
	s_delay_alu instid0(VALU_DEP_1)
	v_cndmask_b32_e32 v6, 0x7fc0, v6, vcc_lo
.LBB94_1263:
	s_mov_b32 s3, 0
.LBB94_1264:
	s_delay_alu instid0(SALU_CYCLE_1)
	s_and_not1_b32 vcc_lo, exec_lo, s3
	s_cbranch_vccnz .LBB94_1266
; %bb.1265:
	global_load_u16 v1, v[2:3], off
	s_wait_loadcnt 0x0
	v_cvt_f32_f16_e32 v6, v1
	v_cmp_o_f16_e32 vcc_lo, v1, v1
	s_delay_alu instid0(VALU_DEP_2) | instskip(NEXT) | instid1(VALU_DEP_1)
	v_bfe_u32 v7, v6, 16, 1
	v_add3_u32 v6, v6, v7, 0x7fff
	s_delay_alu instid0(VALU_DEP_1) | instskip(NEXT) | instid1(VALU_DEP_1)
	v_lshrrev_b32_e32 v6, 16, v6
	v_cndmask_b32_e32 v6, 0x7fc0, v6, vcc_lo
.LBB94_1266:
	s_cbranch_execnz .LBB94_1286
.LBB94_1267:
	s_cmp_lt_i32 s0, 2
	s_cbranch_scc1 .LBB94_1271
; %bb.1268:
	s_cmp_lt_i32 s0, 3
	s_cbranch_scc1 .LBB94_1272
; %bb.1269:
	s_cmp_gt_i32 s0, 3
	s_cbranch_scc0 .LBB94_1273
; %bb.1270:
	s_wait_loadcnt 0x0
	global_load_b64 v[6:7], v[2:3], off
	s_mov_b32 s3, 0
	s_wait_loadcnt 0x0
	v_xor_b32_e32 v1, v6, v7
	v_cls_i32_e32 v8, v7
	s_delay_alu instid0(VALU_DEP_2) | instskip(NEXT) | instid1(VALU_DEP_1)
	v_ashrrev_i32_e32 v1, 31, v1
	v_add_nc_u32_e32 v1, 32, v1
	s_delay_alu instid0(VALU_DEP_1) | instskip(NEXT) | instid1(VALU_DEP_1)
	v_add_min_u32_e64 v1, v8, -1, v1
	v_lshlrev_b64_e32 v[6:7], v1, v[6:7]
	v_sub_nc_u32_e32 v1, 32, v1
	s_delay_alu instid0(VALU_DEP_2) | instskip(NEXT) | instid1(VALU_DEP_1)
	v_min_u32_e32 v6, 1, v6
	v_or_b32_e32 v6, v7, v6
	s_delay_alu instid0(VALU_DEP_1) | instskip(NEXT) | instid1(VALU_DEP_1)
	v_cvt_f32_i32_e32 v6, v6
	v_ldexp_f32 v1, v6, v1
	s_delay_alu instid0(VALU_DEP_1) | instskip(NEXT) | instid1(VALU_DEP_1)
	v_bfe_u32 v6, v1, 16, 1
	v_add3_u32 v1, v1, v6, 0x7fff
	s_delay_alu instid0(VALU_DEP_1)
	v_lshrrev_b32_e32 v6, 16, v1
	s_branch .LBB94_1274
.LBB94_1271:
	s_mov_b32 s3, -1
                                        ; implicit-def: $vgpr6
	s_branch .LBB94_1280
.LBB94_1272:
	s_mov_b32 s3, -1
                                        ; implicit-def: $vgpr6
	s_branch .LBB94_1277
.LBB94_1273:
	s_mov_b32 s3, -1
                                        ; implicit-def: $vgpr6
.LBB94_1274:
	s_delay_alu instid0(SALU_CYCLE_1)
	s_and_not1_b32 vcc_lo, exec_lo, s3
	s_cbranch_vccnz .LBB94_1276
; %bb.1275:
	global_load_b32 v1, v[2:3], off
	s_wait_loadcnt 0x0
	v_cvt_f32_i32_e32 v1, v1
	s_delay_alu instid0(VALU_DEP_1) | instskip(NEXT) | instid1(VALU_DEP_1)
	v_bfe_u32 v6, v1, 16, 1
	v_add3_u32 v1, v1, v6, 0x7fff
	s_delay_alu instid0(VALU_DEP_1)
	v_lshrrev_b32_e32 v6, 16, v1
.LBB94_1276:
	s_mov_b32 s3, 0
.LBB94_1277:
	s_delay_alu instid0(SALU_CYCLE_1)
	s_and_not1_b32 vcc_lo, exec_lo, s3
	s_cbranch_vccnz .LBB94_1279
; %bb.1278:
	global_load_i16 v1, v[2:3], off
	s_wait_loadcnt 0x0
	v_cvt_f32_i32_e32 v1, v1
	s_delay_alu instid0(VALU_DEP_1) | instskip(NEXT) | instid1(VALU_DEP_1)
	v_bfe_u32 v6, v1, 16, 1
	v_add3_u32 v1, v1, v6, 0x7fff
	s_delay_alu instid0(VALU_DEP_1)
	v_lshrrev_b32_e32 v6, 16, v1
.LBB94_1279:
	s_mov_b32 s3, 0
.LBB94_1280:
	s_delay_alu instid0(SALU_CYCLE_1)
	s_and_not1_b32 vcc_lo, exec_lo, s3
	s_cbranch_vccnz .LBB94_1286
; %bb.1281:
	s_cmp_gt_i32 s0, 0
	s_mov_b32 s3, 0
	s_cbranch_scc0 .LBB94_1283
; %bb.1282:
	global_load_i8 v1, v[2:3], off
	s_wait_loadcnt 0x0
	v_cvt_f32_i32_e32 v1, v1
	s_delay_alu instid0(VALU_DEP_1) | instskip(NEXT) | instid1(VALU_DEP_1)
	v_bfe_u32 v6, v1, 16, 1
	v_add3_u32 v1, v1, v6, 0x7fff
	s_delay_alu instid0(VALU_DEP_1)
	v_lshrrev_b32_e32 v6, 16, v1
	s_branch .LBB94_1284
.LBB94_1283:
	s_mov_b32 s3, -1
                                        ; implicit-def: $vgpr6
.LBB94_1284:
	s_delay_alu instid0(SALU_CYCLE_1)
	s_and_not1_b32 vcc_lo, exec_lo, s3
	s_cbranch_vccnz .LBB94_1286
; %bb.1285:
	global_load_u8 v1, v[2:3], off
	s_wait_loadcnt 0x0
	v_cvt_f32_ubyte0_e32 v1, v1
	s_wait_xcnt 0x0
	s_delay_alu instid0(VALU_DEP_1) | instskip(NEXT) | instid1(VALU_DEP_1)
	v_bfe_u32 v2, v1, 16, 1
	v_add3_u32 v1, v1, v2, 0x7fff
	s_delay_alu instid0(VALU_DEP_1)
	v_lshrrev_b32_e32 v6, 16, v1
.LBB94_1286:
.LBB94_1287:
	v_add_nc_u32_e32 v0, s1, v0
	s_cmp_lt_i32 s0, 11
	s_delay_alu instid0(VALU_DEP_1) | instskip(SKIP_1) | instid1(VALU_DEP_1)
	v_ashrrev_i32_e32 v1, 31, v0
	s_wait_xcnt 0x0
	v_add_nc_u64_e32 v[2:3], s[6:7], v[0:1]
	s_cbranch_scc1 .LBB94_1294
; %bb.1288:
	s_cmp_gt_i32 s0, 25
	s_mov_b32 s10, 0
	s_cbranch_scc0 .LBB94_1296
; %bb.1289:
	s_cmp_gt_i32 s0, 28
	s_cbranch_scc0 .LBB94_1297
; %bb.1290:
	s_cmp_gt_i32 s0, 43
	;; [unrolled: 3-line block ×3, first 2 shown]
	s_cbranch_scc0 .LBB94_1300
; %bb.1292:
	s_cmp_eq_u32 s0, 46
	s_mov_b32 s14, 0
	s_cbranch_scc0 .LBB94_1301
; %bb.1293:
	global_load_b32 v7, v[2:3], off
	s_mov_b32 s3, 0
	s_mov_b32 s13, -1
	s_branch .LBB94_1303
.LBB94_1294:
	s_mov_b32 s13, 0
                                        ; implicit-def: $vgpr7
	s_cbranch_execnz .LBB94_1369
.LBB94_1295:
	s_and_not1_b32 vcc_lo, exec_lo, s13
	s_cbranch_vccnz .LBB94_1981
	s_branch .LBB94_1417
.LBB94_1296:
	s_mov_b32 s14, -1
	s_mov_b32 s13, 0
	s_mov_b32 s3, 0
                                        ; implicit-def: $vgpr7
	s_branch .LBB94_1332
.LBB94_1297:
	s_mov_b32 s14, -1
	s_mov_b32 s13, 0
	s_mov_b32 s3, 0
                                        ; implicit-def: $vgpr7
	s_branch .LBB94_1313
.LBB94_1298:
	s_mov_b32 s14, -1
	s_mov_b32 s13, 0
	s_mov_b32 s3, 0
                                        ; implicit-def: $vgpr7
	s_branch .LBB94_1308
.LBB94_1299:
	s_or_b32 s9, s9, exec_lo
	s_trap 2
	s_cbranch_execz .LBB94_1238
	s_branch .LBB94_1239
.LBB94_1300:
	s_mov_b32 s14, -1
	s_mov_b32 s13, 0
	s_mov_b32 s3, 0
	s_branch .LBB94_1302
.LBB94_1301:
	s_mov_b32 s3, -1
	s_mov_b32 s13, 0
.LBB94_1302:
                                        ; implicit-def: $vgpr7
.LBB94_1303:
	s_and_b32 vcc_lo, exec_lo, s14
	s_cbranch_vccz .LBB94_1307
; %bb.1304:
	s_cmp_eq_u32 s0, 44
	s_cbranch_scc0 .LBB94_1306
; %bb.1305:
	global_load_u8 v1, v[2:3], off
	s_mov_b32 s3, 0
	s_mov_b32 s13, -1
	s_wait_loadcnt 0x0
	v_lshlrev_b32_e32 v7, 23, v1
	v_cmp_ne_u32_e32 vcc_lo, 0xff, v1
	s_delay_alu instid0(VALU_DEP_2) | instskip(SKIP_1) | instid1(VALU_DEP_2)
	v_cndmask_b32_e32 v7, 0x7f800001, v7, vcc_lo
	v_cmp_ne_u32_e32 vcc_lo, 0, v1
	v_cndmask_b32_e32 v1, 0x400000, v7, vcc_lo
	s_delay_alu instid0(VALU_DEP_1) | instskip(SKIP_1) | instid1(VALU_DEP_2)
	v_add_nc_u32_e32 v7, 0x7fff, v1
	v_cmp_o_f32_e32 vcc_lo, v1, v1
	v_lshrrev_b32_e32 v7, 16, v7
	s_delay_alu instid0(VALU_DEP_1)
	v_cndmask_b32_e32 v7, 0x7fc0, v7, vcc_lo
	s_branch .LBB94_1307
.LBB94_1306:
	s_mov_b32 s3, -1
                                        ; implicit-def: $vgpr7
.LBB94_1307:
	s_mov_b32 s14, 0
.LBB94_1308:
	s_delay_alu instid0(SALU_CYCLE_1)
	s_and_b32 vcc_lo, exec_lo, s14
	s_cbranch_vccz .LBB94_1312
; %bb.1309:
	s_cmp_eq_u32 s0, 29
	s_cbranch_scc0 .LBB94_1311
; %bb.1310:
	global_load_b64 v[8:9], v[2:3], off
	s_mov_b32 s3, 0
	s_mov_b32 s13, -1
	s_mov_b32 s14, 0
	s_wait_loadcnt 0x0
	v_clz_i32_u32_e32 v1, v9
	s_delay_alu instid0(VALU_DEP_1) | instskip(NEXT) | instid1(VALU_DEP_1)
	v_min_u32_e32 v1, 32, v1
	v_lshlrev_b64_e32 v[8:9], v1, v[8:9]
	v_sub_nc_u32_e32 v1, 32, v1
	s_delay_alu instid0(VALU_DEP_2) | instskip(NEXT) | instid1(VALU_DEP_1)
	v_min_u32_e32 v7, 1, v8
	v_or_b32_e32 v7, v9, v7
	s_delay_alu instid0(VALU_DEP_1) | instskip(NEXT) | instid1(VALU_DEP_1)
	v_cvt_f32_u32_e32 v7, v7
	v_ldexp_f32 v1, v7, v1
	s_delay_alu instid0(VALU_DEP_1) | instskip(NEXT) | instid1(VALU_DEP_1)
	v_bfe_u32 v7, v1, 16, 1
	v_add3_u32 v1, v1, v7, 0x7fff
	s_delay_alu instid0(VALU_DEP_1)
	v_lshrrev_b32_e32 v7, 16, v1
	s_branch .LBB94_1313
.LBB94_1311:
	s_mov_b32 s3, -1
                                        ; implicit-def: $vgpr7
.LBB94_1312:
	s_mov_b32 s14, 0
.LBB94_1313:
	s_delay_alu instid0(SALU_CYCLE_1)
	s_and_b32 vcc_lo, exec_lo, s14
	s_cbranch_vccz .LBB94_1331
; %bb.1314:
	s_cmp_lt_i32 s0, 27
	s_cbranch_scc1 .LBB94_1317
; %bb.1315:
	s_cmp_gt_i32 s0, 27
	s_cbranch_scc0 .LBB94_1318
; %bb.1316:
	global_load_b32 v1, v[2:3], off
	s_mov_b32 s13, 0
	s_wait_loadcnt 0x0
	v_cvt_f32_u32_e32 v1, v1
	s_delay_alu instid0(VALU_DEP_1) | instskip(NEXT) | instid1(VALU_DEP_1)
	v_bfe_u32 v7, v1, 16, 1
	v_add3_u32 v1, v1, v7, 0x7fff
	s_delay_alu instid0(VALU_DEP_1)
	v_lshrrev_b32_e32 v7, 16, v1
	s_branch .LBB94_1319
.LBB94_1317:
	s_mov_b32 s13, -1
                                        ; implicit-def: $vgpr7
	s_branch .LBB94_1322
.LBB94_1318:
	s_mov_b32 s13, -1
                                        ; implicit-def: $vgpr7
.LBB94_1319:
	s_delay_alu instid0(SALU_CYCLE_1)
	s_and_not1_b32 vcc_lo, exec_lo, s13
	s_cbranch_vccnz .LBB94_1321
; %bb.1320:
	global_load_u16 v1, v[2:3], off
	s_wait_loadcnt 0x0
	v_cvt_f32_u32_e32 v1, v1
	s_delay_alu instid0(VALU_DEP_1) | instskip(NEXT) | instid1(VALU_DEP_1)
	v_bfe_u32 v7, v1, 16, 1
	v_add3_u32 v1, v1, v7, 0x7fff
	s_delay_alu instid0(VALU_DEP_1)
	v_lshrrev_b32_e32 v7, 16, v1
.LBB94_1321:
	s_mov_b32 s13, 0
.LBB94_1322:
	s_delay_alu instid0(SALU_CYCLE_1)
	s_and_not1_b32 vcc_lo, exec_lo, s13
	s_cbranch_vccnz .LBB94_1330
; %bb.1323:
	global_load_u8 v1, v[2:3], off
	s_mov_b32 s13, 0
	s_mov_b32 s14, exec_lo
	s_wait_loadcnt 0x0
	v_cmpx_lt_i16_e32 0x7f, v1
	s_xor_b32 s14, exec_lo, s14
	s_cbranch_execz .LBB94_1344
; %bb.1324:
	s_mov_b32 s13, -1
	s_mov_b32 s15, exec_lo
	v_cmpx_eq_u16_e32 0x80, v1
; %bb.1325:
	s_xor_b32 s13, exec_lo, -1
; %bb.1326:
	s_or_b32 exec_lo, exec_lo, s15
	s_delay_alu instid0(SALU_CYCLE_1)
	s_and_b32 s13, s13, exec_lo
	s_or_saveexec_b32 s14, s14
	v_mov_b32_e32 v7, 0x7f800001
	s_xor_b32 exec_lo, exec_lo, s14
	s_cbranch_execnz .LBB94_1345
.LBB94_1327:
	s_or_b32 exec_lo, exec_lo, s14
	s_and_saveexec_b32 s14, s13
	s_cbranch_execz .LBB94_1329
.LBB94_1328:
	v_and_b32_e32 v7, 0xffff, v1
	s_delay_alu instid0(VALU_DEP_1) | instskip(SKIP_1) | instid1(VALU_DEP_2)
	v_and_b32_e32 v8, 7, v7
	v_bfe_u32 v11, v7, 3, 4
	v_clz_i32_u32_e32 v9, v8
	s_delay_alu instid0(VALU_DEP_2) | instskip(NEXT) | instid1(VALU_DEP_2)
	v_cmp_eq_u32_e32 vcc_lo, 0, v11
	v_min_u32_e32 v9, 32, v9
	s_delay_alu instid0(VALU_DEP_1) | instskip(NEXT) | instid1(VALU_DEP_1)
	v_subrev_nc_u32_e32 v10, 28, v9
	v_dual_lshlrev_b32 v7, v10, v7 :: v_dual_sub_nc_u32 v9, 29, v9
	s_delay_alu instid0(VALU_DEP_1) | instskip(NEXT) | instid1(VALU_DEP_1)
	v_dual_lshlrev_b32 v1, 24, v1 :: v_dual_bitop2_b32 v7, 7, v7 bitop3:0x40
	v_dual_cndmask_b32 v7, v8, v7, vcc_lo :: v_dual_cndmask_b32 v9, v11, v9, vcc_lo
	s_delay_alu instid0(VALU_DEP_2) | instskip(NEXT) | instid1(VALU_DEP_2)
	v_and_b32_e32 v1, 0x80000000, v1
	v_lshlrev_b32_e32 v7, 20, v7
	s_delay_alu instid0(VALU_DEP_3) | instskip(NEXT) | instid1(VALU_DEP_1)
	v_lshl_add_u32 v8, v9, 23, 0x3b800000
	v_or3_b32 v7, v1, v8, v7
.LBB94_1329:
	s_or_b32 exec_lo, exec_lo, s14
	s_delay_alu instid0(VALU_DEP_1) | instskip(SKIP_1) | instid1(VALU_DEP_2)
	v_bfe_u32 v1, v7, 16, 1
	v_cmp_o_f32_e32 vcc_lo, v7, v7
	v_add3_u32 v1, v7, v1, 0x7fff
	s_delay_alu instid0(VALU_DEP_1) | instskip(NEXT) | instid1(VALU_DEP_1)
	v_lshrrev_b32_e32 v1, 16, v1
	v_cndmask_b32_e32 v7, 0x7fc0, v1, vcc_lo
.LBB94_1330:
	s_mov_b32 s13, -1
.LBB94_1331:
	s_mov_b32 s14, 0
.LBB94_1332:
	s_delay_alu instid0(SALU_CYCLE_1)
	s_and_b32 vcc_lo, exec_lo, s14
	s_cbranch_vccz .LBB94_1365
; %bb.1333:
	s_cmp_gt_i32 s0, 22
	s_cbranch_scc0 .LBB94_1343
; %bb.1334:
	s_cmp_lt_i32 s0, 24
	s_cbranch_scc1 .LBB94_1346
; %bb.1335:
	s_cmp_gt_i32 s0, 24
	s_cbranch_scc0 .LBB94_1347
; %bb.1336:
	global_load_u8 v1, v[2:3], off
	s_mov_b32 s13, exec_lo
	s_wait_loadcnt 0x0
	v_cmpx_lt_i16_e32 0x7f, v1
	s_xor_b32 s13, exec_lo, s13
	s_cbranch_execz .LBB94_1359
; %bb.1337:
	s_mov_b32 s10, -1
	s_mov_b32 s14, exec_lo
	v_cmpx_eq_u16_e32 0x80, v1
; %bb.1338:
	s_xor_b32 s10, exec_lo, -1
; %bb.1339:
	s_or_b32 exec_lo, exec_lo, s14
	s_delay_alu instid0(SALU_CYCLE_1)
	s_and_b32 s10, s10, exec_lo
	s_or_saveexec_b32 s13, s13
	v_mov_b32_e32 v7, 0x7f800001
	s_xor_b32 exec_lo, exec_lo, s13
	s_cbranch_execnz .LBB94_1360
.LBB94_1340:
	s_or_b32 exec_lo, exec_lo, s13
	s_and_saveexec_b32 s13, s10
	s_cbranch_execz .LBB94_1342
.LBB94_1341:
	v_and_b32_e32 v7, 0xffff, v1
	s_delay_alu instid0(VALU_DEP_1) | instskip(SKIP_1) | instid1(VALU_DEP_2)
	v_and_b32_e32 v8, 3, v7
	v_bfe_u32 v11, v7, 2, 5
	v_clz_i32_u32_e32 v9, v8
	s_delay_alu instid0(VALU_DEP_2) | instskip(NEXT) | instid1(VALU_DEP_2)
	v_cmp_eq_u32_e32 vcc_lo, 0, v11
	v_min_u32_e32 v9, 32, v9
	s_delay_alu instid0(VALU_DEP_1) | instskip(NEXT) | instid1(VALU_DEP_1)
	v_subrev_nc_u32_e32 v10, 29, v9
	v_dual_lshlrev_b32 v7, v10, v7 :: v_dual_sub_nc_u32 v9, 30, v9
	s_delay_alu instid0(VALU_DEP_1) | instskip(NEXT) | instid1(VALU_DEP_1)
	v_dual_lshlrev_b32 v1, 24, v1 :: v_dual_bitop2_b32 v7, 3, v7 bitop3:0x40
	v_dual_cndmask_b32 v7, v8, v7, vcc_lo :: v_dual_cndmask_b32 v9, v11, v9, vcc_lo
	s_delay_alu instid0(VALU_DEP_2) | instskip(NEXT) | instid1(VALU_DEP_2)
	v_and_b32_e32 v1, 0x80000000, v1
	v_lshlrev_b32_e32 v7, 21, v7
	s_delay_alu instid0(VALU_DEP_3) | instskip(NEXT) | instid1(VALU_DEP_1)
	v_lshl_add_u32 v8, v9, 23, 0x37800000
	v_or3_b32 v7, v1, v8, v7
.LBB94_1342:
	s_or_b32 exec_lo, exec_lo, s13
	s_delay_alu instid0(VALU_DEP_1) | instskip(SKIP_2) | instid1(VALU_DEP_2)
	v_bfe_u32 v1, v7, 16, 1
	v_cmp_o_f32_e32 vcc_lo, v7, v7
	s_mov_b32 s10, 0
	v_add3_u32 v1, v7, v1, 0x7fff
	s_delay_alu instid0(VALU_DEP_1) | instskip(NEXT) | instid1(VALU_DEP_1)
	v_lshrrev_b32_e32 v1, 16, v1
	v_cndmask_b32_e32 v7, 0x7fc0, v1, vcc_lo
	s_branch .LBB94_1348
.LBB94_1343:
	s_mov_b32 s10, -1
                                        ; implicit-def: $vgpr7
	s_branch .LBB94_1354
.LBB94_1344:
	s_or_saveexec_b32 s14, s14
	v_mov_b32_e32 v7, 0x7f800001
	s_xor_b32 exec_lo, exec_lo, s14
	s_cbranch_execz .LBB94_1327
.LBB94_1345:
	v_cmp_ne_u16_e32 vcc_lo, 0, v1
	v_mov_b32_e32 v7, 0
	s_and_not1_b32 s13, s13, exec_lo
	s_and_b32 s15, vcc_lo, exec_lo
	s_delay_alu instid0(SALU_CYCLE_1)
	s_or_b32 s13, s13, s15
	s_or_b32 exec_lo, exec_lo, s14
	s_and_saveexec_b32 s14, s13
	s_cbranch_execnz .LBB94_1328
	s_branch .LBB94_1329
.LBB94_1346:
	s_mov_b32 s10, -1
                                        ; implicit-def: $vgpr7
	s_branch .LBB94_1351
.LBB94_1347:
	s_mov_b32 s10, -1
                                        ; implicit-def: $vgpr7
.LBB94_1348:
	s_delay_alu instid0(SALU_CYCLE_1)
	s_and_b32 vcc_lo, exec_lo, s10
	s_cbranch_vccz .LBB94_1350
; %bb.1349:
	global_load_u8 v1, v[2:3], off
	s_wait_loadcnt 0x0
	v_lshlrev_b32_e32 v1, 24, v1
	s_delay_alu instid0(VALU_DEP_1) | instskip(NEXT) | instid1(VALU_DEP_1)
	v_and_b32_e32 v7, 0x7f000000, v1
	v_clz_i32_u32_e32 v8, v7
	v_cmp_ne_u32_e32 vcc_lo, 0, v7
	v_add_nc_u32_e32 v10, 0x1000000, v7
	s_delay_alu instid0(VALU_DEP_3) | instskip(NEXT) | instid1(VALU_DEP_1)
	v_min_u32_e32 v8, 32, v8
	v_sub_nc_u32_e64 v8, v8, 4 clamp
	s_delay_alu instid0(VALU_DEP_1) | instskip(NEXT) | instid1(VALU_DEP_1)
	v_dual_lshlrev_b32 v9, v8, v7 :: v_dual_lshlrev_b32 v8, 23, v8
	v_lshrrev_b32_e32 v9, 4, v9
	s_delay_alu instid0(VALU_DEP_1) | instskip(NEXT) | instid1(VALU_DEP_1)
	v_dual_sub_nc_u32 v8, v9, v8 :: v_dual_ashrrev_i32 v9, 8, v10
	v_add_nc_u32_e32 v8, 0x3c000000, v8
	s_delay_alu instid0(VALU_DEP_1) | instskip(NEXT) | instid1(VALU_DEP_1)
	v_and_or_b32 v8, 0x7f800000, v9, v8
	v_cndmask_b32_e32 v7, 0, v8, vcc_lo
	s_delay_alu instid0(VALU_DEP_1) | instskip(SKIP_1) | instid1(VALU_DEP_2)
	v_and_or_b32 v1, 0x80000000, v1, v7
	v_bfe_u32 v7, v7, 16, 1
	v_cmp_o_f32_e32 vcc_lo, v1, v1
	s_delay_alu instid0(VALU_DEP_2) | instskip(NEXT) | instid1(VALU_DEP_1)
	v_add3_u32 v7, v1, v7, 0x7fff
	v_lshrrev_b32_e32 v7, 16, v7
	s_delay_alu instid0(VALU_DEP_1)
	v_cndmask_b32_e32 v7, 0x7fc0, v7, vcc_lo
.LBB94_1350:
	s_mov_b32 s10, 0
.LBB94_1351:
	s_delay_alu instid0(SALU_CYCLE_1)
	s_and_not1_b32 vcc_lo, exec_lo, s10
	s_cbranch_vccnz .LBB94_1353
; %bb.1352:
	global_load_u8 v1, v[2:3], off
	s_wait_loadcnt 0x0
	v_lshlrev_b32_e32 v7, 25, v1
	v_lshlrev_b16 v1, 8, v1
	s_delay_alu instid0(VALU_DEP_1) | instskip(NEXT) | instid1(VALU_DEP_3)
	v_and_or_b32 v9, 0x7f00, v1, 0.5
	v_lshrrev_b32_e32 v8, 4, v7
	v_bfe_i32 v1, v1, 0, 16
	s_delay_alu instid0(VALU_DEP_3) | instskip(NEXT) | instid1(VALU_DEP_3)
	v_add_f32_e32 v9, -0.5, v9
	v_or_b32_e32 v8, 0x70000000, v8
	s_delay_alu instid0(VALU_DEP_1) | instskip(SKIP_1) | instid1(VALU_DEP_2)
	v_mul_f32_e32 v8, 0x7800000, v8
	v_cmp_gt_u32_e32 vcc_lo, 0x8000000, v7
	v_cndmask_b32_e32 v7, v8, v9, vcc_lo
	s_delay_alu instid0(VALU_DEP_1) | instskip(SKIP_1) | instid1(VALU_DEP_2)
	v_and_or_b32 v1, 0x80000000, v1, v7
	v_bfe_u32 v7, v7, 16, 1
	v_cmp_o_f32_e32 vcc_lo, v1, v1
	s_delay_alu instid0(VALU_DEP_2) | instskip(NEXT) | instid1(VALU_DEP_1)
	v_add3_u32 v7, v1, v7, 0x7fff
	v_lshrrev_b32_e32 v7, 16, v7
	s_delay_alu instid0(VALU_DEP_1)
	v_cndmask_b32_e32 v7, 0x7fc0, v7, vcc_lo
.LBB94_1353:
	s_mov_b32 s10, 0
	s_mov_b32 s13, -1
.LBB94_1354:
	s_and_not1_b32 vcc_lo, exec_lo, s10
	s_mov_b32 s10, 0
	s_cbranch_vccnz .LBB94_1365
; %bb.1355:
	s_cmp_gt_i32 s0, 14
	s_cbranch_scc0 .LBB94_1358
; %bb.1356:
	s_cmp_eq_u32 s0, 15
	s_cbranch_scc0 .LBB94_1361
; %bb.1357:
	s_wait_loadcnt 0x0
	global_load_u16 v7, v[2:3], off
	s_mov_b32 s3, 0
	s_mov_b32 s13, -1
	s_branch .LBB94_1363
.LBB94_1358:
	s_mov_b32 s10, -1
	s_branch .LBB94_1362
.LBB94_1359:
	s_or_saveexec_b32 s13, s13
	v_mov_b32_e32 v7, 0x7f800001
	s_xor_b32 exec_lo, exec_lo, s13
	s_cbranch_execz .LBB94_1340
.LBB94_1360:
	v_cmp_ne_u16_e32 vcc_lo, 0, v1
	v_mov_b32_e32 v7, 0
	s_and_not1_b32 s10, s10, exec_lo
	s_and_b32 s14, vcc_lo, exec_lo
	s_delay_alu instid0(SALU_CYCLE_1)
	s_or_b32 s10, s10, s14
	s_or_b32 exec_lo, exec_lo, s13
	s_and_saveexec_b32 s13, s10
	s_cbranch_execnz .LBB94_1341
	s_branch .LBB94_1342
.LBB94_1361:
	s_mov_b32 s3, -1
.LBB94_1362:
                                        ; implicit-def: $vgpr7
.LBB94_1363:
	s_and_b32 vcc_lo, exec_lo, s10
	s_mov_b32 s10, 0
	s_cbranch_vccz .LBB94_1365
; %bb.1364:
	s_cmp_lg_u32 s0, 11
	s_mov_b32 s10, -1
	s_cselect_b32 s3, -1, 0
.LBB94_1365:
	s_delay_alu instid0(SALU_CYCLE_1)
	s_and_b32 vcc_lo, exec_lo, s3
	s_cbranch_vccnz .LBB94_1428
; %bb.1366:
	s_and_not1_b32 vcc_lo, exec_lo, s10
	s_cbranch_vccnz .LBB94_1368
.LBB94_1367:
	global_load_u8 v1, v[2:3], off
	s_mov_b32 s13, -1
	s_wait_loadcnt 0x0
	v_cmp_ne_u16_e32 vcc_lo, 0, v1
	v_cndmask_b32_e64 v1, 0, 1.0, vcc_lo
	s_delay_alu instid0(VALU_DEP_1)
	v_lshrrev_b32_e32 v7, 16, v1
.LBB94_1368:
	s_branch .LBB94_1295
.LBB94_1369:
	s_cmp_lt_i32 s0, 5
	s_cbranch_scc1 .LBB94_1374
; %bb.1370:
	s_cmp_lt_i32 s0, 8
	s_cbranch_scc1 .LBB94_1375
; %bb.1371:
	;; [unrolled: 3-line block ×3, first 2 shown]
	s_cmp_gt_i32 s0, 9
	s_cbranch_scc0 .LBB94_1377
; %bb.1373:
	global_load_b64 v[8:9], v[2:3], off
	s_mov_b32 s3, 0
	s_wait_loadcnt 0x0
	v_cvt_f32_f64_e32 v1, v[8:9]
	s_delay_alu instid0(VALU_DEP_1) | instskip(SKIP_1) | instid1(VALU_DEP_2)
	v_bfe_u32 v7, v1, 16, 1
	v_cmp_o_f32_e32 vcc_lo, v1, v1
	v_add3_u32 v7, v1, v7, 0x7fff
	s_delay_alu instid0(VALU_DEP_1) | instskip(NEXT) | instid1(VALU_DEP_1)
	v_lshrrev_b32_e32 v7, 16, v7
	v_cndmask_b32_e32 v7, 0x7fc0, v7, vcc_lo
	s_branch .LBB94_1378
.LBB94_1374:
	s_mov_b32 s3, -1
                                        ; implicit-def: $vgpr7
	s_branch .LBB94_1396
.LBB94_1375:
	s_mov_b32 s3, -1
                                        ; implicit-def: $vgpr7
	s_branch .LBB94_1384
.LBB94_1376:
	s_mov_b32 s3, -1
                                        ; implicit-def: $vgpr7
	s_branch .LBB94_1381
.LBB94_1377:
	s_mov_b32 s3, -1
                                        ; implicit-def: $vgpr7
.LBB94_1378:
	s_delay_alu instid0(SALU_CYCLE_1)
	s_and_not1_b32 vcc_lo, exec_lo, s3
	s_cbranch_vccnz .LBB94_1380
; %bb.1379:
	global_load_b32 v1, v[2:3], off
	s_wait_loadcnt 0x0
	v_bfe_u32 v7, v1, 16, 1
	v_cmp_o_f32_e32 vcc_lo, v1, v1
	s_delay_alu instid0(VALU_DEP_2) | instskip(NEXT) | instid1(VALU_DEP_1)
	v_add3_u32 v7, v1, v7, 0x7fff
	v_lshrrev_b32_e32 v7, 16, v7
	s_delay_alu instid0(VALU_DEP_1)
	v_cndmask_b32_e32 v7, 0x7fc0, v7, vcc_lo
.LBB94_1380:
	s_mov_b32 s3, 0
.LBB94_1381:
	s_delay_alu instid0(SALU_CYCLE_1)
	s_and_not1_b32 vcc_lo, exec_lo, s3
	s_cbranch_vccnz .LBB94_1383
; %bb.1382:
	global_load_b32 v1, v[2:3], off
	s_wait_loadcnt 0x0
	v_cvt_f32_f16_e32 v7, v1
	v_cmp_o_f16_e32 vcc_lo, v1, v1
	s_delay_alu instid0(VALU_DEP_2) | instskip(NEXT) | instid1(VALU_DEP_1)
	v_bfe_u32 v8, v7, 16, 1
	v_add3_u32 v7, v7, v8, 0x7fff
	s_delay_alu instid0(VALU_DEP_1) | instskip(NEXT) | instid1(VALU_DEP_1)
	v_lshrrev_b32_e32 v7, 16, v7
	v_cndmask_b32_e32 v7, 0x7fc0, v7, vcc_lo
.LBB94_1383:
	s_mov_b32 s3, 0
.LBB94_1384:
	s_delay_alu instid0(SALU_CYCLE_1)
	s_and_not1_b32 vcc_lo, exec_lo, s3
	s_cbranch_vccnz .LBB94_1395
; %bb.1385:
	s_cmp_lt_i32 s0, 6
	s_cbranch_scc1 .LBB94_1388
; %bb.1386:
	s_cmp_gt_i32 s0, 6
	s_cbranch_scc0 .LBB94_1389
; %bb.1387:
	global_load_b64 v[8:9], v[2:3], off
	s_mov_b32 s3, 0
	s_wait_loadcnt 0x0
	v_cvt_f32_f64_e32 v1, v[8:9]
	s_delay_alu instid0(VALU_DEP_1) | instskip(SKIP_1) | instid1(VALU_DEP_2)
	v_bfe_u32 v7, v1, 16, 1
	v_cmp_o_f32_e32 vcc_lo, v1, v1
	v_add3_u32 v7, v1, v7, 0x7fff
	s_delay_alu instid0(VALU_DEP_1) | instskip(NEXT) | instid1(VALU_DEP_1)
	v_lshrrev_b32_e32 v7, 16, v7
	v_cndmask_b32_e32 v7, 0x7fc0, v7, vcc_lo
	s_branch .LBB94_1390
.LBB94_1388:
	s_mov_b32 s3, -1
                                        ; implicit-def: $vgpr7
	s_branch .LBB94_1393
.LBB94_1389:
	s_mov_b32 s3, -1
                                        ; implicit-def: $vgpr7
.LBB94_1390:
	s_delay_alu instid0(SALU_CYCLE_1)
	s_and_not1_b32 vcc_lo, exec_lo, s3
	s_cbranch_vccnz .LBB94_1392
; %bb.1391:
	global_load_b32 v1, v[2:3], off
	s_wait_loadcnt 0x0
	v_bfe_u32 v7, v1, 16, 1
	v_cmp_o_f32_e32 vcc_lo, v1, v1
	s_delay_alu instid0(VALU_DEP_2) | instskip(NEXT) | instid1(VALU_DEP_1)
	v_add3_u32 v7, v1, v7, 0x7fff
	v_lshrrev_b32_e32 v7, 16, v7
	s_delay_alu instid0(VALU_DEP_1)
	v_cndmask_b32_e32 v7, 0x7fc0, v7, vcc_lo
.LBB94_1392:
	s_mov_b32 s3, 0
.LBB94_1393:
	s_delay_alu instid0(SALU_CYCLE_1)
	s_and_not1_b32 vcc_lo, exec_lo, s3
	s_cbranch_vccnz .LBB94_1395
; %bb.1394:
	global_load_u16 v1, v[2:3], off
	s_wait_loadcnt 0x0
	v_cvt_f32_f16_e32 v7, v1
	v_cmp_o_f16_e32 vcc_lo, v1, v1
	s_delay_alu instid0(VALU_DEP_2) | instskip(NEXT) | instid1(VALU_DEP_1)
	v_bfe_u32 v8, v7, 16, 1
	v_add3_u32 v7, v7, v8, 0x7fff
	s_delay_alu instid0(VALU_DEP_1) | instskip(NEXT) | instid1(VALU_DEP_1)
	v_lshrrev_b32_e32 v7, 16, v7
	v_cndmask_b32_e32 v7, 0x7fc0, v7, vcc_lo
.LBB94_1395:
	s_mov_b32 s3, 0
.LBB94_1396:
	s_delay_alu instid0(SALU_CYCLE_1)
	s_and_not1_b32 vcc_lo, exec_lo, s3
	s_cbranch_vccnz .LBB94_1416
; %bb.1397:
	s_cmp_lt_i32 s0, 2
	s_cbranch_scc1 .LBB94_1401
; %bb.1398:
	s_cmp_lt_i32 s0, 3
	s_cbranch_scc1 .LBB94_1402
; %bb.1399:
	s_cmp_gt_i32 s0, 3
	s_cbranch_scc0 .LBB94_1403
; %bb.1400:
	global_load_b64 v[8:9], v[2:3], off
	s_mov_b32 s3, 0
	s_wait_loadcnt 0x0
	v_xor_b32_e32 v1, v8, v9
	v_cls_i32_e32 v7, v9
	s_delay_alu instid0(VALU_DEP_2) | instskip(NEXT) | instid1(VALU_DEP_1)
	v_ashrrev_i32_e32 v1, 31, v1
	v_add_nc_u32_e32 v1, 32, v1
	s_delay_alu instid0(VALU_DEP_1) | instskip(NEXT) | instid1(VALU_DEP_1)
	v_add_min_u32_e64 v1, v7, -1, v1
	v_lshlrev_b64_e32 v[8:9], v1, v[8:9]
	v_sub_nc_u32_e32 v1, 32, v1
	s_delay_alu instid0(VALU_DEP_2) | instskip(NEXT) | instid1(VALU_DEP_1)
	v_min_u32_e32 v7, 1, v8
	v_or_b32_e32 v7, v9, v7
	s_delay_alu instid0(VALU_DEP_1) | instskip(NEXT) | instid1(VALU_DEP_1)
	v_cvt_f32_i32_e32 v7, v7
	v_ldexp_f32 v1, v7, v1
	s_delay_alu instid0(VALU_DEP_1) | instskip(NEXT) | instid1(VALU_DEP_1)
	v_bfe_u32 v7, v1, 16, 1
	v_add3_u32 v1, v1, v7, 0x7fff
	s_delay_alu instid0(VALU_DEP_1)
	v_lshrrev_b32_e32 v7, 16, v1
	s_branch .LBB94_1404
.LBB94_1401:
	s_mov_b32 s3, -1
                                        ; implicit-def: $vgpr7
	s_branch .LBB94_1410
.LBB94_1402:
	s_mov_b32 s3, -1
                                        ; implicit-def: $vgpr7
	s_branch .LBB94_1407
.LBB94_1403:
	s_mov_b32 s3, -1
                                        ; implicit-def: $vgpr7
.LBB94_1404:
	s_delay_alu instid0(SALU_CYCLE_1)
	s_and_not1_b32 vcc_lo, exec_lo, s3
	s_cbranch_vccnz .LBB94_1406
; %bb.1405:
	global_load_b32 v1, v[2:3], off
	s_wait_loadcnt 0x0
	v_cvt_f32_i32_e32 v1, v1
	s_delay_alu instid0(VALU_DEP_1) | instskip(NEXT) | instid1(VALU_DEP_1)
	v_bfe_u32 v7, v1, 16, 1
	v_add3_u32 v1, v1, v7, 0x7fff
	s_delay_alu instid0(VALU_DEP_1)
	v_lshrrev_b32_e32 v7, 16, v1
.LBB94_1406:
	s_mov_b32 s3, 0
.LBB94_1407:
	s_delay_alu instid0(SALU_CYCLE_1)
	s_and_not1_b32 vcc_lo, exec_lo, s3
	s_cbranch_vccnz .LBB94_1409
; %bb.1408:
	global_load_i16 v1, v[2:3], off
	s_wait_loadcnt 0x0
	v_cvt_f32_i32_e32 v1, v1
	s_delay_alu instid0(VALU_DEP_1) | instskip(NEXT) | instid1(VALU_DEP_1)
	v_bfe_u32 v7, v1, 16, 1
	v_add3_u32 v1, v1, v7, 0x7fff
	s_delay_alu instid0(VALU_DEP_1)
	v_lshrrev_b32_e32 v7, 16, v1
.LBB94_1409:
	s_mov_b32 s3, 0
.LBB94_1410:
	s_delay_alu instid0(SALU_CYCLE_1)
	s_and_not1_b32 vcc_lo, exec_lo, s3
	s_cbranch_vccnz .LBB94_1416
; %bb.1411:
	s_cmp_gt_i32 s0, 0
	s_mov_b32 s3, 0
	s_cbranch_scc0 .LBB94_1413
; %bb.1412:
	global_load_i8 v1, v[2:3], off
	s_wait_loadcnt 0x0
	v_cvt_f32_i32_e32 v1, v1
	s_delay_alu instid0(VALU_DEP_1) | instskip(NEXT) | instid1(VALU_DEP_1)
	v_bfe_u32 v7, v1, 16, 1
	v_add3_u32 v1, v1, v7, 0x7fff
	s_delay_alu instid0(VALU_DEP_1)
	v_lshrrev_b32_e32 v7, 16, v1
	s_branch .LBB94_1414
.LBB94_1413:
	s_mov_b32 s3, -1
                                        ; implicit-def: $vgpr7
.LBB94_1414:
	s_delay_alu instid0(SALU_CYCLE_1)
	s_and_not1_b32 vcc_lo, exec_lo, s3
	s_cbranch_vccnz .LBB94_1416
; %bb.1415:
	global_load_u8 v1, v[2:3], off
	s_wait_loadcnt 0x0
	v_cvt_f32_ubyte0_e32 v1, v1
	s_wait_xcnt 0x0
	s_delay_alu instid0(VALU_DEP_1) | instskip(NEXT) | instid1(VALU_DEP_1)
	v_bfe_u32 v2, v1, 16, 1
	v_add3_u32 v1, v1, v2, 0x7fff
	s_delay_alu instid0(VALU_DEP_1)
	v_lshrrev_b32_e32 v7, 16, v1
.LBB94_1416:
.LBB94_1417:
	v_add_nc_u32_e32 v0, s1, v0
	s_cmp_lt_i32 s0, 11
	s_delay_alu instid0(VALU_DEP_1) | instskip(NEXT) | instid1(VALU_DEP_1)
	v_ashrrev_i32_e32 v1, 31, v0
	v_add_nc_u64_e32 v[0:1], s[6:7], v[0:1]
	s_cbranch_scc1 .LBB94_1424
; %bb.1418:
	s_cmp_gt_i32 s0, 25
	s_mov_b32 s3, 0
	s_cbranch_scc0 .LBB94_1425
; %bb.1419:
	s_cmp_gt_i32 s0, 28
	s_cbranch_scc0 .LBB94_1426
; %bb.1420:
	s_cmp_gt_i32 s0, 43
	;; [unrolled: 3-line block ×3, first 2 shown]
	s_cbranch_scc0 .LBB94_1429
; %bb.1422:
	s_cmp_eq_u32 s0, 46
	s_mov_b32 s7, 0
	s_cbranch_scc0 .LBB94_1430
; %bb.1423:
	global_load_b32 v8, v[0:1], off
	s_mov_b32 s1, 0
	s_mov_b32 s6, -1
	s_branch .LBB94_1432
.LBB94_1424:
	s_mov_b32 s1, -1
	s_mov_b32 s6, 0
                                        ; implicit-def: $vgpr8
	s_branch .LBB94_1498
.LBB94_1425:
	s_mov_b32 s7, -1
	s_mov_b32 s6, 0
	s_mov_b32 s1, 0
                                        ; implicit-def: $vgpr8
	s_branch .LBB94_1461
.LBB94_1426:
	s_mov_b32 s7, -1
	s_mov_b32 s6, 0
	s_mov_b32 s1, 0
                                        ; implicit-def: $vgpr8
	s_branch .LBB94_1442
.LBB94_1427:
	s_mov_b32 s7, -1
	s_mov_b32 s6, 0
	s_mov_b32 s1, 0
                                        ; implicit-def: $vgpr8
	s_branch .LBB94_1437
.LBB94_1428:
	s_or_b32 s9, s9, exec_lo
	s_trap 2
	s_cbranch_execz .LBB94_1367
	s_branch .LBB94_1368
.LBB94_1429:
	s_mov_b32 s7, -1
	s_mov_b32 s6, 0
	s_mov_b32 s1, 0
	s_branch .LBB94_1431
.LBB94_1430:
	s_mov_b32 s1, -1
	s_mov_b32 s6, 0
.LBB94_1431:
                                        ; implicit-def: $vgpr8
.LBB94_1432:
	s_and_b32 vcc_lo, exec_lo, s7
	s_cbranch_vccz .LBB94_1436
; %bb.1433:
	s_cmp_eq_u32 s0, 44
	s_cbranch_scc0 .LBB94_1435
; %bb.1434:
	global_load_u8 v2, v[0:1], off
	s_mov_b32 s1, 0
	s_mov_b32 s6, -1
	s_wait_loadcnt 0x0
	v_lshlrev_b32_e32 v3, 23, v2
	v_cmp_ne_u32_e32 vcc_lo, 0xff, v2
	s_delay_alu instid0(VALU_DEP_2) | instskip(SKIP_1) | instid1(VALU_DEP_2)
	v_cndmask_b32_e32 v3, 0x7f800001, v3, vcc_lo
	v_cmp_ne_u32_e32 vcc_lo, 0, v2
	v_cndmask_b32_e32 v2, 0x400000, v3, vcc_lo
	s_delay_alu instid0(VALU_DEP_1) | instskip(NEXT) | instid1(VALU_DEP_1)
	v_add_nc_u32_e32 v3, 0x7fff, v2
	v_lshrrev_b32_e32 v3, 16, v3
	v_cmp_o_f32_e32 vcc_lo, v2, v2
	s_delay_alu instid0(VALU_DEP_2)
	v_cndmask_b32_e32 v8, 0x7fc0, v3, vcc_lo
	s_branch .LBB94_1436
.LBB94_1435:
	s_mov_b32 s1, -1
                                        ; implicit-def: $vgpr8
.LBB94_1436:
	s_mov_b32 s7, 0
.LBB94_1437:
	s_delay_alu instid0(SALU_CYCLE_1)
	s_and_b32 vcc_lo, exec_lo, s7
	s_cbranch_vccz .LBB94_1441
; %bb.1438:
	s_cmp_eq_u32 s0, 29
	s_cbranch_scc0 .LBB94_1440
; %bb.1439:
	global_load_b64 v[2:3], v[0:1], off
	s_mov_b32 s1, 0
	s_mov_b32 s6, -1
	s_mov_b32 s7, 0
	s_wait_loadcnt 0x0
	v_clz_i32_u32_e32 v8, v3
	s_delay_alu instid0(VALU_DEP_1) | instskip(NEXT) | instid1(VALU_DEP_1)
	v_min_u32_e32 v8, 32, v8
	v_lshlrev_b64_e32 v[2:3], v8, v[2:3]
	s_delay_alu instid0(VALU_DEP_1) | instskip(NEXT) | instid1(VALU_DEP_1)
	v_min_u32_e32 v2, 1, v2
	v_dual_sub_nc_u32 v3, 32, v8 :: v_dual_bitop2_b32 v2, v3, v2 bitop3:0x54
	s_delay_alu instid0(VALU_DEP_1) | instskip(NEXT) | instid1(VALU_DEP_1)
	v_cvt_f32_u32_e32 v2, v2
	v_ldexp_f32 v2, v2, v3
	s_delay_alu instid0(VALU_DEP_1) | instskip(NEXT) | instid1(VALU_DEP_1)
	v_bfe_u32 v3, v2, 16, 1
	v_add3_u32 v2, v2, v3, 0x7fff
	s_delay_alu instid0(VALU_DEP_1)
	v_lshrrev_b32_e32 v8, 16, v2
	s_branch .LBB94_1442
.LBB94_1440:
	s_mov_b32 s1, -1
                                        ; implicit-def: $vgpr8
.LBB94_1441:
	s_mov_b32 s7, 0
.LBB94_1442:
	s_delay_alu instid0(SALU_CYCLE_1)
	s_and_b32 vcc_lo, exec_lo, s7
	s_cbranch_vccz .LBB94_1460
; %bb.1443:
	s_cmp_lt_i32 s0, 27
	s_cbranch_scc1 .LBB94_1446
; %bb.1444:
	s_cmp_gt_i32 s0, 27
	s_cbranch_scc0 .LBB94_1447
; %bb.1445:
	global_load_b32 v2, v[0:1], off
	s_mov_b32 s6, 0
	s_wait_loadcnt 0x0
	v_cvt_f32_u32_e32 v2, v2
	s_delay_alu instid0(VALU_DEP_1) | instskip(NEXT) | instid1(VALU_DEP_1)
	v_bfe_u32 v3, v2, 16, 1
	v_add3_u32 v2, v2, v3, 0x7fff
	s_delay_alu instid0(VALU_DEP_1)
	v_lshrrev_b32_e32 v8, 16, v2
	s_branch .LBB94_1448
.LBB94_1446:
	s_mov_b32 s6, -1
                                        ; implicit-def: $vgpr8
	s_branch .LBB94_1451
.LBB94_1447:
	s_mov_b32 s6, -1
                                        ; implicit-def: $vgpr8
.LBB94_1448:
	s_delay_alu instid0(SALU_CYCLE_1)
	s_and_not1_b32 vcc_lo, exec_lo, s6
	s_cbranch_vccnz .LBB94_1450
; %bb.1449:
	global_load_u16 v2, v[0:1], off
	s_wait_loadcnt 0x0
	v_cvt_f32_u32_e32 v2, v2
	s_delay_alu instid0(VALU_DEP_1) | instskip(NEXT) | instid1(VALU_DEP_1)
	v_bfe_u32 v3, v2, 16, 1
	v_add3_u32 v2, v2, v3, 0x7fff
	s_delay_alu instid0(VALU_DEP_1)
	v_lshrrev_b32_e32 v8, 16, v2
.LBB94_1450:
	s_mov_b32 s6, 0
.LBB94_1451:
	s_delay_alu instid0(SALU_CYCLE_1)
	s_and_not1_b32 vcc_lo, exec_lo, s6
	s_cbranch_vccnz .LBB94_1459
; %bb.1452:
	global_load_u8 v2, v[0:1], off
	s_mov_b32 s6, 0
	s_mov_b32 s7, exec_lo
	s_wait_loadcnt 0x0
	v_cmpx_lt_i16_e32 0x7f, v2
	s_xor_b32 s7, exec_lo, s7
	s_cbranch_execz .LBB94_1473
; %bb.1453:
	s_mov_b32 s6, -1
	s_mov_b32 s10, exec_lo
	v_cmpx_eq_u16_e32 0x80, v2
; %bb.1454:
	s_xor_b32 s6, exec_lo, -1
; %bb.1455:
	s_or_b32 exec_lo, exec_lo, s10
	s_delay_alu instid0(SALU_CYCLE_1)
	s_and_b32 s6, s6, exec_lo
	s_or_saveexec_b32 s7, s7
	v_mov_b32_e32 v3, 0x7f800001
	s_xor_b32 exec_lo, exec_lo, s7
	s_cbranch_execnz .LBB94_1474
.LBB94_1456:
	s_or_b32 exec_lo, exec_lo, s7
	s_and_saveexec_b32 s7, s6
	s_cbranch_execz .LBB94_1458
.LBB94_1457:
	v_and_b32_e32 v3, 0xffff, v2
	s_delay_alu instid0(VALU_DEP_1) | instskip(SKIP_1) | instid1(VALU_DEP_2)
	v_and_b32_e32 v8, 7, v3
	v_bfe_u32 v11, v3, 3, 4
	v_clz_i32_u32_e32 v9, v8
	s_delay_alu instid0(VALU_DEP_2) | instskip(NEXT) | instid1(VALU_DEP_2)
	v_cmp_eq_u32_e32 vcc_lo, 0, v11
	v_min_u32_e32 v9, 32, v9
	s_delay_alu instid0(VALU_DEP_1) | instskip(NEXT) | instid1(VALU_DEP_1)
	v_subrev_nc_u32_e32 v10, 28, v9
	v_dual_lshlrev_b32 v3, v10, v3 :: v_dual_sub_nc_u32 v9, 29, v9
	s_delay_alu instid0(VALU_DEP_1) | instskip(NEXT) | instid1(VALU_DEP_1)
	v_dual_lshlrev_b32 v2, 24, v2 :: v_dual_bitop2_b32 v3, 7, v3 bitop3:0x40
	v_dual_cndmask_b32 v9, v11, v9, vcc_lo :: v_dual_cndmask_b32 v3, v8, v3, vcc_lo
	s_delay_alu instid0(VALU_DEP_2) | instskip(NEXT) | instid1(VALU_DEP_2)
	v_and_b32_e32 v2, 0x80000000, v2
	v_lshl_add_u32 v8, v9, 23, 0x3b800000
	s_delay_alu instid0(VALU_DEP_3) | instskip(NEXT) | instid1(VALU_DEP_1)
	v_lshlrev_b32_e32 v3, 20, v3
	v_or3_b32 v3, v2, v8, v3
.LBB94_1458:
	s_or_b32 exec_lo, exec_lo, s7
	s_delay_alu instid0(VALU_DEP_1) | instskip(SKIP_1) | instid1(VALU_DEP_2)
	v_bfe_u32 v2, v3, 16, 1
	v_cmp_o_f32_e32 vcc_lo, v3, v3
	v_add3_u32 v2, v3, v2, 0x7fff
	s_delay_alu instid0(VALU_DEP_1) | instskip(NEXT) | instid1(VALU_DEP_1)
	v_lshrrev_b32_e32 v2, 16, v2
	v_cndmask_b32_e32 v8, 0x7fc0, v2, vcc_lo
.LBB94_1459:
	s_mov_b32 s6, -1
.LBB94_1460:
	s_mov_b32 s7, 0
.LBB94_1461:
	s_delay_alu instid0(SALU_CYCLE_1)
	s_and_b32 vcc_lo, exec_lo, s7
	s_cbranch_vccz .LBB94_1494
; %bb.1462:
	s_cmp_gt_i32 s0, 22
	s_cbranch_scc0 .LBB94_1472
; %bb.1463:
	s_cmp_lt_i32 s0, 24
	s_cbranch_scc1 .LBB94_1475
; %bb.1464:
	s_cmp_gt_i32 s0, 24
	s_cbranch_scc0 .LBB94_1476
; %bb.1465:
	global_load_u8 v2, v[0:1], off
	s_mov_b32 s6, exec_lo
	s_wait_loadcnt 0x0
	v_cmpx_lt_i16_e32 0x7f, v2
	s_xor_b32 s6, exec_lo, s6
	s_cbranch_execz .LBB94_1488
; %bb.1466:
	s_mov_b32 s3, -1
	s_mov_b32 s7, exec_lo
	v_cmpx_eq_u16_e32 0x80, v2
; %bb.1467:
	s_xor_b32 s3, exec_lo, -1
; %bb.1468:
	s_or_b32 exec_lo, exec_lo, s7
	s_delay_alu instid0(SALU_CYCLE_1)
	s_and_b32 s3, s3, exec_lo
	s_or_saveexec_b32 s6, s6
	v_mov_b32_e32 v3, 0x7f800001
	s_xor_b32 exec_lo, exec_lo, s6
	s_cbranch_execnz .LBB94_1489
.LBB94_1469:
	s_or_b32 exec_lo, exec_lo, s6
	s_and_saveexec_b32 s6, s3
	s_cbranch_execz .LBB94_1471
.LBB94_1470:
	v_and_b32_e32 v3, 0xffff, v2
	s_delay_alu instid0(VALU_DEP_1) | instskip(SKIP_1) | instid1(VALU_DEP_2)
	v_and_b32_e32 v8, 3, v3
	v_bfe_u32 v11, v3, 2, 5
	v_clz_i32_u32_e32 v9, v8
	s_delay_alu instid0(VALU_DEP_2) | instskip(NEXT) | instid1(VALU_DEP_2)
	v_cmp_eq_u32_e32 vcc_lo, 0, v11
	v_min_u32_e32 v9, 32, v9
	s_delay_alu instid0(VALU_DEP_1) | instskip(NEXT) | instid1(VALU_DEP_1)
	v_subrev_nc_u32_e32 v10, 29, v9
	v_dual_lshlrev_b32 v3, v10, v3 :: v_dual_sub_nc_u32 v9, 30, v9
	s_delay_alu instid0(VALU_DEP_1) | instskip(NEXT) | instid1(VALU_DEP_1)
	v_dual_lshlrev_b32 v2, 24, v2 :: v_dual_bitop2_b32 v3, 3, v3 bitop3:0x40
	v_dual_cndmask_b32 v9, v11, v9, vcc_lo :: v_dual_cndmask_b32 v3, v8, v3, vcc_lo
	s_delay_alu instid0(VALU_DEP_2) | instskip(NEXT) | instid1(VALU_DEP_2)
	v_and_b32_e32 v2, 0x80000000, v2
	v_lshl_add_u32 v8, v9, 23, 0x37800000
	s_delay_alu instid0(VALU_DEP_3) | instskip(NEXT) | instid1(VALU_DEP_1)
	v_lshlrev_b32_e32 v3, 21, v3
	v_or3_b32 v3, v2, v8, v3
.LBB94_1471:
	s_or_b32 exec_lo, exec_lo, s6
	s_delay_alu instid0(VALU_DEP_1) | instskip(SKIP_2) | instid1(VALU_DEP_2)
	v_bfe_u32 v2, v3, 16, 1
	v_cmp_o_f32_e32 vcc_lo, v3, v3
	s_mov_b32 s3, 0
	v_add3_u32 v2, v3, v2, 0x7fff
	s_delay_alu instid0(VALU_DEP_1) | instskip(NEXT) | instid1(VALU_DEP_1)
	v_lshrrev_b32_e32 v2, 16, v2
	v_cndmask_b32_e32 v8, 0x7fc0, v2, vcc_lo
	s_branch .LBB94_1477
.LBB94_1472:
	s_mov_b32 s3, -1
                                        ; implicit-def: $vgpr8
	s_branch .LBB94_1483
.LBB94_1473:
	s_or_saveexec_b32 s7, s7
	v_mov_b32_e32 v3, 0x7f800001
	s_xor_b32 exec_lo, exec_lo, s7
	s_cbranch_execz .LBB94_1456
.LBB94_1474:
	v_cmp_ne_u16_e32 vcc_lo, 0, v2
	v_mov_b32_e32 v3, 0
	s_and_not1_b32 s6, s6, exec_lo
	s_and_b32 s10, vcc_lo, exec_lo
	s_delay_alu instid0(SALU_CYCLE_1)
	s_or_b32 s6, s6, s10
	s_or_b32 exec_lo, exec_lo, s7
	s_and_saveexec_b32 s7, s6
	s_cbranch_execnz .LBB94_1457
	s_branch .LBB94_1458
.LBB94_1475:
	s_mov_b32 s3, -1
                                        ; implicit-def: $vgpr8
	s_branch .LBB94_1480
.LBB94_1476:
	s_mov_b32 s3, -1
                                        ; implicit-def: $vgpr8
.LBB94_1477:
	s_delay_alu instid0(SALU_CYCLE_1)
	s_and_b32 vcc_lo, exec_lo, s3
	s_cbranch_vccz .LBB94_1479
; %bb.1478:
	global_load_u8 v2, v[0:1], off
	s_wait_loadcnt 0x0
	v_lshlrev_b32_e32 v2, 24, v2
	s_delay_alu instid0(VALU_DEP_1) | instskip(NEXT) | instid1(VALU_DEP_1)
	v_and_b32_e32 v3, 0x7f000000, v2
	v_clz_i32_u32_e32 v8, v3
	v_cmp_ne_u32_e32 vcc_lo, 0, v3
	v_add_nc_u32_e32 v10, 0x1000000, v3
	s_delay_alu instid0(VALU_DEP_3) | instskip(NEXT) | instid1(VALU_DEP_1)
	v_min_u32_e32 v8, 32, v8
	v_sub_nc_u32_e64 v8, v8, 4 clamp
	s_delay_alu instid0(VALU_DEP_1) | instskip(NEXT) | instid1(VALU_DEP_1)
	v_dual_lshlrev_b32 v9, v8, v3 :: v_dual_lshlrev_b32 v8, 23, v8
	v_lshrrev_b32_e32 v9, 4, v9
	s_delay_alu instid0(VALU_DEP_1) | instskip(NEXT) | instid1(VALU_DEP_1)
	v_dual_sub_nc_u32 v8, v9, v8 :: v_dual_ashrrev_i32 v9, 8, v10
	v_add_nc_u32_e32 v8, 0x3c000000, v8
	s_delay_alu instid0(VALU_DEP_1) | instskip(NEXT) | instid1(VALU_DEP_1)
	v_and_or_b32 v8, 0x7f800000, v9, v8
	v_cndmask_b32_e32 v3, 0, v8, vcc_lo
	s_delay_alu instid0(VALU_DEP_1) | instskip(SKIP_1) | instid1(VALU_DEP_2)
	v_and_or_b32 v2, 0x80000000, v2, v3
	v_bfe_u32 v3, v3, 16, 1
	v_cmp_o_f32_e32 vcc_lo, v2, v2
	s_delay_alu instid0(VALU_DEP_2) | instskip(NEXT) | instid1(VALU_DEP_1)
	v_add3_u32 v3, v2, v3, 0x7fff
	v_lshrrev_b32_e32 v3, 16, v3
	s_delay_alu instid0(VALU_DEP_1)
	v_cndmask_b32_e32 v8, 0x7fc0, v3, vcc_lo
.LBB94_1479:
	s_mov_b32 s3, 0
.LBB94_1480:
	s_delay_alu instid0(SALU_CYCLE_1)
	s_and_not1_b32 vcc_lo, exec_lo, s3
	s_cbranch_vccnz .LBB94_1482
; %bb.1481:
	global_load_u8 v2, v[0:1], off
	s_wait_loadcnt 0x0
	v_lshlrev_b32_e32 v3, 25, v2
	v_lshlrev_b16 v2, 8, v2
	s_delay_alu instid0(VALU_DEP_1) | instskip(SKIP_1) | instid1(VALU_DEP_2)
	v_and_or_b32 v9, 0x7f00, v2, 0.5
	v_bfe_i32 v2, v2, 0, 16
	v_dual_add_f32 v9, -0.5, v9 :: v_dual_lshrrev_b32 v8, 4, v3
	v_cmp_gt_u32_e32 vcc_lo, 0x8000000, v3
	s_delay_alu instid0(VALU_DEP_2) | instskip(NEXT) | instid1(VALU_DEP_1)
	v_or_b32_e32 v8, 0x70000000, v8
	v_mul_f32_e32 v8, 0x7800000, v8
	s_delay_alu instid0(VALU_DEP_1) | instskip(NEXT) | instid1(VALU_DEP_1)
	v_cndmask_b32_e32 v3, v8, v9, vcc_lo
	v_and_or_b32 v2, 0x80000000, v2, v3
	v_bfe_u32 v3, v3, 16, 1
	s_delay_alu instid0(VALU_DEP_2) | instskip(NEXT) | instid1(VALU_DEP_2)
	v_cmp_o_f32_e32 vcc_lo, v2, v2
	v_add3_u32 v3, v2, v3, 0x7fff
	s_delay_alu instid0(VALU_DEP_1) | instskip(NEXT) | instid1(VALU_DEP_1)
	v_lshrrev_b32_e32 v3, 16, v3
	v_cndmask_b32_e32 v8, 0x7fc0, v3, vcc_lo
.LBB94_1482:
	s_mov_b32 s3, 0
	s_mov_b32 s6, -1
.LBB94_1483:
	s_and_not1_b32 vcc_lo, exec_lo, s3
	s_mov_b32 s3, 0
	s_cbranch_vccnz .LBB94_1494
; %bb.1484:
	s_cmp_gt_i32 s0, 14
	s_cbranch_scc0 .LBB94_1487
; %bb.1485:
	s_cmp_eq_u32 s0, 15
	s_cbranch_scc0 .LBB94_1490
; %bb.1486:
	s_wait_loadcnt 0x0
	global_load_u16 v8, v[0:1], off
	s_mov_b32 s1, 0
	s_mov_b32 s6, -1
	s_branch .LBB94_1492
.LBB94_1487:
	s_mov_b32 s3, -1
	s_branch .LBB94_1491
.LBB94_1488:
	s_or_saveexec_b32 s6, s6
	v_mov_b32_e32 v3, 0x7f800001
	s_xor_b32 exec_lo, exec_lo, s6
	s_cbranch_execz .LBB94_1469
.LBB94_1489:
	v_cmp_ne_u16_e32 vcc_lo, 0, v2
	v_mov_b32_e32 v3, 0
	s_and_not1_b32 s3, s3, exec_lo
	s_and_b32 s7, vcc_lo, exec_lo
	s_delay_alu instid0(SALU_CYCLE_1)
	s_or_b32 s3, s3, s7
	s_or_b32 exec_lo, exec_lo, s6
	s_and_saveexec_b32 s6, s3
	s_cbranch_execnz .LBB94_1470
	s_branch .LBB94_1471
.LBB94_1490:
	s_mov_b32 s1, -1
.LBB94_1491:
                                        ; implicit-def: $vgpr8
.LBB94_1492:
	s_and_b32 vcc_lo, exec_lo, s3
	s_mov_b32 s3, 0
	s_cbranch_vccz .LBB94_1494
; %bb.1493:
	s_cmp_lg_u32 s0, 11
	s_mov_b32 s3, -1
	s_cselect_b32 s1, -1, 0
.LBB94_1494:
	s_delay_alu instid0(SALU_CYCLE_1)
	s_and_b32 vcc_lo, exec_lo, s1
	s_cbranch_vccnz .LBB94_2027
; %bb.1495:
	s_and_not1_b32 vcc_lo, exec_lo, s3
	s_cbranch_vccnz .LBB94_1497
.LBB94_1496:
	global_load_u8 v2, v[0:1], off
	s_mov_b32 s6, -1
	s_wait_loadcnt 0x0
	v_cmp_ne_u16_e32 vcc_lo, 0, v2
	v_cndmask_b32_e64 v2, 0, 1.0, vcc_lo
	s_delay_alu instid0(VALU_DEP_1)
	v_lshrrev_b32_e32 v8, 16, v2
.LBB94_1497:
	s_mov_b32 s1, 0
.LBB94_1498:
	s_delay_alu instid0(SALU_CYCLE_1)
	s_and_b32 vcc_lo, exec_lo, s1
	s_cbranch_vccz .LBB94_1547
; %bb.1499:
	s_cmp_lt_i32 s0, 5
	s_cbranch_scc1 .LBB94_1504
; %bb.1500:
	s_cmp_lt_i32 s0, 8
	s_cbranch_scc1 .LBB94_1505
	;; [unrolled: 3-line block ×3, first 2 shown]
; %bb.1502:
	s_cmp_gt_i32 s0, 9
	s_cbranch_scc0 .LBB94_1507
; %bb.1503:
	global_load_b64 v[2:3], v[0:1], off
	s_mov_b32 s1, 0
	s_wait_loadcnt 0x0
	v_cvt_f32_f64_e32 v2, v[2:3]
	s_delay_alu instid0(VALU_DEP_1) | instskip(SKIP_1) | instid1(VALU_DEP_2)
	v_bfe_u32 v3, v2, 16, 1
	v_cmp_o_f32_e32 vcc_lo, v2, v2
	v_add3_u32 v3, v2, v3, 0x7fff
	s_delay_alu instid0(VALU_DEP_1) | instskip(NEXT) | instid1(VALU_DEP_1)
	v_lshrrev_b32_e32 v3, 16, v3
	v_cndmask_b32_e32 v8, 0x7fc0, v3, vcc_lo
	s_branch .LBB94_1508
.LBB94_1504:
	s_mov_b32 s1, -1
                                        ; implicit-def: $vgpr8
	s_branch .LBB94_1526
.LBB94_1505:
	s_mov_b32 s1, -1
                                        ; implicit-def: $vgpr8
	s_branch .LBB94_1514
.LBB94_1506:
	s_mov_b32 s1, -1
                                        ; implicit-def: $vgpr8
	s_branch .LBB94_1511
.LBB94_1507:
	s_mov_b32 s1, -1
                                        ; implicit-def: $vgpr8
.LBB94_1508:
	s_delay_alu instid0(SALU_CYCLE_1)
	s_and_not1_b32 vcc_lo, exec_lo, s1
	s_cbranch_vccnz .LBB94_1510
; %bb.1509:
	global_load_b32 v2, v[0:1], off
	s_wait_loadcnt 0x0
	v_bfe_u32 v3, v2, 16, 1
	v_cmp_o_f32_e32 vcc_lo, v2, v2
	s_delay_alu instid0(VALU_DEP_2) | instskip(NEXT) | instid1(VALU_DEP_1)
	v_add3_u32 v3, v2, v3, 0x7fff
	v_lshrrev_b32_e32 v3, 16, v3
	s_delay_alu instid0(VALU_DEP_1)
	v_cndmask_b32_e32 v8, 0x7fc0, v3, vcc_lo
.LBB94_1510:
	s_mov_b32 s1, 0
.LBB94_1511:
	s_delay_alu instid0(SALU_CYCLE_1)
	s_and_not1_b32 vcc_lo, exec_lo, s1
	s_cbranch_vccnz .LBB94_1513
; %bb.1512:
	global_load_b32 v2, v[0:1], off
	s_wait_loadcnt 0x0
	v_cvt_f32_f16_e32 v3, v2
	v_cmp_o_f16_e32 vcc_lo, v2, v2
	s_delay_alu instid0(VALU_DEP_2) | instskip(NEXT) | instid1(VALU_DEP_1)
	v_bfe_u32 v8, v3, 16, 1
	v_add3_u32 v3, v3, v8, 0x7fff
	s_delay_alu instid0(VALU_DEP_1) | instskip(NEXT) | instid1(VALU_DEP_1)
	v_lshrrev_b32_e32 v3, 16, v3
	v_cndmask_b32_e32 v8, 0x7fc0, v3, vcc_lo
.LBB94_1513:
	s_mov_b32 s1, 0
.LBB94_1514:
	s_delay_alu instid0(SALU_CYCLE_1)
	s_and_not1_b32 vcc_lo, exec_lo, s1
	s_cbranch_vccnz .LBB94_1525
; %bb.1515:
	s_cmp_lt_i32 s0, 6
	s_cbranch_scc1 .LBB94_1518
; %bb.1516:
	s_cmp_gt_i32 s0, 6
	s_cbranch_scc0 .LBB94_1519
; %bb.1517:
	global_load_b64 v[2:3], v[0:1], off
	s_mov_b32 s1, 0
	s_wait_loadcnt 0x0
	v_cvt_f32_f64_e32 v2, v[2:3]
	s_delay_alu instid0(VALU_DEP_1) | instskip(SKIP_1) | instid1(VALU_DEP_2)
	v_bfe_u32 v3, v2, 16, 1
	v_cmp_o_f32_e32 vcc_lo, v2, v2
	v_add3_u32 v3, v2, v3, 0x7fff
	s_delay_alu instid0(VALU_DEP_1) | instskip(NEXT) | instid1(VALU_DEP_1)
	v_lshrrev_b32_e32 v3, 16, v3
	v_cndmask_b32_e32 v8, 0x7fc0, v3, vcc_lo
	s_branch .LBB94_1520
.LBB94_1518:
	s_mov_b32 s1, -1
                                        ; implicit-def: $vgpr8
	s_branch .LBB94_1523
.LBB94_1519:
	s_mov_b32 s1, -1
                                        ; implicit-def: $vgpr8
.LBB94_1520:
	s_delay_alu instid0(SALU_CYCLE_1)
	s_and_not1_b32 vcc_lo, exec_lo, s1
	s_cbranch_vccnz .LBB94_1522
; %bb.1521:
	global_load_b32 v2, v[0:1], off
	s_wait_loadcnt 0x0
	v_bfe_u32 v3, v2, 16, 1
	v_cmp_o_f32_e32 vcc_lo, v2, v2
	s_delay_alu instid0(VALU_DEP_2) | instskip(NEXT) | instid1(VALU_DEP_1)
	v_add3_u32 v3, v2, v3, 0x7fff
	v_lshrrev_b32_e32 v3, 16, v3
	s_delay_alu instid0(VALU_DEP_1)
	v_cndmask_b32_e32 v8, 0x7fc0, v3, vcc_lo
.LBB94_1522:
	s_mov_b32 s1, 0
.LBB94_1523:
	s_delay_alu instid0(SALU_CYCLE_1)
	s_and_not1_b32 vcc_lo, exec_lo, s1
	s_cbranch_vccnz .LBB94_1525
; %bb.1524:
	global_load_u16 v2, v[0:1], off
	s_wait_loadcnt 0x0
	v_cvt_f32_f16_e32 v3, v2
	v_cmp_o_f16_e32 vcc_lo, v2, v2
	s_delay_alu instid0(VALU_DEP_2) | instskip(NEXT) | instid1(VALU_DEP_1)
	v_bfe_u32 v8, v3, 16, 1
	v_add3_u32 v3, v3, v8, 0x7fff
	s_delay_alu instid0(VALU_DEP_1) | instskip(NEXT) | instid1(VALU_DEP_1)
	v_lshrrev_b32_e32 v3, 16, v3
	v_cndmask_b32_e32 v8, 0x7fc0, v3, vcc_lo
.LBB94_1525:
	s_mov_b32 s1, 0
.LBB94_1526:
	s_delay_alu instid0(SALU_CYCLE_1)
	s_and_not1_b32 vcc_lo, exec_lo, s1
	s_cbranch_vccnz .LBB94_1546
; %bb.1527:
	s_cmp_lt_i32 s0, 2
	s_cbranch_scc1 .LBB94_1531
; %bb.1528:
	s_cmp_lt_i32 s0, 3
	s_cbranch_scc1 .LBB94_1532
; %bb.1529:
	s_cmp_gt_i32 s0, 3
	s_cbranch_scc0 .LBB94_1533
; %bb.1530:
	global_load_b64 v[2:3], v[0:1], off
	s_mov_b32 s1, 0
	s_wait_loadcnt 0x0
	v_xor_b32_e32 v8, v2, v3
	v_cls_i32_e32 v9, v3
	s_delay_alu instid0(VALU_DEP_2) | instskip(NEXT) | instid1(VALU_DEP_1)
	v_ashrrev_i32_e32 v8, 31, v8
	v_add_nc_u32_e32 v8, 32, v8
	s_delay_alu instid0(VALU_DEP_1) | instskip(NEXT) | instid1(VALU_DEP_1)
	v_add_min_u32_e64 v8, v9, -1, v8
	v_lshlrev_b64_e32 v[2:3], v8, v[2:3]
	s_delay_alu instid0(VALU_DEP_1) | instskip(NEXT) | instid1(VALU_DEP_1)
	v_min_u32_e32 v2, 1, v2
	v_dual_sub_nc_u32 v3, 32, v8 :: v_dual_bitop2_b32 v2, v3, v2 bitop3:0x54
	s_delay_alu instid0(VALU_DEP_1) | instskip(NEXT) | instid1(VALU_DEP_1)
	v_cvt_f32_i32_e32 v2, v2
	v_ldexp_f32 v2, v2, v3
	s_delay_alu instid0(VALU_DEP_1) | instskip(NEXT) | instid1(VALU_DEP_1)
	v_bfe_u32 v3, v2, 16, 1
	v_add3_u32 v2, v2, v3, 0x7fff
	s_delay_alu instid0(VALU_DEP_1)
	v_lshrrev_b32_e32 v8, 16, v2
	s_branch .LBB94_1534
.LBB94_1531:
	s_mov_b32 s1, -1
                                        ; implicit-def: $vgpr8
	s_branch .LBB94_1540
.LBB94_1532:
	s_mov_b32 s1, -1
                                        ; implicit-def: $vgpr8
	s_branch .LBB94_1537
.LBB94_1533:
	s_mov_b32 s1, -1
                                        ; implicit-def: $vgpr8
.LBB94_1534:
	s_delay_alu instid0(SALU_CYCLE_1)
	s_and_not1_b32 vcc_lo, exec_lo, s1
	s_cbranch_vccnz .LBB94_1536
; %bb.1535:
	global_load_b32 v2, v[0:1], off
	s_wait_loadcnt 0x0
	v_cvt_f32_i32_e32 v2, v2
	s_delay_alu instid0(VALU_DEP_1) | instskip(NEXT) | instid1(VALU_DEP_1)
	v_bfe_u32 v3, v2, 16, 1
	v_add3_u32 v2, v2, v3, 0x7fff
	s_delay_alu instid0(VALU_DEP_1)
	v_lshrrev_b32_e32 v8, 16, v2
.LBB94_1536:
	s_mov_b32 s1, 0
.LBB94_1537:
	s_delay_alu instid0(SALU_CYCLE_1)
	s_and_not1_b32 vcc_lo, exec_lo, s1
	s_cbranch_vccnz .LBB94_1539
; %bb.1538:
	global_load_i16 v2, v[0:1], off
	s_wait_loadcnt 0x0
	v_cvt_f32_i32_e32 v2, v2
	s_delay_alu instid0(VALU_DEP_1) | instskip(NEXT) | instid1(VALU_DEP_1)
	v_bfe_u32 v3, v2, 16, 1
	v_add3_u32 v2, v2, v3, 0x7fff
	s_delay_alu instid0(VALU_DEP_1)
	v_lshrrev_b32_e32 v8, 16, v2
.LBB94_1539:
	s_mov_b32 s1, 0
.LBB94_1540:
	s_delay_alu instid0(SALU_CYCLE_1)
	s_and_not1_b32 vcc_lo, exec_lo, s1
	s_cbranch_vccnz .LBB94_1546
; %bb.1541:
	s_cmp_gt_i32 s0, 0
	s_mov_b32 s0, 0
	s_cbranch_scc0 .LBB94_1543
; %bb.1542:
	global_load_i8 v2, v[0:1], off
	s_wait_loadcnt 0x0
	v_cvt_f32_i32_e32 v2, v2
	s_delay_alu instid0(VALU_DEP_1) | instskip(NEXT) | instid1(VALU_DEP_1)
	v_bfe_u32 v3, v2, 16, 1
	v_add3_u32 v2, v2, v3, 0x7fff
	s_delay_alu instid0(VALU_DEP_1)
	v_lshrrev_b32_e32 v8, 16, v2
	s_branch .LBB94_1544
.LBB94_1543:
	s_mov_b32 s0, -1
                                        ; implicit-def: $vgpr8
.LBB94_1544:
	s_delay_alu instid0(SALU_CYCLE_1)
	s_and_not1_b32 vcc_lo, exec_lo, s0
	s_cbranch_vccnz .LBB94_1546
; %bb.1545:
	global_load_u8 v0, v[0:1], off
	s_wait_loadcnt 0x0
	v_cvt_f32_ubyte0_e32 v0, v0
	s_delay_alu instid0(VALU_DEP_1) | instskip(NEXT) | instid1(VALU_DEP_1)
	v_bfe_u32 v1, v0, 16, 1
	v_add3_u32 v0, v0, v1, 0x7fff
	s_delay_alu instid0(VALU_DEP_1)
	v_lshrrev_b32_e32 v8, 16, v0
.LBB94_1546:
	s_mov_b32 s6, -1
.LBB94_1547:
	s_delay_alu instid0(SALU_CYCLE_1)
	s_and_not1_b32 vcc_lo, exec_lo, s6
	s_cbranch_vccnz .LBB94_1981
; %bb.1548:
	s_wait_xcnt 0x0
	v_mul_lo_u32 v0, s2, v4
	s_and_b32 s13, s8, 0xff
	s_wait_loadcnt 0x0
	v_lshlrev_b32_e32 v4, 16, v5
	s_cmp_lt_i32 s13, 11
	s_delay_alu instid0(VALU_DEP_1) | instskip(NEXT) | instid1(VALU_DEP_3)
	v_cmp_eq_f32_e64 s0, 0xff800000, v4
	v_ashrrev_i32_e32 v1, 31, v0
	s_delay_alu instid0(VALU_DEP_1)
	v_add_nc_u64_e32 v[2:3], s[4:5], v[0:1]
	s_cbranch_scc1 .LBB94_1626
; %bb.1549:
	s_and_b32 s3, 0xffff, s13
	s_mov_b32 s8, -1
	s_mov_b32 s6, 0
	s_cmp_gt_i32 s3, 25
	s_mov_b32 s7, 0
	s_mov_b32 s1, 0
	s_cbranch_scc0 .LBB94_1582
; %bb.1550:
	s_cmp_gt_i32 s3, 28
	s_cbranch_scc0 .LBB94_1565
; %bb.1551:
	s_cmp_gt_i32 s3, 43
	;; [unrolled: 3-line block ×3, first 2 shown]
	s_cbranch_scc0 .LBB94_1555
; %bb.1553:
	s_mov_b32 s1, -1
	s_mov_b32 s8, 0
	s_cmp_eq_u32 s3, 46
	s_cbranch_scc0 .LBB94_1555
; %bb.1554:
	v_cndmask_b32_e64 v1, 0, 1.0, s0
	s_mov_b32 s1, 0
	s_mov_b32 s7, -1
	s_delay_alu instid0(VALU_DEP_1) | instskip(NEXT) | instid1(VALU_DEP_1)
	v_bfe_u32 v4, v1, 16, 1
	v_add3_u32 v1, v1, v4, 0x7fff
	s_delay_alu instid0(VALU_DEP_1)
	v_lshrrev_b32_e32 v1, 16, v1
	global_store_b32 v[2:3], v1, off
.LBB94_1555:
	s_and_b32 vcc_lo, exec_lo, s8
	s_cbranch_vccz .LBB94_1560
; %bb.1556:
	s_cmp_eq_u32 s3, 44
	s_mov_b32 s1, -1
	s_cbranch_scc0 .LBB94_1560
; %bb.1557:
	v_cndmask_b32_e64 v5, 0, 1.0, s0
	s_mov_b32 s7, exec_lo
	s_wait_xcnt 0x0
	s_delay_alu instid0(VALU_DEP_1) | instskip(NEXT) | instid1(VALU_DEP_1)
	v_dual_mov_b32 v4, 0xff :: v_dual_lshrrev_b32 v1, 23, v5
	v_cmpx_ne_u32_e32 0xff, v1
; %bb.1558:
	v_and_b32_e32 v4, 0x400000, v5
	v_and_or_b32 v5, 0x3fffff, v5, v1
	s_delay_alu instid0(VALU_DEP_2) | instskip(NEXT) | instid1(VALU_DEP_2)
	v_cmp_ne_u32_e32 vcc_lo, 0, v4
	v_cmp_ne_u32_e64 s1, 0, v5
	s_and_b32 s1, vcc_lo, s1
	s_delay_alu instid0(SALU_CYCLE_1) | instskip(NEXT) | instid1(VALU_DEP_1)
	v_cndmask_b32_e64 v4, 0, 1, s1
	v_add_nc_u32_e32 v4, v1, v4
; %bb.1559:
	s_or_b32 exec_lo, exec_lo, s7
	s_mov_b32 s1, 0
	s_mov_b32 s7, -1
	global_store_b8 v[2:3], v4, off
.LBB94_1560:
	s_mov_b32 s8, 0
.LBB94_1561:
	s_delay_alu instid0(SALU_CYCLE_1)
	s_and_b32 vcc_lo, exec_lo, s8
	s_cbranch_vccz .LBB94_1564
; %bb.1562:
	s_cmp_eq_u32 s3, 29
	s_mov_b32 s1, -1
	s_cbranch_scc0 .LBB94_1564
; %bb.1563:
	s_mov_b32 s1, 0
	s_wait_xcnt 0x0
	v_cndmask_b32_e64 v4, 0, 1, s0
	v_mov_b32_e32 v5, s1
	s_mov_b32 s7, -1
	global_store_b64 v[2:3], v[4:5], off
.LBB94_1564:
	s_mov_b32 s8, 0
.LBB94_1565:
	s_delay_alu instid0(SALU_CYCLE_1)
	s_and_b32 vcc_lo, exec_lo, s8
	s_cbranch_vccz .LBB94_1581
; %bb.1566:
	s_cmp_lt_i32 s3, 27
	s_mov_b32 s7, -1
	s_cbranch_scc1 .LBB94_1572
; %bb.1567:
	s_cmp_gt_i32 s3, 27
	s_cbranch_scc0 .LBB94_1569
; %bb.1568:
	s_wait_xcnt 0x0
	v_cndmask_b32_e64 v1, 0, 1, s0
	s_mov_b32 s7, 0
	global_store_b32 v[2:3], v1, off
.LBB94_1569:
	s_and_not1_b32 vcc_lo, exec_lo, s7
	s_cbranch_vccnz .LBB94_1571
; %bb.1570:
	s_wait_xcnt 0x0
	v_cndmask_b32_e64 v1, 0, 1, s0
	global_store_b16 v[2:3], v1, off
.LBB94_1571:
	s_mov_b32 s7, 0
.LBB94_1572:
	s_delay_alu instid0(SALU_CYCLE_1)
	s_and_not1_b32 vcc_lo, exec_lo, s7
	s_cbranch_vccnz .LBB94_1580
; %bb.1573:
	s_wait_xcnt 0x0
	v_cndmask_b32_e64 v4, 0, 1.0, s0
	v_mov_b32_e32 v5, 0x80
	s_mov_b32 s7, exec_lo
	s_delay_alu instid0(VALU_DEP_2)
	v_cmpx_gt_u32_e32 0x43800000, v4
	s_cbranch_execz .LBB94_1579
; %bb.1574:
	s_mov_b32 s8, 0
	s_mov_b32 s10, exec_lo
                                        ; implicit-def: $vgpr1
	v_cmpx_lt_u32_e32 0x3bffffff, v4
	s_xor_b32 s10, exec_lo, s10
	s_cbranch_execz .LBB94_2028
; %bb.1575:
	v_bfe_u32 v1, v4, 20, 1
	s_mov_b32 s8, exec_lo
	s_delay_alu instid0(VALU_DEP_1) | instskip(NEXT) | instid1(VALU_DEP_1)
	v_add3_u32 v1, v4, v1, 0x487ffff
                                        ; implicit-def: $vgpr4
	v_lshrrev_b32_e32 v1, 20, v1
	s_and_not1_saveexec_b32 s10, s10
	s_cbranch_execnz .LBB94_2029
.LBB94_1576:
	s_or_b32 exec_lo, exec_lo, s10
	v_mov_b32_e32 v5, 0
	s_and_saveexec_b32 s10, s8
.LBB94_1577:
	v_mov_b32_e32 v5, v1
.LBB94_1578:
	s_or_b32 exec_lo, exec_lo, s10
.LBB94_1579:
	s_delay_alu instid0(SALU_CYCLE_1)
	s_or_b32 exec_lo, exec_lo, s7
	global_store_b8 v[2:3], v5, off
.LBB94_1580:
	s_mov_b32 s7, -1
.LBB94_1581:
	s_mov_b32 s8, 0
.LBB94_1582:
	s_delay_alu instid0(SALU_CYCLE_1)
	s_and_b32 vcc_lo, exec_lo, s8
	s_cbranch_vccz .LBB94_1622
; %bb.1583:
	s_cmp_gt_i32 s3, 22
	s_mov_b32 s6, -1
	s_cbranch_scc0 .LBB94_1615
; %bb.1584:
	s_cmp_lt_i32 s3, 24
	s_cbranch_scc1 .LBB94_1604
; %bb.1585:
	s_cmp_gt_i32 s3, 24
	s_cbranch_scc0 .LBB94_1593
; %bb.1586:
	s_wait_xcnt 0x0
	v_cndmask_b32_e64 v4, 0, 1.0, s0
	v_mov_b32_e32 v5, 0x80
	s_mov_b32 s6, exec_lo
	s_delay_alu instid0(VALU_DEP_2)
	v_cmpx_gt_u32_e32 0x47800000, v4
	s_cbranch_execz .LBB94_1592
; %bb.1587:
	s_mov_b32 s7, 0
	s_mov_b32 s8, exec_lo
                                        ; implicit-def: $vgpr1
	v_cmpx_lt_u32_e32 0x37ffffff, v4
	s_xor_b32 s8, exec_lo, s8
	s_cbranch_execz .LBB94_2031
; %bb.1588:
	v_bfe_u32 v1, v4, 21, 1
	s_mov_b32 s7, exec_lo
	s_delay_alu instid0(VALU_DEP_1) | instskip(NEXT) | instid1(VALU_DEP_1)
	v_add3_u32 v1, v4, v1, 0x88fffff
                                        ; implicit-def: $vgpr4
	v_lshrrev_b32_e32 v1, 21, v1
	s_and_not1_saveexec_b32 s8, s8
	s_cbranch_execnz .LBB94_2032
.LBB94_1589:
	s_or_b32 exec_lo, exec_lo, s8
	v_mov_b32_e32 v5, 0
	s_and_saveexec_b32 s8, s7
.LBB94_1590:
	v_mov_b32_e32 v5, v1
.LBB94_1591:
	s_or_b32 exec_lo, exec_lo, s8
.LBB94_1592:
	s_delay_alu instid0(SALU_CYCLE_1)
	s_or_b32 exec_lo, exec_lo, s6
	s_mov_b32 s6, 0
	global_store_b8 v[2:3], v5, off
.LBB94_1593:
	s_and_b32 vcc_lo, exec_lo, s6
	s_cbranch_vccz .LBB94_1603
; %bb.1594:
	s_wait_xcnt 0x0
	v_cndmask_b32_e64 v4, 0, 1.0, s0
	s_mov_b32 s6, exec_lo
                                        ; implicit-def: $vgpr1
	s_delay_alu instid0(VALU_DEP_1)
	v_cmpx_gt_u32_e32 0x43f00000, v4
	s_xor_b32 s6, exec_lo, s6
	s_cbranch_execz .LBB94_1600
; %bb.1595:
	s_mov_b32 s7, exec_lo
                                        ; implicit-def: $vgpr1
	v_cmpx_lt_u32_e32 0x3c7fffff, v4
	s_xor_b32 s7, exec_lo, s7
; %bb.1596:
	v_bfe_u32 v1, v4, 20, 1
	s_delay_alu instid0(VALU_DEP_1) | instskip(NEXT) | instid1(VALU_DEP_1)
	v_add3_u32 v1, v4, v1, 0x407ffff
	v_and_b32_e32 v4, 0xff00000, v1
	v_lshrrev_b32_e32 v1, 20, v1
	s_delay_alu instid0(VALU_DEP_2) | instskip(NEXT) | instid1(VALU_DEP_2)
	v_cmp_ne_u32_e32 vcc_lo, 0x7f00000, v4
                                        ; implicit-def: $vgpr4
	v_cndmask_b32_e32 v1, 0x7e, v1, vcc_lo
; %bb.1597:
	s_and_not1_saveexec_b32 s7, s7
; %bb.1598:
	v_add_f32_e32 v1, 0x46800000, v4
; %bb.1599:
	s_or_b32 exec_lo, exec_lo, s7
                                        ; implicit-def: $vgpr4
.LBB94_1600:
	s_and_not1_saveexec_b32 s6, s6
; %bb.1601:
	v_mov_b32_e32 v1, 0x7f
	v_cmp_lt_u32_e32 vcc_lo, 0x7f800000, v4
	s_delay_alu instid0(VALU_DEP_2)
	v_cndmask_b32_e32 v1, 0x7e, v1, vcc_lo
; %bb.1602:
	s_or_b32 exec_lo, exec_lo, s6
	global_store_b8 v[2:3], v1, off
.LBB94_1603:
	s_mov_b32 s6, 0
.LBB94_1604:
	s_delay_alu instid0(SALU_CYCLE_1)
	s_and_not1_b32 vcc_lo, exec_lo, s6
	s_cbranch_vccnz .LBB94_1614
; %bb.1605:
	s_wait_xcnt 0x0
	v_cndmask_b32_e64 v4, 0, 1.0, s0
	s_mov_b32 s6, exec_lo
                                        ; implicit-def: $vgpr1
	s_delay_alu instid0(VALU_DEP_1)
	v_cmpx_gt_u32_e32 0x47800000, v4
	s_xor_b32 s6, exec_lo, s6
	s_cbranch_execz .LBB94_1611
; %bb.1606:
	s_mov_b32 s7, exec_lo
                                        ; implicit-def: $vgpr1
	v_cmpx_lt_u32_e32 0x387fffff, v4
	s_xor_b32 s7, exec_lo, s7
; %bb.1607:
	v_bfe_u32 v1, v4, 21, 1
	s_delay_alu instid0(VALU_DEP_1) | instskip(NEXT) | instid1(VALU_DEP_1)
	v_add3_u32 v1, v4, v1, 0x80fffff
                                        ; implicit-def: $vgpr4
	v_lshrrev_b32_e32 v1, 21, v1
; %bb.1608:
	s_and_not1_saveexec_b32 s7, s7
; %bb.1609:
	v_add_f32_e32 v1, 0x43000000, v4
; %bb.1610:
	s_or_b32 exec_lo, exec_lo, s7
                                        ; implicit-def: $vgpr4
.LBB94_1611:
	s_and_not1_saveexec_b32 s6, s6
; %bb.1612:
	v_mov_b32_e32 v1, 0x7f
	v_cmp_lt_u32_e32 vcc_lo, 0x7f800000, v4
	s_delay_alu instid0(VALU_DEP_2)
	v_cndmask_b32_e32 v1, 0x7c, v1, vcc_lo
; %bb.1613:
	s_or_b32 exec_lo, exec_lo, s6
	global_store_b8 v[2:3], v1, off
.LBB94_1614:
	s_mov_b32 s6, 0
	s_mov_b32 s7, -1
.LBB94_1615:
	s_and_not1_b32 vcc_lo, exec_lo, s6
	s_mov_b32 s6, 0
	s_cbranch_vccnz .LBB94_1622
; %bb.1616:
	s_cmp_gt_i32 s3, 14
	s_mov_b32 s6, -1
	s_cbranch_scc0 .LBB94_1620
; %bb.1617:
	s_cmp_eq_u32 s3, 15
	s_mov_b32 s1, -1
	s_cbranch_scc0 .LBB94_1619
; %bb.1618:
	s_wait_xcnt 0x0
	v_cndmask_b32_e64 v1, 0, 1.0, s0
	s_mov_b32 s1, 0
	s_mov_b32 s7, -1
	s_delay_alu instid0(VALU_DEP_1) | instskip(NEXT) | instid1(VALU_DEP_1)
	v_bfe_u32 v4, v1, 16, 1
	v_add3_u32 v1, v1, v4, 0x7fff
	global_store_d16_hi_b16 v[2:3], v1, off
.LBB94_1619:
	s_mov_b32 s6, 0
.LBB94_1620:
	s_delay_alu instid0(SALU_CYCLE_1)
	s_and_b32 vcc_lo, exec_lo, s6
	s_mov_b32 s6, 0
	s_cbranch_vccz .LBB94_1622
; %bb.1621:
	s_cmp_lg_u32 s3, 11
	s_mov_b32 s6, -1
	s_cselect_b32 s1, -1, 0
.LBB94_1622:
	s_delay_alu instid0(SALU_CYCLE_1)
	s_and_b32 vcc_lo, exec_lo, s1
	s_cbranch_vccnz .LBB94_2030
; %bb.1623:
	s_and_not1_b32 vcc_lo, exec_lo, s6
	s_cbranch_vccnz .LBB94_1625
.LBB94_1624:
	s_wait_xcnt 0x0
	v_cndmask_b32_e64 v1, 0, 1, s0
	s_mov_b32 s7, -1
	global_store_b8 v[2:3], v1, off
.LBB94_1625:
	s_mov_b32 s1, 0
	s_branch .LBB94_1627
.LBB94_1626:
	s_mov_b32 s1, -1
	s_mov_b32 s7, 0
.LBB94_1627:
	s_and_b32 vcc_lo, exec_lo, s1
	s_cbranch_vccz .LBB94_1666
; %bb.1628:
	s_and_b32 s1, 0xffff, s13
	s_mov_b32 s3, -1
	s_cmp_lt_i32 s1, 5
	s_cbranch_scc1 .LBB94_1649
; %bb.1629:
	s_cmp_lt_i32 s1, 8
	s_cbranch_scc1 .LBB94_1639
; %bb.1630:
	;; [unrolled: 3-line block ×3, first 2 shown]
	s_cmp_gt_i32 s1, 9
	s_cbranch_scc0 .LBB94_1633
; %bb.1632:
	s_wait_xcnt 0x0
	v_cndmask_b32_e64 v1, 0, 1, s0
	v_mov_b32_e32 v12, 0
	s_mov_b32 s3, 0
	s_delay_alu instid0(VALU_DEP_2) | instskip(NEXT) | instid1(VALU_DEP_2)
	v_cvt_f64_u32_e32 v[10:11], v1
	v_mov_b32_e32 v13, v12
	global_store_b128 v[2:3], v[10:13], off
.LBB94_1633:
	s_and_not1_b32 vcc_lo, exec_lo, s3
	s_cbranch_vccnz .LBB94_1635
; %bb.1634:
	s_wait_xcnt 0x0
	v_cndmask_b32_e64 v4, 0, 1.0, s0
	v_mov_b32_e32 v5, 0
	global_store_b64 v[2:3], v[4:5], off
.LBB94_1635:
	s_mov_b32 s3, 0
.LBB94_1636:
	s_delay_alu instid0(SALU_CYCLE_1)
	s_and_not1_b32 vcc_lo, exec_lo, s3
	s_cbranch_vccnz .LBB94_1638
; %bb.1637:
	s_wait_xcnt 0x0
	v_cndmask_b32_e64 v1, 0, 1.0, s0
	s_delay_alu instid0(VALU_DEP_1) | instskip(NEXT) | instid1(VALU_DEP_1)
	v_cvt_f16_f32_e32 v1, v1
	v_and_b32_e32 v1, 0xffff, v1
	global_store_b32 v[2:3], v1, off
.LBB94_1638:
	s_mov_b32 s3, 0
.LBB94_1639:
	s_delay_alu instid0(SALU_CYCLE_1)
	s_and_not1_b32 vcc_lo, exec_lo, s3
	s_cbranch_vccnz .LBB94_1648
; %bb.1640:
	s_cmp_lt_i32 s1, 6
	s_mov_b32 s3, -1
	s_cbranch_scc1 .LBB94_1646
; %bb.1641:
	s_cmp_gt_i32 s1, 6
	s_cbranch_scc0 .LBB94_1643
; %bb.1642:
	s_wait_xcnt 0x0
	v_cndmask_b32_e64 v1, 0, 1, s0
	s_mov_b32 s3, 0
	s_delay_alu instid0(VALU_DEP_1)
	v_cvt_f64_u32_e32 v[4:5], v1
	global_store_b64 v[2:3], v[4:5], off
.LBB94_1643:
	s_and_not1_b32 vcc_lo, exec_lo, s3
	s_cbranch_vccnz .LBB94_1645
; %bb.1644:
	s_wait_xcnt 0x0
	v_cndmask_b32_e64 v1, 0, 1.0, s0
	global_store_b32 v[2:3], v1, off
.LBB94_1645:
	s_mov_b32 s3, 0
.LBB94_1646:
	s_delay_alu instid0(SALU_CYCLE_1)
	s_and_not1_b32 vcc_lo, exec_lo, s3
	s_cbranch_vccnz .LBB94_1648
; %bb.1647:
	s_wait_xcnt 0x0
	v_cndmask_b32_e64 v1, 0, 1.0, s0
	s_delay_alu instid0(VALU_DEP_1)
	v_cvt_f16_f32_e32 v1, v1
	global_store_b16 v[2:3], v1, off
.LBB94_1648:
	s_mov_b32 s3, 0
.LBB94_1649:
	s_delay_alu instid0(SALU_CYCLE_1)
	s_and_not1_b32 vcc_lo, exec_lo, s3
	s_cbranch_vccnz .LBB94_1665
; %bb.1650:
	s_cmp_lt_i32 s1, 2
	s_mov_b32 s3, -1
	s_cbranch_scc1 .LBB94_1660
; %bb.1651:
	s_cmp_lt_i32 s1, 3
	s_cbranch_scc1 .LBB94_1657
; %bb.1652:
	s_cmp_gt_i32 s1, 3
	s_cbranch_scc0 .LBB94_1654
; %bb.1653:
	s_mov_b32 s3, 0
	s_wait_xcnt 0x0
	v_cndmask_b32_e64 v4, 0, 1, s0
	v_mov_b32_e32 v5, s3
	global_store_b64 v[2:3], v[4:5], off
.LBB94_1654:
	s_and_not1_b32 vcc_lo, exec_lo, s3
	s_cbranch_vccnz .LBB94_1656
; %bb.1655:
	s_wait_xcnt 0x0
	v_cndmask_b32_e64 v1, 0, 1, s0
	global_store_b32 v[2:3], v1, off
.LBB94_1656:
	s_mov_b32 s3, 0
.LBB94_1657:
	s_delay_alu instid0(SALU_CYCLE_1)
	s_and_not1_b32 vcc_lo, exec_lo, s3
	s_cbranch_vccnz .LBB94_1659
; %bb.1658:
	s_wait_xcnt 0x0
	v_cndmask_b32_e64 v1, 0, 1, s0
	global_store_b16 v[2:3], v1, off
.LBB94_1659:
	s_mov_b32 s3, 0
.LBB94_1660:
	s_delay_alu instid0(SALU_CYCLE_1)
	s_and_not1_b32 vcc_lo, exec_lo, s3
	s_cbranch_vccnz .LBB94_1665
; %bb.1661:
	s_wait_xcnt 0x0
	v_cndmask_b32_e64 v1, 0, 1, s0
	s_cmp_gt_i32 s1, 0
	s_mov_b32 s0, -1
	s_cbranch_scc0 .LBB94_1663
; %bb.1662:
	s_mov_b32 s0, 0
	global_store_b8 v[2:3], v1, off
.LBB94_1663:
	s_and_not1_b32 vcc_lo, exec_lo, s0
	s_cbranch_vccnz .LBB94_1665
; %bb.1664:
	global_store_b8 v[2:3], v1, off
.LBB94_1665:
	s_mov_b32 s7, -1
.LBB94_1666:
	s_delay_alu instid0(SALU_CYCLE_1)
	s_and_not1_b32 vcc_lo, exec_lo, s7
	s_cbranch_vccnz .LBB94_1981
; %bb.1667:
	s_lshl_b32 s2, s2, 7
	s_cmp_lt_i32 s13, 11
	s_wait_xcnt 0x0
	v_dual_add_nc_u32 v0, s2, v0 :: v_dual_lshlrev_b32 v4, 16, v6
	s_delay_alu instid0(VALU_DEP_1) | instskip(NEXT) | instid1(VALU_DEP_2)
	v_ashrrev_i32_e32 v1, 31, v0
	v_cmp_eq_f32_e64 s0, 0xff800000, v4
	s_delay_alu instid0(VALU_DEP_2)
	v_add_nc_u64_e32 v[2:3], s[4:5], v[0:1]
	s_cbranch_scc1 .LBB94_1745
; %bb.1668:
	s_and_b32 s3, 0xffff, s13
	s_mov_b32 s8, -1
	s_mov_b32 s6, 0
	s_cmp_gt_i32 s3, 25
	s_mov_b32 s7, 0
	s_mov_b32 s1, 0
	s_cbranch_scc0 .LBB94_1701
; %bb.1669:
	s_cmp_gt_i32 s3, 28
	s_cbranch_scc0 .LBB94_1684
; %bb.1670:
	s_cmp_gt_i32 s3, 43
	;; [unrolled: 3-line block ×3, first 2 shown]
	s_cbranch_scc0 .LBB94_1674
; %bb.1672:
	s_mov_b32 s1, -1
	s_mov_b32 s8, 0
	s_cmp_eq_u32 s3, 46
	s_cbranch_scc0 .LBB94_1674
; %bb.1673:
	v_cndmask_b32_e64 v1, 0, 1.0, s0
	s_mov_b32 s1, 0
	s_mov_b32 s7, -1
	s_delay_alu instid0(VALU_DEP_1) | instskip(NEXT) | instid1(VALU_DEP_1)
	v_bfe_u32 v4, v1, 16, 1
	v_add3_u32 v1, v1, v4, 0x7fff
	s_delay_alu instid0(VALU_DEP_1)
	v_lshrrev_b32_e32 v1, 16, v1
	global_store_b32 v[2:3], v1, off
.LBB94_1674:
	s_and_b32 vcc_lo, exec_lo, s8
	s_cbranch_vccz .LBB94_1679
; %bb.1675:
	s_cmp_eq_u32 s3, 44
	s_mov_b32 s1, -1
	s_cbranch_scc0 .LBB94_1679
; %bb.1676:
	v_cndmask_b32_e64 v5, 0, 1.0, s0
	s_mov_b32 s7, exec_lo
	s_wait_xcnt 0x0
	s_delay_alu instid0(VALU_DEP_1) | instskip(NEXT) | instid1(VALU_DEP_1)
	v_dual_mov_b32 v4, 0xff :: v_dual_lshrrev_b32 v1, 23, v5
	v_cmpx_ne_u32_e32 0xff, v1
; %bb.1677:
	v_and_b32_e32 v4, 0x400000, v5
	v_and_or_b32 v5, 0x3fffff, v5, v1
	s_delay_alu instid0(VALU_DEP_2) | instskip(NEXT) | instid1(VALU_DEP_2)
	v_cmp_ne_u32_e32 vcc_lo, 0, v4
	v_cmp_ne_u32_e64 s1, 0, v5
	s_and_b32 s1, vcc_lo, s1
	s_delay_alu instid0(SALU_CYCLE_1) | instskip(NEXT) | instid1(VALU_DEP_1)
	v_cndmask_b32_e64 v4, 0, 1, s1
	v_add_nc_u32_e32 v4, v1, v4
; %bb.1678:
	s_or_b32 exec_lo, exec_lo, s7
	s_mov_b32 s1, 0
	s_mov_b32 s7, -1
	global_store_b8 v[2:3], v4, off
.LBB94_1679:
	s_mov_b32 s8, 0
.LBB94_1680:
	s_delay_alu instid0(SALU_CYCLE_1)
	s_and_b32 vcc_lo, exec_lo, s8
	s_cbranch_vccz .LBB94_1683
; %bb.1681:
	s_cmp_eq_u32 s3, 29
	s_mov_b32 s1, -1
	s_cbranch_scc0 .LBB94_1683
; %bb.1682:
	s_mov_b32 s1, 0
	s_wait_xcnt 0x0
	v_cndmask_b32_e64 v4, 0, 1, s0
	v_mov_b32_e32 v5, s1
	s_mov_b32 s7, -1
	global_store_b64 v[2:3], v[4:5], off
.LBB94_1683:
	s_mov_b32 s8, 0
.LBB94_1684:
	s_delay_alu instid0(SALU_CYCLE_1)
	s_and_b32 vcc_lo, exec_lo, s8
	s_cbranch_vccz .LBB94_1700
; %bb.1685:
	s_cmp_lt_i32 s3, 27
	s_mov_b32 s7, -1
	s_cbranch_scc1 .LBB94_1691
; %bb.1686:
	s_cmp_gt_i32 s3, 27
	s_cbranch_scc0 .LBB94_1688
; %bb.1687:
	s_wait_xcnt 0x0
	v_cndmask_b32_e64 v1, 0, 1, s0
	s_mov_b32 s7, 0
	global_store_b32 v[2:3], v1, off
.LBB94_1688:
	s_and_not1_b32 vcc_lo, exec_lo, s7
	s_cbranch_vccnz .LBB94_1690
; %bb.1689:
	s_wait_xcnt 0x0
	v_cndmask_b32_e64 v1, 0, 1, s0
	global_store_b16 v[2:3], v1, off
.LBB94_1690:
	s_mov_b32 s7, 0
.LBB94_1691:
	s_delay_alu instid0(SALU_CYCLE_1)
	s_and_not1_b32 vcc_lo, exec_lo, s7
	s_cbranch_vccnz .LBB94_1699
; %bb.1692:
	s_wait_xcnt 0x0
	v_cndmask_b32_e64 v4, 0, 1.0, s0
	v_mov_b32_e32 v5, 0x80
	s_mov_b32 s7, exec_lo
	s_delay_alu instid0(VALU_DEP_2)
	v_cmpx_gt_u32_e32 0x43800000, v4
	s_cbranch_execz .LBB94_1698
; %bb.1693:
	s_mov_b32 s8, 0
	s_mov_b32 s10, exec_lo
                                        ; implicit-def: $vgpr1
	v_cmpx_lt_u32_e32 0x3bffffff, v4
	s_xor_b32 s10, exec_lo, s10
	s_cbranch_execz .LBB94_2033
; %bb.1694:
	v_bfe_u32 v1, v4, 20, 1
	s_mov_b32 s8, exec_lo
	s_delay_alu instid0(VALU_DEP_1) | instskip(NEXT) | instid1(VALU_DEP_1)
	v_add3_u32 v1, v4, v1, 0x487ffff
                                        ; implicit-def: $vgpr4
	v_lshrrev_b32_e32 v1, 20, v1
	s_and_not1_saveexec_b32 s10, s10
	s_cbranch_execnz .LBB94_2034
.LBB94_1695:
	s_or_b32 exec_lo, exec_lo, s10
	v_mov_b32_e32 v5, 0
	s_and_saveexec_b32 s10, s8
.LBB94_1696:
	v_mov_b32_e32 v5, v1
.LBB94_1697:
	s_or_b32 exec_lo, exec_lo, s10
.LBB94_1698:
	s_delay_alu instid0(SALU_CYCLE_1)
	s_or_b32 exec_lo, exec_lo, s7
	global_store_b8 v[2:3], v5, off
.LBB94_1699:
	s_mov_b32 s7, -1
.LBB94_1700:
	s_mov_b32 s8, 0
.LBB94_1701:
	s_delay_alu instid0(SALU_CYCLE_1)
	s_and_b32 vcc_lo, exec_lo, s8
	s_cbranch_vccz .LBB94_1741
; %bb.1702:
	s_cmp_gt_i32 s3, 22
	s_mov_b32 s6, -1
	s_cbranch_scc0 .LBB94_1734
; %bb.1703:
	s_cmp_lt_i32 s3, 24
	s_cbranch_scc1 .LBB94_1723
; %bb.1704:
	s_cmp_gt_i32 s3, 24
	s_cbranch_scc0 .LBB94_1712
; %bb.1705:
	s_wait_xcnt 0x0
	v_cndmask_b32_e64 v4, 0, 1.0, s0
	v_mov_b32_e32 v5, 0x80
	s_mov_b32 s6, exec_lo
	s_delay_alu instid0(VALU_DEP_2)
	v_cmpx_gt_u32_e32 0x47800000, v4
	s_cbranch_execz .LBB94_1711
; %bb.1706:
	s_mov_b32 s7, 0
	s_mov_b32 s8, exec_lo
                                        ; implicit-def: $vgpr1
	v_cmpx_lt_u32_e32 0x37ffffff, v4
	s_xor_b32 s8, exec_lo, s8
	s_cbranch_execz .LBB94_2036
; %bb.1707:
	v_bfe_u32 v1, v4, 21, 1
	s_mov_b32 s7, exec_lo
	s_delay_alu instid0(VALU_DEP_1) | instskip(NEXT) | instid1(VALU_DEP_1)
	v_add3_u32 v1, v4, v1, 0x88fffff
                                        ; implicit-def: $vgpr4
	v_lshrrev_b32_e32 v1, 21, v1
	s_and_not1_saveexec_b32 s8, s8
	s_cbranch_execnz .LBB94_2037
.LBB94_1708:
	s_or_b32 exec_lo, exec_lo, s8
	v_mov_b32_e32 v5, 0
	s_and_saveexec_b32 s8, s7
.LBB94_1709:
	v_mov_b32_e32 v5, v1
.LBB94_1710:
	s_or_b32 exec_lo, exec_lo, s8
.LBB94_1711:
	s_delay_alu instid0(SALU_CYCLE_1)
	s_or_b32 exec_lo, exec_lo, s6
	s_mov_b32 s6, 0
	global_store_b8 v[2:3], v5, off
.LBB94_1712:
	s_and_b32 vcc_lo, exec_lo, s6
	s_cbranch_vccz .LBB94_1722
; %bb.1713:
	s_wait_xcnt 0x0
	v_cndmask_b32_e64 v4, 0, 1.0, s0
	s_mov_b32 s6, exec_lo
                                        ; implicit-def: $vgpr1
	s_delay_alu instid0(VALU_DEP_1)
	v_cmpx_gt_u32_e32 0x43f00000, v4
	s_xor_b32 s6, exec_lo, s6
	s_cbranch_execz .LBB94_1719
; %bb.1714:
	s_mov_b32 s7, exec_lo
                                        ; implicit-def: $vgpr1
	v_cmpx_lt_u32_e32 0x3c7fffff, v4
	s_xor_b32 s7, exec_lo, s7
; %bb.1715:
	v_bfe_u32 v1, v4, 20, 1
	s_delay_alu instid0(VALU_DEP_1) | instskip(NEXT) | instid1(VALU_DEP_1)
	v_add3_u32 v1, v4, v1, 0x407ffff
	v_and_b32_e32 v4, 0xff00000, v1
	v_lshrrev_b32_e32 v1, 20, v1
	s_delay_alu instid0(VALU_DEP_2) | instskip(NEXT) | instid1(VALU_DEP_2)
	v_cmp_ne_u32_e32 vcc_lo, 0x7f00000, v4
                                        ; implicit-def: $vgpr4
	v_cndmask_b32_e32 v1, 0x7e, v1, vcc_lo
; %bb.1716:
	s_and_not1_saveexec_b32 s7, s7
; %bb.1717:
	v_add_f32_e32 v1, 0x46800000, v4
; %bb.1718:
	s_or_b32 exec_lo, exec_lo, s7
                                        ; implicit-def: $vgpr4
.LBB94_1719:
	s_and_not1_saveexec_b32 s6, s6
; %bb.1720:
	v_mov_b32_e32 v1, 0x7f
	v_cmp_lt_u32_e32 vcc_lo, 0x7f800000, v4
	s_delay_alu instid0(VALU_DEP_2)
	v_cndmask_b32_e32 v1, 0x7e, v1, vcc_lo
; %bb.1721:
	s_or_b32 exec_lo, exec_lo, s6
	global_store_b8 v[2:3], v1, off
.LBB94_1722:
	s_mov_b32 s6, 0
.LBB94_1723:
	s_delay_alu instid0(SALU_CYCLE_1)
	s_and_not1_b32 vcc_lo, exec_lo, s6
	s_cbranch_vccnz .LBB94_1733
; %bb.1724:
	s_wait_xcnt 0x0
	v_cndmask_b32_e64 v4, 0, 1.0, s0
	s_mov_b32 s6, exec_lo
                                        ; implicit-def: $vgpr1
	s_delay_alu instid0(VALU_DEP_1)
	v_cmpx_gt_u32_e32 0x47800000, v4
	s_xor_b32 s6, exec_lo, s6
	s_cbranch_execz .LBB94_1730
; %bb.1725:
	s_mov_b32 s7, exec_lo
                                        ; implicit-def: $vgpr1
	v_cmpx_lt_u32_e32 0x387fffff, v4
	s_xor_b32 s7, exec_lo, s7
; %bb.1726:
	v_bfe_u32 v1, v4, 21, 1
	s_delay_alu instid0(VALU_DEP_1) | instskip(NEXT) | instid1(VALU_DEP_1)
	v_add3_u32 v1, v4, v1, 0x80fffff
                                        ; implicit-def: $vgpr4
	v_lshrrev_b32_e32 v1, 21, v1
; %bb.1727:
	s_and_not1_saveexec_b32 s7, s7
; %bb.1728:
	v_add_f32_e32 v1, 0x43000000, v4
; %bb.1729:
	s_or_b32 exec_lo, exec_lo, s7
                                        ; implicit-def: $vgpr4
.LBB94_1730:
	s_and_not1_saveexec_b32 s6, s6
; %bb.1731:
	v_mov_b32_e32 v1, 0x7f
	v_cmp_lt_u32_e32 vcc_lo, 0x7f800000, v4
	s_delay_alu instid0(VALU_DEP_2)
	v_cndmask_b32_e32 v1, 0x7c, v1, vcc_lo
; %bb.1732:
	s_or_b32 exec_lo, exec_lo, s6
	global_store_b8 v[2:3], v1, off
.LBB94_1733:
	s_mov_b32 s6, 0
	s_mov_b32 s7, -1
.LBB94_1734:
	s_and_not1_b32 vcc_lo, exec_lo, s6
	s_mov_b32 s6, 0
	s_cbranch_vccnz .LBB94_1741
; %bb.1735:
	s_cmp_gt_i32 s3, 14
	s_mov_b32 s6, -1
	s_cbranch_scc0 .LBB94_1739
; %bb.1736:
	s_cmp_eq_u32 s3, 15
	s_mov_b32 s1, -1
	s_cbranch_scc0 .LBB94_1738
; %bb.1737:
	s_wait_xcnt 0x0
	v_cndmask_b32_e64 v1, 0, 1.0, s0
	s_mov_b32 s1, 0
	s_mov_b32 s7, -1
	s_delay_alu instid0(VALU_DEP_1) | instskip(NEXT) | instid1(VALU_DEP_1)
	v_bfe_u32 v4, v1, 16, 1
	v_add3_u32 v1, v1, v4, 0x7fff
	global_store_d16_hi_b16 v[2:3], v1, off
.LBB94_1738:
	s_mov_b32 s6, 0
.LBB94_1739:
	s_delay_alu instid0(SALU_CYCLE_1)
	s_and_b32 vcc_lo, exec_lo, s6
	s_mov_b32 s6, 0
	s_cbranch_vccz .LBB94_1741
; %bb.1740:
	s_cmp_lg_u32 s3, 11
	s_mov_b32 s6, -1
	s_cselect_b32 s1, -1, 0
.LBB94_1741:
	s_delay_alu instid0(SALU_CYCLE_1)
	s_and_b32 vcc_lo, exec_lo, s1
	s_cbranch_vccnz .LBB94_2035
; %bb.1742:
	s_and_not1_b32 vcc_lo, exec_lo, s6
	s_cbranch_vccnz .LBB94_1744
.LBB94_1743:
	s_wait_xcnt 0x0
	v_cndmask_b32_e64 v1, 0, 1, s0
	s_mov_b32 s7, -1
	global_store_b8 v[2:3], v1, off
.LBB94_1744:
	s_mov_b32 s1, 0
	s_branch .LBB94_1746
.LBB94_1745:
	s_mov_b32 s1, -1
	s_mov_b32 s7, 0
.LBB94_1746:
	s_and_b32 vcc_lo, exec_lo, s1
	s_cbranch_vccz .LBB94_1785
; %bb.1747:
	s_and_b32 s1, 0xffff, s13
	s_mov_b32 s3, -1
	s_cmp_lt_i32 s1, 5
	s_cbranch_scc1 .LBB94_1768
; %bb.1748:
	s_cmp_lt_i32 s1, 8
	s_cbranch_scc1 .LBB94_1758
; %bb.1749:
	;; [unrolled: 3-line block ×3, first 2 shown]
	s_cmp_gt_i32 s1, 9
	s_cbranch_scc0 .LBB94_1752
; %bb.1751:
	s_wait_xcnt 0x0
	v_cndmask_b32_e64 v1, 0, 1, s0
	v_mov_b32_e32 v12, 0
	s_mov_b32 s3, 0
	s_delay_alu instid0(VALU_DEP_2) | instskip(NEXT) | instid1(VALU_DEP_2)
	v_cvt_f64_u32_e32 v[10:11], v1
	v_mov_b32_e32 v13, v12
	global_store_b128 v[2:3], v[10:13], off
.LBB94_1752:
	s_and_not1_b32 vcc_lo, exec_lo, s3
	s_cbranch_vccnz .LBB94_1754
; %bb.1753:
	s_wait_xcnt 0x0
	v_cndmask_b32_e64 v4, 0, 1.0, s0
	v_mov_b32_e32 v5, 0
	global_store_b64 v[2:3], v[4:5], off
.LBB94_1754:
	s_mov_b32 s3, 0
.LBB94_1755:
	s_delay_alu instid0(SALU_CYCLE_1)
	s_and_not1_b32 vcc_lo, exec_lo, s3
	s_cbranch_vccnz .LBB94_1757
; %bb.1756:
	s_wait_xcnt 0x0
	v_cndmask_b32_e64 v1, 0, 1.0, s0
	s_delay_alu instid0(VALU_DEP_1) | instskip(NEXT) | instid1(VALU_DEP_1)
	v_cvt_f16_f32_e32 v1, v1
	v_and_b32_e32 v1, 0xffff, v1
	global_store_b32 v[2:3], v1, off
.LBB94_1757:
	s_mov_b32 s3, 0
.LBB94_1758:
	s_delay_alu instid0(SALU_CYCLE_1)
	s_and_not1_b32 vcc_lo, exec_lo, s3
	s_cbranch_vccnz .LBB94_1767
; %bb.1759:
	s_cmp_lt_i32 s1, 6
	s_mov_b32 s3, -1
	s_cbranch_scc1 .LBB94_1765
; %bb.1760:
	s_cmp_gt_i32 s1, 6
	s_cbranch_scc0 .LBB94_1762
; %bb.1761:
	s_wait_xcnt 0x0
	v_cndmask_b32_e64 v1, 0, 1, s0
	s_mov_b32 s3, 0
	s_delay_alu instid0(VALU_DEP_1)
	v_cvt_f64_u32_e32 v[4:5], v1
	global_store_b64 v[2:3], v[4:5], off
.LBB94_1762:
	s_and_not1_b32 vcc_lo, exec_lo, s3
	s_cbranch_vccnz .LBB94_1764
; %bb.1763:
	s_wait_xcnt 0x0
	v_cndmask_b32_e64 v1, 0, 1.0, s0
	global_store_b32 v[2:3], v1, off
.LBB94_1764:
	s_mov_b32 s3, 0
.LBB94_1765:
	s_delay_alu instid0(SALU_CYCLE_1)
	s_and_not1_b32 vcc_lo, exec_lo, s3
	s_cbranch_vccnz .LBB94_1767
; %bb.1766:
	s_wait_xcnt 0x0
	v_cndmask_b32_e64 v1, 0, 1.0, s0
	s_delay_alu instid0(VALU_DEP_1)
	v_cvt_f16_f32_e32 v1, v1
	global_store_b16 v[2:3], v1, off
.LBB94_1767:
	s_mov_b32 s3, 0
.LBB94_1768:
	s_delay_alu instid0(SALU_CYCLE_1)
	s_and_not1_b32 vcc_lo, exec_lo, s3
	s_cbranch_vccnz .LBB94_1784
; %bb.1769:
	s_cmp_lt_i32 s1, 2
	s_mov_b32 s3, -1
	s_cbranch_scc1 .LBB94_1779
; %bb.1770:
	s_cmp_lt_i32 s1, 3
	s_cbranch_scc1 .LBB94_1776
; %bb.1771:
	s_cmp_gt_i32 s1, 3
	s_cbranch_scc0 .LBB94_1773
; %bb.1772:
	s_mov_b32 s3, 0
	s_wait_xcnt 0x0
	v_cndmask_b32_e64 v4, 0, 1, s0
	v_mov_b32_e32 v5, s3
	global_store_b64 v[2:3], v[4:5], off
.LBB94_1773:
	s_and_not1_b32 vcc_lo, exec_lo, s3
	s_cbranch_vccnz .LBB94_1775
; %bb.1774:
	s_wait_xcnt 0x0
	v_cndmask_b32_e64 v1, 0, 1, s0
	global_store_b32 v[2:3], v1, off
.LBB94_1775:
	s_mov_b32 s3, 0
.LBB94_1776:
	s_delay_alu instid0(SALU_CYCLE_1)
	s_and_not1_b32 vcc_lo, exec_lo, s3
	s_cbranch_vccnz .LBB94_1778
; %bb.1777:
	s_wait_xcnt 0x0
	v_cndmask_b32_e64 v1, 0, 1, s0
	global_store_b16 v[2:3], v1, off
.LBB94_1778:
	s_mov_b32 s3, 0
.LBB94_1779:
	s_delay_alu instid0(SALU_CYCLE_1)
	s_and_not1_b32 vcc_lo, exec_lo, s3
	s_cbranch_vccnz .LBB94_1784
; %bb.1780:
	s_wait_xcnt 0x0
	v_cndmask_b32_e64 v1, 0, 1, s0
	s_cmp_gt_i32 s1, 0
	s_mov_b32 s0, -1
	s_cbranch_scc0 .LBB94_1782
; %bb.1781:
	s_mov_b32 s0, 0
	global_store_b8 v[2:3], v1, off
.LBB94_1782:
	s_and_not1_b32 vcc_lo, exec_lo, s0
	s_cbranch_vccnz .LBB94_1784
; %bb.1783:
	global_store_b8 v[2:3], v1, off
.LBB94_1784:
	s_mov_b32 s7, -1
.LBB94_1785:
	s_delay_alu instid0(SALU_CYCLE_1)
	s_and_not1_b32 vcc_lo, exec_lo, s7
	s_cbranch_vccnz .LBB94_1981
; %bb.1786:
	s_wait_xcnt 0x0
	v_dual_add_nc_u32 v0, s2, v0 :: v_dual_lshlrev_b32 v4, 16, v7
	s_cmp_lt_i32 s13, 11
	s_delay_alu instid0(VALU_DEP_1) | instskip(NEXT) | instid1(VALU_DEP_2)
	v_ashrrev_i32_e32 v1, 31, v0
	v_cmp_eq_f32_e64 s0, 0xff800000, v4
	s_delay_alu instid0(VALU_DEP_2)
	v_add_nc_u64_e32 v[2:3], s[4:5], v[0:1]
	s_cbranch_scc1 .LBB94_1864
; %bb.1787:
	s_and_b32 s3, 0xffff, s13
	s_mov_b32 s8, -1
	s_mov_b32 s6, 0
	s_cmp_gt_i32 s3, 25
	s_mov_b32 s7, 0
	s_mov_b32 s1, 0
	s_cbranch_scc0 .LBB94_1820
; %bb.1788:
	s_cmp_gt_i32 s3, 28
	s_cbranch_scc0 .LBB94_1803
; %bb.1789:
	s_cmp_gt_i32 s3, 43
	;; [unrolled: 3-line block ×3, first 2 shown]
	s_cbranch_scc0 .LBB94_1793
; %bb.1791:
	s_mov_b32 s1, -1
	s_mov_b32 s8, 0
	s_cmp_eq_u32 s3, 46
	s_cbranch_scc0 .LBB94_1793
; %bb.1792:
	v_cndmask_b32_e64 v1, 0, 1.0, s0
	s_mov_b32 s1, 0
	s_mov_b32 s7, -1
	s_delay_alu instid0(VALU_DEP_1) | instskip(NEXT) | instid1(VALU_DEP_1)
	v_bfe_u32 v4, v1, 16, 1
	v_add3_u32 v1, v1, v4, 0x7fff
	s_delay_alu instid0(VALU_DEP_1)
	v_lshrrev_b32_e32 v1, 16, v1
	global_store_b32 v[2:3], v1, off
.LBB94_1793:
	s_and_b32 vcc_lo, exec_lo, s8
	s_cbranch_vccz .LBB94_1798
; %bb.1794:
	s_cmp_eq_u32 s3, 44
	s_mov_b32 s1, -1
	s_cbranch_scc0 .LBB94_1798
; %bb.1795:
	v_cndmask_b32_e64 v5, 0, 1.0, s0
	s_mov_b32 s7, exec_lo
	s_wait_xcnt 0x0
	s_delay_alu instid0(VALU_DEP_1) | instskip(NEXT) | instid1(VALU_DEP_1)
	v_dual_mov_b32 v4, 0xff :: v_dual_lshrrev_b32 v1, 23, v5
	v_cmpx_ne_u32_e32 0xff, v1
; %bb.1796:
	v_and_b32_e32 v4, 0x400000, v5
	v_and_or_b32 v5, 0x3fffff, v5, v1
	s_delay_alu instid0(VALU_DEP_2) | instskip(NEXT) | instid1(VALU_DEP_2)
	v_cmp_ne_u32_e32 vcc_lo, 0, v4
	v_cmp_ne_u32_e64 s1, 0, v5
	s_and_b32 s1, vcc_lo, s1
	s_delay_alu instid0(SALU_CYCLE_1) | instskip(NEXT) | instid1(VALU_DEP_1)
	v_cndmask_b32_e64 v4, 0, 1, s1
	v_add_nc_u32_e32 v4, v1, v4
; %bb.1797:
	s_or_b32 exec_lo, exec_lo, s7
	s_mov_b32 s1, 0
	s_mov_b32 s7, -1
	global_store_b8 v[2:3], v4, off
.LBB94_1798:
	s_mov_b32 s8, 0
.LBB94_1799:
	s_delay_alu instid0(SALU_CYCLE_1)
	s_and_b32 vcc_lo, exec_lo, s8
	s_cbranch_vccz .LBB94_1802
; %bb.1800:
	s_cmp_eq_u32 s3, 29
	s_mov_b32 s1, -1
	s_cbranch_scc0 .LBB94_1802
; %bb.1801:
	s_mov_b32 s1, 0
	s_wait_xcnt 0x0
	v_cndmask_b32_e64 v4, 0, 1, s0
	v_mov_b32_e32 v5, s1
	s_mov_b32 s7, -1
	global_store_b64 v[2:3], v[4:5], off
.LBB94_1802:
	s_mov_b32 s8, 0
.LBB94_1803:
	s_delay_alu instid0(SALU_CYCLE_1)
	s_and_b32 vcc_lo, exec_lo, s8
	s_cbranch_vccz .LBB94_1819
; %bb.1804:
	s_cmp_lt_i32 s3, 27
	s_mov_b32 s7, -1
	s_cbranch_scc1 .LBB94_1810
; %bb.1805:
	s_cmp_gt_i32 s3, 27
	s_cbranch_scc0 .LBB94_1807
; %bb.1806:
	s_wait_xcnt 0x0
	v_cndmask_b32_e64 v1, 0, 1, s0
	s_mov_b32 s7, 0
	global_store_b32 v[2:3], v1, off
.LBB94_1807:
	s_and_not1_b32 vcc_lo, exec_lo, s7
	s_cbranch_vccnz .LBB94_1809
; %bb.1808:
	s_wait_xcnt 0x0
	v_cndmask_b32_e64 v1, 0, 1, s0
	global_store_b16 v[2:3], v1, off
.LBB94_1809:
	s_mov_b32 s7, 0
.LBB94_1810:
	s_delay_alu instid0(SALU_CYCLE_1)
	s_and_not1_b32 vcc_lo, exec_lo, s7
	s_cbranch_vccnz .LBB94_1818
; %bb.1811:
	s_wait_xcnt 0x0
	v_cndmask_b32_e64 v4, 0, 1.0, s0
	v_mov_b32_e32 v5, 0x80
	s_mov_b32 s7, exec_lo
	s_delay_alu instid0(VALU_DEP_2)
	v_cmpx_gt_u32_e32 0x43800000, v4
	s_cbranch_execz .LBB94_1817
; %bb.1812:
	s_mov_b32 s8, 0
	s_mov_b32 s10, exec_lo
                                        ; implicit-def: $vgpr1
	v_cmpx_lt_u32_e32 0x3bffffff, v4
	s_xor_b32 s10, exec_lo, s10
	s_cbranch_execz .LBB94_2038
; %bb.1813:
	v_bfe_u32 v1, v4, 20, 1
	s_mov_b32 s8, exec_lo
	s_delay_alu instid0(VALU_DEP_1) | instskip(NEXT) | instid1(VALU_DEP_1)
	v_add3_u32 v1, v4, v1, 0x487ffff
                                        ; implicit-def: $vgpr4
	v_lshrrev_b32_e32 v1, 20, v1
	s_and_not1_saveexec_b32 s10, s10
	s_cbranch_execnz .LBB94_2039
.LBB94_1814:
	s_or_b32 exec_lo, exec_lo, s10
	v_mov_b32_e32 v5, 0
	s_and_saveexec_b32 s10, s8
.LBB94_1815:
	v_mov_b32_e32 v5, v1
.LBB94_1816:
	s_or_b32 exec_lo, exec_lo, s10
.LBB94_1817:
	s_delay_alu instid0(SALU_CYCLE_1)
	s_or_b32 exec_lo, exec_lo, s7
	global_store_b8 v[2:3], v5, off
.LBB94_1818:
	s_mov_b32 s7, -1
.LBB94_1819:
	s_mov_b32 s8, 0
.LBB94_1820:
	s_delay_alu instid0(SALU_CYCLE_1)
	s_and_b32 vcc_lo, exec_lo, s8
	s_cbranch_vccz .LBB94_1860
; %bb.1821:
	s_cmp_gt_i32 s3, 22
	s_mov_b32 s6, -1
	s_cbranch_scc0 .LBB94_1853
; %bb.1822:
	s_cmp_lt_i32 s3, 24
	s_cbranch_scc1 .LBB94_1842
; %bb.1823:
	s_cmp_gt_i32 s3, 24
	s_cbranch_scc0 .LBB94_1831
; %bb.1824:
	s_wait_xcnt 0x0
	v_cndmask_b32_e64 v4, 0, 1.0, s0
	v_mov_b32_e32 v5, 0x80
	s_mov_b32 s6, exec_lo
	s_delay_alu instid0(VALU_DEP_2)
	v_cmpx_gt_u32_e32 0x47800000, v4
	s_cbranch_execz .LBB94_1830
; %bb.1825:
	s_mov_b32 s7, 0
	s_mov_b32 s8, exec_lo
                                        ; implicit-def: $vgpr1
	v_cmpx_lt_u32_e32 0x37ffffff, v4
	s_xor_b32 s8, exec_lo, s8
	s_cbranch_execz .LBB94_2041
; %bb.1826:
	v_bfe_u32 v1, v4, 21, 1
	s_mov_b32 s7, exec_lo
	s_delay_alu instid0(VALU_DEP_1) | instskip(NEXT) | instid1(VALU_DEP_1)
	v_add3_u32 v1, v4, v1, 0x88fffff
                                        ; implicit-def: $vgpr4
	v_lshrrev_b32_e32 v1, 21, v1
	s_and_not1_saveexec_b32 s8, s8
	s_cbranch_execnz .LBB94_2042
.LBB94_1827:
	s_or_b32 exec_lo, exec_lo, s8
	v_mov_b32_e32 v5, 0
	s_and_saveexec_b32 s8, s7
.LBB94_1828:
	v_mov_b32_e32 v5, v1
.LBB94_1829:
	s_or_b32 exec_lo, exec_lo, s8
.LBB94_1830:
	s_delay_alu instid0(SALU_CYCLE_1)
	s_or_b32 exec_lo, exec_lo, s6
	s_mov_b32 s6, 0
	global_store_b8 v[2:3], v5, off
.LBB94_1831:
	s_and_b32 vcc_lo, exec_lo, s6
	s_cbranch_vccz .LBB94_1841
; %bb.1832:
	s_wait_xcnt 0x0
	v_cndmask_b32_e64 v4, 0, 1.0, s0
	s_mov_b32 s6, exec_lo
                                        ; implicit-def: $vgpr1
	s_delay_alu instid0(VALU_DEP_1)
	v_cmpx_gt_u32_e32 0x43f00000, v4
	s_xor_b32 s6, exec_lo, s6
	s_cbranch_execz .LBB94_1838
; %bb.1833:
	s_mov_b32 s7, exec_lo
                                        ; implicit-def: $vgpr1
	v_cmpx_lt_u32_e32 0x3c7fffff, v4
	s_xor_b32 s7, exec_lo, s7
; %bb.1834:
	v_bfe_u32 v1, v4, 20, 1
	s_delay_alu instid0(VALU_DEP_1) | instskip(NEXT) | instid1(VALU_DEP_1)
	v_add3_u32 v1, v4, v1, 0x407ffff
	v_and_b32_e32 v4, 0xff00000, v1
	v_lshrrev_b32_e32 v1, 20, v1
	s_delay_alu instid0(VALU_DEP_2) | instskip(NEXT) | instid1(VALU_DEP_2)
	v_cmp_ne_u32_e32 vcc_lo, 0x7f00000, v4
                                        ; implicit-def: $vgpr4
	v_cndmask_b32_e32 v1, 0x7e, v1, vcc_lo
; %bb.1835:
	s_and_not1_saveexec_b32 s7, s7
; %bb.1836:
	v_add_f32_e32 v1, 0x46800000, v4
; %bb.1837:
	s_or_b32 exec_lo, exec_lo, s7
                                        ; implicit-def: $vgpr4
.LBB94_1838:
	s_and_not1_saveexec_b32 s6, s6
; %bb.1839:
	v_mov_b32_e32 v1, 0x7f
	v_cmp_lt_u32_e32 vcc_lo, 0x7f800000, v4
	s_delay_alu instid0(VALU_DEP_2)
	v_cndmask_b32_e32 v1, 0x7e, v1, vcc_lo
; %bb.1840:
	s_or_b32 exec_lo, exec_lo, s6
	global_store_b8 v[2:3], v1, off
.LBB94_1841:
	s_mov_b32 s6, 0
.LBB94_1842:
	s_delay_alu instid0(SALU_CYCLE_1)
	s_and_not1_b32 vcc_lo, exec_lo, s6
	s_cbranch_vccnz .LBB94_1852
; %bb.1843:
	s_wait_xcnt 0x0
	v_cndmask_b32_e64 v4, 0, 1.0, s0
	s_mov_b32 s6, exec_lo
                                        ; implicit-def: $vgpr1
	s_delay_alu instid0(VALU_DEP_1)
	v_cmpx_gt_u32_e32 0x47800000, v4
	s_xor_b32 s6, exec_lo, s6
	s_cbranch_execz .LBB94_1849
; %bb.1844:
	s_mov_b32 s7, exec_lo
                                        ; implicit-def: $vgpr1
	v_cmpx_lt_u32_e32 0x387fffff, v4
	s_xor_b32 s7, exec_lo, s7
; %bb.1845:
	v_bfe_u32 v1, v4, 21, 1
	s_delay_alu instid0(VALU_DEP_1) | instskip(NEXT) | instid1(VALU_DEP_1)
	v_add3_u32 v1, v4, v1, 0x80fffff
                                        ; implicit-def: $vgpr4
	v_lshrrev_b32_e32 v1, 21, v1
; %bb.1846:
	s_and_not1_saveexec_b32 s7, s7
; %bb.1847:
	v_add_f32_e32 v1, 0x43000000, v4
; %bb.1848:
	s_or_b32 exec_lo, exec_lo, s7
                                        ; implicit-def: $vgpr4
.LBB94_1849:
	s_and_not1_saveexec_b32 s6, s6
; %bb.1850:
	v_mov_b32_e32 v1, 0x7f
	v_cmp_lt_u32_e32 vcc_lo, 0x7f800000, v4
	s_delay_alu instid0(VALU_DEP_2)
	v_cndmask_b32_e32 v1, 0x7c, v1, vcc_lo
; %bb.1851:
	s_or_b32 exec_lo, exec_lo, s6
	global_store_b8 v[2:3], v1, off
.LBB94_1852:
	s_mov_b32 s6, 0
	s_mov_b32 s7, -1
.LBB94_1853:
	s_and_not1_b32 vcc_lo, exec_lo, s6
	s_mov_b32 s6, 0
	s_cbranch_vccnz .LBB94_1860
; %bb.1854:
	s_cmp_gt_i32 s3, 14
	s_mov_b32 s6, -1
	s_cbranch_scc0 .LBB94_1858
; %bb.1855:
	s_cmp_eq_u32 s3, 15
	s_mov_b32 s1, -1
	s_cbranch_scc0 .LBB94_1857
; %bb.1856:
	s_wait_xcnt 0x0
	v_cndmask_b32_e64 v1, 0, 1.0, s0
	s_mov_b32 s1, 0
	s_mov_b32 s7, -1
	s_delay_alu instid0(VALU_DEP_1) | instskip(NEXT) | instid1(VALU_DEP_1)
	v_bfe_u32 v4, v1, 16, 1
	v_add3_u32 v1, v1, v4, 0x7fff
	global_store_d16_hi_b16 v[2:3], v1, off
.LBB94_1857:
	s_mov_b32 s6, 0
.LBB94_1858:
	s_delay_alu instid0(SALU_CYCLE_1)
	s_and_b32 vcc_lo, exec_lo, s6
	s_mov_b32 s6, 0
	s_cbranch_vccz .LBB94_1860
; %bb.1859:
	s_cmp_lg_u32 s3, 11
	s_mov_b32 s6, -1
	s_cselect_b32 s1, -1, 0
.LBB94_1860:
	s_delay_alu instid0(SALU_CYCLE_1)
	s_and_b32 vcc_lo, exec_lo, s1
	s_cbranch_vccnz .LBB94_2040
; %bb.1861:
	s_and_not1_b32 vcc_lo, exec_lo, s6
	s_cbranch_vccnz .LBB94_1863
.LBB94_1862:
	s_wait_xcnt 0x0
	v_cndmask_b32_e64 v1, 0, 1, s0
	s_mov_b32 s7, -1
	global_store_b8 v[2:3], v1, off
.LBB94_1863:
	s_mov_b32 s1, 0
	s_branch .LBB94_1865
.LBB94_1864:
	s_mov_b32 s1, -1
	s_mov_b32 s7, 0
.LBB94_1865:
	s_and_b32 vcc_lo, exec_lo, s1
	s_cbranch_vccz .LBB94_1904
; %bb.1866:
	s_and_b32 s1, 0xffff, s13
	s_mov_b32 s3, -1
	s_cmp_lt_i32 s1, 5
	s_cbranch_scc1 .LBB94_1887
; %bb.1867:
	s_cmp_lt_i32 s1, 8
	s_cbranch_scc1 .LBB94_1877
; %bb.1868:
	s_cmp_lt_i32 s1, 9
	s_cbranch_scc1 .LBB94_1874
; %bb.1869:
	s_cmp_gt_i32 s1, 9
	s_cbranch_scc0 .LBB94_1871
; %bb.1870:
	s_wait_xcnt 0x0
	v_cndmask_b32_e64 v1, 0, 1, s0
	v_mov_b32_e32 v6, 0
	s_mov_b32 s3, 0
	s_delay_alu instid0(VALU_DEP_2) | instskip(NEXT) | instid1(VALU_DEP_2)
	v_cvt_f64_u32_e32 v[4:5], v1
	v_mov_b32_e32 v7, v6
	global_store_b128 v[2:3], v[4:7], off
.LBB94_1871:
	s_and_not1_b32 vcc_lo, exec_lo, s3
	s_cbranch_vccnz .LBB94_1873
; %bb.1872:
	s_wait_xcnt 0x0
	v_cndmask_b32_e64 v4, 0, 1.0, s0
	v_mov_b32_e32 v5, 0
	global_store_b64 v[2:3], v[4:5], off
.LBB94_1873:
	s_mov_b32 s3, 0
.LBB94_1874:
	s_delay_alu instid0(SALU_CYCLE_1)
	s_and_not1_b32 vcc_lo, exec_lo, s3
	s_cbranch_vccnz .LBB94_1876
; %bb.1875:
	s_wait_xcnt 0x0
	v_cndmask_b32_e64 v1, 0, 1.0, s0
	s_delay_alu instid0(VALU_DEP_1) | instskip(NEXT) | instid1(VALU_DEP_1)
	v_cvt_f16_f32_e32 v1, v1
	v_and_b32_e32 v1, 0xffff, v1
	global_store_b32 v[2:3], v1, off
.LBB94_1876:
	s_mov_b32 s3, 0
.LBB94_1877:
	s_delay_alu instid0(SALU_CYCLE_1)
	s_and_not1_b32 vcc_lo, exec_lo, s3
	s_cbranch_vccnz .LBB94_1886
; %bb.1878:
	s_cmp_lt_i32 s1, 6
	s_mov_b32 s3, -1
	s_cbranch_scc1 .LBB94_1884
; %bb.1879:
	s_cmp_gt_i32 s1, 6
	s_cbranch_scc0 .LBB94_1881
; %bb.1880:
	s_wait_xcnt 0x0
	v_cndmask_b32_e64 v1, 0, 1, s0
	s_mov_b32 s3, 0
	s_delay_alu instid0(VALU_DEP_1)
	v_cvt_f64_u32_e32 v[4:5], v1
	global_store_b64 v[2:3], v[4:5], off
.LBB94_1881:
	s_and_not1_b32 vcc_lo, exec_lo, s3
	s_cbranch_vccnz .LBB94_1883
; %bb.1882:
	s_wait_xcnt 0x0
	v_cndmask_b32_e64 v1, 0, 1.0, s0
	global_store_b32 v[2:3], v1, off
.LBB94_1883:
	s_mov_b32 s3, 0
.LBB94_1884:
	s_delay_alu instid0(SALU_CYCLE_1)
	s_and_not1_b32 vcc_lo, exec_lo, s3
	s_cbranch_vccnz .LBB94_1886
; %bb.1885:
	s_wait_xcnt 0x0
	v_cndmask_b32_e64 v1, 0, 1.0, s0
	s_delay_alu instid0(VALU_DEP_1)
	v_cvt_f16_f32_e32 v1, v1
	global_store_b16 v[2:3], v1, off
.LBB94_1886:
	s_mov_b32 s3, 0
.LBB94_1887:
	s_delay_alu instid0(SALU_CYCLE_1)
	s_and_not1_b32 vcc_lo, exec_lo, s3
	s_cbranch_vccnz .LBB94_1903
; %bb.1888:
	s_cmp_lt_i32 s1, 2
	s_mov_b32 s3, -1
	s_cbranch_scc1 .LBB94_1898
; %bb.1889:
	s_cmp_lt_i32 s1, 3
	s_cbranch_scc1 .LBB94_1895
; %bb.1890:
	s_cmp_gt_i32 s1, 3
	s_cbranch_scc0 .LBB94_1892
; %bb.1891:
	s_mov_b32 s3, 0
	s_wait_xcnt 0x0
	v_cndmask_b32_e64 v4, 0, 1, s0
	v_mov_b32_e32 v5, s3
	global_store_b64 v[2:3], v[4:5], off
.LBB94_1892:
	s_and_not1_b32 vcc_lo, exec_lo, s3
	s_cbranch_vccnz .LBB94_1894
; %bb.1893:
	s_wait_xcnt 0x0
	v_cndmask_b32_e64 v1, 0, 1, s0
	global_store_b32 v[2:3], v1, off
.LBB94_1894:
	s_mov_b32 s3, 0
.LBB94_1895:
	s_delay_alu instid0(SALU_CYCLE_1)
	s_and_not1_b32 vcc_lo, exec_lo, s3
	s_cbranch_vccnz .LBB94_1897
; %bb.1896:
	s_wait_xcnt 0x0
	v_cndmask_b32_e64 v1, 0, 1, s0
	global_store_b16 v[2:3], v1, off
.LBB94_1897:
	s_mov_b32 s3, 0
.LBB94_1898:
	s_delay_alu instid0(SALU_CYCLE_1)
	s_and_not1_b32 vcc_lo, exec_lo, s3
	s_cbranch_vccnz .LBB94_1903
; %bb.1899:
	s_wait_xcnt 0x0
	v_cndmask_b32_e64 v1, 0, 1, s0
	s_cmp_gt_i32 s1, 0
	s_mov_b32 s0, -1
	s_cbranch_scc0 .LBB94_1901
; %bb.1900:
	s_mov_b32 s0, 0
	global_store_b8 v[2:3], v1, off
.LBB94_1901:
	s_and_not1_b32 vcc_lo, exec_lo, s0
	s_cbranch_vccnz .LBB94_1903
; %bb.1902:
	global_store_b8 v[2:3], v1, off
.LBB94_1903:
	s_mov_b32 s7, -1
.LBB94_1904:
	s_delay_alu instid0(SALU_CYCLE_1)
	s_and_not1_b32 vcc_lo, exec_lo, s7
	s_cbranch_vccnz .LBB94_1981
; %bb.1905:
	v_add_nc_u32_e32 v0, s2, v0
	s_wait_xcnt 0x0
	v_lshlrev_b32_e32 v2, 16, v8
	s_cmp_lt_i32 s13, 11
	s_delay_alu instid0(VALU_DEP_2) | instskip(NEXT) | instid1(VALU_DEP_2)
	v_ashrrev_i32_e32 v1, 31, v0
	v_cmp_eq_f32_e64 s1, 0xff800000, v2
	s_delay_alu instid0(VALU_DEP_2)
	v_add_nc_u64_e32 v[0:1], s[4:5], v[0:1]
	s_cbranch_scc1 .LBB94_2026
; %bb.1906:
	s_and_b32 s2, 0xffff, s13
	s_mov_b32 s4, -1
	s_mov_b32 s3, 0
	s_cmp_gt_i32 s2, 25
	s_mov_b32 s0, 0
	s_cbranch_scc0 .LBB94_1939
; %bb.1907:
	s_cmp_gt_i32 s2, 28
	s_cbranch_scc0 .LBB94_1923
; %bb.1908:
	s_cmp_gt_i32 s2, 43
	;; [unrolled: 3-line block ×3, first 2 shown]
	s_cbranch_scc0 .LBB94_1913
; %bb.1910:
	s_cmp_eq_u32 s2, 46
	s_mov_b32 s0, -1
	s_cbranch_scc0 .LBB94_1912
; %bb.1911:
	v_cndmask_b32_e64 v2, 0, 1.0, s1
	s_mov_b32 s0, 0
	s_delay_alu instid0(VALU_DEP_1) | instskip(NEXT) | instid1(VALU_DEP_1)
	v_bfe_u32 v3, v2, 16, 1
	v_add3_u32 v2, v2, v3, 0x7fff
	s_delay_alu instid0(VALU_DEP_1)
	v_lshrrev_b32_e32 v2, 16, v2
	global_store_b32 v[0:1], v2, off
.LBB94_1912:
	s_mov_b32 s4, 0
.LBB94_1913:
	s_delay_alu instid0(SALU_CYCLE_1)
	s_and_b32 vcc_lo, exec_lo, s4
	s_cbranch_vccz .LBB94_1918
; %bb.1914:
	s_cmp_eq_u32 s2, 44
	s_mov_b32 s0, -1
	s_cbranch_scc0 .LBB94_1918
; %bb.1915:
	v_cndmask_b32_e64 v4, 0, 1.0, s1
	s_mov_b32 s4, exec_lo
	s_wait_xcnt 0x0
	s_delay_alu instid0(VALU_DEP_1) | instskip(NEXT) | instid1(VALU_DEP_1)
	v_dual_mov_b32 v3, 0xff :: v_dual_lshrrev_b32 v2, 23, v4
	v_cmpx_ne_u32_e32 0xff, v2
; %bb.1916:
	v_and_b32_e32 v3, 0x400000, v4
	v_and_or_b32 v4, 0x3fffff, v4, v2
	s_delay_alu instid0(VALU_DEP_2) | instskip(NEXT) | instid1(VALU_DEP_2)
	v_cmp_ne_u32_e32 vcc_lo, 0, v3
	v_cmp_ne_u32_e64 s0, 0, v4
	s_and_b32 s0, vcc_lo, s0
	s_delay_alu instid0(SALU_CYCLE_1) | instskip(NEXT) | instid1(VALU_DEP_1)
	v_cndmask_b32_e64 v3, 0, 1, s0
	v_add_nc_u32_e32 v3, v2, v3
; %bb.1917:
	s_or_b32 exec_lo, exec_lo, s4
	s_mov_b32 s0, 0
	global_store_b8 v[0:1], v3, off
.LBB94_1918:
	s_mov_b32 s4, 0
.LBB94_1919:
	s_delay_alu instid0(SALU_CYCLE_1)
	s_and_b32 vcc_lo, exec_lo, s4
	s_cbranch_vccz .LBB94_1922
; %bb.1920:
	s_cmp_eq_u32 s2, 29
	s_mov_b32 s0, -1
	s_cbranch_scc0 .LBB94_1922
; %bb.1921:
	s_mov_b32 s0, 0
	s_wait_xcnt 0x0
	v_cndmask_b32_e64 v2, 0, 1, s1
	v_mov_b32_e32 v3, s0
	global_store_b64 v[0:1], v[2:3], off
.LBB94_1922:
	s_mov_b32 s4, 0
.LBB94_1923:
	s_delay_alu instid0(SALU_CYCLE_1)
	s_and_b32 vcc_lo, exec_lo, s4
	s_cbranch_vccz .LBB94_1938
; %bb.1924:
	s_cmp_lt_i32 s2, 27
	s_mov_b32 s4, -1
	s_cbranch_scc1 .LBB94_1930
; %bb.1925:
	s_wait_xcnt 0x0
	v_cndmask_b32_e64 v2, 0, 1, s1
	s_cmp_gt_i32 s2, 27
	s_cbranch_scc0 .LBB94_1927
; %bb.1926:
	s_mov_b32 s4, 0
	global_store_b32 v[0:1], v2, off
.LBB94_1927:
	s_and_not1_b32 vcc_lo, exec_lo, s4
	s_cbranch_vccnz .LBB94_1929
; %bb.1928:
	global_store_b16 v[0:1], v2, off
.LBB94_1929:
	s_mov_b32 s4, 0
.LBB94_1930:
	s_delay_alu instid0(SALU_CYCLE_1)
	s_and_not1_b32 vcc_lo, exec_lo, s4
	s_cbranch_vccnz .LBB94_1938
; %bb.1931:
	s_wait_xcnt 0x0
	v_cndmask_b32_e64 v3, 0, 1.0, s1
	v_mov_b32_e32 v4, 0x80
	s_mov_b32 s4, exec_lo
	s_delay_alu instid0(VALU_DEP_2)
	v_cmpx_gt_u32_e32 0x43800000, v3
	s_cbranch_execz .LBB94_1937
; %bb.1932:
	s_mov_b32 s5, 0
	s_mov_b32 s6, exec_lo
                                        ; implicit-def: $vgpr2
	v_cmpx_lt_u32_e32 0x3bffffff, v3
	s_xor_b32 s6, exec_lo, s6
	s_cbranch_execz .LBB94_2043
; %bb.1933:
	v_bfe_u32 v2, v3, 20, 1
	s_mov_b32 s5, exec_lo
	s_delay_alu instid0(VALU_DEP_1) | instskip(NEXT) | instid1(VALU_DEP_1)
	v_add3_u32 v2, v3, v2, 0x487ffff
                                        ; implicit-def: $vgpr3
	v_lshrrev_b32_e32 v2, 20, v2
	s_and_not1_saveexec_b32 s6, s6
	s_cbranch_execnz .LBB94_2044
.LBB94_1934:
	s_or_b32 exec_lo, exec_lo, s6
	v_mov_b32_e32 v4, 0
	s_and_saveexec_b32 s6, s5
.LBB94_1935:
	v_mov_b32_e32 v4, v2
.LBB94_1936:
	s_or_b32 exec_lo, exec_lo, s6
.LBB94_1937:
	s_delay_alu instid0(SALU_CYCLE_1)
	s_or_b32 exec_lo, exec_lo, s4
	global_store_b8 v[0:1], v4, off
.LBB94_1938:
	s_mov_b32 s4, 0
.LBB94_1939:
	s_delay_alu instid0(SALU_CYCLE_1)
	s_and_b32 vcc_lo, exec_lo, s4
	s_cbranch_vccz .LBB94_1979
; %bb.1940:
	s_cmp_gt_i32 s2, 22
	s_mov_b32 s3, -1
	s_cbranch_scc0 .LBB94_1972
; %bb.1941:
	s_cmp_lt_i32 s2, 24
	s_cbranch_scc1 .LBB94_1961
; %bb.1942:
	s_cmp_gt_i32 s2, 24
	s_cbranch_scc0 .LBB94_1950
; %bb.1943:
	s_wait_xcnt 0x0
	v_cndmask_b32_e64 v3, 0, 1.0, s1
	v_mov_b32_e32 v4, 0x80
	s_mov_b32 s3, exec_lo
	s_delay_alu instid0(VALU_DEP_2)
	v_cmpx_gt_u32_e32 0x47800000, v3
	s_cbranch_execz .LBB94_1949
; %bb.1944:
	s_mov_b32 s4, 0
	s_mov_b32 s5, exec_lo
                                        ; implicit-def: $vgpr2
	v_cmpx_lt_u32_e32 0x37ffffff, v3
	s_xor_b32 s5, exec_lo, s5
	s_cbranch_execz .LBB94_2046
; %bb.1945:
	v_bfe_u32 v2, v3, 21, 1
	s_mov_b32 s4, exec_lo
	s_delay_alu instid0(VALU_DEP_1) | instskip(NEXT) | instid1(VALU_DEP_1)
	v_add3_u32 v2, v3, v2, 0x88fffff
                                        ; implicit-def: $vgpr3
	v_lshrrev_b32_e32 v2, 21, v2
	s_and_not1_saveexec_b32 s5, s5
	s_cbranch_execnz .LBB94_2047
.LBB94_1946:
	s_or_b32 exec_lo, exec_lo, s5
	v_mov_b32_e32 v4, 0
	s_and_saveexec_b32 s5, s4
.LBB94_1947:
	v_mov_b32_e32 v4, v2
.LBB94_1948:
	s_or_b32 exec_lo, exec_lo, s5
.LBB94_1949:
	s_delay_alu instid0(SALU_CYCLE_1)
	s_or_b32 exec_lo, exec_lo, s3
	s_mov_b32 s3, 0
	global_store_b8 v[0:1], v4, off
.LBB94_1950:
	s_and_b32 vcc_lo, exec_lo, s3
	s_cbranch_vccz .LBB94_1960
; %bb.1951:
	s_wait_xcnt 0x0
	v_cndmask_b32_e64 v3, 0, 1.0, s1
	s_mov_b32 s3, exec_lo
                                        ; implicit-def: $vgpr2
	s_delay_alu instid0(VALU_DEP_1)
	v_cmpx_gt_u32_e32 0x43f00000, v3
	s_xor_b32 s3, exec_lo, s3
	s_cbranch_execz .LBB94_1957
; %bb.1952:
	s_mov_b32 s4, exec_lo
                                        ; implicit-def: $vgpr2
	v_cmpx_lt_u32_e32 0x3c7fffff, v3
	s_xor_b32 s4, exec_lo, s4
; %bb.1953:
	v_bfe_u32 v2, v3, 20, 1
	s_delay_alu instid0(VALU_DEP_1) | instskip(NEXT) | instid1(VALU_DEP_1)
	v_add3_u32 v2, v3, v2, 0x407ffff
	v_and_b32_e32 v3, 0xff00000, v2
	v_lshrrev_b32_e32 v2, 20, v2
	s_delay_alu instid0(VALU_DEP_2) | instskip(NEXT) | instid1(VALU_DEP_2)
	v_cmp_ne_u32_e32 vcc_lo, 0x7f00000, v3
                                        ; implicit-def: $vgpr3
	v_cndmask_b32_e32 v2, 0x7e, v2, vcc_lo
; %bb.1954:
	s_and_not1_saveexec_b32 s4, s4
; %bb.1955:
	v_add_f32_e32 v2, 0x46800000, v3
; %bb.1956:
	s_or_b32 exec_lo, exec_lo, s4
                                        ; implicit-def: $vgpr3
.LBB94_1957:
	s_and_not1_saveexec_b32 s3, s3
; %bb.1958:
	v_mov_b32_e32 v2, 0x7f
	v_cmp_lt_u32_e32 vcc_lo, 0x7f800000, v3
	s_delay_alu instid0(VALU_DEP_2)
	v_cndmask_b32_e32 v2, 0x7e, v2, vcc_lo
; %bb.1959:
	s_or_b32 exec_lo, exec_lo, s3
	global_store_b8 v[0:1], v2, off
.LBB94_1960:
	s_mov_b32 s3, 0
.LBB94_1961:
	s_delay_alu instid0(SALU_CYCLE_1)
	s_and_not1_b32 vcc_lo, exec_lo, s3
	s_cbranch_vccnz .LBB94_1971
; %bb.1962:
	s_wait_xcnt 0x0
	v_cndmask_b32_e64 v3, 0, 1.0, s1
	s_mov_b32 s3, exec_lo
                                        ; implicit-def: $vgpr2
	s_delay_alu instid0(VALU_DEP_1)
	v_cmpx_gt_u32_e32 0x47800000, v3
	s_xor_b32 s3, exec_lo, s3
	s_cbranch_execz .LBB94_1968
; %bb.1963:
	s_mov_b32 s4, exec_lo
                                        ; implicit-def: $vgpr2
	v_cmpx_lt_u32_e32 0x387fffff, v3
	s_xor_b32 s4, exec_lo, s4
; %bb.1964:
	v_bfe_u32 v2, v3, 21, 1
	s_delay_alu instid0(VALU_DEP_1) | instskip(NEXT) | instid1(VALU_DEP_1)
	v_add3_u32 v2, v3, v2, 0x80fffff
                                        ; implicit-def: $vgpr3
	v_lshrrev_b32_e32 v2, 21, v2
; %bb.1965:
	s_and_not1_saveexec_b32 s4, s4
; %bb.1966:
	v_add_f32_e32 v2, 0x43000000, v3
; %bb.1967:
	s_or_b32 exec_lo, exec_lo, s4
                                        ; implicit-def: $vgpr3
.LBB94_1968:
	s_and_not1_saveexec_b32 s3, s3
; %bb.1969:
	v_mov_b32_e32 v2, 0x7f
	v_cmp_lt_u32_e32 vcc_lo, 0x7f800000, v3
	s_delay_alu instid0(VALU_DEP_2)
	v_cndmask_b32_e32 v2, 0x7c, v2, vcc_lo
; %bb.1970:
	s_or_b32 exec_lo, exec_lo, s3
	global_store_b8 v[0:1], v2, off
.LBB94_1971:
	s_mov_b32 s3, 0
.LBB94_1972:
	s_delay_alu instid0(SALU_CYCLE_1)
	s_and_not1_b32 vcc_lo, exec_lo, s3
	s_mov_b32 s3, 0
	s_cbranch_vccnz .LBB94_1979
; %bb.1973:
	s_cmp_gt_i32 s2, 14
	s_mov_b32 s3, -1
	s_cbranch_scc0 .LBB94_1977
; %bb.1974:
	s_cmp_eq_u32 s2, 15
	s_mov_b32 s0, -1
	s_cbranch_scc0 .LBB94_1976
; %bb.1975:
	s_wait_xcnt 0x0
	v_cndmask_b32_e64 v2, 0, 1.0, s1
	s_mov_b32 s0, 0
	s_delay_alu instid0(VALU_DEP_1) | instskip(NEXT) | instid1(VALU_DEP_1)
	v_bfe_u32 v3, v2, 16, 1
	v_add3_u32 v2, v2, v3, 0x7fff
	global_store_d16_hi_b16 v[0:1], v2, off
.LBB94_1976:
	s_mov_b32 s3, 0
.LBB94_1977:
	s_delay_alu instid0(SALU_CYCLE_1)
	s_and_b32 vcc_lo, exec_lo, s3
	s_mov_b32 s3, 0
	s_cbranch_vccz .LBB94_1979
; %bb.1978:
	s_cmp_lg_u32 s2, 11
	s_mov_b32 s3, -1
	s_cselect_b32 s0, -1, 0
.LBB94_1979:
	s_delay_alu instid0(SALU_CYCLE_1)
	s_and_b32 vcc_lo, exec_lo, s0
	s_cbranch_vccnz .LBB94_2045
.LBB94_1980:
	s_mov_b32 s0, 0
	s_branch .LBB94_1982
.LBB94_1981:
	s_mov_b32 s0, 0
	s_mov_b32 s3, 0
                                        ; implicit-def: $sgpr1
                                        ; implicit-def: $sgpr13
                                        ; implicit-def: $vgpr0_vgpr1
.LBB94_1982:
	s_and_not1_b32 s2, s12, exec_lo
	s_and_b32 s4, s9, exec_lo
	s_and_b32 s0, s0, exec_lo
	;; [unrolled: 1-line block ×3, first 2 shown]
	s_or_b32 s12, s2, s4
.LBB94_1983:
	s_wait_xcnt 0x0
	s_or_b32 exec_lo, exec_lo, s11
	s_and_saveexec_b32 s2, s12
	s_cbranch_execz .LBB94_1986
; %bb.1984:
	; divergent unreachable
	s_or_b32 exec_lo, exec_lo, s2
	s_and_saveexec_b32 s2, s9
	s_delay_alu instid0(SALU_CYCLE_1)
	s_xor_b32 s2, exec_lo, s2
	s_cbranch_execnz .LBB94_1987
.LBB94_1985:
	s_or_b32 exec_lo, exec_lo, s2
	s_and_saveexec_b32 s2, s0
	s_cbranch_execnz .LBB94_1988
	s_branch .LBB94_2025
.LBB94_1986:
	s_or_b32 exec_lo, exec_lo, s2
	s_and_saveexec_b32 s2, s9
	s_delay_alu instid0(SALU_CYCLE_1)
	s_xor_b32 s2, exec_lo, s2
	s_cbranch_execz .LBB94_1985
.LBB94_1987:
	s_wait_loadcnt 0x0
	v_cndmask_b32_e64 v2, 0, 1, s1
	global_store_b8 v[0:1], v2, off
	s_wait_xcnt 0x0
	s_or_b32 exec_lo, exec_lo, s2
	s_and_saveexec_b32 s2, s0
	s_cbranch_execz .LBB94_2025
.LBB94_1988:
	s_sext_i32_i16 s2, s13
	s_mov_b32 s0, -1
	s_cmp_lt_i32 s2, 5
	s_cbranch_scc1 .LBB94_2009
; %bb.1989:
	s_cmp_lt_i32 s2, 8
	s_cbranch_scc1 .LBB94_1999
; %bb.1990:
	;; [unrolled: 3-line block ×3, first 2 shown]
	s_cmp_gt_i32 s2, 9
	s_cbranch_scc0 .LBB94_1993
; %bb.1992:
	s_wait_loadcnt 0x0
	v_cndmask_b32_e64 v2, 0, 1, s1
	v_mov_b32_e32 v4, 0
	s_mov_b32 s0, 0
	s_delay_alu instid0(VALU_DEP_2) | instskip(NEXT) | instid1(VALU_DEP_2)
	v_cvt_f64_u32_e32 v[2:3], v2
	v_mov_b32_e32 v5, v4
	global_store_b128 v[0:1], v[2:5], off
.LBB94_1993:
	s_and_not1_b32 vcc_lo, exec_lo, s0
	s_cbranch_vccnz .LBB94_1995
; %bb.1994:
	s_wait_loadcnt 0x0
	v_cndmask_b32_e64 v2, 0, 1.0, s1
	v_mov_b32_e32 v3, 0
	global_store_b64 v[0:1], v[2:3], off
.LBB94_1995:
	s_mov_b32 s0, 0
.LBB94_1996:
	s_delay_alu instid0(SALU_CYCLE_1)
	s_and_not1_b32 vcc_lo, exec_lo, s0
	s_cbranch_vccnz .LBB94_1998
; %bb.1997:
	s_wait_loadcnt 0x0
	v_cndmask_b32_e64 v2, 0, 1.0, s1
	s_delay_alu instid0(VALU_DEP_1) | instskip(NEXT) | instid1(VALU_DEP_1)
	v_cvt_f16_f32_e32 v2, v2
	v_and_b32_e32 v2, 0xffff, v2
	global_store_b32 v[0:1], v2, off
.LBB94_1998:
	s_mov_b32 s0, 0
.LBB94_1999:
	s_delay_alu instid0(SALU_CYCLE_1)
	s_and_not1_b32 vcc_lo, exec_lo, s0
	s_cbranch_vccnz .LBB94_2008
; %bb.2000:
	s_sext_i32_i16 s2, s13
	s_mov_b32 s0, -1
	s_cmp_lt_i32 s2, 6
	s_cbranch_scc1 .LBB94_2006
; %bb.2001:
	s_cmp_gt_i32 s2, 6
	s_cbranch_scc0 .LBB94_2003
; %bb.2002:
	s_wait_loadcnt 0x0
	v_cndmask_b32_e64 v2, 0, 1, s1
	s_mov_b32 s0, 0
	s_delay_alu instid0(VALU_DEP_1)
	v_cvt_f64_u32_e32 v[2:3], v2
	global_store_b64 v[0:1], v[2:3], off
.LBB94_2003:
	s_and_not1_b32 vcc_lo, exec_lo, s0
	s_cbranch_vccnz .LBB94_2005
; %bb.2004:
	s_wait_loadcnt 0x0
	v_cndmask_b32_e64 v2, 0, 1.0, s1
	global_store_b32 v[0:1], v2, off
.LBB94_2005:
	s_mov_b32 s0, 0
.LBB94_2006:
	s_delay_alu instid0(SALU_CYCLE_1)
	s_and_not1_b32 vcc_lo, exec_lo, s0
	s_cbranch_vccnz .LBB94_2008
; %bb.2007:
	s_wait_loadcnt 0x0
	v_cndmask_b32_e64 v2, 0, 1.0, s1
	s_delay_alu instid0(VALU_DEP_1)
	v_cvt_f16_f32_e32 v2, v2
	global_store_b16 v[0:1], v2, off
.LBB94_2008:
	s_mov_b32 s0, 0
.LBB94_2009:
	s_delay_alu instid0(SALU_CYCLE_1)
	s_and_not1_b32 vcc_lo, exec_lo, s0
	s_cbranch_vccnz .LBB94_2025
; %bb.2010:
	s_sext_i32_i16 s2, s13
	s_mov_b32 s0, -1
	s_cmp_lt_i32 s2, 2
	s_cbranch_scc1 .LBB94_2020
; %bb.2011:
	s_cmp_lt_i32 s2, 3
	s_cbranch_scc1 .LBB94_2017
; %bb.2012:
	s_cmp_gt_i32 s2, 3
	s_cbranch_scc0 .LBB94_2014
; %bb.2013:
	s_mov_b32 s0, 0
	s_wait_loadcnt 0x0
	v_cndmask_b32_e64 v2, 0, 1, s1
	v_mov_b32_e32 v3, s0
	global_store_b64 v[0:1], v[2:3], off
.LBB94_2014:
	s_and_not1_b32 vcc_lo, exec_lo, s0
	s_cbranch_vccnz .LBB94_2016
; %bb.2015:
	s_wait_loadcnt 0x0
	v_cndmask_b32_e64 v2, 0, 1, s1
	global_store_b32 v[0:1], v2, off
.LBB94_2016:
	s_mov_b32 s0, 0
.LBB94_2017:
	s_delay_alu instid0(SALU_CYCLE_1)
	s_and_not1_b32 vcc_lo, exec_lo, s0
	s_cbranch_vccnz .LBB94_2019
; %bb.2018:
	s_wait_loadcnt 0x0
	v_cndmask_b32_e64 v2, 0, 1, s1
	global_store_b16 v[0:1], v2, off
.LBB94_2019:
	s_mov_b32 s0, 0
.LBB94_2020:
	s_delay_alu instid0(SALU_CYCLE_1)
	s_and_not1_b32 vcc_lo, exec_lo, s0
	s_cbranch_vccnz .LBB94_2025
; %bb.2021:
	s_wait_loadcnt 0x0
	v_cndmask_b32_e64 v2, 0, 1, s1
	s_sext_i32_i16 s0, s13
	s_delay_alu instid0(SALU_CYCLE_1)
	s_cmp_gt_i32 s0, 0
	s_mov_b32 s0, -1
	s_cbranch_scc0 .LBB94_2023
; %bb.2022:
	s_mov_b32 s0, 0
	global_store_b8 v[0:1], v2, off
.LBB94_2023:
	s_and_not1_b32 vcc_lo, exec_lo, s0
	s_cbranch_vccnz .LBB94_2025
; %bb.2024:
	global_store_b8 v[0:1], v2, off
	s_endpgm
.LBB94_2025:
	s_endpgm
.LBB94_2026:
	s_mov_b32 s3, 0
	s_mov_b32 s0, -1
	s_branch .LBB94_1982
.LBB94_2027:
	s_or_b32 s9, s9, exec_lo
	s_trap 2
	s_cbranch_execz .LBB94_1496
	s_branch .LBB94_1497
.LBB94_2028:
	s_and_not1_saveexec_b32 s10, s10
	s_cbranch_execz .LBB94_1576
.LBB94_2029:
	v_add_f32_e32 v1, 0x46000000, v4
	s_and_not1_b32 s8, s8, exec_lo
	s_delay_alu instid0(VALU_DEP_1) | instskip(NEXT) | instid1(VALU_DEP_1)
	v_and_b32_e32 v1, 0xff, v1
	v_cmp_ne_u32_e32 vcc_lo, 0, v1
	s_and_b32 s14, vcc_lo, exec_lo
	s_delay_alu instid0(SALU_CYCLE_1)
	s_or_b32 s8, s8, s14
	s_or_b32 exec_lo, exec_lo, s10
	v_mov_b32_e32 v5, 0
	s_and_saveexec_b32 s10, s8
	s_cbranch_execnz .LBB94_1577
	s_branch .LBB94_1578
.LBB94_2030:
	s_or_b32 s9, s9, exec_lo
	s_trap 2
	s_cbranch_execz .LBB94_1624
	s_branch .LBB94_1625
.LBB94_2031:
	s_and_not1_saveexec_b32 s8, s8
	s_cbranch_execz .LBB94_1589
.LBB94_2032:
	v_add_f32_e32 v1, 0x42800000, v4
	s_and_not1_b32 s7, s7, exec_lo
	s_delay_alu instid0(VALU_DEP_1) | instskip(NEXT) | instid1(VALU_DEP_1)
	v_and_b32_e32 v1, 0xff, v1
	v_cmp_ne_u32_e32 vcc_lo, 0, v1
	s_and_b32 s10, vcc_lo, exec_lo
	s_delay_alu instid0(SALU_CYCLE_1)
	s_or_b32 s7, s7, s10
	s_or_b32 exec_lo, exec_lo, s8
	v_mov_b32_e32 v5, 0
	s_and_saveexec_b32 s8, s7
	s_cbranch_execnz .LBB94_1590
	s_branch .LBB94_1591
.LBB94_2033:
	s_and_not1_saveexec_b32 s10, s10
	s_cbranch_execz .LBB94_1695
.LBB94_2034:
	v_add_f32_e32 v1, 0x46000000, v4
	s_and_not1_b32 s8, s8, exec_lo
	s_delay_alu instid0(VALU_DEP_1) | instskip(NEXT) | instid1(VALU_DEP_1)
	v_and_b32_e32 v1, 0xff, v1
	v_cmp_ne_u32_e32 vcc_lo, 0, v1
	s_and_b32 s14, vcc_lo, exec_lo
	s_delay_alu instid0(SALU_CYCLE_1)
	s_or_b32 s8, s8, s14
	s_or_b32 exec_lo, exec_lo, s10
	v_mov_b32_e32 v5, 0
	s_and_saveexec_b32 s10, s8
	s_cbranch_execnz .LBB94_1696
	s_branch .LBB94_1697
.LBB94_2035:
	s_or_b32 s9, s9, exec_lo
	s_trap 2
	s_cbranch_execz .LBB94_1743
	s_branch .LBB94_1744
.LBB94_2036:
	s_and_not1_saveexec_b32 s8, s8
	s_cbranch_execz .LBB94_1708
.LBB94_2037:
	v_add_f32_e32 v1, 0x42800000, v4
	s_and_not1_b32 s7, s7, exec_lo
	s_delay_alu instid0(VALU_DEP_1) | instskip(NEXT) | instid1(VALU_DEP_1)
	v_and_b32_e32 v1, 0xff, v1
	v_cmp_ne_u32_e32 vcc_lo, 0, v1
	s_and_b32 s10, vcc_lo, exec_lo
	s_delay_alu instid0(SALU_CYCLE_1)
	s_or_b32 s7, s7, s10
	s_or_b32 exec_lo, exec_lo, s8
	v_mov_b32_e32 v5, 0
	s_and_saveexec_b32 s8, s7
	s_cbranch_execnz .LBB94_1709
	s_branch .LBB94_1710
.LBB94_2038:
	s_and_not1_saveexec_b32 s10, s10
	s_cbranch_execz .LBB94_1814
.LBB94_2039:
	v_add_f32_e32 v1, 0x46000000, v4
	s_and_not1_b32 s8, s8, exec_lo
	s_delay_alu instid0(VALU_DEP_1) | instskip(NEXT) | instid1(VALU_DEP_1)
	v_and_b32_e32 v1, 0xff, v1
	v_cmp_ne_u32_e32 vcc_lo, 0, v1
	s_and_b32 s14, vcc_lo, exec_lo
	s_delay_alu instid0(SALU_CYCLE_1)
	s_or_b32 s8, s8, s14
	s_or_b32 exec_lo, exec_lo, s10
	v_mov_b32_e32 v5, 0
	s_and_saveexec_b32 s10, s8
	s_cbranch_execnz .LBB94_1815
	s_branch .LBB94_1816
.LBB94_2040:
	s_or_b32 s9, s9, exec_lo
	s_trap 2
	s_cbranch_execz .LBB94_1862
	s_branch .LBB94_1863
.LBB94_2041:
	s_and_not1_saveexec_b32 s8, s8
	s_cbranch_execz .LBB94_1827
.LBB94_2042:
	v_add_f32_e32 v1, 0x42800000, v4
	s_and_not1_b32 s7, s7, exec_lo
	s_delay_alu instid0(VALU_DEP_1) | instskip(NEXT) | instid1(VALU_DEP_1)
	v_and_b32_e32 v1, 0xff, v1
	v_cmp_ne_u32_e32 vcc_lo, 0, v1
	s_and_b32 s10, vcc_lo, exec_lo
	s_delay_alu instid0(SALU_CYCLE_1)
	s_or_b32 s7, s7, s10
	s_or_b32 exec_lo, exec_lo, s8
	v_mov_b32_e32 v5, 0
	s_and_saveexec_b32 s8, s7
	s_cbranch_execnz .LBB94_1828
	s_branch .LBB94_1829
.LBB94_2043:
	s_and_not1_saveexec_b32 s6, s6
	s_cbranch_execz .LBB94_1934
.LBB94_2044:
	v_add_f32_e32 v2, 0x46000000, v3
	s_and_not1_b32 s5, s5, exec_lo
	s_delay_alu instid0(VALU_DEP_1) | instskip(NEXT) | instid1(VALU_DEP_1)
	v_and_b32_e32 v2, 0xff, v2
	v_cmp_ne_u32_e32 vcc_lo, 0, v2
	s_and_b32 s7, vcc_lo, exec_lo
	s_delay_alu instid0(SALU_CYCLE_1)
	s_or_b32 s5, s5, s7
	s_or_b32 exec_lo, exec_lo, s6
	v_mov_b32_e32 v4, 0
	s_and_saveexec_b32 s6, s5
	s_cbranch_execnz .LBB94_1935
	s_branch .LBB94_1936
.LBB94_2045:
	s_mov_b32 s3, 0
	s_or_b32 s9, s9, exec_lo
	s_trap 2
	s_branch .LBB94_1980
.LBB94_2046:
	s_and_not1_saveexec_b32 s5, s5
	s_cbranch_execz .LBB94_1946
.LBB94_2047:
	v_add_f32_e32 v2, 0x42800000, v3
	s_and_not1_b32 s4, s4, exec_lo
	s_delay_alu instid0(VALU_DEP_1) | instskip(NEXT) | instid1(VALU_DEP_1)
	v_and_b32_e32 v2, 0xff, v2
	v_cmp_ne_u32_e32 vcc_lo, 0, v2
	s_and_b32 s6, vcc_lo, exec_lo
	s_delay_alu instid0(SALU_CYCLE_1)
	s_or_b32 s4, s4, s6
	s_or_b32 exec_lo, exec_lo, s5
	v_mov_b32_e32 v4, 0
	s_and_saveexec_b32 s5, s4
	s_cbranch_execnz .LBB94_1947
	s_branch .LBB94_1948
	.section	.rodata,"a",@progbits
	.p2align	6, 0x0
	.amdhsa_kernel _ZN2at6native32elementwise_kernel_manual_unrollILi128ELi4EZNS0_15gpu_kernel_implIZZZNS0_12_GLOBAL__N_120isneginf_kernel_implERNS_18TensorIteratorBaseEENKUlvE_clEvENKUlvE2_clEvEUlN3c108BFloat16EE_EEvS5_RKT_EUlibE_EEviT1_
		.amdhsa_group_segment_fixed_size 0
		.amdhsa_private_segment_fixed_size 0
		.amdhsa_kernarg_size 40
		.amdhsa_user_sgpr_count 2
		.amdhsa_user_sgpr_dispatch_ptr 0
		.amdhsa_user_sgpr_queue_ptr 0
		.amdhsa_user_sgpr_kernarg_segment_ptr 1
		.amdhsa_user_sgpr_dispatch_id 0
		.amdhsa_user_sgpr_kernarg_preload_length 0
		.amdhsa_user_sgpr_kernarg_preload_offset 0
		.amdhsa_user_sgpr_private_segment_size 0
		.amdhsa_wavefront_size32 1
		.amdhsa_uses_dynamic_stack 0
		.amdhsa_enable_private_segment 0
		.amdhsa_system_sgpr_workgroup_id_x 1
		.amdhsa_system_sgpr_workgroup_id_y 0
		.amdhsa_system_sgpr_workgroup_id_z 0
		.amdhsa_system_sgpr_workgroup_info 0
		.amdhsa_system_vgpr_workitem_id 0
		.amdhsa_next_free_vgpr 14
		.amdhsa_next_free_sgpr 27
		.amdhsa_named_barrier_count 0
		.amdhsa_reserve_vcc 1
		.amdhsa_float_round_mode_32 0
		.amdhsa_float_round_mode_16_64 0
		.amdhsa_float_denorm_mode_32 3
		.amdhsa_float_denorm_mode_16_64 3
		.amdhsa_fp16_overflow 0
		.amdhsa_memory_ordered 1
		.amdhsa_forward_progress 1
		.amdhsa_inst_pref_size 255
		.amdhsa_round_robin_scheduling 0
		.amdhsa_exception_fp_ieee_invalid_op 0
		.amdhsa_exception_fp_denorm_src 0
		.amdhsa_exception_fp_ieee_div_zero 0
		.amdhsa_exception_fp_ieee_overflow 0
		.amdhsa_exception_fp_ieee_underflow 0
		.amdhsa_exception_fp_ieee_inexact 0
		.amdhsa_exception_int_div_zero 0
	.end_amdhsa_kernel
	.section	.text._ZN2at6native32elementwise_kernel_manual_unrollILi128ELi4EZNS0_15gpu_kernel_implIZZZNS0_12_GLOBAL__N_120isneginf_kernel_implERNS_18TensorIteratorBaseEENKUlvE_clEvENKUlvE2_clEvEUlN3c108BFloat16EE_EEvS5_RKT_EUlibE_EEviT1_,"axG",@progbits,_ZN2at6native32elementwise_kernel_manual_unrollILi128ELi4EZNS0_15gpu_kernel_implIZZZNS0_12_GLOBAL__N_120isneginf_kernel_implERNS_18TensorIteratorBaseEENKUlvE_clEvENKUlvE2_clEvEUlN3c108BFloat16EE_EEvS5_RKT_EUlibE_EEviT1_,comdat
.Lfunc_end94:
	.size	_ZN2at6native32elementwise_kernel_manual_unrollILi128ELi4EZNS0_15gpu_kernel_implIZZZNS0_12_GLOBAL__N_120isneginf_kernel_implERNS_18TensorIteratorBaseEENKUlvE_clEvENKUlvE2_clEvEUlN3c108BFloat16EE_EEvS5_RKT_EUlibE_EEviT1_, .Lfunc_end94-_ZN2at6native32elementwise_kernel_manual_unrollILi128ELi4EZNS0_15gpu_kernel_implIZZZNS0_12_GLOBAL__N_120isneginf_kernel_implERNS_18TensorIteratorBaseEENKUlvE_clEvENKUlvE2_clEvEUlN3c108BFloat16EE_EEvS5_RKT_EUlibE_EEviT1_
                                        ; -- End function
	.set _ZN2at6native32elementwise_kernel_manual_unrollILi128ELi4EZNS0_15gpu_kernel_implIZZZNS0_12_GLOBAL__N_120isneginf_kernel_implERNS_18TensorIteratorBaseEENKUlvE_clEvENKUlvE2_clEvEUlN3c108BFloat16EE_EEvS5_RKT_EUlibE_EEviT1_.num_vgpr, 14
	.set _ZN2at6native32elementwise_kernel_manual_unrollILi128ELi4EZNS0_15gpu_kernel_implIZZZNS0_12_GLOBAL__N_120isneginf_kernel_implERNS_18TensorIteratorBaseEENKUlvE_clEvENKUlvE2_clEvEUlN3c108BFloat16EE_EEvS5_RKT_EUlibE_EEviT1_.num_agpr, 0
	.set _ZN2at6native32elementwise_kernel_manual_unrollILi128ELi4EZNS0_15gpu_kernel_implIZZZNS0_12_GLOBAL__N_120isneginf_kernel_implERNS_18TensorIteratorBaseEENKUlvE_clEvENKUlvE2_clEvEUlN3c108BFloat16EE_EEvS5_RKT_EUlibE_EEviT1_.numbered_sgpr, 27
	.set _ZN2at6native32elementwise_kernel_manual_unrollILi128ELi4EZNS0_15gpu_kernel_implIZZZNS0_12_GLOBAL__N_120isneginf_kernel_implERNS_18TensorIteratorBaseEENKUlvE_clEvENKUlvE2_clEvEUlN3c108BFloat16EE_EEvS5_RKT_EUlibE_EEviT1_.num_named_barrier, 0
	.set _ZN2at6native32elementwise_kernel_manual_unrollILi128ELi4EZNS0_15gpu_kernel_implIZZZNS0_12_GLOBAL__N_120isneginf_kernel_implERNS_18TensorIteratorBaseEENKUlvE_clEvENKUlvE2_clEvEUlN3c108BFloat16EE_EEvS5_RKT_EUlibE_EEviT1_.private_seg_size, 0
	.set _ZN2at6native32elementwise_kernel_manual_unrollILi128ELi4EZNS0_15gpu_kernel_implIZZZNS0_12_GLOBAL__N_120isneginf_kernel_implERNS_18TensorIteratorBaseEENKUlvE_clEvENKUlvE2_clEvEUlN3c108BFloat16EE_EEvS5_RKT_EUlibE_EEviT1_.uses_vcc, 1
	.set _ZN2at6native32elementwise_kernel_manual_unrollILi128ELi4EZNS0_15gpu_kernel_implIZZZNS0_12_GLOBAL__N_120isneginf_kernel_implERNS_18TensorIteratorBaseEENKUlvE_clEvENKUlvE2_clEvEUlN3c108BFloat16EE_EEvS5_RKT_EUlibE_EEviT1_.uses_flat_scratch, 0
	.set _ZN2at6native32elementwise_kernel_manual_unrollILi128ELi4EZNS0_15gpu_kernel_implIZZZNS0_12_GLOBAL__N_120isneginf_kernel_implERNS_18TensorIteratorBaseEENKUlvE_clEvENKUlvE2_clEvEUlN3c108BFloat16EE_EEvS5_RKT_EUlibE_EEviT1_.has_dyn_sized_stack, 0
	.set _ZN2at6native32elementwise_kernel_manual_unrollILi128ELi4EZNS0_15gpu_kernel_implIZZZNS0_12_GLOBAL__N_120isneginf_kernel_implERNS_18TensorIteratorBaseEENKUlvE_clEvENKUlvE2_clEvEUlN3c108BFloat16EE_EEvS5_RKT_EUlibE_EEviT1_.has_recursion, 0
	.set _ZN2at6native32elementwise_kernel_manual_unrollILi128ELi4EZNS0_15gpu_kernel_implIZZZNS0_12_GLOBAL__N_120isneginf_kernel_implERNS_18TensorIteratorBaseEENKUlvE_clEvENKUlvE2_clEvEUlN3c108BFloat16EE_EEvS5_RKT_EUlibE_EEviT1_.has_indirect_call, 0
	.section	.AMDGPU.csdata,"",@progbits
; Kernel info:
; codeLenInByte = 41776
; TotalNumSgprs: 29
; NumVgprs: 14
; ScratchSize: 0
; MemoryBound: 0
; FloatMode: 240
; IeeeMode: 1
; LDSByteSize: 0 bytes/workgroup (compile time only)
; SGPRBlocks: 0
; VGPRBlocks: 0
; NumSGPRsForWavesPerEU: 29
; NumVGPRsForWavesPerEU: 14
; NamedBarCnt: 0
; Occupancy: 16
; WaveLimiterHint : 0
; COMPUTE_PGM_RSRC2:SCRATCH_EN: 0
; COMPUTE_PGM_RSRC2:USER_SGPR: 2
; COMPUTE_PGM_RSRC2:TRAP_HANDLER: 0
; COMPUTE_PGM_RSRC2:TGID_X_EN: 1
; COMPUTE_PGM_RSRC2:TGID_Y_EN: 0
; COMPUTE_PGM_RSRC2:TGID_Z_EN: 0
; COMPUTE_PGM_RSRC2:TIDIG_COMP_CNT: 0
	.section	.text._ZN2at6native32elementwise_kernel_manual_unrollILi128ELi4EZNS0_15gpu_kernel_implIZZZNS0_12_GLOBAL__N_120isneginf_kernel_implERNS_18TensorIteratorBaseEENKUlvE_clEvENKUlvE2_clEvEUlN3c108BFloat16EE_EEvS5_RKT_EUlibE0_EEviT1_,"axG",@progbits,_ZN2at6native32elementwise_kernel_manual_unrollILi128ELi4EZNS0_15gpu_kernel_implIZZZNS0_12_GLOBAL__N_120isneginf_kernel_implERNS_18TensorIteratorBaseEENKUlvE_clEvENKUlvE2_clEvEUlN3c108BFloat16EE_EEvS5_RKT_EUlibE0_EEviT1_,comdat
	.globl	_ZN2at6native32elementwise_kernel_manual_unrollILi128ELi4EZNS0_15gpu_kernel_implIZZZNS0_12_GLOBAL__N_120isneginf_kernel_implERNS_18TensorIteratorBaseEENKUlvE_clEvENKUlvE2_clEvEUlN3c108BFloat16EE_EEvS5_RKT_EUlibE0_EEviT1_ ; -- Begin function _ZN2at6native32elementwise_kernel_manual_unrollILi128ELi4EZNS0_15gpu_kernel_implIZZZNS0_12_GLOBAL__N_120isneginf_kernel_implERNS_18TensorIteratorBaseEENKUlvE_clEvENKUlvE2_clEvEUlN3c108BFloat16EE_EEvS5_RKT_EUlibE0_EEviT1_
	.p2align	8
	.type	_ZN2at6native32elementwise_kernel_manual_unrollILi128ELi4EZNS0_15gpu_kernel_implIZZZNS0_12_GLOBAL__N_120isneginf_kernel_implERNS_18TensorIteratorBaseEENKUlvE_clEvENKUlvE2_clEvEUlN3c108BFloat16EE_EEvS5_RKT_EUlibE0_EEviT1_,@function
_ZN2at6native32elementwise_kernel_manual_unrollILi128ELi4EZNS0_15gpu_kernel_implIZZZNS0_12_GLOBAL__N_120isneginf_kernel_implERNS_18TensorIteratorBaseEENKUlvE_clEvENKUlvE2_clEvEUlN3c108BFloat16EE_EEvS5_RKT_EUlibE0_EEviT1_: ; @_ZN2at6native32elementwise_kernel_manual_unrollILi128ELi4EZNS0_15gpu_kernel_implIZZZNS0_12_GLOBAL__N_120isneginf_kernel_implERNS_18TensorIteratorBaseEENKUlvE_clEvENKUlvE2_clEvEUlN3c108BFloat16EE_EEvS5_RKT_EUlibE0_EEviT1_
; %bb.0:
	s_clause 0x1
	s_load_b32 s28, s[0:1], 0x8
	s_load_b32 s36, s[0:1], 0x0
	s_bfe_u32 s2, ttmp6, 0x4000c
	s_and_b32 s3, ttmp6, 15
	s_add_co_i32 s2, s2, 1
	s_getreg_b32 s4, hwreg(HW_REG_IB_STS2, 6, 4)
	s_mul_i32 s2, ttmp9, s2
	s_mov_b32 s30, 0
	s_add_co_i32 s3, s3, s2
	s_cmp_eq_u32 s4, 0
	s_mov_b32 s24, -1
	s_cselect_b32 s2, ttmp9, s3
	s_mov_b32 s8, 0
	v_lshl_or_b32 v0, s2, 9, v0
	s_add_nc_u64 s[2:3], s[0:1], 8
	s_wait_xcnt 0x0
	s_mov_b32 s0, exec_lo
	s_delay_alu instid0(VALU_DEP_1) | instskip(SKIP_2) | instid1(SALU_CYCLE_1)
	v_or_b32_e32 v9, 0x180, v0
	s_wait_kmcnt 0x0
	s_add_co_i32 s29, s28, -1
	s_cmp_gt_u32 s29, 1
	s_cselect_b32 s31, -1, 0
	v_cmpx_le_i32_e64 s36, v9
	s_xor_b32 s33, exec_lo, s0
	s_cbranch_execz .LBB95_1096
; %bb.1:
	v_mov_b32_e32 v1, 0
	s_clause 0x3
	s_load_b128 s[12:15], s[2:3], 0x4
	s_load_b64 s[18:19], s[2:3], 0x14
	s_load_b128 s[8:11], s[2:3], 0xc4
	s_load_b128 s[4:7], s[2:3], 0x148
	s_cmp_lg_u32 s28, 0
	s_mov_b32 s17, 0
	s_cselect_b32 s38, -1, 0
	global_load_u16 v1, v1, s[2:3] offset:345
	s_min_u32 s37, s29, 15
	s_cmp_gt_u32 s28, 1
	s_add_nc_u64 s[22:23], s[2:3], 0xc4
	s_cselect_b32 s35, -1, 0
	s_mov_b32 s21, s17
	s_mov_b32 s39, s17
	s_mov_b32 s40, exec_lo
	s_wait_kmcnt 0x0
	s_mov_b32 s16, s13
	s_mov_b32 s20, s18
	;; [unrolled: 1-line block ×3, first 2 shown]
	s_wait_loadcnt 0x0
	v_readfirstlane_b32 s34, v1
	s_and_b32 s0, 0xffff, s34
	s_delay_alu instid0(SALU_CYCLE_1)
	s_lshr_b32 s13, s0, 8
	v_cmpx_gt_i32_e64 s36, v0
	s_cbranch_execz .LBB95_267
; %bb.2:
	s_and_not1_b32 vcc_lo, exec_lo, s31
	s_cbranch_vccnz .LBB95_8
; %bb.3:
	s_and_not1_b32 vcc_lo, exec_lo, s38
	s_cbranch_vccnz .LBB95_9
; %bb.4:
	s_add_co_i32 s1, s37, 1
	s_cmp_eq_u32 s29, 2
	s_cbranch_scc1 .LBB95_10
; %bb.5:
	v_dual_mov_b32 v2, 0 :: v_dual_mov_b32 v4, 0
	v_mov_b32_e32 v1, v0
	s_and_b32 s0, s1, 28
	s_mov_b32 s18, 0
	s_mov_b64 s[24:25], s[2:3]
	s_mov_b64 s[26:27], s[22:23]
.LBB95_6:                               ; =>This Inner Loop Header: Depth=1
	s_clause 0x1
	s_load_b256 s[44:51], s[24:25], 0x4
	s_load_b128 s[60:63], s[24:25], 0x24
	s_load_b256 s[52:59], s[26:27], 0x0
	s_add_co_i32 s18, s18, 4
	s_wait_xcnt 0x0
	s_add_nc_u64 s[24:25], s[24:25], 48
	s_cmp_lg_u32 s0, s18
	s_add_nc_u64 s[26:27], s[26:27], 32
	s_wait_kmcnt 0x0
	v_mul_hi_u32 v3, s45, v1
	s_delay_alu instid0(VALU_DEP_1) | instskip(NEXT) | instid1(VALU_DEP_1)
	v_add_nc_u32_e32 v3, v1, v3
	v_lshrrev_b32_e32 v3, s46, v3
	s_delay_alu instid0(VALU_DEP_1) | instskip(NEXT) | instid1(VALU_DEP_1)
	v_mul_hi_u32 v5, s48, v3
	v_add_nc_u32_e32 v5, v3, v5
	s_delay_alu instid0(VALU_DEP_1) | instskip(NEXT) | instid1(VALU_DEP_1)
	v_lshrrev_b32_e32 v5, s49, v5
	v_mul_hi_u32 v6, s51, v5
	s_delay_alu instid0(VALU_DEP_1) | instskip(SKIP_1) | instid1(VALU_DEP_1)
	v_add_nc_u32_e32 v6, v5, v6
	v_mul_lo_u32 v7, v3, s44
	v_sub_nc_u32_e32 v1, v1, v7
	v_mul_lo_u32 v7, v5, s47
	s_delay_alu instid0(VALU_DEP_4) | instskip(NEXT) | instid1(VALU_DEP_3)
	v_lshrrev_b32_e32 v6, s60, v6
	v_mad_u32 v4, v1, s53, v4
	v_mad_u32 v1, v1, s52, v2
	s_delay_alu instid0(VALU_DEP_4) | instskip(NEXT) | instid1(VALU_DEP_4)
	v_sub_nc_u32_e32 v2, v3, v7
	v_mul_hi_u32 v8, s62, v6
	v_mul_lo_u32 v3, v6, s50
	s_delay_alu instid0(VALU_DEP_3) | instskip(SKIP_1) | instid1(VALU_DEP_3)
	v_mad_u32 v4, v2, s55, v4
	v_mad_u32 v2, v2, s54, v1
	v_dual_add_nc_u32 v7, v6, v8 :: v_dual_sub_nc_u32 v3, v5, v3
	s_delay_alu instid0(VALU_DEP_1) | instskip(NEXT) | instid1(VALU_DEP_2)
	v_lshrrev_b32_e32 v1, s63, v7
	v_mad_u32 v4, v3, s57, v4
	s_delay_alu instid0(VALU_DEP_4) | instskip(NEXT) | instid1(VALU_DEP_3)
	v_mad_u32 v2, v3, s56, v2
	v_mul_lo_u32 v5, v1, s61
	s_delay_alu instid0(VALU_DEP_1) | instskip(NEXT) | instid1(VALU_DEP_1)
	v_sub_nc_u32_e32 v3, v6, v5
	v_mad_u32 v4, v3, s59, v4
	s_delay_alu instid0(VALU_DEP_4)
	v_mad_u32 v2, v3, s58, v2
	s_cbranch_scc1 .LBB95_6
; %bb.7:
	s_delay_alu instid0(VALU_DEP_2)
	v_mov_b32_e32 v3, v4
	s_and_b32 s18, s1, 3
	s_mov_b32 s1, 0
	s_cmp_eq_u32 s18, 0
	s_cbranch_scc0 .LBB95_11
	s_branch .LBB95_14
.LBB95_8:
                                        ; implicit-def: $vgpr4
                                        ; implicit-def: $vgpr2
	s_branch .LBB95_15
.LBB95_9:
	v_dual_mov_b32 v4, 0 :: v_dual_mov_b32 v2, 0
	s_branch .LBB95_14
.LBB95_10:
	v_mov_b64_e32 v[2:3], 0
	v_mov_b32_e32 v1, v0
	s_mov_b32 s0, 0
                                        ; implicit-def: $vgpr4
	s_and_b32 s18, s1, 3
	s_mov_b32 s1, 0
	s_cmp_eq_u32 s18, 0
	s_cbranch_scc1 .LBB95_14
.LBB95_11:
	s_lshl_b32 s24, s0, 3
	s_mov_b32 s25, s1
	s_mul_u64 s[26:27], s[0:1], 12
	s_add_nc_u64 s[24:25], s[2:3], s[24:25]
	s_delay_alu instid0(SALU_CYCLE_1)
	s_add_nc_u64 s[0:1], s[24:25], 0xc4
	s_add_nc_u64 s[24:25], s[2:3], s[26:27]
.LBB95_12:                              ; =>This Inner Loop Header: Depth=1
	s_load_b96 s[44:46], s[24:25], 0x4
	s_load_b64 s[26:27], s[0:1], 0x0
	s_add_co_i32 s18, s18, -1
	s_wait_xcnt 0x0
	s_add_nc_u64 s[24:25], s[24:25], 12
	s_cmp_lg_u32 s18, 0
	s_add_nc_u64 s[0:1], s[0:1], 8
	s_wait_kmcnt 0x0
	v_mul_hi_u32 v4, s45, v1
	s_delay_alu instid0(VALU_DEP_1) | instskip(NEXT) | instid1(VALU_DEP_1)
	v_add_nc_u32_e32 v4, v1, v4
	v_lshrrev_b32_e32 v4, s46, v4
	s_delay_alu instid0(VALU_DEP_1) | instskip(NEXT) | instid1(VALU_DEP_1)
	v_mul_lo_u32 v5, v4, s44
	v_sub_nc_u32_e32 v1, v1, v5
	s_delay_alu instid0(VALU_DEP_1)
	v_mad_u32 v3, v1, s27, v3
	v_mad_u32 v2, v1, s26, v2
	v_mov_b32_e32 v1, v4
	s_cbranch_scc1 .LBB95_12
; %bb.13:
	s_delay_alu instid0(VALU_DEP_3)
	v_mov_b32_e32 v4, v3
.LBB95_14:
	s_cbranch_execnz .LBB95_17
.LBB95_15:
	v_mov_b32_e32 v1, 0
	s_and_not1_b32 vcc_lo, exec_lo, s35
	s_delay_alu instid0(VALU_DEP_1) | instskip(NEXT) | instid1(VALU_DEP_1)
	v_mul_u64_e32 v[2:3], s[16:17], v[0:1]
	v_add_nc_u32_e32 v2, v0, v3
	s_delay_alu instid0(VALU_DEP_1) | instskip(NEXT) | instid1(VALU_DEP_1)
	v_lshrrev_b32_e32 v6, s14, v2
	v_mul_lo_u32 v2, v6, s12
	s_delay_alu instid0(VALU_DEP_1) | instskip(NEXT) | instid1(VALU_DEP_1)
	v_sub_nc_u32_e32 v2, v0, v2
	v_mul_lo_u32 v4, v2, s9
	v_mul_lo_u32 v2, v2, s8
	s_cbranch_vccnz .LBB95_17
; %bb.16:
	v_mov_b32_e32 v7, v1
	s_delay_alu instid0(VALU_DEP_1) | instskip(NEXT) | instid1(VALU_DEP_1)
	v_mul_u64_e32 v[8:9], s[20:21], v[6:7]
	v_add_nc_u32_e32 v1, v6, v9
	s_delay_alu instid0(VALU_DEP_1) | instskip(NEXT) | instid1(VALU_DEP_1)
	v_lshrrev_b32_e32 v1, s19, v1
	v_mul_lo_u32 v1, v1, s15
	s_delay_alu instid0(VALU_DEP_1) | instskip(NEXT) | instid1(VALU_DEP_1)
	v_sub_nc_u32_e32 v1, v6, v1
	v_mad_u32 v2, v1, s10, v2
	v_mad_u32 v4, v1, s11, v4
.LBB95_17:
	v_mov_b32_e32 v5, 0
	s_and_b32 s0, 0xffff, s13
	s_delay_alu instid0(SALU_CYCLE_1) | instskip(NEXT) | instid1(VALU_DEP_1)
	s_cmp_lt_i32 s0, 11
	v_add_nc_u64_e32 v[4:5], s[6:7], v[4:5]
	s_cbranch_scc1 .LBB95_24
; %bb.18:
	s_cmp_gt_i32 s0, 25
	s_cbranch_scc0 .LBB95_33
; %bb.19:
	s_cmp_gt_i32 s0, 28
	s_cbranch_scc0 .LBB95_36
	;; [unrolled: 3-line block ×4, first 2 shown]
; %bb.22:
	s_cmp_eq_u32 s0, 46
	s_mov_b32 s18, 0
	s_cbranch_scc0 .LBB95_42
; %bb.23:
	global_load_b32 v1, v[4:5], off
	s_mov_b32 s1, -1
	s_mov_b32 s24, 0
	s_branch .LBB95_44
.LBB95_24:
	s_mov_b32 s24, 0
	s_mov_b32 s1, 0
                                        ; implicit-def: $vgpr1
	s_cbranch_execnz .LBB95_217
.LBB95_25:
	s_and_not1_b32 vcc_lo, exec_lo, s1
	s_cbranch_vccnz .LBB95_264
.LBB95_26:
	s_wait_loadcnt 0x0
	s_delay_alu instid0(VALU_DEP_1) | instskip(SKIP_1) | instid1(SALU_CYCLE_1)
	v_dual_mov_b32 v3, 0 :: v_dual_lshlrev_b32 v1, 16, v1
	s_and_b32 s18, s34, 0xff
	s_cmp_lt_i32 s18, 11
	s_delay_alu instid0(VALU_DEP_1) | instskip(NEXT) | instid1(VALU_DEP_2)
	v_add_nc_u64_e32 v[2:3], s[4:5], v[2:3]
	v_cmp_eq_f32_e64 s0, 0xff800000, v1
	s_cbranch_scc1 .LBB95_34
; %bb.27:
	s_and_b32 s25, 0xffff, s18
	s_delay_alu instid0(SALU_CYCLE_1)
	s_cmp_gt_i32 s25, 25
	s_cbranch_scc0 .LBB95_37
; %bb.28:
	s_cmp_gt_i32 s25, 28
	s_cbranch_scc0 .LBB95_39
; %bb.29:
	;; [unrolled: 3-line block ×4, first 2 shown]
	s_mov_b32 s27, 0
	s_mov_b32 s1, -1
	s_cmp_eq_u32 s25, 46
	s_mov_b32 s26, 0
	s_cbranch_scc0 .LBB95_48
; %bb.32:
	v_cndmask_b32_e64 v1, 0, 1.0, s0
	s_mov_b32 s26, -1
	s_mov_b32 s1, 0
	s_delay_alu instid0(VALU_DEP_1) | instskip(NEXT) | instid1(VALU_DEP_1)
	v_bfe_u32 v4, v1, 16, 1
	v_add3_u32 v1, v1, v4, 0x7fff
	s_delay_alu instid0(VALU_DEP_1)
	v_lshrrev_b32_e32 v1, 16, v1
	global_store_b32 v[2:3], v1, off
	s_branch .LBB95_48
.LBB95_33:
	s_mov_b32 s24, 0
	s_mov_b32 s1, 0
                                        ; implicit-def: $vgpr1
	s_cbranch_execnz .LBB95_182
	s_branch .LBB95_216
.LBB95_34:
	s_mov_b32 s1, 0
	s_mov_b32 s26, 0
	s_cbranch_execnz .LBB95_117
.LBB95_35:
	s_and_not1_b32 vcc_lo, exec_lo, s26
	s_cbranch_vccz .LBB95_155
	s_branch .LBB95_265
.LBB95_36:
	s_mov_b32 s18, -1
	s_mov_b32 s24, 0
	s_mov_b32 s1, 0
                                        ; implicit-def: $vgpr1
	s_branch .LBB95_163
.LBB95_37:
	s_mov_b32 s27, -1
	s_mov_b32 s1, 0
	s_mov_b32 s26, 0
	s_branch .LBB95_75
.LBB95_38:
	s_mov_b32 s18, -1
	s_mov_b32 s24, 0
	s_mov_b32 s1, 0
                                        ; implicit-def: $vgpr1
	s_branch .LBB95_158
.LBB95_39:
	s_mov_b32 s27, -1
	s_mov_b32 s1, 0
	s_mov_b32 s26, 0
	s_branch .LBB95_58
.LBB95_40:
	s_mov_b32 s18, -1
	s_mov_b32 s24, 0
	s_branch .LBB95_43
.LBB95_41:
	s_mov_b32 s27, -1
	s_mov_b32 s1, 0
	s_mov_b32 s26, 0
	s_branch .LBB95_54
.LBB95_42:
	s_mov_b32 s24, -1
.LBB95_43:
	s_mov_b32 s1, 0
                                        ; implicit-def: $vgpr1
.LBB95_44:
	s_and_b32 vcc_lo, exec_lo, s18
	s_cbranch_vccz .LBB95_157
; %bb.45:
	s_cmp_eq_u32 s0, 44
	s_cbranch_scc0 .LBB95_156
; %bb.46:
	s_wait_loadcnt 0x0
	global_load_u8 v1, v[4:5], off
	s_mov_b32 s24, 0
	s_mov_b32 s1, -1
	s_wait_loadcnt 0x0
	v_lshlrev_b32_e32 v3, 23, v1
	v_cmp_ne_u32_e32 vcc_lo, 0xff, v1
	s_delay_alu instid0(VALU_DEP_2) | instskip(SKIP_1) | instid1(VALU_DEP_2)
	v_cndmask_b32_e32 v3, 0x7f800001, v3, vcc_lo
	v_cmp_ne_u32_e32 vcc_lo, 0, v1
	v_cndmask_b32_e32 v1, 0x400000, v3, vcc_lo
	s_delay_alu instid0(VALU_DEP_1) | instskip(SKIP_1) | instid1(VALU_DEP_2)
	v_add_nc_u32_e32 v3, 0x7fff, v1
	v_cmp_o_f32_e32 vcc_lo, v1, v1
	v_lshrrev_b32_e32 v3, 16, v3
	s_delay_alu instid0(VALU_DEP_1)
	v_cndmask_b32_e32 v1, 0x7fc0, v3, vcc_lo
	s_branch .LBB95_157
.LBB95_47:
	s_mov_b32 s27, -1
	s_mov_b32 s1, 0
	s_mov_b32 s26, 0
.LBB95_48:
	s_and_b32 vcc_lo, exec_lo, s27
	s_cbranch_vccz .LBB95_53
; %bb.49:
	s_cmp_eq_u32 s25, 44
	s_mov_b32 s1, -1
	s_cbranch_scc0 .LBB95_53
; %bb.50:
	v_cndmask_b32_e64 v5, 0, 1.0, s0
	s_mov_b32 s26, exec_lo
	s_wait_xcnt 0x0
	s_delay_alu instid0(VALU_DEP_1) | instskip(NEXT) | instid1(VALU_DEP_1)
	v_dual_mov_b32 v4, 0xff :: v_dual_lshrrev_b32 v1, 23, v5
	v_cmpx_ne_u32_e32 0xff, v1
; %bb.51:
	v_and_b32_e32 v4, 0x400000, v5
	v_and_or_b32 v5, 0x3fffff, v5, v1
	s_delay_alu instid0(VALU_DEP_2) | instskip(NEXT) | instid1(VALU_DEP_2)
	v_cmp_ne_u32_e32 vcc_lo, 0, v4
	v_cmp_ne_u32_e64 s1, 0, v5
	s_and_b32 s1, vcc_lo, s1
	s_delay_alu instid0(SALU_CYCLE_1) | instskip(NEXT) | instid1(VALU_DEP_1)
	v_cndmask_b32_e64 v4, 0, 1, s1
	v_add_nc_u32_e32 v4, v1, v4
; %bb.52:
	s_or_b32 exec_lo, exec_lo, s26
	s_mov_b32 s26, -1
	s_mov_b32 s1, 0
	global_store_b8 v[2:3], v4, off
.LBB95_53:
	s_mov_b32 s27, 0
.LBB95_54:
	s_delay_alu instid0(SALU_CYCLE_1)
	s_and_b32 vcc_lo, exec_lo, s27
	s_cbranch_vccz .LBB95_57
; %bb.55:
	s_cmp_eq_u32 s25, 29
	s_mov_b32 s1, -1
	s_cbranch_scc0 .LBB95_57
; %bb.56:
	s_mov_b32 s1, 0
	s_wait_xcnt 0x0
	v_cndmask_b32_e64 v4, 0, 1, s0
	v_mov_b32_e32 v5, s1
	s_mov_b32 s26, -1
	s_mov_b32 s27, 0
	global_store_b64 v[2:3], v[4:5], off
	s_branch .LBB95_58
.LBB95_57:
	s_mov_b32 s27, 0
.LBB95_58:
	s_delay_alu instid0(SALU_CYCLE_1)
	s_and_b32 vcc_lo, exec_lo, s27
	s_cbranch_vccz .LBB95_74
; %bb.59:
	s_cmp_lt_i32 s25, 27
	s_mov_b32 s26, -1
	s_cbranch_scc1 .LBB95_65
; %bb.60:
	s_cmp_gt_i32 s25, 27
	s_cbranch_scc0 .LBB95_62
; %bb.61:
	s_wait_xcnt 0x0
	v_cndmask_b32_e64 v1, 0, 1, s0
	s_mov_b32 s26, 0
	global_store_b32 v[2:3], v1, off
.LBB95_62:
	s_and_not1_b32 vcc_lo, exec_lo, s26
	s_cbranch_vccnz .LBB95_64
; %bb.63:
	s_wait_xcnt 0x0
	v_cndmask_b32_e64 v1, 0, 1, s0
	global_store_b16 v[2:3], v1, off
.LBB95_64:
	s_mov_b32 s26, 0
.LBB95_65:
	s_delay_alu instid0(SALU_CYCLE_1)
	s_and_not1_b32 vcc_lo, exec_lo, s26
	s_cbranch_vccnz .LBB95_73
; %bb.66:
	s_wait_xcnt 0x0
	v_cndmask_b32_e64 v4, 0, 1.0, s0
	v_mov_b32_e32 v5, 0x80
	s_mov_b32 s26, exec_lo
	s_delay_alu instid0(VALU_DEP_2)
	v_cmpx_gt_u32_e32 0x43800000, v4
	s_cbranch_execz .LBB95_72
; %bb.67:
	s_mov_b32 s27, 0
	s_mov_b32 s39, exec_lo
                                        ; implicit-def: $vgpr1
	v_cmpx_lt_u32_e32 0x3bffffff, v4
	s_xor_b32 s39, exec_lo, s39
	s_cbranch_execz .LBB95_310
; %bb.68:
	v_bfe_u32 v1, v4, 20, 1
	s_mov_b32 s27, exec_lo
	s_delay_alu instid0(VALU_DEP_1) | instskip(NEXT) | instid1(VALU_DEP_1)
	v_add3_u32 v1, v4, v1, 0x487ffff
                                        ; implicit-def: $vgpr4
	v_lshrrev_b32_e32 v1, 20, v1
	s_and_not1_saveexec_b32 s39, s39
	s_cbranch_execnz .LBB95_311
.LBB95_69:
	s_or_b32 exec_lo, exec_lo, s39
	v_mov_b32_e32 v5, 0
	s_and_saveexec_b32 s39, s27
.LBB95_70:
	v_mov_b32_e32 v5, v1
.LBB95_71:
	s_or_b32 exec_lo, exec_lo, s39
.LBB95_72:
	s_delay_alu instid0(SALU_CYCLE_1)
	s_or_b32 exec_lo, exec_lo, s26
	global_store_b8 v[2:3], v5, off
.LBB95_73:
	s_mov_b32 s26, -1
.LBB95_74:
	s_mov_b32 s27, 0
.LBB95_75:
	s_delay_alu instid0(SALU_CYCLE_1)
	s_and_b32 vcc_lo, exec_lo, s27
	s_cbranch_vccz .LBB95_116
; %bb.76:
	s_cmp_gt_i32 s25, 22
	s_mov_b32 s27, -1
	s_cbranch_scc0 .LBB95_108
; %bb.77:
	s_cmp_lt_i32 s25, 24
	s_mov_b32 s26, -1
	s_cbranch_scc1 .LBB95_97
; %bb.78:
	s_cmp_gt_i32 s25, 24
	s_cbranch_scc0 .LBB95_86
; %bb.79:
	s_wait_xcnt 0x0
	v_cndmask_b32_e64 v4, 0, 1.0, s0
	v_mov_b32_e32 v5, 0x80
	s_mov_b32 s26, exec_lo
	s_delay_alu instid0(VALU_DEP_2)
	v_cmpx_gt_u32_e32 0x47800000, v4
	s_cbranch_execz .LBB95_85
; %bb.80:
	s_mov_b32 s27, 0
	s_mov_b32 s39, exec_lo
                                        ; implicit-def: $vgpr1
	v_cmpx_lt_u32_e32 0x37ffffff, v4
	s_xor_b32 s39, exec_lo, s39
	s_cbranch_execz .LBB95_314
; %bb.81:
	v_bfe_u32 v1, v4, 21, 1
	s_mov_b32 s27, exec_lo
	s_delay_alu instid0(VALU_DEP_1) | instskip(NEXT) | instid1(VALU_DEP_1)
	v_add3_u32 v1, v4, v1, 0x88fffff
                                        ; implicit-def: $vgpr4
	v_lshrrev_b32_e32 v1, 21, v1
	s_and_not1_saveexec_b32 s39, s39
	s_cbranch_execnz .LBB95_315
.LBB95_82:
	s_or_b32 exec_lo, exec_lo, s39
	v_mov_b32_e32 v5, 0
	s_and_saveexec_b32 s39, s27
.LBB95_83:
	v_mov_b32_e32 v5, v1
.LBB95_84:
	s_or_b32 exec_lo, exec_lo, s39
.LBB95_85:
	s_delay_alu instid0(SALU_CYCLE_1)
	s_or_b32 exec_lo, exec_lo, s26
	s_mov_b32 s26, 0
	global_store_b8 v[2:3], v5, off
.LBB95_86:
	s_and_b32 vcc_lo, exec_lo, s26
	s_cbranch_vccz .LBB95_96
; %bb.87:
	s_wait_xcnt 0x0
	v_cndmask_b32_e64 v4, 0, 1.0, s0
	s_mov_b32 s26, exec_lo
                                        ; implicit-def: $vgpr1
	s_delay_alu instid0(VALU_DEP_1)
	v_cmpx_gt_u32_e32 0x43f00000, v4
	s_xor_b32 s26, exec_lo, s26
	s_cbranch_execz .LBB95_93
; %bb.88:
	s_mov_b32 s27, exec_lo
                                        ; implicit-def: $vgpr1
	v_cmpx_lt_u32_e32 0x3c7fffff, v4
	s_xor_b32 s27, exec_lo, s27
; %bb.89:
	v_bfe_u32 v1, v4, 20, 1
	s_delay_alu instid0(VALU_DEP_1) | instskip(NEXT) | instid1(VALU_DEP_1)
	v_add3_u32 v1, v4, v1, 0x407ffff
	v_and_b32_e32 v4, 0xff00000, v1
	v_lshrrev_b32_e32 v1, 20, v1
	s_delay_alu instid0(VALU_DEP_2) | instskip(NEXT) | instid1(VALU_DEP_2)
	v_cmp_ne_u32_e32 vcc_lo, 0x7f00000, v4
                                        ; implicit-def: $vgpr4
	v_cndmask_b32_e32 v1, 0x7e, v1, vcc_lo
; %bb.90:
	s_and_not1_saveexec_b32 s27, s27
; %bb.91:
	v_add_f32_e32 v1, 0x46800000, v4
; %bb.92:
	s_or_b32 exec_lo, exec_lo, s27
                                        ; implicit-def: $vgpr4
.LBB95_93:
	s_and_not1_saveexec_b32 s26, s26
; %bb.94:
	v_mov_b32_e32 v1, 0x7f
	v_cmp_lt_u32_e32 vcc_lo, 0x7f800000, v4
	s_delay_alu instid0(VALU_DEP_2)
	v_cndmask_b32_e32 v1, 0x7e, v1, vcc_lo
; %bb.95:
	s_or_b32 exec_lo, exec_lo, s26
	global_store_b8 v[2:3], v1, off
.LBB95_96:
	s_mov_b32 s26, 0
.LBB95_97:
	s_delay_alu instid0(SALU_CYCLE_1)
	s_and_not1_b32 vcc_lo, exec_lo, s26
	s_cbranch_vccnz .LBB95_107
; %bb.98:
	s_wait_xcnt 0x0
	v_cndmask_b32_e64 v4, 0, 1.0, s0
	s_mov_b32 s26, exec_lo
                                        ; implicit-def: $vgpr1
	s_delay_alu instid0(VALU_DEP_1)
	v_cmpx_gt_u32_e32 0x47800000, v4
	s_xor_b32 s26, exec_lo, s26
	s_cbranch_execz .LBB95_104
; %bb.99:
	s_mov_b32 s27, exec_lo
                                        ; implicit-def: $vgpr1
	v_cmpx_lt_u32_e32 0x387fffff, v4
	s_xor_b32 s27, exec_lo, s27
; %bb.100:
	v_bfe_u32 v1, v4, 21, 1
	s_delay_alu instid0(VALU_DEP_1) | instskip(NEXT) | instid1(VALU_DEP_1)
	v_add3_u32 v1, v4, v1, 0x80fffff
                                        ; implicit-def: $vgpr4
	v_lshrrev_b32_e32 v1, 21, v1
; %bb.101:
	s_and_not1_saveexec_b32 s27, s27
; %bb.102:
	v_add_f32_e32 v1, 0x43000000, v4
; %bb.103:
	s_or_b32 exec_lo, exec_lo, s27
                                        ; implicit-def: $vgpr4
.LBB95_104:
	s_and_not1_saveexec_b32 s26, s26
; %bb.105:
	v_mov_b32_e32 v1, 0x7f
	v_cmp_lt_u32_e32 vcc_lo, 0x7f800000, v4
	s_delay_alu instid0(VALU_DEP_2)
	v_cndmask_b32_e32 v1, 0x7c, v1, vcc_lo
; %bb.106:
	s_or_b32 exec_lo, exec_lo, s26
	global_store_b8 v[2:3], v1, off
.LBB95_107:
	s_mov_b32 s27, 0
	s_mov_b32 s26, -1
.LBB95_108:
	s_and_not1_b32 vcc_lo, exec_lo, s27
	s_cbranch_vccnz .LBB95_116
; %bb.109:
	s_cmp_gt_i32 s25, 14
	s_mov_b32 s27, -1
	s_cbranch_scc0 .LBB95_113
; %bb.110:
	s_cmp_eq_u32 s25, 15
	s_mov_b32 s1, -1
	s_cbranch_scc0 .LBB95_112
; %bb.111:
	s_wait_xcnt 0x0
	v_cndmask_b32_e64 v1, 0, 1.0, s0
	s_mov_b32 s26, -1
	s_mov_b32 s1, 0
	s_delay_alu instid0(VALU_DEP_1) | instskip(NEXT) | instid1(VALU_DEP_1)
	v_bfe_u32 v4, v1, 16, 1
	v_add3_u32 v1, v1, v4, 0x7fff
	global_store_d16_hi_b16 v[2:3], v1, off
.LBB95_112:
	s_mov_b32 s27, 0
.LBB95_113:
	s_delay_alu instid0(SALU_CYCLE_1)
	s_and_b32 vcc_lo, exec_lo, s27
	s_cbranch_vccz .LBB95_116
; %bb.114:
	s_cmp_eq_u32 s25, 11
	s_mov_b32 s1, -1
	s_cbranch_scc0 .LBB95_116
; %bb.115:
	s_wait_xcnt 0x0
	v_cndmask_b32_e64 v1, 0, 1, s0
	s_mov_b32 s26, -1
	s_mov_b32 s1, 0
	global_store_b8 v[2:3], v1, off
.LBB95_116:
	s_branch .LBB95_35
.LBB95_117:
	s_and_b32 s18, 0xffff, s18
	s_mov_b32 s25, -1
	s_cmp_lt_i32 s18, 5
	s_cbranch_scc1 .LBB95_138
; %bb.118:
	s_cmp_lt_i32 s18, 8
	s_cbranch_scc1 .LBB95_128
; %bb.119:
	s_cmp_lt_i32 s18, 9
	s_cbranch_scc1 .LBB95_125
; %bb.120:
	s_cmp_gt_i32 s18, 9
	s_cbranch_scc0 .LBB95_122
; %bb.121:
	s_wait_xcnt 0x0
	v_cndmask_b32_e64 v1, 0, 1, s0
	v_mov_b32_e32 v6, 0
	s_mov_b32 s25, 0
	s_delay_alu instid0(VALU_DEP_2) | instskip(NEXT) | instid1(VALU_DEP_2)
	v_cvt_f64_u32_e32 v[4:5], v1
	v_mov_b32_e32 v7, v6
	global_store_b128 v[2:3], v[4:7], off
.LBB95_122:
	s_and_not1_b32 vcc_lo, exec_lo, s25
	s_cbranch_vccnz .LBB95_124
; %bb.123:
	s_wait_xcnt 0x0
	v_cndmask_b32_e64 v4, 0, 1.0, s0
	v_mov_b32_e32 v5, 0
	global_store_b64 v[2:3], v[4:5], off
.LBB95_124:
	s_mov_b32 s25, 0
.LBB95_125:
	s_delay_alu instid0(SALU_CYCLE_1)
	s_and_not1_b32 vcc_lo, exec_lo, s25
	s_cbranch_vccnz .LBB95_127
; %bb.126:
	s_wait_xcnt 0x0
	v_cndmask_b32_e64 v1, 0, 1.0, s0
	s_delay_alu instid0(VALU_DEP_1) | instskip(NEXT) | instid1(VALU_DEP_1)
	v_cvt_f16_f32_e32 v1, v1
	v_and_b32_e32 v1, 0xffff, v1
	global_store_b32 v[2:3], v1, off
.LBB95_127:
	s_mov_b32 s25, 0
.LBB95_128:
	s_delay_alu instid0(SALU_CYCLE_1)
	s_and_not1_b32 vcc_lo, exec_lo, s25
	s_cbranch_vccnz .LBB95_137
; %bb.129:
	s_cmp_lt_i32 s18, 6
	s_mov_b32 s25, -1
	s_cbranch_scc1 .LBB95_135
; %bb.130:
	s_cmp_gt_i32 s18, 6
	s_cbranch_scc0 .LBB95_132
; %bb.131:
	s_wait_xcnt 0x0
	v_cndmask_b32_e64 v1, 0, 1, s0
	s_mov_b32 s25, 0
	s_delay_alu instid0(VALU_DEP_1)
	v_cvt_f64_u32_e32 v[4:5], v1
	global_store_b64 v[2:3], v[4:5], off
.LBB95_132:
	s_and_not1_b32 vcc_lo, exec_lo, s25
	s_cbranch_vccnz .LBB95_134
; %bb.133:
	s_wait_xcnt 0x0
	v_cndmask_b32_e64 v1, 0, 1.0, s0
	global_store_b32 v[2:3], v1, off
.LBB95_134:
	s_mov_b32 s25, 0
.LBB95_135:
	s_delay_alu instid0(SALU_CYCLE_1)
	s_and_not1_b32 vcc_lo, exec_lo, s25
	s_cbranch_vccnz .LBB95_137
; %bb.136:
	s_wait_xcnt 0x0
	v_cndmask_b32_e64 v1, 0, 1.0, s0
	s_delay_alu instid0(VALU_DEP_1)
	v_cvt_f16_f32_e32 v1, v1
	global_store_b16 v[2:3], v1, off
.LBB95_137:
	s_mov_b32 s25, 0
.LBB95_138:
	s_delay_alu instid0(SALU_CYCLE_1)
	s_and_not1_b32 vcc_lo, exec_lo, s25
	s_cbranch_vccnz .LBB95_154
; %bb.139:
	s_cmp_lt_i32 s18, 2
	s_mov_b32 s25, -1
	s_cbranch_scc1 .LBB95_149
; %bb.140:
	s_cmp_lt_i32 s18, 3
	s_cbranch_scc1 .LBB95_146
; %bb.141:
	s_cmp_gt_i32 s18, 3
	s_cbranch_scc0 .LBB95_143
; %bb.142:
	s_mov_b32 s25, 0
	s_wait_xcnt 0x0
	v_cndmask_b32_e64 v4, 0, 1, s0
	v_mov_b32_e32 v5, s25
	global_store_b64 v[2:3], v[4:5], off
.LBB95_143:
	s_and_not1_b32 vcc_lo, exec_lo, s25
	s_cbranch_vccnz .LBB95_145
; %bb.144:
	s_wait_xcnt 0x0
	v_cndmask_b32_e64 v1, 0, 1, s0
	global_store_b32 v[2:3], v1, off
.LBB95_145:
	s_mov_b32 s25, 0
.LBB95_146:
	s_delay_alu instid0(SALU_CYCLE_1)
	s_and_not1_b32 vcc_lo, exec_lo, s25
	s_cbranch_vccnz .LBB95_148
; %bb.147:
	s_wait_xcnt 0x0
	v_cndmask_b32_e64 v1, 0, 1, s0
	global_store_b16 v[2:3], v1, off
.LBB95_148:
	s_mov_b32 s25, 0
.LBB95_149:
	s_delay_alu instid0(SALU_CYCLE_1)
	s_and_not1_b32 vcc_lo, exec_lo, s25
	s_cbranch_vccnz .LBB95_154
; %bb.150:
	s_cmp_gt_i32 s18, 0
	s_mov_b32 s18, -1
	s_cbranch_scc0 .LBB95_152
; %bb.151:
	s_wait_xcnt 0x0
	v_cndmask_b32_e64 v1, 0, 1, s0
	s_mov_b32 s18, 0
	global_store_b8 v[2:3], v1, off
.LBB95_152:
	s_and_not1_b32 vcc_lo, exec_lo, s18
	s_cbranch_vccnz .LBB95_154
; %bb.153:
	s_wait_xcnt 0x0
	v_cndmask_b32_e64 v1, 0, 1, s0
	global_store_b8 v[2:3], v1, off
.LBB95_154:
.LBB95_155:
	v_add_nc_u32_e32 v0, 0x80, v0
	s_mov_b32 s0, -1
	s_branch .LBB95_266
.LBB95_156:
	s_mov_b32 s24, -1
                                        ; implicit-def: $vgpr1
.LBB95_157:
	s_mov_b32 s18, 0
.LBB95_158:
	s_delay_alu instid0(SALU_CYCLE_1)
	s_and_b32 vcc_lo, exec_lo, s18
	s_cbranch_vccz .LBB95_162
; %bb.159:
	s_cmp_eq_u32 s0, 29
	s_cbranch_scc0 .LBB95_161
; %bb.160:
	global_load_b64 v[6:7], v[4:5], off
	s_mov_b32 s1, -1
	s_mov_b32 s24, 0
	s_mov_b32 s18, 0
	s_wait_loadcnt 0x0
	v_clz_i32_u32_e32 v1, v7
	s_delay_alu instid0(VALU_DEP_1) | instskip(NEXT) | instid1(VALU_DEP_1)
	v_min_u32_e32 v1, 32, v1
	v_lshlrev_b64_e32 v[6:7], v1, v[6:7]
	v_sub_nc_u32_e32 v1, 32, v1
	s_delay_alu instid0(VALU_DEP_2) | instskip(NEXT) | instid1(VALU_DEP_1)
	v_min_u32_e32 v3, 1, v6
	v_or_b32_e32 v3, v7, v3
	s_delay_alu instid0(VALU_DEP_1) | instskip(NEXT) | instid1(VALU_DEP_1)
	v_cvt_f32_u32_e32 v3, v3
	v_ldexp_f32 v1, v3, v1
	s_delay_alu instid0(VALU_DEP_1) | instskip(NEXT) | instid1(VALU_DEP_1)
	v_bfe_u32 v3, v1, 16, 1
	v_add3_u32 v1, v1, v3, 0x7fff
	s_delay_alu instid0(VALU_DEP_1)
	v_lshrrev_b32_e32 v1, 16, v1
	s_branch .LBB95_163
.LBB95_161:
	s_mov_b32 s24, -1
                                        ; implicit-def: $vgpr1
.LBB95_162:
	s_mov_b32 s18, 0
.LBB95_163:
	s_delay_alu instid0(SALU_CYCLE_1)
	s_and_b32 vcc_lo, exec_lo, s18
	s_cbranch_vccz .LBB95_181
; %bb.164:
	s_cmp_lt_i32 s0, 27
	s_cbranch_scc1 .LBB95_167
; %bb.165:
	s_cmp_gt_i32 s0, 27
	s_cbranch_scc0 .LBB95_168
; %bb.166:
	s_wait_loadcnt 0x0
	global_load_b32 v1, v[4:5], off
	s_mov_b32 s1, 0
	s_wait_loadcnt 0x0
	v_cvt_f32_u32_e32 v1, v1
	s_delay_alu instid0(VALU_DEP_1) | instskip(NEXT) | instid1(VALU_DEP_1)
	v_bfe_u32 v3, v1, 16, 1
	v_add3_u32 v1, v1, v3, 0x7fff
	s_delay_alu instid0(VALU_DEP_1)
	v_lshrrev_b32_e32 v1, 16, v1
	s_branch .LBB95_169
.LBB95_167:
	s_mov_b32 s1, -1
                                        ; implicit-def: $vgpr1
	s_branch .LBB95_172
.LBB95_168:
	s_mov_b32 s1, -1
                                        ; implicit-def: $vgpr1
.LBB95_169:
	s_delay_alu instid0(SALU_CYCLE_1)
	s_and_not1_b32 vcc_lo, exec_lo, s1
	s_cbranch_vccnz .LBB95_171
; %bb.170:
	s_wait_loadcnt 0x0
	global_load_u16 v1, v[4:5], off
	s_wait_loadcnt 0x0
	v_cvt_f32_u32_e32 v1, v1
	s_delay_alu instid0(VALU_DEP_1) | instskip(NEXT) | instid1(VALU_DEP_1)
	v_bfe_u32 v3, v1, 16, 1
	v_add3_u32 v1, v1, v3, 0x7fff
	s_delay_alu instid0(VALU_DEP_1)
	v_lshrrev_b32_e32 v1, 16, v1
.LBB95_171:
	s_mov_b32 s1, 0
.LBB95_172:
	s_delay_alu instid0(SALU_CYCLE_1)
	s_and_not1_b32 vcc_lo, exec_lo, s1
	s_cbranch_vccnz .LBB95_180
; %bb.173:
	s_wait_loadcnt 0x0
	global_load_u8 v1, v[4:5], off
	s_mov_b32 s1, 0
	s_mov_b32 s18, exec_lo
	s_wait_loadcnt 0x0
	v_cmpx_lt_i16_e32 0x7f, v1
	s_xor_b32 s18, exec_lo, s18
	s_cbranch_execz .LBB95_193
; %bb.174:
	s_mov_b32 s1, -1
	s_mov_b32 s25, exec_lo
	v_cmpx_eq_u16_e32 0x80, v1
; %bb.175:
	s_xor_b32 s1, exec_lo, -1
; %bb.176:
	s_or_b32 exec_lo, exec_lo, s25
	s_delay_alu instid0(SALU_CYCLE_1)
	s_and_b32 s1, s1, exec_lo
	s_or_saveexec_b32 s18, s18
	v_mov_b32_e32 v3, 0x7f800001
	s_xor_b32 exec_lo, exec_lo, s18
	s_cbranch_execnz .LBB95_194
.LBB95_177:
	s_or_b32 exec_lo, exec_lo, s18
	s_and_saveexec_b32 s18, s1
	s_cbranch_execz .LBB95_179
.LBB95_178:
	v_and_b32_e32 v3, 0xffff, v1
	s_delay_alu instid0(VALU_DEP_1) | instskip(SKIP_1) | instid1(VALU_DEP_2)
	v_dual_lshlrev_b32 v1, 24, v1 :: v_dual_bitop2_b32 v6, 7, v3 bitop3:0x40
	v_bfe_u32 v9, v3, 3, 4
	v_and_b32_e32 v1, 0x80000000, v1
	s_delay_alu instid0(VALU_DEP_3) | instskip(NEXT) | instid1(VALU_DEP_3)
	v_clz_i32_u32_e32 v7, v6
	v_cmp_eq_u32_e32 vcc_lo, 0, v9
	s_delay_alu instid0(VALU_DEP_2) | instskip(NEXT) | instid1(VALU_DEP_1)
	v_min_u32_e32 v7, 32, v7
	v_subrev_nc_u32_e32 v8, 28, v7
	v_sub_nc_u32_e32 v7, 29, v7
	s_delay_alu instid0(VALU_DEP_2) | instskip(NEXT) | instid1(VALU_DEP_2)
	v_lshlrev_b32_e32 v3, v8, v3
	v_cndmask_b32_e32 v7, v9, v7, vcc_lo
	s_delay_alu instid0(VALU_DEP_2) | instskip(NEXT) | instid1(VALU_DEP_1)
	v_and_b32_e32 v3, 7, v3
	v_cndmask_b32_e32 v3, v6, v3, vcc_lo
	s_delay_alu instid0(VALU_DEP_3) | instskip(NEXT) | instid1(VALU_DEP_2)
	v_lshl_add_u32 v6, v7, 23, 0x3b800000
	v_lshlrev_b32_e32 v3, 20, v3
	s_delay_alu instid0(VALU_DEP_1)
	v_or3_b32 v3, v1, v6, v3
.LBB95_179:
	s_or_b32 exec_lo, exec_lo, s18
	s_delay_alu instid0(VALU_DEP_1) | instskip(SKIP_1) | instid1(VALU_DEP_2)
	v_bfe_u32 v1, v3, 16, 1
	v_cmp_o_f32_e32 vcc_lo, v3, v3
	v_add3_u32 v1, v3, v1, 0x7fff
	s_delay_alu instid0(VALU_DEP_1) | instskip(NEXT) | instid1(VALU_DEP_1)
	v_lshrrev_b32_e32 v1, 16, v1
	v_cndmask_b32_e32 v1, 0x7fc0, v1, vcc_lo
.LBB95_180:
	s_mov_b32 s1, -1
.LBB95_181:
	s_branch .LBB95_216
.LBB95_182:
	s_cmp_gt_i32 s0, 22
	s_cbranch_scc0 .LBB95_192
; %bb.183:
	s_cmp_lt_i32 s0, 24
	s_cbranch_scc1 .LBB95_195
; %bb.184:
	s_cmp_gt_i32 s0, 24
	s_cbranch_scc0 .LBB95_196
; %bb.185:
	s_wait_loadcnt 0x0
	global_load_u8 v1, v[4:5], off
	s_mov_b32 s1, 0
	s_mov_b32 s18, exec_lo
	s_wait_loadcnt 0x0
	v_cmpx_lt_i16_e32 0x7f, v1
	s_xor_b32 s18, exec_lo, s18
	s_cbranch_execz .LBB95_208
; %bb.186:
	s_mov_b32 s1, -1
	s_mov_b32 s25, exec_lo
	v_cmpx_eq_u16_e32 0x80, v1
; %bb.187:
	s_xor_b32 s1, exec_lo, -1
; %bb.188:
	s_or_b32 exec_lo, exec_lo, s25
	s_delay_alu instid0(SALU_CYCLE_1)
	s_and_b32 s1, s1, exec_lo
	s_or_saveexec_b32 s18, s18
	v_mov_b32_e32 v3, 0x7f800001
	s_xor_b32 exec_lo, exec_lo, s18
	s_cbranch_execnz .LBB95_209
.LBB95_189:
	s_or_b32 exec_lo, exec_lo, s18
	s_and_saveexec_b32 s18, s1
	s_cbranch_execz .LBB95_191
.LBB95_190:
	v_and_b32_e32 v3, 0xffff, v1
	s_delay_alu instid0(VALU_DEP_1) | instskip(SKIP_1) | instid1(VALU_DEP_2)
	v_dual_lshlrev_b32 v1, 24, v1 :: v_dual_bitop2_b32 v6, 3, v3 bitop3:0x40
	v_bfe_u32 v9, v3, 2, 5
	v_and_b32_e32 v1, 0x80000000, v1
	s_delay_alu instid0(VALU_DEP_3) | instskip(NEXT) | instid1(VALU_DEP_3)
	v_clz_i32_u32_e32 v7, v6
	v_cmp_eq_u32_e32 vcc_lo, 0, v9
	s_delay_alu instid0(VALU_DEP_2) | instskip(NEXT) | instid1(VALU_DEP_1)
	v_min_u32_e32 v7, 32, v7
	v_subrev_nc_u32_e32 v8, 29, v7
	v_sub_nc_u32_e32 v7, 30, v7
	s_delay_alu instid0(VALU_DEP_2) | instskip(NEXT) | instid1(VALU_DEP_2)
	v_lshlrev_b32_e32 v3, v8, v3
	v_cndmask_b32_e32 v7, v9, v7, vcc_lo
	s_delay_alu instid0(VALU_DEP_2) | instskip(NEXT) | instid1(VALU_DEP_1)
	v_and_b32_e32 v3, 3, v3
	v_cndmask_b32_e32 v3, v6, v3, vcc_lo
	s_delay_alu instid0(VALU_DEP_3) | instskip(NEXT) | instid1(VALU_DEP_2)
	v_lshl_add_u32 v6, v7, 23, 0x37800000
	v_lshlrev_b32_e32 v3, 21, v3
	s_delay_alu instid0(VALU_DEP_1)
	v_or3_b32 v3, v1, v6, v3
.LBB95_191:
	s_or_b32 exec_lo, exec_lo, s18
	s_delay_alu instid0(VALU_DEP_1) | instskip(SKIP_2) | instid1(VALU_DEP_2)
	v_bfe_u32 v1, v3, 16, 1
	v_cmp_o_f32_e32 vcc_lo, v3, v3
	s_mov_b32 s1, 0
	v_add3_u32 v1, v3, v1, 0x7fff
	s_delay_alu instid0(VALU_DEP_1) | instskip(NEXT) | instid1(VALU_DEP_1)
	v_lshrrev_b32_e32 v1, 16, v1
	v_cndmask_b32_e32 v1, 0x7fc0, v1, vcc_lo
	s_branch .LBB95_197
.LBB95_192:
	s_mov_b32 s18, -1
                                        ; implicit-def: $vgpr1
	s_branch .LBB95_203
.LBB95_193:
	s_or_saveexec_b32 s18, s18
	v_mov_b32_e32 v3, 0x7f800001
	s_xor_b32 exec_lo, exec_lo, s18
	s_cbranch_execz .LBB95_177
.LBB95_194:
	v_cmp_ne_u16_e32 vcc_lo, 0, v1
	v_mov_b32_e32 v3, 0
	s_and_not1_b32 s1, s1, exec_lo
	s_and_b32 s25, vcc_lo, exec_lo
	s_delay_alu instid0(SALU_CYCLE_1)
	s_or_b32 s1, s1, s25
	s_or_b32 exec_lo, exec_lo, s18
	s_and_saveexec_b32 s18, s1
	s_cbranch_execnz .LBB95_178
	s_branch .LBB95_179
.LBB95_195:
	s_mov_b32 s1, -1
                                        ; implicit-def: $vgpr1
	s_branch .LBB95_200
.LBB95_196:
	s_mov_b32 s1, -1
                                        ; implicit-def: $vgpr1
.LBB95_197:
	s_delay_alu instid0(SALU_CYCLE_1)
	s_and_b32 vcc_lo, exec_lo, s1
	s_cbranch_vccz .LBB95_199
; %bb.198:
	s_wait_loadcnt 0x0
	global_load_u8 v1, v[4:5], off
	s_wait_loadcnt 0x0
	v_lshlrev_b32_e32 v1, 24, v1
	s_delay_alu instid0(VALU_DEP_1) | instskip(NEXT) | instid1(VALU_DEP_1)
	v_and_b32_e32 v3, 0x7f000000, v1
	v_clz_i32_u32_e32 v6, v3
	v_cmp_ne_u32_e32 vcc_lo, 0, v3
	v_add_nc_u32_e32 v8, 0x1000000, v3
	s_delay_alu instid0(VALU_DEP_3) | instskip(NEXT) | instid1(VALU_DEP_1)
	v_min_u32_e32 v6, 32, v6
	v_sub_nc_u32_e64 v6, v6, 4 clamp
	s_delay_alu instid0(VALU_DEP_1) | instskip(NEXT) | instid1(VALU_DEP_1)
	v_dual_lshlrev_b32 v7, v6, v3 :: v_dual_lshlrev_b32 v6, 23, v6
	v_lshrrev_b32_e32 v7, 4, v7
	s_delay_alu instid0(VALU_DEP_1) | instskip(NEXT) | instid1(VALU_DEP_1)
	v_dual_sub_nc_u32 v6, v7, v6 :: v_dual_ashrrev_i32 v7, 8, v8
	v_add_nc_u32_e32 v6, 0x3c000000, v6
	s_delay_alu instid0(VALU_DEP_1) | instskip(NEXT) | instid1(VALU_DEP_1)
	v_and_or_b32 v6, 0x7f800000, v7, v6
	v_cndmask_b32_e32 v3, 0, v6, vcc_lo
	s_delay_alu instid0(VALU_DEP_1) | instskip(SKIP_1) | instid1(VALU_DEP_2)
	v_and_or_b32 v1, 0x80000000, v1, v3
	v_bfe_u32 v3, v3, 16, 1
	v_cmp_o_f32_e32 vcc_lo, v1, v1
	s_delay_alu instid0(VALU_DEP_2) | instskip(NEXT) | instid1(VALU_DEP_1)
	v_add3_u32 v3, v1, v3, 0x7fff
	v_lshrrev_b32_e32 v3, 16, v3
	s_delay_alu instid0(VALU_DEP_1)
	v_cndmask_b32_e32 v1, 0x7fc0, v3, vcc_lo
.LBB95_199:
	s_mov_b32 s1, 0
.LBB95_200:
	s_delay_alu instid0(SALU_CYCLE_1)
	s_and_not1_b32 vcc_lo, exec_lo, s1
	s_cbranch_vccnz .LBB95_202
; %bb.201:
	s_wait_loadcnt 0x0
	global_load_u8 v1, v[4:5], off
	s_wait_loadcnt 0x0
	v_lshlrev_b32_e32 v3, 25, v1
	v_lshlrev_b16 v1, 8, v1
	s_delay_alu instid0(VALU_DEP_1) | instskip(SKIP_1) | instid1(VALU_DEP_2)
	v_and_or_b32 v7, 0x7f00, v1, 0.5
	v_bfe_i32 v1, v1, 0, 16
	v_add_f32_e32 v7, -0.5, v7
	v_lshrrev_b32_e32 v6, 4, v3
	v_cmp_gt_u32_e32 vcc_lo, 0x8000000, v3
	s_delay_alu instid0(VALU_DEP_2) | instskip(NEXT) | instid1(VALU_DEP_1)
	v_or_b32_e32 v6, 0x70000000, v6
	v_mul_f32_e32 v6, 0x7800000, v6
	s_delay_alu instid0(VALU_DEP_1) | instskip(NEXT) | instid1(VALU_DEP_1)
	v_cndmask_b32_e32 v3, v6, v7, vcc_lo
	v_and_or_b32 v1, 0x80000000, v1, v3
	v_bfe_u32 v3, v3, 16, 1
	s_delay_alu instid0(VALU_DEP_2) | instskip(NEXT) | instid1(VALU_DEP_2)
	v_cmp_o_f32_e32 vcc_lo, v1, v1
	v_add3_u32 v3, v1, v3, 0x7fff
	s_delay_alu instid0(VALU_DEP_1) | instskip(NEXT) | instid1(VALU_DEP_1)
	v_lshrrev_b32_e32 v3, 16, v3
	v_cndmask_b32_e32 v1, 0x7fc0, v3, vcc_lo
.LBB95_202:
	s_mov_b32 s18, 0
	s_mov_b32 s1, -1
.LBB95_203:
	s_and_not1_b32 vcc_lo, exec_lo, s18
	s_cbranch_vccnz .LBB95_216
; %bb.204:
	s_cmp_gt_i32 s0, 14
	s_cbranch_scc0 .LBB95_207
; %bb.205:
	s_cmp_eq_u32 s0, 15
	s_cbranch_scc0 .LBB95_210
; %bb.206:
	s_wait_loadcnt 0x0
	global_load_u16 v1, v[4:5], off
	s_mov_b32 s1, -1
	s_mov_b32 s24, 0
	s_branch .LBB95_211
.LBB95_207:
	s_mov_b32 s18, -1
                                        ; implicit-def: $vgpr1
	s_branch .LBB95_212
.LBB95_208:
	s_or_saveexec_b32 s18, s18
	v_mov_b32_e32 v3, 0x7f800001
	s_xor_b32 exec_lo, exec_lo, s18
	s_cbranch_execz .LBB95_189
.LBB95_209:
	v_cmp_ne_u16_e32 vcc_lo, 0, v1
	v_mov_b32_e32 v3, 0
	s_and_not1_b32 s1, s1, exec_lo
	s_and_b32 s25, vcc_lo, exec_lo
	s_delay_alu instid0(SALU_CYCLE_1)
	s_or_b32 s1, s1, s25
	s_or_b32 exec_lo, exec_lo, s18
	s_and_saveexec_b32 s18, s1
	s_cbranch_execnz .LBB95_190
	s_branch .LBB95_191
.LBB95_210:
	s_mov_b32 s24, -1
                                        ; implicit-def: $vgpr1
.LBB95_211:
	s_mov_b32 s18, 0
.LBB95_212:
	s_delay_alu instid0(SALU_CYCLE_1)
	s_and_b32 vcc_lo, exec_lo, s18
	s_cbranch_vccz .LBB95_216
; %bb.213:
	s_cmp_eq_u32 s0, 11
	s_cbranch_scc0 .LBB95_215
; %bb.214:
	s_wait_loadcnt 0x0
	global_load_u8 v1, v[4:5], off
	s_mov_b32 s24, 0
	s_mov_b32 s1, -1
	s_wait_loadcnt 0x0
	v_cmp_ne_u16_e32 vcc_lo, 0, v1
	v_cndmask_b32_e64 v1, 0, 1.0, vcc_lo
	s_delay_alu instid0(VALU_DEP_1)
	v_lshrrev_b32_e32 v1, 16, v1
	s_branch .LBB95_216
.LBB95_215:
	s_mov_b32 s24, -1
                                        ; implicit-def: $vgpr1
.LBB95_216:
	s_branch .LBB95_25
.LBB95_217:
	s_cmp_lt_i32 s0, 5
	s_cbranch_scc1 .LBB95_222
; %bb.218:
	s_cmp_lt_i32 s0, 8
	s_cbranch_scc1 .LBB95_223
; %bb.219:
	s_cmp_lt_i32 s0, 9
	s_cbranch_scc1 .LBB95_224
; %bb.220:
	s_cmp_gt_i32 s0, 9
	s_cbranch_scc0 .LBB95_225
; %bb.221:
	global_load_b64 v[6:7], v[4:5], off
	s_mov_b32 s1, 0
	s_wait_loadcnt 0x0
	v_cvt_f32_f64_e32 v1, v[6:7]
	s_delay_alu instid0(VALU_DEP_1) | instskip(SKIP_1) | instid1(VALU_DEP_2)
	v_bfe_u32 v3, v1, 16, 1
	v_cmp_o_f32_e32 vcc_lo, v1, v1
	v_add3_u32 v3, v1, v3, 0x7fff
	s_delay_alu instid0(VALU_DEP_1) | instskip(NEXT) | instid1(VALU_DEP_1)
	v_lshrrev_b32_e32 v3, 16, v3
	v_cndmask_b32_e32 v1, 0x7fc0, v3, vcc_lo
	s_branch .LBB95_226
.LBB95_222:
                                        ; implicit-def: $vgpr1
	s_branch .LBB95_244
.LBB95_223:
	s_mov_b32 s1, -1
                                        ; implicit-def: $vgpr1
	s_branch .LBB95_232
.LBB95_224:
	s_mov_b32 s1, -1
                                        ; implicit-def: $vgpr1
	s_branch .LBB95_229
.LBB95_225:
	s_mov_b32 s1, -1
                                        ; implicit-def: $vgpr1
.LBB95_226:
	s_delay_alu instid0(SALU_CYCLE_1)
	s_and_not1_b32 vcc_lo, exec_lo, s1
	s_cbranch_vccnz .LBB95_228
; %bb.227:
	s_wait_loadcnt 0x0
	global_load_b32 v1, v[4:5], off
	s_wait_loadcnt 0x0
	v_bfe_u32 v3, v1, 16, 1
	v_cmp_o_f32_e32 vcc_lo, v1, v1
	s_delay_alu instid0(VALU_DEP_2) | instskip(NEXT) | instid1(VALU_DEP_1)
	v_add3_u32 v3, v1, v3, 0x7fff
	v_lshrrev_b32_e32 v3, 16, v3
	s_delay_alu instid0(VALU_DEP_1)
	v_cndmask_b32_e32 v1, 0x7fc0, v3, vcc_lo
.LBB95_228:
	s_mov_b32 s1, 0
.LBB95_229:
	s_delay_alu instid0(SALU_CYCLE_1)
	s_and_not1_b32 vcc_lo, exec_lo, s1
	s_cbranch_vccnz .LBB95_231
; %bb.230:
	s_wait_loadcnt 0x0
	global_load_b32 v1, v[4:5], off
	s_wait_loadcnt 0x0
	v_cvt_f32_f16_e32 v3, v1
	v_cmp_o_f16_e32 vcc_lo, v1, v1
	s_delay_alu instid0(VALU_DEP_2) | instskip(NEXT) | instid1(VALU_DEP_1)
	v_bfe_u32 v6, v3, 16, 1
	v_add3_u32 v3, v3, v6, 0x7fff
	s_delay_alu instid0(VALU_DEP_1) | instskip(NEXT) | instid1(VALU_DEP_1)
	v_lshrrev_b32_e32 v3, 16, v3
	v_cndmask_b32_e32 v1, 0x7fc0, v3, vcc_lo
.LBB95_231:
	s_mov_b32 s1, 0
.LBB95_232:
	s_delay_alu instid0(SALU_CYCLE_1)
	s_and_not1_b32 vcc_lo, exec_lo, s1
	s_cbranch_vccnz .LBB95_243
; %bb.233:
	s_cmp_lt_i32 s0, 6
	s_cbranch_scc1 .LBB95_236
; %bb.234:
	s_cmp_gt_i32 s0, 6
	s_cbranch_scc0 .LBB95_237
; %bb.235:
	global_load_b64 v[6:7], v[4:5], off
	s_mov_b32 s1, 0
	s_wait_loadcnt 0x0
	v_cvt_f32_f64_e32 v1, v[6:7]
	s_delay_alu instid0(VALU_DEP_1) | instskip(SKIP_1) | instid1(VALU_DEP_2)
	v_bfe_u32 v3, v1, 16, 1
	v_cmp_o_f32_e32 vcc_lo, v1, v1
	v_add3_u32 v3, v1, v3, 0x7fff
	s_delay_alu instid0(VALU_DEP_1) | instskip(NEXT) | instid1(VALU_DEP_1)
	v_lshrrev_b32_e32 v3, 16, v3
	v_cndmask_b32_e32 v1, 0x7fc0, v3, vcc_lo
	s_branch .LBB95_238
.LBB95_236:
	s_mov_b32 s1, -1
                                        ; implicit-def: $vgpr1
	s_branch .LBB95_241
.LBB95_237:
	s_mov_b32 s1, -1
                                        ; implicit-def: $vgpr1
.LBB95_238:
	s_delay_alu instid0(SALU_CYCLE_1)
	s_and_not1_b32 vcc_lo, exec_lo, s1
	s_cbranch_vccnz .LBB95_240
; %bb.239:
	s_wait_loadcnt 0x0
	global_load_b32 v1, v[4:5], off
	s_wait_loadcnt 0x0
	v_bfe_u32 v3, v1, 16, 1
	v_cmp_o_f32_e32 vcc_lo, v1, v1
	s_delay_alu instid0(VALU_DEP_2) | instskip(NEXT) | instid1(VALU_DEP_1)
	v_add3_u32 v3, v1, v3, 0x7fff
	v_lshrrev_b32_e32 v3, 16, v3
	s_delay_alu instid0(VALU_DEP_1)
	v_cndmask_b32_e32 v1, 0x7fc0, v3, vcc_lo
.LBB95_240:
	s_mov_b32 s1, 0
.LBB95_241:
	s_delay_alu instid0(SALU_CYCLE_1)
	s_and_not1_b32 vcc_lo, exec_lo, s1
	s_cbranch_vccnz .LBB95_243
; %bb.242:
	s_wait_loadcnt 0x0
	global_load_u16 v1, v[4:5], off
	s_wait_loadcnt 0x0
	v_cvt_f32_f16_e32 v3, v1
	v_cmp_o_f16_e32 vcc_lo, v1, v1
	s_delay_alu instid0(VALU_DEP_2) | instskip(NEXT) | instid1(VALU_DEP_1)
	v_bfe_u32 v6, v3, 16, 1
	v_add3_u32 v3, v3, v6, 0x7fff
	s_delay_alu instid0(VALU_DEP_1) | instskip(NEXT) | instid1(VALU_DEP_1)
	v_lshrrev_b32_e32 v3, 16, v3
	v_cndmask_b32_e32 v1, 0x7fc0, v3, vcc_lo
.LBB95_243:
	s_cbranch_execnz .LBB95_263
.LBB95_244:
	s_cmp_lt_i32 s0, 2
	s_cbranch_scc1 .LBB95_248
; %bb.245:
	s_cmp_lt_i32 s0, 3
	s_cbranch_scc1 .LBB95_249
; %bb.246:
	s_cmp_gt_i32 s0, 3
	s_cbranch_scc0 .LBB95_250
; %bb.247:
	global_load_b64 v[6:7], v[4:5], off
	s_mov_b32 s1, 0
	s_wait_loadcnt 0x0
	v_xor_b32_e32 v1, v6, v7
	v_cls_i32_e32 v3, v7
	s_delay_alu instid0(VALU_DEP_2) | instskip(NEXT) | instid1(VALU_DEP_1)
	v_ashrrev_i32_e32 v1, 31, v1
	v_add_nc_u32_e32 v1, 32, v1
	s_delay_alu instid0(VALU_DEP_1) | instskip(NEXT) | instid1(VALU_DEP_1)
	v_add_min_u32_e64 v1, v3, -1, v1
	v_lshlrev_b64_e32 v[6:7], v1, v[6:7]
	v_sub_nc_u32_e32 v1, 32, v1
	s_delay_alu instid0(VALU_DEP_2) | instskip(NEXT) | instid1(VALU_DEP_1)
	v_min_u32_e32 v3, 1, v6
	v_or_b32_e32 v3, v7, v3
	s_delay_alu instid0(VALU_DEP_1) | instskip(NEXT) | instid1(VALU_DEP_1)
	v_cvt_f32_i32_e32 v3, v3
	v_ldexp_f32 v1, v3, v1
	s_delay_alu instid0(VALU_DEP_1) | instskip(NEXT) | instid1(VALU_DEP_1)
	v_bfe_u32 v3, v1, 16, 1
	v_add3_u32 v1, v1, v3, 0x7fff
	s_delay_alu instid0(VALU_DEP_1)
	v_lshrrev_b32_e32 v1, 16, v1
	s_branch .LBB95_251
.LBB95_248:
	s_mov_b32 s1, -1
                                        ; implicit-def: $vgpr1
	s_branch .LBB95_257
.LBB95_249:
	s_mov_b32 s1, -1
                                        ; implicit-def: $vgpr1
	s_branch .LBB95_254
.LBB95_250:
	s_mov_b32 s1, -1
                                        ; implicit-def: $vgpr1
.LBB95_251:
	s_delay_alu instid0(SALU_CYCLE_1)
	s_and_not1_b32 vcc_lo, exec_lo, s1
	s_cbranch_vccnz .LBB95_253
; %bb.252:
	s_wait_loadcnt 0x0
	global_load_b32 v1, v[4:5], off
	s_wait_loadcnt 0x0
	v_cvt_f32_i32_e32 v1, v1
	s_delay_alu instid0(VALU_DEP_1) | instskip(NEXT) | instid1(VALU_DEP_1)
	v_bfe_u32 v3, v1, 16, 1
	v_add3_u32 v1, v1, v3, 0x7fff
	s_delay_alu instid0(VALU_DEP_1)
	v_lshrrev_b32_e32 v1, 16, v1
.LBB95_253:
	s_mov_b32 s1, 0
.LBB95_254:
	s_delay_alu instid0(SALU_CYCLE_1)
	s_and_not1_b32 vcc_lo, exec_lo, s1
	s_cbranch_vccnz .LBB95_256
; %bb.255:
	s_wait_loadcnt 0x0
	global_load_i16 v1, v[4:5], off
	s_wait_loadcnt 0x0
	v_cvt_f32_i32_e32 v1, v1
	s_delay_alu instid0(VALU_DEP_1) | instskip(NEXT) | instid1(VALU_DEP_1)
	v_bfe_u32 v3, v1, 16, 1
	v_add3_u32 v1, v1, v3, 0x7fff
	s_delay_alu instid0(VALU_DEP_1)
	v_lshrrev_b32_e32 v1, 16, v1
.LBB95_256:
	s_mov_b32 s1, 0
.LBB95_257:
	s_delay_alu instid0(SALU_CYCLE_1)
	s_and_not1_b32 vcc_lo, exec_lo, s1
	s_cbranch_vccnz .LBB95_263
; %bb.258:
	s_cmp_gt_i32 s0, 0
	s_mov_b32 s0, 0
	s_cbranch_scc0 .LBB95_260
; %bb.259:
	s_wait_loadcnt 0x0
	global_load_i8 v1, v[4:5], off
	s_wait_loadcnt 0x0
	v_cvt_f32_i32_e32 v1, v1
	s_delay_alu instid0(VALU_DEP_1) | instskip(NEXT) | instid1(VALU_DEP_1)
	v_bfe_u32 v3, v1, 16, 1
	v_add3_u32 v1, v1, v3, 0x7fff
	s_delay_alu instid0(VALU_DEP_1)
	v_lshrrev_b32_e32 v1, 16, v1
	s_branch .LBB95_261
.LBB95_260:
	s_mov_b32 s0, -1
                                        ; implicit-def: $vgpr1
.LBB95_261:
	s_delay_alu instid0(SALU_CYCLE_1)
	s_and_not1_b32 vcc_lo, exec_lo, s0
	s_cbranch_vccnz .LBB95_263
; %bb.262:
	s_wait_loadcnt 0x0
	global_load_u8 v1, v[4:5], off
	s_wait_loadcnt 0x0
	v_cvt_f32_ubyte0_e32 v1, v1
	s_delay_alu instid0(VALU_DEP_1) | instskip(NEXT) | instid1(VALU_DEP_1)
	v_bfe_u32 v3, v1, 16, 1
	v_add3_u32 v1, v1, v3, 0x7fff
	s_delay_alu instid0(VALU_DEP_1)
	v_lshrrev_b32_e32 v1, 16, v1
.LBB95_263:
	s_branch .LBB95_26
.LBB95_264:
	s_mov_b32 s1, 0
.LBB95_265:
	s_mov_b32 s0, 0
                                        ; implicit-def: $vgpr0
.LBB95_266:
	s_and_b32 s18, s1, exec_lo
	s_and_b32 s39, s24, exec_lo
	s_or_not1_b32 s24, s0, exec_lo
.LBB95_267:
	s_wait_xcnt 0x0
	s_or_b32 exec_lo, exec_lo, s40
	s_mov_b32 s25, 0
	s_mov_b32 s0, 0
                                        ; implicit-def: $vgpr4_vgpr5
                                        ; implicit-def: $vgpr2
                                        ; implicit-def: $vgpr6
	s_and_saveexec_b32 s40, s24
	s_cbranch_execz .LBB95_275
; %bb.268:
	s_mov_b32 s0, -1
	s_mov_b32 s41, s39
	s_mov_b32 s42, s18
	s_mov_b32 s43, exec_lo
	v_cmpx_gt_i32_e64 s36, v0
	s_cbranch_execz .LBB95_546
; %bb.269:
	s_and_not1_b32 vcc_lo, exec_lo, s31
	s_cbranch_vccnz .LBB95_278
; %bb.270:
	s_and_not1_b32 vcc_lo, exec_lo, s38
	s_cbranch_vccnz .LBB95_279
; %bb.271:
	s_add_co_i32 s1, s37, 1
	s_cmp_eq_u32 s29, 2
	s_cbranch_scc1 .LBB95_280
; %bb.272:
	v_dual_mov_b32 v2, 0 :: v_dual_mov_b32 v4, 0
	s_wait_loadcnt 0x0
	v_mov_b32_e32 v1, v0
	s_and_b32 s0, s1, 28
	s_mov_b32 s41, 0
	s_mov_b64 s[24:25], s[2:3]
	s_mov_b64 s[26:27], s[22:23]
.LBB95_273:                             ; =>This Inner Loop Header: Depth=1
	s_clause 0x1
	s_load_b256 s[44:51], s[24:25], 0x4
	s_load_b128 s[60:63], s[24:25], 0x24
	s_load_b256 s[52:59], s[26:27], 0x0
	s_add_co_i32 s41, s41, 4
	s_wait_xcnt 0x0
	s_add_nc_u64 s[24:25], s[24:25], 48
	s_cmp_eq_u32 s0, s41
	s_add_nc_u64 s[26:27], s[26:27], 32
	s_wait_kmcnt 0x0
	v_mul_hi_u32 v3, s45, v1
	s_delay_alu instid0(VALU_DEP_1) | instskip(NEXT) | instid1(VALU_DEP_1)
	v_add_nc_u32_e32 v3, v1, v3
	v_lshrrev_b32_e32 v3, s46, v3
	s_delay_alu instid0(VALU_DEP_1) | instskip(NEXT) | instid1(VALU_DEP_1)
	v_mul_hi_u32 v5, s48, v3
	v_add_nc_u32_e32 v5, v3, v5
	s_delay_alu instid0(VALU_DEP_1) | instskip(NEXT) | instid1(VALU_DEP_1)
	v_lshrrev_b32_e32 v5, s49, v5
	v_mul_hi_u32 v6, s51, v5
	s_delay_alu instid0(VALU_DEP_1) | instskip(SKIP_1) | instid1(VALU_DEP_1)
	v_add_nc_u32_e32 v6, v5, v6
	v_mul_lo_u32 v7, v3, s44
	v_sub_nc_u32_e32 v1, v1, v7
	v_mul_lo_u32 v7, v5, s47
	s_delay_alu instid0(VALU_DEP_4) | instskip(NEXT) | instid1(VALU_DEP_3)
	v_lshrrev_b32_e32 v6, s60, v6
	v_mad_u32 v4, v1, s53, v4
	v_mad_u32 v1, v1, s52, v2
	s_delay_alu instid0(VALU_DEP_4) | instskip(NEXT) | instid1(VALU_DEP_4)
	v_sub_nc_u32_e32 v2, v3, v7
	v_mul_hi_u32 v8, s62, v6
	v_mul_lo_u32 v3, v6, s50
	s_delay_alu instid0(VALU_DEP_3) | instskip(SKIP_1) | instid1(VALU_DEP_3)
	v_mad_u32 v4, v2, s55, v4
	v_mad_u32 v2, v2, s54, v1
	v_dual_add_nc_u32 v7, v6, v8 :: v_dual_sub_nc_u32 v3, v5, v3
	s_delay_alu instid0(VALU_DEP_1) | instskip(NEXT) | instid1(VALU_DEP_2)
	v_lshrrev_b32_e32 v1, s63, v7
	v_mad_u32 v4, v3, s57, v4
	s_delay_alu instid0(VALU_DEP_4) | instskip(NEXT) | instid1(VALU_DEP_3)
	v_mad_u32 v2, v3, s56, v2
	v_mul_lo_u32 v5, v1, s61
	s_delay_alu instid0(VALU_DEP_1) | instskip(NEXT) | instid1(VALU_DEP_1)
	v_sub_nc_u32_e32 v3, v6, v5
	v_mad_u32 v4, v3, s59, v4
	s_delay_alu instid0(VALU_DEP_4)
	v_mad_u32 v2, v3, s58, v2
	s_cbranch_scc0 .LBB95_273
; %bb.274:
	s_delay_alu instid0(VALU_DEP_2)
	v_mov_b32_e32 v3, v4
	s_branch .LBB95_281
.LBB95_275:
	s_or_b32 exec_lo, exec_lo, s40
	s_mov_b32 s1, 0
	s_and_saveexec_b32 s6, s39
	s_cbranch_execnz .LBB95_928
.LBB95_276:
	s_or_b32 exec_lo, exec_lo, s6
	s_and_saveexec_b32 s6, s17
	s_delay_alu instid0(SALU_CYCLE_1)
	s_xor_b32 s6, exec_lo, s6
	s_cbranch_execz .LBB95_929
.LBB95_277:
	global_load_u8 v0, v[4:5], off
	s_or_b32 s0, s0, exec_lo
	s_wait_loadcnt 0x0
	v_cmp_ne_u16_e32 vcc_lo, 0, v0
	v_cndmask_b32_e64 v0, 0, 1.0, vcc_lo
	s_delay_alu instid0(VALU_DEP_1)
	v_lshrrev_b32_e32 v6, 16, v0
	s_wait_xcnt 0x0
	s_or_b32 exec_lo, exec_lo, s6
	s_and_saveexec_b32 s6, s25
	s_cbranch_execz .LBB95_975
	s_branch .LBB95_930
.LBB95_278:
                                        ; implicit-def: $vgpr4
                                        ; implicit-def: $vgpr2
	s_and_not1_b32 vcc_lo, exec_lo, s0
	s_cbranch_vccnz .LBB95_288
	s_branch .LBB95_286
.LBB95_279:
	v_dual_mov_b32 v4, 0 :: v_dual_mov_b32 v2, 0
	s_branch .LBB95_285
.LBB95_280:
	v_mov_b64_e32 v[2:3], 0
	s_wait_loadcnt 0x0
	v_mov_b32_e32 v1, v0
	s_mov_b32 s0, 0
                                        ; implicit-def: $vgpr4
.LBB95_281:
	s_and_b32 s26, s1, 3
	s_mov_b32 s1, 0
	s_cmp_eq_u32 s26, 0
	s_cbranch_scc1 .LBB95_285
; %bb.282:
	s_lshl_b32 s24, s0, 3
	s_mov_b32 s25, s1
	s_mul_u64 s[44:45], s[0:1], 12
	s_add_nc_u64 s[24:25], s[2:3], s[24:25]
	s_delay_alu instid0(SALU_CYCLE_1)
	s_add_nc_u64 s[0:1], s[24:25], 0xc4
	s_add_nc_u64 s[24:25], s[2:3], s[44:45]
.LBB95_283:                             ; =>This Inner Loop Header: Depth=1
	s_load_b96 s[44:46], s[24:25], 0x4
	s_add_co_i32 s26, s26, -1
	s_wait_xcnt 0x0
	s_add_nc_u64 s[24:25], s[24:25], 12
	s_cmp_lg_u32 s26, 0
	s_wait_kmcnt 0x0
	v_mul_hi_u32 v4, s45, v1
	s_delay_alu instid0(VALU_DEP_1) | instskip(NEXT) | instid1(VALU_DEP_1)
	v_add_nc_u32_e32 v4, v1, v4
	v_lshrrev_b32_e32 v4, s46, v4
	s_load_b64 s[46:47], s[0:1], 0x0
	s_wait_xcnt 0x0
	s_add_nc_u64 s[0:1], s[0:1], 8
	s_delay_alu instid0(VALU_DEP_1) | instskip(NEXT) | instid1(VALU_DEP_1)
	v_mul_lo_u32 v5, v4, s44
	v_sub_nc_u32_e32 v1, v1, v5
	s_wait_kmcnt 0x0
	s_delay_alu instid0(VALU_DEP_1)
	v_mad_u32 v3, v1, s47, v3
	v_mad_u32 v2, v1, s46, v2
	v_mov_b32_e32 v1, v4
	s_cbranch_scc1 .LBB95_283
; %bb.284:
	s_delay_alu instid0(VALU_DEP_3)
	v_mov_b32_e32 v4, v3
.LBB95_285:
	s_cbranch_execnz .LBB95_288
.LBB95_286:
	s_wait_loadcnt 0x0
	v_mov_b32_e32 v1, 0
	s_and_not1_b32 vcc_lo, exec_lo, s35
	s_delay_alu instid0(VALU_DEP_1) | instskip(NEXT) | instid1(VALU_DEP_1)
	v_mul_u64_e32 v[2:3], s[16:17], v[0:1]
	v_add_nc_u32_e32 v2, v0, v3
	s_delay_alu instid0(VALU_DEP_1) | instskip(NEXT) | instid1(VALU_DEP_1)
	v_lshrrev_b32_e32 v6, s14, v2
	v_mul_lo_u32 v2, v6, s12
	s_delay_alu instid0(VALU_DEP_1) | instskip(NEXT) | instid1(VALU_DEP_1)
	v_sub_nc_u32_e32 v2, v0, v2
	v_mul_lo_u32 v4, v2, s9
	v_mul_lo_u32 v2, v2, s8
	s_cbranch_vccnz .LBB95_288
; %bb.287:
	v_mov_b32_e32 v7, v1
	s_delay_alu instid0(VALU_DEP_1) | instskip(NEXT) | instid1(VALU_DEP_1)
	v_mul_u64_e32 v[8:9], s[20:21], v[6:7]
	v_add_nc_u32_e32 v1, v6, v9
	s_delay_alu instid0(VALU_DEP_1) | instskip(NEXT) | instid1(VALU_DEP_1)
	v_lshrrev_b32_e32 v1, s19, v1
	v_mul_lo_u32 v1, v1, s15
	s_delay_alu instid0(VALU_DEP_1) | instskip(NEXT) | instid1(VALU_DEP_1)
	v_sub_nc_u32_e32 v1, v6, v1
	v_mad_u32 v2, v1, s10, v2
	v_mad_u32 v4, v1, s11, v4
.LBB95_288:
	v_mov_b32_e32 v5, 0
	s_and_b32 s0, 0xffff, s13
	s_delay_alu instid0(SALU_CYCLE_1) | instskip(NEXT) | instid1(VALU_DEP_1)
	s_cmp_lt_i32 s0, 11
	v_add_nc_u64_e32 v[4:5], s[6:7], v[4:5]
	s_cbranch_scc1 .LBB95_295
; %bb.289:
	s_cmp_gt_i32 s0, 25
	s_cbranch_scc0 .LBB95_304
; %bb.290:
	s_cmp_gt_i32 s0, 28
	s_cbranch_scc0 .LBB95_306
	;; [unrolled: 3-line block ×4, first 2 shown]
; %bb.293:
	s_cmp_eq_u32 s0, 46
	s_mov_b32 s25, 0
	s_cbranch_scc0 .LBB95_316
; %bb.294:
	s_wait_loadcnt 0x0
	global_load_b32 v1, v[4:5], off
	s_mov_b32 s1, -1
	s_mov_b32 s24, 0
	s_branch .LBB95_318
.LBB95_295:
	s_mov_b32 s1, 0
	s_mov_b32 s24, s39
                                        ; implicit-def: $vgpr1
	s_cbranch_execnz .LBB95_495
.LBB95_296:
	s_and_not1_b32 vcc_lo, exec_lo, s1
	s_cbranch_vccnz .LBB95_543
.LBB95_297:
	s_wait_loadcnt 0x0
	s_delay_alu instid0(VALU_DEP_1) | instskip(SKIP_1) | instid1(SALU_CYCLE_1)
	v_dual_mov_b32 v3, 0 :: v_dual_lshlrev_b32 v1, 16, v1
	s_and_b32 s25, s34, 0xff
	s_cmp_lt_i32 s25, 11
	s_delay_alu instid0(VALU_DEP_1) | instskip(NEXT) | instid1(VALU_DEP_2)
	v_add_nc_u64_e32 v[2:3], s[4:5], v[2:3]
	v_cmp_eq_f32_e64 s0, 0xff800000, v1
	s_cbranch_scc1 .LBB95_305
; %bb.298:
	s_and_b32 s26, 0xffff, s25
	s_delay_alu instid0(SALU_CYCLE_1)
	s_cmp_gt_i32 s26, 25
	s_cbranch_scc0 .LBB95_307
; %bb.299:
	s_cmp_gt_i32 s26, 28
	s_cbranch_scc0 .LBB95_309
; %bb.300:
	;; [unrolled: 3-line block ×4, first 2 shown]
	s_mov_b32 s41, 0
	s_mov_b32 s1, -1
	s_cmp_eq_u32 s26, 46
	s_mov_b32 s27, 0
	s_cbranch_scc0 .LBB95_322
; %bb.303:
	v_cndmask_b32_e64 v1, 0, 1.0, s0
	s_mov_b32 s27, -1
	s_mov_b32 s1, 0
	s_wait_xcnt 0x0
	s_delay_alu instid0(VALU_DEP_1) | instskip(NEXT) | instid1(VALU_DEP_1)
	v_bfe_u32 v4, v1, 16, 1
	v_add3_u32 v1, v1, v4, 0x7fff
	s_delay_alu instid0(VALU_DEP_1)
	v_lshrrev_b32_e32 v1, 16, v1
	global_store_b32 v[2:3], v1, off
	s_branch .LBB95_322
.LBB95_304:
	s_mov_b32 s25, -1
	s_mov_b32 s1, 0
	s_mov_b32 s24, s39
                                        ; implicit-def: $vgpr1
	s_branch .LBB95_459
.LBB95_305:
	s_mov_b32 s26, -1
	s_mov_b32 s27, 0
	s_mov_b32 s1, s18
	s_branch .LBB95_391
.LBB95_306:
	s_mov_b32 s25, -1
	s_mov_b32 s1, 0
	s_mov_b32 s24, s39
                                        ; implicit-def: $vgpr1
	s_branch .LBB95_440
.LBB95_307:
	s_mov_b32 s41, -1
	s_mov_b32 s27, 0
	s_mov_b32 s1, s18
	s_branch .LBB95_349
.LBB95_308:
	s_mov_b32 s25, -1
	s_mov_b32 s1, 0
	s_mov_b32 s24, s39
                                        ; implicit-def: $vgpr1
	s_branch .LBB95_435
.LBB95_309:
	s_mov_b32 s41, -1
	s_mov_b32 s27, 0
	s_mov_b32 s1, s18
	s_branch .LBB95_332
.LBB95_310:
	s_and_not1_saveexec_b32 s39, s39
	s_cbranch_execz .LBB95_69
.LBB95_311:
	v_add_f32_e32 v1, 0x46000000, v4
	s_and_not1_b32 s27, s27, exec_lo
	s_delay_alu instid0(VALU_DEP_1) | instskip(NEXT) | instid1(VALU_DEP_1)
	v_and_b32_e32 v1, 0xff, v1
	v_cmp_ne_u32_e32 vcc_lo, 0, v1
	s_and_b32 s41, vcc_lo, exec_lo
	s_delay_alu instid0(SALU_CYCLE_1)
	s_or_b32 s27, s27, s41
	s_or_b32 exec_lo, exec_lo, s39
	v_mov_b32_e32 v5, 0
	s_and_saveexec_b32 s39, s27
	s_cbranch_execnz .LBB95_70
	s_branch .LBB95_71
.LBB95_312:
	s_mov_b32 s25, -1
	s_mov_b32 s1, 0
	s_mov_b32 s24, s39
	s_branch .LBB95_317
.LBB95_313:
	s_mov_b32 s41, -1
	s_mov_b32 s27, 0
	s_mov_b32 s1, s18
	s_branch .LBB95_328
.LBB95_314:
	s_and_not1_saveexec_b32 s39, s39
	s_cbranch_execz .LBB95_82
.LBB95_315:
	v_add_f32_e32 v1, 0x42800000, v4
	s_and_not1_b32 s27, s27, exec_lo
	s_delay_alu instid0(VALU_DEP_1) | instskip(NEXT) | instid1(VALU_DEP_1)
	v_and_b32_e32 v1, 0xff, v1
	v_cmp_ne_u32_e32 vcc_lo, 0, v1
	s_and_b32 s41, vcc_lo, exec_lo
	s_delay_alu instid0(SALU_CYCLE_1)
	s_or_b32 s27, s27, s41
	s_or_b32 exec_lo, exec_lo, s39
	v_mov_b32_e32 v5, 0
	s_and_saveexec_b32 s39, s27
	s_cbranch_execnz .LBB95_83
	s_branch .LBB95_84
.LBB95_316:
	s_mov_b32 s24, -1
	s_mov_b32 s1, 0
.LBB95_317:
                                        ; implicit-def: $vgpr1
.LBB95_318:
	s_and_b32 vcc_lo, exec_lo, s25
	s_cbranch_vccz .LBB95_434
; %bb.319:
	s_cmp_eq_u32 s0, 44
	s_cbranch_scc0 .LBB95_433
; %bb.320:
	s_wait_loadcnt 0x0
	global_load_u8 v1, v[4:5], off
	s_mov_b32 s24, 0
	s_mov_b32 s1, -1
	s_wait_loadcnt 0x0
	v_lshlrev_b32_e32 v3, 23, v1
	v_cmp_ne_u32_e32 vcc_lo, 0xff, v1
	s_delay_alu instid0(VALU_DEP_2) | instskip(SKIP_1) | instid1(VALU_DEP_2)
	v_cndmask_b32_e32 v3, 0x7f800001, v3, vcc_lo
	v_cmp_ne_u32_e32 vcc_lo, 0, v1
	v_cndmask_b32_e32 v1, 0x400000, v3, vcc_lo
	s_delay_alu instid0(VALU_DEP_1) | instskip(SKIP_1) | instid1(VALU_DEP_2)
	v_add_nc_u32_e32 v3, 0x7fff, v1
	v_cmp_o_f32_e32 vcc_lo, v1, v1
	v_lshrrev_b32_e32 v3, 16, v3
	s_delay_alu instid0(VALU_DEP_1)
	v_cndmask_b32_e32 v1, 0x7fc0, v3, vcc_lo
	s_branch .LBB95_434
.LBB95_321:
	s_mov_b32 s41, -1
	s_mov_b32 s27, 0
	s_mov_b32 s1, s18
.LBB95_322:
	s_and_b32 vcc_lo, exec_lo, s41
	s_cbranch_vccz .LBB95_327
; %bb.323:
	s_cmp_eq_u32 s26, 44
	s_mov_b32 s1, -1
	s_cbranch_scc0 .LBB95_327
; %bb.324:
	s_wait_xcnt 0x0
	v_cndmask_b32_e64 v5, 0, 1.0, s0
	s_mov_b32 s27, exec_lo
	s_delay_alu instid0(VALU_DEP_1) | instskip(NEXT) | instid1(VALU_DEP_1)
	v_dual_mov_b32 v4, 0xff :: v_dual_lshrrev_b32 v1, 23, v5
	v_cmpx_ne_u32_e32 0xff, v1
; %bb.325:
	v_and_b32_e32 v4, 0x400000, v5
	v_and_or_b32 v5, 0x3fffff, v5, v1
	s_delay_alu instid0(VALU_DEP_2) | instskip(NEXT) | instid1(VALU_DEP_2)
	v_cmp_ne_u32_e32 vcc_lo, 0, v4
	v_cmp_ne_u32_e64 s1, 0, v5
	s_and_b32 s1, vcc_lo, s1
	s_delay_alu instid0(SALU_CYCLE_1) | instskip(NEXT) | instid1(VALU_DEP_1)
	v_cndmask_b32_e64 v4, 0, 1, s1
	v_add_nc_u32_e32 v4, v1, v4
; %bb.326:
	s_or_b32 exec_lo, exec_lo, s27
	s_mov_b32 s27, -1
	s_mov_b32 s1, 0
	global_store_b8 v[2:3], v4, off
.LBB95_327:
	s_mov_b32 s41, 0
.LBB95_328:
	s_delay_alu instid0(SALU_CYCLE_1)
	s_and_b32 vcc_lo, exec_lo, s41
	s_cbranch_vccz .LBB95_331
; %bb.329:
	s_cmp_eq_u32 s26, 29
	s_mov_b32 s1, -1
	s_cbranch_scc0 .LBB95_331
; %bb.330:
	s_mov_b32 s1, 0
	s_wait_xcnt 0x0
	v_cndmask_b32_e64 v4, 0, 1, s0
	v_mov_b32_e32 v5, s1
	s_mov_b32 s27, -1
	s_mov_b32 s41, 0
	global_store_b64 v[2:3], v[4:5], off
	s_branch .LBB95_332
.LBB95_331:
	s_mov_b32 s41, 0
.LBB95_332:
	s_delay_alu instid0(SALU_CYCLE_1)
	s_and_b32 vcc_lo, exec_lo, s41
	s_cbranch_vccz .LBB95_348
; %bb.333:
	s_cmp_lt_i32 s26, 27
	s_mov_b32 s27, -1
	s_cbranch_scc1 .LBB95_339
; %bb.334:
	s_cmp_gt_i32 s26, 27
	s_cbranch_scc0 .LBB95_336
; %bb.335:
	s_wait_xcnt 0x0
	v_cndmask_b32_e64 v1, 0, 1, s0
	s_mov_b32 s27, 0
	global_store_b32 v[2:3], v1, off
.LBB95_336:
	s_and_not1_b32 vcc_lo, exec_lo, s27
	s_cbranch_vccnz .LBB95_338
; %bb.337:
	s_wait_xcnt 0x0
	v_cndmask_b32_e64 v1, 0, 1, s0
	global_store_b16 v[2:3], v1, off
.LBB95_338:
	s_mov_b32 s27, 0
.LBB95_339:
	s_delay_alu instid0(SALU_CYCLE_1)
	s_and_not1_b32 vcc_lo, exec_lo, s27
	s_cbranch_vccnz .LBB95_347
; %bb.340:
	s_wait_xcnt 0x0
	v_cndmask_b32_e64 v4, 0, 1.0, s0
	v_mov_b32_e32 v5, 0x80
	s_mov_b32 s27, exec_lo
	s_delay_alu instid0(VALU_DEP_2)
	v_cmpx_gt_u32_e32 0x43800000, v4
	s_cbranch_execz .LBB95_346
; %bb.341:
	s_mov_b32 s41, 0
	s_mov_b32 s42, exec_lo
                                        ; implicit-def: $vgpr1
	v_cmpx_lt_u32_e32 0x3bffffff, v4
	s_xor_b32 s42, exec_lo, s42
	s_cbranch_execz .LBB95_576
; %bb.342:
	v_bfe_u32 v1, v4, 20, 1
	s_mov_b32 s41, exec_lo
	s_delay_alu instid0(VALU_DEP_1) | instskip(NEXT) | instid1(VALU_DEP_1)
	v_add3_u32 v1, v4, v1, 0x487ffff
                                        ; implicit-def: $vgpr4
	v_lshrrev_b32_e32 v1, 20, v1
	s_and_not1_saveexec_b32 s42, s42
	s_cbranch_execnz .LBB95_577
.LBB95_343:
	s_or_b32 exec_lo, exec_lo, s42
	v_mov_b32_e32 v5, 0
	s_and_saveexec_b32 s42, s41
.LBB95_344:
	v_mov_b32_e32 v5, v1
.LBB95_345:
	s_or_b32 exec_lo, exec_lo, s42
.LBB95_346:
	s_delay_alu instid0(SALU_CYCLE_1)
	s_or_b32 exec_lo, exec_lo, s27
	global_store_b8 v[2:3], v5, off
.LBB95_347:
	s_mov_b32 s27, -1
.LBB95_348:
	s_mov_b32 s41, 0
.LBB95_349:
	s_delay_alu instid0(SALU_CYCLE_1)
	s_and_b32 vcc_lo, exec_lo, s41
	s_cbranch_vccz .LBB95_390
; %bb.350:
	s_cmp_gt_i32 s26, 22
	s_mov_b32 s41, -1
	s_cbranch_scc0 .LBB95_382
; %bb.351:
	s_cmp_lt_i32 s26, 24
	s_mov_b32 s27, -1
	s_cbranch_scc1 .LBB95_371
; %bb.352:
	s_cmp_gt_i32 s26, 24
	s_cbranch_scc0 .LBB95_360
; %bb.353:
	s_wait_xcnt 0x0
	v_cndmask_b32_e64 v4, 0, 1.0, s0
	v_mov_b32_e32 v5, 0x80
	s_mov_b32 s27, exec_lo
	s_delay_alu instid0(VALU_DEP_2)
	v_cmpx_gt_u32_e32 0x47800000, v4
	s_cbranch_execz .LBB95_359
; %bb.354:
	s_mov_b32 s41, 0
	s_mov_b32 s42, exec_lo
                                        ; implicit-def: $vgpr1
	v_cmpx_lt_u32_e32 0x37ffffff, v4
	s_xor_b32 s42, exec_lo, s42
	s_cbranch_execz .LBB95_579
; %bb.355:
	v_bfe_u32 v1, v4, 21, 1
	s_mov_b32 s41, exec_lo
	s_delay_alu instid0(VALU_DEP_1) | instskip(NEXT) | instid1(VALU_DEP_1)
	v_add3_u32 v1, v4, v1, 0x88fffff
                                        ; implicit-def: $vgpr4
	v_lshrrev_b32_e32 v1, 21, v1
	s_and_not1_saveexec_b32 s42, s42
	s_cbranch_execnz .LBB95_580
.LBB95_356:
	s_or_b32 exec_lo, exec_lo, s42
	v_mov_b32_e32 v5, 0
	s_and_saveexec_b32 s42, s41
.LBB95_357:
	v_mov_b32_e32 v5, v1
.LBB95_358:
	s_or_b32 exec_lo, exec_lo, s42
.LBB95_359:
	s_delay_alu instid0(SALU_CYCLE_1)
	s_or_b32 exec_lo, exec_lo, s27
	s_mov_b32 s27, 0
	global_store_b8 v[2:3], v5, off
.LBB95_360:
	s_and_b32 vcc_lo, exec_lo, s27
	s_cbranch_vccz .LBB95_370
; %bb.361:
	s_wait_xcnt 0x0
	v_cndmask_b32_e64 v4, 0, 1.0, s0
	s_mov_b32 s27, exec_lo
                                        ; implicit-def: $vgpr1
	s_delay_alu instid0(VALU_DEP_1)
	v_cmpx_gt_u32_e32 0x43f00000, v4
	s_xor_b32 s27, exec_lo, s27
	s_cbranch_execz .LBB95_367
; %bb.362:
	s_mov_b32 s41, exec_lo
                                        ; implicit-def: $vgpr1
	v_cmpx_lt_u32_e32 0x3c7fffff, v4
	s_xor_b32 s41, exec_lo, s41
; %bb.363:
	v_bfe_u32 v1, v4, 20, 1
	s_delay_alu instid0(VALU_DEP_1) | instskip(NEXT) | instid1(VALU_DEP_1)
	v_add3_u32 v1, v4, v1, 0x407ffff
	v_and_b32_e32 v4, 0xff00000, v1
	v_lshrrev_b32_e32 v1, 20, v1
	s_delay_alu instid0(VALU_DEP_2) | instskip(NEXT) | instid1(VALU_DEP_2)
	v_cmp_ne_u32_e32 vcc_lo, 0x7f00000, v4
                                        ; implicit-def: $vgpr4
	v_cndmask_b32_e32 v1, 0x7e, v1, vcc_lo
; %bb.364:
	s_and_not1_saveexec_b32 s41, s41
; %bb.365:
	v_add_f32_e32 v1, 0x46800000, v4
; %bb.366:
	s_or_b32 exec_lo, exec_lo, s41
                                        ; implicit-def: $vgpr4
.LBB95_367:
	s_and_not1_saveexec_b32 s27, s27
; %bb.368:
	v_mov_b32_e32 v1, 0x7f
	v_cmp_lt_u32_e32 vcc_lo, 0x7f800000, v4
	s_delay_alu instid0(VALU_DEP_2)
	v_cndmask_b32_e32 v1, 0x7e, v1, vcc_lo
; %bb.369:
	s_or_b32 exec_lo, exec_lo, s27
	global_store_b8 v[2:3], v1, off
.LBB95_370:
	s_mov_b32 s27, 0
.LBB95_371:
	s_delay_alu instid0(SALU_CYCLE_1)
	s_and_not1_b32 vcc_lo, exec_lo, s27
	s_cbranch_vccnz .LBB95_381
; %bb.372:
	s_wait_xcnt 0x0
	v_cndmask_b32_e64 v4, 0, 1.0, s0
	s_mov_b32 s27, exec_lo
                                        ; implicit-def: $vgpr1
	s_delay_alu instid0(VALU_DEP_1)
	v_cmpx_gt_u32_e32 0x47800000, v4
	s_xor_b32 s27, exec_lo, s27
	s_cbranch_execz .LBB95_378
; %bb.373:
	s_mov_b32 s41, exec_lo
                                        ; implicit-def: $vgpr1
	v_cmpx_lt_u32_e32 0x387fffff, v4
	s_xor_b32 s41, exec_lo, s41
; %bb.374:
	v_bfe_u32 v1, v4, 21, 1
	s_delay_alu instid0(VALU_DEP_1) | instskip(NEXT) | instid1(VALU_DEP_1)
	v_add3_u32 v1, v4, v1, 0x80fffff
                                        ; implicit-def: $vgpr4
	v_lshrrev_b32_e32 v1, 21, v1
; %bb.375:
	s_and_not1_saveexec_b32 s41, s41
; %bb.376:
	v_add_f32_e32 v1, 0x43000000, v4
; %bb.377:
	s_or_b32 exec_lo, exec_lo, s41
                                        ; implicit-def: $vgpr4
.LBB95_378:
	s_and_not1_saveexec_b32 s27, s27
; %bb.379:
	v_mov_b32_e32 v1, 0x7f
	v_cmp_lt_u32_e32 vcc_lo, 0x7f800000, v4
	s_delay_alu instid0(VALU_DEP_2)
	v_cndmask_b32_e32 v1, 0x7c, v1, vcc_lo
; %bb.380:
	s_or_b32 exec_lo, exec_lo, s27
	global_store_b8 v[2:3], v1, off
.LBB95_381:
	s_mov_b32 s41, 0
	s_mov_b32 s27, -1
.LBB95_382:
	s_and_not1_b32 vcc_lo, exec_lo, s41
	s_cbranch_vccnz .LBB95_390
; %bb.383:
	s_cmp_gt_i32 s26, 14
	s_mov_b32 s41, -1
	s_cbranch_scc0 .LBB95_387
; %bb.384:
	s_cmp_eq_u32 s26, 15
	s_mov_b32 s1, -1
	s_cbranch_scc0 .LBB95_386
; %bb.385:
	s_wait_xcnt 0x0
	v_cndmask_b32_e64 v1, 0, 1.0, s0
	s_mov_b32 s27, -1
	s_mov_b32 s1, 0
	s_delay_alu instid0(VALU_DEP_1) | instskip(NEXT) | instid1(VALU_DEP_1)
	v_bfe_u32 v4, v1, 16, 1
	v_add3_u32 v1, v1, v4, 0x7fff
	global_store_d16_hi_b16 v[2:3], v1, off
.LBB95_386:
	s_mov_b32 s41, 0
.LBB95_387:
	s_delay_alu instid0(SALU_CYCLE_1)
	s_and_b32 vcc_lo, exec_lo, s41
	s_cbranch_vccz .LBB95_390
; %bb.388:
	s_cmp_eq_u32 s26, 11
	s_mov_b32 s1, -1
	s_cbranch_scc0 .LBB95_390
; %bb.389:
	s_wait_xcnt 0x0
	v_cndmask_b32_e64 v1, 0, 1, s0
	s_mov_b32 s27, -1
	s_mov_b32 s1, 0
	global_store_b8 v[2:3], v1, off
.LBB95_390:
	s_mov_b32 s26, 0
.LBB95_391:
	s_delay_alu instid0(SALU_CYCLE_1)
	s_and_b32 vcc_lo, exec_lo, s26
	s_cbranch_vccz .LBB95_430
; %bb.392:
	s_and_b32 s25, 0xffff, s25
	s_mov_b32 s26, -1
	s_cmp_lt_i32 s25, 5
	s_cbranch_scc1 .LBB95_413
; %bb.393:
	s_cmp_lt_i32 s25, 8
	s_cbranch_scc1 .LBB95_403
; %bb.394:
	;; [unrolled: 3-line block ×3, first 2 shown]
	s_cmp_gt_i32 s25, 9
	s_cbranch_scc0 .LBB95_397
; %bb.396:
	s_wait_xcnt 0x0
	v_cndmask_b32_e64 v1, 0, 1, s0
	v_mov_b32_e32 v6, 0
	s_mov_b32 s26, 0
	s_delay_alu instid0(VALU_DEP_2) | instskip(NEXT) | instid1(VALU_DEP_2)
	v_cvt_f64_u32_e32 v[4:5], v1
	v_mov_b32_e32 v7, v6
	global_store_b128 v[2:3], v[4:7], off
.LBB95_397:
	s_and_not1_b32 vcc_lo, exec_lo, s26
	s_cbranch_vccnz .LBB95_399
; %bb.398:
	s_wait_xcnt 0x0
	v_cndmask_b32_e64 v4, 0, 1.0, s0
	v_mov_b32_e32 v5, 0
	global_store_b64 v[2:3], v[4:5], off
.LBB95_399:
	s_mov_b32 s26, 0
.LBB95_400:
	s_delay_alu instid0(SALU_CYCLE_1)
	s_and_not1_b32 vcc_lo, exec_lo, s26
	s_cbranch_vccnz .LBB95_402
; %bb.401:
	s_wait_xcnt 0x0
	v_cndmask_b32_e64 v1, 0, 1.0, s0
	s_delay_alu instid0(VALU_DEP_1) | instskip(NEXT) | instid1(VALU_DEP_1)
	v_cvt_f16_f32_e32 v1, v1
	v_and_b32_e32 v1, 0xffff, v1
	global_store_b32 v[2:3], v1, off
.LBB95_402:
	s_mov_b32 s26, 0
.LBB95_403:
	s_delay_alu instid0(SALU_CYCLE_1)
	s_and_not1_b32 vcc_lo, exec_lo, s26
	s_cbranch_vccnz .LBB95_412
; %bb.404:
	s_cmp_lt_i32 s25, 6
	s_mov_b32 s26, -1
	s_cbranch_scc1 .LBB95_410
; %bb.405:
	s_cmp_gt_i32 s25, 6
	s_cbranch_scc0 .LBB95_407
; %bb.406:
	s_wait_xcnt 0x0
	v_cndmask_b32_e64 v1, 0, 1, s0
	s_mov_b32 s26, 0
	s_delay_alu instid0(VALU_DEP_1)
	v_cvt_f64_u32_e32 v[4:5], v1
	global_store_b64 v[2:3], v[4:5], off
.LBB95_407:
	s_and_not1_b32 vcc_lo, exec_lo, s26
	s_cbranch_vccnz .LBB95_409
; %bb.408:
	s_wait_xcnt 0x0
	v_cndmask_b32_e64 v1, 0, 1.0, s0
	global_store_b32 v[2:3], v1, off
.LBB95_409:
	s_mov_b32 s26, 0
.LBB95_410:
	s_delay_alu instid0(SALU_CYCLE_1)
	s_and_not1_b32 vcc_lo, exec_lo, s26
	s_cbranch_vccnz .LBB95_412
; %bb.411:
	s_wait_xcnt 0x0
	v_cndmask_b32_e64 v1, 0, 1.0, s0
	s_delay_alu instid0(VALU_DEP_1)
	v_cvt_f16_f32_e32 v1, v1
	global_store_b16 v[2:3], v1, off
.LBB95_412:
	s_mov_b32 s26, 0
.LBB95_413:
	s_delay_alu instid0(SALU_CYCLE_1)
	s_and_not1_b32 vcc_lo, exec_lo, s26
	s_cbranch_vccnz .LBB95_429
; %bb.414:
	s_cmp_lt_i32 s25, 2
	s_mov_b32 s26, -1
	s_cbranch_scc1 .LBB95_424
; %bb.415:
	s_cmp_lt_i32 s25, 3
	s_cbranch_scc1 .LBB95_421
; %bb.416:
	s_cmp_gt_i32 s25, 3
	s_cbranch_scc0 .LBB95_418
; %bb.417:
	s_mov_b32 s26, 0
	s_wait_xcnt 0x0
	v_cndmask_b32_e64 v4, 0, 1, s0
	v_mov_b32_e32 v5, s26
	global_store_b64 v[2:3], v[4:5], off
.LBB95_418:
	s_and_not1_b32 vcc_lo, exec_lo, s26
	s_cbranch_vccnz .LBB95_420
; %bb.419:
	s_wait_xcnt 0x0
	v_cndmask_b32_e64 v1, 0, 1, s0
	global_store_b32 v[2:3], v1, off
.LBB95_420:
	s_mov_b32 s26, 0
.LBB95_421:
	s_delay_alu instid0(SALU_CYCLE_1)
	s_and_not1_b32 vcc_lo, exec_lo, s26
	s_cbranch_vccnz .LBB95_423
; %bb.422:
	s_wait_xcnt 0x0
	v_cndmask_b32_e64 v1, 0, 1, s0
	global_store_b16 v[2:3], v1, off
.LBB95_423:
	s_mov_b32 s26, 0
.LBB95_424:
	s_delay_alu instid0(SALU_CYCLE_1)
	s_and_not1_b32 vcc_lo, exec_lo, s26
	s_cbranch_vccnz .LBB95_429
; %bb.425:
	s_wait_xcnt 0x0
	v_cndmask_b32_e64 v1, 0, 1, s0
	s_cmp_gt_i32 s25, 0
	s_mov_b32 s0, -1
	s_cbranch_scc0 .LBB95_427
; %bb.426:
	s_mov_b32 s0, 0
	global_store_b8 v[2:3], v1, off
.LBB95_427:
	s_and_not1_b32 vcc_lo, exec_lo, s0
	s_cbranch_vccnz .LBB95_429
; %bb.428:
	global_store_b8 v[2:3], v1, off
.LBB95_429:
	s_mov_b32 s27, -1
.LBB95_430:
	s_delay_alu instid0(SALU_CYCLE_1)
	s_and_not1_b32 vcc_lo, exec_lo, s27
	s_cbranch_vccnz .LBB95_432
; %bb.431:
	v_add_nc_u32_e32 v0, 0x80, v0
	s_mov_b32 s0, -1
	s_branch .LBB95_545
.LBB95_432:
	s_mov_b32 s0, 0
	s_branch .LBB95_544
.LBB95_433:
	s_mov_b32 s24, -1
                                        ; implicit-def: $vgpr1
.LBB95_434:
	s_mov_b32 s25, 0
.LBB95_435:
	s_delay_alu instid0(SALU_CYCLE_1)
	s_and_b32 vcc_lo, exec_lo, s25
	s_cbranch_vccz .LBB95_439
; %bb.436:
	s_cmp_eq_u32 s0, 29
	s_cbranch_scc0 .LBB95_438
; %bb.437:
	global_load_b64 v[6:7], v[4:5], off
	s_mov_b32 s1, -1
	s_mov_b32 s24, 0
	s_mov_b32 s25, 0
	s_wait_loadcnt 0x0
	v_clz_i32_u32_e32 v1, v7
	s_delay_alu instid0(VALU_DEP_1) | instskip(NEXT) | instid1(VALU_DEP_1)
	v_min_u32_e32 v1, 32, v1
	v_lshlrev_b64_e32 v[6:7], v1, v[6:7]
	v_sub_nc_u32_e32 v1, 32, v1
	s_delay_alu instid0(VALU_DEP_2) | instskip(NEXT) | instid1(VALU_DEP_1)
	v_min_u32_e32 v3, 1, v6
	v_or_b32_e32 v3, v7, v3
	s_delay_alu instid0(VALU_DEP_1) | instskip(NEXT) | instid1(VALU_DEP_1)
	v_cvt_f32_u32_e32 v3, v3
	v_ldexp_f32 v1, v3, v1
	s_delay_alu instid0(VALU_DEP_1) | instskip(NEXT) | instid1(VALU_DEP_1)
	v_bfe_u32 v3, v1, 16, 1
	v_add3_u32 v1, v1, v3, 0x7fff
	s_delay_alu instid0(VALU_DEP_1)
	v_lshrrev_b32_e32 v1, 16, v1
	s_branch .LBB95_440
.LBB95_438:
	s_mov_b32 s24, -1
                                        ; implicit-def: $vgpr1
.LBB95_439:
	s_mov_b32 s25, 0
.LBB95_440:
	s_delay_alu instid0(SALU_CYCLE_1)
	s_and_b32 vcc_lo, exec_lo, s25
	s_cbranch_vccz .LBB95_458
; %bb.441:
	s_cmp_lt_i32 s0, 27
	s_cbranch_scc1 .LBB95_444
; %bb.442:
	s_cmp_gt_i32 s0, 27
	s_cbranch_scc0 .LBB95_445
; %bb.443:
	s_wait_loadcnt 0x0
	global_load_b32 v1, v[4:5], off
	s_mov_b32 s1, 0
	s_wait_loadcnt 0x0
	v_cvt_f32_u32_e32 v1, v1
	s_delay_alu instid0(VALU_DEP_1) | instskip(NEXT) | instid1(VALU_DEP_1)
	v_bfe_u32 v3, v1, 16, 1
	v_add3_u32 v1, v1, v3, 0x7fff
	s_delay_alu instid0(VALU_DEP_1)
	v_lshrrev_b32_e32 v1, 16, v1
	s_branch .LBB95_446
.LBB95_444:
	s_mov_b32 s1, -1
                                        ; implicit-def: $vgpr1
	s_branch .LBB95_449
.LBB95_445:
	s_mov_b32 s1, -1
                                        ; implicit-def: $vgpr1
.LBB95_446:
	s_delay_alu instid0(SALU_CYCLE_1)
	s_and_not1_b32 vcc_lo, exec_lo, s1
	s_cbranch_vccnz .LBB95_448
; %bb.447:
	s_wait_loadcnt 0x0
	global_load_u16 v1, v[4:5], off
	s_wait_loadcnt 0x0
	v_cvt_f32_u32_e32 v1, v1
	s_delay_alu instid0(VALU_DEP_1) | instskip(NEXT) | instid1(VALU_DEP_1)
	v_bfe_u32 v3, v1, 16, 1
	v_add3_u32 v1, v1, v3, 0x7fff
	s_delay_alu instid0(VALU_DEP_1)
	v_lshrrev_b32_e32 v1, 16, v1
.LBB95_448:
	s_mov_b32 s1, 0
.LBB95_449:
	s_delay_alu instid0(SALU_CYCLE_1)
	s_and_not1_b32 vcc_lo, exec_lo, s1
	s_cbranch_vccnz .LBB95_457
; %bb.450:
	s_wait_loadcnt 0x0
	global_load_u8 v1, v[4:5], off
	s_mov_b32 s1, 0
	s_mov_b32 s25, exec_lo
	s_wait_loadcnt 0x0
	v_cmpx_lt_i16_e32 0x7f, v1
	s_xor_b32 s25, exec_lo, s25
	s_cbranch_execz .LBB95_471
; %bb.451:
	s_mov_b32 s1, -1
	s_mov_b32 s26, exec_lo
	v_cmpx_eq_u16_e32 0x80, v1
; %bb.452:
	s_xor_b32 s1, exec_lo, -1
; %bb.453:
	s_or_b32 exec_lo, exec_lo, s26
	s_delay_alu instid0(SALU_CYCLE_1)
	s_and_b32 s1, s1, exec_lo
	s_or_saveexec_b32 s25, s25
	v_mov_b32_e32 v3, 0x7f800001
	s_xor_b32 exec_lo, exec_lo, s25
	s_cbranch_execnz .LBB95_472
.LBB95_454:
	s_or_b32 exec_lo, exec_lo, s25
	s_and_saveexec_b32 s25, s1
	s_cbranch_execz .LBB95_456
.LBB95_455:
	v_and_b32_e32 v3, 0xffff, v1
	s_delay_alu instid0(VALU_DEP_1) | instskip(SKIP_1) | instid1(VALU_DEP_2)
	v_dual_lshlrev_b32 v1, 24, v1 :: v_dual_bitop2_b32 v6, 7, v3 bitop3:0x40
	v_bfe_u32 v9, v3, 3, 4
	v_and_b32_e32 v1, 0x80000000, v1
	s_delay_alu instid0(VALU_DEP_3) | instskip(NEXT) | instid1(VALU_DEP_3)
	v_clz_i32_u32_e32 v7, v6
	v_cmp_eq_u32_e32 vcc_lo, 0, v9
	s_delay_alu instid0(VALU_DEP_2) | instskip(NEXT) | instid1(VALU_DEP_1)
	v_min_u32_e32 v7, 32, v7
	v_subrev_nc_u32_e32 v8, 28, v7
	v_sub_nc_u32_e32 v7, 29, v7
	s_delay_alu instid0(VALU_DEP_2) | instskip(NEXT) | instid1(VALU_DEP_2)
	v_lshlrev_b32_e32 v3, v8, v3
	v_cndmask_b32_e32 v7, v9, v7, vcc_lo
	s_delay_alu instid0(VALU_DEP_2) | instskip(NEXT) | instid1(VALU_DEP_1)
	v_and_b32_e32 v3, 7, v3
	v_cndmask_b32_e32 v3, v6, v3, vcc_lo
	s_delay_alu instid0(VALU_DEP_3) | instskip(NEXT) | instid1(VALU_DEP_2)
	v_lshl_add_u32 v6, v7, 23, 0x3b800000
	v_lshlrev_b32_e32 v3, 20, v3
	s_delay_alu instid0(VALU_DEP_1)
	v_or3_b32 v3, v1, v6, v3
.LBB95_456:
	s_or_b32 exec_lo, exec_lo, s25
	s_delay_alu instid0(VALU_DEP_1) | instskip(SKIP_1) | instid1(VALU_DEP_2)
	v_bfe_u32 v1, v3, 16, 1
	v_cmp_o_f32_e32 vcc_lo, v3, v3
	v_add3_u32 v1, v3, v1, 0x7fff
	s_delay_alu instid0(VALU_DEP_1) | instskip(NEXT) | instid1(VALU_DEP_1)
	v_lshrrev_b32_e32 v1, 16, v1
	v_cndmask_b32_e32 v1, 0x7fc0, v1, vcc_lo
.LBB95_457:
	s_mov_b32 s1, -1
.LBB95_458:
	s_mov_b32 s25, 0
.LBB95_459:
	s_delay_alu instid0(SALU_CYCLE_1)
	s_and_b32 vcc_lo, exec_lo, s25
	s_cbranch_vccz .LBB95_494
; %bb.460:
	s_cmp_gt_i32 s0, 22
	s_cbranch_scc0 .LBB95_470
; %bb.461:
	s_cmp_lt_i32 s0, 24
	s_cbranch_scc1 .LBB95_473
; %bb.462:
	s_cmp_gt_i32 s0, 24
	s_cbranch_scc0 .LBB95_474
; %bb.463:
	s_wait_loadcnt 0x0
	global_load_u8 v1, v[4:5], off
	s_mov_b32 s1, 0
	s_mov_b32 s25, exec_lo
	s_wait_loadcnt 0x0
	v_cmpx_lt_i16_e32 0x7f, v1
	s_xor_b32 s25, exec_lo, s25
	s_cbranch_execz .LBB95_486
; %bb.464:
	s_mov_b32 s1, -1
	s_mov_b32 s26, exec_lo
	v_cmpx_eq_u16_e32 0x80, v1
; %bb.465:
	s_xor_b32 s1, exec_lo, -1
; %bb.466:
	s_or_b32 exec_lo, exec_lo, s26
	s_delay_alu instid0(SALU_CYCLE_1)
	s_and_b32 s1, s1, exec_lo
	s_or_saveexec_b32 s25, s25
	v_mov_b32_e32 v3, 0x7f800001
	s_xor_b32 exec_lo, exec_lo, s25
	s_cbranch_execnz .LBB95_487
.LBB95_467:
	s_or_b32 exec_lo, exec_lo, s25
	s_and_saveexec_b32 s25, s1
	s_cbranch_execz .LBB95_469
.LBB95_468:
	v_and_b32_e32 v3, 0xffff, v1
	s_delay_alu instid0(VALU_DEP_1) | instskip(SKIP_1) | instid1(VALU_DEP_2)
	v_dual_lshlrev_b32 v1, 24, v1 :: v_dual_bitop2_b32 v6, 3, v3 bitop3:0x40
	v_bfe_u32 v9, v3, 2, 5
	v_and_b32_e32 v1, 0x80000000, v1
	s_delay_alu instid0(VALU_DEP_3) | instskip(NEXT) | instid1(VALU_DEP_3)
	v_clz_i32_u32_e32 v7, v6
	v_cmp_eq_u32_e32 vcc_lo, 0, v9
	s_delay_alu instid0(VALU_DEP_2) | instskip(NEXT) | instid1(VALU_DEP_1)
	v_min_u32_e32 v7, 32, v7
	v_subrev_nc_u32_e32 v8, 29, v7
	v_sub_nc_u32_e32 v7, 30, v7
	s_delay_alu instid0(VALU_DEP_2) | instskip(NEXT) | instid1(VALU_DEP_2)
	v_lshlrev_b32_e32 v3, v8, v3
	v_cndmask_b32_e32 v7, v9, v7, vcc_lo
	s_delay_alu instid0(VALU_DEP_2) | instskip(NEXT) | instid1(VALU_DEP_1)
	v_and_b32_e32 v3, 3, v3
	v_cndmask_b32_e32 v3, v6, v3, vcc_lo
	s_delay_alu instid0(VALU_DEP_3) | instskip(NEXT) | instid1(VALU_DEP_2)
	v_lshl_add_u32 v6, v7, 23, 0x37800000
	v_lshlrev_b32_e32 v3, 21, v3
	s_delay_alu instid0(VALU_DEP_1)
	v_or3_b32 v3, v1, v6, v3
.LBB95_469:
	s_or_b32 exec_lo, exec_lo, s25
	s_delay_alu instid0(VALU_DEP_1) | instskip(SKIP_2) | instid1(VALU_DEP_2)
	v_bfe_u32 v1, v3, 16, 1
	v_cmp_o_f32_e32 vcc_lo, v3, v3
	s_mov_b32 s1, 0
	v_add3_u32 v1, v3, v1, 0x7fff
	s_delay_alu instid0(VALU_DEP_1) | instskip(NEXT) | instid1(VALU_DEP_1)
	v_lshrrev_b32_e32 v1, 16, v1
	v_cndmask_b32_e32 v1, 0x7fc0, v1, vcc_lo
	s_branch .LBB95_475
.LBB95_470:
	s_mov_b32 s25, -1
                                        ; implicit-def: $vgpr1
	s_branch .LBB95_481
.LBB95_471:
	s_or_saveexec_b32 s25, s25
	v_mov_b32_e32 v3, 0x7f800001
	s_xor_b32 exec_lo, exec_lo, s25
	s_cbranch_execz .LBB95_454
.LBB95_472:
	v_cmp_ne_u16_e32 vcc_lo, 0, v1
	v_mov_b32_e32 v3, 0
	s_and_not1_b32 s1, s1, exec_lo
	s_and_b32 s26, vcc_lo, exec_lo
	s_delay_alu instid0(SALU_CYCLE_1)
	s_or_b32 s1, s1, s26
	s_or_b32 exec_lo, exec_lo, s25
	s_and_saveexec_b32 s25, s1
	s_cbranch_execnz .LBB95_455
	s_branch .LBB95_456
.LBB95_473:
	s_mov_b32 s1, -1
                                        ; implicit-def: $vgpr1
	s_branch .LBB95_478
.LBB95_474:
	s_mov_b32 s1, -1
                                        ; implicit-def: $vgpr1
.LBB95_475:
	s_delay_alu instid0(SALU_CYCLE_1)
	s_and_b32 vcc_lo, exec_lo, s1
	s_cbranch_vccz .LBB95_477
; %bb.476:
	s_wait_loadcnt 0x0
	global_load_u8 v1, v[4:5], off
	s_wait_loadcnt 0x0
	v_lshlrev_b32_e32 v1, 24, v1
	s_delay_alu instid0(VALU_DEP_1) | instskip(NEXT) | instid1(VALU_DEP_1)
	v_and_b32_e32 v3, 0x7f000000, v1
	v_clz_i32_u32_e32 v6, v3
	v_cmp_ne_u32_e32 vcc_lo, 0, v3
	v_add_nc_u32_e32 v8, 0x1000000, v3
	s_delay_alu instid0(VALU_DEP_3) | instskip(NEXT) | instid1(VALU_DEP_1)
	v_min_u32_e32 v6, 32, v6
	v_sub_nc_u32_e64 v6, v6, 4 clamp
	s_delay_alu instid0(VALU_DEP_1) | instskip(NEXT) | instid1(VALU_DEP_1)
	v_dual_lshlrev_b32 v7, v6, v3 :: v_dual_lshlrev_b32 v6, 23, v6
	v_lshrrev_b32_e32 v7, 4, v7
	s_delay_alu instid0(VALU_DEP_1) | instskip(NEXT) | instid1(VALU_DEP_1)
	v_dual_sub_nc_u32 v6, v7, v6 :: v_dual_ashrrev_i32 v7, 8, v8
	v_add_nc_u32_e32 v6, 0x3c000000, v6
	s_delay_alu instid0(VALU_DEP_1) | instskip(NEXT) | instid1(VALU_DEP_1)
	v_and_or_b32 v6, 0x7f800000, v7, v6
	v_cndmask_b32_e32 v3, 0, v6, vcc_lo
	s_delay_alu instid0(VALU_DEP_1) | instskip(SKIP_1) | instid1(VALU_DEP_2)
	v_and_or_b32 v1, 0x80000000, v1, v3
	v_bfe_u32 v3, v3, 16, 1
	v_cmp_o_f32_e32 vcc_lo, v1, v1
	s_delay_alu instid0(VALU_DEP_2) | instskip(NEXT) | instid1(VALU_DEP_1)
	v_add3_u32 v3, v1, v3, 0x7fff
	v_lshrrev_b32_e32 v3, 16, v3
	s_delay_alu instid0(VALU_DEP_1)
	v_cndmask_b32_e32 v1, 0x7fc0, v3, vcc_lo
.LBB95_477:
	s_mov_b32 s1, 0
.LBB95_478:
	s_delay_alu instid0(SALU_CYCLE_1)
	s_and_not1_b32 vcc_lo, exec_lo, s1
	s_cbranch_vccnz .LBB95_480
; %bb.479:
	s_wait_loadcnt 0x0
	global_load_u8 v1, v[4:5], off
	s_wait_loadcnt 0x0
	v_lshlrev_b32_e32 v3, 25, v1
	v_lshlrev_b16 v1, 8, v1
	s_delay_alu instid0(VALU_DEP_1) | instskip(SKIP_1) | instid1(VALU_DEP_2)
	v_and_or_b32 v7, 0x7f00, v1, 0.5
	v_bfe_i32 v1, v1, 0, 16
	v_add_f32_e32 v7, -0.5, v7
	v_lshrrev_b32_e32 v6, 4, v3
	v_cmp_gt_u32_e32 vcc_lo, 0x8000000, v3
	s_delay_alu instid0(VALU_DEP_2) | instskip(NEXT) | instid1(VALU_DEP_1)
	v_or_b32_e32 v6, 0x70000000, v6
	v_mul_f32_e32 v6, 0x7800000, v6
	s_delay_alu instid0(VALU_DEP_1) | instskip(NEXT) | instid1(VALU_DEP_1)
	v_cndmask_b32_e32 v3, v6, v7, vcc_lo
	v_and_or_b32 v1, 0x80000000, v1, v3
	v_bfe_u32 v3, v3, 16, 1
	s_delay_alu instid0(VALU_DEP_2) | instskip(NEXT) | instid1(VALU_DEP_2)
	v_cmp_o_f32_e32 vcc_lo, v1, v1
	v_add3_u32 v3, v1, v3, 0x7fff
	s_delay_alu instid0(VALU_DEP_1) | instskip(NEXT) | instid1(VALU_DEP_1)
	v_lshrrev_b32_e32 v3, 16, v3
	v_cndmask_b32_e32 v1, 0x7fc0, v3, vcc_lo
.LBB95_480:
	s_mov_b32 s25, 0
	s_mov_b32 s1, -1
.LBB95_481:
	s_and_not1_b32 vcc_lo, exec_lo, s25
	s_cbranch_vccnz .LBB95_494
; %bb.482:
	s_cmp_gt_i32 s0, 14
	s_cbranch_scc0 .LBB95_485
; %bb.483:
	s_cmp_eq_u32 s0, 15
	s_cbranch_scc0 .LBB95_488
; %bb.484:
	s_wait_loadcnt 0x0
	global_load_u16 v1, v[4:5], off
	s_mov_b32 s1, -1
	s_mov_b32 s24, 0
	s_branch .LBB95_489
.LBB95_485:
	s_mov_b32 s25, -1
                                        ; implicit-def: $vgpr1
	s_branch .LBB95_490
.LBB95_486:
	s_or_saveexec_b32 s25, s25
	v_mov_b32_e32 v3, 0x7f800001
	s_xor_b32 exec_lo, exec_lo, s25
	s_cbranch_execz .LBB95_467
.LBB95_487:
	v_cmp_ne_u16_e32 vcc_lo, 0, v1
	v_mov_b32_e32 v3, 0
	s_and_not1_b32 s1, s1, exec_lo
	s_and_b32 s26, vcc_lo, exec_lo
	s_delay_alu instid0(SALU_CYCLE_1)
	s_or_b32 s1, s1, s26
	s_or_b32 exec_lo, exec_lo, s25
	s_and_saveexec_b32 s25, s1
	s_cbranch_execnz .LBB95_468
	s_branch .LBB95_469
.LBB95_488:
	s_mov_b32 s24, -1
                                        ; implicit-def: $vgpr1
.LBB95_489:
	s_mov_b32 s25, 0
.LBB95_490:
	s_delay_alu instid0(SALU_CYCLE_1)
	s_and_b32 vcc_lo, exec_lo, s25
	s_cbranch_vccz .LBB95_494
; %bb.491:
	s_cmp_eq_u32 s0, 11
	s_cbranch_scc0 .LBB95_493
; %bb.492:
	s_wait_loadcnt 0x0
	global_load_u8 v1, v[4:5], off
	s_mov_b32 s24, 0
	s_mov_b32 s1, -1
	s_wait_loadcnt 0x0
	v_cmp_ne_u16_e32 vcc_lo, 0, v1
	v_cndmask_b32_e64 v1, 0, 1.0, vcc_lo
	s_delay_alu instid0(VALU_DEP_1)
	v_lshrrev_b32_e32 v1, 16, v1
	s_branch .LBB95_494
.LBB95_493:
	s_mov_b32 s24, -1
                                        ; implicit-def: $vgpr1
.LBB95_494:
	s_branch .LBB95_296
.LBB95_495:
	s_cmp_lt_i32 s0, 5
	s_cbranch_scc1 .LBB95_500
; %bb.496:
	s_cmp_lt_i32 s0, 8
	s_cbranch_scc1 .LBB95_501
; %bb.497:
	;; [unrolled: 3-line block ×3, first 2 shown]
	s_cmp_gt_i32 s0, 9
	s_cbranch_scc0 .LBB95_503
; %bb.499:
	global_load_b64 v[6:7], v[4:5], off
	s_mov_b32 s1, 0
	s_wait_loadcnt 0x0
	v_cvt_f32_f64_e32 v1, v[6:7]
	s_delay_alu instid0(VALU_DEP_1) | instskip(SKIP_1) | instid1(VALU_DEP_2)
	v_bfe_u32 v3, v1, 16, 1
	v_cmp_o_f32_e32 vcc_lo, v1, v1
	v_add3_u32 v3, v1, v3, 0x7fff
	s_delay_alu instid0(VALU_DEP_1) | instskip(NEXT) | instid1(VALU_DEP_1)
	v_lshrrev_b32_e32 v3, 16, v3
	v_cndmask_b32_e32 v1, 0x7fc0, v3, vcc_lo
	s_branch .LBB95_504
.LBB95_500:
	s_mov_b32 s1, -1
                                        ; implicit-def: $vgpr1
	s_branch .LBB95_522
.LBB95_501:
	s_mov_b32 s1, -1
                                        ; implicit-def: $vgpr1
	s_branch .LBB95_510
.LBB95_502:
	s_mov_b32 s1, -1
                                        ; implicit-def: $vgpr1
	s_branch .LBB95_507
.LBB95_503:
	s_mov_b32 s1, -1
                                        ; implicit-def: $vgpr1
.LBB95_504:
	s_delay_alu instid0(SALU_CYCLE_1)
	s_and_not1_b32 vcc_lo, exec_lo, s1
	s_cbranch_vccnz .LBB95_506
; %bb.505:
	s_wait_loadcnt 0x0
	global_load_b32 v1, v[4:5], off
	s_wait_loadcnt 0x0
	v_bfe_u32 v3, v1, 16, 1
	v_cmp_o_f32_e32 vcc_lo, v1, v1
	s_delay_alu instid0(VALU_DEP_2) | instskip(NEXT) | instid1(VALU_DEP_1)
	v_add3_u32 v3, v1, v3, 0x7fff
	v_lshrrev_b32_e32 v3, 16, v3
	s_delay_alu instid0(VALU_DEP_1)
	v_cndmask_b32_e32 v1, 0x7fc0, v3, vcc_lo
.LBB95_506:
	s_mov_b32 s1, 0
.LBB95_507:
	s_delay_alu instid0(SALU_CYCLE_1)
	s_and_not1_b32 vcc_lo, exec_lo, s1
	s_cbranch_vccnz .LBB95_509
; %bb.508:
	s_wait_loadcnt 0x0
	global_load_b32 v1, v[4:5], off
	s_wait_loadcnt 0x0
	v_cvt_f32_f16_e32 v3, v1
	v_cmp_o_f16_e32 vcc_lo, v1, v1
	s_delay_alu instid0(VALU_DEP_2) | instskip(NEXT) | instid1(VALU_DEP_1)
	v_bfe_u32 v6, v3, 16, 1
	v_add3_u32 v3, v3, v6, 0x7fff
	s_delay_alu instid0(VALU_DEP_1) | instskip(NEXT) | instid1(VALU_DEP_1)
	v_lshrrev_b32_e32 v3, 16, v3
	v_cndmask_b32_e32 v1, 0x7fc0, v3, vcc_lo
.LBB95_509:
	s_mov_b32 s1, 0
.LBB95_510:
	s_delay_alu instid0(SALU_CYCLE_1)
	s_and_not1_b32 vcc_lo, exec_lo, s1
	s_cbranch_vccnz .LBB95_521
; %bb.511:
	s_cmp_lt_i32 s0, 6
	s_cbranch_scc1 .LBB95_514
; %bb.512:
	s_cmp_gt_i32 s0, 6
	s_cbranch_scc0 .LBB95_515
; %bb.513:
	global_load_b64 v[6:7], v[4:5], off
	s_mov_b32 s1, 0
	s_wait_loadcnt 0x0
	v_cvt_f32_f64_e32 v1, v[6:7]
	s_delay_alu instid0(VALU_DEP_1) | instskip(SKIP_1) | instid1(VALU_DEP_2)
	v_bfe_u32 v3, v1, 16, 1
	v_cmp_o_f32_e32 vcc_lo, v1, v1
	v_add3_u32 v3, v1, v3, 0x7fff
	s_delay_alu instid0(VALU_DEP_1) | instskip(NEXT) | instid1(VALU_DEP_1)
	v_lshrrev_b32_e32 v3, 16, v3
	v_cndmask_b32_e32 v1, 0x7fc0, v3, vcc_lo
	s_branch .LBB95_516
.LBB95_514:
	s_mov_b32 s1, -1
                                        ; implicit-def: $vgpr1
	s_branch .LBB95_519
.LBB95_515:
	s_mov_b32 s1, -1
                                        ; implicit-def: $vgpr1
.LBB95_516:
	s_delay_alu instid0(SALU_CYCLE_1)
	s_and_not1_b32 vcc_lo, exec_lo, s1
	s_cbranch_vccnz .LBB95_518
; %bb.517:
	s_wait_loadcnt 0x0
	global_load_b32 v1, v[4:5], off
	s_wait_loadcnt 0x0
	v_bfe_u32 v3, v1, 16, 1
	v_cmp_o_f32_e32 vcc_lo, v1, v1
	s_delay_alu instid0(VALU_DEP_2) | instskip(NEXT) | instid1(VALU_DEP_1)
	v_add3_u32 v3, v1, v3, 0x7fff
	v_lshrrev_b32_e32 v3, 16, v3
	s_delay_alu instid0(VALU_DEP_1)
	v_cndmask_b32_e32 v1, 0x7fc0, v3, vcc_lo
.LBB95_518:
	s_mov_b32 s1, 0
.LBB95_519:
	s_delay_alu instid0(SALU_CYCLE_1)
	s_and_not1_b32 vcc_lo, exec_lo, s1
	s_cbranch_vccnz .LBB95_521
; %bb.520:
	s_wait_loadcnt 0x0
	global_load_u16 v1, v[4:5], off
	s_wait_loadcnt 0x0
	v_cvt_f32_f16_e32 v3, v1
	v_cmp_o_f16_e32 vcc_lo, v1, v1
	s_delay_alu instid0(VALU_DEP_2) | instskip(NEXT) | instid1(VALU_DEP_1)
	v_bfe_u32 v6, v3, 16, 1
	v_add3_u32 v3, v3, v6, 0x7fff
	s_delay_alu instid0(VALU_DEP_1) | instskip(NEXT) | instid1(VALU_DEP_1)
	v_lshrrev_b32_e32 v3, 16, v3
	v_cndmask_b32_e32 v1, 0x7fc0, v3, vcc_lo
.LBB95_521:
	s_mov_b32 s1, 0
.LBB95_522:
	s_delay_alu instid0(SALU_CYCLE_1)
	s_and_not1_b32 vcc_lo, exec_lo, s1
	s_cbranch_vccnz .LBB95_542
; %bb.523:
	s_cmp_lt_i32 s0, 2
	s_cbranch_scc1 .LBB95_527
; %bb.524:
	s_cmp_lt_i32 s0, 3
	s_cbranch_scc1 .LBB95_528
; %bb.525:
	s_cmp_gt_i32 s0, 3
	s_cbranch_scc0 .LBB95_529
; %bb.526:
	global_load_b64 v[6:7], v[4:5], off
	s_mov_b32 s1, 0
	s_wait_loadcnt 0x0
	v_xor_b32_e32 v1, v6, v7
	v_cls_i32_e32 v3, v7
	s_delay_alu instid0(VALU_DEP_2) | instskip(NEXT) | instid1(VALU_DEP_1)
	v_ashrrev_i32_e32 v1, 31, v1
	v_add_nc_u32_e32 v1, 32, v1
	s_delay_alu instid0(VALU_DEP_1) | instskip(NEXT) | instid1(VALU_DEP_1)
	v_add_min_u32_e64 v1, v3, -1, v1
	v_lshlrev_b64_e32 v[6:7], v1, v[6:7]
	v_sub_nc_u32_e32 v1, 32, v1
	s_delay_alu instid0(VALU_DEP_2) | instskip(NEXT) | instid1(VALU_DEP_1)
	v_min_u32_e32 v3, 1, v6
	v_or_b32_e32 v3, v7, v3
	s_delay_alu instid0(VALU_DEP_1) | instskip(NEXT) | instid1(VALU_DEP_1)
	v_cvt_f32_i32_e32 v3, v3
	v_ldexp_f32 v1, v3, v1
	s_delay_alu instid0(VALU_DEP_1) | instskip(NEXT) | instid1(VALU_DEP_1)
	v_bfe_u32 v3, v1, 16, 1
	v_add3_u32 v1, v1, v3, 0x7fff
	s_delay_alu instid0(VALU_DEP_1)
	v_lshrrev_b32_e32 v1, 16, v1
	s_branch .LBB95_530
.LBB95_527:
	s_mov_b32 s1, -1
                                        ; implicit-def: $vgpr1
	s_branch .LBB95_536
.LBB95_528:
	s_mov_b32 s1, -1
                                        ; implicit-def: $vgpr1
	s_branch .LBB95_533
.LBB95_529:
	s_mov_b32 s1, -1
                                        ; implicit-def: $vgpr1
.LBB95_530:
	s_delay_alu instid0(SALU_CYCLE_1)
	s_and_not1_b32 vcc_lo, exec_lo, s1
	s_cbranch_vccnz .LBB95_532
; %bb.531:
	s_wait_loadcnt 0x0
	global_load_b32 v1, v[4:5], off
	s_wait_loadcnt 0x0
	v_cvt_f32_i32_e32 v1, v1
	s_delay_alu instid0(VALU_DEP_1) | instskip(NEXT) | instid1(VALU_DEP_1)
	v_bfe_u32 v3, v1, 16, 1
	v_add3_u32 v1, v1, v3, 0x7fff
	s_delay_alu instid0(VALU_DEP_1)
	v_lshrrev_b32_e32 v1, 16, v1
.LBB95_532:
	s_mov_b32 s1, 0
.LBB95_533:
	s_delay_alu instid0(SALU_CYCLE_1)
	s_and_not1_b32 vcc_lo, exec_lo, s1
	s_cbranch_vccnz .LBB95_535
; %bb.534:
	s_wait_loadcnt 0x0
	global_load_i16 v1, v[4:5], off
	s_wait_loadcnt 0x0
	v_cvt_f32_i32_e32 v1, v1
	s_delay_alu instid0(VALU_DEP_1) | instskip(NEXT) | instid1(VALU_DEP_1)
	v_bfe_u32 v3, v1, 16, 1
	v_add3_u32 v1, v1, v3, 0x7fff
	s_delay_alu instid0(VALU_DEP_1)
	v_lshrrev_b32_e32 v1, 16, v1
.LBB95_535:
	s_mov_b32 s1, 0
.LBB95_536:
	s_delay_alu instid0(SALU_CYCLE_1)
	s_and_not1_b32 vcc_lo, exec_lo, s1
	s_cbranch_vccnz .LBB95_542
; %bb.537:
	s_cmp_gt_i32 s0, 0
	s_mov_b32 s0, 0
	s_cbranch_scc0 .LBB95_539
; %bb.538:
	s_wait_loadcnt 0x0
	global_load_i8 v1, v[4:5], off
	s_wait_loadcnt 0x0
	v_cvt_f32_i32_e32 v1, v1
	s_delay_alu instid0(VALU_DEP_1) | instskip(NEXT) | instid1(VALU_DEP_1)
	v_bfe_u32 v3, v1, 16, 1
	v_add3_u32 v1, v1, v3, 0x7fff
	s_delay_alu instid0(VALU_DEP_1)
	v_lshrrev_b32_e32 v1, 16, v1
	s_branch .LBB95_540
.LBB95_539:
	s_mov_b32 s0, -1
                                        ; implicit-def: $vgpr1
.LBB95_540:
	s_delay_alu instid0(SALU_CYCLE_1)
	s_and_not1_b32 vcc_lo, exec_lo, s0
	s_cbranch_vccnz .LBB95_542
; %bb.541:
	s_wait_loadcnt 0x0
	global_load_u8 v1, v[4:5], off
	s_wait_loadcnt 0x0
	v_cvt_f32_ubyte0_e32 v1, v1
	s_delay_alu instid0(VALU_DEP_1) | instskip(NEXT) | instid1(VALU_DEP_1)
	v_bfe_u32 v3, v1, 16, 1
	v_add3_u32 v1, v1, v3, 0x7fff
	s_delay_alu instid0(VALU_DEP_1)
	v_lshrrev_b32_e32 v1, 16, v1
.LBB95_542:
	s_branch .LBB95_297
.LBB95_543:
	s_mov_b32 s0, 0
	s_mov_b32 s1, s18
.LBB95_544:
                                        ; implicit-def: $vgpr0
.LBB95_545:
	s_and_not1_b32 s25, s18, exec_lo
	s_and_b32 s1, s1, exec_lo
	s_and_not1_b32 s26, s39, exec_lo
	s_and_b32 s24, s24, exec_lo
	s_or_b32 s42, s25, s1
	s_or_b32 s41, s26, s24
	s_or_not1_b32 s0, s0, exec_lo
.LBB95_546:
	s_wait_xcnt 0x0
	s_or_b32 exec_lo, exec_lo, s43
	s_mov_b32 s1, 0
	s_mov_b32 s24, 0
	s_mov_b32 s25, 0
                                        ; implicit-def: $vgpr4_vgpr5
                                        ; implicit-def: $vgpr2
                                        ; implicit-def: $vgpr6
	s_and_saveexec_b32 s43, s0
	s_cbranch_execz .LBB95_927
; %bb.547:
	s_mov_b32 s25, -1
	s_mov_b32 s26, s41
	s_mov_b32 s27, s42
	s_mov_b32 s44, exec_lo
	v_cmpx_gt_i32_e64 s36, v0
	s_cbranch_execz .LBB95_824
; %bb.548:
	s_and_not1_b32 vcc_lo, exec_lo, s31
	s_cbranch_vccnz .LBB95_554
; %bb.549:
	s_and_not1_b32 vcc_lo, exec_lo, s38
	s_cbranch_vccnz .LBB95_555
; %bb.550:
	s_add_co_i32 s1, s37, 1
	s_cmp_eq_u32 s29, 2
	s_cbranch_scc1 .LBB95_556
; %bb.551:
	v_dual_mov_b32 v2, 0 :: v_dual_mov_b32 v4, 0
	s_wait_loadcnt 0x0
	v_mov_b32_e32 v1, v0
	s_and_b32 s0, s1, 28
	s_mov_b32 s45, 0
	s_mov_b64 s[24:25], s[2:3]
	s_mov_b64 s[26:27], s[22:23]
.LBB95_552:                             ; =>This Inner Loop Header: Depth=1
	s_clause 0x1
	s_load_b256 s[48:55], s[24:25], 0x4
	s_load_b128 s[64:67], s[24:25], 0x24
	s_load_b256 s[56:63], s[26:27], 0x0
	s_add_co_i32 s45, s45, 4
	s_wait_xcnt 0x0
	s_add_nc_u64 s[24:25], s[24:25], 48
	s_cmp_eq_u32 s0, s45
	s_add_nc_u64 s[26:27], s[26:27], 32
	s_wait_kmcnt 0x0
	v_mul_hi_u32 v3, s49, v1
	s_delay_alu instid0(VALU_DEP_1) | instskip(NEXT) | instid1(VALU_DEP_1)
	v_add_nc_u32_e32 v3, v1, v3
	v_lshrrev_b32_e32 v3, s50, v3
	s_delay_alu instid0(VALU_DEP_1) | instskip(NEXT) | instid1(VALU_DEP_1)
	v_mul_hi_u32 v5, s52, v3
	v_add_nc_u32_e32 v5, v3, v5
	s_delay_alu instid0(VALU_DEP_1) | instskip(NEXT) | instid1(VALU_DEP_1)
	v_lshrrev_b32_e32 v5, s53, v5
	v_mul_hi_u32 v6, s55, v5
	s_delay_alu instid0(VALU_DEP_1) | instskip(SKIP_1) | instid1(VALU_DEP_1)
	v_add_nc_u32_e32 v6, v5, v6
	v_mul_lo_u32 v7, v3, s48
	v_sub_nc_u32_e32 v1, v1, v7
	v_mul_lo_u32 v7, v5, s51
	s_delay_alu instid0(VALU_DEP_4) | instskip(NEXT) | instid1(VALU_DEP_3)
	v_lshrrev_b32_e32 v6, s64, v6
	v_mad_u32 v4, v1, s57, v4
	v_mad_u32 v1, v1, s56, v2
	s_delay_alu instid0(VALU_DEP_4) | instskip(NEXT) | instid1(VALU_DEP_4)
	v_sub_nc_u32_e32 v2, v3, v7
	v_mul_hi_u32 v8, s66, v6
	v_mul_lo_u32 v3, v6, s54
	s_delay_alu instid0(VALU_DEP_3) | instskip(SKIP_1) | instid1(VALU_DEP_3)
	v_mad_u32 v4, v2, s59, v4
	v_mad_u32 v2, v2, s58, v1
	v_dual_add_nc_u32 v7, v6, v8 :: v_dual_sub_nc_u32 v3, v5, v3
	s_delay_alu instid0(VALU_DEP_1) | instskip(NEXT) | instid1(VALU_DEP_2)
	v_lshrrev_b32_e32 v1, s67, v7
	v_mad_u32 v4, v3, s61, v4
	s_delay_alu instid0(VALU_DEP_4) | instskip(NEXT) | instid1(VALU_DEP_3)
	v_mad_u32 v2, v3, s60, v2
	v_mul_lo_u32 v5, v1, s65
	s_delay_alu instid0(VALU_DEP_1) | instskip(NEXT) | instid1(VALU_DEP_1)
	v_sub_nc_u32_e32 v3, v6, v5
	v_mad_u32 v4, v3, s63, v4
	s_delay_alu instid0(VALU_DEP_4)
	v_mad_u32 v2, v3, s62, v2
	s_cbranch_scc0 .LBB95_552
; %bb.553:
	s_delay_alu instid0(VALU_DEP_2)
	v_mov_b32_e32 v3, v4
	s_branch .LBB95_557
.LBB95_554:
	s_mov_b32 s0, -1
                                        ; implicit-def: $vgpr4
                                        ; implicit-def: $vgpr2
	s_branch .LBB95_562
.LBB95_555:
	v_dual_mov_b32 v4, 0 :: v_dual_mov_b32 v2, 0
	s_branch .LBB95_561
.LBB95_556:
	v_mov_b64_e32 v[2:3], 0
	s_wait_loadcnt 0x0
	v_mov_b32_e32 v1, v0
	s_mov_b32 s0, 0
                                        ; implicit-def: $vgpr4
.LBB95_557:
	s_and_b32 s26, s1, 3
	s_mov_b32 s1, 0
	s_cmp_eq_u32 s26, 0
	s_cbranch_scc1 .LBB95_561
; %bb.558:
	s_lshl_b32 s24, s0, 3
	s_mov_b32 s25, s1
	s_mul_u64 s[46:47], s[0:1], 12
	s_add_nc_u64 s[24:25], s[2:3], s[24:25]
	s_delay_alu instid0(SALU_CYCLE_1)
	s_add_nc_u64 s[0:1], s[24:25], 0xc4
	s_add_nc_u64 s[24:25], s[2:3], s[46:47]
.LBB95_559:                             ; =>This Inner Loop Header: Depth=1
	s_load_b96 s[48:50], s[24:25], 0x4
	s_load_b64 s[46:47], s[0:1], 0x0
	s_add_co_i32 s26, s26, -1
	s_wait_xcnt 0x0
	s_add_nc_u64 s[24:25], s[24:25], 12
	s_cmp_lg_u32 s26, 0
	s_add_nc_u64 s[0:1], s[0:1], 8
	s_wait_kmcnt 0x0
	v_mul_hi_u32 v4, s49, v1
	s_delay_alu instid0(VALU_DEP_1) | instskip(NEXT) | instid1(VALU_DEP_1)
	v_add_nc_u32_e32 v4, v1, v4
	v_lshrrev_b32_e32 v4, s50, v4
	s_delay_alu instid0(VALU_DEP_1) | instskip(NEXT) | instid1(VALU_DEP_1)
	v_mul_lo_u32 v5, v4, s48
	v_sub_nc_u32_e32 v1, v1, v5
	s_delay_alu instid0(VALU_DEP_1)
	v_mad_u32 v3, v1, s47, v3
	v_mad_u32 v2, v1, s46, v2
	v_mov_b32_e32 v1, v4
	s_cbranch_scc1 .LBB95_559
; %bb.560:
	s_delay_alu instid0(VALU_DEP_3)
	v_mov_b32_e32 v4, v3
.LBB95_561:
	s_mov_b32 s0, 0
.LBB95_562:
	s_delay_alu instid0(SALU_CYCLE_1)
	s_and_not1_b32 vcc_lo, exec_lo, s0
	s_cbranch_vccnz .LBB95_565
; %bb.563:
	s_wait_loadcnt 0x0
	v_mov_b32_e32 v1, 0
	s_and_not1_b32 vcc_lo, exec_lo, s35
	s_delay_alu instid0(VALU_DEP_1) | instskip(NEXT) | instid1(VALU_DEP_1)
	v_mul_u64_e32 v[2:3], s[16:17], v[0:1]
	v_add_nc_u32_e32 v2, v0, v3
	s_delay_alu instid0(VALU_DEP_1) | instskip(NEXT) | instid1(VALU_DEP_1)
	v_lshrrev_b32_e32 v6, s14, v2
	v_mul_lo_u32 v2, v6, s12
	s_delay_alu instid0(VALU_DEP_1) | instskip(NEXT) | instid1(VALU_DEP_1)
	v_sub_nc_u32_e32 v2, v0, v2
	v_mul_lo_u32 v4, v2, s9
	v_mul_lo_u32 v2, v2, s8
	s_cbranch_vccnz .LBB95_565
; %bb.564:
	v_mov_b32_e32 v7, v1
	s_delay_alu instid0(VALU_DEP_1) | instskip(NEXT) | instid1(VALU_DEP_1)
	v_mul_u64_e32 v[8:9], s[20:21], v[6:7]
	v_add_nc_u32_e32 v1, v6, v9
	s_delay_alu instid0(VALU_DEP_1) | instskip(NEXT) | instid1(VALU_DEP_1)
	v_lshrrev_b32_e32 v1, s19, v1
	v_mul_lo_u32 v1, v1, s15
	s_delay_alu instid0(VALU_DEP_1) | instskip(NEXT) | instid1(VALU_DEP_1)
	v_sub_nc_u32_e32 v1, v6, v1
	v_mad_u32 v2, v1, s10, v2
	v_mad_u32 v4, v1, s11, v4
.LBB95_565:
	v_mov_b32_e32 v5, 0
	s_and_b32 s0, 0xffff, s13
	s_delay_alu instid0(SALU_CYCLE_1) | instskip(NEXT) | instid1(VALU_DEP_1)
	s_cmp_lt_i32 s0, 11
	v_add_nc_u64_e32 v[4:5], s[6:7], v[4:5]
	s_cbranch_scc1 .LBB95_572
; %bb.566:
	s_cmp_gt_i32 s0, 25
	s_cbranch_scc0 .LBB95_573
; %bb.567:
	s_cmp_gt_i32 s0, 28
	s_cbranch_scc0 .LBB95_574
	;; [unrolled: 3-line block ×4, first 2 shown]
; %bb.570:
	s_cmp_eq_u32 s0, 46
	s_mov_b32 s25, 0
	s_cbranch_scc0 .LBB95_581
; %bb.571:
	s_wait_loadcnt 0x0
	global_load_b32 v1, v[4:5], off
	s_mov_b32 s1, -1
	s_mov_b32 s24, 0
	s_branch .LBB95_583
.LBB95_572:
	s_mov_b32 s25, -1
	s_mov_b32 s1, 0
	s_mov_b32 s24, s41
                                        ; implicit-def: $vgpr1
	s_branch .LBB95_648
.LBB95_573:
	s_mov_b32 s25, -1
	s_mov_b32 s1, 0
	s_mov_b32 s24, s41
                                        ; implicit-def: $vgpr1
	s_branch .LBB95_612
.LBB95_574:
	s_mov_b32 s25, -1
	s_mov_b32 s1, 0
	s_mov_b32 s24, s41
                                        ; implicit-def: $vgpr1
	s_branch .LBB95_593
.LBB95_575:
	s_mov_b32 s25, -1
	s_mov_b32 s1, 0
	s_mov_b32 s24, s41
                                        ; implicit-def: $vgpr1
	s_branch .LBB95_588
.LBB95_576:
	s_and_not1_saveexec_b32 s42, s42
	s_cbranch_execz .LBB95_343
.LBB95_577:
	v_add_f32_e32 v1, 0x46000000, v4
	s_and_not1_b32 s41, s41, exec_lo
	s_delay_alu instid0(VALU_DEP_1) | instskip(NEXT) | instid1(VALU_DEP_1)
	v_and_b32_e32 v1, 0xff, v1
	v_cmp_ne_u32_e32 vcc_lo, 0, v1
	s_and_b32 s44, vcc_lo, exec_lo
	s_delay_alu instid0(SALU_CYCLE_1)
	s_or_b32 s41, s41, s44
	s_or_b32 exec_lo, exec_lo, s42
	v_mov_b32_e32 v5, 0
	s_and_saveexec_b32 s42, s41
	s_cbranch_execnz .LBB95_344
	s_branch .LBB95_345
.LBB95_578:
	s_mov_b32 s25, -1
	s_mov_b32 s1, 0
	s_mov_b32 s24, s41
	s_branch .LBB95_582
.LBB95_579:
	s_and_not1_saveexec_b32 s42, s42
	s_cbranch_execz .LBB95_356
.LBB95_580:
	v_add_f32_e32 v1, 0x42800000, v4
	s_and_not1_b32 s41, s41, exec_lo
	s_delay_alu instid0(VALU_DEP_1) | instskip(NEXT) | instid1(VALU_DEP_1)
	v_and_b32_e32 v1, 0xff, v1
	v_cmp_ne_u32_e32 vcc_lo, 0, v1
	s_and_b32 s44, vcc_lo, exec_lo
	s_delay_alu instid0(SALU_CYCLE_1)
	s_or_b32 s41, s41, s44
	s_or_b32 exec_lo, exec_lo, s42
	v_mov_b32_e32 v5, 0
	s_and_saveexec_b32 s42, s41
	s_cbranch_execnz .LBB95_357
	s_branch .LBB95_358
.LBB95_581:
	s_mov_b32 s24, -1
	s_mov_b32 s1, 0
.LBB95_582:
                                        ; implicit-def: $vgpr1
.LBB95_583:
	s_and_b32 vcc_lo, exec_lo, s25
	s_cbranch_vccz .LBB95_587
; %bb.584:
	s_cmp_eq_u32 s0, 44
	s_cbranch_scc0 .LBB95_586
; %bb.585:
	s_wait_loadcnt 0x0
	global_load_u8 v1, v[4:5], off
	s_mov_b32 s24, 0
	s_mov_b32 s1, -1
	s_wait_loadcnt 0x0
	v_lshlrev_b32_e32 v3, 23, v1
	v_cmp_ne_u32_e32 vcc_lo, 0xff, v1
	s_delay_alu instid0(VALU_DEP_2) | instskip(SKIP_1) | instid1(VALU_DEP_2)
	v_cndmask_b32_e32 v3, 0x7f800001, v3, vcc_lo
	v_cmp_ne_u32_e32 vcc_lo, 0, v1
	v_cndmask_b32_e32 v1, 0x400000, v3, vcc_lo
	s_delay_alu instid0(VALU_DEP_1) | instskip(SKIP_1) | instid1(VALU_DEP_2)
	v_add_nc_u32_e32 v3, 0x7fff, v1
	v_cmp_o_f32_e32 vcc_lo, v1, v1
	v_lshrrev_b32_e32 v3, 16, v3
	s_delay_alu instid0(VALU_DEP_1)
	v_cndmask_b32_e32 v1, 0x7fc0, v3, vcc_lo
	s_branch .LBB95_587
.LBB95_586:
	s_mov_b32 s24, -1
                                        ; implicit-def: $vgpr1
.LBB95_587:
	s_mov_b32 s25, 0
.LBB95_588:
	s_delay_alu instid0(SALU_CYCLE_1)
	s_and_b32 vcc_lo, exec_lo, s25
	s_cbranch_vccz .LBB95_592
; %bb.589:
	s_cmp_eq_u32 s0, 29
	s_cbranch_scc0 .LBB95_591
; %bb.590:
	global_load_b64 v[6:7], v[4:5], off
	s_mov_b32 s1, -1
	s_mov_b32 s24, 0
	s_mov_b32 s25, 0
	s_wait_loadcnt 0x0
	v_clz_i32_u32_e32 v1, v7
	s_delay_alu instid0(VALU_DEP_1) | instskip(NEXT) | instid1(VALU_DEP_1)
	v_min_u32_e32 v1, 32, v1
	v_lshlrev_b64_e32 v[6:7], v1, v[6:7]
	v_sub_nc_u32_e32 v1, 32, v1
	s_delay_alu instid0(VALU_DEP_2) | instskip(NEXT) | instid1(VALU_DEP_1)
	v_min_u32_e32 v3, 1, v6
	v_or_b32_e32 v3, v7, v3
	s_delay_alu instid0(VALU_DEP_1) | instskip(NEXT) | instid1(VALU_DEP_1)
	v_cvt_f32_u32_e32 v3, v3
	v_ldexp_f32 v1, v3, v1
	s_delay_alu instid0(VALU_DEP_1) | instskip(NEXT) | instid1(VALU_DEP_1)
	v_bfe_u32 v3, v1, 16, 1
	v_add3_u32 v1, v1, v3, 0x7fff
	s_delay_alu instid0(VALU_DEP_1)
	v_lshrrev_b32_e32 v1, 16, v1
	s_branch .LBB95_593
.LBB95_591:
	s_mov_b32 s24, -1
                                        ; implicit-def: $vgpr1
.LBB95_592:
	s_mov_b32 s25, 0
.LBB95_593:
	s_delay_alu instid0(SALU_CYCLE_1)
	s_and_b32 vcc_lo, exec_lo, s25
	s_cbranch_vccz .LBB95_611
; %bb.594:
	s_cmp_lt_i32 s0, 27
	s_cbranch_scc1 .LBB95_597
; %bb.595:
	s_cmp_gt_i32 s0, 27
	s_cbranch_scc0 .LBB95_598
; %bb.596:
	s_wait_loadcnt 0x0
	global_load_b32 v1, v[4:5], off
	s_mov_b32 s1, 0
	s_wait_loadcnt 0x0
	v_cvt_f32_u32_e32 v1, v1
	s_delay_alu instid0(VALU_DEP_1) | instskip(NEXT) | instid1(VALU_DEP_1)
	v_bfe_u32 v3, v1, 16, 1
	v_add3_u32 v1, v1, v3, 0x7fff
	s_delay_alu instid0(VALU_DEP_1)
	v_lshrrev_b32_e32 v1, 16, v1
	s_branch .LBB95_599
.LBB95_597:
	s_mov_b32 s1, -1
                                        ; implicit-def: $vgpr1
	s_branch .LBB95_602
.LBB95_598:
	s_mov_b32 s1, -1
                                        ; implicit-def: $vgpr1
.LBB95_599:
	s_delay_alu instid0(SALU_CYCLE_1)
	s_and_not1_b32 vcc_lo, exec_lo, s1
	s_cbranch_vccnz .LBB95_601
; %bb.600:
	s_wait_loadcnt 0x0
	global_load_u16 v1, v[4:5], off
	s_wait_loadcnt 0x0
	v_cvt_f32_u32_e32 v1, v1
	s_delay_alu instid0(VALU_DEP_1) | instskip(NEXT) | instid1(VALU_DEP_1)
	v_bfe_u32 v3, v1, 16, 1
	v_add3_u32 v1, v1, v3, 0x7fff
	s_delay_alu instid0(VALU_DEP_1)
	v_lshrrev_b32_e32 v1, 16, v1
.LBB95_601:
	s_mov_b32 s1, 0
.LBB95_602:
	s_delay_alu instid0(SALU_CYCLE_1)
	s_and_not1_b32 vcc_lo, exec_lo, s1
	s_cbranch_vccnz .LBB95_610
; %bb.603:
	s_wait_loadcnt 0x0
	global_load_u8 v1, v[4:5], off
	s_mov_b32 s1, 0
	s_mov_b32 s25, exec_lo
	s_wait_loadcnt 0x0
	v_cmpx_lt_i16_e32 0x7f, v1
	s_xor_b32 s25, exec_lo, s25
	s_cbranch_execz .LBB95_624
; %bb.604:
	s_mov_b32 s1, -1
	s_mov_b32 s26, exec_lo
	v_cmpx_eq_u16_e32 0x80, v1
; %bb.605:
	s_xor_b32 s1, exec_lo, -1
; %bb.606:
	s_or_b32 exec_lo, exec_lo, s26
	s_delay_alu instid0(SALU_CYCLE_1)
	s_and_b32 s1, s1, exec_lo
	s_or_saveexec_b32 s25, s25
	v_mov_b32_e32 v3, 0x7f800001
	s_xor_b32 exec_lo, exec_lo, s25
	s_cbranch_execnz .LBB95_625
.LBB95_607:
	s_or_b32 exec_lo, exec_lo, s25
	s_and_saveexec_b32 s25, s1
	s_cbranch_execz .LBB95_609
.LBB95_608:
	v_and_b32_e32 v3, 0xffff, v1
	s_delay_alu instid0(VALU_DEP_1) | instskip(SKIP_1) | instid1(VALU_DEP_2)
	v_dual_lshlrev_b32 v1, 24, v1 :: v_dual_bitop2_b32 v6, 7, v3 bitop3:0x40
	v_bfe_u32 v9, v3, 3, 4
	v_and_b32_e32 v1, 0x80000000, v1
	s_delay_alu instid0(VALU_DEP_3) | instskip(NEXT) | instid1(VALU_DEP_3)
	v_clz_i32_u32_e32 v7, v6
	v_cmp_eq_u32_e32 vcc_lo, 0, v9
	s_delay_alu instid0(VALU_DEP_2) | instskip(NEXT) | instid1(VALU_DEP_1)
	v_min_u32_e32 v7, 32, v7
	v_subrev_nc_u32_e32 v8, 28, v7
	v_sub_nc_u32_e32 v7, 29, v7
	s_delay_alu instid0(VALU_DEP_2) | instskip(NEXT) | instid1(VALU_DEP_2)
	v_lshlrev_b32_e32 v3, v8, v3
	v_cndmask_b32_e32 v7, v9, v7, vcc_lo
	s_delay_alu instid0(VALU_DEP_2) | instskip(NEXT) | instid1(VALU_DEP_1)
	v_and_b32_e32 v3, 7, v3
	v_cndmask_b32_e32 v3, v6, v3, vcc_lo
	s_delay_alu instid0(VALU_DEP_3) | instskip(NEXT) | instid1(VALU_DEP_2)
	v_lshl_add_u32 v6, v7, 23, 0x3b800000
	v_lshlrev_b32_e32 v3, 20, v3
	s_delay_alu instid0(VALU_DEP_1)
	v_or3_b32 v3, v1, v6, v3
.LBB95_609:
	s_or_b32 exec_lo, exec_lo, s25
	s_delay_alu instid0(VALU_DEP_1) | instskip(SKIP_1) | instid1(VALU_DEP_2)
	v_bfe_u32 v1, v3, 16, 1
	v_cmp_o_f32_e32 vcc_lo, v3, v3
	v_add3_u32 v1, v3, v1, 0x7fff
	s_delay_alu instid0(VALU_DEP_1) | instskip(NEXT) | instid1(VALU_DEP_1)
	v_lshrrev_b32_e32 v1, 16, v1
	v_cndmask_b32_e32 v1, 0x7fc0, v1, vcc_lo
.LBB95_610:
	s_mov_b32 s1, -1
.LBB95_611:
	s_mov_b32 s25, 0
.LBB95_612:
	s_delay_alu instid0(SALU_CYCLE_1)
	s_and_b32 vcc_lo, exec_lo, s25
	s_cbranch_vccz .LBB95_647
; %bb.613:
	s_cmp_gt_i32 s0, 22
	s_cbranch_scc0 .LBB95_623
; %bb.614:
	s_cmp_lt_i32 s0, 24
	s_cbranch_scc1 .LBB95_626
; %bb.615:
	s_cmp_gt_i32 s0, 24
	s_cbranch_scc0 .LBB95_627
; %bb.616:
	s_wait_loadcnt 0x0
	global_load_u8 v1, v[4:5], off
	s_mov_b32 s1, 0
	s_mov_b32 s25, exec_lo
	s_wait_loadcnt 0x0
	v_cmpx_lt_i16_e32 0x7f, v1
	s_xor_b32 s25, exec_lo, s25
	s_cbranch_execz .LBB95_639
; %bb.617:
	s_mov_b32 s1, -1
	s_mov_b32 s26, exec_lo
	v_cmpx_eq_u16_e32 0x80, v1
; %bb.618:
	s_xor_b32 s1, exec_lo, -1
; %bb.619:
	s_or_b32 exec_lo, exec_lo, s26
	s_delay_alu instid0(SALU_CYCLE_1)
	s_and_b32 s1, s1, exec_lo
	s_or_saveexec_b32 s25, s25
	v_mov_b32_e32 v3, 0x7f800001
	s_xor_b32 exec_lo, exec_lo, s25
	s_cbranch_execnz .LBB95_640
.LBB95_620:
	s_or_b32 exec_lo, exec_lo, s25
	s_and_saveexec_b32 s25, s1
	s_cbranch_execz .LBB95_622
.LBB95_621:
	v_and_b32_e32 v3, 0xffff, v1
	s_delay_alu instid0(VALU_DEP_1) | instskip(SKIP_1) | instid1(VALU_DEP_2)
	v_dual_lshlrev_b32 v1, 24, v1 :: v_dual_bitop2_b32 v6, 3, v3 bitop3:0x40
	v_bfe_u32 v9, v3, 2, 5
	v_and_b32_e32 v1, 0x80000000, v1
	s_delay_alu instid0(VALU_DEP_3) | instskip(NEXT) | instid1(VALU_DEP_3)
	v_clz_i32_u32_e32 v7, v6
	v_cmp_eq_u32_e32 vcc_lo, 0, v9
	s_delay_alu instid0(VALU_DEP_2) | instskip(NEXT) | instid1(VALU_DEP_1)
	v_min_u32_e32 v7, 32, v7
	v_subrev_nc_u32_e32 v8, 29, v7
	v_sub_nc_u32_e32 v7, 30, v7
	s_delay_alu instid0(VALU_DEP_2) | instskip(NEXT) | instid1(VALU_DEP_2)
	v_lshlrev_b32_e32 v3, v8, v3
	v_cndmask_b32_e32 v7, v9, v7, vcc_lo
	s_delay_alu instid0(VALU_DEP_2) | instskip(NEXT) | instid1(VALU_DEP_1)
	v_and_b32_e32 v3, 3, v3
	v_cndmask_b32_e32 v3, v6, v3, vcc_lo
	s_delay_alu instid0(VALU_DEP_3) | instskip(NEXT) | instid1(VALU_DEP_2)
	v_lshl_add_u32 v6, v7, 23, 0x37800000
	v_lshlrev_b32_e32 v3, 21, v3
	s_delay_alu instid0(VALU_DEP_1)
	v_or3_b32 v3, v1, v6, v3
.LBB95_622:
	s_or_b32 exec_lo, exec_lo, s25
	s_delay_alu instid0(VALU_DEP_1) | instskip(SKIP_2) | instid1(VALU_DEP_2)
	v_bfe_u32 v1, v3, 16, 1
	v_cmp_o_f32_e32 vcc_lo, v3, v3
	s_mov_b32 s1, 0
	v_add3_u32 v1, v3, v1, 0x7fff
	s_delay_alu instid0(VALU_DEP_1) | instskip(NEXT) | instid1(VALU_DEP_1)
	v_lshrrev_b32_e32 v1, 16, v1
	v_cndmask_b32_e32 v1, 0x7fc0, v1, vcc_lo
	s_branch .LBB95_628
.LBB95_623:
	s_mov_b32 s25, -1
                                        ; implicit-def: $vgpr1
	s_branch .LBB95_634
.LBB95_624:
	s_or_saveexec_b32 s25, s25
	v_mov_b32_e32 v3, 0x7f800001
	s_xor_b32 exec_lo, exec_lo, s25
	s_cbranch_execz .LBB95_607
.LBB95_625:
	v_cmp_ne_u16_e32 vcc_lo, 0, v1
	v_mov_b32_e32 v3, 0
	s_and_not1_b32 s1, s1, exec_lo
	s_and_b32 s26, vcc_lo, exec_lo
	s_delay_alu instid0(SALU_CYCLE_1)
	s_or_b32 s1, s1, s26
	s_or_b32 exec_lo, exec_lo, s25
	s_and_saveexec_b32 s25, s1
	s_cbranch_execnz .LBB95_608
	s_branch .LBB95_609
.LBB95_626:
	s_mov_b32 s1, -1
                                        ; implicit-def: $vgpr1
	s_branch .LBB95_631
.LBB95_627:
	s_mov_b32 s1, -1
                                        ; implicit-def: $vgpr1
.LBB95_628:
	s_delay_alu instid0(SALU_CYCLE_1)
	s_and_b32 vcc_lo, exec_lo, s1
	s_cbranch_vccz .LBB95_630
; %bb.629:
	s_wait_loadcnt 0x0
	global_load_u8 v1, v[4:5], off
	s_wait_loadcnt 0x0
	v_lshlrev_b32_e32 v1, 24, v1
	s_delay_alu instid0(VALU_DEP_1) | instskip(NEXT) | instid1(VALU_DEP_1)
	v_and_b32_e32 v3, 0x7f000000, v1
	v_clz_i32_u32_e32 v6, v3
	v_cmp_ne_u32_e32 vcc_lo, 0, v3
	v_add_nc_u32_e32 v8, 0x1000000, v3
	s_delay_alu instid0(VALU_DEP_3) | instskip(NEXT) | instid1(VALU_DEP_1)
	v_min_u32_e32 v6, 32, v6
	v_sub_nc_u32_e64 v6, v6, 4 clamp
	s_delay_alu instid0(VALU_DEP_1) | instskip(NEXT) | instid1(VALU_DEP_1)
	v_dual_lshlrev_b32 v7, v6, v3 :: v_dual_lshlrev_b32 v6, 23, v6
	v_lshrrev_b32_e32 v7, 4, v7
	s_delay_alu instid0(VALU_DEP_1) | instskip(NEXT) | instid1(VALU_DEP_1)
	v_dual_sub_nc_u32 v6, v7, v6 :: v_dual_ashrrev_i32 v7, 8, v8
	v_add_nc_u32_e32 v6, 0x3c000000, v6
	s_delay_alu instid0(VALU_DEP_1) | instskip(NEXT) | instid1(VALU_DEP_1)
	v_and_or_b32 v6, 0x7f800000, v7, v6
	v_cndmask_b32_e32 v3, 0, v6, vcc_lo
	s_delay_alu instid0(VALU_DEP_1) | instskip(SKIP_1) | instid1(VALU_DEP_2)
	v_and_or_b32 v1, 0x80000000, v1, v3
	v_bfe_u32 v3, v3, 16, 1
	v_cmp_o_f32_e32 vcc_lo, v1, v1
	s_delay_alu instid0(VALU_DEP_2) | instskip(NEXT) | instid1(VALU_DEP_1)
	v_add3_u32 v3, v1, v3, 0x7fff
	v_lshrrev_b32_e32 v3, 16, v3
	s_delay_alu instid0(VALU_DEP_1)
	v_cndmask_b32_e32 v1, 0x7fc0, v3, vcc_lo
.LBB95_630:
	s_mov_b32 s1, 0
.LBB95_631:
	s_delay_alu instid0(SALU_CYCLE_1)
	s_and_not1_b32 vcc_lo, exec_lo, s1
	s_cbranch_vccnz .LBB95_633
; %bb.632:
	s_wait_loadcnt 0x0
	global_load_u8 v1, v[4:5], off
	s_wait_loadcnt 0x0
	v_lshlrev_b32_e32 v3, 25, v1
	v_lshlrev_b16 v1, 8, v1
	s_delay_alu instid0(VALU_DEP_1) | instskip(SKIP_1) | instid1(VALU_DEP_2)
	v_and_or_b32 v7, 0x7f00, v1, 0.5
	v_bfe_i32 v1, v1, 0, 16
	v_add_f32_e32 v7, -0.5, v7
	v_lshrrev_b32_e32 v6, 4, v3
	v_cmp_gt_u32_e32 vcc_lo, 0x8000000, v3
	s_delay_alu instid0(VALU_DEP_2) | instskip(NEXT) | instid1(VALU_DEP_1)
	v_or_b32_e32 v6, 0x70000000, v6
	v_mul_f32_e32 v6, 0x7800000, v6
	s_delay_alu instid0(VALU_DEP_1) | instskip(NEXT) | instid1(VALU_DEP_1)
	v_cndmask_b32_e32 v3, v6, v7, vcc_lo
	v_and_or_b32 v1, 0x80000000, v1, v3
	v_bfe_u32 v3, v3, 16, 1
	s_delay_alu instid0(VALU_DEP_2) | instskip(NEXT) | instid1(VALU_DEP_2)
	v_cmp_o_f32_e32 vcc_lo, v1, v1
	v_add3_u32 v3, v1, v3, 0x7fff
	s_delay_alu instid0(VALU_DEP_1) | instskip(NEXT) | instid1(VALU_DEP_1)
	v_lshrrev_b32_e32 v3, 16, v3
	v_cndmask_b32_e32 v1, 0x7fc0, v3, vcc_lo
.LBB95_633:
	s_mov_b32 s25, 0
	s_mov_b32 s1, -1
.LBB95_634:
	s_and_not1_b32 vcc_lo, exec_lo, s25
	s_cbranch_vccnz .LBB95_647
; %bb.635:
	s_cmp_gt_i32 s0, 14
	s_cbranch_scc0 .LBB95_638
; %bb.636:
	s_cmp_eq_u32 s0, 15
	s_cbranch_scc0 .LBB95_641
; %bb.637:
	s_wait_loadcnt 0x0
	global_load_u16 v1, v[4:5], off
	s_mov_b32 s1, -1
	s_mov_b32 s24, 0
	s_branch .LBB95_642
.LBB95_638:
	s_mov_b32 s25, -1
                                        ; implicit-def: $vgpr1
	s_branch .LBB95_643
.LBB95_639:
	s_or_saveexec_b32 s25, s25
	v_mov_b32_e32 v3, 0x7f800001
	s_xor_b32 exec_lo, exec_lo, s25
	s_cbranch_execz .LBB95_620
.LBB95_640:
	v_cmp_ne_u16_e32 vcc_lo, 0, v1
	v_mov_b32_e32 v3, 0
	s_and_not1_b32 s1, s1, exec_lo
	s_and_b32 s26, vcc_lo, exec_lo
	s_delay_alu instid0(SALU_CYCLE_1)
	s_or_b32 s1, s1, s26
	s_or_b32 exec_lo, exec_lo, s25
	s_and_saveexec_b32 s25, s1
	s_cbranch_execnz .LBB95_621
	s_branch .LBB95_622
.LBB95_641:
	s_mov_b32 s24, -1
                                        ; implicit-def: $vgpr1
.LBB95_642:
	s_mov_b32 s25, 0
.LBB95_643:
	s_delay_alu instid0(SALU_CYCLE_1)
	s_and_b32 vcc_lo, exec_lo, s25
	s_cbranch_vccz .LBB95_647
; %bb.644:
	s_cmp_eq_u32 s0, 11
	s_cbranch_scc0 .LBB95_646
; %bb.645:
	s_wait_loadcnt 0x0
	global_load_u8 v1, v[4:5], off
	s_mov_b32 s24, 0
	s_mov_b32 s1, -1
	s_wait_loadcnt 0x0
	v_cmp_ne_u16_e32 vcc_lo, 0, v1
	v_cndmask_b32_e64 v1, 0, 1.0, vcc_lo
	s_delay_alu instid0(VALU_DEP_1)
	v_lshrrev_b32_e32 v1, 16, v1
	s_branch .LBB95_647
.LBB95_646:
	s_mov_b32 s24, -1
                                        ; implicit-def: $vgpr1
.LBB95_647:
	s_mov_b32 s25, 0
.LBB95_648:
	s_delay_alu instid0(SALU_CYCLE_1)
	s_and_b32 vcc_lo, exec_lo, s25
	s_cbranch_vccz .LBB95_697
; %bb.649:
	s_cmp_lt_i32 s0, 5
	s_cbranch_scc1 .LBB95_654
; %bb.650:
	s_cmp_lt_i32 s0, 8
	s_cbranch_scc1 .LBB95_655
	;; [unrolled: 3-line block ×3, first 2 shown]
; %bb.652:
	s_cmp_gt_i32 s0, 9
	s_cbranch_scc0 .LBB95_657
; %bb.653:
	global_load_b64 v[6:7], v[4:5], off
	s_mov_b32 s1, 0
	s_wait_loadcnt 0x0
	v_cvt_f32_f64_e32 v1, v[6:7]
	s_delay_alu instid0(VALU_DEP_1) | instskip(SKIP_1) | instid1(VALU_DEP_2)
	v_bfe_u32 v3, v1, 16, 1
	v_cmp_o_f32_e32 vcc_lo, v1, v1
	v_add3_u32 v3, v1, v3, 0x7fff
	s_delay_alu instid0(VALU_DEP_1) | instskip(NEXT) | instid1(VALU_DEP_1)
	v_lshrrev_b32_e32 v3, 16, v3
	v_cndmask_b32_e32 v1, 0x7fc0, v3, vcc_lo
	s_branch .LBB95_658
.LBB95_654:
	s_mov_b32 s1, -1
                                        ; implicit-def: $vgpr1
	s_branch .LBB95_676
.LBB95_655:
	s_mov_b32 s1, -1
                                        ; implicit-def: $vgpr1
	s_branch .LBB95_664
.LBB95_656:
	s_mov_b32 s1, -1
                                        ; implicit-def: $vgpr1
	s_branch .LBB95_661
.LBB95_657:
	s_mov_b32 s1, -1
                                        ; implicit-def: $vgpr1
.LBB95_658:
	s_delay_alu instid0(SALU_CYCLE_1)
	s_and_not1_b32 vcc_lo, exec_lo, s1
	s_cbranch_vccnz .LBB95_660
; %bb.659:
	s_wait_loadcnt 0x0
	global_load_b32 v1, v[4:5], off
	s_wait_loadcnt 0x0
	v_bfe_u32 v3, v1, 16, 1
	v_cmp_o_f32_e32 vcc_lo, v1, v1
	s_delay_alu instid0(VALU_DEP_2) | instskip(NEXT) | instid1(VALU_DEP_1)
	v_add3_u32 v3, v1, v3, 0x7fff
	v_lshrrev_b32_e32 v3, 16, v3
	s_delay_alu instid0(VALU_DEP_1)
	v_cndmask_b32_e32 v1, 0x7fc0, v3, vcc_lo
.LBB95_660:
	s_mov_b32 s1, 0
.LBB95_661:
	s_delay_alu instid0(SALU_CYCLE_1)
	s_and_not1_b32 vcc_lo, exec_lo, s1
	s_cbranch_vccnz .LBB95_663
; %bb.662:
	s_wait_loadcnt 0x0
	global_load_b32 v1, v[4:5], off
	s_wait_loadcnt 0x0
	v_cvt_f32_f16_e32 v3, v1
	v_cmp_o_f16_e32 vcc_lo, v1, v1
	s_delay_alu instid0(VALU_DEP_2) | instskip(NEXT) | instid1(VALU_DEP_1)
	v_bfe_u32 v6, v3, 16, 1
	v_add3_u32 v3, v3, v6, 0x7fff
	s_delay_alu instid0(VALU_DEP_1) | instskip(NEXT) | instid1(VALU_DEP_1)
	v_lshrrev_b32_e32 v3, 16, v3
	v_cndmask_b32_e32 v1, 0x7fc0, v3, vcc_lo
.LBB95_663:
	s_mov_b32 s1, 0
.LBB95_664:
	s_delay_alu instid0(SALU_CYCLE_1)
	s_and_not1_b32 vcc_lo, exec_lo, s1
	s_cbranch_vccnz .LBB95_675
; %bb.665:
	s_cmp_lt_i32 s0, 6
	s_cbranch_scc1 .LBB95_668
; %bb.666:
	s_cmp_gt_i32 s0, 6
	s_cbranch_scc0 .LBB95_669
; %bb.667:
	global_load_b64 v[6:7], v[4:5], off
	s_mov_b32 s1, 0
	s_wait_loadcnt 0x0
	v_cvt_f32_f64_e32 v1, v[6:7]
	s_delay_alu instid0(VALU_DEP_1) | instskip(SKIP_1) | instid1(VALU_DEP_2)
	v_bfe_u32 v3, v1, 16, 1
	v_cmp_o_f32_e32 vcc_lo, v1, v1
	v_add3_u32 v3, v1, v3, 0x7fff
	s_delay_alu instid0(VALU_DEP_1) | instskip(NEXT) | instid1(VALU_DEP_1)
	v_lshrrev_b32_e32 v3, 16, v3
	v_cndmask_b32_e32 v1, 0x7fc0, v3, vcc_lo
	s_branch .LBB95_670
.LBB95_668:
	s_mov_b32 s1, -1
                                        ; implicit-def: $vgpr1
	s_branch .LBB95_673
.LBB95_669:
	s_mov_b32 s1, -1
                                        ; implicit-def: $vgpr1
.LBB95_670:
	s_delay_alu instid0(SALU_CYCLE_1)
	s_and_not1_b32 vcc_lo, exec_lo, s1
	s_cbranch_vccnz .LBB95_672
; %bb.671:
	s_wait_loadcnt 0x0
	global_load_b32 v1, v[4:5], off
	s_wait_loadcnt 0x0
	v_bfe_u32 v3, v1, 16, 1
	v_cmp_o_f32_e32 vcc_lo, v1, v1
	s_delay_alu instid0(VALU_DEP_2) | instskip(NEXT) | instid1(VALU_DEP_1)
	v_add3_u32 v3, v1, v3, 0x7fff
	v_lshrrev_b32_e32 v3, 16, v3
	s_delay_alu instid0(VALU_DEP_1)
	v_cndmask_b32_e32 v1, 0x7fc0, v3, vcc_lo
.LBB95_672:
	s_mov_b32 s1, 0
.LBB95_673:
	s_delay_alu instid0(SALU_CYCLE_1)
	s_and_not1_b32 vcc_lo, exec_lo, s1
	s_cbranch_vccnz .LBB95_675
; %bb.674:
	s_wait_loadcnt 0x0
	global_load_u16 v1, v[4:5], off
	s_wait_loadcnt 0x0
	v_cvt_f32_f16_e32 v3, v1
	v_cmp_o_f16_e32 vcc_lo, v1, v1
	s_delay_alu instid0(VALU_DEP_2) | instskip(NEXT) | instid1(VALU_DEP_1)
	v_bfe_u32 v6, v3, 16, 1
	v_add3_u32 v3, v3, v6, 0x7fff
	s_delay_alu instid0(VALU_DEP_1) | instskip(NEXT) | instid1(VALU_DEP_1)
	v_lshrrev_b32_e32 v3, 16, v3
	v_cndmask_b32_e32 v1, 0x7fc0, v3, vcc_lo
.LBB95_675:
	s_mov_b32 s1, 0
.LBB95_676:
	s_delay_alu instid0(SALU_CYCLE_1)
	s_and_not1_b32 vcc_lo, exec_lo, s1
	s_cbranch_vccnz .LBB95_696
; %bb.677:
	s_cmp_lt_i32 s0, 2
	s_cbranch_scc1 .LBB95_681
; %bb.678:
	s_cmp_lt_i32 s0, 3
	s_cbranch_scc1 .LBB95_682
; %bb.679:
	s_cmp_gt_i32 s0, 3
	s_cbranch_scc0 .LBB95_683
; %bb.680:
	global_load_b64 v[6:7], v[4:5], off
	s_mov_b32 s1, 0
	s_wait_loadcnt 0x0
	v_xor_b32_e32 v1, v6, v7
	v_cls_i32_e32 v3, v7
	s_delay_alu instid0(VALU_DEP_2) | instskip(NEXT) | instid1(VALU_DEP_1)
	v_ashrrev_i32_e32 v1, 31, v1
	v_add_nc_u32_e32 v1, 32, v1
	s_delay_alu instid0(VALU_DEP_1) | instskip(NEXT) | instid1(VALU_DEP_1)
	v_add_min_u32_e64 v1, v3, -1, v1
	v_lshlrev_b64_e32 v[6:7], v1, v[6:7]
	v_sub_nc_u32_e32 v1, 32, v1
	s_delay_alu instid0(VALU_DEP_2) | instskip(NEXT) | instid1(VALU_DEP_1)
	v_min_u32_e32 v3, 1, v6
	v_or_b32_e32 v3, v7, v3
	s_delay_alu instid0(VALU_DEP_1) | instskip(NEXT) | instid1(VALU_DEP_1)
	v_cvt_f32_i32_e32 v3, v3
	v_ldexp_f32 v1, v3, v1
	s_delay_alu instid0(VALU_DEP_1) | instskip(NEXT) | instid1(VALU_DEP_1)
	v_bfe_u32 v3, v1, 16, 1
	v_add3_u32 v1, v1, v3, 0x7fff
	s_delay_alu instid0(VALU_DEP_1)
	v_lshrrev_b32_e32 v1, 16, v1
	s_branch .LBB95_684
.LBB95_681:
	s_mov_b32 s1, -1
                                        ; implicit-def: $vgpr1
	s_branch .LBB95_690
.LBB95_682:
	s_mov_b32 s1, -1
                                        ; implicit-def: $vgpr1
	s_branch .LBB95_687
.LBB95_683:
	s_mov_b32 s1, -1
                                        ; implicit-def: $vgpr1
.LBB95_684:
	s_delay_alu instid0(SALU_CYCLE_1)
	s_and_not1_b32 vcc_lo, exec_lo, s1
	s_cbranch_vccnz .LBB95_686
; %bb.685:
	s_wait_loadcnt 0x0
	global_load_b32 v1, v[4:5], off
	s_wait_loadcnt 0x0
	v_cvt_f32_i32_e32 v1, v1
	s_delay_alu instid0(VALU_DEP_1) | instskip(NEXT) | instid1(VALU_DEP_1)
	v_bfe_u32 v3, v1, 16, 1
	v_add3_u32 v1, v1, v3, 0x7fff
	s_delay_alu instid0(VALU_DEP_1)
	v_lshrrev_b32_e32 v1, 16, v1
.LBB95_686:
	s_mov_b32 s1, 0
.LBB95_687:
	s_delay_alu instid0(SALU_CYCLE_1)
	s_and_not1_b32 vcc_lo, exec_lo, s1
	s_cbranch_vccnz .LBB95_689
; %bb.688:
	s_wait_loadcnt 0x0
	global_load_i16 v1, v[4:5], off
	s_wait_loadcnt 0x0
	v_cvt_f32_i32_e32 v1, v1
	s_delay_alu instid0(VALU_DEP_1) | instskip(NEXT) | instid1(VALU_DEP_1)
	v_bfe_u32 v3, v1, 16, 1
	v_add3_u32 v1, v1, v3, 0x7fff
	s_delay_alu instid0(VALU_DEP_1)
	v_lshrrev_b32_e32 v1, 16, v1
.LBB95_689:
	s_mov_b32 s1, 0
.LBB95_690:
	s_delay_alu instid0(SALU_CYCLE_1)
	s_and_not1_b32 vcc_lo, exec_lo, s1
	s_cbranch_vccnz .LBB95_696
; %bb.691:
	s_cmp_gt_i32 s0, 0
	s_mov_b32 s0, 0
	s_cbranch_scc0 .LBB95_693
; %bb.692:
	s_wait_loadcnt 0x0
	global_load_i8 v1, v[4:5], off
	s_wait_loadcnt 0x0
	v_cvt_f32_i32_e32 v1, v1
	s_delay_alu instid0(VALU_DEP_1) | instskip(NEXT) | instid1(VALU_DEP_1)
	v_bfe_u32 v3, v1, 16, 1
	v_add3_u32 v1, v1, v3, 0x7fff
	s_delay_alu instid0(VALU_DEP_1)
	v_lshrrev_b32_e32 v1, 16, v1
	s_branch .LBB95_694
.LBB95_693:
	s_mov_b32 s0, -1
                                        ; implicit-def: $vgpr1
.LBB95_694:
	s_delay_alu instid0(SALU_CYCLE_1)
	s_and_not1_b32 vcc_lo, exec_lo, s0
	s_cbranch_vccnz .LBB95_696
; %bb.695:
	s_wait_loadcnt 0x0
	global_load_u8 v1, v[4:5], off
	s_wait_loadcnt 0x0
	v_cvt_f32_ubyte0_e32 v1, v1
	s_delay_alu instid0(VALU_DEP_1) | instskip(NEXT) | instid1(VALU_DEP_1)
	v_bfe_u32 v3, v1, 16, 1
	v_add3_u32 v1, v1, v3, 0x7fff
	s_delay_alu instid0(VALU_DEP_1)
	v_lshrrev_b32_e32 v1, 16, v1
.LBB95_696:
	s_mov_b32 s1, -1
.LBB95_697:
	s_delay_alu instid0(SALU_CYCLE_1)
	s_and_not1_b32 vcc_lo, exec_lo, s1
	s_cbranch_vccnz .LBB95_705
; %bb.698:
	s_wait_loadcnt 0x0
	v_dual_mov_b32 v3, 0 :: v_dual_lshlrev_b32 v1, 16, v1
	s_and_b32 s25, s34, 0xff
	s_delay_alu instid0(SALU_CYCLE_1) | instskip(NEXT) | instid1(VALU_DEP_1)
	s_cmp_lt_i32 s25, 11
	v_add_nc_u64_e32 v[2:3], s[4:5], v[2:3]
	s_delay_alu instid0(VALU_DEP_2)
	v_cmp_eq_f32_e64 s0, 0xff800000, v1
	s_cbranch_scc1 .LBB95_706
; %bb.699:
	s_and_b32 s26, 0xffff, s25
	s_delay_alu instid0(SALU_CYCLE_1)
	s_cmp_gt_i32 s26, 25
	s_cbranch_scc0 .LBB95_707
; %bb.700:
	s_cmp_gt_i32 s26, 28
	s_cbranch_scc0 .LBB95_708
; %bb.701:
	;; [unrolled: 3-line block ×4, first 2 shown]
	s_mov_b32 s45, 0
	s_mov_b32 s1, -1
	s_cmp_eq_u32 s26, 46
	s_mov_b32 s27, 0
	s_cbranch_scc0 .LBB95_711
; %bb.704:
	v_cndmask_b32_e64 v1, 0, 1.0, s0
	s_mov_b32 s27, -1
	s_mov_b32 s1, 0
	s_wait_xcnt 0x0
	s_delay_alu instid0(VALU_DEP_1) | instskip(NEXT) | instid1(VALU_DEP_1)
	v_bfe_u32 v4, v1, 16, 1
	v_add3_u32 v1, v1, v4, 0x7fff
	s_delay_alu instid0(VALU_DEP_1)
	v_lshrrev_b32_e32 v1, 16, v1
	global_store_b32 v[2:3], v1, off
	s_branch .LBB95_711
.LBB95_705:
	s_mov_b32 s0, 0
	s_mov_b32 s1, s42
	s_branch .LBB95_822
.LBB95_706:
	s_mov_b32 s26, -1
	s_mov_b32 s27, 0
	s_mov_b32 s1, s42
	s_branch .LBB95_780
.LBB95_707:
	s_mov_b32 s45, -1
	s_mov_b32 s27, 0
	s_mov_b32 s1, s42
	s_branch .LBB95_738
.LBB95_708:
	s_mov_b32 s45, -1
	s_mov_b32 s27, 0
	s_mov_b32 s1, s42
	s_branch .LBB95_721
.LBB95_709:
	s_mov_b32 s45, -1
	s_mov_b32 s27, 0
	s_mov_b32 s1, s42
	s_branch .LBB95_717
.LBB95_710:
	s_mov_b32 s45, -1
	s_mov_b32 s27, 0
	s_mov_b32 s1, s42
.LBB95_711:
	s_and_b32 vcc_lo, exec_lo, s45
	s_cbranch_vccz .LBB95_716
; %bb.712:
	s_cmp_eq_u32 s26, 44
	s_mov_b32 s1, -1
	s_cbranch_scc0 .LBB95_716
; %bb.713:
	s_wait_xcnt 0x0
	v_cndmask_b32_e64 v5, 0, 1.0, s0
	s_mov_b32 s27, exec_lo
	s_delay_alu instid0(VALU_DEP_1) | instskip(NEXT) | instid1(VALU_DEP_1)
	v_dual_mov_b32 v4, 0xff :: v_dual_lshrrev_b32 v1, 23, v5
	v_cmpx_ne_u32_e32 0xff, v1
; %bb.714:
	v_and_b32_e32 v4, 0x400000, v5
	v_and_or_b32 v5, 0x3fffff, v5, v1
	s_delay_alu instid0(VALU_DEP_2) | instskip(NEXT) | instid1(VALU_DEP_2)
	v_cmp_ne_u32_e32 vcc_lo, 0, v4
	v_cmp_ne_u32_e64 s1, 0, v5
	s_and_b32 s1, vcc_lo, s1
	s_delay_alu instid0(SALU_CYCLE_1) | instskip(NEXT) | instid1(VALU_DEP_1)
	v_cndmask_b32_e64 v4, 0, 1, s1
	v_add_nc_u32_e32 v4, v1, v4
; %bb.715:
	s_or_b32 exec_lo, exec_lo, s27
	s_mov_b32 s27, -1
	s_mov_b32 s1, 0
	global_store_b8 v[2:3], v4, off
.LBB95_716:
	s_mov_b32 s45, 0
.LBB95_717:
	s_delay_alu instid0(SALU_CYCLE_1)
	s_and_b32 vcc_lo, exec_lo, s45
	s_cbranch_vccz .LBB95_720
; %bb.718:
	s_cmp_eq_u32 s26, 29
	s_mov_b32 s1, -1
	s_cbranch_scc0 .LBB95_720
; %bb.719:
	s_mov_b32 s1, 0
	s_wait_xcnt 0x0
	v_cndmask_b32_e64 v4, 0, 1, s0
	v_mov_b32_e32 v5, s1
	s_mov_b32 s27, -1
	s_mov_b32 s45, 0
	global_store_b64 v[2:3], v[4:5], off
	s_branch .LBB95_721
.LBB95_720:
	s_mov_b32 s45, 0
.LBB95_721:
	s_delay_alu instid0(SALU_CYCLE_1)
	s_and_b32 vcc_lo, exec_lo, s45
	s_cbranch_vccz .LBB95_737
; %bb.722:
	s_cmp_lt_i32 s26, 27
	s_mov_b32 s27, -1
	s_cbranch_scc1 .LBB95_728
; %bb.723:
	s_cmp_gt_i32 s26, 27
	s_cbranch_scc0 .LBB95_725
; %bb.724:
	s_wait_xcnt 0x0
	v_cndmask_b32_e64 v1, 0, 1, s0
	s_mov_b32 s27, 0
	global_store_b32 v[2:3], v1, off
.LBB95_725:
	s_and_not1_b32 vcc_lo, exec_lo, s27
	s_cbranch_vccnz .LBB95_727
; %bb.726:
	s_wait_xcnt 0x0
	v_cndmask_b32_e64 v1, 0, 1, s0
	global_store_b16 v[2:3], v1, off
.LBB95_727:
	s_mov_b32 s27, 0
.LBB95_728:
	s_delay_alu instid0(SALU_CYCLE_1)
	s_and_not1_b32 vcc_lo, exec_lo, s27
	s_cbranch_vccnz .LBB95_736
; %bb.729:
	s_wait_xcnt 0x0
	v_cndmask_b32_e64 v4, 0, 1.0, s0
	v_mov_b32_e32 v5, 0x80
	s_mov_b32 s27, exec_lo
	s_delay_alu instid0(VALU_DEP_2)
	v_cmpx_gt_u32_e32 0x43800000, v4
	s_cbranch_execz .LBB95_735
; %bb.730:
	s_mov_b32 s45, 0
	s_mov_b32 s46, exec_lo
                                        ; implicit-def: $vgpr1
	v_cmpx_lt_u32_e32 0x3bffffff, v4
	s_xor_b32 s46, exec_lo, s46
	s_cbranch_execz .LBB95_854
; %bb.731:
	v_bfe_u32 v1, v4, 20, 1
	s_mov_b32 s45, exec_lo
	s_delay_alu instid0(VALU_DEP_1) | instskip(NEXT) | instid1(VALU_DEP_1)
	v_add3_u32 v1, v4, v1, 0x487ffff
                                        ; implicit-def: $vgpr4
	v_lshrrev_b32_e32 v1, 20, v1
	s_and_not1_saveexec_b32 s46, s46
	s_cbranch_execnz .LBB95_855
.LBB95_732:
	s_or_b32 exec_lo, exec_lo, s46
	v_mov_b32_e32 v5, 0
	s_and_saveexec_b32 s46, s45
.LBB95_733:
	v_mov_b32_e32 v5, v1
.LBB95_734:
	s_or_b32 exec_lo, exec_lo, s46
.LBB95_735:
	s_delay_alu instid0(SALU_CYCLE_1)
	s_or_b32 exec_lo, exec_lo, s27
	global_store_b8 v[2:3], v5, off
.LBB95_736:
	s_mov_b32 s27, -1
.LBB95_737:
	s_mov_b32 s45, 0
.LBB95_738:
	s_delay_alu instid0(SALU_CYCLE_1)
	s_and_b32 vcc_lo, exec_lo, s45
	s_cbranch_vccz .LBB95_779
; %bb.739:
	s_cmp_gt_i32 s26, 22
	s_mov_b32 s45, -1
	s_cbranch_scc0 .LBB95_771
; %bb.740:
	s_cmp_lt_i32 s26, 24
	s_mov_b32 s27, -1
	s_cbranch_scc1 .LBB95_760
; %bb.741:
	s_cmp_gt_i32 s26, 24
	s_cbranch_scc0 .LBB95_749
; %bb.742:
	s_wait_xcnt 0x0
	v_cndmask_b32_e64 v4, 0, 1.0, s0
	v_mov_b32_e32 v5, 0x80
	s_mov_b32 s27, exec_lo
	s_delay_alu instid0(VALU_DEP_2)
	v_cmpx_gt_u32_e32 0x47800000, v4
	s_cbranch_execz .LBB95_748
; %bb.743:
	s_mov_b32 s45, 0
	s_mov_b32 s46, exec_lo
                                        ; implicit-def: $vgpr1
	v_cmpx_lt_u32_e32 0x37ffffff, v4
	s_xor_b32 s46, exec_lo, s46
	s_cbranch_execz .LBB95_857
; %bb.744:
	v_bfe_u32 v1, v4, 21, 1
	s_mov_b32 s45, exec_lo
	s_delay_alu instid0(VALU_DEP_1) | instskip(NEXT) | instid1(VALU_DEP_1)
	v_add3_u32 v1, v4, v1, 0x88fffff
                                        ; implicit-def: $vgpr4
	v_lshrrev_b32_e32 v1, 21, v1
	s_and_not1_saveexec_b32 s46, s46
	s_cbranch_execnz .LBB95_858
.LBB95_745:
	s_or_b32 exec_lo, exec_lo, s46
	v_mov_b32_e32 v5, 0
	s_and_saveexec_b32 s46, s45
.LBB95_746:
	v_mov_b32_e32 v5, v1
.LBB95_747:
	s_or_b32 exec_lo, exec_lo, s46
.LBB95_748:
	s_delay_alu instid0(SALU_CYCLE_1)
	s_or_b32 exec_lo, exec_lo, s27
	s_mov_b32 s27, 0
	global_store_b8 v[2:3], v5, off
.LBB95_749:
	s_and_b32 vcc_lo, exec_lo, s27
	s_cbranch_vccz .LBB95_759
; %bb.750:
	s_wait_xcnt 0x0
	v_cndmask_b32_e64 v4, 0, 1.0, s0
	s_mov_b32 s27, exec_lo
                                        ; implicit-def: $vgpr1
	s_delay_alu instid0(VALU_DEP_1)
	v_cmpx_gt_u32_e32 0x43f00000, v4
	s_xor_b32 s27, exec_lo, s27
	s_cbranch_execz .LBB95_756
; %bb.751:
	s_mov_b32 s45, exec_lo
                                        ; implicit-def: $vgpr1
	v_cmpx_lt_u32_e32 0x3c7fffff, v4
	s_xor_b32 s45, exec_lo, s45
; %bb.752:
	v_bfe_u32 v1, v4, 20, 1
	s_delay_alu instid0(VALU_DEP_1) | instskip(NEXT) | instid1(VALU_DEP_1)
	v_add3_u32 v1, v4, v1, 0x407ffff
	v_and_b32_e32 v4, 0xff00000, v1
	v_lshrrev_b32_e32 v1, 20, v1
	s_delay_alu instid0(VALU_DEP_2) | instskip(NEXT) | instid1(VALU_DEP_2)
	v_cmp_ne_u32_e32 vcc_lo, 0x7f00000, v4
                                        ; implicit-def: $vgpr4
	v_cndmask_b32_e32 v1, 0x7e, v1, vcc_lo
; %bb.753:
	s_and_not1_saveexec_b32 s45, s45
; %bb.754:
	v_add_f32_e32 v1, 0x46800000, v4
; %bb.755:
	s_or_b32 exec_lo, exec_lo, s45
                                        ; implicit-def: $vgpr4
.LBB95_756:
	s_and_not1_saveexec_b32 s27, s27
; %bb.757:
	v_mov_b32_e32 v1, 0x7f
	v_cmp_lt_u32_e32 vcc_lo, 0x7f800000, v4
	s_delay_alu instid0(VALU_DEP_2)
	v_cndmask_b32_e32 v1, 0x7e, v1, vcc_lo
; %bb.758:
	s_or_b32 exec_lo, exec_lo, s27
	global_store_b8 v[2:3], v1, off
.LBB95_759:
	s_mov_b32 s27, 0
.LBB95_760:
	s_delay_alu instid0(SALU_CYCLE_1)
	s_and_not1_b32 vcc_lo, exec_lo, s27
	s_cbranch_vccnz .LBB95_770
; %bb.761:
	s_wait_xcnt 0x0
	v_cndmask_b32_e64 v4, 0, 1.0, s0
	s_mov_b32 s27, exec_lo
                                        ; implicit-def: $vgpr1
	s_delay_alu instid0(VALU_DEP_1)
	v_cmpx_gt_u32_e32 0x47800000, v4
	s_xor_b32 s27, exec_lo, s27
	s_cbranch_execz .LBB95_767
; %bb.762:
	s_mov_b32 s45, exec_lo
                                        ; implicit-def: $vgpr1
	v_cmpx_lt_u32_e32 0x387fffff, v4
	s_xor_b32 s45, exec_lo, s45
; %bb.763:
	v_bfe_u32 v1, v4, 21, 1
	s_delay_alu instid0(VALU_DEP_1) | instskip(NEXT) | instid1(VALU_DEP_1)
	v_add3_u32 v1, v4, v1, 0x80fffff
                                        ; implicit-def: $vgpr4
	v_lshrrev_b32_e32 v1, 21, v1
; %bb.764:
	s_and_not1_saveexec_b32 s45, s45
; %bb.765:
	v_add_f32_e32 v1, 0x43000000, v4
; %bb.766:
	s_or_b32 exec_lo, exec_lo, s45
                                        ; implicit-def: $vgpr4
.LBB95_767:
	s_and_not1_saveexec_b32 s27, s27
; %bb.768:
	v_mov_b32_e32 v1, 0x7f
	v_cmp_lt_u32_e32 vcc_lo, 0x7f800000, v4
	s_delay_alu instid0(VALU_DEP_2)
	v_cndmask_b32_e32 v1, 0x7c, v1, vcc_lo
; %bb.769:
	s_or_b32 exec_lo, exec_lo, s27
	global_store_b8 v[2:3], v1, off
.LBB95_770:
	s_mov_b32 s45, 0
	s_mov_b32 s27, -1
.LBB95_771:
	s_and_not1_b32 vcc_lo, exec_lo, s45
	s_cbranch_vccnz .LBB95_779
; %bb.772:
	s_cmp_gt_i32 s26, 14
	s_mov_b32 s45, -1
	s_cbranch_scc0 .LBB95_776
; %bb.773:
	s_cmp_eq_u32 s26, 15
	s_mov_b32 s1, -1
	s_cbranch_scc0 .LBB95_775
; %bb.774:
	s_wait_xcnt 0x0
	v_cndmask_b32_e64 v1, 0, 1.0, s0
	s_mov_b32 s27, -1
	s_mov_b32 s1, 0
	s_delay_alu instid0(VALU_DEP_1) | instskip(NEXT) | instid1(VALU_DEP_1)
	v_bfe_u32 v4, v1, 16, 1
	v_add3_u32 v1, v1, v4, 0x7fff
	global_store_d16_hi_b16 v[2:3], v1, off
.LBB95_775:
	s_mov_b32 s45, 0
.LBB95_776:
	s_delay_alu instid0(SALU_CYCLE_1)
	s_and_b32 vcc_lo, exec_lo, s45
	s_cbranch_vccz .LBB95_779
; %bb.777:
	s_cmp_eq_u32 s26, 11
	s_mov_b32 s1, -1
	s_cbranch_scc0 .LBB95_779
; %bb.778:
	s_wait_xcnt 0x0
	v_cndmask_b32_e64 v1, 0, 1, s0
	s_mov_b32 s27, -1
	s_mov_b32 s1, 0
	global_store_b8 v[2:3], v1, off
.LBB95_779:
	s_mov_b32 s26, 0
.LBB95_780:
	s_delay_alu instid0(SALU_CYCLE_1)
	s_and_b32 vcc_lo, exec_lo, s26
	s_cbranch_vccz .LBB95_819
; %bb.781:
	s_and_b32 s25, 0xffff, s25
	s_mov_b32 s26, -1
	s_cmp_lt_i32 s25, 5
	s_cbranch_scc1 .LBB95_802
; %bb.782:
	s_cmp_lt_i32 s25, 8
	s_cbranch_scc1 .LBB95_792
; %bb.783:
	;; [unrolled: 3-line block ×3, first 2 shown]
	s_cmp_gt_i32 s25, 9
	s_cbranch_scc0 .LBB95_786
; %bb.785:
	s_wait_xcnt 0x0
	v_cndmask_b32_e64 v1, 0, 1, s0
	v_mov_b32_e32 v6, 0
	s_mov_b32 s26, 0
	s_delay_alu instid0(VALU_DEP_2) | instskip(NEXT) | instid1(VALU_DEP_2)
	v_cvt_f64_u32_e32 v[4:5], v1
	v_mov_b32_e32 v7, v6
	global_store_b128 v[2:3], v[4:7], off
.LBB95_786:
	s_and_not1_b32 vcc_lo, exec_lo, s26
	s_cbranch_vccnz .LBB95_788
; %bb.787:
	s_wait_xcnt 0x0
	v_cndmask_b32_e64 v4, 0, 1.0, s0
	v_mov_b32_e32 v5, 0
	global_store_b64 v[2:3], v[4:5], off
.LBB95_788:
	s_mov_b32 s26, 0
.LBB95_789:
	s_delay_alu instid0(SALU_CYCLE_1)
	s_and_not1_b32 vcc_lo, exec_lo, s26
	s_cbranch_vccnz .LBB95_791
; %bb.790:
	s_wait_xcnt 0x0
	v_cndmask_b32_e64 v1, 0, 1.0, s0
	s_delay_alu instid0(VALU_DEP_1) | instskip(NEXT) | instid1(VALU_DEP_1)
	v_cvt_f16_f32_e32 v1, v1
	v_and_b32_e32 v1, 0xffff, v1
	global_store_b32 v[2:3], v1, off
.LBB95_791:
	s_mov_b32 s26, 0
.LBB95_792:
	s_delay_alu instid0(SALU_CYCLE_1)
	s_and_not1_b32 vcc_lo, exec_lo, s26
	s_cbranch_vccnz .LBB95_801
; %bb.793:
	s_cmp_lt_i32 s25, 6
	s_mov_b32 s26, -1
	s_cbranch_scc1 .LBB95_799
; %bb.794:
	s_cmp_gt_i32 s25, 6
	s_cbranch_scc0 .LBB95_796
; %bb.795:
	s_wait_xcnt 0x0
	v_cndmask_b32_e64 v1, 0, 1, s0
	s_mov_b32 s26, 0
	s_delay_alu instid0(VALU_DEP_1)
	v_cvt_f64_u32_e32 v[4:5], v1
	global_store_b64 v[2:3], v[4:5], off
.LBB95_796:
	s_and_not1_b32 vcc_lo, exec_lo, s26
	s_cbranch_vccnz .LBB95_798
; %bb.797:
	s_wait_xcnt 0x0
	v_cndmask_b32_e64 v1, 0, 1.0, s0
	global_store_b32 v[2:3], v1, off
.LBB95_798:
	s_mov_b32 s26, 0
.LBB95_799:
	s_delay_alu instid0(SALU_CYCLE_1)
	s_and_not1_b32 vcc_lo, exec_lo, s26
	s_cbranch_vccnz .LBB95_801
; %bb.800:
	s_wait_xcnt 0x0
	v_cndmask_b32_e64 v1, 0, 1.0, s0
	s_delay_alu instid0(VALU_DEP_1)
	v_cvt_f16_f32_e32 v1, v1
	global_store_b16 v[2:3], v1, off
.LBB95_801:
	s_mov_b32 s26, 0
.LBB95_802:
	s_delay_alu instid0(SALU_CYCLE_1)
	s_and_not1_b32 vcc_lo, exec_lo, s26
	s_cbranch_vccnz .LBB95_818
; %bb.803:
	s_cmp_lt_i32 s25, 2
	s_mov_b32 s26, -1
	s_cbranch_scc1 .LBB95_813
; %bb.804:
	s_cmp_lt_i32 s25, 3
	s_cbranch_scc1 .LBB95_810
; %bb.805:
	s_cmp_gt_i32 s25, 3
	s_cbranch_scc0 .LBB95_807
; %bb.806:
	s_mov_b32 s26, 0
	s_wait_xcnt 0x0
	v_cndmask_b32_e64 v4, 0, 1, s0
	v_mov_b32_e32 v5, s26
	global_store_b64 v[2:3], v[4:5], off
.LBB95_807:
	s_and_not1_b32 vcc_lo, exec_lo, s26
	s_cbranch_vccnz .LBB95_809
; %bb.808:
	s_wait_xcnt 0x0
	v_cndmask_b32_e64 v1, 0, 1, s0
	global_store_b32 v[2:3], v1, off
.LBB95_809:
	s_mov_b32 s26, 0
.LBB95_810:
	s_delay_alu instid0(SALU_CYCLE_1)
	s_and_not1_b32 vcc_lo, exec_lo, s26
	s_cbranch_vccnz .LBB95_812
; %bb.811:
	s_wait_xcnt 0x0
	v_cndmask_b32_e64 v1, 0, 1, s0
	global_store_b16 v[2:3], v1, off
.LBB95_812:
	s_mov_b32 s26, 0
.LBB95_813:
	s_delay_alu instid0(SALU_CYCLE_1)
	s_and_not1_b32 vcc_lo, exec_lo, s26
	s_cbranch_vccnz .LBB95_818
; %bb.814:
	s_wait_xcnt 0x0
	v_cndmask_b32_e64 v1, 0, 1, s0
	s_cmp_gt_i32 s25, 0
	s_mov_b32 s0, -1
	s_cbranch_scc0 .LBB95_816
; %bb.815:
	s_mov_b32 s0, 0
	global_store_b8 v[2:3], v1, off
.LBB95_816:
	s_and_not1_b32 vcc_lo, exec_lo, s0
	s_cbranch_vccnz .LBB95_818
; %bb.817:
	global_store_b8 v[2:3], v1, off
.LBB95_818:
	s_mov_b32 s27, -1
.LBB95_819:
	s_delay_alu instid0(SALU_CYCLE_1)
	s_and_not1_b32 vcc_lo, exec_lo, s27
	s_cbranch_vccnz .LBB95_821
; %bb.820:
	v_add_nc_u32_e32 v0, 0x80, v0
	s_mov_b32 s0, -1
	s_branch .LBB95_823
.LBB95_821:
	s_mov_b32 s0, 0
.LBB95_822:
                                        ; implicit-def: $vgpr0
.LBB95_823:
	s_and_not1_b32 s25, s42, exec_lo
	s_and_b32 s1, s1, exec_lo
	s_and_not1_b32 s26, s41, exec_lo
	s_and_b32 s24, s24, exec_lo
	s_or_b32 s27, s25, s1
	s_or_b32 s26, s26, s24
	s_or_not1_b32 s25, s0, exec_lo
.LBB95_824:
	s_wait_xcnt 0x0
	s_or_b32 exec_lo, exec_lo, s44
	s_mov_b32 s0, 0
	s_mov_b32 s1, 0
	;; [unrolled: 1-line block ×3, first 2 shown]
                                        ; implicit-def: $vgpr4_vgpr5
                                        ; implicit-def: $vgpr2
                                        ; implicit-def: $vgpr6
	s_and_saveexec_b32 s44, s25
	s_cbranch_execz .LBB95_926
; %bb.825:
	v_cmp_gt_i32_e32 vcc_lo, s36, v0
	s_mov_b32 s45, s26
	s_mov_b32 s25, 0
                                        ; implicit-def: $vgpr4_vgpr5
                                        ; implicit-def: $vgpr2
                                        ; implicit-def: $vgpr6
	s_and_saveexec_b32 s36, vcc_lo
	s_cbranch_execz .LBB95_925
; %bb.826:
	s_and_not1_b32 vcc_lo, exec_lo, s31
	s_cbranch_vccnz .LBB95_832
; %bb.827:
	s_and_not1_b32 vcc_lo, exec_lo, s38
	s_cbranch_vccnz .LBB95_833
; %bb.828:
	s_add_co_i32 s37, s37, 1
	s_cmp_eq_u32 s29, 2
	s_cbranch_scc1 .LBB95_834
; %bb.829:
	v_dual_mov_b32 v2, 0 :: v_dual_mov_b32 v4, 0
	s_wait_loadcnt 0x0
	v_mov_b32_e32 v1, v0
	s_and_b32 s0, s37, 28
	s_mov_b64 s[24:25], s[2:3]
.LBB95_830:                             ; =>This Inner Loop Header: Depth=1
	s_clause 0x1
	s_load_b256 s[48:55], s[24:25], 0x4
	s_load_b128 s[64:67], s[24:25], 0x24
	s_load_b256 s[56:63], s[22:23], 0x0
	s_add_co_i32 s1, s1, 4
	s_wait_xcnt 0x0
	s_add_nc_u64 s[24:25], s[24:25], 48
	s_cmp_eq_u32 s0, s1
	s_add_nc_u64 s[22:23], s[22:23], 32
	s_wait_kmcnt 0x0
	v_mul_hi_u32 v3, s49, v1
	s_delay_alu instid0(VALU_DEP_1) | instskip(NEXT) | instid1(VALU_DEP_1)
	v_add_nc_u32_e32 v3, v1, v3
	v_lshrrev_b32_e32 v3, s50, v3
	s_delay_alu instid0(VALU_DEP_1) | instskip(NEXT) | instid1(VALU_DEP_1)
	v_mul_hi_u32 v5, s52, v3
	v_add_nc_u32_e32 v5, v3, v5
	s_delay_alu instid0(VALU_DEP_1) | instskip(NEXT) | instid1(VALU_DEP_1)
	v_lshrrev_b32_e32 v5, s53, v5
	v_mul_hi_u32 v6, s55, v5
	s_delay_alu instid0(VALU_DEP_1) | instskip(SKIP_1) | instid1(VALU_DEP_1)
	v_add_nc_u32_e32 v6, v5, v6
	v_mul_lo_u32 v7, v3, s48
	v_sub_nc_u32_e32 v1, v1, v7
	v_mul_lo_u32 v7, v5, s51
	s_delay_alu instid0(VALU_DEP_4) | instskip(NEXT) | instid1(VALU_DEP_3)
	v_lshrrev_b32_e32 v6, s64, v6
	v_mad_u32 v4, v1, s57, v4
	v_mad_u32 v1, v1, s56, v2
	s_delay_alu instid0(VALU_DEP_4) | instskip(NEXT) | instid1(VALU_DEP_4)
	v_sub_nc_u32_e32 v2, v3, v7
	v_mul_hi_u32 v8, s66, v6
	v_mul_lo_u32 v3, v6, s54
	s_delay_alu instid0(VALU_DEP_3) | instskip(SKIP_1) | instid1(VALU_DEP_3)
	v_mad_u32 v4, v2, s59, v4
	v_mad_u32 v2, v2, s58, v1
	v_dual_add_nc_u32 v7, v6, v8 :: v_dual_sub_nc_u32 v3, v5, v3
	s_delay_alu instid0(VALU_DEP_1) | instskip(NEXT) | instid1(VALU_DEP_2)
	v_lshrrev_b32_e32 v1, s67, v7
	v_mad_u32 v4, v3, s61, v4
	s_delay_alu instid0(VALU_DEP_4) | instskip(NEXT) | instid1(VALU_DEP_3)
	v_mad_u32 v2, v3, s60, v2
	v_mul_lo_u32 v5, v1, s65
	s_delay_alu instid0(VALU_DEP_1) | instskip(NEXT) | instid1(VALU_DEP_1)
	v_sub_nc_u32_e32 v3, v6, v5
	v_mad_u32 v4, v3, s63, v4
	s_delay_alu instid0(VALU_DEP_4)
	v_mad_u32 v2, v3, s62, v2
	s_cbranch_scc0 .LBB95_830
; %bb.831:
	s_delay_alu instid0(VALU_DEP_2)
	v_mov_b32_e32 v3, v4
	s_branch .LBB95_835
.LBB95_832:
	s_mov_b32 s0, -1
                                        ; implicit-def: $vgpr4
                                        ; implicit-def: $vgpr2
	s_branch .LBB95_840
.LBB95_833:
	v_dual_mov_b32 v4, 0 :: v_dual_mov_b32 v2, 0
	s_branch .LBB95_839
.LBB95_834:
	v_mov_b64_e32 v[2:3], 0
	s_wait_loadcnt 0x0
	v_mov_b32_e32 v1, v0
                                        ; implicit-def: $vgpr4
.LBB95_835:
	s_and_b32 s24, s37, 3
	s_mov_b32 s1, 0
	s_cmp_eq_u32 s24, 0
	s_cbranch_scc1 .LBB95_839
; %bb.836:
	s_lshl_b32 s22, s0, 3
	s_mov_b32 s23, s1
	s_mul_u64 s[46:47], s[0:1], 12
	s_add_nc_u64 s[22:23], s[2:3], s[22:23]
	s_delay_alu instid0(SALU_CYCLE_1)
	s_add_nc_u64 s[0:1], s[22:23], 0xc4
	s_add_nc_u64 s[22:23], s[2:3], s[46:47]
.LBB95_837:                             ; =>This Inner Loop Header: Depth=1
	s_load_b96 s[48:50], s[22:23], 0x4
	s_load_b64 s[46:47], s[0:1], 0x0
	s_add_co_i32 s24, s24, -1
	s_wait_xcnt 0x0
	s_add_nc_u64 s[22:23], s[22:23], 12
	s_cmp_lg_u32 s24, 0
	s_add_nc_u64 s[0:1], s[0:1], 8
	s_wait_kmcnt 0x0
	v_mul_hi_u32 v4, s49, v1
	s_delay_alu instid0(VALU_DEP_1) | instskip(NEXT) | instid1(VALU_DEP_1)
	v_add_nc_u32_e32 v4, v1, v4
	v_lshrrev_b32_e32 v4, s50, v4
	s_delay_alu instid0(VALU_DEP_1) | instskip(NEXT) | instid1(VALU_DEP_1)
	v_mul_lo_u32 v5, v4, s48
	v_sub_nc_u32_e32 v1, v1, v5
	s_delay_alu instid0(VALU_DEP_1)
	v_mad_u32 v3, v1, s47, v3
	v_mad_u32 v2, v1, s46, v2
	v_mov_b32_e32 v1, v4
	s_cbranch_scc1 .LBB95_837
; %bb.838:
	s_delay_alu instid0(VALU_DEP_3)
	v_mov_b32_e32 v4, v3
.LBB95_839:
	s_mov_b32 s0, 0
.LBB95_840:
	s_delay_alu instid0(SALU_CYCLE_1)
	s_and_not1_b32 vcc_lo, exec_lo, s0
	s_cbranch_vccnz .LBB95_843
; %bb.841:
	s_wait_loadcnt 0x0
	v_mov_b32_e32 v1, 0
	s_and_not1_b32 vcc_lo, exec_lo, s35
	s_delay_alu instid0(VALU_DEP_1) | instskip(NEXT) | instid1(VALU_DEP_1)
	v_mul_u64_e32 v[2:3], s[16:17], v[0:1]
	v_add_nc_u32_e32 v2, v0, v3
	s_delay_alu instid0(VALU_DEP_1) | instskip(NEXT) | instid1(VALU_DEP_1)
	v_lshrrev_b32_e32 v6, s14, v2
	v_mul_lo_u32 v2, v6, s12
	s_delay_alu instid0(VALU_DEP_1) | instskip(NEXT) | instid1(VALU_DEP_1)
	v_sub_nc_u32_e32 v0, v0, v2
	v_mul_lo_u32 v4, v0, s9
	v_mul_lo_u32 v2, v0, s8
	s_cbranch_vccnz .LBB95_843
; %bb.842:
	v_mov_b32_e32 v7, v1
	s_delay_alu instid0(VALU_DEP_1) | instskip(NEXT) | instid1(VALU_DEP_1)
	v_mul_u64_e32 v[0:1], s[20:21], v[6:7]
	v_add_nc_u32_e32 v0, v6, v1
	s_delay_alu instid0(VALU_DEP_1) | instskip(NEXT) | instid1(VALU_DEP_1)
	v_lshrrev_b32_e32 v0, s19, v0
	v_mul_lo_u32 v0, v0, s15
	s_delay_alu instid0(VALU_DEP_1) | instskip(NEXT) | instid1(VALU_DEP_1)
	v_sub_nc_u32_e32 v0, v6, v0
	v_mad_u32 v2, v0, s10, v2
	v_mad_u32 v4, v0, s11, v4
.LBB95_843:
	v_mov_b32_e32 v5, 0
	s_and_b32 s0, 0xffff, s13
	s_delay_alu instid0(SALU_CYCLE_1) | instskip(NEXT) | instid1(VALU_DEP_1)
	s_cmp_lt_i32 s0, 11
	v_add_nc_u64_e32 v[4:5], s[6:7], v[4:5]
	s_cbranch_scc1 .LBB95_850
; %bb.844:
	s_cmp_gt_i32 s0, 25
	s_mov_b32 s6, 0
	s_cbranch_scc0 .LBB95_851
; %bb.845:
	s_cmp_gt_i32 s0, 28
	s_cbranch_scc0 .LBB95_852
; %bb.846:
	s_cmp_gt_i32 s0, 43
	;; [unrolled: 3-line block ×3, first 2 shown]
	s_cbranch_scc0 .LBB95_856
; %bb.848:
	s_cmp_eq_u32 s0, 46
	s_mov_b32 s8, 0
	s_cbranch_scc0 .LBB95_859
; %bb.849:
	global_load_b32 v6, v[4:5], off
	s_mov_b32 s1, 0
	s_mov_b32 s7, -1
	s_branch .LBB95_861
.LBB95_850:
	s_mov_b32 s0, -1
	s_mov_b32 s7, 0
	s_mov_b32 s6, 0
	;; [unrolled: 1-line block ×3, first 2 shown]
                                        ; implicit-def: $vgpr6
	s_branch .LBB95_924
.LBB95_851:
	s_mov_b32 s8, -1
	s_mov_b32 s7, 0
	s_mov_b32 s1, s26
                                        ; implicit-def: $vgpr6
	s_branch .LBB95_890
.LBB95_852:
	s_mov_b32 s8, -1
	s_mov_b32 s7, 0
	s_mov_b32 s1, s26
                                        ; implicit-def: $vgpr6
	s_branch .LBB95_871
.LBB95_853:
	s_mov_b32 s8, -1
	s_mov_b32 s7, 0
	s_mov_b32 s1, s26
                                        ; implicit-def: $vgpr6
	s_branch .LBB95_866
.LBB95_854:
	s_and_not1_saveexec_b32 s46, s46
	s_cbranch_execz .LBB95_732
.LBB95_855:
	v_add_f32_e32 v1, 0x46000000, v4
	s_and_not1_b32 s45, s45, exec_lo
	s_delay_alu instid0(VALU_DEP_1) | instskip(NEXT) | instid1(VALU_DEP_1)
	v_and_b32_e32 v1, 0xff, v1
	v_cmp_ne_u32_e32 vcc_lo, 0, v1
	s_and_b32 s47, vcc_lo, exec_lo
	s_delay_alu instid0(SALU_CYCLE_1)
	s_or_b32 s45, s45, s47
	s_or_b32 exec_lo, exec_lo, s46
	v_mov_b32_e32 v5, 0
	s_and_saveexec_b32 s46, s45
	s_cbranch_execnz .LBB95_733
	s_branch .LBB95_734
.LBB95_856:
	s_mov_b32 s8, -1
	s_mov_b32 s7, 0
	s_mov_b32 s1, s26
	s_branch .LBB95_860
.LBB95_857:
	s_and_not1_saveexec_b32 s46, s46
	s_cbranch_execz .LBB95_745
.LBB95_858:
	v_add_f32_e32 v1, 0x42800000, v4
	s_and_not1_b32 s45, s45, exec_lo
	s_delay_alu instid0(VALU_DEP_1) | instskip(NEXT) | instid1(VALU_DEP_1)
	v_and_b32_e32 v1, 0xff, v1
	v_cmp_ne_u32_e32 vcc_lo, 0, v1
	s_and_b32 s47, vcc_lo, exec_lo
	s_delay_alu instid0(SALU_CYCLE_1)
	s_or_b32 s45, s45, s47
	s_or_b32 exec_lo, exec_lo, s46
	v_mov_b32_e32 v5, 0
	s_and_saveexec_b32 s46, s45
	s_cbranch_execnz .LBB95_746
	s_branch .LBB95_747
.LBB95_859:
	s_mov_b32 s1, -1
	s_mov_b32 s7, 0
.LBB95_860:
                                        ; implicit-def: $vgpr6
.LBB95_861:
	s_and_b32 vcc_lo, exec_lo, s8
	s_cbranch_vccz .LBB95_865
; %bb.862:
	s_cmp_eq_u32 s0, 44
	s_cbranch_scc0 .LBB95_864
; %bb.863:
	global_load_u8 v0, v[4:5], off
	s_mov_b32 s1, 0
	s_mov_b32 s7, -1
	s_wait_loadcnt 0x0
	v_lshlrev_b32_e32 v1, 23, v0
	v_cmp_ne_u32_e32 vcc_lo, 0xff, v0
	s_delay_alu instid0(VALU_DEP_2) | instskip(SKIP_1) | instid1(VALU_DEP_2)
	v_cndmask_b32_e32 v1, 0x7f800001, v1, vcc_lo
	v_cmp_ne_u32_e32 vcc_lo, 0, v0
	v_cndmask_b32_e32 v0, 0x400000, v1, vcc_lo
	s_delay_alu instid0(VALU_DEP_1) | instskip(NEXT) | instid1(VALU_DEP_1)
	v_add_nc_u32_e32 v1, 0x7fff, v0
	v_lshrrev_b32_e32 v1, 16, v1
	v_cmp_o_f32_e32 vcc_lo, v0, v0
	s_delay_alu instid0(VALU_DEP_2)
	v_cndmask_b32_e32 v6, 0x7fc0, v1, vcc_lo
	s_branch .LBB95_865
.LBB95_864:
	s_mov_b32 s1, -1
                                        ; implicit-def: $vgpr6
.LBB95_865:
	s_mov_b32 s8, 0
.LBB95_866:
	s_delay_alu instid0(SALU_CYCLE_1)
	s_and_b32 vcc_lo, exec_lo, s8
	s_cbranch_vccz .LBB95_870
; %bb.867:
	s_cmp_eq_u32 s0, 29
	s_cbranch_scc0 .LBB95_869
; %bb.868:
	s_wait_loadcnt 0x0
	global_load_b64 v[0:1], v[4:5], off
	s_mov_b32 s1, 0
	s_mov_b32 s7, -1
	s_mov_b32 s8, 0
	s_wait_loadcnt 0x0
	v_clz_i32_u32_e32 v3, v1
	s_delay_alu instid0(VALU_DEP_1) | instskip(NEXT) | instid1(VALU_DEP_1)
	v_min_u32_e32 v3, 32, v3
	v_lshlrev_b64_e32 v[0:1], v3, v[0:1]
	s_delay_alu instid0(VALU_DEP_1) | instskip(NEXT) | instid1(VALU_DEP_1)
	v_min_u32_e32 v0, 1, v0
	v_dual_sub_nc_u32 v1, 32, v3 :: v_dual_bitop2_b32 v0, v1, v0 bitop3:0x54
	s_delay_alu instid0(VALU_DEP_1) | instskip(NEXT) | instid1(VALU_DEP_1)
	v_cvt_f32_u32_e32 v0, v0
	v_ldexp_f32 v0, v0, v1
	s_delay_alu instid0(VALU_DEP_1) | instskip(NEXT) | instid1(VALU_DEP_1)
	v_bfe_u32 v1, v0, 16, 1
	v_add3_u32 v0, v0, v1, 0x7fff
	s_delay_alu instid0(VALU_DEP_1)
	v_lshrrev_b32_e32 v6, 16, v0
	s_branch .LBB95_871
.LBB95_869:
	s_mov_b32 s1, -1
                                        ; implicit-def: $vgpr6
.LBB95_870:
	s_mov_b32 s8, 0
.LBB95_871:
	s_delay_alu instid0(SALU_CYCLE_1)
	s_and_b32 vcc_lo, exec_lo, s8
	s_cbranch_vccz .LBB95_889
; %bb.872:
	s_cmp_lt_i32 s0, 27
	s_cbranch_scc1 .LBB95_875
; %bb.873:
	s_cmp_gt_i32 s0, 27
	s_cbranch_scc0 .LBB95_876
; %bb.874:
	global_load_b32 v0, v[4:5], off
	s_mov_b32 s7, 0
	s_wait_loadcnt 0x0
	v_cvt_f32_u32_e32 v0, v0
	s_delay_alu instid0(VALU_DEP_1) | instskip(NEXT) | instid1(VALU_DEP_1)
	v_bfe_u32 v1, v0, 16, 1
	v_add3_u32 v0, v0, v1, 0x7fff
	s_delay_alu instid0(VALU_DEP_1)
	v_lshrrev_b32_e32 v6, 16, v0
	s_branch .LBB95_877
.LBB95_875:
	s_mov_b32 s7, -1
                                        ; implicit-def: $vgpr6
	s_branch .LBB95_880
.LBB95_876:
	s_mov_b32 s7, -1
                                        ; implicit-def: $vgpr6
.LBB95_877:
	s_delay_alu instid0(SALU_CYCLE_1)
	s_and_not1_b32 vcc_lo, exec_lo, s7
	s_cbranch_vccnz .LBB95_879
; %bb.878:
	global_load_u16 v0, v[4:5], off
	s_wait_loadcnt 0x0
	v_cvt_f32_u32_e32 v0, v0
	s_delay_alu instid0(VALU_DEP_1) | instskip(NEXT) | instid1(VALU_DEP_1)
	v_bfe_u32 v1, v0, 16, 1
	v_add3_u32 v0, v0, v1, 0x7fff
	s_delay_alu instid0(VALU_DEP_1)
	v_lshrrev_b32_e32 v6, 16, v0
.LBB95_879:
	s_mov_b32 s7, 0
.LBB95_880:
	s_delay_alu instid0(SALU_CYCLE_1)
	s_and_not1_b32 vcc_lo, exec_lo, s7
	s_cbranch_vccnz .LBB95_888
; %bb.881:
	global_load_u8 v0, v[4:5], off
	s_mov_b32 s7, 0
	s_mov_b32 s8, exec_lo
	s_wait_loadcnt 0x0
	v_cmpx_lt_i16_e32 0x7f, v0
	s_xor_b32 s8, exec_lo, s8
	s_cbranch_execz .LBB95_902
; %bb.882:
	s_mov_b32 s7, -1
	s_mov_b32 s9, exec_lo
	v_cmpx_eq_u16_e32 0x80, v0
; %bb.883:
	s_xor_b32 s7, exec_lo, -1
; %bb.884:
	s_or_b32 exec_lo, exec_lo, s9
	s_delay_alu instid0(SALU_CYCLE_1)
	s_and_b32 s7, s7, exec_lo
	s_or_saveexec_b32 s8, s8
	v_mov_b32_e32 v1, 0x7f800001
	s_xor_b32 exec_lo, exec_lo, s8
	s_cbranch_execnz .LBB95_903
.LBB95_885:
	s_or_b32 exec_lo, exec_lo, s8
	s_and_saveexec_b32 s8, s7
	s_cbranch_execz .LBB95_887
.LBB95_886:
	v_and_b32_e32 v1, 0xffff, v0
	s_delay_alu instid0(VALU_DEP_1) | instskip(SKIP_1) | instid1(VALU_DEP_2)
	v_and_b32_e32 v3, 7, v1
	v_bfe_u32 v8, v1, 3, 4
	v_clz_i32_u32_e32 v6, v3
	s_delay_alu instid0(VALU_DEP_2) | instskip(NEXT) | instid1(VALU_DEP_2)
	v_cmp_eq_u32_e32 vcc_lo, 0, v8
	v_min_u32_e32 v6, 32, v6
	s_delay_alu instid0(VALU_DEP_1) | instskip(NEXT) | instid1(VALU_DEP_1)
	v_subrev_nc_u32_e32 v7, 28, v6
	v_dual_lshlrev_b32 v1, v7, v1 :: v_dual_sub_nc_u32 v6, 29, v6
	s_delay_alu instid0(VALU_DEP_1) | instskip(NEXT) | instid1(VALU_DEP_1)
	v_dual_lshlrev_b32 v0, 24, v0 :: v_dual_bitop2_b32 v1, 7, v1 bitop3:0x40
	v_dual_cndmask_b32 v6, v8, v6 :: v_dual_cndmask_b32 v1, v3, v1
	s_delay_alu instid0(VALU_DEP_2) | instskip(NEXT) | instid1(VALU_DEP_2)
	v_and_b32_e32 v0, 0x80000000, v0
	v_lshl_add_u32 v3, v6, 23, 0x3b800000
	s_delay_alu instid0(VALU_DEP_3) | instskip(NEXT) | instid1(VALU_DEP_1)
	v_lshlrev_b32_e32 v1, 20, v1
	v_or3_b32 v1, v0, v3, v1
.LBB95_887:
	s_or_b32 exec_lo, exec_lo, s8
	s_delay_alu instid0(VALU_DEP_1) | instskip(SKIP_1) | instid1(VALU_DEP_2)
	v_bfe_u32 v0, v1, 16, 1
	v_cmp_o_f32_e32 vcc_lo, v1, v1
	v_add3_u32 v0, v1, v0, 0x7fff
	s_delay_alu instid0(VALU_DEP_1) | instskip(NEXT) | instid1(VALU_DEP_1)
	v_lshrrev_b32_e32 v0, 16, v0
	v_cndmask_b32_e32 v6, 0x7fc0, v0, vcc_lo
.LBB95_888:
	s_mov_b32 s7, -1
.LBB95_889:
	s_mov_b32 s8, 0
.LBB95_890:
	s_delay_alu instid0(SALU_CYCLE_1)
	s_and_b32 vcc_lo, exec_lo, s8
	s_cbranch_vccz .LBB95_923
; %bb.891:
	s_cmp_gt_i32 s0, 22
	s_cbranch_scc0 .LBB95_901
; %bb.892:
	s_cmp_lt_i32 s0, 24
	s_cbranch_scc1 .LBB95_904
; %bb.893:
	s_cmp_gt_i32 s0, 24
	s_cbranch_scc0 .LBB95_905
; %bb.894:
	global_load_u8 v0, v[4:5], off
	s_mov_b32 s7, exec_lo
	s_wait_loadcnt 0x0
	v_cmpx_lt_i16_e32 0x7f, v0
	s_xor_b32 s7, exec_lo, s7
	s_cbranch_execz .LBB95_917
; %bb.895:
	s_mov_b32 s6, -1
	s_mov_b32 s8, exec_lo
	v_cmpx_eq_u16_e32 0x80, v0
; %bb.896:
	s_xor_b32 s6, exec_lo, -1
; %bb.897:
	s_or_b32 exec_lo, exec_lo, s8
	s_delay_alu instid0(SALU_CYCLE_1)
	s_and_b32 s6, s6, exec_lo
	s_or_saveexec_b32 s7, s7
	v_mov_b32_e32 v1, 0x7f800001
	s_xor_b32 exec_lo, exec_lo, s7
	s_cbranch_execnz .LBB95_918
.LBB95_898:
	s_or_b32 exec_lo, exec_lo, s7
	s_and_saveexec_b32 s7, s6
	s_cbranch_execz .LBB95_900
.LBB95_899:
	v_and_b32_e32 v1, 0xffff, v0
	s_delay_alu instid0(VALU_DEP_1) | instskip(SKIP_1) | instid1(VALU_DEP_2)
	v_and_b32_e32 v3, 3, v1
	v_bfe_u32 v8, v1, 2, 5
	v_clz_i32_u32_e32 v6, v3
	s_delay_alu instid0(VALU_DEP_2) | instskip(NEXT) | instid1(VALU_DEP_2)
	v_cmp_eq_u32_e32 vcc_lo, 0, v8
	v_min_u32_e32 v6, 32, v6
	s_delay_alu instid0(VALU_DEP_1) | instskip(NEXT) | instid1(VALU_DEP_1)
	v_subrev_nc_u32_e32 v7, 29, v6
	v_dual_lshlrev_b32 v1, v7, v1 :: v_dual_sub_nc_u32 v6, 30, v6
	s_delay_alu instid0(VALU_DEP_1) | instskip(NEXT) | instid1(VALU_DEP_1)
	v_dual_lshlrev_b32 v0, 24, v0 :: v_dual_bitop2_b32 v1, 3, v1 bitop3:0x40
	v_dual_cndmask_b32 v6, v8, v6 :: v_dual_cndmask_b32 v1, v3, v1
	s_delay_alu instid0(VALU_DEP_2) | instskip(NEXT) | instid1(VALU_DEP_2)
	v_and_b32_e32 v0, 0x80000000, v0
	v_lshl_add_u32 v3, v6, 23, 0x37800000
	s_delay_alu instid0(VALU_DEP_3) | instskip(NEXT) | instid1(VALU_DEP_1)
	v_lshlrev_b32_e32 v1, 21, v1
	v_or3_b32 v1, v0, v3, v1
.LBB95_900:
	s_or_b32 exec_lo, exec_lo, s7
	s_delay_alu instid0(VALU_DEP_1) | instskip(SKIP_2) | instid1(VALU_DEP_2)
	v_bfe_u32 v0, v1, 16, 1
	v_cmp_o_f32_e32 vcc_lo, v1, v1
	s_mov_b32 s6, 0
	v_add3_u32 v0, v1, v0, 0x7fff
	s_delay_alu instid0(VALU_DEP_1) | instskip(NEXT) | instid1(VALU_DEP_1)
	v_lshrrev_b32_e32 v0, 16, v0
	v_cndmask_b32_e32 v6, 0x7fc0, v0, vcc_lo
	s_branch .LBB95_906
.LBB95_901:
	s_mov_b32 s6, -1
                                        ; implicit-def: $vgpr6
	s_branch .LBB95_912
.LBB95_902:
	s_or_saveexec_b32 s8, s8
	v_mov_b32_e32 v1, 0x7f800001
	s_xor_b32 exec_lo, exec_lo, s8
	s_cbranch_execz .LBB95_885
.LBB95_903:
	v_cmp_ne_u16_e32 vcc_lo, 0, v0
	v_mov_b32_e32 v1, 0
	s_and_not1_b32 s7, s7, exec_lo
	s_and_b32 s9, vcc_lo, exec_lo
	s_delay_alu instid0(SALU_CYCLE_1)
	s_or_b32 s7, s7, s9
	s_or_b32 exec_lo, exec_lo, s8
	s_and_saveexec_b32 s8, s7
	s_cbranch_execnz .LBB95_886
	s_branch .LBB95_887
.LBB95_904:
	s_mov_b32 s6, -1
                                        ; implicit-def: $vgpr6
	s_branch .LBB95_909
.LBB95_905:
	s_mov_b32 s6, -1
                                        ; implicit-def: $vgpr6
.LBB95_906:
	s_delay_alu instid0(SALU_CYCLE_1)
	s_and_b32 vcc_lo, exec_lo, s6
	s_cbranch_vccz .LBB95_908
; %bb.907:
	global_load_u8 v0, v[4:5], off
	s_wait_loadcnt 0x0
	v_lshlrev_b32_e32 v0, 24, v0
	s_delay_alu instid0(VALU_DEP_1) | instskip(NEXT) | instid1(VALU_DEP_1)
	v_and_b32_e32 v1, 0x7f000000, v0
	v_clz_i32_u32_e32 v3, v1
	v_add_nc_u32_e32 v7, 0x1000000, v1
	v_cmp_ne_u32_e32 vcc_lo, 0, v1
	s_delay_alu instid0(VALU_DEP_3) | instskip(NEXT) | instid1(VALU_DEP_1)
	v_min_u32_e32 v3, 32, v3
	v_sub_nc_u32_e64 v3, v3, 4 clamp
	s_delay_alu instid0(VALU_DEP_1) | instskip(NEXT) | instid1(VALU_DEP_1)
	v_dual_lshlrev_b32 v6, v3, v1 :: v_dual_lshlrev_b32 v3, 23, v3
	v_lshrrev_b32_e32 v6, 4, v6
	s_delay_alu instid0(VALU_DEP_1) | instskip(SKIP_1) | instid1(VALU_DEP_2)
	v_sub_nc_u32_e32 v3, v6, v3
	v_ashrrev_i32_e32 v6, 8, v7
	v_add_nc_u32_e32 v3, 0x3c000000, v3
	s_delay_alu instid0(VALU_DEP_1) | instskip(NEXT) | instid1(VALU_DEP_1)
	v_and_or_b32 v3, 0x7f800000, v6, v3
	v_cndmask_b32_e32 v1, 0, v3, vcc_lo
	s_delay_alu instid0(VALU_DEP_1) | instskip(SKIP_1) | instid1(VALU_DEP_2)
	v_and_or_b32 v0, 0x80000000, v0, v1
	v_bfe_u32 v1, v1, 16, 1
	v_cmp_o_f32_e32 vcc_lo, v0, v0
	s_delay_alu instid0(VALU_DEP_2) | instskip(NEXT) | instid1(VALU_DEP_1)
	v_add3_u32 v1, v0, v1, 0x7fff
	v_lshrrev_b32_e32 v1, 16, v1
	s_delay_alu instid0(VALU_DEP_1)
	v_cndmask_b32_e32 v6, 0x7fc0, v1, vcc_lo
.LBB95_908:
	s_mov_b32 s6, 0
.LBB95_909:
	s_delay_alu instid0(SALU_CYCLE_1)
	s_and_not1_b32 vcc_lo, exec_lo, s6
	s_cbranch_vccnz .LBB95_911
; %bb.910:
	global_load_u8 v0, v[4:5], off
	s_wait_loadcnt 0x0
	v_lshlrev_b32_e32 v1, 25, v0
	v_lshlrev_b16 v0, 8, v0
	s_delay_alu instid0(VALU_DEP_1) | instskip(SKIP_1) | instid1(VALU_DEP_2)
	v_and_or_b32 v6, 0x7f00, v0, 0.5
	v_bfe_i32 v0, v0, 0, 16
	v_dual_add_f32 v6, -0.5, v6 :: v_dual_lshrrev_b32 v3, 4, v1
	v_cmp_gt_u32_e32 vcc_lo, 0x8000000, v1
	s_delay_alu instid0(VALU_DEP_2) | instskip(NEXT) | instid1(VALU_DEP_1)
	v_or_b32_e32 v3, 0x70000000, v3
	v_mul_f32_e32 v3, 0x7800000, v3
	s_delay_alu instid0(VALU_DEP_1) | instskip(NEXT) | instid1(VALU_DEP_1)
	v_cndmask_b32_e32 v1, v3, v6, vcc_lo
	v_and_or_b32 v0, 0x80000000, v0, v1
	v_bfe_u32 v1, v1, 16, 1
	s_delay_alu instid0(VALU_DEP_2) | instskip(NEXT) | instid1(VALU_DEP_2)
	v_cmp_o_f32_e32 vcc_lo, v0, v0
	v_add3_u32 v1, v0, v1, 0x7fff
	s_delay_alu instid0(VALU_DEP_1) | instskip(NEXT) | instid1(VALU_DEP_1)
	v_lshrrev_b32_e32 v1, 16, v1
	v_cndmask_b32_e32 v6, 0x7fc0, v1, vcc_lo
.LBB95_911:
	s_mov_b32 s6, 0
	s_mov_b32 s7, -1
.LBB95_912:
	s_and_not1_b32 vcc_lo, exec_lo, s6
	s_mov_b32 s6, 0
	s_cbranch_vccnz .LBB95_923
; %bb.913:
	s_cmp_gt_i32 s0, 14
	s_cbranch_scc0 .LBB95_916
; %bb.914:
	s_cmp_eq_u32 s0, 15
	s_cbranch_scc0 .LBB95_919
; %bb.915:
	s_wait_loadcnt 0x0
	global_load_u16 v6, v[4:5], off
	s_mov_b32 s1, 0
	s_mov_b32 s7, -1
	s_branch .LBB95_921
.LBB95_916:
	s_mov_b32 s6, -1
	s_branch .LBB95_920
.LBB95_917:
	s_or_saveexec_b32 s7, s7
	v_mov_b32_e32 v1, 0x7f800001
	s_xor_b32 exec_lo, exec_lo, s7
	s_cbranch_execz .LBB95_898
.LBB95_918:
	v_cmp_ne_u16_e32 vcc_lo, 0, v0
	v_mov_b32_e32 v1, 0
	s_and_not1_b32 s6, s6, exec_lo
	s_and_b32 s8, vcc_lo, exec_lo
	s_delay_alu instid0(SALU_CYCLE_1)
	s_or_b32 s6, s6, s8
	s_or_b32 exec_lo, exec_lo, s7
	s_and_saveexec_b32 s7, s6
	s_cbranch_execnz .LBB95_899
	s_branch .LBB95_900
.LBB95_919:
	s_mov_b32 s1, -1
.LBB95_920:
                                        ; implicit-def: $vgpr6
.LBB95_921:
	s_and_b32 vcc_lo, exec_lo, s6
	s_mov_b32 s6, 0
	s_cbranch_vccz .LBB95_923
; %bb.922:
	s_cmp_lg_u32 s0, 11
	s_mov_b32 s6, -1
	s_cselect_b32 s0, -1, 0
	s_and_not1_b32 s1, s1, exec_lo
	s_and_b32 s0, s0, exec_lo
	s_delay_alu instid0(SALU_CYCLE_1)
	s_or_b32 s1, s1, s0
.LBB95_923:
	s_mov_b32 s0, 0
.LBB95_924:
	s_and_b32 s24, s7, exec_lo
	s_and_not1_b32 s7, s26, exec_lo
	s_and_b32 s1, s1, exec_lo
	s_and_b32 s25, s0, exec_lo
	;; [unrolled: 1-line block ×3, first 2 shown]
	s_or_b32 s45, s7, s1
.LBB95_925:
	s_wait_xcnt 0x0
	s_or_b32 exec_lo, exec_lo, s36
	s_delay_alu instid0(SALU_CYCLE_1)
	s_and_not1_b32 s6, s26, exec_lo
	s_and_b32 s7, s45, exec_lo
	s_and_b32 s24, s24, exec_lo
	;; [unrolled: 1-line block ×4, first 2 shown]
	s_or_b32 s26, s6, s7
.LBB95_926:
	s_or_b32 exec_lo, exec_lo, s44
	s_delay_alu instid0(SALU_CYCLE_1)
	s_and_not1_b32 s6, s42, exec_lo
	s_and_b32 s7, s27, exec_lo
	s_and_b32 s25, s24, exec_lo
	s_or_b32 s42, s6, s7
	s_and_not1_b32 s6, s41, exec_lo
	s_and_b32 s7, s26, exec_lo
	s_and_b32 s24, s1, exec_lo
	;; [unrolled: 1-line block ×3, first 2 shown]
	s_or_b32 s41, s6, s7
.LBB95_927:
	s_or_b32 exec_lo, exec_lo, s43
	s_delay_alu instid0(SALU_CYCLE_1)
	s_and_not1_b32 s0, s18, exec_lo
	s_and_b32 s6, s42, exec_lo
	s_and_b32 s7, s41, exec_lo
	s_or_b32 s18, s0, s6
	s_and_not1_b32 s6, s39, exec_lo
	s_and_b32 s0, s25, exec_lo
	s_and_b32 s25, s24, exec_lo
	;; [unrolled: 1-line block ×3, first 2 shown]
	s_or_b32 s39, s6, s7
	s_or_b32 exec_lo, exec_lo, s40
	s_mov_b32 s1, 0
	s_and_saveexec_b32 s6, s39
	s_cbranch_execz .LBB95_276
.LBB95_928:
	s_mov_b32 s1, exec_lo
	s_and_not1_b32 s17, s17, exec_lo
	s_trap 2
	s_or_b32 exec_lo, exec_lo, s6
	s_and_saveexec_b32 s6, s17
	s_delay_alu instid0(SALU_CYCLE_1)
	s_xor_b32 s6, exec_lo, s6
	s_cbranch_execnz .LBB95_277
.LBB95_929:
	s_or_b32 exec_lo, exec_lo, s6
	s_and_saveexec_b32 s6, s25
	s_cbranch_execz .LBB95_975
.LBB95_930:
	s_sext_i32_i16 s7, s13
	s_delay_alu instid0(SALU_CYCLE_1)
	s_cmp_lt_i32 s7, 5
	s_cbranch_scc1 .LBB95_935
; %bb.931:
	s_cmp_lt_i32 s7, 8
	s_cbranch_scc1 .LBB95_936
; %bb.932:
	;; [unrolled: 3-line block ×3, first 2 shown]
	s_cmp_gt_i32 s7, 9
	s_cbranch_scc0 .LBB95_938
; %bb.934:
	s_wait_loadcnt 0x0
	global_load_b64 v[0:1], v[4:5], off
	s_mov_b32 s7, 0
	s_wait_loadcnt 0x0
	v_cvt_f32_f64_e32 v0, v[0:1]
	s_delay_alu instid0(VALU_DEP_1) | instskip(SKIP_1) | instid1(VALU_DEP_2)
	v_bfe_u32 v1, v0, 16, 1
	v_cmp_o_f32_e32 vcc_lo, v0, v0
	v_add3_u32 v1, v0, v1, 0x7fff
	s_delay_alu instid0(VALU_DEP_1) | instskip(NEXT) | instid1(VALU_DEP_1)
	v_lshrrev_b32_e32 v1, 16, v1
	v_cndmask_b32_e32 v6, 0x7fc0, v1, vcc_lo
	s_branch .LBB95_939
.LBB95_935:
                                        ; implicit-def: $vgpr6
	s_branch .LBB95_956
.LBB95_936:
                                        ; implicit-def: $vgpr6
	s_branch .LBB95_945
.LBB95_937:
	s_mov_b32 s7, -1
                                        ; implicit-def: $vgpr6
	s_branch .LBB95_942
.LBB95_938:
	s_mov_b32 s7, -1
                                        ; implicit-def: $vgpr6
.LBB95_939:
	s_delay_alu instid0(SALU_CYCLE_1)
	s_and_not1_b32 vcc_lo, exec_lo, s7
	s_cbranch_vccnz .LBB95_941
; %bb.940:
	global_load_b32 v0, v[4:5], off
	s_wait_loadcnt 0x0
	v_bfe_u32 v1, v0, 16, 1
	v_cmp_o_f32_e32 vcc_lo, v0, v0
	s_delay_alu instid0(VALU_DEP_2) | instskip(NEXT) | instid1(VALU_DEP_1)
	v_add3_u32 v1, v0, v1, 0x7fff
	v_lshrrev_b32_e32 v1, 16, v1
	s_delay_alu instid0(VALU_DEP_1)
	v_cndmask_b32_e32 v6, 0x7fc0, v1, vcc_lo
.LBB95_941:
	s_mov_b32 s7, 0
.LBB95_942:
	s_delay_alu instid0(SALU_CYCLE_1)
	s_and_not1_b32 vcc_lo, exec_lo, s7
	s_cbranch_vccnz .LBB95_944
; %bb.943:
	global_load_b32 v0, v[4:5], off
	s_wait_loadcnt 0x0
	v_cvt_f32_f16_e32 v1, v0
	v_cmp_o_f16_e32 vcc_lo, v0, v0
	s_delay_alu instid0(VALU_DEP_2) | instskip(NEXT) | instid1(VALU_DEP_1)
	v_bfe_u32 v3, v1, 16, 1
	v_add3_u32 v1, v1, v3, 0x7fff
	s_delay_alu instid0(VALU_DEP_1) | instskip(NEXT) | instid1(VALU_DEP_1)
	v_lshrrev_b32_e32 v1, 16, v1
	v_cndmask_b32_e32 v6, 0x7fc0, v1, vcc_lo
.LBB95_944:
	s_cbranch_execnz .LBB95_955
.LBB95_945:
	s_sext_i32_i16 s7, s13
	s_delay_alu instid0(SALU_CYCLE_1)
	s_cmp_lt_i32 s7, 6
	s_cbranch_scc1 .LBB95_948
; %bb.946:
	s_cmp_gt_i32 s7, 6
	s_cbranch_scc0 .LBB95_949
; %bb.947:
	s_wait_loadcnt 0x0
	global_load_b64 v[0:1], v[4:5], off
	s_mov_b32 s7, 0
	s_wait_loadcnt 0x0
	v_cvt_f32_f64_e32 v0, v[0:1]
	s_delay_alu instid0(VALU_DEP_1) | instskip(SKIP_1) | instid1(VALU_DEP_2)
	v_bfe_u32 v1, v0, 16, 1
	v_cmp_o_f32_e32 vcc_lo, v0, v0
	v_add3_u32 v1, v0, v1, 0x7fff
	s_delay_alu instid0(VALU_DEP_1) | instskip(NEXT) | instid1(VALU_DEP_1)
	v_lshrrev_b32_e32 v1, 16, v1
	v_cndmask_b32_e32 v6, 0x7fc0, v1, vcc_lo
	s_branch .LBB95_950
.LBB95_948:
	s_mov_b32 s7, -1
                                        ; implicit-def: $vgpr6
	s_branch .LBB95_953
.LBB95_949:
	s_mov_b32 s7, -1
                                        ; implicit-def: $vgpr6
.LBB95_950:
	s_delay_alu instid0(SALU_CYCLE_1)
	s_and_not1_b32 vcc_lo, exec_lo, s7
	s_cbranch_vccnz .LBB95_952
; %bb.951:
	global_load_b32 v0, v[4:5], off
	s_wait_loadcnt 0x0
	v_bfe_u32 v1, v0, 16, 1
	v_cmp_o_f32_e32 vcc_lo, v0, v0
	s_delay_alu instid0(VALU_DEP_2) | instskip(NEXT) | instid1(VALU_DEP_1)
	v_add3_u32 v1, v0, v1, 0x7fff
	v_lshrrev_b32_e32 v1, 16, v1
	s_delay_alu instid0(VALU_DEP_1)
	v_cndmask_b32_e32 v6, 0x7fc0, v1, vcc_lo
.LBB95_952:
	s_mov_b32 s7, 0
.LBB95_953:
	s_delay_alu instid0(SALU_CYCLE_1)
	s_and_not1_b32 vcc_lo, exec_lo, s7
	s_cbranch_vccnz .LBB95_955
; %bb.954:
	global_load_u16 v0, v[4:5], off
	s_wait_loadcnt 0x0
	v_cvt_f32_f16_e32 v1, v0
	v_cmp_o_f16_e32 vcc_lo, v0, v0
	s_delay_alu instid0(VALU_DEP_2) | instskip(NEXT) | instid1(VALU_DEP_1)
	v_bfe_u32 v3, v1, 16, 1
	v_add3_u32 v1, v1, v3, 0x7fff
	s_delay_alu instid0(VALU_DEP_1) | instskip(NEXT) | instid1(VALU_DEP_1)
	v_lshrrev_b32_e32 v1, 16, v1
	v_cndmask_b32_e32 v6, 0x7fc0, v1, vcc_lo
.LBB95_955:
	s_cbranch_execnz .LBB95_974
.LBB95_956:
	s_sext_i32_i16 s7, s13
	s_delay_alu instid0(SALU_CYCLE_1)
	s_cmp_lt_i32 s7, 2
	s_cbranch_scc1 .LBB95_960
; %bb.957:
	s_cmp_lt_i32 s7, 3
	s_cbranch_scc1 .LBB95_961
; %bb.958:
	s_cmp_gt_i32 s7, 3
	s_cbranch_scc0 .LBB95_962
; %bb.959:
	s_wait_loadcnt 0x0
	global_load_b64 v[0:1], v[4:5], off
	s_mov_b32 s7, 0
	s_wait_loadcnt 0x0
	v_xor_b32_e32 v3, v0, v1
	v_cls_i32_e32 v6, v1
	s_delay_alu instid0(VALU_DEP_2) | instskip(NEXT) | instid1(VALU_DEP_1)
	v_ashrrev_i32_e32 v3, 31, v3
	v_add_nc_u32_e32 v3, 32, v3
	s_delay_alu instid0(VALU_DEP_1) | instskip(NEXT) | instid1(VALU_DEP_1)
	v_add_min_u32_e64 v3, v6, -1, v3
	v_lshlrev_b64_e32 v[0:1], v3, v[0:1]
	s_delay_alu instid0(VALU_DEP_1) | instskip(NEXT) | instid1(VALU_DEP_1)
	v_min_u32_e32 v0, 1, v0
	v_dual_sub_nc_u32 v1, 32, v3 :: v_dual_bitop2_b32 v0, v1, v0 bitop3:0x54
	s_delay_alu instid0(VALU_DEP_1) | instskip(NEXT) | instid1(VALU_DEP_1)
	v_cvt_f32_i32_e32 v0, v0
	v_ldexp_f32 v0, v0, v1
	s_delay_alu instid0(VALU_DEP_1) | instskip(NEXT) | instid1(VALU_DEP_1)
	v_bfe_u32 v1, v0, 16, 1
	v_add3_u32 v0, v0, v1, 0x7fff
	s_delay_alu instid0(VALU_DEP_1)
	v_lshrrev_b32_e32 v6, 16, v0
	s_branch .LBB95_963
.LBB95_960:
                                        ; implicit-def: $vgpr6
	s_branch .LBB95_969
.LBB95_961:
	s_mov_b32 s7, -1
                                        ; implicit-def: $vgpr6
	s_branch .LBB95_966
.LBB95_962:
	s_mov_b32 s7, -1
                                        ; implicit-def: $vgpr6
.LBB95_963:
	s_delay_alu instid0(SALU_CYCLE_1)
	s_and_not1_b32 vcc_lo, exec_lo, s7
	s_cbranch_vccnz .LBB95_965
; %bb.964:
	global_load_b32 v0, v[4:5], off
	s_wait_loadcnt 0x0
	v_cvt_f32_i32_e32 v0, v0
	s_delay_alu instid0(VALU_DEP_1) | instskip(NEXT) | instid1(VALU_DEP_1)
	v_bfe_u32 v1, v0, 16, 1
	v_add3_u32 v0, v0, v1, 0x7fff
	s_delay_alu instid0(VALU_DEP_1)
	v_lshrrev_b32_e32 v6, 16, v0
.LBB95_965:
	s_mov_b32 s7, 0
.LBB95_966:
	s_delay_alu instid0(SALU_CYCLE_1)
	s_and_not1_b32 vcc_lo, exec_lo, s7
	s_cbranch_vccnz .LBB95_968
; %bb.967:
	global_load_i16 v0, v[4:5], off
	s_wait_loadcnt 0x0
	v_cvt_f32_i32_e32 v0, v0
	s_delay_alu instid0(VALU_DEP_1) | instskip(NEXT) | instid1(VALU_DEP_1)
	v_bfe_u32 v1, v0, 16, 1
	v_add3_u32 v0, v0, v1, 0x7fff
	s_delay_alu instid0(VALU_DEP_1)
	v_lshrrev_b32_e32 v6, 16, v0
.LBB95_968:
	s_cbranch_execnz .LBB95_974
.LBB95_969:
	s_sext_i32_i16 s7, s13
	s_delay_alu instid0(SALU_CYCLE_1)
	s_cmp_gt_i32 s7, 0
	s_mov_b32 s7, 0
	s_cbranch_scc0 .LBB95_971
; %bb.970:
	global_load_i8 v0, v[4:5], off
	s_wait_loadcnt 0x0
	v_cvt_f32_i32_e32 v0, v0
	s_delay_alu instid0(VALU_DEP_1) | instskip(NEXT) | instid1(VALU_DEP_1)
	v_bfe_u32 v1, v0, 16, 1
	v_add3_u32 v0, v0, v1, 0x7fff
	s_delay_alu instid0(VALU_DEP_1)
	v_lshrrev_b32_e32 v6, 16, v0
	s_branch .LBB95_972
.LBB95_971:
	s_mov_b32 s7, -1
                                        ; implicit-def: $vgpr6
.LBB95_972:
	s_delay_alu instid0(SALU_CYCLE_1)
	s_and_not1_b32 vcc_lo, exec_lo, s7
	s_cbranch_vccnz .LBB95_974
; %bb.973:
	global_load_u8 v0, v[4:5], off
	s_wait_loadcnt 0x0
	v_cvt_f32_ubyte0_e32 v0, v0
	s_delay_alu instid0(VALU_DEP_1) | instskip(NEXT) | instid1(VALU_DEP_1)
	v_bfe_u32 v1, v0, 16, 1
	v_add3_u32 v0, v0, v1, 0x7fff
	s_delay_alu instid0(VALU_DEP_1)
	v_lshrrev_b32_e32 v6, 16, v0
.LBB95_974:
	s_or_b32 s0, s0, exec_lo
.LBB95_975:
	s_wait_xcnt 0x0
	s_or_b32 exec_lo, exec_lo, s6
	s_mov_b32 s10, 0
	s_mov_b32 s9, 0
                                        ; implicit-def: $sgpr6
                                        ; implicit-def: $sgpr7
                                        ; implicit-def: $vgpr0_vgpr1
	s_and_saveexec_b32 s8, s0
	s_cbranch_execz .LBB95_983
; %bb.976:
	s_wait_loadcnt 0x0
	v_dual_mov_b32 v3, 0 :: v_dual_lshlrev_b32 v4, 16, v6
	s_and_b32 s7, s34, 0xff
	s_delay_alu instid0(SALU_CYCLE_1) | instskip(NEXT) | instid1(VALU_DEP_1)
	s_cmp_lt_i32 s7, 11
	v_add_nc_u64_e32 v[0:1], s[4:5], v[2:3]
	s_delay_alu instid0(VALU_DEP_2)
	v_cmp_eq_f32_e64 s6, 0xff800000, v4
	s_cbranch_scc1 .LBB95_986
; %bb.977:
	s_and_b32 s4, 0xffff, s7
	s_mov_b32 s5, -1
	s_cmp_gt_i32 s4, 25
	s_mov_b32 s0, s18
	s_cbranch_scc0 .LBB95_1014
; %bb.978:
	s_cmp_gt_i32 s4, 28
	s_mov_b32 s0, s18
	s_cbranch_scc0 .LBB95_998
; %bb.979:
	;; [unrolled: 4-line block ×4, first 2 shown]
	s_cmp_eq_u32 s4, 46
	s_mov_b32 s0, -1
	s_cbranch_scc0 .LBB95_987
; %bb.982:
	v_cndmask_b32_e64 v2, 0, 1.0, s6
	s_mov_b32 s0, 0
	s_mov_b32 s5, 0
	s_delay_alu instid0(VALU_DEP_1) | instskip(NEXT) | instid1(VALU_DEP_1)
	v_bfe_u32 v3, v2, 16, 1
	v_add3_u32 v2, v2, v3, 0x7fff
	s_delay_alu instid0(VALU_DEP_1)
	v_lshrrev_b32_e32 v2, 16, v2
	global_store_b32 v[0:1], v2, off
	s_branch .LBB95_988
.LBB95_983:
	s_or_b32 exec_lo, exec_lo, s8
	s_and_saveexec_b32 s0, s18
	s_cbranch_execnz .LBB95_1056
.LBB95_984:
	s_or_b32 exec_lo, exec_lo, s0
	s_and_saveexec_b32 s0, s10
	s_delay_alu instid0(SALU_CYCLE_1)
	s_xor_b32 s0, exec_lo, s0
	s_cbranch_execz .LBB95_1057
.LBB95_985:
	v_cndmask_b32_e64 v2, 0, 1, s6
	s_wait_loadcnt 0x0
	global_store_b8 v[0:1], v2, off
	s_wait_xcnt 0x0
	s_or_b32 exec_lo, exec_lo, s0
	s_and_saveexec_b32 s0, s9
	s_delay_alu instid0(SALU_CYCLE_1)
	s_xor_b32 s0, exec_lo, s0
	s_cbranch_execz .LBB95_1095
	s_branch .LBB95_1058
.LBB95_986:
	s_mov_b32 s5, -1
	s_mov_b32 s0, s18
	s_branch .LBB95_1055
.LBB95_987:
	s_mov_b32 s5, 0
.LBB95_988:
	s_delay_alu instid0(SALU_CYCLE_1)
	s_and_b32 vcc_lo, exec_lo, s5
	s_cbranch_vccz .LBB95_993
; %bb.989:
	s_cmp_eq_u32 s4, 44
	s_mov_b32 s0, -1
	s_cbranch_scc0 .LBB95_993
; %bb.990:
	v_cndmask_b32_e64 v4, 0, 1.0, s6
	s_mov_b32 s5, exec_lo
	s_wait_xcnt 0x0
	s_delay_alu instid0(VALU_DEP_1) | instskip(NEXT) | instid1(VALU_DEP_1)
	v_dual_mov_b32 v3, 0xff :: v_dual_lshrrev_b32 v2, 23, v4
	v_cmpx_ne_u32_e32 0xff, v2
; %bb.991:
	v_and_b32_e32 v3, 0x400000, v4
	v_and_or_b32 v4, 0x3fffff, v4, v2
	s_delay_alu instid0(VALU_DEP_2) | instskip(NEXT) | instid1(VALU_DEP_2)
	v_cmp_ne_u32_e32 vcc_lo, 0, v3
	v_cmp_ne_u32_e64 s0, 0, v4
	s_and_b32 s0, vcc_lo, s0
	s_delay_alu instid0(SALU_CYCLE_1) | instskip(NEXT) | instid1(VALU_DEP_1)
	v_cndmask_b32_e64 v3, 0, 1, s0
	v_add_nc_u32_e32 v3, v2, v3
; %bb.992:
	s_or_b32 exec_lo, exec_lo, s5
	s_mov_b32 s0, 0
	global_store_b8 v[0:1], v3, off
.LBB95_993:
	s_mov_b32 s5, 0
.LBB95_994:
	s_delay_alu instid0(SALU_CYCLE_1)
	s_and_b32 vcc_lo, exec_lo, s5
	s_cbranch_vccz .LBB95_997
; %bb.995:
	s_cmp_eq_u32 s4, 29
	s_mov_b32 s0, -1
	s_cbranch_scc0 .LBB95_997
; %bb.996:
	s_mov_b32 s0, 0
	s_wait_xcnt 0x0
	v_cndmask_b32_e64 v2, 0, 1, s6
	v_mov_b32_e32 v3, s0
	s_mov_b32 s5, 0
	global_store_b64 v[0:1], v[2:3], off
	s_branch .LBB95_998
.LBB95_997:
	s_mov_b32 s5, 0
.LBB95_998:
	s_delay_alu instid0(SALU_CYCLE_1)
	s_and_b32 vcc_lo, exec_lo, s5
	s_cbranch_vccz .LBB95_1013
; %bb.999:
	s_cmp_lt_i32 s4, 27
	s_mov_b32 s5, -1
	s_cbranch_scc1 .LBB95_1005
; %bb.1000:
	s_cmp_gt_i32 s4, 27
	s_cbranch_scc0 .LBB95_1002
; %bb.1001:
	s_wait_xcnt 0x0
	v_cndmask_b32_e64 v2, 0, 1, s6
	s_mov_b32 s5, 0
	global_store_b32 v[0:1], v2, off
.LBB95_1002:
	s_and_not1_b32 vcc_lo, exec_lo, s5
	s_cbranch_vccnz .LBB95_1004
; %bb.1003:
	s_wait_xcnt 0x0
	v_cndmask_b32_e64 v2, 0, 1, s6
	global_store_b16 v[0:1], v2, off
.LBB95_1004:
	s_mov_b32 s5, 0
.LBB95_1005:
	s_delay_alu instid0(SALU_CYCLE_1)
	s_and_not1_b32 vcc_lo, exec_lo, s5
	s_cbranch_vccnz .LBB95_1013
; %bb.1006:
	s_wait_xcnt 0x0
	v_cndmask_b32_e64 v3, 0, 1.0, s6
	v_mov_b32_e32 v4, 0x80
	s_mov_b32 s5, exec_lo
	s_delay_alu instid0(VALU_DEP_2)
	v_cmpx_gt_u32_e32 0x43800000, v3
	s_cbranch_execz .LBB95_1012
; %bb.1007:
	s_mov_b32 s10, exec_lo
                                        ; implicit-def: $vgpr2
	v_cmpx_lt_u32_e32 0x3bffffff, v3
	s_xor_b32 s10, exec_lo, s10
	s_cbranch_execz .LBB95_1170
; %bb.1008:
	v_bfe_u32 v2, v3, 20, 1
	s_mov_b32 s9, exec_lo
	s_delay_alu instid0(VALU_DEP_1) | instskip(NEXT) | instid1(VALU_DEP_1)
	v_add3_u32 v2, v3, v2, 0x487ffff
                                        ; implicit-def: $vgpr3
	v_lshrrev_b32_e32 v2, 20, v2
	s_and_not1_saveexec_b32 s10, s10
	s_cbranch_execnz .LBB95_1171
.LBB95_1009:
	s_or_b32 exec_lo, exec_lo, s10
	v_mov_b32_e32 v4, 0
	s_and_saveexec_b32 s10, s9
.LBB95_1010:
	v_mov_b32_e32 v4, v2
.LBB95_1011:
	s_or_b32 exec_lo, exec_lo, s10
.LBB95_1012:
	s_delay_alu instid0(SALU_CYCLE_1)
	s_or_b32 exec_lo, exec_lo, s5
	global_store_b8 v[0:1], v4, off
.LBB95_1013:
	s_mov_b32 s5, 0
.LBB95_1014:
	s_delay_alu instid0(SALU_CYCLE_1)
	s_and_b32 vcc_lo, exec_lo, s5
	s_mov_b32 s5, 0
	s_cbranch_vccz .LBB95_1054
; %bb.1015:
	s_cmp_gt_i32 s4, 22
	s_mov_b32 s9, -1
	s_cbranch_scc0 .LBB95_1047
; %bb.1016:
	s_cmp_lt_i32 s4, 24
	s_cbranch_scc1 .LBB95_1036
; %bb.1017:
	s_cmp_gt_i32 s4, 24
	s_cbranch_scc0 .LBB95_1025
; %bb.1018:
	s_wait_xcnt 0x0
	v_cndmask_b32_e64 v3, 0, 1.0, s6
	v_mov_b32_e32 v4, 0x80
	s_mov_b32 s9, exec_lo
	s_delay_alu instid0(VALU_DEP_2)
	v_cmpx_gt_u32_e32 0x47800000, v3
	s_cbranch_execz .LBB95_1024
; %bb.1019:
	s_mov_b32 s10, 0
	s_mov_b32 s11, exec_lo
                                        ; implicit-def: $vgpr2
	v_cmpx_lt_u32_e32 0x37ffffff, v3
	s_xor_b32 s11, exec_lo, s11
	s_cbranch_execz .LBB95_1296
; %bb.1020:
	v_bfe_u32 v2, v3, 21, 1
	s_mov_b32 s10, exec_lo
	s_delay_alu instid0(VALU_DEP_1) | instskip(NEXT) | instid1(VALU_DEP_1)
	v_add3_u32 v2, v3, v2, 0x88fffff
                                        ; implicit-def: $vgpr3
	v_lshrrev_b32_e32 v2, 21, v2
	s_and_not1_saveexec_b32 s11, s11
	s_cbranch_execnz .LBB95_1297
.LBB95_1021:
	s_or_b32 exec_lo, exec_lo, s11
	v_mov_b32_e32 v4, 0
	s_and_saveexec_b32 s11, s10
.LBB95_1022:
	v_mov_b32_e32 v4, v2
.LBB95_1023:
	s_or_b32 exec_lo, exec_lo, s11
.LBB95_1024:
	s_delay_alu instid0(SALU_CYCLE_1)
	s_or_b32 exec_lo, exec_lo, s9
	s_mov_b32 s9, 0
	global_store_b8 v[0:1], v4, off
.LBB95_1025:
	s_and_b32 vcc_lo, exec_lo, s9
	s_cbranch_vccz .LBB95_1035
; %bb.1026:
	s_wait_xcnt 0x0
	v_cndmask_b32_e64 v3, 0, 1.0, s6
	s_mov_b32 s9, exec_lo
                                        ; implicit-def: $vgpr2
	s_delay_alu instid0(VALU_DEP_1)
	v_cmpx_gt_u32_e32 0x43f00000, v3
	s_xor_b32 s9, exec_lo, s9
	s_cbranch_execz .LBB95_1032
; %bb.1027:
	s_mov_b32 s10, exec_lo
                                        ; implicit-def: $vgpr2
	v_cmpx_lt_u32_e32 0x3c7fffff, v3
	s_xor_b32 s10, exec_lo, s10
; %bb.1028:
	v_bfe_u32 v2, v3, 20, 1
	s_delay_alu instid0(VALU_DEP_1) | instskip(NEXT) | instid1(VALU_DEP_1)
	v_add3_u32 v2, v3, v2, 0x407ffff
	v_and_b32_e32 v3, 0xff00000, v2
	v_lshrrev_b32_e32 v2, 20, v2
	s_delay_alu instid0(VALU_DEP_2) | instskip(NEXT) | instid1(VALU_DEP_2)
	v_cmp_ne_u32_e32 vcc_lo, 0x7f00000, v3
                                        ; implicit-def: $vgpr3
	v_cndmask_b32_e32 v2, 0x7e, v2, vcc_lo
; %bb.1029:
	s_and_not1_saveexec_b32 s10, s10
; %bb.1030:
	v_add_f32_e32 v2, 0x46800000, v3
; %bb.1031:
	s_or_b32 exec_lo, exec_lo, s10
                                        ; implicit-def: $vgpr3
.LBB95_1032:
	s_and_not1_saveexec_b32 s9, s9
; %bb.1033:
	v_mov_b32_e32 v2, 0x7f
	v_cmp_lt_u32_e32 vcc_lo, 0x7f800000, v3
	s_delay_alu instid0(VALU_DEP_2)
	v_cndmask_b32_e32 v2, 0x7e, v2, vcc_lo
; %bb.1034:
	s_or_b32 exec_lo, exec_lo, s9
	global_store_b8 v[0:1], v2, off
.LBB95_1035:
	s_mov_b32 s9, 0
.LBB95_1036:
	s_delay_alu instid0(SALU_CYCLE_1)
	s_and_not1_b32 vcc_lo, exec_lo, s9
	s_cbranch_vccnz .LBB95_1046
; %bb.1037:
	s_wait_xcnt 0x0
	v_cndmask_b32_e64 v3, 0, 1.0, s6
	s_mov_b32 s9, exec_lo
                                        ; implicit-def: $vgpr2
	s_delay_alu instid0(VALU_DEP_1)
	v_cmpx_gt_u32_e32 0x47800000, v3
	s_xor_b32 s9, exec_lo, s9
	s_cbranch_execz .LBB95_1043
; %bb.1038:
	s_mov_b32 s10, exec_lo
                                        ; implicit-def: $vgpr2
	v_cmpx_lt_u32_e32 0x387fffff, v3
	s_xor_b32 s10, exec_lo, s10
; %bb.1039:
	v_bfe_u32 v2, v3, 21, 1
	s_delay_alu instid0(VALU_DEP_1) | instskip(NEXT) | instid1(VALU_DEP_1)
	v_add3_u32 v2, v3, v2, 0x80fffff
                                        ; implicit-def: $vgpr3
	v_lshrrev_b32_e32 v2, 21, v2
; %bb.1040:
	s_and_not1_saveexec_b32 s10, s10
; %bb.1041:
	v_add_f32_e32 v2, 0x43000000, v3
; %bb.1042:
	s_or_b32 exec_lo, exec_lo, s10
                                        ; implicit-def: $vgpr3
.LBB95_1043:
	s_and_not1_saveexec_b32 s9, s9
; %bb.1044:
	v_mov_b32_e32 v2, 0x7f
	v_cmp_lt_u32_e32 vcc_lo, 0x7f800000, v3
	s_delay_alu instid0(VALU_DEP_2)
	v_cndmask_b32_e32 v2, 0x7c, v2, vcc_lo
; %bb.1045:
	s_or_b32 exec_lo, exec_lo, s9
	global_store_b8 v[0:1], v2, off
.LBB95_1046:
	s_mov_b32 s9, 0
.LBB95_1047:
	s_delay_alu instid0(SALU_CYCLE_1)
	s_and_not1_b32 vcc_lo, exec_lo, s9
	s_mov_b32 s10, 0
	s_cbranch_vccnz .LBB95_1055
; %bb.1048:
	s_cmp_gt_i32 s4, 14
	s_mov_b32 s9, -1
	s_cbranch_scc0 .LBB95_1052
; %bb.1049:
	s_cmp_eq_u32 s4, 15
	s_mov_b32 s0, -1
	s_cbranch_scc0 .LBB95_1051
; %bb.1050:
	s_wait_xcnt 0x0
	v_cndmask_b32_e64 v2, 0, 1.0, s6
	s_mov_b32 s0, 0
	s_delay_alu instid0(VALU_DEP_1) | instskip(NEXT) | instid1(VALU_DEP_1)
	v_bfe_u32 v3, v2, 16, 1
	v_add3_u32 v2, v2, v3, 0x7fff
	global_store_d16_hi_b16 v[0:1], v2, off
.LBB95_1051:
	s_mov_b32 s9, 0
.LBB95_1052:
	s_delay_alu instid0(SALU_CYCLE_1)
	s_and_b32 vcc_lo, exec_lo, s9
	s_cbranch_vccz .LBB95_1055
; %bb.1053:
	s_cmp_lg_u32 s4, 11
	s_mov_b32 s10, -1
	s_cselect_b32 s4, -1, 0
	s_and_not1_b32 s0, s0, exec_lo
	s_and_b32 s4, s4, exec_lo
	s_delay_alu instid0(SALU_CYCLE_1)
	s_or_b32 s0, s0, s4
	s_branch .LBB95_1055
.LBB95_1054:
	s_mov_b32 s10, 0
.LBB95_1055:
	s_and_not1_b32 s4, s18, exec_lo
	s_and_b32 s0, s0, exec_lo
	s_and_b32 s9, s5, exec_lo
	;; [unrolled: 1-line block ×3, first 2 shown]
	s_or_b32 s18, s4, s0
	s_wait_xcnt 0x0
	s_or_b32 exec_lo, exec_lo, s8
	s_and_saveexec_b32 s0, s18
	s_cbranch_execz .LBB95_984
.LBB95_1056:
	s_or_b32 s1, s1, exec_lo
	s_and_not1_b32 s10, s10, exec_lo
	s_trap 2
	s_or_b32 exec_lo, exec_lo, s0
	s_and_saveexec_b32 s0, s10
	s_delay_alu instid0(SALU_CYCLE_1)
	s_xor_b32 s0, exec_lo, s0
	s_cbranch_execnz .LBB95_985
.LBB95_1057:
	s_or_b32 exec_lo, exec_lo, s0
	s_and_saveexec_b32 s0, s9
	s_delay_alu instid0(SALU_CYCLE_1)
	s_xor_b32 s0, exec_lo, s0
	s_cbranch_execz .LBB95_1095
.LBB95_1058:
	s_sext_i32_i16 s5, s7
	s_mov_b32 s4, -1
	s_cmp_lt_i32 s5, 5
	s_cbranch_scc1 .LBB95_1079
; %bb.1059:
	s_cmp_lt_i32 s5, 8
	s_cbranch_scc1 .LBB95_1069
; %bb.1060:
	;; [unrolled: 3-line block ×3, first 2 shown]
	s_cmp_gt_i32 s5, 9
	s_cbranch_scc0 .LBB95_1063
; %bb.1062:
	v_cndmask_b32_e64 v2, 0, 1, s6
	v_mov_b32_e32 v4, 0
	s_mov_b32 s4, 0
	s_delay_alu instid0(VALU_DEP_2) | instskip(NEXT) | instid1(VALU_DEP_2)
	v_cvt_f64_u32_e32 v[2:3], v2
	v_mov_b32_e32 v5, v4
	s_wait_loadcnt 0x0
	global_store_b128 v[0:1], v[2:5], off
.LBB95_1063:
	s_and_not1_b32 vcc_lo, exec_lo, s4
	s_cbranch_vccnz .LBB95_1065
; %bb.1064:
	s_wait_xcnt 0x0
	v_cndmask_b32_e64 v2, 0, 1.0, s6
	v_mov_b32_e32 v3, 0
	s_wait_loadcnt 0x0
	global_store_b64 v[0:1], v[2:3], off
.LBB95_1065:
	s_mov_b32 s4, 0
.LBB95_1066:
	s_delay_alu instid0(SALU_CYCLE_1)
	s_and_not1_b32 vcc_lo, exec_lo, s4
	s_cbranch_vccnz .LBB95_1068
; %bb.1067:
	s_wait_xcnt 0x0
	v_cndmask_b32_e64 v2, 0, 1.0, s6
	s_delay_alu instid0(VALU_DEP_1) | instskip(NEXT) | instid1(VALU_DEP_1)
	v_cvt_f16_f32_e32 v2, v2
	v_and_b32_e32 v2, 0xffff, v2
	s_wait_loadcnt 0x0
	global_store_b32 v[0:1], v2, off
.LBB95_1068:
	s_mov_b32 s4, 0
.LBB95_1069:
	s_delay_alu instid0(SALU_CYCLE_1)
	s_and_not1_b32 vcc_lo, exec_lo, s4
	s_cbranch_vccnz .LBB95_1078
; %bb.1070:
	s_sext_i32_i16 s5, s7
	s_mov_b32 s4, -1
	s_cmp_lt_i32 s5, 6
	s_cbranch_scc1 .LBB95_1076
; %bb.1071:
	s_cmp_gt_i32 s5, 6
	s_cbranch_scc0 .LBB95_1073
; %bb.1072:
	s_wait_xcnt 0x0
	v_cndmask_b32_e64 v2, 0, 1, s6
	s_mov_b32 s4, 0
	s_delay_alu instid0(VALU_DEP_1)
	v_cvt_f64_u32_e32 v[2:3], v2
	s_wait_loadcnt 0x0
	global_store_b64 v[0:1], v[2:3], off
.LBB95_1073:
	s_and_not1_b32 vcc_lo, exec_lo, s4
	s_cbranch_vccnz .LBB95_1075
; %bb.1074:
	s_wait_xcnt 0x0
	v_cndmask_b32_e64 v2, 0, 1.0, s6
	s_wait_loadcnt 0x0
	global_store_b32 v[0:1], v2, off
.LBB95_1075:
	s_mov_b32 s4, 0
.LBB95_1076:
	s_delay_alu instid0(SALU_CYCLE_1)
	s_and_not1_b32 vcc_lo, exec_lo, s4
	s_cbranch_vccnz .LBB95_1078
; %bb.1077:
	s_wait_xcnt 0x0
	v_cndmask_b32_e64 v2, 0, 1.0, s6
	s_delay_alu instid0(VALU_DEP_1)
	v_cvt_f16_f32_e32 v2, v2
	s_wait_loadcnt 0x0
	global_store_b16 v[0:1], v2, off
.LBB95_1078:
	s_mov_b32 s4, 0
.LBB95_1079:
	s_delay_alu instid0(SALU_CYCLE_1)
	s_and_not1_b32 vcc_lo, exec_lo, s4
	s_cbranch_vccnz .LBB95_1095
; %bb.1080:
	s_sext_i32_i16 s5, s7
	s_mov_b32 s4, -1
	s_cmp_lt_i32 s5, 2
	s_cbranch_scc1 .LBB95_1090
; %bb.1081:
	s_cmp_lt_i32 s5, 3
	s_cbranch_scc1 .LBB95_1087
; %bb.1082:
	s_cmp_gt_i32 s5, 3
	s_cbranch_scc0 .LBB95_1084
; %bb.1083:
	s_mov_b32 s4, 0
	s_wait_xcnt 0x0
	v_cndmask_b32_e64 v2, 0, 1, s6
	v_mov_b32_e32 v3, s4
	s_wait_loadcnt 0x0
	global_store_b64 v[0:1], v[2:3], off
.LBB95_1084:
	s_and_not1_b32 vcc_lo, exec_lo, s4
	s_cbranch_vccnz .LBB95_1086
; %bb.1085:
	s_wait_xcnt 0x0
	v_cndmask_b32_e64 v2, 0, 1, s6
	s_wait_loadcnt 0x0
	global_store_b32 v[0:1], v2, off
.LBB95_1086:
	s_mov_b32 s4, 0
.LBB95_1087:
	s_delay_alu instid0(SALU_CYCLE_1)
	s_and_not1_b32 vcc_lo, exec_lo, s4
	s_cbranch_vccnz .LBB95_1089
; %bb.1088:
	s_wait_xcnt 0x0
	v_cndmask_b32_e64 v2, 0, 1, s6
	s_wait_loadcnt 0x0
	global_store_b16 v[0:1], v2, off
.LBB95_1089:
	s_mov_b32 s4, 0
.LBB95_1090:
	s_delay_alu instid0(SALU_CYCLE_1)
	s_and_not1_b32 vcc_lo, exec_lo, s4
	s_cbranch_vccnz .LBB95_1095
; %bb.1091:
	s_sext_i32_i16 s4, s7
	s_delay_alu instid0(SALU_CYCLE_1)
	s_cmp_gt_i32 s4, 0
	s_mov_b32 s4, -1
	s_cbranch_scc0 .LBB95_1093
; %bb.1092:
	s_wait_xcnt 0x0
	v_cndmask_b32_e64 v2, 0, 1, s6
	s_mov_b32 s4, 0
	s_wait_loadcnt 0x0
	global_store_b8 v[0:1], v2, off
.LBB95_1093:
	s_and_not1_b32 vcc_lo, exec_lo, s4
	s_cbranch_vccnz .LBB95_1095
; %bb.1094:
	s_wait_xcnt 0x0
	v_cndmask_b32_e64 v2, 0, 1, s6
	s_wait_loadcnt 0x0
	global_store_b8 v[0:1], v2, off
.LBB95_1095:
	s_wait_xcnt 0x0
	s_or_b32 exec_lo, exec_lo, s0
	s_delay_alu instid0(SALU_CYCLE_1)
	s_and_b32 s8, s1, exec_lo
                                        ; implicit-def: $vgpr9
                                        ; implicit-def: $vgpr0
.LBB95_1096:
	s_or_saveexec_b32 s9, s33
	s_mov_b32 s0, 0
                                        ; implicit-def: $sgpr1
                                        ; implicit-def: $vgpr2_vgpr3
                                        ; implicit-def: $sgpr6
	s_xor_b32 exec_lo, exec_lo, s9
	s_cbranch_execz .LBB95_2108
; %bb.1097:
	s_wait_loadcnt 0x0
	v_cndmask_b32_e64 v1, 0, 1, s31
	s_and_not1_b32 vcc_lo, exec_lo, s31
	s_cbranch_vccnz .LBB95_1103
; %bb.1098:
	s_cmp_lg_u32 s28, 0
	s_mov_b32 s10, 0
	s_cbranch_scc0 .LBB95_1104
; %bb.1099:
	s_min_u32 s1, s29, 15
	s_delay_alu instid0(SALU_CYCLE_1)
	s_add_co_i32 s1, s1, 1
	s_cmp_eq_u32 s29, 2
	s_cbranch_scc1 .LBB95_1105
; %bb.1100:
	v_dual_mov_b32 v6, 0 :: v_dual_mov_b32 v14, 0
	v_mov_b32_e32 v2, v0
	s_and_b32 s0, s1, 28
	s_add_nc_u64 s[4:5], s[2:3], 0xc4
	s_mov_b32 s11, 0
	s_mov_b64 s[6:7], s[2:3]
.LBB95_1101:                            ; =>This Inner Loop Header: Depth=1
	s_clause 0x1
	s_load_b256 s[12:19], s[6:7], 0x4
	s_load_b128 s[36:39], s[6:7], 0x24
	s_load_b256 s[20:27], s[4:5], 0x0
	s_add_co_i32 s11, s11, 4
	s_wait_xcnt 0x0
	s_add_nc_u64 s[6:7], s[6:7], 48
	s_cmp_lg_u32 s0, s11
	s_add_nc_u64 s[4:5], s[4:5], 32
	s_wait_kmcnt 0x0
	v_mul_hi_u32 v3, s13, v2
	s_delay_alu instid0(VALU_DEP_1) | instskip(NEXT) | instid1(VALU_DEP_1)
	v_add_nc_u32_e32 v3, v2, v3
	v_lshrrev_b32_e32 v3, s14, v3
	s_delay_alu instid0(VALU_DEP_1) | instskip(NEXT) | instid1(VALU_DEP_1)
	v_mul_hi_u32 v4, s16, v3
	v_add_nc_u32_e32 v4, v3, v4
	s_delay_alu instid0(VALU_DEP_1) | instskip(NEXT) | instid1(VALU_DEP_1)
	v_lshrrev_b32_e32 v4, s17, v4
	v_mul_hi_u32 v5, s19, v4
	s_delay_alu instid0(VALU_DEP_1) | instskip(SKIP_1) | instid1(VALU_DEP_1)
	v_add_nc_u32_e32 v5, v4, v5
	v_mul_lo_u32 v7, v3, s12
	v_sub_nc_u32_e32 v2, v2, v7
	v_mul_lo_u32 v7, v4, s15
	s_delay_alu instid0(VALU_DEP_4) | instskip(NEXT) | instid1(VALU_DEP_3)
	v_lshrrev_b32_e32 v5, s36, v5
	v_mad_u32 v10, v2, s21, v14
	v_mad_u32 v2, v2, s20, v6
	s_delay_alu instid0(VALU_DEP_4) | instskip(NEXT) | instid1(VALU_DEP_4)
	v_sub_nc_u32_e32 v3, v3, v7
	v_mul_hi_u32 v8, s38, v5
	v_mul_lo_u32 v6, v5, s18
	s_delay_alu instid0(VALU_DEP_1) | instskip(NEXT) | instid1(VALU_DEP_4)
	v_dual_add_nc_u32 v7, v5, v8 :: v_dual_sub_nc_u32 v4, v4, v6
	v_mad_u32 v8, v3, s23, v10
	v_mad_u32 v3, v3, s22, v2
	s_delay_alu instid0(VALU_DEP_3) | instskip(NEXT) | instid1(VALU_DEP_1)
	v_lshrrev_b32_e32 v2, s39, v7
	v_mul_lo_u32 v6, v2, s37
	s_delay_alu instid0(VALU_DEP_4) | instskip(NEXT) | instid1(VALU_DEP_4)
	v_mad_u32 v7, v4, s25, v8
	v_mad_u32 v3, v4, s24, v3
	s_delay_alu instid0(VALU_DEP_3) | instskip(NEXT) | instid1(VALU_DEP_1)
	v_sub_nc_u32_e32 v4, v5, v6
	v_mad_u32 v14, v4, s27, v7
	s_delay_alu instid0(VALU_DEP_3)
	v_mad_u32 v6, v4, s26, v3
	s_cbranch_scc1 .LBB95_1101
; %bb.1102:
	s_delay_alu instid0(VALU_DEP_2)
	v_mov_b32_e32 v7, v14
	s_and_b32 s6, s1, 3
	s_mov_b32 s1, 0
	s_cmp_eq_u32 s6, 0
	s_cbranch_scc0 .LBB95_1106
	s_branch .LBB95_1109
.LBB95_1103:
	s_mov_b32 s10, -1
                                        ; implicit-def: $vgpr14
                                        ; implicit-def: $vgpr6
	s_branch .LBB95_1109
.LBB95_1104:
	v_dual_mov_b32 v14, 0 :: v_dual_mov_b32 v6, 0
	s_branch .LBB95_1109
.LBB95_1105:
	v_mov_b64_e32 v[6:7], 0
	v_mov_b32_e32 v2, v0
                                        ; implicit-def: $vgpr14
	s_and_b32 s6, s1, 3
	s_mov_b32 s1, 0
	s_cmp_eq_u32 s6, 0
	s_cbranch_scc1 .LBB95_1109
.LBB95_1106:
	s_lshl_b32 s4, s0, 3
	s_mov_b32 s5, s1
	s_mul_u64 s[12:13], s[0:1], 12
	s_add_nc_u64 s[4:5], s[2:3], s[4:5]
	s_delay_alu instid0(SALU_CYCLE_1)
	s_add_nc_u64 s[0:1], s[4:5], 0xc4
	s_add_nc_u64 s[4:5], s[2:3], s[12:13]
.LBB95_1107:                            ; =>This Inner Loop Header: Depth=1
	s_load_b96 s[12:14], s[4:5], 0x4
	s_add_co_i32 s6, s6, -1
	s_wait_xcnt 0x0
	s_add_nc_u64 s[4:5], s[4:5], 12
	s_cmp_lg_u32 s6, 0
	s_wait_kmcnt 0x0
	v_mul_hi_u32 v3, s13, v2
	s_delay_alu instid0(VALU_DEP_1) | instskip(NEXT) | instid1(VALU_DEP_1)
	v_add_nc_u32_e32 v3, v2, v3
	v_lshrrev_b32_e32 v3, s14, v3
	s_load_b64 s[14:15], s[0:1], 0x0
	s_wait_xcnt 0x0
	s_add_nc_u64 s[0:1], s[0:1], 8
	s_delay_alu instid0(VALU_DEP_1) | instskip(NEXT) | instid1(VALU_DEP_1)
	v_mul_lo_u32 v4, v3, s12
	v_sub_nc_u32_e32 v2, v2, v4
	s_wait_kmcnt 0x0
	s_delay_alu instid0(VALU_DEP_1)
	v_mad_u32 v7, v2, s15, v7
	v_mad_u32 v6, v2, s14, v6
	v_mov_b32_e32 v2, v3
	s_cbranch_scc1 .LBB95_1107
; %bb.1108:
	s_delay_alu instid0(VALU_DEP_3)
	v_mov_b32_e32 v14, v7
.LBB95_1109:
	s_and_not1_b32 vcc_lo, exec_lo, s10
	s_cbranch_vccnz .LBB95_1112
; %bb.1110:
	s_clause 0x1
	s_load_b96 s[4:6], s[2:3], 0x4
	s_load_b64 s[0:1], s[2:3], 0xc4
	s_cmp_lt_u32 s28, 2
	s_wait_kmcnt 0x0
	v_mul_hi_u32 v2, s5, v0
	s_delay_alu instid0(VALU_DEP_1) | instskip(NEXT) | instid1(VALU_DEP_1)
	v_add_nc_u32_e32 v2, v0, v2
	v_lshrrev_b32_e32 v2, s6, v2
	s_delay_alu instid0(VALU_DEP_1) | instskip(NEXT) | instid1(VALU_DEP_1)
	v_mul_lo_u32 v3, v2, s4
	v_sub_nc_u32_e32 v3, v0, v3
	s_delay_alu instid0(VALU_DEP_1)
	v_mul_lo_u32 v14, v3, s1
	v_mul_lo_u32 v6, v3, s0
	s_cbranch_scc1 .LBB95_1112
; %bb.1111:
	s_clause 0x1
	s_load_b96 s[4:6], s[2:3], 0x10
	s_load_b64 s[0:1], s[2:3], 0xcc
	s_wait_kmcnt 0x0
	v_mul_hi_u32 v3, s5, v2
	s_delay_alu instid0(VALU_DEP_1) | instskip(NEXT) | instid1(VALU_DEP_1)
	v_add_nc_u32_e32 v3, v2, v3
	v_lshrrev_b32_e32 v3, s6, v3
	s_delay_alu instid0(VALU_DEP_1) | instskip(NEXT) | instid1(VALU_DEP_1)
	v_mul_lo_u32 v3, v3, s4
	v_sub_nc_u32_e32 v2, v2, v3
	s_delay_alu instid0(VALU_DEP_1)
	v_mad_u32 v6, v2, s0, v6
	v_mad_u32 v14, v2, s1, v14
.LBB95_1112:
	v_cmp_ne_u32_e32 vcc_lo, 1, v1
	v_add_nc_u32_e32 v2, 0x80, v0
	s_cbranch_vccnz .LBB95_1118
; %bb.1113:
	s_cmp_lg_u32 s28, 0
	s_mov_b32 s10, 0
	s_cbranch_scc0 .LBB95_1119
; %bb.1114:
	s_min_u32 s1, s29, 15
	s_delay_alu instid0(SALU_CYCLE_1)
	s_add_co_i32 s1, s1, 1
	s_cmp_eq_u32 s29, 2
	s_cbranch_scc1 .LBB95_1120
; %bb.1115:
	v_dual_mov_b32 v4, 0 :: v_dual_mov_b32 v12, 0
	v_mov_b32_e32 v3, v2
	s_and_b32 s0, s1, 28
	s_add_nc_u64 s[4:5], s[2:3], 0xc4
	s_mov_b32 s11, 0
	s_mov_b64 s[6:7], s[2:3]
.LBB95_1116:                            ; =>This Inner Loop Header: Depth=1
	s_clause 0x1
	s_load_b256 s[12:19], s[6:7], 0x4
	s_load_b128 s[36:39], s[6:7], 0x24
	s_load_b256 s[20:27], s[4:5], 0x0
	s_add_co_i32 s11, s11, 4
	s_wait_xcnt 0x0
	s_add_nc_u64 s[6:7], s[6:7], 48
	s_cmp_lg_u32 s0, s11
	s_add_nc_u64 s[4:5], s[4:5], 32
	s_wait_kmcnt 0x0
	v_mul_hi_u32 v5, s13, v3
	s_delay_alu instid0(VALU_DEP_1) | instskip(NEXT) | instid1(VALU_DEP_1)
	v_add_nc_u32_e32 v5, v3, v5
	v_lshrrev_b32_e32 v5, s14, v5
	s_delay_alu instid0(VALU_DEP_1) | instskip(NEXT) | instid1(VALU_DEP_1)
	v_mul_hi_u32 v7, s16, v5
	v_add_nc_u32_e32 v7, v5, v7
	s_delay_alu instid0(VALU_DEP_1) | instskip(NEXT) | instid1(VALU_DEP_1)
	v_lshrrev_b32_e32 v7, s17, v7
	v_mul_hi_u32 v8, s19, v7
	s_delay_alu instid0(VALU_DEP_1) | instskip(SKIP_1) | instid1(VALU_DEP_1)
	v_add_nc_u32_e32 v8, v7, v8
	v_mul_lo_u32 v10, v5, s12
	v_sub_nc_u32_e32 v3, v3, v10
	v_mul_lo_u32 v10, v7, s15
	s_delay_alu instid0(VALU_DEP_4) | instskip(NEXT) | instid1(VALU_DEP_3)
	v_lshrrev_b32_e32 v8, s36, v8
	v_mad_u32 v12, v3, s21, v12
	v_mad_u32 v3, v3, s20, v4
	s_delay_alu instid0(VALU_DEP_4) | instskip(NEXT) | instid1(VALU_DEP_4)
	v_sub_nc_u32_e32 v4, v5, v10
	v_mul_hi_u32 v11, s38, v8
	v_mul_lo_u32 v5, v8, s18
	s_delay_alu instid0(VALU_DEP_1) | instskip(NEXT) | instid1(VALU_DEP_4)
	v_dual_add_nc_u32 v10, v8, v11 :: v_dual_sub_nc_u32 v5, v7, v5
	v_mad_u32 v11, v4, s23, v12
	v_mad_u32 v4, v4, s22, v3
	s_delay_alu instid0(VALU_DEP_3) | instskip(NEXT) | instid1(VALU_DEP_1)
	v_lshrrev_b32_e32 v3, s39, v10
	v_mul_lo_u32 v7, v3, s37
	s_delay_alu instid0(VALU_DEP_4) | instskip(NEXT) | instid1(VALU_DEP_4)
	v_mad_u32 v10, v5, s25, v11
	v_mad_u32 v4, v5, s24, v4
	s_delay_alu instid0(VALU_DEP_3) | instskip(NEXT) | instid1(VALU_DEP_1)
	v_sub_nc_u32_e32 v5, v8, v7
	v_mad_u32 v12, v5, s27, v10
	s_delay_alu instid0(VALU_DEP_3)
	v_mad_u32 v4, v5, s26, v4
	s_cbranch_scc1 .LBB95_1116
; %bb.1117:
	s_delay_alu instid0(VALU_DEP_2)
	v_mov_b32_e32 v5, v12
	s_and_b32 s6, s1, 3
	s_mov_b32 s1, 0
	s_cmp_eq_u32 s6, 0
	s_cbranch_scc0 .LBB95_1121
	s_branch .LBB95_1124
.LBB95_1118:
	s_mov_b32 s10, -1
                                        ; implicit-def: $vgpr12
                                        ; implicit-def: $vgpr4
	s_branch .LBB95_1124
.LBB95_1119:
	v_dual_mov_b32 v12, 0 :: v_dual_mov_b32 v4, 0
	s_branch .LBB95_1124
.LBB95_1120:
	v_mov_b64_e32 v[4:5], 0
	v_mov_b32_e32 v3, v2
	s_mov_b32 s0, 0
                                        ; implicit-def: $vgpr12
	s_and_b32 s6, s1, 3
	s_mov_b32 s1, 0
	s_cmp_eq_u32 s6, 0
	s_cbranch_scc1 .LBB95_1124
.LBB95_1121:
	s_lshl_b32 s4, s0, 3
	s_mov_b32 s5, s1
	s_mul_u64 s[12:13], s[0:1], 12
	s_add_nc_u64 s[4:5], s[2:3], s[4:5]
	s_delay_alu instid0(SALU_CYCLE_1)
	s_add_nc_u64 s[0:1], s[4:5], 0xc4
	s_add_nc_u64 s[4:5], s[2:3], s[12:13]
.LBB95_1122:                            ; =>This Inner Loop Header: Depth=1
	s_load_b96 s[12:14], s[4:5], 0x4
	s_add_co_i32 s6, s6, -1
	s_wait_xcnt 0x0
	s_add_nc_u64 s[4:5], s[4:5], 12
	s_cmp_lg_u32 s6, 0
	s_wait_kmcnt 0x0
	v_mul_hi_u32 v7, s13, v3
	s_delay_alu instid0(VALU_DEP_1) | instskip(NEXT) | instid1(VALU_DEP_1)
	v_add_nc_u32_e32 v7, v3, v7
	v_lshrrev_b32_e32 v7, s14, v7
	s_load_b64 s[14:15], s[0:1], 0x0
	s_wait_xcnt 0x0
	s_add_nc_u64 s[0:1], s[0:1], 8
	s_delay_alu instid0(VALU_DEP_1) | instskip(NEXT) | instid1(VALU_DEP_1)
	v_mul_lo_u32 v8, v7, s12
	v_sub_nc_u32_e32 v3, v3, v8
	s_wait_kmcnt 0x0
	s_delay_alu instid0(VALU_DEP_1)
	v_mad_u32 v5, v3, s15, v5
	v_mad_u32 v4, v3, s14, v4
	v_mov_b32_e32 v3, v7
	s_cbranch_scc1 .LBB95_1122
; %bb.1123:
	s_delay_alu instid0(VALU_DEP_3)
	v_mov_b32_e32 v12, v5
.LBB95_1124:
	s_and_not1_b32 vcc_lo, exec_lo, s10
	s_cbranch_vccnz .LBB95_1127
; %bb.1125:
	s_clause 0x1
	s_load_b96 s[4:6], s[2:3], 0x4
	s_load_b64 s[0:1], s[2:3], 0xc4
	s_cmp_lt_u32 s28, 2
	s_wait_kmcnt 0x0
	v_mul_hi_u32 v3, s5, v2
	s_delay_alu instid0(VALU_DEP_1) | instskip(NEXT) | instid1(VALU_DEP_1)
	v_add_nc_u32_e32 v3, v2, v3
	v_lshrrev_b32_e32 v3, s6, v3
	s_delay_alu instid0(VALU_DEP_1) | instskip(NEXT) | instid1(VALU_DEP_1)
	v_mul_lo_u32 v4, v3, s4
	v_sub_nc_u32_e32 v2, v2, v4
	s_delay_alu instid0(VALU_DEP_1)
	v_mul_lo_u32 v12, v2, s1
	v_mul_lo_u32 v4, v2, s0
	s_cbranch_scc1 .LBB95_1127
; %bb.1126:
	s_clause 0x1
	s_load_b96 s[4:6], s[2:3], 0x10
	s_load_b64 s[0:1], s[2:3], 0xcc
	s_wait_kmcnt 0x0
	v_mul_hi_u32 v2, s5, v3
	s_delay_alu instid0(VALU_DEP_1) | instskip(NEXT) | instid1(VALU_DEP_1)
	v_add_nc_u32_e32 v2, v3, v2
	v_lshrrev_b32_e32 v2, s6, v2
	s_delay_alu instid0(VALU_DEP_1) | instskip(NEXT) | instid1(VALU_DEP_1)
	v_mul_lo_u32 v2, v2, s4
	v_sub_nc_u32_e32 v2, v3, v2
	s_delay_alu instid0(VALU_DEP_1)
	v_mad_u32 v4, v2, s0, v4
	v_mad_u32 v12, v2, s1, v12
.LBB95_1127:
	v_cmp_ne_u32_e32 vcc_lo, 1, v1
	v_add_nc_u32_e32 v0, 0x100, v0
	s_cbranch_vccnz .LBB95_1133
; %bb.1128:
	s_cmp_lg_u32 s28, 0
	s_mov_b32 s10, 0
	s_cbranch_scc0 .LBB95_1134
; %bb.1129:
	s_min_u32 s1, s29, 15
	s_delay_alu instid0(SALU_CYCLE_1)
	s_add_co_i32 s1, s1, 1
	s_cmp_eq_u32 s29, 2
	s_cbranch_scc1 .LBB95_1135
; %bb.1130:
	v_dual_mov_b32 v2, 0 :: v_dual_mov_b32 v10, 0
	v_mov_b32_e32 v5, v0
	s_and_b32 s0, s1, 28
	s_add_nc_u64 s[4:5], s[2:3], 0xc4
	s_mov_b32 s11, 0
	s_mov_b64 s[6:7], s[2:3]
.LBB95_1131:                            ; =>This Inner Loop Header: Depth=1
	s_clause 0x1
	s_load_b256 s[12:19], s[6:7], 0x4
	s_load_b128 s[36:39], s[6:7], 0x24
	s_load_b256 s[20:27], s[4:5], 0x0
	s_add_co_i32 s11, s11, 4
	s_wait_xcnt 0x0
	s_add_nc_u64 s[6:7], s[6:7], 48
	s_cmp_lg_u32 s0, s11
	s_add_nc_u64 s[4:5], s[4:5], 32
	s_wait_kmcnt 0x0
	v_mul_hi_u32 v3, s13, v5
	s_delay_alu instid0(VALU_DEP_1) | instskip(NEXT) | instid1(VALU_DEP_1)
	v_add_nc_u32_e32 v3, v5, v3
	v_lshrrev_b32_e32 v3, s14, v3
	s_delay_alu instid0(VALU_DEP_1) | instskip(NEXT) | instid1(VALU_DEP_1)
	v_mul_hi_u32 v7, s16, v3
	v_add_nc_u32_e32 v7, v3, v7
	s_delay_alu instid0(VALU_DEP_1) | instskip(NEXT) | instid1(VALU_DEP_1)
	v_lshrrev_b32_e32 v7, s17, v7
	v_mul_hi_u32 v8, s19, v7
	s_delay_alu instid0(VALU_DEP_1) | instskip(NEXT) | instid1(VALU_DEP_1)
	v_add_nc_u32_e32 v8, v7, v8
	v_lshrrev_b32_e32 v8, s36, v8
	v_mul_lo_u32 v11, v3, s12
	s_delay_alu instid0(VALU_DEP_2) | instskip(NEXT) | instid1(VALU_DEP_2)
	v_mul_hi_u32 v13, s38, v8
	v_sub_nc_u32_e32 v5, v5, v11
	s_delay_alu instid0(VALU_DEP_1) | instskip(SKIP_1) | instid1(VALU_DEP_4)
	v_mad_u32 v10, v5, s21, v10
	v_mad_u32 v2, v5, s20, v2
	v_add_nc_u32_e32 v5, v8, v13
	s_delay_alu instid0(VALU_DEP_1) | instskip(SKIP_1) | instid1(VALU_DEP_1)
	v_lshrrev_b32_e32 v5, s39, v5
	v_mul_lo_u32 v11, v7, s15
	v_sub_nc_u32_e32 v3, v3, v11
	v_mul_lo_u32 v11, v8, s18
	s_delay_alu instid0(VALU_DEP_2) | instskip(SKIP_1) | instid1(VALU_DEP_3)
	v_mad_u32 v10, v3, s23, v10
	v_mad_u32 v2, v3, s22, v2
	v_sub_nc_u32_e32 v3, v7, v11
	v_mul_lo_u32 v7, v5, s37
	s_delay_alu instid0(VALU_DEP_2) | instskip(NEXT) | instid1(VALU_DEP_4)
	v_mad_u32 v10, v3, s25, v10
	v_mad_u32 v2, v3, s24, v2
	s_delay_alu instid0(VALU_DEP_3) | instskip(NEXT) | instid1(VALU_DEP_1)
	v_sub_nc_u32_e32 v3, v8, v7
	v_mad_u32 v10, v3, s27, v10
	s_delay_alu instid0(VALU_DEP_3)
	v_mad_u32 v2, v3, s26, v2
	s_cbranch_scc1 .LBB95_1131
; %bb.1132:
	s_delay_alu instid0(VALU_DEP_2)
	v_mov_b32_e32 v3, v10
	s_and_b32 s6, s1, 3
	s_mov_b32 s1, 0
	s_cmp_eq_u32 s6, 0
	s_cbranch_scc0 .LBB95_1136
	s_branch .LBB95_1139
.LBB95_1133:
	s_mov_b32 s10, -1
                                        ; implicit-def: $vgpr10
                                        ; implicit-def: $vgpr2
	s_branch .LBB95_1139
.LBB95_1134:
	v_dual_mov_b32 v10, 0 :: v_dual_mov_b32 v2, 0
	s_branch .LBB95_1139
.LBB95_1135:
	v_mov_b64_e32 v[2:3], 0
	v_mov_b32_e32 v5, v0
	s_mov_b32 s0, 0
                                        ; implicit-def: $vgpr10
	s_and_b32 s6, s1, 3
	s_mov_b32 s1, 0
	s_cmp_eq_u32 s6, 0
	s_cbranch_scc1 .LBB95_1139
.LBB95_1136:
	s_lshl_b32 s4, s0, 3
	s_mov_b32 s5, s1
	s_mul_u64 s[12:13], s[0:1], 12
	s_add_nc_u64 s[4:5], s[2:3], s[4:5]
	s_delay_alu instid0(SALU_CYCLE_1)
	s_add_nc_u64 s[0:1], s[4:5], 0xc4
	s_add_nc_u64 s[4:5], s[2:3], s[12:13]
.LBB95_1137:                            ; =>This Inner Loop Header: Depth=1
	s_load_b96 s[12:14], s[4:5], 0x4
	s_add_co_i32 s6, s6, -1
	s_wait_xcnt 0x0
	s_add_nc_u64 s[4:5], s[4:5], 12
	s_cmp_lg_u32 s6, 0
	s_wait_kmcnt 0x0
	v_mul_hi_u32 v7, s13, v5
	s_delay_alu instid0(VALU_DEP_1) | instskip(NEXT) | instid1(VALU_DEP_1)
	v_add_nc_u32_e32 v7, v5, v7
	v_lshrrev_b32_e32 v7, s14, v7
	s_load_b64 s[14:15], s[0:1], 0x0
	s_wait_xcnt 0x0
	s_add_nc_u64 s[0:1], s[0:1], 8
	s_delay_alu instid0(VALU_DEP_1) | instskip(NEXT) | instid1(VALU_DEP_1)
	v_mul_lo_u32 v8, v7, s12
	v_sub_nc_u32_e32 v5, v5, v8
	s_wait_kmcnt 0x0
	s_delay_alu instid0(VALU_DEP_1)
	v_mad_u32 v3, v5, s15, v3
	v_mad_u32 v2, v5, s14, v2
	v_mov_b32_e32 v5, v7
	s_cbranch_scc1 .LBB95_1137
; %bb.1138:
	s_delay_alu instid0(VALU_DEP_3)
	v_mov_b32_e32 v10, v3
.LBB95_1139:
	s_and_not1_b32 vcc_lo, exec_lo, s10
	s_cbranch_vccnz .LBB95_1142
; %bb.1140:
	s_clause 0x1
	s_load_b96 s[4:6], s[2:3], 0x4
	s_load_b64 s[0:1], s[2:3], 0xc4
	s_cmp_lt_u32 s28, 2
	s_wait_kmcnt 0x0
	v_mul_hi_u32 v2, s5, v0
	s_delay_alu instid0(VALU_DEP_1) | instskip(NEXT) | instid1(VALU_DEP_1)
	v_add_nc_u32_e32 v2, v0, v2
	v_lshrrev_b32_e32 v3, s6, v2
	s_delay_alu instid0(VALU_DEP_1) | instskip(NEXT) | instid1(VALU_DEP_1)
	v_mul_lo_u32 v2, v3, s4
	v_sub_nc_u32_e32 v0, v0, v2
	s_delay_alu instid0(VALU_DEP_1)
	v_mul_lo_u32 v10, v0, s1
	v_mul_lo_u32 v2, v0, s0
	s_cbranch_scc1 .LBB95_1142
; %bb.1141:
	s_clause 0x1
	s_load_b96 s[4:6], s[2:3], 0x10
	s_load_b64 s[0:1], s[2:3], 0xcc
	s_wait_kmcnt 0x0
	v_mul_hi_u32 v0, s5, v3
	s_delay_alu instid0(VALU_DEP_1) | instskip(NEXT) | instid1(VALU_DEP_1)
	v_add_nc_u32_e32 v0, v3, v0
	v_lshrrev_b32_e32 v0, s6, v0
	s_delay_alu instid0(VALU_DEP_1) | instskip(NEXT) | instid1(VALU_DEP_1)
	v_mul_lo_u32 v0, v0, s4
	v_sub_nc_u32_e32 v0, v3, v0
	s_delay_alu instid0(VALU_DEP_1)
	v_mad_u32 v2, v0, s0, v2
	v_mad_u32 v10, v0, s1, v10
.LBB95_1142:
	v_cmp_ne_u32_e32 vcc_lo, 1, v1
	s_cbranch_vccnz .LBB95_1148
; %bb.1143:
	s_cmp_lg_u32 s28, 0
	s_mov_b32 s10, 0
	s_cbranch_scc0 .LBB95_1149
; %bb.1144:
	s_min_u32 s1, s29, 15
	s_delay_alu instid0(SALU_CYCLE_1)
	s_add_co_i32 s1, s1, 1
	s_cmp_eq_u32 s29, 2
	s_cbranch_scc1 .LBB95_1150
; %bb.1145:
	v_dual_mov_b32 v0, 0 :: v_dual_mov_b32 v8, 0
	v_mov_b32_e32 v3, v9
	s_and_b32 s0, s1, 28
	s_add_nc_u64 s[4:5], s[2:3], 0xc4
	s_mov_b32 s11, 0
	s_mov_b64 s[6:7], s[2:3]
.LBB95_1146:                            ; =>This Inner Loop Header: Depth=1
	s_clause 0x1
	s_load_b256 s[12:19], s[6:7], 0x4
	s_load_b128 s[36:39], s[6:7], 0x24
	s_load_b256 s[20:27], s[4:5], 0x0
	s_add_co_i32 s11, s11, 4
	s_wait_xcnt 0x0
	s_add_nc_u64 s[6:7], s[6:7], 48
	s_cmp_lg_u32 s0, s11
	s_add_nc_u64 s[4:5], s[4:5], 32
	s_wait_kmcnt 0x0
	v_mul_hi_u32 v1, s13, v3
	s_delay_alu instid0(VALU_DEP_1) | instskip(NEXT) | instid1(VALU_DEP_1)
	v_add_nc_u32_e32 v1, v3, v1
	v_lshrrev_b32_e32 v1, s14, v1
	s_delay_alu instid0(VALU_DEP_1) | instskip(NEXT) | instid1(VALU_DEP_1)
	v_mul_lo_u32 v11, v1, s12
	v_sub_nc_u32_e32 v3, v3, v11
	v_mul_hi_u32 v5, s16, v1
	s_delay_alu instid0(VALU_DEP_2) | instskip(SKIP_1) | instid1(VALU_DEP_3)
	v_mad_u32 v8, v3, s21, v8
	v_mad_u32 v0, v3, s20, v0
	v_add_nc_u32_e32 v5, v1, v5
	s_delay_alu instid0(VALU_DEP_1) | instskip(NEXT) | instid1(VALU_DEP_1)
	v_lshrrev_b32_e32 v5, s17, v5
	v_mul_lo_u32 v11, v5, s15
	s_delay_alu instid0(VALU_DEP_1) | instskip(SKIP_1) | instid1(VALU_DEP_2)
	v_sub_nc_u32_e32 v1, v1, v11
	v_mul_hi_u32 v7, s19, v5
	v_mad_u32 v8, v1, s23, v8
	v_mad_u32 v0, v1, s22, v0
	s_delay_alu instid0(VALU_DEP_3) | instskip(NEXT) | instid1(VALU_DEP_1)
	v_add_nc_u32_e32 v7, v5, v7
	v_lshrrev_b32_e32 v7, s36, v7
	s_delay_alu instid0(VALU_DEP_1) | instskip(SKIP_1) | instid1(VALU_DEP_1)
	v_mul_hi_u32 v13, s38, v7
	v_mul_lo_u32 v11, v7, s18
	v_dual_add_nc_u32 v3, v7, v13 :: v_dual_sub_nc_u32 v1, v5, v11
	s_delay_alu instid0(VALU_DEP_1) | instskip(NEXT) | instid1(VALU_DEP_2)
	v_lshrrev_b32_e32 v3, s39, v3
	v_mad_u32 v8, v1, s25, v8
	v_mad_u32 v0, v1, s24, v0
	s_delay_alu instid0(VALU_DEP_3) | instskip(NEXT) | instid1(VALU_DEP_1)
	v_mul_lo_u32 v5, v3, s37
	v_sub_nc_u32_e32 v1, v7, v5
	s_delay_alu instid0(VALU_DEP_1) | instskip(NEXT) | instid1(VALU_DEP_4)
	v_mad_u32 v8, v1, s27, v8
	v_mad_u32 v0, v1, s26, v0
	s_cbranch_scc1 .LBB95_1146
; %bb.1147:
	s_delay_alu instid0(VALU_DEP_2)
	v_mov_b32_e32 v1, v8
	s_and_b32 s6, s1, 3
	s_mov_b32 s1, 0
	s_cmp_eq_u32 s6, 0
	s_cbranch_scc0 .LBB95_1151
	s_branch .LBB95_1154
.LBB95_1148:
	s_mov_b32 s10, -1
                                        ; implicit-def: $vgpr8
                                        ; implicit-def: $vgpr0
	s_branch .LBB95_1154
.LBB95_1149:
	v_dual_mov_b32 v8, 0 :: v_dual_mov_b32 v0, 0
	s_branch .LBB95_1154
.LBB95_1150:
	v_mov_b64_e32 v[0:1], 0
	v_mov_b32_e32 v3, v9
	s_mov_b32 s0, 0
                                        ; implicit-def: $vgpr8
	s_and_b32 s6, s1, 3
	s_mov_b32 s1, 0
	s_cmp_eq_u32 s6, 0
	s_cbranch_scc1 .LBB95_1154
.LBB95_1151:
	s_lshl_b32 s4, s0, 3
	s_mov_b32 s5, s1
	s_mul_u64 s[12:13], s[0:1], 12
	s_add_nc_u64 s[4:5], s[2:3], s[4:5]
	s_delay_alu instid0(SALU_CYCLE_1)
	s_add_nc_u64 s[0:1], s[4:5], 0xc4
	s_add_nc_u64 s[4:5], s[2:3], s[12:13]
.LBB95_1152:                            ; =>This Inner Loop Header: Depth=1
	s_load_b96 s[12:14], s[4:5], 0x4
	s_add_co_i32 s6, s6, -1
	s_wait_xcnt 0x0
	s_add_nc_u64 s[4:5], s[4:5], 12
	s_cmp_lg_u32 s6, 0
	s_wait_kmcnt 0x0
	v_mul_hi_u32 v5, s13, v3
	s_delay_alu instid0(VALU_DEP_1) | instskip(NEXT) | instid1(VALU_DEP_1)
	v_add_nc_u32_e32 v5, v3, v5
	v_lshrrev_b32_e32 v5, s14, v5
	s_load_b64 s[14:15], s[0:1], 0x0
	s_wait_xcnt 0x0
	s_add_nc_u64 s[0:1], s[0:1], 8
	s_delay_alu instid0(VALU_DEP_1) | instskip(NEXT) | instid1(VALU_DEP_1)
	v_mul_lo_u32 v7, v5, s12
	v_sub_nc_u32_e32 v3, v3, v7
	s_wait_kmcnt 0x0
	s_delay_alu instid0(VALU_DEP_1)
	v_mad_u32 v1, v3, s15, v1
	v_mad_u32 v0, v3, s14, v0
	v_mov_b32_e32 v3, v5
	s_cbranch_scc1 .LBB95_1152
; %bb.1153:
	s_delay_alu instid0(VALU_DEP_3)
	v_mov_b32_e32 v8, v1
.LBB95_1154:
	s_and_not1_b32 vcc_lo, exec_lo, s10
	s_cbranch_vccnz .LBB95_1157
; %bb.1155:
	s_clause 0x1
	s_load_b96 s[4:6], s[2:3], 0x4
	s_load_b64 s[0:1], s[2:3], 0xc4
	s_cmp_lt_u32 s28, 2
	s_wait_kmcnt 0x0
	v_mul_hi_u32 v0, s5, v9
	s_delay_alu instid0(VALU_DEP_1) | instskip(NEXT) | instid1(VALU_DEP_1)
	v_add_nc_u32_e32 v0, v9, v0
	v_lshrrev_b32_e32 v1, s6, v0
	s_delay_alu instid0(VALU_DEP_1) | instskip(NEXT) | instid1(VALU_DEP_1)
	v_mul_lo_u32 v0, v1, s4
	v_sub_nc_u32_e32 v0, v9, v0
	s_delay_alu instid0(VALU_DEP_1)
	v_mul_lo_u32 v8, v0, s1
	v_mul_lo_u32 v0, v0, s0
	s_cbranch_scc1 .LBB95_1157
; %bb.1156:
	s_clause 0x1
	s_load_b96 s[4:6], s[2:3], 0x10
	s_load_b64 s[0:1], s[2:3], 0xcc
	s_wait_kmcnt 0x0
	v_mul_hi_u32 v3, s5, v1
	s_delay_alu instid0(VALU_DEP_1) | instskip(NEXT) | instid1(VALU_DEP_1)
	v_add_nc_u32_e32 v3, v1, v3
	v_lshrrev_b32_e32 v3, s6, v3
	s_delay_alu instid0(VALU_DEP_1) | instskip(NEXT) | instid1(VALU_DEP_1)
	v_mul_lo_u32 v3, v3, s4
	v_sub_nc_u32_e32 v1, v1, v3
	s_delay_alu instid0(VALU_DEP_1)
	v_mad_u32 v0, v1, s0, v0
	v_mad_u32 v8, v1, s1, v8
.LBB95_1157:
	v_mov_b32_e32 v15, 0
	s_load_b128 s[4:7], s[2:3], 0x148
	global_load_u8 v1, v15, s[2:3] offset:346
	s_wait_kmcnt 0x0
	v_add_nc_u64_e32 v[14:15], s[6:7], v[14:15]
	s_wait_loadcnt 0x0
	v_and_b32_e32 v3, 0xffff, v1
	v_readfirstlane_b32 s0, v1
	s_delay_alu instid0(VALU_DEP_2)
	v_cmp_gt_i32_e32 vcc_lo, 11, v3
	s_cbranch_vccnz .LBB95_1164
; %bb.1158:
	s_and_b32 s1, 0xffff, s0
	s_mov_b32 s11, 0
	s_cmp_gt_i32 s1, 25
	s_cbranch_scc0 .LBB95_1166
; %bb.1159:
	s_cmp_gt_i32 s1, 28
	s_cbranch_scc0 .LBB95_1167
; %bb.1160:
	;; [unrolled: 3-line block ×4, first 2 shown]
	s_cmp_eq_u32 s1, 46
	s_mov_b32 s13, 0
	s_cbranch_scc0 .LBB95_1172
; %bb.1163:
	global_load_b32 v1, v[14:15], off
	s_mov_b32 s10, 0
	s_mov_b32 s12, -1
	s_branch .LBB95_1174
.LBB95_1164:
	s_mov_b32 s12, 0
	s_mov_b32 s10, s8
                                        ; implicit-def: $vgpr1
	s_cbranch_execnz .LBB95_1237
.LBB95_1165:
	s_and_not1_b32 vcc_lo, exec_lo, s12
	s_cbranch_vccz .LBB95_1282
	s_branch .LBB95_2106
.LBB95_1166:
	s_mov_b32 s12, 0
	s_mov_b32 s10, 0
                                        ; implicit-def: $vgpr1
	s_cbranch_execnz .LBB95_1202
	s_branch .LBB95_1233
.LBB95_1167:
	s_mov_b32 s13, -1
	s_mov_b32 s12, 0
	s_mov_b32 s10, 0
                                        ; implicit-def: $vgpr1
	s_branch .LBB95_1183
.LBB95_1168:
	s_mov_b32 s12, 0
	s_mov_b32 s10, 0
                                        ; implicit-def: $vgpr1
	s_cbranch_execnz .LBB95_1179
	s_branch .LBB95_1182
.LBB95_1169:
	s_mov_b32 s13, -1
	s_mov_b32 s12, 0
	s_mov_b32 s10, 0
	s_branch .LBB95_1173
.LBB95_1170:
	s_and_not1_saveexec_b32 s10, s10
	s_cbranch_execz .LBB95_1009
.LBB95_1171:
	v_add_f32_e32 v2, 0x46000000, v3
	s_and_not1_b32 s9, s9, exec_lo
	s_delay_alu instid0(VALU_DEP_1) | instskip(NEXT) | instid1(VALU_DEP_1)
	v_and_b32_e32 v2, 0xff, v2
	v_cmp_ne_u32_e32 vcc_lo, 0, v2
	s_and_b32 s11, vcc_lo, exec_lo
	s_delay_alu instid0(SALU_CYCLE_1)
	s_or_b32 s9, s9, s11
	s_or_b32 exec_lo, exec_lo, s10
	v_mov_b32_e32 v4, 0
	s_and_saveexec_b32 s10, s9
	s_cbranch_execnz .LBB95_1010
	s_branch .LBB95_1011
.LBB95_1172:
	s_mov_b32 s10, -1
	s_mov_b32 s12, 0
.LBB95_1173:
                                        ; implicit-def: $vgpr1
.LBB95_1174:
	s_and_b32 vcc_lo, exec_lo, s13
	s_cbranch_vccz .LBB95_1177
; %bb.1175:
	s_cmp_eq_u32 s1, 44
	s_cbranch_scc0 .LBB95_1178
; %bb.1176:
	s_wait_loadcnt 0x0
	global_load_u8 v1, v[14:15], off
	s_mov_b32 s10, 0
	s_mov_b32 s12, -1
	s_wait_loadcnt 0x0
	v_lshlrev_b32_e32 v3, 23, v1
	v_cmp_ne_u32_e32 vcc_lo, 0xff, v1
	s_delay_alu instid0(VALU_DEP_2) | instskip(SKIP_1) | instid1(VALU_DEP_2)
	v_cndmask_b32_e32 v3, 0x7f800001, v3, vcc_lo
	v_cmp_ne_u32_e32 vcc_lo, 0, v1
	v_cndmask_b32_e32 v1, 0x400000, v3, vcc_lo
	s_delay_alu instid0(VALU_DEP_1) | instskip(SKIP_1) | instid1(VALU_DEP_2)
	v_add_nc_u32_e32 v3, 0x7fff, v1
	v_cmp_o_f32_e32 vcc_lo, v1, v1
	v_lshrrev_b32_e32 v3, 16, v3
	s_delay_alu instid0(VALU_DEP_1)
	v_cndmask_b32_e32 v1, 0x7fc0, v3, vcc_lo
.LBB95_1177:
	s_branch .LBB95_1182
.LBB95_1178:
	s_mov_b32 s10, -1
                                        ; implicit-def: $vgpr1
	s_branch .LBB95_1182
.LBB95_1179:
	s_cmp_eq_u32 s1, 29
	s_cbranch_scc0 .LBB95_1181
; %bb.1180:
	global_load_b64 v[16:17], v[14:15], off
	s_mov_b32 s10, 0
	s_mov_b32 s12, -1
	s_mov_b32 s13, 0
	s_wait_loadcnt 0x0
	v_clz_i32_u32_e32 v1, v17
	s_delay_alu instid0(VALU_DEP_1) | instskip(NEXT) | instid1(VALU_DEP_1)
	v_min_u32_e32 v1, 32, v1
	v_lshlrev_b64_e32 v[16:17], v1, v[16:17]
	v_sub_nc_u32_e32 v1, 32, v1
	s_delay_alu instid0(VALU_DEP_2) | instskip(NEXT) | instid1(VALU_DEP_1)
	v_min_u32_e32 v3, 1, v16
	v_or_b32_e32 v3, v17, v3
	s_delay_alu instid0(VALU_DEP_1) | instskip(NEXT) | instid1(VALU_DEP_1)
	v_cvt_f32_u32_e32 v3, v3
	v_ldexp_f32 v1, v3, v1
	s_delay_alu instid0(VALU_DEP_1) | instskip(NEXT) | instid1(VALU_DEP_1)
	v_bfe_u32 v3, v1, 16, 1
	v_add3_u32 v1, v1, v3, 0x7fff
	s_delay_alu instid0(VALU_DEP_1)
	v_lshrrev_b32_e32 v1, 16, v1
	s_branch .LBB95_1183
.LBB95_1181:
	s_mov_b32 s10, -1
                                        ; implicit-def: $vgpr1
.LBB95_1182:
	s_mov_b32 s13, 0
.LBB95_1183:
	s_delay_alu instid0(SALU_CYCLE_1)
	s_and_b32 vcc_lo, exec_lo, s13
	s_cbranch_vccz .LBB95_1201
; %bb.1184:
	s_cmp_lt_i32 s1, 27
	s_cbranch_scc1 .LBB95_1187
; %bb.1185:
	s_cmp_gt_i32 s1, 27
	s_cbranch_scc0 .LBB95_1188
; %bb.1186:
	s_wait_loadcnt 0x0
	global_load_b32 v1, v[14:15], off
	s_mov_b32 s12, 0
	s_wait_loadcnt 0x0
	v_cvt_f32_u32_e32 v1, v1
	s_delay_alu instid0(VALU_DEP_1) | instskip(NEXT) | instid1(VALU_DEP_1)
	v_bfe_u32 v3, v1, 16, 1
	v_add3_u32 v1, v1, v3, 0x7fff
	s_delay_alu instid0(VALU_DEP_1)
	v_lshrrev_b32_e32 v1, 16, v1
	s_branch .LBB95_1189
.LBB95_1187:
	s_mov_b32 s12, -1
                                        ; implicit-def: $vgpr1
	s_branch .LBB95_1192
.LBB95_1188:
	s_mov_b32 s12, -1
                                        ; implicit-def: $vgpr1
.LBB95_1189:
	s_delay_alu instid0(SALU_CYCLE_1)
	s_and_not1_b32 vcc_lo, exec_lo, s12
	s_cbranch_vccnz .LBB95_1191
; %bb.1190:
	s_wait_loadcnt 0x0
	global_load_u16 v1, v[14:15], off
	s_wait_loadcnt 0x0
	v_cvt_f32_u32_e32 v1, v1
	s_delay_alu instid0(VALU_DEP_1) | instskip(NEXT) | instid1(VALU_DEP_1)
	v_bfe_u32 v3, v1, 16, 1
	v_add3_u32 v1, v1, v3, 0x7fff
	s_delay_alu instid0(VALU_DEP_1)
	v_lshrrev_b32_e32 v1, 16, v1
.LBB95_1191:
	s_mov_b32 s12, 0
.LBB95_1192:
	s_delay_alu instid0(SALU_CYCLE_1)
	s_and_not1_b32 vcc_lo, exec_lo, s12
	s_cbranch_vccnz .LBB95_1200
; %bb.1193:
	s_wait_loadcnt 0x0
	global_load_u8 v1, v[14:15], off
	s_mov_b32 s12, 0
	s_mov_b32 s13, exec_lo
	s_wait_loadcnt 0x0
	v_cmpx_lt_i16_e32 0x7f, v1
	s_xor_b32 s13, exec_lo, s13
	s_cbranch_execz .LBB95_1213
; %bb.1194:
	s_mov_b32 s12, -1
	s_mov_b32 s14, exec_lo
	v_cmpx_eq_u16_e32 0x80, v1
; %bb.1195:
	s_xor_b32 s12, exec_lo, -1
; %bb.1196:
	s_or_b32 exec_lo, exec_lo, s14
	s_delay_alu instid0(SALU_CYCLE_1)
	s_and_b32 s12, s12, exec_lo
	s_or_saveexec_b32 s13, s13
	v_mov_b32_e32 v3, 0x7f800001
	s_xor_b32 exec_lo, exec_lo, s13
	s_cbranch_execnz .LBB95_1214
.LBB95_1197:
	s_or_b32 exec_lo, exec_lo, s13
	s_and_saveexec_b32 s13, s12
	s_cbranch_execz .LBB95_1199
.LBB95_1198:
	v_and_b32_e32 v3, 0xffff, v1
	s_delay_alu instid0(VALU_DEP_1) | instskip(SKIP_1) | instid1(VALU_DEP_2)
	v_dual_lshlrev_b32 v1, 24, v1 :: v_dual_bitop2_b32 v5, 7, v3 bitop3:0x40
	v_bfe_u32 v11, v3, 3, 4
	v_and_b32_e32 v1, 0x80000000, v1
	s_delay_alu instid0(VALU_DEP_3) | instskip(NEXT) | instid1(VALU_DEP_3)
	v_clz_i32_u32_e32 v7, v5
	v_cmp_eq_u32_e32 vcc_lo, 0, v11
	s_delay_alu instid0(VALU_DEP_2) | instskip(NEXT) | instid1(VALU_DEP_1)
	v_min_u32_e32 v7, 32, v7
	v_subrev_nc_u32_e32 v9, 28, v7
	v_sub_nc_u32_e32 v7, 29, v7
	s_delay_alu instid0(VALU_DEP_2) | instskip(NEXT) | instid1(VALU_DEP_2)
	v_lshlrev_b32_e32 v3, v9, v3
	v_cndmask_b32_e32 v7, v11, v7, vcc_lo
	s_delay_alu instid0(VALU_DEP_2) | instskip(NEXT) | instid1(VALU_DEP_1)
	v_and_b32_e32 v3, 7, v3
	v_cndmask_b32_e32 v3, v5, v3, vcc_lo
	s_delay_alu instid0(VALU_DEP_3) | instskip(NEXT) | instid1(VALU_DEP_2)
	v_lshl_add_u32 v5, v7, 23, 0x3b800000
	v_lshlrev_b32_e32 v3, 20, v3
	s_delay_alu instid0(VALU_DEP_1)
	v_or3_b32 v3, v1, v5, v3
.LBB95_1199:
	s_or_b32 exec_lo, exec_lo, s13
	s_delay_alu instid0(VALU_DEP_1) | instskip(SKIP_1) | instid1(VALU_DEP_2)
	v_bfe_u32 v1, v3, 16, 1
	v_cmp_o_f32_e32 vcc_lo, v3, v3
	v_add3_u32 v1, v3, v1, 0x7fff
	s_delay_alu instid0(VALU_DEP_1) | instskip(NEXT) | instid1(VALU_DEP_1)
	v_lshrrev_b32_e32 v1, 16, v1
	v_cndmask_b32_e32 v1, 0x7fc0, v1, vcc_lo
.LBB95_1200:
	s_mov_b32 s12, -1
.LBB95_1201:
	s_branch .LBB95_1233
.LBB95_1202:
	s_cmp_gt_i32 s1, 22
	s_cbranch_scc0 .LBB95_1212
; %bb.1203:
	s_cmp_lt_i32 s1, 24
	s_cbranch_scc1 .LBB95_1215
; %bb.1204:
	s_cmp_gt_i32 s1, 24
	s_cbranch_scc0 .LBB95_1216
; %bb.1205:
	s_wait_loadcnt 0x0
	global_load_u8 v1, v[14:15], off
	s_mov_b32 s12, exec_lo
	s_wait_loadcnt 0x0
	v_cmpx_lt_i16_e32 0x7f, v1
	s_xor_b32 s12, exec_lo, s12
	s_cbranch_execz .LBB95_1227
; %bb.1206:
	s_mov_b32 s11, -1
	s_mov_b32 s13, exec_lo
	v_cmpx_eq_u16_e32 0x80, v1
; %bb.1207:
	s_xor_b32 s11, exec_lo, -1
; %bb.1208:
	s_or_b32 exec_lo, exec_lo, s13
	s_delay_alu instid0(SALU_CYCLE_1)
	s_and_b32 s11, s11, exec_lo
	s_or_saveexec_b32 s12, s12
	v_mov_b32_e32 v3, 0x7f800001
	s_xor_b32 exec_lo, exec_lo, s12
	s_cbranch_execnz .LBB95_1228
.LBB95_1209:
	s_or_b32 exec_lo, exec_lo, s12
	s_and_saveexec_b32 s12, s11
	s_cbranch_execz .LBB95_1211
.LBB95_1210:
	v_and_b32_e32 v3, 0xffff, v1
	s_delay_alu instid0(VALU_DEP_1) | instskip(SKIP_1) | instid1(VALU_DEP_2)
	v_dual_lshlrev_b32 v1, 24, v1 :: v_dual_bitop2_b32 v5, 3, v3 bitop3:0x40
	v_bfe_u32 v11, v3, 2, 5
	v_and_b32_e32 v1, 0x80000000, v1
	s_delay_alu instid0(VALU_DEP_3) | instskip(NEXT) | instid1(VALU_DEP_3)
	v_clz_i32_u32_e32 v7, v5
	v_cmp_eq_u32_e32 vcc_lo, 0, v11
	s_delay_alu instid0(VALU_DEP_2) | instskip(NEXT) | instid1(VALU_DEP_1)
	v_min_u32_e32 v7, 32, v7
	v_subrev_nc_u32_e32 v9, 29, v7
	v_sub_nc_u32_e32 v7, 30, v7
	s_delay_alu instid0(VALU_DEP_2) | instskip(NEXT) | instid1(VALU_DEP_2)
	v_lshlrev_b32_e32 v3, v9, v3
	v_cndmask_b32_e32 v7, v11, v7, vcc_lo
	s_delay_alu instid0(VALU_DEP_2) | instskip(NEXT) | instid1(VALU_DEP_1)
	v_and_b32_e32 v3, 3, v3
	v_cndmask_b32_e32 v3, v5, v3, vcc_lo
	s_delay_alu instid0(VALU_DEP_3) | instskip(NEXT) | instid1(VALU_DEP_2)
	v_lshl_add_u32 v5, v7, 23, 0x37800000
	v_lshlrev_b32_e32 v3, 21, v3
	s_delay_alu instid0(VALU_DEP_1)
	v_or3_b32 v3, v1, v5, v3
.LBB95_1211:
	s_or_b32 exec_lo, exec_lo, s12
	s_delay_alu instid0(VALU_DEP_1) | instskip(SKIP_2) | instid1(VALU_DEP_2)
	v_bfe_u32 v1, v3, 16, 1
	v_cmp_o_f32_e32 vcc_lo, v3, v3
	s_mov_b32 s11, 0
	v_add3_u32 v1, v3, v1, 0x7fff
	s_delay_alu instid0(VALU_DEP_1) | instskip(NEXT) | instid1(VALU_DEP_1)
	v_lshrrev_b32_e32 v1, 16, v1
	v_cndmask_b32_e32 v1, 0x7fc0, v1, vcc_lo
	s_branch .LBB95_1217
.LBB95_1212:
                                        ; implicit-def: $vgpr1
	s_mov_b32 s11, 0
	s_branch .LBB95_1223
.LBB95_1213:
	s_or_saveexec_b32 s13, s13
	v_mov_b32_e32 v3, 0x7f800001
	s_xor_b32 exec_lo, exec_lo, s13
	s_cbranch_execz .LBB95_1197
.LBB95_1214:
	v_cmp_ne_u16_e32 vcc_lo, 0, v1
	v_mov_b32_e32 v3, 0
	s_and_not1_b32 s12, s12, exec_lo
	s_and_b32 s14, vcc_lo, exec_lo
	s_delay_alu instid0(SALU_CYCLE_1)
	s_or_b32 s12, s12, s14
	s_or_b32 exec_lo, exec_lo, s13
	s_and_saveexec_b32 s13, s12
	s_cbranch_execnz .LBB95_1198
	s_branch .LBB95_1199
.LBB95_1215:
	s_mov_b32 s11, -1
                                        ; implicit-def: $vgpr1
	s_branch .LBB95_1220
.LBB95_1216:
	s_mov_b32 s11, -1
                                        ; implicit-def: $vgpr1
.LBB95_1217:
	s_delay_alu instid0(SALU_CYCLE_1)
	s_and_b32 vcc_lo, exec_lo, s11
	s_cbranch_vccz .LBB95_1219
; %bb.1218:
	s_wait_loadcnt 0x0
	global_load_u8 v1, v[14:15], off
	s_wait_loadcnt 0x0
	v_lshlrev_b32_e32 v1, 24, v1
	s_delay_alu instid0(VALU_DEP_1) | instskip(NEXT) | instid1(VALU_DEP_1)
	v_and_b32_e32 v3, 0x7f000000, v1
	v_clz_i32_u32_e32 v5, v3
	v_add_nc_u32_e32 v9, 0x1000000, v3
	v_cmp_ne_u32_e32 vcc_lo, 0, v3
	s_delay_alu instid0(VALU_DEP_3) | instskip(NEXT) | instid1(VALU_DEP_1)
	v_min_u32_e32 v5, 32, v5
	v_sub_nc_u32_e64 v5, v5, 4 clamp
	s_delay_alu instid0(VALU_DEP_1) | instskip(NEXT) | instid1(VALU_DEP_1)
	v_dual_lshlrev_b32 v7, v5, v3 :: v_dual_lshlrev_b32 v5, 23, v5
	v_lshrrev_b32_e32 v7, 4, v7
	s_delay_alu instid0(VALU_DEP_1) | instskip(SKIP_1) | instid1(VALU_DEP_2)
	v_sub_nc_u32_e32 v5, v7, v5
	v_ashrrev_i32_e32 v7, 8, v9
	v_add_nc_u32_e32 v5, 0x3c000000, v5
	s_delay_alu instid0(VALU_DEP_1) | instskip(NEXT) | instid1(VALU_DEP_1)
	v_and_or_b32 v5, 0x7f800000, v7, v5
	v_cndmask_b32_e32 v3, 0, v5, vcc_lo
	s_delay_alu instid0(VALU_DEP_1) | instskip(SKIP_1) | instid1(VALU_DEP_2)
	v_and_or_b32 v1, 0x80000000, v1, v3
	v_bfe_u32 v3, v3, 16, 1
	v_cmp_o_f32_e32 vcc_lo, v1, v1
	s_delay_alu instid0(VALU_DEP_2) | instskip(NEXT) | instid1(VALU_DEP_1)
	v_add3_u32 v3, v1, v3, 0x7fff
	v_lshrrev_b32_e32 v3, 16, v3
	s_delay_alu instid0(VALU_DEP_1)
	v_cndmask_b32_e32 v1, 0x7fc0, v3, vcc_lo
.LBB95_1219:
	s_mov_b32 s11, 0
.LBB95_1220:
	s_delay_alu instid0(SALU_CYCLE_1)
	s_and_not1_b32 vcc_lo, exec_lo, s11
	s_cbranch_vccnz .LBB95_1222
; %bb.1221:
	s_wait_loadcnt 0x0
	global_load_u8 v1, v[14:15], off
	s_wait_loadcnt 0x0
	v_lshlrev_b32_e32 v3, 25, v1
	v_lshlrev_b16 v1, 8, v1
	s_delay_alu instid0(VALU_DEP_1) | instskip(SKIP_1) | instid1(VALU_DEP_2)
	v_and_or_b32 v7, 0x7f00, v1, 0.5
	v_bfe_i32 v1, v1, 0, 16
	v_add_f32_e32 v7, -0.5, v7
	v_lshrrev_b32_e32 v5, 4, v3
	v_cmp_gt_u32_e32 vcc_lo, 0x8000000, v3
	s_delay_alu instid0(VALU_DEP_2) | instskip(NEXT) | instid1(VALU_DEP_1)
	v_or_b32_e32 v5, 0x70000000, v5
	v_mul_f32_e32 v5, 0x7800000, v5
	s_delay_alu instid0(VALU_DEP_1) | instskip(NEXT) | instid1(VALU_DEP_1)
	v_cndmask_b32_e32 v3, v5, v7, vcc_lo
	v_and_or_b32 v1, 0x80000000, v1, v3
	v_bfe_u32 v3, v3, 16, 1
	s_delay_alu instid0(VALU_DEP_2) | instskip(NEXT) | instid1(VALU_DEP_2)
	v_cmp_o_f32_e32 vcc_lo, v1, v1
	v_add3_u32 v3, v1, v3, 0x7fff
	s_delay_alu instid0(VALU_DEP_1) | instskip(NEXT) | instid1(VALU_DEP_1)
	v_lshrrev_b32_e32 v3, 16, v3
	v_cndmask_b32_e32 v1, 0x7fc0, v3, vcc_lo
.LBB95_1222:
	s_mov_b32 s12, -1
	s_mov_b32 s11, 0
	s_cbranch_execnz .LBB95_1233
.LBB95_1223:
	s_cmp_gt_i32 s1, 14
	s_cbranch_scc0 .LBB95_1226
; %bb.1224:
	s_cmp_eq_u32 s1, 15
	s_cbranch_scc0 .LBB95_1229
; %bb.1225:
	s_wait_loadcnt 0x0
	global_load_u16 v1, v[14:15], off
	s_mov_b32 s10, 0
	s_mov_b32 s12, -1
	s_branch .LBB95_1231
.LBB95_1226:
	s_mov_b32 s11, -1
	s_branch .LBB95_1230
.LBB95_1227:
	s_or_saveexec_b32 s12, s12
	v_mov_b32_e32 v3, 0x7f800001
	s_xor_b32 exec_lo, exec_lo, s12
	s_cbranch_execz .LBB95_1209
.LBB95_1228:
	v_cmp_ne_u16_e32 vcc_lo, 0, v1
	v_mov_b32_e32 v3, 0
	s_and_not1_b32 s11, s11, exec_lo
	s_and_b32 s13, vcc_lo, exec_lo
	s_delay_alu instid0(SALU_CYCLE_1)
	s_or_b32 s11, s11, s13
	s_or_b32 exec_lo, exec_lo, s12
	s_and_saveexec_b32 s12, s11
	s_cbranch_execnz .LBB95_1210
	s_branch .LBB95_1211
.LBB95_1229:
	s_mov_b32 s10, -1
.LBB95_1230:
                                        ; implicit-def: $vgpr1
.LBB95_1231:
	s_and_b32 vcc_lo, exec_lo, s11
	s_mov_b32 s11, 0
	s_cbranch_vccz .LBB95_1233
; %bb.1232:
	s_cmp_lg_u32 s1, 11
	s_mov_b32 s11, -1
	s_cselect_b32 s10, -1, 0
.LBB95_1233:
	s_delay_alu instid0(SALU_CYCLE_1)
	s_and_b32 vcc_lo, exec_lo, s10
	s_mov_b32 s10, s8
	s_cbranch_vccnz .LBB95_1294
; %bb.1234:
	s_and_not1_b32 vcc_lo, exec_lo, s11
	s_cbranch_vccnz .LBB95_1236
.LBB95_1235:
	s_wait_loadcnt 0x0
	global_load_u8 v1, v[14:15], off
	s_mov_b32 s12, -1
	s_wait_loadcnt 0x0
	v_cmp_ne_u16_e32 vcc_lo, 0, v1
	v_cndmask_b32_e64 v1, 0, 1.0, vcc_lo
	s_delay_alu instid0(VALU_DEP_1)
	v_lshrrev_b32_e32 v1, 16, v1
.LBB95_1236:
	s_branch .LBB95_1165
.LBB95_1237:
	s_and_b32 s1, 0xffff, s0
	s_delay_alu instid0(SALU_CYCLE_1)
	s_cmp_lt_i32 s1, 5
	s_cbranch_scc1 .LBB95_1242
; %bb.1238:
	s_cmp_lt_i32 s1, 8
	s_cbranch_scc1 .LBB95_1243
; %bb.1239:
	;; [unrolled: 3-line block ×3, first 2 shown]
	s_cmp_gt_i32 s1, 9
	s_cbranch_scc0 .LBB95_1245
; %bb.1241:
	global_load_b64 v[16:17], v[14:15], off
	s_mov_b32 s11, 0
	s_wait_loadcnt 0x0
	v_cvt_f32_f64_e32 v1, v[16:17]
	s_delay_alu instid0(VALU_DEP_1) | instskip(SKIP_1) | instid1(VALU_DEP_2)
	v_bfe_u32 v3, v1, 16, 1
	v_cmp_o_f32_e32 vcc_lo, v1, v1
	v_add3_u32 v3, v1, v3, 0x7fff
	s_delay_alu instid0(VALU_DEP_1) | instskip(NEXT) | instid1(VALU_DEP_1)
	v_lshrrev_b32_e32 v3, 16, v3
	v_cndmask_b32_e32 v1, 0x7fc0, v3, vcc_lo
	s_branch .LBB95_1246
.LBB95_1242:
                                        ; implicit-def: $vgpr1
	s_branch .LBB95_1263
.LBB95_1243:
                                        ; implicit-def: $vgpr1
	s_branch .LBB95_1252
.LBB95_1244:
	s_mov_b32 s11, -1
                                        ; implicit-def: $vgpr1
	s_branch .LBB95_1249
.LBB95_1245:
	s_mov_b32 s11, -1
                                        ; implicit-def: $vgpr1
.LBB95_1246:
	s_delay_alu instid0(SALU_CYCLE_1)
	s_and_not1_b32 vcc_lo, exec_lo, s11
	s_cbranch_vccnz .LBB95_1248
; %bb.1247:
	s_wait_loadcnt 0x0
	global_load_b32 v1, v[14:15], off
	s_wait_loadcnt 0x0
	v_bfe_u32 v3, v1, 16, 1
	v_cmp_o_f32_e32 vcc_lo, v1, v1
	s_delay_alu instid0(VALU_DEP_2) | instskip(NEXT) | instid1(VALU_DEP_1)
	v_add3_u32 v3, v1, v3, 0x7fff
	v_lshrrev_b32_e32 v3, 16, v3
	s_delay_alu instid0(VALU_DEP_1)
	v_cndmask_b32_e32 v1, 0x7fc0, v3, vcc_lo
.LBB95_1248:
	s_mov_b32 s11, 0
.LBB95_1249:
	s_delay_alu instid0(SALU_CYCLE_1)
	s_and_not1_b32 vcc_lo, exec_lo, s11
	s_cbranch_vccnz .LBB95_1251
; %bb.1250:
	s_wait_loadcnt 0x0
	global_load_b32 v1, v[14:15], off
	s_wait_loadcnt 0x0
	v_cvt_f32_f16_e32 v3, v1
	v_cmp_o_f16_e32 vcc_lo, v1, v1
	s_delay_alu instid0(VALU_DEP_2) | instskip(NEXT) | instid1(VALU_DEP_1)
	v_bfe_u32 v5, v3, 16, 1
	v_add3_u32 v3, v3, v5, 0x7fff
	s_delay_alu instid0(VALU_DEP_1) | instskip(NEXT) | instid1(VALU_DEP_1)
	v_lshrrev_b32_e32 v3, 16, v3
	v_cndmask_b32_e32 v1, 0x7fc0, v3, vcc_lo
.LBB95_1251:
	s_cbranch_execnz .LBB95_1262
.LBB95_1252:
	s_cmp_lt_i32 s1, 6
	s_cbranch_scc1 .LBB95_1255
; %bb.1253:
	s_cmp_gt_i32 s1, 6
	s_cbranch_scc0 .LBB95_1256
; %bb.1254:
	global_load_b64 v[16:17], v[14:15], off
	s_mov_b32 s11, 0
	s_wait_loadcnt 0x0
	v_cvt_f32_f64_e32 v1, v[16:17]
	s_delay_alu instid0(VALU_DEP_1) | instskip(SKIP_1) | instid1(VALU_DEP_2)
	v_bfe_u32 v3, v1, 16, 1
	v_cmp_o_f32_e32 vcc_lo, v1, v1
	v_add3_u32 v3, v1, v3, 0x7fff
	s_delay_alu instid0(VALU_DEP_1) | instskip(NEXT) | instid1(VALU_DEP_1)
	v_lshrrev_b32_e32 v3, 16, v3
	v_cndmask_b32_e32 v1, 0x7fc0, v3, vcc_lo
	s_branch .LBB95_1257
.LBB95_1255:
	s_mov_b32 s11, -1
                                        ; implicit-def: $vgpr1
	s_branch .LBB95_1260
.LBB95_1256:
	s_mov_b32 s11, -1
                                        ; implicit-def: $vgpr1
.LBB95_1257:
	s_delay_alu instid0(SALU_CYCLE_1)
	s_and_not1_b32 vcc_lo, exec_lo, s11
	s_cbranch_vccnz .LBB95_1259
; %bb.1258:
	s_wait_loadcnt 0x0
	global_load_b32 v1, v[14:15], off
	s_wait_loadcnt 0x0
	v_bfe_u32 v3, v1, 16, 1
	v_cmp_o_f32_e32 vcc_lo, v1, v1
	s_delay_alu instid0(VALU_DEP_2) | instskip(NEXT) | instid1(VALU_DEP_1)
	v_add3_u32 v3, v1, v3, 0x7fff
	v_lshrrev_b32_e32 v3, 16, v3
	s_delay_alu instid0(VALU_DEP_1)
	v_cndmask_b32_e32 v1, 0x7fc0, v3, vcc_lo
.LBB95_1259:
	s_mov_b32 s11, 0
.LBB95_1260:
	s_delay_alu instid0(SALU_CYCLE_1)
	s_and_not1_b32 vcc_lo, exec_lo, s11
	s_cbranch_vccnz .LBB95_1262
; %bb.1261:
	s_wait_loadcnt 0x0
	global_load_u16 v1, v[14:15], off
	s_wait_loadcnt 0x0
	v_cvt_f32_f16_e32 v3, v1
	v_cmp_o_f16_e32 vcc_lo, v1, v1
	s_delay_alu instid0(VALU_DEP_2) | instskip(NEXT) | instid1(VALU_DEP_1)
	v_bfe_u32 v5, v3, 16, 1
	v_add3_u32 v3, v3, v5, 0x7fff
	s_delay_alu instid0(VALU_DEP_1) | instskip(NEXT) | instid1(VALU_DEP_1)
	v_lshrrev_b32_e32 v3, 16, v3
	v_cndmask_b32_e32 v1, 0x7fc0, v3, vcc_lo
.LBB95_1262:
	s_cbranch_execnz .LBB95_1281
.LBB95_1263:
	s_cmp_lt_i32 s1, 2
	s_cbranch_scc1 .LBB95_1267
; %bb.1264:
	s_cmp_lt_i32 s1, 3
	s_cbranch_scc1 .LBB95_1268
; %bb.1265:
	s_cmp_gt_i32 s1, 3
	s_cbranch_scc0 .LBB95_1269
; %bb.1266:
	global_load_b64 v[16:17], v[14:15], off
	s_mov_b32 s11, 0
	s_wait_loadcnt 0x0
	v_xor_b32_e32 v1, v16, v17
	v_cls_i32_e32 v3, v17
	s_delay_alu instid0(VALU_DEP_2) | instskip(NEXT) | instid1(VALU_DEP_1)
	v_ashrrev_i32_e32 v1, 31, v1
	v_add_nc_u32_e32 v1, 32, v1
	s_delay_alu instid0(VALU_DEP_1) | instskip(NEXT) | instid1(VALU_DEP_1)
	v_add_min_u32_e64 v1, v3, -1, v1
	v_lshlrev_b64_e32 v[16:17], v1, v[16:17]
	v_sub_nc_u32_e32 v1, 32, v1
	s_delay_alu instid0(VALU_DEP_2) | instskip(NEXT) | instid1(VALU_DEP_1)
	v_min_u32_e32 v3, 1, v16
	v_or_b32_e32 v3, v17, v3
	s_delay_alu instid0(VALU_DEP_1) | instskip(NEXT) | instid1(VALU_DEP_1)
	v_cvt_f32_i32_e32 v3, v3
	v_ldexp_f32 v1, v3, v1
	s_delay_alu instid0(VALU_DEP_1) | instskip(NEXT) | instid1(VALU_DEP_1)
	v_bfe_u32 v3, v1, 16, 1
	v_add3_u32 v1, v1, v3, 0x7fff
	s_delay_alu instid0(VALU_DEP_1)
	v_lshrrev_b32_e32 v1, 16, v1
	s_branch .LBB95_1270
.LBB95_1267:
                                        ; implicit-def: $vgpr1
	s_branch .LBB95_1276
.LBB95_1268:
	s_mov_b32 s11, -1
                                        ; implicit-def: $vgpr1
	s_branch .LBB95_1273
.LBB95_1269:
	s_mov_b32 s11, -1
                                        ; implicit-def: $vgpr1
.LBB95_1270:
	s_delay_alu instid0(SALU_CYCLE_1)
	s_and_not1_b32 vcc_lo, exec_lo, s11
	s_cbranch_vccnz .LBB95_1272
; %bb.1271:
	s_wait_loadcnt 0x0
	global_load_b32 v1, v[14:15], off
	s_wait_loadcnt 0x0
	v_cvt_f32_i32_e32 v1, v1
	s_delay_alu instid0(VALU_DEP_1) | instskip(NEXT) | instid1(VALU_DEP_1)
	v_bfe_u32 v3, v1, 16, 1
	v_add3_u32 v1, v1, v3, 0x7fff
	s_delay_alu instid0(VALU_DEP_1)
	v_lshrrev_b32_e32 v1, 16, v1
.LBB95_1272:
	s_mov_b32 s11, 0
.LBB95_1273:
	s_delay_alu instid0(SALU_CYCLE_1)
	s_and_not1_b32 vcc_lo, exec_lo, s11
	s_cbranch_vccnz .LBB95_1275
; %bb.1274:
	s_wait_loadcnt 0x0
	global_load_i16 v1, v[14:15], off
	s_wait_loadcnt 0x0
	v_cvt_f32_i32_e32 v1, v1
	s_delay_alu instid0(VALU_DEP_1) | instskip(NEXT) | instid1(VALU_DEP_1)
	v_bfe_u32 v3, v1, 16, 1
	v_add3_u32 v1, v1, v3, 0x7fff
	s_delay_alu instid0(VALU_DEP_1)
	v_lshrrev_b32_e32 v1, 16, v1
.LBB95_1275:
	s_cbranch_execnz .LBB95_1281
.LBB95_1276:
	s_cmp_gt_i32 s1, 0
	s_mov_b32 s1, 0
	s_cbranch_scc0 .LBB95_1278
; %bb.1277:
	s_wait_loadcnt 0x0
	global_load_i8 v1, v[14:15], off
	s_wait_loadcnt 0x0
	v_cvt_f32_i32_e32 v1, v1
	s_delay_alu instid0(VALU_DEP_1) | instskip(NEXT) | instid1(VALU_DEP_1)
	v_bfe_u32 v3, v1, 16, 1
	v_add3_u32 v1, v1, v3, 0x7fff
	s_delay_alu instid0(VALU_DEP_1)
	v_lshrrev_b32_e32 v1, 16, v1
	s_branch .LBB95_1279
.LBB95_1278:
	s_mov_b32 s1, -1
                                        ; implicit-def: $vgpr1
.LBB95_1279:
	s_delay_alu instid0(SALU_CYCLE_1)
	s_and_not1_b32 vcc_lo, exec_lo, s1
	s_cbranch_vccnz .LBB95_1281
; %bb.1280:
	s_wait_loadcnt 0x0
	global_load_u8 v1, v[14:15], off
	s_wait_loadcnt 0x0
	v_cvt_f32_ubyte0_e32 v1, v1
	s_delay_alu instid0(VALU_DEP_1) | instskip(NEXT) | instid1(VALU_DEP_1)
	v_bfe_u32 v3, v1, 16, 1
	v_add3_u32 v1, v1, v3, 0x7fff
	s_delay_alu instid0(VALU_DEP_1)
	v_lshrrev_b32_e32 v1, 16, v1
.LBB95_1281:
.LBB95_1282:
	v_mov_b32_e32 v13, 0
	s_and_b32 s0, 0xffff, s0
	s_delay_alu instid0(SALU_CYCLE_1) | instskip(NEXT) | instid1(VALU_DEP_1)
	s_cmp_lt_i32 s0, 11
	v_add_nc_u64_e32 v[12:13], s[6:7], v[12:13]
	s_cbranch_scc1 .LBB95_1289
; %bb.1283:
	s_cmp_gt_i32 s0, 25
	s_mov_b32 s11, 0
	s_cbranch_scc0 .LBB95_1291
; %bb.1284:
	s_cmp_gt_i32 s0, 28
	s_cbranch_scc0 .LBB95_1292
; %bb.1285:
	s_cmp_gt_i32 s0, 43
	;; [unrolled: 3-line block ×3, first 2 shown]
	s_cbranch_scc0 .LBB95_1295
; %bb.1287:
	s_cmp_eq_u32 s0, 46
	s_mov_b32 s13, 0
	s_cbranch_scc0 .LBB95_1298
; %bb.1288:
	global_load_b32 v3, v[12:13], off
	s_mov_b32 s1, 0
	s_mov_b32 s12, -1
	s_branch .LBB95_1300
.LBB95_1289:
	s_mov_b32 s12, 0
                                        ; implicit-def: $vgpr3
	s_cbranch_execnz .LBB95_1365
.LBB95_1290:
	s_and_not1_b32 vcc_lo, exec_lo, s12
	s_cbranch_vccnz .LBB95_2106
	s_branch .LBB95_1412
.LBB95_1291:
	s_mov_b32 s12, 0
	s_mov_b32 s1, 0
                                        ; implicit-def: $vgpr3
	s_cbranch_execnz .LBB95_1329
	s_branch .LBB95_1361
.LBB95_1292:
	s_mov_b32 s13, -1
	s_mov_b32 s12, 0
	s_mov_b32 s1, 0
                                        ; implicit-def: $vgpr3
	s_branch .LBB95_1310
.LBB95_1293:
	s_mov_b32 s13, -1
	s_mov_b32 s12, 0
	s_mov_b32 s1, 0
                                        ; implicit-def: $vgpr3
	s_branch .LBB95_1305
.LBB95_1294:
	s_or_b32 s10, s8, exec_lo
	s_trap 2
	s_cbranch_execz .LBB95_1235
	s_branch .LBB95_1236
.LBB95_1295:
	s_mov_b32 s13, -1
	s_mov_b32 s12, 0
	s_mov_b32 s1, 0
	s_branch .LBB95_1299
.LBB95_1296:
	s_and_not1_saveexec_b32 s11, s11
	s_cbranch_execz .LBB95_1021
.LBB95_1297:
	v_add_f32_e32 v2, 0x42800000, v3
	s_and_not1_b32 s10, s10, exec_lo
	s_delay_alu instid0(VALU_DEP_1) | instskip(NEXT) | instid1(VALU_DEP_1)
	v_and_b32_e32 v2, 0xff, v2
	v_cmp_ne_u32_e32 vcc_lo, 0, v2
	s_and_b32 s12, vcc_lo, exec_lo
	s_delay_alu instid0(SALU_CYCLE_1)
	s_or_b32 s10, s10, s12
	s_or_b32 exec_lo, exec_lo, s11
	v_mov_b32_e32 v4, 0
	s_and_saveexec_b32 s11, s10
	s_cbranch_execnz .LBB95_1022
	s_branch .LBB95_1023
.LBB95_1298:
	s_mov_b32 s1, -1
	s_mov_b32 s12, 0
.LBB95_1299:
                                        ; implicit-def: $vgpr3
.LBB95_1300:
	s_and_b32 vcc_lo, exec_lo, s13
	s_cbranch_vccz .LBB95_1304
; %bb.1301:
	s_cmp_eq_u32 s0, 44
	s_cbranch_scc0 .LBB95_1303
; %bb.1302:
	s_wait_loadcnt 0x0
	global_load_u8 v3, v[12:13], off
	s_mov_b32 s1, 0
	s_mov_b32 s12, -1
	s_wait_loadcnt 0x0
	v_lshlrev_b32_e32 v5, 23, v3
	v_cmp_ne_u32_e32 vcc_lo, 0xff, v3
	s_delay_alu instid0(VALU_DEP_2) | instskip(SKIP_1) | instid1(VALU_DEP_2)
	v_cndmask_b32_e32 v5, 0x7f800001, v5, vcc_lo
	v_cmp_ne_u32_e32 vcc_lo, 0, v3
	v_cndmask_b32_e32 v3, 0x400000, v5, vcc_lo
	s_delay_alu instid0(VALU_DEP_1) | instskip(SKIP_1) | instid1(VALU_DEP_2)
	v_add_nc_u32_e32 v5, 0x7fff, v3
	v_cmp_o_f32_e32 vcc_lo, v3, v3
	v_lshrrev_b32_e32 v5, 16, v5
	s_delay_alu instid0(VALU_DEP_1)
	v_cndmask_b32_e32 v3, 0x7fc0, v5, vcc_lo
	s_branch .LBB95_1304
.LBB95_1303:
	s_mov_b32 s1, -1
                                        ; implicit-def: $vgpr3
.LBB95_1304:
	s_mov_b32 s13, 0
.LBB95_1305:
	s_delay_alu instid0(SALU_CYCLE_1)
	s_and_b32 vcc_lo, exec_lo, s13
	s_cbranch_vccz .LBB95_1309
; %bb.1306:
	s_cmp_eq_u32 s0, 29
	s_cbranch_scc0 .LBB95_1308
; %bb.1307:
	global_load_b64 v[14:15], v[12:13], off
	s_mov_b32 s1, 0
	s_mov_b32 s12, -1
	s_mov_b32 s13, 0
	s_wait_loadcnt 0x0
	v_clz_i32_u32_e32 v3, v15
	s_delay_alu instid0(VALU_DEP_1) | instskip(NEXT) | instid1(VALU_DEP_1)
	v_min_u32_e32 v3, 32, v3
	v_lshlrev_b64_e32 v[14:15], v3, v[14:15]
	v_sub_nc_u32_e32 v3, 32, v3
	s_delay_alu instid0(VALU_DEP_2) | instskip(NEXT) | instid1(VALU_DEP_1)
	v_min_u32_e32 v5, 1, v14
	v_or_b32_e32 v5, v15, v5
	s_delay_alu instid0(VALU_DEP_1) | instskip(NEXT) | instid1(VALU_DEP_1)
	v_cvt_f32_u32_e32 v5, v5
	v_ldexp_f32 v3, v5, v3
	s_delay_alu instid0(VALU_DEP_1) | instskip(NEXT) | instid1(VALU_DEP_1)
	v_bfe_u32 v5, v3, 16, 1
	v_add3_u32 v3, v3, v5, 0x7fff
	s_delay_alu instid0(VALU_DEP_1)
	v_lshrrev_b32_e32 v3, 16, v3
	s_branch .LBB95_1310
.LBB95_1308:
	s_mov_b32 s1, -1
                                        ; implicit-def: $vgpr3
.LBB95_1309:
	s_mov_b32 s13, 0
.LBB95_1310:
	s_delay_alu instid0(SALU_CYCLE_1)
	s_and_b32 vcc_lo, exec_lo, s13
	s_cbranch_vccz .LBB95_1328
; %bb.1311:
	s_cmp_lt_i32 s0, 27
	s_cbranch_scc1 .LBB95_1314
; %bb.1312:
	s_cmp_gt_i32 s0, 27
	s_cbranch_scc0 .LBB95_1315
; %bb.1313:
	s_wait_loadcnt 0x0
	global_load_b32 v3, v[12:13], off
	s_mov_b32 s12, 0
	s_wait_loadcnt 0x0
	v_cvt_f32_u32_e32 v3, v3
	s_delay_alu instid0(VALU_DEP_1) | instskip(NEXT) | instid1(VALU_DEP_1)
	v_bfe_u32 v5, v3, 16, 1
	v_add3_u32 v3, v3, v5, 0x7fff
	s_delay_alu instid0(VALU_DEP_1)
	v_lshrrev_b32_e32 v3, 16, v3
	s_branch .LBB95_1316
.LBB95_1314:
	s_mov_b32 s12, -1
                                        ; implicit-def: $vgpr3
	s_branch .LBB95_1319
.LBB95_1315:
	s_mov_b32 s12, -1
                                        ; implicit-def: $vgpr3
.LBB95_1316:
	s_delay_alu instid0(SALU_CYCLE_1)
	s_and_not1_b32 vcc_lo, exec_lo, s12
	s_cbranch_vccnz .LBB95_1318
; %bb.1317:
	s_wait_loadcnt 0x0
	global_load_u16 v3, v[12:13], off
	s_wait_loadcnt 0x0
	v_cvt_f32_u32_e32 v3, v3
	s_delay_alu instid0(VALU_DEP_1) | instskip(NEXT) | instid1(VALU_DEP_1)
	v_bfe_u32 v5, v3, 16, 1
	v_add3_u32 v3, v3, v5, 0x7fff
	s_delay_alu instid0(VALU_DEP_1)
	v_lshrrev_b32_e32 v3, 16, v3
.LBB95_1318:
	s_mov_b32 s12, 0
.LBB95_1319:
	s_delay_alu instid0(SALU_CYCLE_1)
	s_and_not1_b32 vcc_lo, exec_lo, s12
	s_cbranch_vccnz .LBB95_1327
; %bb.1320:
	s_wait_loadcnt 0x0
	global_load_u8 v3, v[12:13], off
	s_mov_b32 s12, 0
	s_mov_b32 s13, exec_lo
	s_wait_loadcnt 0x0
	v_cmpx_lt_i16_e32 0x7f, v3
	s_xor_b32 s13, exec_lo, s13
	s_cbranch_execz .LBB95_1340
; %bb.1321:
	s_mov_b32 s12, -1
	s_mov_b32 s14, exec_lo
	v_cmpx_eq_u16_e32 0x80, v3
; %bb.1322:
	s_xor_b32 s12, exec_lo, -1
; %bb.1323:
	s_or_b32 exec_lo, exec_lo, s14
	s_delay_alu instid0(SALU_CYCLE_1)
	s_and_b32 s12, s12, exec_lo
	s_or_saveexec_b32 s13, s13
	v_mov_b32_e32 v5, 0x7f800001
	s_xor_b32 exec_lo, exec_lo, s13
	s_cbranch_execnz .LBB95_1341
.LBB95_1324:
	s_or_b32 exec_lo, exec_lo, s13
	s_and_saveexec_b32 s13, s12
	s_cbranch_execz .LBB95_1326
.LBB95_1325:
	v_and_b32_e32 v5, 0xffff, v3
	s_delay_alu instid0(VALU_DEP_1) | instskip(SKIP_1) | instid1(VALU_DEP_2)
	v_dual_lshlrev_b32 v3, 24, v3 :: v_dual_bitop2_b32 v7, 7, v5 bitop3:0x40
	v_bfe_u32 v14, v5, 3, 4
	v_and_b32_e32 v3, 0x80000000, v3
	s_delay_alu instid0(VALU_DEP_3) | instskip(NEXT) | instid1(VALU_DEP_3)
	v_clz_i32_u32_e32 v9, v7
	v_cmp_eq_u32_e32 vcc_lo, 0, v14
	s_delay_alu instid0(VALU_DEP_2) | instskip(NEXT) | instid1(VALU_DEP_1)
	v_min_u32_e32 v9, 32, v9
	v_subrev_nc_u32_e32 v11, 28, v9
	v_sub_nc_u32_e32 v9, 29, v9
	s_delay_alu instid0(VALU_DEP_2) | instskip(NEXT) | instid1(VALU_DEP_2)
	v_lshlrev_b32_e32 v5, v11, v5
	v_cndmask_b32_e32 v9, v14, v9, vcc_lo
	s_delay_alu instid0(VALU_DEP_2) | instskip(NEXT) | instid1(VALU_DEP_1)
	v_and_b32_e32 v5, 7, v5
	v_cndmask_b32_e32 v5, v7, v5, vcc_lo
	s_delay_alu instid0(VALU_DEP_3) | instskip(NEXT) | instid1(VALU_DEP_2)
	v_lshl_add_u32 v7, v9, 23, 0x3b800000
	v_lshlrev_b32_e32 v5, 20, v5
	s_delay_alu instid0(VALU_DEP_1)
	v_or3_b32 v5, v3, v7, v5
.LBB95_1326:
	s_or_b32 exec_lo, exec_lo, s13
	s_delay_alu instid0(VALU_DEP_1) | instskip(SKIP_1) | instid1(VALU_DEP_2)
	v_bfe_u32 v3, v5, 16, 1
	v_cmp_o_f32_e32 vcc_lo, v5, v5
	v_add3_u32 v3, v5, v3, 0x7fff
	s_delay_alu instid0(VALU_DEP_1) | instskip(NEXT) | instid1(VALU_DEP_1)
	v_lshrrev_b32_e32 v3, 16, v3
	v_cndmask_b32_e32 v3, 0x7fc0, v3, vcc_lo
.LBB95_1327:
	s_mov_b32 s12, -1
.LBB95_1328:
	s_branch .LBB95_1361
.LBB95_1329:
	s_cmp_gt_i32 s0, 22
	s_cbranch_scc0 .LBB95_1339
; %bb.1330:
	s_cmp_lt_i32 s0, 24
	s_cbranch_scc1 .LBB95_1342
; %bb.1331:
	s_cmp_gt_i32 s0, 24
	s_cbranch_scc0 .LBB95_1343
; %bb.1332:
	s_wait_loadcnt 0x0
	global_load_u8 v3, v[12:13], off
	s_mov_b32 s12, exec_lo
	s_wait_loadcnt 0x0
	v_cmpx_lt_i16_e32 0x7f, v3
	s_xor_b32 s12, exec_lo, s12
	s_cbranch_execz .LBB95_1355
; %bb.1333:
	s_mov_b32 s11, -1
	s_mov_b32 s13, exec_lo
	v_cmpx_eq_u16_e32 0x80, v3
; %bb.1334:
	s_xor_b32 s11, exec_lo, -1
; %bb.1335:
	s_or_b32 exec_lo, exec_lo, s13
	s_delay_alu instid0(SALU_CYCLE_1)
	s_and_b32 s11, s11, exec_lo
	s_or_saveexec_b32 s12, s12
	v_mov_b32_e32 v5, 0x7f800001
	s_xor_b32 exec_lo, exec_lo, s12
	s_cbranch_execnz .LBB95_1356
.LBB95_1336:
	s_or_b32 exec_lo, exec_lo, s12
	s_and_saveexec_b32 s12, s11
	s_cbranch_execz .LBB95_1338
.LBB95_1337:
	v_and_b32_e32 v5, 0xffff, v3
	s_delay_alu instid0(VALU_DEP_1) | instskip(SKIP_1) | instid1(VALU_DEP_2)
	v_dual_lshlrev_b32 v3, 24, v3 :: v_dual_bitop2_b32 v7, 3, v5 bitop3:0x40
	v_bfe_u32 v14, v5, 2, 5
	v_and_b32_e32 v3, 0x80000000, v3
	s_delay_alu instid0(VALU_DEP_3) | instskip(NEXT) | instid1(VALU_DEP_3)
	v_clz_i32_u32_e32 v9, v7
	v_cmp_eq_u32_e32 vcc_lo, 0, v14
	s_delay_alu instid0(VALU_DEP_2) | instskip(NEXT) | instid1(VALU_DEP_1)
	v_min_u32_e32 v9, 32, v9
	v_subrev_nc_u32_e32 v11, 29, v9
	v_sub_nc_u32_e32 v9, 30, v9
	s_delay_alu instid0(VALU_DEP_2) | instskip(NEXT) | instid1(VALU_DEP_2)
	v_lshlrev_b32_e32 v5, v11, v5
	v_cndmask_b32_e32 v9, v14, v9, vcc_lo
	s_delay_alu instid0(VALU_DEP_2) | instskip(NEXT) | instid1(VALU_DEP_1)
	v_and_b32_e32 v5, 3, v5
	v_cndmask_b32_e32 v5, v7, v5, vcc_lo
	s_delay_alu instid0(VALU_DEP_3) | instskip(NEXT) | instid1(VALU_DEP_2)
	v_lshl_add_u32 v7, v9, 23, 0x37800000
	v_lshlrev_b32_e32 v5, 21, v5
	s_delay_alu instid0(VALU_DEP_1)
	v_or3_b32 v5, v3, v7, v5
.LBB95_1338:
	s_or_b32 exec_lo, exec_lo, s12
	s_delay_alu instid0(VALU_DEP_1) | instskip(SKIP_2) | instid1(VALU_DEP_2)
	v_bfe_u32 v3, v5, 16, 1
	v_cmp_o_f32_e32 vcc_lo, v5, v5
	s_mov_b32 s11, 0
	v_add3_u32 v3, v5, v3, 0x7fff
	s_delay_alu instid0(VALU_DEP_1) | instskip(NEXT) | instid1(VALU_DEP_1)
	v_lshrrev_b32_e32 v3, 16, v3
	v_cndmask_b32_e32 v3, 0x7fc0, v3, vcc_lo
	s_branch .LBB95_1344
.LBB95_1339:
	s_mov_b32 s11, -1
                                        ; implicit-def: $vgpr3
	s_branch .LBB95_1350
.LBB95_1340:
	s_or_saveexec_b32 s13, s13
	v_mov_b32_e32 v5, 0x7f800001
	s_xor_b32 exec_lo, exec_lo, s13
	s_cbranch_execz .LBB95_1324
.LBB95_1341:
	v_cmp_ne_u16_e32 vcc_lo, 0, v3
	v_mov_b32_e32 v5, 0
	s_and_not1_b32 s12, s12, exec_lo
	s_and_b32 s14, vcc_lo, exec_lo
	s_delay_alu instid0(SALU_CYCLE_1)
	s_or_b32 s12, s12, s14
	s_or_b32 exec_lo, exec_lo, s13
	s_and_saveexec_b32 s13, s12
	s_cbranch_execnz .LBB95_1325
	s_branch .LBB95_1326
.LBB95_1342:
	s_mov_b32 s11, -1
                                        ; implicit-def: $vgpr3
	s_branch .LBB95_1347
.LBB95_1343:
	s_mov_b32 s11, -1
                                        ; implicit-def: $vgpr3
.LBB95_1344:
	s_delay_alu instid0(SALU_CYCLE_1)
	s_and_b32 vcc_lo, exec_lo, s11
	s_cbranch_vccz .LBB95_1346
; %bb.1345:
	s_wait_loadcnt 0x0
	global_load_u8 v3, v[12:13], off
	s_wait_loadcnt 0x0
	v_lshlrev_b32_e32 v3, 24, v3
	s_delay_alu instid0(VALU_DEP_1) | instskip(NEXT) | instid1(VALU_DEP_1)
	v_and_b32_e32 v5, 0x7f000000, v3
	v_clz_i32_u32_e32 v7, v5
	v_add_nc_u32_e32 v11, 0x1000000, v5
	v_cmp_ne_u32_e32 vcc_lo, 0, v5
	s_delay_alu instid0(VALU_DEP_3) | instskip(NEXT) | instid1(VALU_DEP_1)
	v_min_u32_e32 v7, 32, v7
	v_sub_nc_u32_e64 v7, v7, 4 clamp
	s_delay_alu instid0(VALU_DEP_1) | instskip(NEXT) | instid1(VALU_DEP_1)
	v_dual_lshlrev_b32 v9, v7, v5 :: v_dual_lshlrev_b32 v7, 23, v7
	v_lshrrev_b32_e32 v9, 4, v9
	s_delay_alu instid0(VALU_DEP_1) | instskip(SKIP_1) | instid1(VALU_DEP_2)
	v_sub_nc_u32_e32 v7, v9, v7
	v_ashrrev_i32_e32 v9, 8, v11
	v_add_nc_u32_e32 v7, 0x3c000000, v7
	s_delay_alu instid0(VALU_DEP_1) | instskip(NEXT) | instid1(VALU_DEP_1)
	v_and_or_b32 v7, 0x7f800000, v9, v7
	v_cndmask_b32_e32 v5, 0, v7, vcc_lo
	s_delay_alu instid0(VALU_DEP_1) | instskip(SKIP_1) | instid1(VALU_DEP_2)
	v_and_or_b32 v3, 0x80000000, v3, v5
	v_bfe_u32 v5, v5, 16, 1
	v_cmp_o_f32_e32 vcc_lo, v3, v3
	s_delay_alu instid0(VALU_DEP_2) | instskip(NEXT) | instid1(VALU_DEP_1)
	v_add3_u32 v5, v3, v5, 0x7fff
	v_lshrrev_b32_e32 v5, 16, v5
	s_delay_alu instid0(VALU_DEP_1)
	v_cndmask_b32_e32 v3, 0x7fc0, v5, vcc_lo
.LBB95_1346:
	s_mov_b32 s11, 0
.LBB95_1347:
	s_delay_alu instid0(SALU_CYCLE_1)
	s_and_not1_b32 vcc_lo, exec_lo, s11
	s_cbranch_vccnz .LBB95_1349
; %bb.1348:
	s_wait_loadcnt 0x0
	global_load_u8 v3, v[12:13], off
	s_wait_loadcnt 0x0
	v_lshlrev_b32_e32 v5, 25, v3
	v_lshlrev_b16 v3, 8, v3
	s_delay_alu instid0(VALU_DEP_1) | instskip(SKIP_1) | instid1(VALU_DEP_2)
	v_and_or_b32 v9, 0x7f00, v3, 0.5
	v_bfe_i32 v3, v3, 0, 16
	v_add_f32_e32 v9, -0.5, v9
	v_lshrrev_b32_e32 v7, 4, v5
	v_cmp_gt_u32_e32 vcc_lo, 0x8000000, v5
	s_delay_alu instid0(VALU_DEP_2) | instskip(NEXT) | instid1(VALU_DEP_1)
	v_or_b32_e32 v7, 0x70000000, v7
	v_mul_f32_e32 v7, 0x7800000, v7
	s_delay_alu instid0(VALU_DEP_1) | instskip(NEXT) | instid1(VALU_DEP_1)
	v_cndmask_b32_e32 v5, v7, v9, vcc_lo
	v_and_or_b32 v3, 0x80000000, v3, v5
	v_bfe_u32 v5, v5, 16, 1
	s_delay_alu instid0(VALU_DEP_2) | instskip(NEXT) | instid1(VALU_DEP_2)
	v_cmp_o_f32_e32 vcc_lo, v3, v3
	v_add3_u32 v5, v3, v5, 0x7fff
	s_delay_alu instid0(VALU_DEP_1) | instskip(NEXT) | instid1(VALU_DEP_1)
	v_lshrrev_b32_e32 v5, 16, v5
	v_cndmask_b32_e32 v3, 0x7fc0, v5, vcc_lo
.LBB95_1349:
	s_mov_b32 s11, 0
	s_mov_b32 s12, -1
.LBB95_1350:
	s_and_not1_b32 vcc_lo, exec_lo, s11
	s_mov_b32 s11, 0
	s_cbranch_vccnz .LBB95_1361
; %bb.1351:
	s_cmp_gt_i32 s0, 14
	s_cbranch_scc0 .LBB95_1354
; %bb.1352:
	s_cmp_eq_u32 s0, 15
	s_cbranch_scc0 .LBB95_1357
; %bb.1353:
	s_wait_loadcnt 0x0
	global_load_u16 v3, v[12:13], off
	s_mov_b32 s1, 0
	s_mov_b32 s12, -1
	s_branch .LBB95_1359
.LBB95_1354:
	s_mov_b32 s11, -1
	s_branch .LBB95_1358
.LBB95_1355:
	s_or_saveexec_b32 s12, s12
	v_mov_b32_e32 v5, 0x7f800001
	s_xor_b32 exec_lo, exec_lo, s12
	s_cbranch_execz .LBB95_1336
.LBB95_1356:
	v_cmp_ne_u16_e32 vcc_lo, 0, v3
	v_mov_b32_e32 v5, 0
	s_and_not1_b32 s11, s11, exec_lo
	s_and_b32 s13, vcc_lo, exec_lo
	s_delay_alu instid0(SALU_CYCLE_1)
	s_or_b32 s11, s11, s13
	s_or_b32 exec_lo, exec_lo, s12
	s_and_saveexec_b32 s12, s11
	s_cbranch_execnz .LBB95_1337
	s_branch .LBB95_1338
.LBB95_1357:
	s_mov_b32 s1, -1
.LBB95_1358:
                                        ; implicit-def: $vgpr3
.LBB95_1359:
	s_and_b32 vcc_lo, exec_lo, s11
	s_mov_b32 s11, 0
	s_cbranch_vccz .LBB95_1361
; %bb.1360:
	s_cmp_lg_u32 s0, 11
	s_mov_b32 s11, -1
	s_cselect_b32 s1, -1, 0
.LBB95_1361:
	s_delay_alu instid0(SALU_CYCLE_1)
	s_and_b32 vcc_lo, exec_lo, s1
	s_cbranch_vccnz .LBB95_1424
; %bb.1362:
	s_and_not1_b32 vcc_lo, exec_lo, s11
	s_cbranch_vccnz .LBB95_1364
.LBB95_1363:
	s_wait_loadcnt 0x0
	global_load_u8 v3, v[12:13], off
	s_mov_b32 s12, -1
	s_wait_loadcnt 0x0
	v_cmp_ne_u16_e32 vcc_lo, 0, v3
	v_cndmask_b32_e64 v3, 0, 1.0, vcc_lo
	s_delay_alu instid0(VALU_DEP_1)
	v_lshrrev_b32_e32 v3, 16, v3
.LBB95_1364:
	s_branch .LBB95_1290
.LBB95_1365:
	s_cmp_lt_i32 s0, 5
	s_cbranch_scc1 .LBB95_1370
; %bb.1366:
	s_cmp_lt_i32 s0, 8
	s_cbranch_scc1 .LBB95_1371
; %bb.1367:
	;; [unrolled: 3-line block ×3, first 2 shown]
	s_cmp_gt_i32 s0, 9
	s_cbranch_scc0 .LBB95_1373
; %bb.1369:
	global_load_b64 v[14:15], v[12:13], off
	s_mov_b32 s1, 0
	s_wait_loadcnt 0x0
	v_cvt_f32_f64_e32 v3, v[14:15]
	s_delay_alu instid0(VALU_DEP_1) | instskip(SKIP_1) | instid1(VALU_DEP_2)
	v_bfe_u32 v5, v3, 16, 1
	v_cmp_o_f32_e32 vcc_lo, v3, v3
	v_add3_u32 v5, v3, v5, 0x7fff
	s_delay_alu instid0(VALU_DEP_1) | instskip(NEXT) | instid1(VALU_DEP_1)
	v_lshrrev_b32_e32 v5, 16, v5
	v_cndmask_b32_e32 v3, 0x7fc0, v5, vcc_lo
	s_branch .LBB95_1374
.LBB95_1370:
                                        ; implicit-def: $vgpr3
	s_branch .LBB95_1392
.LBB95_1371:
	s_mov_b32 s1, -1
                                        ; implicit-def: $vgpr3
	s_branch .LBB95_1380
.LBB95_1372:
	s_mov_b32 s1, -1
                                        ; implicit-def: $vgpr3
	s_branch .LBB95_1377
.LBB95_1373:
	s_mov_b32 s1, -1
                                        ; implicit-def: $vgpr3
.LBB95_1374:
	s_delay_alu instid0(SALU_CYCLE_1)
	s_and_not1_b32 vcc_lo, exec_lo, s1
	s_cbranch_vccnz .LBB95_1376
; %bb.1375:
	s_wait_loadcnt 0x0
	global_load_b32 v3, v[12:13], off
	s_wait_loadcnt 0x0
	v_bfe_u32 v5, v3, 16, 1
	v_cmp_o_f32_e32 vcc_lo, v3, v3
	s_delay_alu instid0(VALU_DEP_2) | instskip(NEXT) | instid1(VALU_DEP_1)
	v_add3_u32 v5, v3, v5, 0x7fff
	v_lshrrev_b32_e32 v5, 16, v5
	s_delay_alu instid0(VALU_DEP_1)
	v_cndmask_b32_e32 v3, 0x7fc0, v5, vcc_lo
.LBB95_1376:
	s_mov_b32 s1, 0
.LBB95_1377:
	s_delay_alu instid0(SALU_CYCLE_1)
	s_and_not1_b32 vcc_lo, exec_lo, s1
	s_cbranch_vccnz .LBB95_1379
; %bb.1378:
	s_wait_loadcnt 0x0
	global_load_b32 v3, v[12:13], off
	s_wait_loadcnt 0x0
	v_cvt_f32_f16_e32 v5, v3
	v_cmp_o_f16_e32 vcc_lo, v3, v3
	s_delay_alu instid0(VALU_DEP_2) | instskip(NEXT) | instid1(VALU_DEP_1)
	v_bfe_u32 v7, v5, 16, 1
	v_add3_u32 v5, v5, v7, 0x7fff
	s_delay_alu instid0(VALU_DEP_1) | instskip(NEXT) | instid1(VALU_DEP_1)
	v_lshrrev_b32_e32 v5, 16, v5
	v_cndmask_b32_e32 v3, 0x7fc0, v5, vcc_lo
.LBB95_1379:
	s_mov_b32 s1, 0
.LBB95_1380:
	s_delay_alu instid0(SALU_CYCLE_1)
	s_and_not1_b32 vcc_lo, exec_lo, s1
	s_cbranch_vccnz .LBB95_1391
; %bb.1381:
	s_cmp_lt_i32 s0, 6
	s_cbranch_scc1 .LBB95_1384
; %bb.1382:
	s_cmp_gt_i32 s0, 6
	s_cbranch_scc0 .LBB95_1385
; %bb.1383:
	global_load_b64 v[14:15], v[12:13], off
	s_mov_b32 s1, 0
	s_wait_loadcnt 0x0
	v_cvt_f32_f64_e32 v3, v[14:15]
	s_delay_alu instid0(VALU_DEP_1) | instskip(SKIP_1) | instid1(VALU_DEP_2)
	v_bfe_u32 v5, v3, 16, 1
	v_cmp_o_f32_e32 vcc_lo, v3, v3
	v_add3_u32 v5, v3, v5, 0x7fff
	s_delay_alu instid0(VALU_DEP_1) | instskip(NEXT) | instid1(VALU_DEP_1)
	v_lshrrev_b32_e32 v5, 16, v5
	v_cndmask_b32_e32 v3, 0x7fc0, v5, vcc_lo
	s_branch .LBB95_1386
.LBB95_1384:
	s_mov_b32 s1, -1
                                        ; implicit-def: $vgpr3
	s_branch .LBB95_1389
.LBB95_1385:
	s_mov_b32 s1, -1
                                        ; implicit-def: $vgpr3
.LBB95_1386:
	s_delay_alu instid0(SALU_CYCLE_1)
	s_and_not1_b32 vcc_lo, exec_lo, s1
	s_cbranch_vccnz .LBB95_1388
; %bb.1387:
	s_wait_loadcnt 0x0
	global_load_b32 v3, v[12:13], off
	s_wait_loadcnt 0x0
	v_bfe_u32 v5, v3, 16, 1
	v_cmp_o_f32_e32 vcc_lo, v3, v3
	s_delay_alu instid0(VALU_DEP_2) | instskip(NEXT) | instid1(VALU_DEP_1)
	v_add3_u32 v5, v3, v5, 0x7fff
	v_lshrrev_b32_e32 v5, 16, v5
	s_delay_alu instid0(VALU_DEP_1)
	v_cndmask_b32_e32 v3, 0x7fc0, v5, vcc_lo
.LBB95_1388:
	s_mov_b32 s1, 0
.LBB95_1389:
	s_delay_alu instid0(SALU_CYCLE_1)
	s_and_not1_b32 vcc_lo, exec_lo, s1
	s_cbranch_vccnz .LBB95_1391
; %bb.1390:
	s_wait_loadcnt 0x0
	global_load_u16 v3, v[12:13], off
	s_wait_loadcnt 0x0
	v_cvt_f32_f16_e32 v5, v3
	v_cmp_o_f16_e32 vcc_lo, v3, v3
	s_delay_alu instid0(VALU_DEP_2) | instskip(NEXT) | instid1(VALU_DEP_1)
	v_bfe_u32 v7, v5, 16, 1
	v_add3_u32 v5, v5, v7, 0x7fff
	s_delay_alu instid0(VALU_DEP_1) | instskip(NEXT) | instid1(VALU_DEP_1)
	v_lshrrev_b32_e32 v5, 16, v5
	v_cndmask_b32_e32 v3, 0x7fc0, v5, vcc_lo
.LBB95_1391:
	s_cbranch_execnz .LBB95_1411
.LBB95_1392:
	s_cmp_lt_i32 s0, 2
	s_cbranch_scc1 .LBB95_1396
; %bb.1393:
	s_cmp_lt_i32 s0, 3
	s_cbranch_scc1 .LBB95_1397
; %bb.1394:
	s_cmp_gt_i32 s0, 3
	s_cbranch_scc0 .LBB95_1398
; %bb.1395:
	global_load_b64 v[14:15], v[12:13], off
	s_mov_b32 s1, 0
	s_wait_loadcnt 0x0
	v_xor_b32_e32 v3, v14, v15
	v_cls_i32_e32 v5, v15
	s_delay_alu instid0(VALU_DEP_2) | instskip(NEXT) | instid1(VALU_DEP_1)
	v_ashrrev_i32_e32 v3, 31, v3
	v_add_nc_u32_e32 v3, 32, v3
	s_delay_alu instid0(VALU_DEP_1) | instskip(NEXT) | instid1(VALU_DEP_1)
	v_add_min_u32_e64 v3, v5, -1, v3
	v_lshlrev_b64_e32 v[14:15], v3, v[14:15]
	v_sub_nc_u32_e32 v3, 32, v3
	s_delay_alu instid0(VALU_DEP_2) | instskip(NEXT) | instid1(VALU_DEP_1)
	v_min_u32_e32 v5, 1, v14
	v_or_b32_e32 v5, v15, v5
	s_delay_alu instid0(VALU_DEP_1) | instskip(NEXT) | instid1(VALU_DEP_1)
	v_cvt_f32_i32_e32 v5, v5
	v_ldexp_f32 v3, v5, v3
	s_delay_alu instid0(VALU_DEP_1) | instskip(NEXT) | instid1(VALU_DEP_1)
	v_bfe_u32 v5, v3, 16, 1
	v_add3_u32 v3, v3, v5, 0x7fff
	s_delay_alu instid0(VALU_DEP_1)
	v_lshrrev_b32_e32 v3, 16, v3
	s_branch .LBB95_1399
.LBB95_1396:
	s_mov_b32 s1, -1
                                        ; implicit-def: $vgpr3
	s_branch .LBB95_1405
.LBB95_1397:
	s_mov_b32 s1, -1
                                        ; implicit-def: $vgpr3
	s_branch .LBB95_1402
.LBB95_1398:
	s_mov_b32 s1, -1
                                        ; implicit-def: $vgpr3
.LBB95_1399:
	s_delay_alu instid0(SALU_CYCLE_1)
	s_and_not1_b32 vcc_lo, exec_lo, s1
	s_cbranch_vccnz .LBB95_1401
; %bb.1400:
	s_wait_loadcnt 0x0
	global_load_b32 v3, v[12:13], off
	s_wait_loadcnt 0x0
	v_cvt_f32_i32_e32 v3, v3
	s_delay_alu instid0(VALU_DEP_1) | instskip(NEXT) | instid1(VALU_DEP_1)
	v_bfe_u32 v5, v3, 16, 1
	v_add3_u32 v3, v3, v5, 0x7fff
	s_delay_alu instid0(VALU_DEP_1)
	v_lshrrev_b32_e32 v3, 16, v3
.LBB95_1401:
	s_mov_b32 s1, 0
.LBB95_1402:
	s_delay_alu instid0(SALU_CYCLE_1)
	s_and_not1_b32 vcc_lo, exec_lo, s1
	s_cbranch_vccnz .LBB95_1404
; %bb.1403:
	s_wait_loadcnt 0x0
	global_load_i16 v3, v[12:13], off
	s_wait_loadcnt 0x0
	v_cvt_f32_i32_e32 v3, v3
	s_delay_alu instid0(VALU_DEP_1) | instskip(NEXT) | instid1(VALU_DEP_1)
	v_bfe_u32 v5, v3, 16, 1
	v_add3_u32 v3, v3, v5, 0x7fff
	s_delay_alu instid0(VALU_DEP_1)
	v_lshrrev_b32_e32 v3, 16, v3
.LBB95_1404:
	s_mov_b32 s1, 0
.LBB95_1405:
	s_delay_alu instid0(SALU_CYCLE_1)
	s_and_not1_b32 vcc_lo, exec_lo, s1
	s_cbranch_vccnz .LBB95_1411
; %bb.1406:
	s_cmp_gt_i32 s0, 0
	s_mov_b32 s1, 0
	s_cbranch_scc0 .LBB95_1408
; %bb.1407:
	s_wait_loadcnt 0x0
	global_load_i8 v3, v[12:13], off
	s_wait_loadcnt 0x0
	v_cvt_f32_i32_e32 v3, v3
	s_delay_alu instid0(VALU_DEP_1) | instskip(NEXT) | instid1(VALU_DEP_1)
	v_bfe_u32 v5, v3, 16, 1
	v_add3_u32 v3, v3, v5, 0x7fff
	s_delay_alu instid0(VALU_DEP_1)
	v_lshrrev_b32_e32 v3, 16, v3
	s_branch .LBB95_1409
.LBB95_1408:
	s_mov_b32 s1, -1
                                        ; implicit-def: $vgpr3
.LBB95_1409:
	s_delay_alu instid0(SALU_CYCLE_1)
	s_and_not1_b32 vcc_lo, exec_lo, s1
	s_cbranch_vccnz .LBB95_1411
; %bb.1410:
	s_wait_loadcnt 0x0
	global_load_u8 v3, v[12:13], off
	s_wait_loadcnt 0x0
	v_cvt_f32_ubyte0_e32 v3, v3
	s_delay_alu instid0(VALU_DEP_1) | instskip(NEXT) | instid1(VALU_DEP_1)
	v_bfe_u32 v5, v3, 16, 1
	v_add3_u32 v3, v3, v5, 0x7fff
	s_delay_alu instid0(VALU_DEP_1)
	v_lshrrev_b32_e32 v3, 16, v3
.LBB95_1411:
.LBB95_1412:
	v_mov_b32_e32 v11, 0
	s_cmp_lt_i32 s0, 11
	s_delay_alu instid0(VALU_DEP_1)
	v_add_nc_u64_e32 v[10:11], s[6:7], v[10:11]
	s_cbranch_scc1 .LBB95_1419
; %bb.1413:
	s_cmp_gt_i32 s0, 25
	s_mov_b32 s11, 0
	s_cbranch_scc0 .LBB95_1421
; %bb.1414:
	s_cmp_gt_i32 s0, 28
	s_cbranch_scc0 .LBB95_1422
; %bb.1415:
	s_cmp_gt_i32 s0, 43
	;; [unrolled: 3-line block ×3, first 2 shown]
	s_cbranch_scc0 .LBB95_1425
; %bb.1417:
	s_cmp_eq_u32 s0, 46
	s_mov_b32 s13, 0
	s_cbranch_scc0 .LBB95_1426
; %bb.1418:
	global_load_b32 v12, v[10:11], off
	s_mov_b32 s1, 0
	s_mov_b32 s12, -1
	s_branch .LBB95_1428
.LBB95_1419:
	s_mov_b32 s12, 0
                                        ; implicit-def: $vgpr12
	s_cbranch_execnz .LBB95_1494
.LBB95_1420:
	s_and_not1_b32 vcc_lo, exec_lo, s12
	s_cbranch_vccnz .LBB95_2106
	s_branch .LBB95_1542
.LBB95_1421:
	s_mov_b32 s13, -1
	s_mov_b32 s12, 0
	s_mov_b32 s1, 0
                                        ; implicit-def: $vgpr12
	s_branch .LBB95_1457
.LBB95_1422:
	s_mov_b32 s13, -1
	s_mov_b32 s12, 0
	s_mov_b32 s1, 0
                                        ; implicit-def: $vgpr12
	s_branch .LBB95_1438
.LBB95_1423:
	s_mov_b32 s13, -1
	s_mov_b32 s12, 0
	s_mov_b32 s1, 0
                                        ; implicit-def: $vgpr12
	s_branch .LBB95_1433
.LBB95_1424:
	s_or_b32 s10, s10, exec_lo
	s_trap 2
	s_cbranch_execz .LBB95_1363
	s_branch .LBB95_1364
.LBB95_1425:
	s_mov_b32 s13, -1
	s_mov_b32 s12, 0
	s_mov_b32 s1, 0
	s_branch .LBB95_1427
.LBB95_1426:
	s_mov_b32 s1, -1
	s_mov_b32 s12, 0
.LBB95_1427:
                                        ; implicit-def: $vgpr12
.LBB95_1428:
	s_and_b32 vcc_lo, exec_lo, s13
	s_cbranch_vccz .LBB95_1432
; %bb.1429:
	s_cmp_eq_u32 s0, 44
	s_cbranch_scc0 .LBB95_1431
; %bb.1430:
	global_load_u8 v5, v[10:11], off
	s_mov_b32 s1, 0
	s_mov_b32 s12, -1
	s_wait_loadcnt 0x0
	v_lshlrev_b32_e32 v7, 23, v5
	v_cmp_ne_u32_e32 vcc_lo, 0xff, v5
	s_delay_alu instid0(VALU_DEP_2) | instskip(SKIP_1) | instid1(VALU_DEP_2)
	v_cndmask_b32_e32 v7, 0x7f800001, v7, vcc_lo
	v_cmp_ne_u32_e32 vcc_lo, 0, v5
	v_cndmask_b32_e32 v5, 0x400000, v7, vcc_lo
	s_delay_alu instid0(VALU_DEP_1) | instskip(SKIP_1) | instid1(VALU_DEP_2)
	v_add_nc_u32_e32 v7, 0x7fff, v5
	v_cmp_o_f32_e32 vcc_lo, v5, v5
	v_lshrrev_b32_e32 v7, 16, v7
	s_wait_xcnt 0x1
	s_delay_alu instid0(VALU_DEP_1)
	v_cndmask_b32_e32 v12, 0x7fc0, v7, vcc_lo
	s_branch .LBB95_1432
.LBB95_1431:
	s_mov_b32 s1, -1
                                        ; implicit-def: $vgpr12
.LBB95_1432:
	s_mov_b32 s13, 0
.LBB95_1433:
	s_delay_alu instid0(SALU_CYCLE_1)
	s_and_b32 vcc_lo, exec_lo, s13
	s_cbranch_vccz .LBB95_1437
; %bb.1434:
	s_cmp_eq_u32 s0, 29
	s_cbranch_scc0 .LBB95_1436
; %bb.1435:
	s_wait_loadcnt 0x0
	global_load_b64 v[12:13], v[10:11], off
	s_mov_b32 s1, 0
	s_mov_b32 s12, -1
	s_mov_b32 s13, 0
	s_wait_loadcnt 0x0
	v_clz_i32_u32_e32 v5, v13
	s_delay_alu instid0(VALU_DEP_1) | instskip(NEXT) | instid1(VALU_DEP_1)
	v_min_u32_e32 v5, 32, v5
	v_lshlrev_b64_e32 v[12:13], v5, v[12:13]
	v_sub_nc_u32_e32 v5, 32, v5
	s_delay_alu instid0(VALU_DEP_2) | instskip(NEXT) | instid1(VALU_DEP_1)
	v_min_u32_e32 v7, 1, v12
	v_or_b32_e32 v7, v13, v7
	s_delay_alu instid0(VALU_DEP_1) | instskip(NEXT) | instid1(VALU_DEP_1)
	v_cvt_f32_u32_e32 v7, v7
	v_ldexp_f32 v5, v7, v5
	s_delay_alu instid0(VALU_DEP_1) | instskip(NEXT) | instid1(VALU_DEP_1)
	v_bfe_u32 v7, v5, 16, 1
	v_add3_u32 v5, v5, v7, 0x7fff
	s_delay_alu instid0(VALU_DEP_1)
	v_lshrrev_b32_e32 v12, 16, v5
	s_branch .LBB95_1438
.LBB95_1436:
	s_mov_b32 s1, -1
                                        ; implicit-def: $vgpr12
.LBB95_1437:
	s_mov_b32 s13, 0
.LBB95_1438:
	s_delay_alu instid0(SALU_CYCLE_1)
	s_and_b32 vcc_lo, exec_lo, s13
	s_cbranch_vccz .LBB95_1456
; %bb.1439:
	s_cmp_lt_i32 s0, 27
	s_cbranch_scc1 .LBB95_1442
; %bb.1440:
	s_cmp_gt_i32 s0, 27
	s_cbranch_scc0 .LBB95_1443
; %bb.1441:
	global_load_b32 v5, v[10:11], off
	s_mov_b32 s12, 0
	s_wait_loadcnt 0x0
	v_cvt_f32_u32_e32 v5, v5
	s_delay_alu instid0(VALU_DEP_1) | instskip(NEXT) | instid1(VALU_DEP_1)
	v_bfe_u32 v7, v5, 16, 1
	v_add3_u32 v5, v5, v7, 0x7fff
	s_wait_xcnt 0x1
	s_delay_alu instid0(VALU_DEP_1)
	v_lshrrev_b32_e32 v12, 16, v5
	s_branch .LBB95_1444
.LBB95_1442:
	s_mov_b32 s12, -1
                                        ; implicit-def: $vgpr12
	s_branch .LBB95_1447
.LBB95_1443:
	s_mov_b32 s12, -1
                                        ; implicit-def: $vgpr12
.LBB95_1444:
	s_delay_alu instid0(SALU_CYCLE_1)
	s_and_not1_b32 vcc_lo, exec_lo, s12
	s_cbranch_vccnz .LBB95_1446
; %bb.1445:
	global_load_u16 v5, v[10:11], off
	s_wait_loadcnt 0x0
	v_cvt_f32_u32_e32 v5, v5
	s_delay_alu instid0(VALU_DEP_1) | instskip(NEXT) | instid1(VALU_DEP_1)
	v_bfe_u32 v7, v5, 16, 1
	v_add3_u32 v5, v5, v7, 0x7fff
	s_wait_xcnt 0x1
	s_delay_alu instid0(VALU_DEP_1)
	v_lshrrev_b32_e32 v12, 16, v5
.LBB95_1446:
	s_mov_b32 s12, 0
.LBB95_1447:
	s_delay_alu instid0(SALU_CYCLE_1)
	s_and_not1_b32 vcc_lo, exec_lo, s12
	s_cbranch_vccnz .LBB95_1455
; %bb.1448:
	global_load_u8 v5, v[10:11], off
	s_mov_b32 s12, 0
	s_mov_b32 s13, exec_lo
	s_wait_loadcnt 0x0
	v_cmpx_lt_i16_e32 0x7f, v5
	s_xor_b32 s13, exec_lo, s13
	s_cbranch_execz .LBB95_1469
; %bb.1449:
	s_mov_b32 s12, -1
	s_mov_b32 s14, exec_lo
	v_cmpx_eq_u16_e32 0x80, v5
; %bb.1450:
	s_xor_b32 s12, exec_lo, -1
; %bb.1451:
	s_or_b32 exec_lo, exec_lo, s14
	s_delay_alu instid0(SALU_CYCLE_1)
	s_and_b32 s12, s12, exec_lo
	s_or_saveexec_b32 s13, s13
	v_mov_b32_e32 v7, 0x7f800001
	s_xor_b32 exec_lo, exec_lo, s13
	s_cbranch_execnz .LBB95_1470
.LBB95_1452:
	s_or_b32 exec_lo, exec_lo, s13
	s_and_saveexec_b32 s13, s12
	s_cbranch_execz .LBB95_1454
.LBB95_1453:
	v_and_b32_e32 v7, 0xffff, v5
	s_delay_alu instid0(VALU_DEP_1) | instskip(SKIP_1) | instid1(VALU_DEP_2)
	v_and_b32_e32 v9, 7, v7
	v_bfe_u32 v14, v7, 3, 4
	v_clz_i32_u32_e32 v12, v9
	s_delay_alu instid0(VALU_DEP_2) | instskip(NEXT) | instid1(VALU_DEP_2)
	v_cmp_eq_u32_e32 vcc_lo, 0, v14
	v_min_u32_e32 v12, 32, v12
	s_delay_alu instid0(VALU_DEP_1) | instskip(NEXT) | instid1(VALU_DEP_1)
	v_subrev_nc_u32_e32 v13, 28, v12
	v_dual_lshlrev_b32 v7, v13, v7 :: v_dual_sub_nc_u32 v12, 29, v12
	s_delay_alu instid0(VALU_DEP_1) | instskip(NEXT) | instid1(VALU_DEP_1)
	v_dual_lshlrev_b32 v5, 24, v5 :: v_dual_bitop2_b32 v7, 7, v7 bitop3:0x40
	v_dual_cndmask_b32 v12, v14, v12 :: v_dual_cndmask_b32 v7, v9, v7
	s_delay_alu instid0(VALU_DEP_2) | instskip(NEXT) | instid1(VALU_DEP_2)
	v_and_b32_e32 v5, 0x80000000, v5
	v_lshl_add_u32 v9, v12, 23, 0x3b800000
	s_delay_alu instid0(VALU_DEP_3) | instskip(NEXT) | instid1(VALU_DEP_1)
	v_lshlrev_b32_e32 v7, 20, v7
	v_or3_b32 v7, v5, v9, v7
.LBB95_1454:
	s_or_b32 exec_lo, exec_lo, s13
	s_delay_alu instid0(VALU_DEP_1) | instskip(SKIP_1) | instid1(VALU_DEP_2)
	v_bfe_u32 v5, v7, 16, 1
	v_cmp_o_f32_e32 vcc_lo, v7, v7
	v_add3_u32 v5, v7, v5, 0x7fff
	s_delay_alu instid0(VALU_DEP_1) | instskip(NEXT) | instid1(VALU_DEP_1)
	v_lshrrev_b32_e32 v5, 16, v5
	v_cndmask_b32_e32 v12, 0x7fc0, v5, vcc_lo
.LBB95_1455:
	s_mov_b32 s12, -1
.LBB95_1456:
	s_mov_b32 s13, 0
.LBB95_1457:
	s_delay_alu instid0(SALU_CYCLE_1)
	s_and_b32 vcc_lo, exec_lo, s13
	s_cbranch_vccz .LBB95_1490
; %bb.1458:
	s_cmp_gt_i32 s0, 22
	s_cbranch_scc0 .LBB95_1468
; %bb.1459:
	s_cmp_lt_i32 s0, 24
	s_cbranch_scc1 .LBB95_1471
; %bb.1460:
	s_cmp_gt_i32 s0, 24
	s_cbranch_scc0 .LBB95_1472
; %bb.1461:
	global_load_u8 v5, v[10:11], off
	s_mov_b32 s12, exec_lo
	s_wait_loadcnt 0x0
	v_cmpx_lt_i16_e32 0x7f, v5
	s_xor_b32 s12, exec_lo, s12
	s_cbranch_execz .LBB95_1484
; %bb.1462:
	s_mov_b32 s11, -1
	s_mov_b32 s13, exec_lo
	v_cmpx_eq_u16_e32 0x80, v5
; %bb.1463:
	s_xor_b32 s11, exec_lo, -1
; %bb.1464:
	s_or_b32 exec_lo, exec_lo, s13
	s_delay_alu instid0(SALU_CYCLE_1)
	s_and_b32 s11, s11, exec_lo
	s_or_saveexec_b32 s12, s12
	v_mov_b32_e32 v7, 0x7f800001
	s_xor_b32 exec_lo, exec_lo, s12
	s_cbranch_execnz .LBB95_1485
.LBB95_1465:
	s_or_b32 exec_lo, exec_lo, s12
	s_and_saveexec_b32 s12, s11
	s_cbranch_execz .LBB95_1467
.LBB95_1466:
	v_and_b32_e32 v7, 0xffff, v5
	s_delay_alu instid0(VALU_DEP_1) | instskip(SKIP_1) | instid1(VALU_DEP_2)
	v_and_b32_e32 v9, 3, v7
	v_bfe_u32 v14, v7, 2, 5
	v_clz_i32_u32_e32 v12, v9
	s_delay_alu instid0(VALU_DEP_2) | instskip(NEXT) | instid1(VALU_DEP_2)
	v_cmp_eq_u32_e32 vcc_lo, 0, v14
	v_min_u32_e32 v12, 32, v12
	s_delay_alu instid0(VALU_DEP_1) | instskip(NEXT) | instid1(VALU_DEP_1)
	v_subrev_nc_u32_e32 v13, 29, v12
	v_dual_lshlrev_b32 v7, v13, v7 :: v_dual_sub_nc_u32 v12, 30, v12
	s_delay_alu instid0(VALU_DEP_1) | instskip(NEXT) | instid1(VALU_DEP_1)
	v_dual_lshlrev_b32 v5, 24, v5 :: v_dual_bitop2_b32 v7, 3, v7 bitop3:0x40
	v_dual_cndmask_b32 v12, v14, v12 :: v_dual_cndmask_b32 v7, v9, v7
	s_delay_alu instid0(VALU_DEP_2) | instskip(NEXT) | instid1(VALU_DEP_2)
	v_and_b32_e32 v5, 0x80000000, v5
	v_lshl_add_u32 v9, v12, 23, 0x37800000
	s_delay_alu instid0(VALU_DEP_3) | instskip(NEXT) | instid1(VALU_DEP_1)
	v_lshlrev_b32_e32 v7, 21, v7
	v_or3_b32 v7, v5, v9, v7
.LBB95_1467:
	s_or_b32 exec_lo, exec_lo, s12
	s_delay_alu instid0(VALU_DEP_1) | instskip(SKIP_2) | instid1(VALU_DEP_2)
	v_bfe_u32 v5, v7, 16, 1
	v_cmp_o_f32_e32 vcc_lo, v7, v7
	s_mov_b32 s11, 0
	v_add3_u32 v5, v7, v5, 0x7fff
	s_delay_alu instid0(VALU_DEP_1) | instskip(NEXT) | instid1(VALU_DEP_1)
	v_lshrrev_b32_e32 v5, 16, v5
	v_cndmask_b32_e32 v12, 0x7fc0, v5, vcc_lo
	s_branch .LBB95_1473
.LBB95_1468:
	s_mov_b32 s11, -1
                                        ; implicit-def: $vgpr12
	s_branch .LBB95_1479
.LBB95_1469:
	s_or_saveexec_b32 s13, s13
	v_mov_b32_e32 v7, 0x7f800001
	s_xor_b32 exec_lo, exec_lo, s13
	s_cbranch_execz .LBB95_1452
.LBB95_1470:
	v_cmp_ne_u16_e32 vcc_lo, 0, v5
	v_mov_b32_e32 v7, 0
	s_and_not1_b32 s12, s12, exec_lo
	s_and_b32 s14, vcc_lo, exec_lo
	s_delay_alu instid0(SALU_CYCLE_1)
	s_or_b32 s12, s12, s14
	s_or_b32 exec_lo, exec_lo, s13
	s_and_saveexec_b32 s13, s12
	s_cbranch_execnz .LBB95_1453
	s_branch .LBB95_1454
.LBB95_1471:
	s_mov_b32 s11, -1
                                        ; implicit-def: $vgpr12
	s_branch .LBB95_1476
.LBB95_1472:
	s_mov_b32 s11, -1
                                        ; implicit-def: $vgpr12
.LBB95_1473:
	s_delay_alu instid0(SALU_CYCLE_1)
	s_and_b32 vcc_lo, exec_lo, s11
	s_cbranch_vccz .LBB95_1475
; %bb.1474:
	global_load_u8 v5, v[10:11], off
	s_wait_loadcnt 0x0
	v_lshlrev_b32_e32 v5, 24, v5
	s_delay_alu instid0(VALU_DEP_1) | instskip(NEXT) | instid1(VALU_DEP_1)
	v_and_b32_e32 v7, 0x7f000000, v5
	v_clz_i32_u32_e32 v9, v7
	s_wait_xcnt 0x1
	v_add_nc_u32_e32 v13, 0x1000000, v7
	v_cmp_ne_u32_e32 vcc_lo, 0, v7
	s_delay_alu instid0(VALU_DEP_3) | instskip(NEXT) | instid1(VALU_DEP_1)
	v_min_u32_e32 v9, 32, v9
	v_sub_nc_u32_e64 v9, v9, 4 clamp
	s_delay_alu instid0(VALU_DEP_1) | instskip(NEXT) | instid1(VALU_DEP_1)
	v_dual_lshlrev_b32 v12, v9, v7 :: v_dual_lshlrev_b32 v9, 23, v9
	v_lshrrev_b32_e32 v12, 4, v12
	s_delay_alu instid0(VALU_DEP_1) | instskip(SKIP_1) | instid1(VALU_DEP_2)
	v_sub_nc_u32_e32 v9, v12, v9
	v_ashrrev_i32_e32 v12, 8, v13
	v_add_nc_u32_e32 v9, 0x3c000000, v9
	s_delay_alu instid0(VALU_DEP_1) | instskip(NEXT) | instid1(VALU_DEP_1)
	v_and_or_b32 v9, 0x7f800000, v12, v9
	v_cndmask_b32_e32 v7, 0, v9, vcc_lo
	s_delay_alu instid0(VALU_DEP_1) | instskip(SKIP_1) | instid1(VALU_DEP_2)
	v_and_or_b32 v5, 0x80000000, v5, v7
	v_bfe_u32 v7, v7, 16, 1
	v_cmp_o_f32_e32 vcc_lo, v5, v5
	s_delay_alu instid0(VALU_DEP_2) | instskip(NEXT) | instid1(VALU_DEP_1)
	v_add3_u32 v7, v5, v7, 0x7fff
	v_lshrrev_b32_e32 v7, 16, v7
	s_delay_alu instid0(VALU_DEP_1)
	v_cndmask_b32_e32 v12, 0x7fc0, v7, vcc_lo
.LBB95_1475:
	s_mov_b32 s11, 0
.LBB95_1476:
	s_delay_alu instid0(SALU_CYCLE_1)
	s_and_not1_b32 vcc_lo, exec_lo, s11
	s_cbranch_vccnz .LBB95_1478
; %bb.1477:
	global_load_u8 v5, v[10:11], off
	s_wait_loadcnt 0x0
	v_lshlrev_b32_e32 v7, 25, v5
	v_lshlrev_b16 v5, 8, v5
	s_wait_xcnt 0x1
	s_delay_alu instid0(VALU_DEP_1) | instskip(SKIP_1) | instid1(VALU_DEP_2)
	v_and_or_b32 v12, 0x7f00, v5, 0.5
	v_bfe_i32 v5, v5, 0, 16
	v_dual_add_f32 v12, -0.5, v12 :: v_dual_lshrrev_b32 v9, 4, v7
	v_cmp_gt_u32_e32 vcc_lo, 0x8000000, v7
	s_delay_alu instid0(VALU_DEP_2) | instskip(NEXT) | instid1(VALU_DEP_1)
	v_or_b32_e32 v9, 0x70000000, v9
	v_mul_f32_e32 v9, 0x7800000, v9
	s_delay_alu instid0(VALU_DEP_1) | instskip(NEXT) | instid1(VALU_DEP_1)
	v_cndmask_b32_e32 v7, v9, v12, vcc_lo
	v_and_or_b32 v5, 0x80000000, v5, v7
	v_bfe_u32 v7, v7, 16, 1
	s_delay_alu instid0(VALU_DEP_2) | instskip(NEXT) | instid1(VALU_DEP_2)
	v_cmp_o_f32_e32 vcc_lo, v5, v5
	v_add3_u32 v7, v5, v7, 0x7fff
	s_delay_alu instid0(VALU_DEP_1) | instskip(NEXT) | instid1(VALU_DEP_1)
	v_lshrrev_b32_e32 v7, 16, v7
	v_cndmask_b32_e32 v12, 0x7fc0, v7, vcc_lo
.LBB95_1478:
	s_mov_b32 s11, 0
	s_mov_b32 s12, -1
.LBB95_1479:
	s_and_not1_b32 vcc_lo, exec_lo, s11
	s_mov_b32 s11, 0
	s_cbranch_vccnz .LBB95_1490
; %bb.1480:
	s_cmp_gt_i32 s0, 14
	s_cbranch_scc0 .LBB95_1483
; %bb.1481:
	s_cmp_eq_u32 s0, 15
	s_cbranch_scc0 .LBB95_1486
; %bb.1482:
	s_wait_loadcnt 0x0
	global_load_u16 v12, v[10:11], off
	s_mov_b32 s1, 0
	s_mov_b32 s12, -1
	s_branch .LBB95_1488
.LBB95_1483:
	s_mov_b32 s11, -1
	s_branch .LBB95_1487
.LBB95_1484:
	s_or_saveexec_b32 s12, s12
	v_mov_b32_e32 v7, 0x7f800001
	s_xor_b32 exec_lo, exec_lo, s12
	s_cbranch_execz .LBB95_1465
.LBB95_1485:
	v_cmp_ne_u16_e32 vcc_lo, 0, v5
	v_mov_b32_e32 v7, 0
	s_and_not1_b32 s11, s11, exec_lo
	s_and_b32 s13, vcc_lo, exec_lo
	s_delay_alu instid0(SALU_CYCLE_1)
	s_or_b32 s11, s11, s13
	s_or_b32 exec_lo, exec_lo, s12
	s_and_saveexec_b32 s12, s11
	s_cbranch_execnz .LBB95_1466
	s_branch .LBB95_1467
.LBB95_1486:
	s_mov_b32 s1, -1
.LBB95_1487:
                                        ; implicit-def: $vgpr12
.LBB95_1488:
	s_and_b32 vcc_lo, exec_lo, s11
	s_mov_b32 s11, 0
	s_cbranch_vccz .LBB95_1490
; %bb.1489:
	s_cmp_lg_u32 s0, 11
	s_mov_b32 s11, -1
	s_cselect_b32 s1, -1, 0
.LBB95_1490:
	s_delay_alu instid0(SALU_CYCLE_1)
	s_and_b32 vcc_lo, exec_lo, s1
	s_cbranch_vccnz .LBB95_1553
; %bb.1491:
	s_and_not1_b32 vcc_lo, exec_lo, s11
	s_cbranch_vccnz .LBB95_1493
.LBB95_1492:
	global_load_u8 v5, v[10:11], off
	s_mov_b32 s12, -1
	s_wait_loadcnt 0x0
	v_cmp_ne_u16_e32 vcc_lo, 0, v5
	v_cndmask_b32_e64 v5, 0, 1.0, vcc_lo
	s_wait_xcnt 0x1
	s_delay_alu instid0(VALU_DEP_1)
	v_lshrrev_b32_e32 v12, 16, v5
.LBB95_1493:
	s_branch .LBB95_1420
.LBB95_1494:
	s_cmp_lt_i32 s0, 5
	s_cbranch_scc1 .LBB95_1499
; %bb.1495:
	s_cmp_lt_i32 s0, 8
	s_cbranch_scc1 .LBB95_1500
; %bb.1496:
	;; [unrolled: 3-line block ×3, first 2 shown]
	s_cmp_gt_i32 s0, 9
	s_cbranch_scc0 .LBB95_1502
; %bb.1498:
	s_wait_loadcnt 0x0
	global_load_b64 v[12:13], v[10:11], off
	s_mov_b32 s1, 0
	s_wait_loadcnt 0x0
	v_cvt_f32_f64_e32 v5, v[12:13]
	s_delay_alu instid0(VALU_DEP_1) | instskip(SKIP_1) | instid1(VALU_DEP_2)
	v_bfe_u32 v7, v5, 16, 1
	v_cmp_o_f32_e32 vcc_lo, v5, v5
	v_add3_u32 v7, v5, v7, 0x7fff
	s_delay_alu instid0(VALU_DEP_1) | instskip(NEXT) | instid1(VALU_DEP_1)
	v_lshrrev_b32_e32 v7, 16, v7
	v_cndmask_b32_e32 v12, 0x7fc0, v7, vcc_lo
	s_branch .LBB95_1503
.LBB95_1499:
	s_mov_b32 s1, -1
                                        ; implicit-def: $vgpr12
	s_branch .LBB95_1521
.LBB95_1500:
	s_mov_b32 s1, -1
                                        ; implicit-def: $vgpr12
	s_branch .LBB95_1509
.LBB95_1501:
	s_mov_b32 s1, -1
                                        ; implicit-def: $vgpr12
	s_branch .LBB95_1506
.LBB95_1502:
	s_mov_b32 s1, -1
                                        ; implicit-def: $vgpr12
.LBB95_1503:
	s_delay_alu instid0(SALU_CYCLE_1)
	s_and_not1_b32 vcc_lo, exec_lo, s1
	s_cbranch_vccnz .LBB95_1505
; %bb.1504:
	global_load_b32 v5, v[10:11], off
	s_wait_loadcnt 0x0
	v_bfe_u32 v7, v5, 16, 1
	v_cmp_o_f32_e32 vcc_lo, v5, v5
	s_delay_alu instid0(VALU_DEP_2) | instskip(NEXT) | instid1(VALU_DEP_1)
	v_add3_u32 v7, v5, v7, 0x7fff
	v_lshrrev_b32_e32 v7, 16, v7
	s_wait_xcnt 0x1
	s_delay_alu instid0(VALU_DEP_1)
	v_cndmask_b32_e32 v12, 0x7fc0, v7, vcc_lo
.LBB95_1505:
	s_mov_b32 s1, 0
.LBB95_1506:
	s_delay_alu instid0(SALU_CYCLE_1)
	s_and_not1_b32 vcc_lo, exec_lo, s1
	s_cbranch_vccnz .LBB95_1508
; %bb.1507:
	global_load_b32 v5, v[10:11], off
	s_wait_loadcnt 0x0
	v_cvt_f32_f16_e32 v7, v5
	v_cmp_o_f16_e32 vcc_lo, v5, v5
	s_delay_alu instid0(VALU_DEP_2) | instskip(NEXT) | instid1(VALU_DEP_1)
	v_bfe_u32 v9, v7, 16, 1
	v_add3_u32 v7, v7, v9, 0x7fff
	s_delay_alu instid0(VALU_DEP_1) | instskip(SKIP_1) | instid1(VALU_DEP_1)
	v_lshrrev_b32_e32 v7, 16, v7
	s_wait_xcnt 0x1
	v_cndmask_b32_e32 v12, 0x7fc0, v7, vcc_lo
.LBB95_1508:
	s_mov_b32 s1, 0
.LBB95_1509:
	s_delay_alu instid0(SALU_CYCLE_1)
	s_and_not1_b32 vcc_lo, exec_lo, s1
	s_cbranch_vccnz .LBB95_1520
; %bb.1510:
	s_cmp_lt_i32 s0, 6
	s_cbranch_scc1 .LBB95_1513
; %bb.1511:
	s_cmp_gt_i32 s0, 6
	s_cbranch_scc0 .LBB95_1514
; %bb.1512:
	s_wait_loadcnt 0x0
	global_load_b64 v[12:13], v[10:11], off
	s_mov_b32 s1, 0
	s_wait_loadcnt 0x0
	v_cvt_f32_f64_e32 v5, v[12:13]
	s_delay_alu instid0(VALU_DEP_1) | instskip(SKIP_1) | instid1(VALU_DEP_2)
	v_bfe_u32 v7, v5, 16, 1
	v_cmp_o_f32_e32 vcc_lo, v5, v5
	v_add3_u32 v7, v5, v7, 0x7fff
	s_delay_alu instid0(VALU_DEP_1) | instskip(NEXT) | instid1(VALU_DEP_1)
	v_lshrrev_b32_e32 v7, 16, v7
	v_cndmask_b32_e32 v12, 0x7fc0, v7, vcc_lo
	s_branch .LBB95_1515
.LBB95_1513:
	s_mov_b32 s1, -1
                                        ; implicit-def: $vgpr12
	s_branch .LBB95_1518
.LBB95_1514:
	s_mov_b32 s1, -1
                                        ; implicit-def: $vgpr12
.LBB95_1515:
	s_delay_alu instid0(SALU_CYCLE_1)
	s_and_not1_b32 vcc_lo, exec_lo, s1
	s_cbranch_vccnz .LBB95_1517
; %bb.1516:
	global_load_b32 v5, v[10:11], off
	s_wait_loadcnt 0x0
	v_bfe_u32 v7, v5, 16, 1
	v_cmp_o_f32_e32 vcc_lo, v5, v5
	s_delay_alu instid0(VALU_DEP_2) | instskip(NEXT) | instid1(VALU_DEP_1)
	v_add3_u32 v7, v5, v7, 0x7fff
	v_lshrrev_b32_e32 v7, 16, v7
	s_wait_xcnt 0x1
	s_delay_alu instid0(VALU_DEP_1)
	v_cndmask_b32_e32 v12, 0x7fc0, v7, vcc_lo
.LBB95_1517:
	s_mov_b32 s1, 0
.LBB95_1518:
	s_delay_alu instid0(SALU_CYCLE_1)
	s_and_not1_b32 vcc_lo, exec_lo, s1
	s_cbranch_vccnz .LBB95_1520
; %bb.1519:
	global_load_u16 v5, v[10:11], off
	s_wait_loadcnt 0x0
	v_cvt_f32_f16_e32 v7, v5
	v_cmp_o_f16_e32 vcc_lo, v5, v5
	s_delay_alu instid0(VALU_DEP_2) | instskip(NEXT) | instid1(VALU_DEP_1)
	v_bfe_u32 v9, v7, 16, 1
	v_add3_u32 v7, v7, v9, 0x7fff
	s_delay_alu instid0(VALU_DEP_1) | instskip(SKIP_1) | instid1(VALU_DEP_1)
	v_lshrrev_b32_e32 v7, 16, v7
	s_wait_xcnt 0x1
	v_cndmask_b32_e32 v12, 0x7fc0, v7, vcc_lo
.LBB95_1520:
	s_mov_b32 s1, 0
.LBB95_1521:
	s_delay_alu instid0(SALU_CYCLE_1)
	s_and_not1_b32 vcc_lo, exec_lo, s1
	s_cbranch_vccnz .LBB95_1541
; %bb.1522:
	s_cmp_lt_i32 s0, 2
	s_cbranch_scc1 .LBB95_1526
; %bb.1523:
	s_cmp_lt_i32 s0, 3
	s_cbranch_scc1 .LBB95_1527
; %bb.1524:
	s_cmp_gt_i32 s0, 3
	s_cbranch_scc0 .LBB95_1528
; %bb.1525:
	s_wait_loadcnt 0x0
	global_load_b64 v[12:13], v[10:11], off
	s_mov_b32 s1, 0
	s_wait_loadcnt 0x0
	v_xor_b32_e32 v5, v12, v13
	v_cls_i32_e32 v7, v13
	s_delay_alu instid0(VALU_DEP_2) | instskip(NEXT) | instid1(VALU_DEP_1)
	v_ashrrev_i32_e32 v5, 31, v5
	v_add_nc_u32_e32 v5, 32, v5
	s_delay_alu instid0(VALU_DEP_1) | instskip(NEXT) | instid1(VALU_DEP_1)
	v_add_min_u32_e64 v5, v7, -1, v5
	v_lshlrev_b64_e32 v[12:13], v5, v[12:13]
	v_sub_nc_u32_e32 v5, 32, v5
	s_delay_alu instid0(VALU_DEP_2) | instskip(NEXT) | instid1(VALU_DEP_1)
	v_min_u32_e32 v7, 1, v12
	v_or_b32_e32 v7, v13, v7
	s_delay_alu instid0(VALU_DEP_1) | instskip(NEXT) | instid1(VALU_DEP_1)
	v_cvt_f32_i32_e32 v7, v7
	v_ldexp_f32 v5, v7, v5
	s_delay_alu instid0(VALU_DEP_1) | instskip(NEXT) | instid1(VALU_DEP_1)
	v_bfe_u32 v7, v5, 16, 1
	v_add3_u32 v5, v5, v7, 0x7fff
	s_delay_alu instid0(VALU_DEP_1)
	v_lshrrev_b32_e32 v12, 16, v5
	s_branch .LBB95_1529
.LBB95_1526:
	s_mov_b32 s1, -1
                                        ; implicit-def: $vgpr12
	s_branch .LBB95_1535
.LBB95_1527:
	s_mov_b32 s1, -1
                                        ; implicit-def: $vgpr12
	s_branch .LBB95_1532
.LBB95_1528:
	s_mov_b32 s1, -1
                                        ; implicit-def: $vgpr12
.LBB95_1529:
	s_delay_alu instid0(SALU_CYCLE_1)
	s_and_not1_b32 vcc_lo, exec_lo, s1
	s_cbranch_vccnz .LBB95_1531
; %bb.1530:
	global_load_b32 v5, v[10:11], off
	s_wait_loadcnt 0x0
	v_cvt_f32_i32_e32 v5, v5
	s_delay_alu instid0(VALU_DEP_1) | instskip(NEXT) | instid1(VALU_DEP_1)
	v_bfe_u32 v7, v5, 16, 1
	v_add3_u32 v5, v5, v7, 0x7fff
	s_wait_xcnt 0x1
	s_delay_alu instid0(VALU_DEP_1)
	v_lshrrev_b32_e32 v12, 16, v5
.LBB95_1531:
	s_mov_b32 s1, 0
.LBB95_1532:
	s_delay_alu instid0(SALU_CYCLE_1)
	s_and_not1_b32 vcc_lo, exec_lo, s1
	s_cbranch_vccnz .LBB95_1534
; %bb.1533:
	global_load_i16 v5, v[10:11], off
	s_wait_loadcnt 0x0
	v_cvt_f32_i32_e32 v5, v5
	s_delay_alu instid0(VALU_DEP_1) | instskip(NEXT) | instid1(VALU_DEP_1)
	v_bfe_u32 v7, v5, 16, 1
	v_add3_u32 v5, v5, v7, 0x7fff
	s_wait_xcnt 0x1
	s_delay_alu instid0(VALU_DEP_1)
	v_lshrrev_b32_e32 v12, 16, v5
.LBB95_1534:
	s_mov_b32 s1, 0
.LBB95_1535:
	s_delay_alu instid0(SALU_CYCLE_1)
	s_and_not1_b32 vcc_lo, exec_lo, s1
	s_cbranch_vccnz .LBB95_1541
; %bb.1536:
	s_cmp_gt_i32 s0, 0
	s_mov_b32 s1, 0
	s_cbranch_scc0 .LBB95_1538
; %bb.1537:
	global_load_i8 v5, v[10:11], off
	s_wait_loadcnt 0x0
	v_cvt_f32_i32_e32 v5, v5
	s_delay_alu instid0(VALU_DEP_1) | instskip(NEXT) | instid1(VALU_DEP_1)
	v_bfe_u32 v7, v5, 16, 1
	v_add3_u32 v5, v5, v7, 0x7fff
	s_wait_xcnt 0x1
	s_delay_alu instid0(VALU_DEP_1)
	v_lshrrev_b32_e32 v12, 16, v5
	s_branch .LBB95_1539
.LBB95_1538:
	s_mov_b32 s1, -1
                                        ; implicit-def: $vgpr12
.LBB95_1539:
	s_delay_alu instid0(SALU_CYCLE_1)
	s_and_not1_b32 vcc_lo, exec_lo, s1
	s_cbranch_vccnz .LBB95_1541
; %bb.1540:
	global_load_u8 v5, v[10:11], off
	s_wait_loadcnt 0x0
	v_cvt_f32_ubyte0_e32 v5, v5
	s_delay_alu instid0(VALU_DEP_1) | instskip(NEXT) | instid1(VALU_DEP_1)
	v_bfe_u32 v7, v5, 16, 1
	v_add3_u32 v5, v5, v7, 0x7fff
	s_wait_xcnt 0x1
	s_delay_alu instid0(VALU_DEP_1)
	v_lshrrev_b32_e32 v12, 16, v5
.LBB95_1541:
.LBB95_1542:
	v_mov_b32_e32 v9, 0
	s_cmp_lt_i32 s0, 11
	s_delay_alu instid0(VALU_DEP_1)
	v_add_nc_u64_e32 v[8:9], s[6:7], v[8:9]
	s_cbranch_scc1 .LBB95_1549
; %bb.1543:
	s_cmp_gt_i32 s0, 25
	s_mov_b32 s6, 0
	s_cbranch_scc0 .LBB95_1550
; %bb.1544:
	s_cmp_gt_i32 s0, 28
	s_cbranch_scc0 .LBB95_1551
; %bb.1545:
	s_cmp_gt_i32 s0, 43
	;; [unrolled: 3-line block ×3, first 2 shown]
	s_cbranch_scc0 .LBB95_1554
; %bb.1547:
	s_cmp_eq_u32 s0, 46
	s_mov_b32 s11, 0
	s_cbranch_scc0 .LBB95_1555
; %bb.1548:
	global_load_b32 v10, v[8:9], off
	s_mov_b32 s1, 0
	s_mov_b32 s7, -1
	s_branch .LBB95_1557
.LBB95_1549:
	s_mov_b32 s1, -1
	s_mov_b32 s7, 0
                                        ; implicit-def: $vgpr10
	s_branch .LBB95_1623
.LBB95_1550:
	s_mov_b32 s11, -1
	s_mov_b32 s7, 0
	s_mov_b32 s1, 0
                                        ; implicit-def: $vgpr10
	s_branch .LBB95_1586
.LBB95_1551:
	s_mov_b32 s11, -1
	s_mov_b32 s7, 0
	s_mov_b32 s1, 0
                                        ; implicit-def: $vgpr10
	s_branch .LBB95_1567
.LBB95_1552:
	s_mov_b32 s11, -1
	s_mov_b32 s7, 0
	s_mov_b32 s1, 0
                                        ; implicit-def: $vgpr10
	s_branch .LBB95_1562
.LBB95_1553:
	s_or_b32 s10, s10, exec_lo
	s_trap 2
	s_cbranch_execz .LBB95_1492
	s_branch .LBB95_1493
.LBB95_1554:
	s_mov_b32 s11, -1
	s_mov_b32 s7, 0
	s_mov_b32 s1, 0
	s_branch .LBB95_1556
.LBB95_1555:
	s_mov_b32 s1, -1
	s_mov_b32 s7, 0
.LBB95_1556:
                                        ; implicit-def: $vgpr10
.LBB95_1557:
	s_and_b32 vcc_lo, exec_lo, s11
	s_cbranch_vccz .LBB95_1561
; %bb.1558:
	s_cmp_eq_u32 s0, 44
	s_cbranch_scc0 .LBB95_1560
; %bb.1559:
	global_load_u8 v5, v[8:9], off
	s_mov_b32 s1, 0
	s_mov_b32 s7, -1
	s_wait_loadcnt 0x0
	v_lshlrev_b32_e32 v7, 23, v5
	v_cmp_ne_u32_e32 vcc_lo, 0xff, v5
	s_delay_alu instid0(VALU_DEP_2) | instskip(SKIP_1) | instid1(VALU_DEP_2)
	v_cndmask_b32_e32 v7, 0x7f800001, v7, vcc_lo
	v_cmp_ne_u32_e32 vcc_lo, 0, v5
	v_cndmask_b32_e32 v5, 0x400000, v7, vcc_lo
	s_delay_alu instid0(VALU_DEP_1) | instskip(SKIP_1) | instid1(VALU_DEP_2)
	v_add_nc_u32_e32 v7, 0x7fff, v5
	v_cmp_o_f32_e32 vcc_lo, v5, v5
	v_lshrrev_b32_e32 v7, 16, v7
	s_wait_xcnt 0x1
	s_delay_alu instid0(VALU_DEP_1)
	v_cndmask_b32_e32 v10, 0x7fc0, v7, vcc_lo
	s_branch .LBB95_1561
.LBB95_1560:
	s_mov_b32 s1, -1
                                        ; implicit-def: $vgpr10
.LBB95_1561:
	s_mov_b32 s11, 0
.LBB95_1562:
	s_delay_alu instid0(SALU_CYCLE_1)
	s_and_b32 vcc_lo, exec_lo, s11
	s_cbranch_vccz .LBB95_1566
; %bb.1563:
	s_cmp_eq_u32 s0, 29
	s_cbranch_scc0 .LBB95_1565
; %bb.1564:
	s_wait_loadcnt 0x0
	global_load_b64 v[10:11], v[8:9], off
	s_mov_b32 s1, 0
	s_mov_b32 s7, -1
	s_mov_b32 s11, 0
	s_wait_loadcnt 0x0
	v_clz_i32_u32_e32 v5, v11
	s_delay_alu instid0(VALU_DEP_1) | instskip(NEXT) | instid1(VALU_DEP_1)
	v_min_u32_e32 v5, 32, v5
	v_lshlrev_b64_e32 v[10:11], v5, v[10:11]
	v_sub_nc_u32_e32 v5, 32, v5
	s_delay_alu instid0(VALU_DEP_2) | instskip(NEXT) | instid1(VALU_DEP_1)
	v_min_u32_e32 v7, 1, v10
	v_or_b32_e32 v7, v11, v7
	s_delay_alu instid0(VALU_DEP_1) | instskip(NEXT) | instid1(VALU_DEP_1)
	v_cvt_f32_u32_e32 v7, v7
	v_ldexp_f32 v5, v7, v5
	s_delay_alu instid0(VALU_DEP_1) | instskip(NEXT) | instid1(VALU_DEP_1)
	v_bfe_u32 v7, v5, 16, 1
	v_add3_u32 v5, v5, v7, 0x7fff
	s_delay_alu instid0(VALU_DEP_1)
	v_lshrrev_b32_e32 v10, 16, v5
	s_branch .LBB95_1567
.LBB95_1565:
	s_mov_b32 s1, -1
                                        ; implicit-def: $vgpr10
.LBB95_1566:
	s_mov_b32 s11, 0
.LBB95_1567:
	s_delay_alu instid0(SALU_CYCLE_1)
	s_and_b32 vcc_lo, exec_lo, s11
	s_cbranch_vccz .LBB95_1585
; %bb.1568:
	s_cmp_lt_i32 s0, 27
	s_cbranch_scc1 .LBB95_1571
; %bb.1569:
	s_cmp_gt_i32 s0, 27
	s_cbranch_scc0 .LBB95_1572
; %bb.1570:
	global_load_b32 v5, v[8:9], off
	s_mov_b32 s7, 0
	s_wait_loadcnt 0x0
	v_cvt_f32_u32_e32 v5, v5
	s_delay_alu instid0(VALU_DEP_1) | instskip(NEXT) | instid1(VALU_DEP_1)
	v_bfe_u32 v7, v5, 16, 1
	v_add3_u32 v5, v5, v7, 0x7fff
	s_wait_xcnt 0x1
	s_delay_alu instid0(VALU_DEP_1)
	v_lshrrev_b32_e32 v10, 16, v5
	s_branch .LBB95_1573
.LBB95_1571:
	s_mov_b32 s7, -1
                                        ; implicit-def: $vgpr10
	s_branch .LBB95_1576
.LBB95_1572:
	s_mov_b32 s7, -1
                                        ; implicit-def: $vgpr10
.LBB95_1573:
	s_delay_alu instid0(SALU_CYCLE_1)
	s_and_not1_b32 vcc_lo, exec_lo, s7
	s_cbranch_vccnz .LBB95_1575
; %bb.1574:
	global_load_u16 v5, v[8:9], off
	s_wait_loadcnt 0x0
	v_cvt_f32_u32_e32 v5, v5
	s_delay_alu instid0(VALU_DEP_1) | instskip(NEXT) | instid1(VALU_DEP_1)
	v_bfe_u32 v7, v5, 16, 1
	v_add3_u32 v5, v5, v7, 0x7fff
	s_wait_xcnt 0x1
	s_delay_alu instid0(VALU_DEP_1)
	v_lshrrev_b32_e32 v10, 16, v5
.LBB95_1575:
	s_mov_b32 s7, 0
.LBB95_1576:
	s_delay_alu instid0(SALU_CYCLE_1)
	s_and_not1_b32 vcc_lo, exec_lo, s7
	s_cbranch_vccnz .LBB95_1584
; %bb.1577:
	global_load_u8 v5, v[8:9], off
	s_mov_b32 s7, 0
	s_mov_b32 s11, exec_lo
	s_wait_loadcnt 0x0
	v_cmpx_lt_i16_e32 0x7f, v5
	s_xor_b32 s11, exec_lo, s11
	s_cbranch_execz .LBB95_1598
; %bb.1578:
	s_mov_b32 s7, -1
	s_mov_b32 s12, exec_lo
	v_cmpx_eq_u16_e32 0x80, v5
; %bb.1579:
	s_xor_b32 s7, exec_lo, -1
; %bb.1580:
	s_or_b32 exec_lo, exec_lo, s12
	s_delay_alu instid0(SALU_CYCLE_1)
	s_and_b32 s7, s7, exec_lo
	s_or_saveexec_b32 s11, s11
	v_mov_b32_e32 v7, 0x7f800001
	s_xor_b32 exec_lo, exec_lo, s11
	s_cbranch_execnz .LBB95_1599
.LBB95_1581:
	s_or_b32 exec_lo, exec_lo, s11
	s_and_saveexec_b32 s11, s7
	s_cbranch_execz .LBB95_1583
.LBB95_1582:
	v_and_b32_e32 v7, 0xffff, v5
	s_delay_alu instid0(VALU_DEP_1) | instskip(SKIP_1) | instid1(VALU_DEP_2)
	v_dual_lshlrev_b32 v5, 24, v5 :: v_dual_bitop2_b32 v10, 7, v7 bitop3:0x40
	v_bfe_u32 v14, v7, 3, 4
	v_and_b32_e32 v5, 0x80000000, v5
	s_delay_alu instid0(VALU_DEP_3) | instskip(NEXT) | instid1(VALU_DEP_3)
	v_clz_i32_u32_e32 v11, v10
	v_cmp_eq_u32_e32 vcc_lo, 0, v14
	s_delay_alu instid0(VALU_DEP_2) | instskip(NEXT) | instid1(VALU_DEP_1)
	v_min_u32_e32 v11, 32, v11
	v_subrev_nc_u32_e32 v13, 28, v11
	v_sub_nc_u32_e32 v11, 29, v11
	s_delay_alu instid0(VALU_DEP_2) | instskip(NEXT) | instid1(VALU_DEP_2)
	v_lshlrev_b32_e32 v7, v13, v7
	v_cndmask_b32_e32 v11, v14, v11, vcc_lo
	s_delay_alu instid0(VALU_DEP_2) | instskip(NEXT) | instid1(VALU_DEP_1)
	v_and_b32_e32 v7, 7, v7
	v_cndmask_b32_e32 v7, v10, v7, vcc_lo
	s_delay_alu instid0(VALU_DEP_3) | instskip(NEXT) | instid1(VALU_DEP_2)
	v_lshl_add_u32 v10, v11, 23, 0x3b800000
	v_lshlrev_b32_e32 v7, 20, v7
	s_delay_alu instid0(VALU_DEP_1)
	v_or3_b32 v7, v5, v10, v7
.LBB95_1583:
	s_or_b32 exec_lo, exec_lo, s11
	s_delay_alu instid0(VALU_DEP_1) | instskip(SKIP_1) | instid1(VALU_DEP_2)
	v_bfe_u32 v5, v7, 16, 1
	v_cmp_o_f32_e32 vcc_lo, v7, v7
	v_add3_u32 v5, v7, v5, 0x7fff
	s_delay_alu instid0(VALU_DEP_1) | instskip(NEXT) | instid1(VALU_DEP_1)
	v_lshrrev_b32_e32 v5, 16, v5
	v_cndmask_b32_e32 v10, 0x7fc0, v5, vcc_lo
.LBB95_1584:
	s_mov_b32 s7, -1
.LBB95_1585:
	s_mov_b32 s11, 0
.LBB95_1586:
	s_delay_alu instid0(SALU_CYCLE_1)
	s_and_b32 vcc_lo, exec_lo, s11
	s_cbranch_vccz .LBB95_1619
; %bb.1587:
	s_cmp_gt_i32 s0, 22
	s_cbranch_scc0 .LBB95_1597
; %bb.1588:
	s_cmp_lt_i32 s0, 24
	s_cbranch_scc1 .LBB95_1600
; %bb.1589:
	s_cmp_gt_i32 s0, 24
	s_cbranch_scc0 .LBB95_1601
; %bb.1590:
	global_load_u8 v5, v[8:9], off
	s_mov_b32 s7, exec_lo
	s_wait_loadcnt 0x0
	v_cmpx_lt_i16_e32 0x7f, v5
	s_xor_b32 s7, exec_lo, s7
	s_cbranch_execz .LBB95_1613
; %bb.1591:
	s_mov_b32 s6, -1
	s_mov_b32 s11, exec_lo
	v_cmpx_eq_u16_e32 0x80, v5
; %bb.1592:
	s_xor_b32 s6, exec_lo, -1
; %bb.1593:
	s_or_b32 exec_lo, exec_lo, s11
	s_delay_alu instid0(SALU_CYCLE_1)
	s_and_b32 s6, s6, exec_lo
	s_or_saveexec_b32 s7, s7
	v_mov_b32_e32 v7, 0x7f800001
	s_xor_b32 exec_lo, exec_lo, s7
	s_cbranch_execnz .LBB95_1614
.LBB95_1594:
	s_or_b32 exec_lo, exec_lo, s7
	s_and_saveexec_b32 s7, s6
	s_cbranch_execz .LBB95_1596
.LBB95_1595:
	v_and_b32_e32 v7, 0xffff, v5
	s_delay_alu instid0(VALU_DEP_1) | instskip(SKIP_1) | instid1(VALU_DEP_2)
	v_dual_lshlrev_b32 v5, 24, v5 :: v_dual_bitop2_b32 v10, 3, v7 bitop3:0x40
	v_bfe_u32 v14, v7, 2, 5
	v_and_b32_e32 v5, 0x80000000, v5
	s_delay_alu instid0(VALU_DEP_3) | instskip(NEXT) | instid1(VALU_DEP_3)
	v_clz_i32_u32_e32 v11, v10
	v_cmp_eq_u32_e32 vcc_lo, 0, v14
	s_delay_alu instid0(VALU_DEP_2) | instskip(NEXT) | instid1(VALU_DEP_1)
	v_min_u32_e32 v11, 32, v11
	v_subrev_nc_u32_e32 v13, 29, v11
	v_sub_nc_u32_e32 v11, 30, v11
	s_delay_alu instid0(VALU_DEP_2) | instskip(NEXT) | instid1(VALU_DEP_2)
	v_lshlrev_b32_e32 v7, v13, v7
	v_cndmask_b32_e32 v11, v14, v11, vcc_lo
	s_delay_alu instid0(VALU_DEP_2) | instskip(NEXT) | instid1(VALU_DEP_1)
	v_and_b32_e32 v7, 3, v7
	v_cndmask_b32_e32 v7, v10, v7, vcc_lo
	s_delay_alu instid0(VALU_DEP_3) | instskip(NEXT) | instid1(VALU_DEP_2)
	v_lshl_add_u32 v10, v11, 23, 0x37800000
	v_lshlrev_b32_e32 v7, 21, v7
	s_delay_alu instid0(VALU_DEP_1)
	v_or3_b32 v7, v5, v10, v7
.LBB95_1596:
	s_or_b32 exec_lo, exec_lo, s7
	s_delay_alu instid0(VALU_DEP_1) | instskip(SKIP_2) | instid1(VALU_DEP_2)
	v_bfe_u32 v5, v7, 16, 1
	v_cmp_o_f32_e32 vcc_lo, v7, v7
	s_mov_b32 s6, 0
	v_add3_u32 v5, v7, v5, 0x7fff
	s_delay_alu instid0(VALU_DEP_1) | instskip(NEXT) | instid1(VALU_DEP_1)
	v_lshrrev_b32_e32 v5, 16, v5
	v_cndmask_b32_e32 v10, 0x7fc0, v5, vcc_lo
	s_branch .LBB95_1602
.LBB95_1597:
	s_mov_b32 s6, -1
                                        ; implicit-def: $vgpr10
	s_branch .LBB95_1608
.LBB95_1598:
	s_or_saveexec_b32 s11, s11
	v_mov_b32_e32 v7, 0x7f800001
	s_xor_b32 exec_lo, exec_lo, s11
	s_cbranch_execz .LBB95_1581
.LBB95_1599:
	v_cmp_ne_u16_e32 vcc_lo, 0, v5
	v_mov_b32_e32 v7, 0
	s_and_not1_b32 s7, s7, exec_lo
	s_and_b32 s12, vcc_lo, exec_lo
	s_delay_alu instid0(SALU_CYCLE_1)
	s_or_b32 s7, s7, s12
	s_or_b32 exec_lo, exec_lo, s11
	s_and_saveexec_b32 s11, s7
	s_cbranch_execnz .LBB95_1582
	s_branch .LBB95_1583
.LBB95_1600:
	s_mov_b32 s6, -1
                                        ; implicit-def: $vgpr10
	s_branch .LBB95_1605
.LBB95_1601:
	s_mov_b32 s6, -1
                                        ; implicit-def: $vgpr10
.LBB95_1602:
	s_delay_alu instid0(SALU_CYCLE_1)
	s_and_b32 vcc_lo, exec_lo, s6
	s_cbranch_vccz .LBB95_1604
; %bb.1603:
	global_load_u8 v5, v[8:9], off
	s_wait_loadcnt 0x0
	v_lshlrev_b32_e32 v5, 24, v5
	s_delay_alu instid0(VALU_DEP_1) | instskip(SKIP_1) | instid1(VALU_DEP_1)
	v_and_b32_e32 v7, 0x7f000000, v5
	s_wait_xcnt 0x1
	v_clz_i32_u32_e32 v10, v7
	v_add_nc_u32_e32 v13, 0x1000000, v7
	v_cmp_ne_u32_e32 vcc_lo, 0, v7
	s_delay_alu instid0(VALU_DEP_3) | instskip(NEXT) | instid1(VALU_DEP_1)
	v_min_u32_e32 v10, 32, v10
	v_sub_nc_u32_e64 v10, v10, 4 clamp
	s_delay_alu instid0(VALU_DEP_1) | instskip(NEXT) | instid1(VALU_DEP_1)
	v_dual_lshlrev_b32 v11, v10, v7 :: v_dual_lshlrev_b32 v10, 23, v10
	v_lshrrev_b32_e32 v11, 4, v11
	s_delay_alu instid0(VALU_DEP_1) | instskip(NEXT) | instid1(VALU_DEP_1)
	v_dual_sub_nc_u32 v10, v11, v10 :: v_dual_ashrrev_i32 v11, 8, v13
	v_add_nc_u32_e32 v10, 0x3c000000, v10
	s_delay_alu instid0(VALU_DEP_1) | instskip(NEXT) | instid1(VALU_DEP_1)
	v_and_or_b32 v10, 0x7f800000, v11, v10
	v_cndmask_b32_e32 v7, 0, v10, vcc_lo
	s_delay_alu instid0(VALU_DEP_1) | instskip(SKIP_1) | instid1(VALU_DEP_2)
	v_and_or_b32 v5, 0x80000000, v5, v7
	v_bfe_u32 v7, v7, 16, 1
	v_cmp_o_f32_e32 vcc_lo, v5, v5
	s_delay_alu instid0(VALU_DEP_2) | instskip(NEXT) | instid1(VALU_DEP_1)
	v_add3_u32 v7, v5, v7, 0x7fff
	v_lshrrev_b32_e32 v7, 16, v7
	s_delay_alu instid0(VALU_DEP_1)
	v_cndmask_b32_e32 v10, 0x7fc0, v7, vcc_lo
.LBB95_1604:
	s_mov_b32 s6, 0
.LBB95_1605:
	s_delay_alu instid0(SALU_CYCLE_1)
	s_and_not1_b32 vcc_lo, exec_lo, s6
	s_cbranch_vccnz .LBB95_1607
; %bb.1606:
	global_load_u8 v5, v[8:9], off
	s_wait_loadcnt 0x0
	v_lshlrev_b32_e32 v7, 25, v5
	v_lshlrev_b16 v5, 8, v5
	s_wait_xcnt 0x1
	s_delay_alu instid0(VALU_DEP_1) | instskip(SKIP_1) | instid1(VALU_DEP_2)
	v_and_or_b32 v11, 0x7f00, v5, 0.5
	v_bfe_i32 v5, v5, 0, 16
	v_add_f32_e32 v11, -0.5, v11
	v_lshrrev_b32_e32 v10, 4, v7
	v_cmp_gt_u32_e32 vcc_lo, 0x8000000, v7
	s_delay_alu instid0(VALU_DEP_2) | instskip(NEXT) | instid1(VALU_DEP_1)
	v_or_b32_e32 v10, 0x70000000, v10
	v_mul_f32_e32 v10, 0x7800000, v10
	s_delay_alu instid0(VALU_DEP_1) | instskip(NEXT) | instid1(VALU_DEP_1)
	v_cndmask_b32_e32 v7, v10, v11, vcc_lo
	v_and_or_b32 v5, 0x80000000, v5, v7
	v_bfe_u32 v7, v7, 16, 1
	s_delay_alu instid0(VALU_DEP_2) | instskip(NEXT) | instid1(VALU_DEP_2)
	v_cmp_o_f32_e32 vcc_lo, v5, v5
	v_add3_u32 v7, v5, v7, 0x7fff
	s_delay_alu instid0(VALU_DEP_1) | instskip(NEXT) | instid1(VALU_DEP_1)
	v_lshrrev_b32_e32 v7, 16, v7
	v_cndmask_b32_e32 v10, 0x7fc0, v7, vcc_lo
.LBB95_1607:
	s_mov_b32 s6, 0
	s_mov_b32 s7, -1
.LBB95_1608:
	s_and_not1_b32 vcc_lo, exec_lo, s6
	s_mov_b32 s6, 0
	s_cbranch_vccnz .LBB95_1619
; %bb.1609:
	s_cmp_gt_i32 s0, 14
	s_cbranch_scc0 .LBB95_1612
; %bb.1610:
	s_cmp_eq_u32 s0, 15
	s_cbranch_scc0 .LBB95_1615
; %bb.1611:
	s_wait_loadcnt 0x0
	global_load_u16 v10, v[8:9], off
	s_mov_b32 s1, 0
	s_mov_b32 s7, -1
	s_branch .LBB95_1617
.LBB95_1612:
	s_mov_b32 s6, -1
	s_branch .LBB95_1616
.LBB95_1613:
	s_or_saveexec_b32 s7, s7
	v_mov_b32_e32 v7, 0x7f800001
	s_xor_b32 exec_lo, exec_lo, s7
	s_cbranch_execz .LBB95_1594
.LBB95_1614:
	v_cmp_ne_u16_e32 vcc_lo, 0, v5
	v_mov_b32_e32 v7, 0
	s_and_not1_b32 s6, s6, exec_lo
	s_and_b32 s11, vcc_lo, exec_lo
	s_delay_alu instid0(SALU_CYCLE_1)
	s_or_b32 s6, s6, s11
	s_or_b32 exec_lo, exec_lo, s7
	s_and_saveexec_b32 s7, s6
	s_cbranch_execnz .LBB95_1595
	s_branch .LBB95_1596
.LBB95_1615:
	s_mov_b32 s1, -1
.LBB95_1616:
                                        ; implicit-def: $vgpr10
.LBB95_1617:
	s_and_b32 vcc_lo, exec_lo, s6
	s_mov_b32 s6, 0
	s_cbranch_vccz .LBB95_1619
; %bb.1618:
	s_cmp_lg_u32 s0, 11
	s_mov_b32 s6, -1
	s_cselect_b32 s1, -1, 0
.LBB95_1619:
	s_delay_alu instid0(SALU_CYCLE_1)
	s_and_b32 vcc_lo, exec_lo, s1
	s_cbranch_vccnz .LBB95_2152
; %bb.1620:
	s_and_not1_b32 vcc_lo, exec_lo, s6
	s_cbranch_vccnz .LBB95_1622
.LBB95_1621:
	global_load_u8 v5, v[8:9], off
	s_mov_b32 s7, -1
	s_wait_loadcnt 0x0
	v_cmp_ne_u16_e32 vcc_lo, 0, v5
	v_cndmask_b32_e64 v5, 0, 1.0, vcc_lo
	s_wait_xcnt 0x1
	s_delay_alu instid0(VALU_DEP_1)
	v_lshrrev_b32_e32 v10, 16, v5
.LBB95_1622:
	s_mov_b32 s1, 0
.LBB95_1623:
	s_delay_alu instid0(SALU_CYCLE_1)
	s_and_b32 vcc_lo, exec_lo, s1
	s_cbranch_vccz .LBB95_1672
; %bb.1624:
	s_cmp_lt_i32 s0, 5
	s_cbranch_scc1 .LBB95_1629
; %bb.1625:
	s_cmp_lt_i32 s0, 8
	s_cbranch_scc1 .LBB95_1630
	;; [unrolled: 3-line block ×3, first 2 shown]
; %bb.1627:
	s_cmp_gt_i32 s0, 9
	s_cbranch_scc0 .LBB95_1632
; %bb.1628:
	s_wait_loadcnt 0x0
	global_load_b64 v[10:11], v[8:9], off
	s_mov_b32 s1, 0
	s_wait_loadcnt 0x0
	v_cvt_f32_f64_e32 v5, v[10:11]
	s_delay_alu instid0(VALU_DEP_1) | instskip(SKIP_1) | instid1(VALU_DEP_2)
	v_bfe_u32 v7, v5, 16, 1
	v_cmp_o_f32_e32 vcc_lo, v5, v5
	v_add3_u32 v7, v5, v7, 0x7fff
	s_delay_alu instid0(VALU_DEP_1) | instskip(NEXT) | instid1(VALU_DEP_1)
	v_lshrrev_b32_e32 v7, 16, v7
	v_cndmask_b32_e32 v10, 0x7fc0, v7, vcc_lo
	s_branch .LBB95_1633
.LBB95_1629:
	s_mov_b32 s1, -1
                                        ; implicit-def: $vgpr10
	s_branch .LBB95_1651
.LBB95_1630:
	s_mov_b32 s1, -1
                                        ; implicit-def: $vgpr10
	s_branch .LBB95_1639
.LBB95_1631:
	s_mov_b32 s1, -1
                                        ; implicit-def: $vgpr10
	s_branch .LBB95_1636
.LBB95_1632:
	s_mov_b32 s1, -1
                                        ; implicit-def: $vgpr10
.LBB95_1633:
	s_delay_alu instid0(SALU_CYCLE_1)
	s_and_not1_b32 vcc_lo, exec_lo, s1
	s_cbranch_vccnz .LBB95_1635
; %bb.1634:
	global_load_b32 v5, v[8:9], off
	s_wait_loadcnt 0x0
	v_bfe_u32 v7, v5, 16, 1
	v_cmp_o_f32_e32 vcc_lo, v5, v5
	s_delay_alu instid0(VALU_DEP_2) | instskip(NEXT) | instid1(VALU_DEP_1)
	v_add3_u32 v7, v5, v7, 0x7fff
	v_lshrrev_b32_e32 v7, 16, v7
	s_wait_xcnt 0x1
	s_delay_alu instid0(VALU_DEP_1)
	v_cndmask_b32_e32 v10, 0x7fc0, v7, vcc_lo
.LBB95_1635:
	s_mov_b32 s1, 0
.LBB95_1636:
	s_delay_alu instid0(SALU_CYCLE_1)
	s_and_not1_b32 vcc_lo, exec_lo, s1
	s_cbranch_vccnz .LBB95_1638
; %bb.1637:
	global_load_b32 v5, v[8:9], off
	s_wait_loadcnt 0x0
	v_cvt_f32_f16_e32 v7, v5
	v_cmp_o_f16_e32 vcc_lo, v5, v5
	s_wait_xcnt 0x1
	s_delay_alu instid0(VALU_DEP_2) | instskip(NEXT) | instid1(VALU_DEP_1)
	v_bfe_u32 v10, v7, 16, 1
	v_add3_u32 v7, v7, v10, 0x7fff
	s_delay_alu instid0(VALU_DEP_1) | instskip(NEXT) | instid1(VALU_DEP_1)
	v_lshrrev_b32_e32 v7, 16, v7
	v_cndmask_b32_e32 v10, 0x7fc0, v7, vcc_lo
.LBB95_1638:
	s_mov_b32 s1, 0
.LBB95_1639:
	s_delay_alu instid0(SALU_CYCLE_1)
	s_and_not1_b32 vcc_lo, exec_lo, s1
	s_cbranch_vccnz .LBB95_1650
; %bb.1640:
	s_cmp_lt_i32 s0, 6
	s_cbranch_scc1 .LBB95_1643
; %bb.1641:
	s_cmp_gt_i32 s0, 6
	s_cbranch_scc0 .LBB95_1644
; %bb.1642:
	s_wait_loadcnt 0x0
	global_load_b64 v[10:11], v[8:9], off
	s_mov_b32 s1, 0
	s_wait_loadcnt 0x0
	v_cvt_f32_f64_e32 v5, v[10:11]
	s_delay_alu instid0(VALU_DEP_1) | instskip(SKIP_1) | instid1(VALU_DEP_2)
	v_bfe_u32 v7, v5, 16, 1
	v_cmp_o_f32_e32 vcc_lo, v5, v5
	v_add3_u32 v7, v5, v7, 0x7fff
	s_delay_alu instid0(VALU_DEP_1) | instskip(NEXT) | instid1(VALU_DEP_1)
	v_lshrrev_b32_e32 v7, 16, v7
	v_cndmask_b32_e32 v10, 0x7fc0, v7, vcc_lo
	s_branch .LBB95_1645
.LBB95_1643:
	s_mov_b32 s1, -1
                                        ; implicit-def: $vgpr10
	s_branch .LBB95_1648
.LBB95_1644:
	s_mov_b32 s1, -1
                                        ; implicit-def: $vgpr10
.LBB95_1645:
	s_delay_alu instid0(SALU_CYCLE_1)
	s_and_not1_b32 vcc_lo, exec_lo, s1
	s_cbranch_vccnz .LBB95_1647
; %bb.1646:
	global_load_b32 v5, v[8:9], off
	s_wait_loadcnt 0x0
	v_bfe_u32 v7, v5, 16, 1
	v_cmp_o_f32_e32 vcc_lo, v5, v5
	s_delay_alu instid0(VALU_DEP_2) | instskip(NEXT) | instid1(VALU_DEP_1)
	v_add3_u32 v7, v5, v7, 0x7fff
	v_lshrrev_b32_e32 v7, 16, v7
	s_wait_xcnt 0x1
	s_delay_alu instid0(VALU_DEP_1)
	v_cndmask_b32_e32 v10, 0x7fc0, v7, vcc_lo
.LBB95_1647:
	s_mov_b32 s1, 0
.LBB95_1648:
	s_delay_alu instid0(SALU_CYCLE_1)
	s_and_not1_b32 vcc_lo, exec_lo, s1
	s_cbranch_vccnz .LBB95_1650
; %bb.1649:
	global_load_u16 v5, v[8:9], off
	s_wait_loadcnt 0x0
	v_cvt_f32_f16_e32 v7, v5
	v_cmp_o_f16_e32 vcc_lo, v5, v5
	s_wait_xcnt 0x1
	s_delay_alu instid0(VALU_DEP_2) | instskip(NEXT) | instid1(VALU_DEP_1)
	v_bfe_u32 v10, v7, 16, 1
	v_add3_u32 v7, v7, v10, 0x7fff
	s_delay_alu instid0(VALU_DEP_1) | instskip(NEXT) | instid1(VALU_DEP_1)
	v_lshrrev_b32_e32 v7, 16, v7
	v_cndmask_b32_e32 v10, 0x7fc0, v7, vcc_lo
.LBB95_1650:
	s_mov_b32 s1, 0
.LBB95_1651:
	s_delay_alu instid0(SALU_CYCLE_1)
	s_and_not1_b32 vcc_lo, exec_lo, s1
	s_cbranch_vccnz .LBB95_1671
; %bb.1652:
	s_cmp_lt_i32 s0, 2
	s_cbranch_scc1 .LBB95_1656
; %bb.1653:
	s_cmp_lt_i32 s0, 3
	s_cbranch_scc1 .LBB95_1657
; %bb.1654:
	s_cmp_gt_i32 s0, 3
	s_cbranch_scc0 .LBB95_1658
; %bb.1655:
	s_wait_loadcnt 0x0
	global_load_b64 v[10:11], v[8:9], off
	s_mov_b32 s1, 0
	s_wait_loadcnt 0x0
	v_xor_b32_e32 v5, v10, v11
	v_cls_i32_e32 v7, v11
	s_delay_alu instid0(VALU_DEP_2) | instskip(NEXT) | instid1(VALU_DEP_1)
	v_ashrrev_i32_e32 v5, 31, v5
	v_add_nc_u32_e32 v5, 32, v5
	s_delay_alu instid0(VALU_DEP_1) | instskip(NEXT) | instid1(VALU_DEP_1)
	v_add_min_u32_e64 v5, v7, -1, v5
	v_lshlrev_b64_e32 v[10:11], v5, v[10:11]
	v_sub_nc_u32_e32 v5, 32, v5
	s_delay_alu instid0(VALU_DEP_2) | instskip(NEXT) | instid1(VALU_DEP_1)
	v_min_u32_e32 v7, 1, v10
	v_or_b32_e32 v7, v11, v7
	s_delay_alu instid0(VALU_DEP_1) | instskip(NEXT) | instid1(VALU_DEP_1)
	v_cvt_f32_i32_e32 v7, v7
	v_ldexp_f32 v5, v7, v5
	s_delay_alu instid0(VALU_DEP_1) | instskip(NEXT) | instid1(VALU_DEP_1)
	v_bfe_u32 v7, v5, 16, 1
	v_add3_u32 v5, v5, v7, 0x7fff
	s_delay_alu instid0(VALU_DEP_1)
	v_lshrrev_b32_e32 v10, 16, v5
	s_branch .LBB95_1659
.LBB95_1656:
	s_mov_b32 s1, -1
                                        ; implicit-def: $vgpr10
	s_branch .LBB95_1665
.LBB95_1657:
	s_mov_b32 s1, -1
                                        ; implicit-def: $vgpr10
	s_branch .LBB95_1662
.LBB95_1658:
	s_mov_b32 s1, -1
                                        ; implicit-def: $vgpr10
.LBB95_1659:
	s_delay_alu instid0(SALU_CYCLE_1)
	s_and_not1_b32 vcc_lo, exec_lo, s1
	s_cbranch_vccnz .LBB95_1661
; %bb.1660:
	global_load_b32 v5, v[8:9], off
	s_wait_loadcnt 0x0
	v_cvt_f32_i32_e32 v5, v5
	s_delay_alu instid0(VALU_DEP_1) | instskip(NEXT) | instid1(VALU_DEP_1)
	v_bfe_u32 v7, v5, 16, 1
	v_add3_u32 v5, v5, v7, 0x7fff
	s_wait_xcnt 0x1
	s_delay_alu instid0(VALU_DEP_1)
	v_lshrrev_b32_e32 v10, 16, v5
.LBB95_1661:
	s_mov_b32 s1, 0
.LBB95_1662:
	s_delay_alu instid0(SALU_CYCLE_1)
	s_and_not1_b32 vcc_lo, exec_lo, s1
	s_cbranch_vccnz .LBB95_1664
; %bb.1663:
	global_load_i16 v5, v[8:9], off
	s_wait_loadcnt 0x0
	v_cvt_f32_i32_e32 v5, v5
	s_delay_alu instid0(VALU_DEP_1) | instskip(NEXT) | instid1(VALU_DEP_1)
	v_bfe_u32 v7, v5, 16, 1
	v_add3_u32 v5, v5, v7, 0x7fff
	s_wait_xcnt 0x1
	s_delay_alu instid0(VALU_DEP_1)
	v_lshrrev_b32_e32 v10, 16, v5
.LBB95_1664:
	s_mov_b32 s1, 0
.LBB95_1665:
	s_delay_alu instid0(SALU_CYCLE_1)
	s_and_not1_b32 vcc_lo, exec_lo, s1
	s_cbranch_vccnz .LBB95_1671
; %bb.1666:
	s_cmp_gt_i32 s0, 0
	s_mov_b32 s0, 0
	s_cbranch_scc0 .LBB95_1668
; %bb.1667:
	global_load_i8 v5, v[8:9], off
	s_wait_loadcnt 0x0
	v_cvt_f32_i32_e32 v5, v5
	s_delay_alu instid0(VALU_DEP_1) | instskip(NEXT) | instid1(VALU_DEP_1)
	v_bfe_u32 v7, v5, 16, 1
	v_add3_u32 v5, v5, v7, 0x7fff
	s_wait_xcnt 0x1
	s_delay_alu instid0(VALU_DEP_1)
	v_lshrrev_b32_e32 v10, 16, v5
	s_branch .LBB95_1669
.LBB95_1668:
	s_mov_b32 s0, -1
                                        ; implicit-def: $vgpr10
.LBB95_1669:
	s_delay_alu instid0(SALU_CYCLE_1)
	s_and_not1_b32 vcc_lo, exec_lo, s0
	s_cbranch_vccnz .LBB95_1671
; %bb.1670:
	global_load_u8 v5, v[8:9], off
	s_wait_loadcnt 0x0
	v_cvt_f32_ubyte0_e32 v5, v5
	s_delay_alu instid0(VALU_DEP_1) | instskip(NEXT) | instid1(VALU_DEP_1)
	v_bfe_u32 v7, v5, 16, 1
	v_add3_u32 v5, v5, v7, 0x7fff
	s_wait_xcnt 0x1
	s_delay_alu instid0(VALU_DEP_1)
	v_lshrrev_b32_e32 v10, 16, v5
.LBB95_1671:
	s_mov_b32 s7, -1
.LBB95_1672:
	s_delay_alu instid0(SALU_CYCLE_1)
	s_and_not1_b32 vcc_lo, exec_lo, s7
	s_cbranch_vccnz .LBB95_2106
; %bb.1673:
	s_wait_loadcnt 0x0
	v_dual_mov_b32 v7, 0 :: v_dual_lshlrev_b32 v1, 16, v1
	global_load_u8 v5, v7, s[2:3] offset:345
	s_wait_xcnt 0x0
	v_add_nc_u64_e32 v[6:7], s[4:5], v[6:7]
	v_cmp_eq_f32_e64 s0, 0xff800000, v1
	s_wait_loadcnt 0x0
	v_and_b32_e32 v8, 0xffff, v5
	v_readfirstlane_b32 s6, v5
	s_delay_alu instid0(VALU_DEP_2)
	v_cmp_gt_i32_e32 vcc_lo, 11, v8
	s_cbranch_vccnz .LBB95_1751
; %bb.1674:
	s_and_b32 s2, 0xffff, s6
	s_mov_b32 s11, -1
	s_mov_b32 s3, 0
	s_cmp_gt_i32 s2, 25
	s_mov_b32 s7, 0
	s_mov_b32 s1, 0
	s_cbranch_scc0 .LBB95_1707
; %bb.1675:
	s_cmp_gt_i32 s2, 28
	s_cbranch_scc0 .LBB95_1690
; %bb.1676:
	s_cmp_gt_i32 s2, 43
	;; [unrolled: 3-line block ×3, first 2 shown]
	s_cbranch_scc0 .LBB95_1680
; %bb.1678:
	s_mov_b32 s1, -1
	s_mov_b32 s11, 0
	s_cmp_eq_u32 s2, 46
	s_cbranch_scc0 .LBB95_1680
; %bb.1679:
	v_cndmask_b32_e64 v1, 0, 1.0, s0
	s_mov_b32 s1, 0
	s_mov_b32 s7, -1
	s_delay_alu instid0(VALU_DEP_1) | instskip(NEXT) | instid1(VALU_DEP_1)
	v_bfe_u32 v5, v1, 16, 1
	v_add3_u32 v1, v1, v5, 0x7fff
	s_delay_alu instid0(VALU_DEP_1)
	v_lshrrev_b32_e32 v1, 16, v1
	global_store_b32 v[6:7], v1, off
.LBB95_1680:
	s_and_b32 vcc_lo, exec_lo, s11
	s_cbranch_vccz .LBB95_1685
; %bb.1681:
	s_cmp_eq_u32 s2, 44
	s_mov_b32 s1, -1
	s_cbranch_scc0 .LBB95_1685
; %bb.1682:
	v_cndmask_b32_e64 v8, 0, 1.0, s0
	v_mov_b32_e32 v5, 0xff
	s_mov_b32 s7, exec_lo
	s_wait_xcnt 0x0
	s_delay_alu instid0(VALU_DEP_2) | instskip(NEXT) | instid1(VALU_DEP_1)
	v_lshrrev_b32_e32 v1, 23, v8
	v_cmpx_ne_u32_e32 0xff, v1
; %bb.1683:
	v_and_b32_e32 v5, 0x400000, v8
	v_and_or_b32 v8, 0x3fffff, v8, v1
	s_delay_alu instid0(VALU_DEP_2) | instskip(NEXT) | instid1(VALU_DEP_2)
	v_cmp_ne_u32_e32 vcc_lo, 0, v5
	v_cmp_ne_u32_e64 s1, 0, v8
	s_and_b32 s1, vcc_lo, s1
	s_delay_alu instid0(SALU_CYCLE_1) | instskip(NEXT) | instid1(VALU_DEP_1)
	v_cndmask_b32_e64 v5, 0, 1, s1
	v_add_nc_u32_e32 v5, v1, v5
; %bb.1684:
	s_or_b32 exec_lo, exec_lo, s7
	s_mov_b32 s1, 0
	s_mov_b32 s7, -1
	global_store_b8 v[6:7], v5, off
.LBB95_1685:
	s_mov_b32 s11, 0
.LBB95_1686:
	s_delay_alu instid0(SALU_CYCLE_1)
	s_and_b32 vcc_lo, exec_lo, s11
	s_cbranch_vccz .LBB95_1689
; %bb.1687:
	s_cmp_eq_u32 s2, 29
	s_mov_b32 s1, -1
	s_cbranch_scc0 .LBB95_1689
; %bb.1688:
	s_mov_b32 s1, 0
	v_cndmask_b32_e64 v8, 0, 1, s0
	v_mov_b32_e32 v9, s1
	s_mov_b32 s7, -1
	global_store_b64 v[6:7], v[8:9], off
.LBB95_1689:
	s_mov_b32 s11, 0
.LBB95_1690:
	s_delay_alu instid0(SALU_CYCLE_1)
	s_and_b32 vcc_lo, exec_lo, s11
	s_cbranch_vccz .LBB95_1706
; %bb.1691:
	s_cmp_lt_i32 s2, 27
	s_mov_b32 s7, -1
	s_cbranch_scc1 .LBB95_1697
; %bb.1692:
	s_cmp_gt_i32 s2, 27
	s_cbranch_scc0 .LBB95_1694
; %bb.1693:
	s_wait_xcnt 0x0
	v_cndmask_b32_e64 v1, 0, 1, s0
	s_mov_b32 s7, 0
	global_store_b32 v[6:7], v1, off
.LBB95_1694:
	s_and_not1_b32 vcc_lo, exec_lo, s7
	s_cbranch_vccnz .LBB95_1696
; %bb.1695:
	s_wait_xcnt 0x0
	v_cndmask_b32_e64 v1, 0, 1, s0
	global_store_b16 v[6:7], v1, off
.LBB95_1696:
	s_mov_b32 s7, 0
.LBB95_1697:
	s_delay_alu instid0(SALU_CYCLE_1)
	s_and_not1_b32 vcc_lo, exec_lo, s7
	s_cbranch_vccnz .LBB95_1705
; %bb.1698:
	s_wait_xcnt 0x0
	v_cndmask_b32_e64 v5, 0, 1.0, s0
	v_mov_b32_e32 v8, 0x80
	s_mov_b32 s7, exec_lo
	s_delay_alu instid0(VALU_DEP_2)
	v_cmpx_gt_u32_e32 0x43800000, v5
	s_cbranch_execz .LBB95_1704
; %bb.1699:
	s_mov_b32 s11, 0
	s_mov_b32 s12, exec_lo
                                        ; implicit-def: $vgpr1
	v_cmpx_lt_u32_e32 0x3bffffff, v5
	s_xor_b32 s12, exec_lo, s12
	s_cbranch_execz .LBB95_2153
; %bb.1700:
	v_bfe_u32 v1, v5, 20, 1
	s_mov_b32 s11, exec_lo
	s_delay_alu instid0(VALU_DEP_1) | instskip(NEXT) | instid1(VALU_DEP_1)
	v_add3_u32 v1, v5, v1, 0x487ffff
                                        ; implicit-def: $vgpr5
	v_lshrrev_b32_e32 v1, 20, v1
	s_and_not1_saveexec_b32 s12, s12
	s_cbranch_execnz .LBB95_2154
.LBB95_1701:
	s_or_b32 exec_lo, exec_lo, s12
	v_mov_b32_e32 v8, 0
	s_and_saveexec_b32 s12, s11
.LBB95_1702:
	v_mov_b32_e32 v8, v1
.LBB95_1703:
	s_or_b32 exec_lo, exec_lo, s12
.LBB95_1704:
	s_delay_alu instid0(SALU_CYCLE_1)
	s_or_b32 exec_lo, exec_lo, s7
	global_store_b8 v[6:7], v8, off
.LBB95_1705:
	s_mov_b32 s7, -1
.LBB95_1706:
	s_mov_b32 s11, 0
.LBB95_1707:
	s_delay_alu instid0(SALU_CYCLE_1)
	s_and_b32 vcc_lo, exec_lo, s11
	s_cbranch_vccz .LBB95_1747
; %bb.1708:
	s_cmp_gt_i32 s2, 22
	s_mov_b32 s3, -1
	s_cbranch_scc0 .LBB95_1740
; %bb.1709:
	s_cmp_lt_i32 s2, 24
	s_cbranch_scc1 .LBB95_1729
; %bb.1710:
	s_cmp_gt_i32 s2, 24
	s_cbranch_scc0 .LBB95_1718
; %bb.1711:
	s_wait_xcnt 0x0
	v_cndmask_b32_e64 v5, 0, 1.0, s0
	v_mov_b32_e32 v8, 0x80
	s_mov_b32 s3, exec_lo
	s_delay_alu instid0(VALU_DEP_2)
	v_cmpx_gt_u32_e32 0x47800000, v5
	s_cbranch_execz .LBB95_1717
; %bb.1712:
	s_mov_b32 s7, 0
	s_mov_b32 s11, exec_lo
                                        ; implicit-def: $vgpr1
	v_cmpx_lt_u32_e32 0x37ffffff, v5
	s_xor_b32 s11, exec_lo, s11
	s_cbranch_execz .LBB95_2156
; %bb.1713:
	v_bfe_u32 v1, v5, 21, 1
	s_mov_b32 s7, exec_lo
	s_delay_alu instid0(VALU_DEP_1) | instskip(NEXT) | instid1(VALU_DEP_1)
	v_add3_u32 v1, v5, v1, 0x88fffff
                                        ; implicit-def: $vgpr5
	v_lshrrev_b32_e32 v1, 21, v1
	s_and_not1_saveexec_b32 s11, s11
	s_cbranch_execnz .LBB95_2157
.LBB95_1714:
	s_or_b32 exec_lo, exec_lo, s11
	v_mov_b32_e32 v8, 0
	s_and_saveexec_b32 s11, s7
.LBB95_1715:
	v_mov_b32_e32 v8, v1
.LBB95_1716:
	s_or_b32 exec_lo, exec_lo, s11
.LBB95_1717:
	s_delay_alu instid0(SALU_CYCLE_1)
	s_or_b32 exec_lo, exec_lo, s3
	s_mov_b32 s3, 0
	global_store_b8 v[6:7], v8, off
.LBB95_1718:
	s_and_b32 vcc_lo, exec_lo, s3
	s_cbranch_vccz .LBB95_1728
; %bb.1719:
	s_wait_xcnt 0x0
	v_cndmask_b32_e64 v5, 0, 1.0, s0
	s_mov_b32 s3, exec_lo
                                        ; implicit-def: $vgpr1
	s_delay_alu instid0(VALU_DEP_1)
	v_cmpx_gt_u32_e32 0x43f00000, v5
	s_xor_b32 s3, exec_lo, s3
	s_cbranch_execz .LBB95_1725
; %bb.1720:
	s_mov_b32 s7, exec_lo
                                        ; implicit-def: $vgpr1
	v_cmpx_lt_u32_e32 0x3c7fffff, v5
	s_xor_b32 s7, exec_lo, s7
; %bb.1721:
	v_bfe_u32 v1, v5, 20, 1
	s_delay_alu instid0(VALU_DEP_1) | instskip(NEXT) | instid1(VALU_DEP_1)
	v_add3_u32 v1, v5, v1, 0x407ffff
	v_and_b32_e32 v5, 0xff00000, v1
	v_lshrrev_b32_e32 v1, 20, v1
	s_delay_alu instid0(VALU_DEP_2) | instskip(NEXT) | instid1(VALU_DEP_2)
	v_cmp_ne_u32_e32 vcc_lo, 0x7f00000, v5
                                        ; implicit-def: $vgpr5
	v_cndmask_b32_e32 v1, 0x7e, v1, vcc_lo
; %bb.1722:
	s_and_not1_saveexec_b32 s7, s7
; %bb.1723:
	v_add_f32_e32 v1, 0x46800000, v5
; %bb.1724:
	s_or_b32 exec_lo, exec_lo, s7
                                        ; implicit-def: $vgpr5
.LBB95_1725:
	s_and_not1_saveexec_b32 s3, s3
; %bb.1726:
	v_mov_b32_e32 v1, 0x7f
	v_cmp_lt_u32_e32 vcc_lo, 0x7f800000, v5
	s_delay_alu instid0(VALU_DEP_2)
	v_cndmask_b32_e32 v1, 0x7e, v1, vcc_lo
; %bb.1727:
	s_or_b32 exec_lo, exec_lo, s3
	global_store_b8 v[6:7], v1, off
.LBB95_1728:
	s_mov_b32 s3, 0
.LBB95_1729:
	s_delay_alu instid0(SALU_CYCLE_1)
	s_and_not1_b32 vcc_lo, exec_lo, s3
	s_cbranch_vccnz .LBB95_1739
; %bb.1730:
	s_wait_xcnt 0x0
	v_cndmask_b32_e64 v5, 0, 1.0, s0
	s_mov_b32 s3, exec_lo
                                        ; implicit-def: $vgpr1
	s_delay_alu instid0(VALU_DEP_1)
	v_cmpx_gt_u32_e32 0x47800000, v5
	s_xor_b32 s3, exec_lo, s3
	s_cbranch_execz .LBB95_1736
; %bb.1731:
	s_mov_b32 s7, exec_lo
                                        ; implicit-def: $vgpr1
	v_cmpx_lt_u32_e32 0x387fffff, v5
	s_xor_b32 s7, exec_lo, s7
; %bb.1732:
	v_bfe_u32 v1, v5, 21, 1
	s_delay_alu instid0(VALU_DEP_1) | instskip(NEXT) | instid1(VALU_DEP_1)
	v_add3_u32 v1, v5, v1, 0x80fffff
                                        ; implicit-def: $vgpr5
	v_lshrrev_b32_e32 v1, 21, v1
; %bb.1733:
	s_and_not1_saveexec_b32 s7, s7
; %bb.1734:
	v_add_f32_e32 v1, 0x43000000, v5
; %bb.1735:
	s_or_b32 exec_lo, exec_lo, s7
                                        ; implicit-def: $vgpr5
.LBB95_1736:
	s_and_not1_saveexec_b32 s3, s3
; %bb.1737:
	v_mov_b32_e32 v1, 0x7f
	v_cmp_lt_u32_e32 vcc_lo, 0x7f800000, v5
	s_delay_alu instid0(VALU_DEP_2)
	v_cndmask_b32_e32 v1, 0x7c, v1, vcc_lo
; %bb.1738:
	s_or_b32 exec_lo, exec_lo, s3
	global_store_b8 v[6:7], v1, off
.LBB95_1739:
	s_mov_b32 s3, 0
	s_mov_b32 s7, -1
.LBB95_1740:
	s_and_not1_b32 vcc_lo, exec_lo, s3
	s_mov_b32 s3, 0
	s_cbranch_vccnz .LBB95_1747
; %bb.1741:
	s_cmp_gt_i32 s2, 14
	s_mov_b32 s3, -1
	s_cbranch_scc0 .LBB95_1745
; %bb.1742:
	s_cmp_eq_u32 s2, 15
	s_mov_b32 s1, -1
	s_cbranch_scc0 .LBB95_1744
; %bb.1743:
	s_wait_xcnt 0x0
	v_cndmask_b32_e64 v1, 0, 1.0, s0
	s_mov_b32 s1, 0
	s_mov_b32 s7, -1
	s_delay_alu instid0(VALU_DEP_1) | instskip(NEXT) | instid1(VALU_DEP_1)
	v_bfe_u32 v5, v1, 16, 1
	v_add3_u32 v1, v1, v5, 0x7fff
	global_store_d16_hi_b16 v[6:7], v1, off
.LBB95_1744:
	s_mov_b32 s3, 0
.LBB95_1745:
	s_delay_alu instid0(SALU_CYCLE_1)
	s_and_b32 vcc_lo, exec_lo, s3
	s_mov_b32 s3, 0
	s_cbranch_vccz .LBB95_1747
; %bb.1746:
	s_cmp_lg_u32 s2, 11
	s_mov_b32 s3, -1
	s_cselect_b32 s1, -1, 0
.LBB95_1747:
	s_delay_alu instid0(SALU_CYCLE_1)
	s_and_b32 vcc_lo, exec_lo, s1
	s_cbranch_vccnz .LBB95_2155
; %bb.1748:
	s_and_not1_b32 vcc_lo, exec_lo, s3
	s_cbranch_vccnz .LBB95_1750
.LBB95_1749:
	s_wait_xcnt 0x0
	v_cndmask_b32_e64 v1, 0, 1, s0
	s_mov_b32 s7, -1
	global_store_b8 v[6:7], v1, off
.LBB95_1750:
	s_mov_b32 s1, 0
	s_branch .LBB95_1752
.LBB95_1751:
	s_mov_b32 s1, -1
	s_mov_b32 s7, 0
.LBB95_1752:
	s_and_b32 vcc_lo, exec_lo, s1
	s_cbranch_vccz .LBB95_1791
; %bb.1753:
	s_and_b32 s1, 0xffff, s6
	s_mov_b32 s2, -1
	s_cmp_lt_i32 s1, 5
	s_cbranch_scc1 .LBB95_1774
; %bb.1754:
	s_cmp_lt_i32 s1, 8
	s_cbranch_scc1 .LBB95_1764
; %bb.1755:
	;; [unrolled: 3-line block ×3, first 2 shown]
	s_cmp_gt_i32 s1, 9
	s_cbranch_scc0 .LBB95_1758
; %bb.1757:
	s_wait_xcnt 0x0
	v_cndmask_b32_e64 v1, 0, 1, s0
	v_mov_b32_e32 v16, 0
	s_mov_b32 s2, 0
	s_delay_alu instid0(VALU_DEP_2) | instskip(NEXT) | instid1(VALU_DEP_2)
	v_cvt_f64_u32_e32 v[14:15], v1
	v_mov_b32_e32 v17, v16
	global_store_b128 v[6:7], v[14:17], off
.LBB95_1758:
	s_and_not1_b32 vcc_lo, exec_lo, s2
	s_cbranch_vccnz .LBB95_1760
; %bb.1759:
	s_wait_xcnt 0x0
	v_cndmask_b32_e64 v8, 0, 1.0, s0
	v_mov_b32_e32 v9, 0
	global_store_b64 v[6:7], v[8:9], off
.LBB95_1760:
	s_mov_b32 s2, 0
.LBB95_1761:
	s_delay_alu instid0(SALU_CYCLE_1)
	s_and_not1_b32 vcc_lo, exec_lo, s2
	s_cbranch_vccnz .LBB95_1763
; %bb.1762:
	s_wait_xcnt 0x0
	v_cndmask_b32_e64 v1, 0, 1.0, s0
	s_delay_alu instid0(VALU_DEP_1) | instskip(NEXT) | instid1(VALU_DEP_1)
	v_cvt_f16_f32_e32 v1, v1
	v_and_b32_e32 v1, 0xffff, v1
	global_store_b32 v[6:7], v1, off
.LBB95_1763:
	s_mov_b32 s2, 0
.LBB95_1764:
	s_delay_alu instid0(SALU_CYCLE_1)
	s_and_not1_b32 vcc_lo, exec_lo, s2
	s_cbranch_vccnz .LBB95_1773
; %bb.1765:
	s_cmp_lt_i32 s1, 6
	s_mov_b32 s2, -1
	s_cbranch_scc1 .LBB95_1771
; %bb.1766:
	s_cmp_gt_i32 s1, 6
	s_cbranch_scc0 .LBB95_1768
; %bb.1767:
	s_wait_xcnt 0x0
	v_cndmask_b32_e64 v1, 0, 1, s0
	s_mov_b32 s2, 0
	s_delay_alu instid0(VALU_DEP_1)
	v_cvt_f64_u32_e32 v[8:9], v1
	global_store_b64 v[6:7], v[8:9], off
.LBB95_1768:
	s_and_not1_b32 vcc_lo, exec_lo, s2
	s_cbranch_vccnz .LBB95_1770
; %bb.1769:
	s_wait_xcnt 0x0
	v_cndmask_b32_e64 v1, 0, 1.0, s0
	global_store_b32 v[6:7], v1, off
.LBB95_1770:
	s_mov_b32 s2, 0
.LBB95_1771:
	s_delay_alu instid0(SALU_CYCLE_1)
	s_and_not1_b32 vcc_lo, exec_lo, s2
	s_cbranch_vccnz .LBB95_1773
; %bb.1772:
	s_wait_xcnt 0x0
	v_cndmask_b32_e64 v1, 0, 1.0, s0
	s_delay_alu instid0(VALU_DEP_1)
	v_cvt_f16_f32_e32 v1, v1
	global_store_b16 v[6:7], v1, off
.LBB95_1773:
	s_mov_b32 s2, 0
.LBB95_1774:
	s_delay_alu instid0(SALU_CYCLE_1)
	s_and_not1_b32 vcc_lo, exec_lo, s2
	s_cbranch_vccnz .LBB95_1790
; %bb.1775:
	s_cmp_lt_i32 s1, 2
	s_mov_b32 s2, -1
	s_cbranch_scc1 .LBB95_1785
; %bb.1776:
	s_cmp_lt_i32 s1, 3
	s_cbranch_scc1 .LBB95_1782
; %bb.1777:
	s_cmp_gt_i32 s1, 3
	s_cbranch_scc0 .LBB95_1779
; %bb.1778:
	s_mov_b32 s2, 0
	s_wait_xcnt 0x0
	v_cndmask_b32_e64 v8, 0, 1, s0
	v_mov_b32_e32 v9, s2
	global_store_b64 v[6:7], v[8:9], off
.LBB95_1779:
	s_and_not1_b32 vcc_lo, exec_lo, s2
	s_cbranch_vccnz .LBB95_1781
; %bb.1780:
	s_wait_xcnt 0x0
	v_cndmask_b32_e64 v1, 0, 1, s0
	global_store_b32 v[6:7], v1, off
.LBB95_1781:
	s_mov_b32 s2, 0
.LBB95_1782:
	s_delay_alu instid0(SALU_CYCLE_1)
	s_and_not1_b32 vcc_lo, exec_lo, s2
	s_cbranch_vccnz .LBB95_1784
; %bb.1783:
	s_wait_xcnt 0x0
	v_cndmask_b32_e64 v1, 0, 1, s0
	global_store_b16 v[6:7], v1, off
.LBB95_1784:
	s_mov_b32 s2, 0
.LBB95_1785:
	s_delay_alu instid0(SALU_CYCLE_1)
	s_and_not1_b32 vcc_lo, exec_lo, s2
	s_cbranch_vccnz .LBB95_1790
; %bb.1786:
	s_wait_xcnt 0x0
	v_cndmask_b32_e64 v1, 0, 1, s0
	s_cmp_gt_i32 s1, 0
	s_mov_b32 s0, -1
	s_cbranch_scc0 .LBB95_1788
; %bb.1787:
	s_mov_b32 s0, 0
	global_store_b8 v[6:7], v1, off
.LBB95_1788:
	s_and_not1_b32 vcc_lo, exec_lo, s0
	s_cbranch_vccnz .LBB95_1790
; %bb.1789:
	global_store_b8 v[6:7], v1, off
.LBB95_1790:
	s_mov_b32 s7, -1
.LBB95_1791:
	s_delay_alu instid0(SALU_CYCLE_1)
	s_and_not1_b32 vcc_lo, exec_lo, s7
	s_cbranch_vccnz .LBB95_2106
; %bb.1792:
	s_wait_xcnt 0x0
	v_dual_mov_b32 v5, 0 :: v_dual_lshlrev_b32 v1, 16, v3
	s_and_b32 s2, 0xffff, s6
	s_delay_alu instid0(SALU_CYCLE_1) | instskip(NEXT) | instid1(VALU_DEP_1)
	s_cmp_lt_i32 s2, 11
	v_add_nc_u64_e32 v[4:5], s[4:5], v[4:5]
	s_delay_alu instid0(VALU_DEP_2)
	v_cmp_eq_f32_e64 s0, 0xff800000, v1
	s_cbranch_scc1 .LBB95_1870
; %bb.1793:
	s_mov_b32 s11, -1
	s_mov_b32 s3, 0
	s_cmp_gt_i32 s2, 25
	s_mov_b32 s7, 0
	s_mov_b32 s1, 0
	s_cbranch_scc0 .LBB95_1826
; %bb.1794:
	s_cmp_gt_i32 s2, 28
	s_cbranch_scc0 .LBB95_1809
; %bb.1795:
	s_cmp_gt_i32 s2, 43
	;; [unrolled: 3-line block ×3, first 2 shown]
	s_cbranch_scc0 .LBB95_1799
; %bb.1797:
	s_mov_b32 s1, -1
	s_mov_b32 s11, 0
	s_cmp_eq_u32 s2, 46
	s_cbranch_scc0 .LBB95_1799
; %bb.1798:
	v_cndmask_b32_e64 v1, 0, 1.0, s0
	s_mov_b32 s1, 0
	s_mov_b32 s7, -1
	s_delay_alu instid0(VALU_DEP_1) | instskip(NEXT) | instid1(VALU_DEP_1)
	v_bfe_u32 v3, v1, 16, 1
	v_add3_u32 v1, v1, v3, 0x7fff
	s_delay_alu instid0(VALU_DEP_1)
	v_lshrrev_b32_e32 v1, 16, v1
	global_store_b32 v[4:5], v1, off
.LBB95_1799:
	s_and_b32 vcc_lo, exec_lo, s11
	s_cbranch_vccz .LBB95_1804
; %bb.1800:
	s_cmp_eq_u32 s2, 44
	s_mov_b32 s1, -1
	s_cbranch_scc0 .LBB95_1804
; %bb.1801:
	v_cndmask_b32_e64 v6, 0, 1.0, s0
	v_mov_b32_e32 v3, 0xff
	s_mov_b32 s7, exec_lo
	s_wait_xcnt 0x0
	s_delay_alu instid0(VALU_DEP_2) | instskip(NEXT) | instid1(VALU_DEP_1)
	v_lshrrev_b32_e32 v1, 23, v6
	v_cmpx_ne_u32_e32 0xff, v1
; %bb.1802:
	v_and_b32_e32 v3, 0x400000, v6
	v_and_or_b32 v6, 0x3fffff, v6, v1
	s_delay_alu instid0(VALU_DEP_2) | instskip(NEXT) | instid1(VALU_DEP_2)
	v_cmp_ne_u32_e32 vcc_lo, 0, v3
	v_cmp_ne_u32_e64 s1, 0, v6
	s_and_b32 s1, vcc_lo, s1
	s_delay_alu instid0(SALU_CYCLE_1) | instskip(NEXT) | instid1(VALU_DEP_1)
	v_cndmask_b32_e64 v3, 0, 1, s1
	v_add_nc_u32_e32 v3, v1, v3
; %bb.1803:
	s_or_b32 exec_lo, exec_lo, s7
	s_mov_b32 s1, 0
	s_mov_b32 s7, -1
	global_store_b8 v[4:5], v3, off
.LBB95_1804:
	s_mov_b32 s11, 0
.LBB95_1805:
	s_delay_alu instid0(SALU_CYCLE_1)
	s_and_b32 vcc_lo, exec_lo, s11
	s_cbranch_vccz .LBB95_1808
; %bb.1806:
	s_cmp_eq_u32 s2, 29
	s_mov_b32 s1, -1
	s_cbranch_scc0 .LBB95_1808
; %bb.1807:
	s_mov_b32 s1, 0
	v_cndmask_b32_e64 v6, 0, 1, s0
	v_mov_b32_e32 v7, s1
	s_mov_b32 s7, -1
	global_store_b64 v[4:5], v[6:7], off
.LBB95_1808:
	s_mov_b32 s11, 0
.LBB95_1809:
	s_delay_alu instid0(SALU_CYCLE_1)
	s_and_b32 vcc_lo, exec_lo, s11
	s_cbranch_vccz .LBB95_1825
; %bb.1810:
	s_cmp_lt_i32 s2, 27
	s_mov_b32 s7, -1
	s_cbranch_scc1 .LBB95_1816
; %bb.1811:
	s_cmp_gt_i32 s2, 27
	s_cbranch_scc0 .LBB95_1813
; %bb.1812:
	s_wait_xcnt 0x0
	v_cndmask_b32_e64 v1, 0, 1, s0
	s_mov_b32 s7, 0
	global_store_b32 v[4:5], v1, off
.LBB95_1813:
	s_and_not1_b32 vcc_lo, exec_lo, s7
	s_cbranch_vccnz .LBB95_1815
; %bb.1814:
	s_wait_xcnt 0x0
	v_cndmask_b32_e64 v1, 0, 1, s0
	global_store_b16 v[4:5], v1, off
.LBB95_1815:
	s_mov_b32 s7, 0
.LBB95_1816:
	s_delay_alu instid0(SALU_CYCLE_1)
	s_and_not1_b32 vcc_lo, exec_lo, s7
	s_cbranch_vccnz .LBB95_1824
; %bb.1817:
	s_wait_xcnt 0x0
	v_cndmask_b32_e64 v3, 0, 1.0, s0
	v_mov_b32_e32 v6, 0x80
	s_mov_b32 s7, exec_lo
	s_delay_alu instid0(VALU_DEP_2)
	v_cmpx_gt_u32_e32 0x43800000, v3
	s_cbranch_execz .LBB95_1823
; %bb.1818:
	s_mov_b32 s11, 0
	s_mov_b32 s12, exec_lo
                                        ; implicit-def: $vgpr1
	v_cmpx_lt_u32_e32 0x3bffffff, v3
	s_xor_b32 s12, exec_lo, s12
	s_cbranch_execz .LBB95_2158
; %bb.1819:
	v_bfe_u32 v1, v3, 20, 1
	s_mov_b32 s11, exec_lo
	s_delay_alu instid0(VALU_DEP_1) | instskip(NEXT) | instid1(VALU_DEP_1)
	v_add3_u32 v1, v3, v1, 0x487ffff
                                        ; implicit-def: $vgpr3
	v_lshrrev_b32_e32 v1, 20, v1
	s_and_not1_saveexec_b32 s12, s12
	s_cbranch_execnz .LBB95_2159
.LBB95_1820:
	s_or_b32 exec_lo, exec_lo, s12
	v_mov_b32_e32 v6, 0
	s_and_saveexec_b32 s12, s11
.LBB95_1821:
	v_mov_b32_e32 v6, v1
.LBB95_1822:
	s_or_b32 exec_lo, exec_lo, s12
.LBB95_1823:
	s_delay_alu instid0(SALU_CYCLE_1)
	s_or_b32 exec_lo, exec_lo, s7
	global_store_b8 v[4:5], v6, off
.LBB95_1824:
	s_mov_b32 s7, -1
.LBB95_1825:
	s_mov_b32 s11, 0
.LBB95_1826:
	s_delay_alu instid0(SALU_CYCLE_1)
	s_and_b32 vcc_lo, exec_lo, s11
	s_cbranch_vccz .LBB95_1866
; %bb.1827:
	s_cmp_gt_i32 s2, 22
	s_mov_b32 s3, -1
	s_cbranch_scc0 .LBB95_1859
; %bb.1828:
	s_cmp_lt_i32 s2, 24
	s_cbranch_scc1 .LBB95_1848
; %bb.1829:
	s_cmp_gt_i32 s2, 24
	s_cbranch_scc0 .LBB95_1837
; %bb.1830:
	s_wait_xcnt 0x0
	v_cndmask_b32_e64 v3, 0, 1.0, s0
	v_mov_b32_e32 v6, 0x80
	s_mov_b32 s3, exec_lo
	s_delay_alu instid0(VALU_DEP_2)
	v_cmpx_gt_u32_e32 0x47800000, v3
	s_cbranch_execz .LBB95_1836
; %bb.1831:
	s_mov_b32 s7, 0
	s_mov_b32 s11, exec_lo
                                        ; implicit-def: $vgpr1
	v_cmpx_lt_u32_e32 0x37ffffff, v3
	s_xor_b32 s11, exec_lo, s11
	s_cbranch_execz .LBB95_2161
; %bb.1832:
	v_bfe_u32 v1, v3, 21, 1
	s_mov_b32 s7, exec_lo
	s_delay_alu instid0(VALU_DEP_1) | instskip(NEXT) | instid1(VALU_DEP_1)
	v_add3_u32 v1, v3, v1, 0x88fffff
                                        ; implicit-def: $vgpr3
	v_lshrrev_b32_e32 v1, 21, v1
	s_and_not1_saveexec_b32 s11, s11
	s_cbranch_execnz .LBB95_2162
.LBB95_1833:
	s_or_b32 exec_lo, exec_lo, s11
	v_mov_b32_e32 v6, 0
	s_and_saveexec_b32 s11, s7
.LBB95_1834:
	v_mov_b32_e32 v6, v1
.LBB95_1835:
	s_or_b32 exec_lo, exec_lo, s11
.LBB95_1836:
	s_delay_alu instid0(SALU_CYCLE_1)
	s_or_b32 exec_lo, exec_lo, s3
	s_mov_b32 s3, 0
	global_store_b8 v[4:5], v6, off
.LBB95_1837:
	s_and_b32 vcc_lo, exec_lo, s3
	s_cbranch_vccz .LBB95_1847
; %bb.1838:
	s_wait_xcnt 0x0
	v_cndmask_b32_e64 v3, 0, 1.0, s0
	s_mov_b32 s3, exec_lo
                                        ; implicit-def: $vgpr1
	s_delay_alu instid0(VALU_DEP_1)
	v_cmpx_gt_u32_e32 0x43f00000, v3
	s_xor_b32 s3, exec_lo, s3
	s_cbranch_execz .LBB95_1844
; %bb.1839:
	s_mov_b32 s7, exec_lo
                                        ; implicit-def: $vgpr1
	v_cmpx_lt_u32_e32 0x3c7fffff, v3
	s_xor_b32 s7, exec_lo, s7
; %bb.1840:
	v_bfe_u32 v1, v3, 20, 1
	s_delay_alu instid0(VALU_DEP_1) | instskip(NEXT) | instid1(VALU_DEP_1)
	v_add3_u32 v1, v3, v1, 0x407ffff
	v_and_b32_e32 v3, 0xff00000, v1
	v_lshrrev_b32_e32 v1, 20, v1
	s_delay_alu instid0(VALU_DEP_2) | instskip(NEXT) | instid1(VALU_DEP_2)
	v_cmp_ne_u32_e32 vcc_lo, 0x7f00000, v3
                                        ; implicit-def: $vgpr3
	v_cndmask_b32_e32 v1, 0x7e, v1, vcc_lo
; %bb.1841:
	s_and_not1_saveexec_b32 s7, s7
; %bb.1842:
	v_add_f32_e32 v1, 0x46800000, v3
; %bb.1843:
	s_or_b32 exec_lo, exec_lo, s7
                                        ; implicit-def: $vgpr3
.LBB95_1844:
	s_and_not1_saveexec_b32 s3, s3
; %bb.1845:
	v_mov_b32_e32 v1, 0x7f
	v_cmp_lt_u32_e32 vcc_lo, 0x7f800000, v3
	s_delay_alu instid0(VALU_DEP_2)
	v_cndmask_b32_e32 v1, 0x7e, v1, vcc_lo
; %bb.1846:
	s_or_b32 exec_lo, exec_lo, s3
	global_store_b8 v[4:5], v1, off
.LBB95_1847:
	s_mov_b32 s3, 0
.LBB95_1848:
	s_delay_alu instid0(SALU_CYCLE_1)
	s_and_not1_b32 vcc_lo, exec_lo, s3
	s_cbranch_vccnz .LBB95_1858
; %bb.1849:
	s_wait_xcnt 0x0
	v_cndmask_b32_e64 v3, 0, 1.0, s0
	s_mov_b32 s3, exec_lo
                                        ; implicit-def: $vgpr1
	s_delay_alu instid0(VALU_DEP_1)
	v_cmpx_gt_u32_e32 0x47800000, v3
	s_xor_b32 s3, exec_lo, s3
	s_cbranch_execz .LBB95_1855
; %bb.1850:
	s_mov_b32 s7, exec_lo
                                        ; implicit-def: $vgpr1
	v_cmpx_lt_u32_e32 0x387fffff, v3
	s_xor_b32 s7, exec_lo, s7
; %bb.1851:
	v_bfe_u32 v1, v3, 21, 1
	s_delay_alu instid0(VALU_DEP_1) | instskip(NEXT) | instid1(VALU_DEP_1)
	v_add3_u32 v1, v3, v1, 0x80fffff
                                        ; implicit-def: $vgpr3
	v_lshrrev_b32_e32 v1, 21, v1
; %bb.1852:
	s_and_not1_saveexec_b32 s7, s7
; %bb.1853:
	v_add_f32_e32 v1, 0x43000000, v3
; %bb.1854:
	s_or_b32 exec_lo, exec_lo, s7
                                        ; implicit-def: $vgpr3
.LBB95_1855:
	s_and_not1_saveexec_b32 s3, s3
; %bb.1856:
	v_mov_b32_e32 v1, 0x7f
	v_cmp_lt_u32_e32 vcc_lo, 0x7f800000, v3
	s_delay_alu instid0(VALU_DEP_2)
	v_cndmask_b32_e32 v1, 0x7c, v1, vcc_lo
; %bb.1857:
	s_or_b32 exec_lo, exec_lo, s3
	global_store_b8 v[4:5], v1, off
.LBB95_1858:
	s_mov_b32 s3, 0
	s_mov_b32 s7, -1
.LBB95_1859:
	s_and_not1_b32 vcc_lo, exec_lo, s3
	s_mov_b32 s3, 0
	s_cbranch_vccnz .LBB95_1866
; %bb.1860:
	s_cmp_gt_i32 s2, 14
	s_mov_b32 s3, -1
	s_cbranch_scc0 .LBB95_1864
; %bb.1861:
	s_cmp_eq_u32 s2, 15
	s_mov_b32 s1, -1
	s_cbranch_scc0 .LBB95_1863
; %bb.1862:
	s_wait_xcnt 0x0
	v_cndmask_b32_e64 v1, 0, 1.0, s0
	s_mov_b32 s1, 0
	s_mov_b32 s7, -1
	s_delay_alu instid0(VALU_DEP_1) | instskip(NEXT) | instid1(VALU_DEP_1)
	v_bfe_u32 v3, v1, 16, 1
	v_add3_u32 v1, v1, v3, 0x7fff
	global_store_d16_hi_b16 v[4:5], v1, off
.LBB95_1863:
	s_mov_b32 s3, 0
.LBB95_1864:
	s_delay_alu instid0(SALU_CYCLE_1)
	s_and_b32 vcc_lo, exec_lo, s3
	s_mov_b32 s3, 0
	s_cbranch_vccz .LBB95_1866
; %bb.1865:
	s_cmp_lg_u32 s2, 11
	s_mov_b32 s3, -1
	s_cselect_b32 s1, -1, 0
.LBB95_1866:
	s_delay_alu instid0(SALU_CYCLE_1)
	s_and_b32 vcc_lo, exec_lo, s1
	s_cbranch_vccnz .LBB95_2160
; %bb.1867:
	s_and_not1_b32 vcc_lo, exec_lo, s3
	s_cbranch_vccnz .LBB95_1869
.LBB95_1868:
	s_wait_xcnt 0x0
	v_cndmask_b32_e64 v1, 0, 1, s0
	s_mov_b32 s7, -1
	global_store_b8 v[4:5], v1, off
.LBB95_1869:
	s_mov_b32 s1, 0
	s_branch .LBB95_1871
.LBB95_1870:
	s_mov_b32 s1, -1
	s_mov_b32 s7, 0
.LBB95_1871:
	s_and_b32 vcc_lo, exec_lo, s1
	s_cbranch_vccz .LBB95_1910
; %bb.1872:
	s_cmp_lt_i32 s2, 5
	s_mov_b32 s1, -1
	s_cbranch_scc1 .LBB95_1893
; %bb.1873:
	s_cmp_lt_i32 s2, 8
	s_cbranch_scc1 .LBB95_1883
; %bb.1874:
	s_cmp_lt_i32 s2, 9
	s_cbranch_scc1 .LBB95_1880
; %bb.1875:
	s_cmp_gt_i32 s2, 9
	s_cbranch_scc0 .LBB95_1877
; %bb.1876:
	s_wait_xcnt 0x0
	v_cndmask_b32_e64 v1, 0, 1, s0
	v_mov_b32_e32 v8, 0
	s_mov_b32 s1, 0
	s_delay_alu instid0(VALU_DEP_2) | instskip(NEXT) | instid1(VALU_DEP_2)
	v_cvt_f64_u32_e32 v[6:7], v1
	v_mov_b32_e32 v9, v8
	global_store_b128 v[4:5], v[6:9], off
.LBB95_1877:
	s_and_not1_b32 vcc_lo, exec_lo, s1
	s_cbranch_vccnz .LBB95_1879
; %bb.1878:
	s_wait_xcnt 0x0
	v_cndmask_b32_e64 v6, 0, 1.0, s0
	v_mov_b32_e32 v7, 0
	global_store_b64 v[4:5], v[6:7], off
.LBB95_1879:
	s_mov_b32 s1, 0
.LBB95_1880:
	s_delay_alu instid0(SALU_CYCLE_1)
	s_and_not1_b32 vcc_lo, exec_lo, s1
	s_cbranch_vccnz .LBB95_1882
; %bb.1881:
	s_wait_xcnt 0x0
	v_cndmask_b32_e64 v1, 0, 1.0, s0
	s_delay_alu instid0(VALU_DEP_1) | instskip(NEXT) | instid1(VALU_DEP_1)
	v_cvt_f16_f32_e32 v1, v1
	v_and_b32_e32 v1, 0xffff, v1
	global_store_b32 v[4:5], v1, off
.LBB95_1882:
	s_mov_b32 s1, 0
.LBB95_1883:
	s_delay_alu instid0(SALU_CYCLE_1)
	s_and_not1_b32 vcc_lo, exec_lo, s1
	s_cbranch_vccnz .LBB95_1892
; %bb.1884:
	s_cmp_lt_i32 s2, 6
	s_mov_b32 s1, -1
	s_cbranch_scc1 .LBB95_1890
; %bb.1885:
	s_cmp_gt_i32 s2, 6
	s_cbranch_scc0 .LBB95_1887
; %bb.1886:
	s_wait_xcnt 0x0
	v_cndmask_b32_e64 v1, 0, 1, s0
	s_mov_b32 s1, 0
	s_delay_alu instid0(VALU_DEP_1)
	v_cvt_f64_u32_e32 v[6:7], v1
	global_store_b64 v[4:5], v[6:7], off
.LBB95_1887:
	s_and_not1_b32 vcc_lo, exec_lo, s1
	s_cbranch_vccnz .LBB95_1889
; %bb.1888:
	s_wait_xcnt 0x0
	v_cndmask_b32_e64 v1, 0, 1.0, s0
	global_store_b32 v[4:5], v1, off
.LBB95_1889:
	s_mov_b32 s1, 0
.LBB95_1890:
	s_delay_alu instid0(SALU_CYCLE_1)
	s_and_not1_b32 vcc_lo, exec_lo, s1
	s_cbranch_vccnz .LBB95_1892
; %bb.1891:
	s_wait_xcnt 0x0
	v_cndmask_b32_e64 v1, 0, 1.0, s0
	s_delay_alu instid0(VALU_DEP_1)
	v_cvt_f16_f32_e32 v1, v1
	global_store_b16 v[4:5], v1, off
.LBB95_1892:
	s_mov_b32 s1, 0
.LBB95_1893:
	s_delay_alu instid0(SALU_CYCLE_1)
	s_and_not1_b32 vcc_lo, exec_lo, s1
	s_cbranch_vccnz .LBB95_1909
; %bb.1894:
	s_cmp_lt_i32 s2, 2
	s_mov_b32 s1, -1
	s_cbranch_scc1 .LBB95_1904
; %bb.1895:
	s_cmp_lt_i32 s2, 3
	s_cbranch_scc1 .LBB95_1901
; %bb.1896:
	s_cmp_gt_i32 s2, 3
	s_cbranch_scc0 .LBB95_1898
; %bb.1897:
	s_mov_b32 s1, 0
	s_wait_xcnt 0x0
	v_cndmask_b32_e64 v6, 0, 1, s0
	v_mov_b32_e32 v7, s1
	global_store_b64 v[4:5], v[6:7], off
.LBB95_1898:
	s_and_not1_b32 vcc_lo, exec_lo, s1
	s_cbranch_vccnz .LBB95_1900
; %bb.1899:
	s_wait_xcnt 0x0
	v_cndmask_b32_e64 v1, 0, 1, s0
	global_store_b32 v[4:5], v1, off
.LBB95_1900:
	s_mov_b32 s1, 0
.LBB95_1901:
	s_delay_alu instid0(SALU_CYCLE_1)
	s_and_not1_b32 vcc_lo, exec_lo, s1
	s_cbranch_vccnz .LBB95_1903
; %bb.1902:
	s_wait_xcnt 0x0
	v_cndmask_b32_e64 v1, 0, 1, s0
	global_store_b16 v[4:5], v1, off
.LBB95_1903:
	s_mov_b32 s1, 0
.LBB95_1904:
	s_delay_alu instid0(SALU_CYCLE_1)
	s_and_not1_b32 vcc_lo, exec_lo, s1
	s_cbranch_vccnz .LBB95_1909
; %bb.1905:
	s_wait_xcnt 0x0
	v_cndmask_b32_e64 v1, 0, 1, s0
	s_cmp_gt_i32 s2, 0
	s_mov_b32 s0, -1
	s_cbranch_scc0 .LBB95_1907
; %bb.1906:
	s_mov_b32 s0, 0
	global_store_b8 v[4:5], v1, off
.LBB95_1907:
	s_and_not1_b32 vcc_lo, exec_lo, s0
	s_cbranch_vccnz .LBB95_1909
; %bb.1908:
	global_store_b8 v[4:5], v1, off
.LBB95_1909:
	s_mov_b32 s7, -1
.LBB95_1910:
	s_delay_alu instid0(SALU_CYCLE_1)
	s_and_not1_b32 vcc_lo, exec_lo, s7
	s_cbranch_vccnz .LBB95_2106
; %bb.1911:
	s_wait_xcnt 0x0
	v_dual_mov_b32 v3, 0 :: v_dual_lshlrev_b32 v1, 16, v12
	s_cmp_lt_i32 s2, 11
	s_delay_alu instid0(VALU_DEP_1) | instskip(NEXT) | instid1(VALU_DEP_2)
	v_add_nc_u64_e32 v[2:3], s[4:5], v[2:3]
	v_cmp_eq_f32_e64 s0, 0xff800000, v1
	s_cbranch_scc1 .LBB95_1989
; %bb.1912:
	s_mov_b32 s11, -1
	s_mov_b32 s3, 0
	s_cmp_gt_i32 s2, 25
	s_mov_b32 s7, 0
	s_mov_b32 s1, 0
	s_cbranch_scc0 .LBB95_1945
; %bb.1913:
	s_cmp_gt_i32 s2, 28
	s_cbranch_scc0 .LBB95_1928
; %bb.1914:
	s_cmp_gt_i32 s2, 43
	;; [unrolled: 3-line block ×3, first 2 shown]
	s_cbranch_scc0 .LBB95_1918
; %bb.1916:
	s_mov_b32 s1, -1
	s_mov_b32 s11, 0
	s_cmp_eq_u32 s2, 46
	s_cbranch_scc0 .LBB95_1918
; %bb.1917:
	v_cndmask_b32_e64 v1, 0, 1.0, s0
	s_mov_b32 s1, 0
	s_mov_b32 s7, -1
	s_delay_alu instid0(VALU_DEP_1) | instskip(NEXT) | instid1(VALU_DEP_1)
	v_bfe_u32 v4, v1, 16, 1
	v_add3_u32 v1, v1, v4, 0x7fff
	s_delay_alu instid0(VALU_DEP_1)
	v_lshrrev_b32_e32 v1, 16, v1
	global_store_b32 v[2:3], v1, off
.LBB95_1918:
	s_and_b32 vcc_lo, exec_lo, s11
	s_cbranch_vccz .LBB95_1923
; %bb.1919:
	s_cmp_eq_u32 s2, 44
	s_mov_b32 s1, -1
	s_cbranch_scc0 .LBB95_1923
; %bb.1920:
	v_cndmask_b32_e64 v5, 0, 1.0, s0
	s_mov_b32 s7, exec_lo
	s_wait_xcnt 0x0
	s_delay_alu instid0(VALU_DEP_1) | instskip(NEXT) | instid1(VALU_DEP_1)
	v_dual_mov_b32 v4, 0xff :: v_dual_lshrrev_b32 v1, 23, v5
	v_cmpx_ne_u32_e32 0xff, v1
; %bb.1921:
	v_and_b32_e32 v4, 0x400000, v5
	v_and_or_b32 v5, 0x3fffff, v5, v1
	s_delay_alu instid0(VALU_DEP_2) | instskip(NEXT) | instid1(VALU_DEP_2)
	v_cmp_ne_u32_e32 vcc_lo, 0, v4
	v_cmp_ne_u32_e64 s1, 0, v5
	s_and_b32 s1, vcc_lo, s1
	s_delay_alu instid0(SALU_CYCLE_1) | instskip(NEXT) | instid1(VALU_DEP_1)
	v_cndmask_b32_e64 v4, 0, 1, s1
	v_add_nc_u32_e32 v4, v1, v4
; %bb.1922:
	s_or_b32 exec_lo, exec_lo, s7
	s_mov_b32 s1, 0
	s_mov_b32 s7, -1
	global_store_b8 v[2:3], v4, off
.LBB95_1923:
	s_mov_b32 s11, 0
.LBB95_1924:
	s_delay_alu instid0(SALU_CYCLE_1)
	s_and_b32 vcc_lo, exec_lo, s11
	s_cbranch_vccz .LBB95_1927
; %bb.1925:
	s_cmp_eq_u32 s2, 29
	s_mov_b32 s1, -1
	s_cbranch_scc0 .LBB95_1927
; %bb.1926:
	s_mov_b32 s1, 0
	s_wait_xcnt 0x0
	v_cndmask_b32_e64 v4, 0, 1, s0
	v_mov_b32_e32 v5, s1
	s_mov_b32 s7, -1
	global_store_b64 v[2:3], v[4:5], off
.LBB95_1927:
	s_mov_b32 s11, 0
.LBB95_1928:
	s_delay_alu instid0(SALU_CYCLE_1)
	s_and_b32 vcc_lo, exec_lo, s11
	s_cbranch_vccz .LBB95_1944
; %bb.1929:
	s_cmp_lt_i32 s2, 27
	s_mov_b32 s7, -1
	s_cbranch_scc1 .LBB95_1935
; %bb.1930:
	s_cmp_gt_i32 s2, 27
	s_cbranch_scc0 .LBB95_1932
; %bb.1931:
	s_wait_xcnt 0x0
	v_cndmask_b32_e64 v1, 0, 1, s0
	s_mov_b32 s7, 0
	global_store_b32 v[2:3], v1, off
.LBB95_1932:
	s_and_not1_b32 vcc_lo, exec_lo, s7
	s_cbranch_vccnz .LBB95_1934
; %bb.1933:
	s_wait_xcnt 0x0
	v_cndmask_b32_e64 v1, 0, 1, s0
	global_store_b16 v[2:3], v1, off
.LBB95_1934:
	s_mov_b32 s7, 0
.LBB95_1935:
	s_delay_alu instid0(SALU_CYCLE_1)
	s_and_not1_b32 vcc_lo, exec_lo, s7
	s_cbranch_vccnz .LBB95_1943
; %bb.1936:
	s_wait_xcnt 0x0
	v_cndmask_b32_e64 v4, 0, 1.0, s0
	v_mov_b32_e32 v5, 0x80
	s_mov_b32 s7, exec_lo
	s_delay_alu instid0(VALU_DEP_2)
	v_cmpx_gt_u32_e32 0x43800000, v4
	s_cbranch_execz .LBB95_1942
; %bb.1937:
	s_mov_b32 s11, 0
	s_mov_b32 s12, exec_lo
                                        ; implicit-def: $vgpr1
	v_cmpx_lt_u32_e32 0x3bffffff, v4
	s_xor_b32 s12, exec_lo, s12
	s_cbranch_execz .LBB95_2163
; %bb.1938:
	v_bfe_u32 v1, v4, 20, 1
	s_mov_b32 s11, exec_lo
	s_delay_alu instid0(VALU_DEP_1) | instskip(NEXT) | instid1(VALU_DEP_1)
	v_add3_u32 v1, v4, v1, 0x487ffff
                                        ; implicit-def: $vgpr4
	v_lshrrev_b32_e32 v1, 20, v1
	s_and_not1_saveexec_b32 s12, s12
	s_cbranch_execnz .LBB95_2164
.LBB95_1939:
	s_or_b32 exec_lo, exec_lo, s12
	v_mov_b32_e32 v5, 0
	s_and_saveexec_b32 s12, s11
.LBB95_1940:
	v_mov_b32_e32 v5, v1
.LBB95_1941:
	s_or_b32 exec_lo, exec_lo, s12
.LBB95_1942:
	s_delay_alu instid0(SALU_CYCLE_1)
	s_or_b32 exec_lo, exec_lo, s7
	global_store_b8 v[2:3], v5, off
.LBB95_1943:
	s_mov_b32 s7, -1
.LBB95_1944:
	s_mov_b32 s11, 0
.LBB95_1945:
	s_delay_alu instid0(SALU_CYCLE_1)
	s_and_b32 vcc_lo, exec_lo, s11
	s_cbranch_vccz .LBB95_1985
; %bb.1946:
	s_cmp_gt_i32 s2, 22
	s_mov_b32 s3, -1
	s_cbranch_scc0 .LBB95_1978
; %bb.1947:
	s_cmp_lt_i32 s2, 24
	s_cbranch_scc1 .LBB95_1967
; %bb.1948:
	s_cmp_gt_i32 s2, 24
	s_cbranch_scc0 .LBB95_1956
; %bb.1949:
	s_wait_xcnt 0x0
	v_cndmask_b32_e64 v4, 0, 1.0, s0
	v_mov_b32_e32 v5, 0x80
	s_mov_b32 s3, exec_lo
	s_delay_alu instid0(VALU_DEP_2)
	v_cmpx_gt_u32_e32 0x47800000, v4
	s_cbranch_execz .LBB95_1955
; %bb.1950:
	s_mov_b32 s7, 0
	s_mov_b32 s11, exec_lo
                                        ; implicit-def: $vgpr1
	v_cmpx_lt_u32_e32 0x37ffffff, v4
	s_xor_b32 s11, exec_lo, s11
	s_cbranch_execz .LBB95_2166
; %bb.1951:
	v_bfe_u32 v1, v4, 21, 1
	s_mov_b32 s7, exec_lo
	s_delay_alu instid0(VALU_DEP_1) | instskip(NEXT) | instid1(VALU_DEP_1)
	v_add3_u32 v1, v4, v1, 0x88fffff
                                        ; implicit-def: $vgpr4
	v_lshrrev_b32_e32 v1, 21, v1
	s_and_not1_saveexec_b32 s11, s11
	s_cbranch_execnz .LBB95_2167
.LBB95_1952:
	s_or_b32 exec_lo, exec_lo, s11
	v_mov_b32_e32 v5, 0
	s_and_saveexec_b32 s11, s7
.LBB95_1953:
	v_mov_b32_e32 v5, v1
.LBB95_1954:
	s_or_b32 exec_lo, exec_lo, s11
.LBB95_1955:
	s_delay_alu instid0(SALU_CYCLE_1)
	s_or_b32 exec_lo, exec_lo, s3
	s_mov_b32 s3, 0
	global_store_b8 v[2:3], v5, off
.LBB95_1956:
	s_and_b32 vcc_lo, exec_lo, s3
	s_cbranch_vccz .LBB95_1966
; %bb.1957:
	s_wait_xcnt 0x0
	v_cndmask_b32_e64 v4, 0, 1.0, s0
	s_mov_b32 s3, exec_lo
                                        ; implicit-def: $vgpr1
	s_delay_alu instid0(VALU_DEP_1)
	v_cmpx_gt_u32_e32 0x43f00000, v4
	s_xor_b32 s3, exec_lo, s3
	s_cbranch_execz .LBB95_1963
; %bb.1958:
	s_mov_b32 s7, exec_lo
                                        ; implicit-def: $vgpr1
	v_cmpx_lt_u32_e32 0x3c7fffff, v4
	s_xor_b32 s7, exec_lo, s7
; %bb.1959:
	v_bfe_u32 v1, v4, 20, 1
	s_delay_alu instid0(VALU_DEP_1) | instskip(NEXT) | instid1(VALU_DEP_1)
	v_add3_u32 v1, v4, v1, 0x407ffff
	v_and_b32_e32 v4, 0xff00000, v1
	v_lshrrev_b32_e32 v1, 20, v1
	s_delay_alu instid0(VALU_DEP_2) | instskip(NEXT) | instid1(VALU_DEP_2)
	v_cmp_ne_u32_e32 vcc_lo, 0x7f00000, v4
                                        ; implicit-def: $vgpr4
	v_cndmask_b32_e32 v1, 0x7e, v1, vcc_lo
; %bb.1960:
	s_and_not1_saveexec_b32 s7, s7
; %bb.1961:
	v_add_f32_e32 v1, 0x46800000, v4
; %bb.1962:
	s_or_b32 exec_lo, exec_lo, s7
                                        ; implicit-def: $vgpr4
.LBB95_1963:
	s_and_not1_saveexec_b32 s3, s3
; %bb.1964:
	v_mov_b32_e32 v1, 0x7f
	v_cmp_lt_u32_e32 vcc_lo, 0x7f800000, v4
	s_delay_alu instid0(VALU_DEP_2)
	v_cndmask_b32_e32 v1, 0x7e, v1, vcc_lo
; %bb.1965:
	s_or_b32 exec_lo, exec_lo, s3
	global_store_b8 v[2:3], v1, off
.LBB95_1966:
	s_mov_b32 s3, 0
.LBB95_1967:
	s_delay_alu instid0(SALU_CYCLE_1)
	s_and_not1_b32 vcc_lo, exec_lo, s3
	s_cbranch_vccnz .LBB95_1977
; %bb.1968:
	s_wait_xcnt 0x0
	v_cndmask_b32_e64 v4, 0, 1.0, s0
	s_mov_b32 s3, exec_lo
                                        ; implicit-def: $vgpr1
	s_delay_alu instid0(VALU_DEP_1)
	v_cmpx_gt_u32_e32 0x47800000, v4
	s_xor_b32 s3, exec_lo, s3
	s_cbranch_execz .LBB95_1974
; %bb.1969:
	s_mov_b32 s7, exec_lo
                                        ; implicit-def: $vgpr1
	v_cmpx_lt_u32_e32 0x387fffff, v4
	s_xor_b32 s7, exec_lo, s7
; %bb.1970:
	v_bfe_u32 v1, v4, 21, 1
	s_delay_alu instid0(VALU_DEP_1) | instskip(NEXT) | instid1(VALU_DEP_1)
	v_add3_u32 v1, v4, v1, 0x80fffff
                                        ; implicit-def: $vgpr4
	v_lshrrev_b32_e32 v1, 21, v1
; %bb.1971:
	s_and_not1_saveexec_b32 s7, s7
; %bb.1972:
	v_add_f32_e32 v1, 0x43000000, v4
; %bb.1973:
	s_or_b32 exec_lo, exec_lo, s7
                                        ; implicit-def: $vgpr4
.LBB95_1974:
	s_and_not1_saveexec_b32 s3, s3
; %bb.1975:
	v_mov_b32_e32 v1, 0x7f
	v_cmp_lt_u32_e32 vcc_lo, 0x7f800000, v4
	s_delay_alu instid0(VALU_DEP_2)
	v_cndmask_b32_e32 v1, 0x7c, v1, vcc_lo
; %bb.1976:
	s_or_b32 exec_lo, exec_lo, s3
	global_store_b8 v[2:3], v1, off
.LBB95_1977:
	s_mov_b32 s3, 0
	s_mov_b32 s7, -1
.LBB95_1978:
	s_and_not1_b32 vcc_lo, exec_lo, s3
	s_mov_b32 s3, 0
	s_cbranch_vccnz .LBB95_1985
; %bb.1979:
	s_cmp_gt_i32 s2, 14
	s_mov_b32 s3, -1
	s_cbranch_scc0 .LBB95_1983
; %bb.1980:
	s_cmp_eq_u32 s2, 15
	s_mov_b32 s1, -1
	s_cbranch_scc0 .LBB95_1982
; %bb.1981:
	s_wait_xcnt 0x0
	v_cndmask_b32_e64 v1, 0, 1.0, s0
	s_mov_b32 s1, 0
	s_mov_b32 s7, -1
	s_delay_alu instid0(VALU_DEP_1) | instskip(NEXT) | instid1(VALU_DEP_1)
	v_bfe_u32 v4, v1, 16, 1
	v_add3_u32 v1, v1, v4, 0x7fff
	global_store_d16_hi_b16 v[2:3], v1, off
.LBB95_1982:
	s_mov_b32 s3, 0
.LBB95_1983:
	s_delay_alu instid0(SALU_CYCLE_1)
	s_and_b32 vcc_lo, exec_lo, s3
	s_mov_b32 s3, 0
	s_cbranch_vccz .LBB95_1985
; %bb.1984:
	s_cmp_lg_u32 s2, 11
	s_mov_b32 s3, -1
	s_cselect_b32 s1, -1, 0
.LBB95_1985:
	s_delay_alu instid0(SALU_CYCLE_1)
	s_and_b32 vcc_lo, exec_lo, s1
	s_cbranch_vccnz .LBB95_2165
; %bb.1986:
	s_and_not1_b32 vcc_lo, exec_lo, s3
	s_cbranch_vccnz .LBB95_1988
.LBB95_1987:
	s_wait_xcnt 0x0
	v_cndmask_b32_e64 v1, 0, 1, s0
	s_mov_b32 s7, -1
	global_store_b8 v[2:3], v1, off
.LBB95_1988:
	s_mov_b32 s1, 0
	s_branch .LBB95_1990
.LBB95_1989:
	s_mov_b32 s1, -1
	s_mov_b32 s7, 0
.LBB95_1990:
	s_and_b32 vcc_lo, exec_lo, s1
	s_cbranch_vccz .LBB95_2029
; %bb.1991:
	s_cmp_lt_i32 s2, 5
	s_mov_b32 s1, -1
	s_cbranch_scc1 .LBB95_2012
; %bb.1992:
	s_cmp_lt_i32 s2, 8
	s_cbranch_scc1 .LBB95_2002
; %bb.1993:
	s_cmp_lt_i32 s2, 9
	s_cbranch_scc1 .LBB95_1999
; %bb.1994:
	s_cmp_gt_i32 s2, 9
	s_cbranch_scc0 .LBB95_1996
; %bb.1995:
	s_wait_xcnt 0x0
	v_cndmask_b32_e64 v1, 0, 1, s0
	v_mov_b32_e32 v6, 0
	s_mov_b32 s1, 0
	s_delay_alu instid0(VALU_DEP_2) | instskip(NEXT) | instid1(VALU_DEP_2)
	v_cvt_f64_u32_e32 v[4:5], v1
	v_mov_b32_e32 v7, v6
	global_store_b128 v[2:3], v[4:7], off
.LBB95_1996:
	s_and_not1_b32 vcc_lo, exec_lo, s1
	s_cbranch_vccnz .LBB95_1998
; %bb.1997:
	s_wait_xcnt 0x0
	v_cndmask_b32_e64 v4, 0, 1.0, s0
	v_mov_b32_e32 v5, 0
	global_store_b64 v[2:3], v[4:5], off
.LBB95_1998:
	s_mov_b32 s1, 0
.LBB95_1999:
	s_delay_alu instid0(SALU_CYCLE_1)
	s_and_not1_b32 vcc_lo, exec_lo, s1
	s_cbranch_vccnz .LBB95_2001
; %bb.2000:
	s_wait_xcnt 0x0
	v_cndmask_b32_e64 v1, 0, 1.0, s0
	s_delay_alu instid0(VALU_DEP_1) | instskip(NEXT) | instid1(VALU_DEP_1)
	v_cvt_f16_f32_e32 v1, v1
	v_and_b32_e32 v1, 0xffff, v1
	global_store_b32 v[2:3], v1, off
.LBB95_2001:
	s_mov_b32 s1, 0
.LBB95_2002:
	s_delay_alu instid0(SALU_CYCLE_1)
	s_and_not1_b32 vcc_lo, exec_lo, s1
	s_cbranch_vccnz .LBB95_2011
; %bb.2003:
	s_cmp_lt_i32 s2, 6
	s_mov_b32 s1, -1
	s_cbranch_scc1 .LBB95_2009
; %bb.2004:
	s_cmp_gt_i32 s2, 6
	s_cbranch_scc0 .LBB95_2006
; %bb.2005:
	s_wait_xcnt 0x0
	v_cndmask_b32_e64 v1, 0, 1, s0
	s_mov_b32 s1, 0
	s_delay_alu instid0(VALU_DEP_1)
	v_cvt_f64_u32_e32 v[4:5], v1
	global_store_b64 v[2:3], v[4:5], off
.LBB95_2006:
	s_and_not1_b32 vcc_lo, exec_lo, s1
	s_cbranch_vccnz .LBB95_2008
; %bb.2007:
	s_wait_xcnt 0x0
	v_cndmask_b32_e64 v1, 0, 1.0, s0
	global_store_b32 v[2:3], v1, off
.LBB95_2008:
	s_mov_b32 s1, 0
.LBB95_2009:
	s_delay_alu instid0(SALU_CYCLE_1)
	s_and_not1_b32 vcc_lo, exec_lo, s1
	s_cbranch_vccnz .LBB95_2011
; %bb.2010:
	s_wait_xcnt 0x0
	v_cndmask_b32_e64 v1, 0, 1.0, s0
	s_delay_alu instid0(VALU_DEP_1)
	v_cvt_f16_f32_e32 v1, v1
	global_store_b16 v[2:3], v1, off
.LBB95_2011:
	s_mov_b32 s1, 0
.LBB95_2012:
	s_delay_alu instid0(SALU_CYCLE_1)
	s_and_not1_b32 vcc_lo, exec_lo, s1
	s_cbranch_vccnz .LBB95_2028
; %bb.2013:
	s_cmp_lt_i32 s2, 2
	s_mov_b32 s1, -1
	s_cbranch_scc1 .LBB95_2023
; %bb.2014:
	s_cmp_lt_i32 s2, 3
	s_cbranch_scc1 .LBB95_2020
; %bb.2015:
	s_cmp_gt_i32 s2, 3
	s_cbranch_scc0 .LBB95_2017
; %bb.2016:
	s_mov_b32 s1, 0
	s_wait_xcnt 0x0
	v_cndmask_b32_e64 v4, 0, 1, s0
	v_mov_b32_e32 v5, s1
	global_store_b64 v[2:3], v[4:5], off
.LBB95_2017:
	s_and_not1_b32 vcc_lo, exec_lo, s1
	s_cbranch_vccnz .LBB95_2019
; %bb.2018:
	s_wait_xcnt 0x0
	v_cndmask_b32_e64 v1, 0, 1, s0
	global_store_b32 v[2:3], v1, off
.LBB95_2019:
	s_mov_b32 s1, 0
.LBB95_2020:
	s_delay_alu instid0(SALU_CYCLE_1)
	s_and_not1_b32 vcc_lo, exec_lo, s1
	s_cbranch_vccnz .LBB95_2022
; %bb.2021:
	s_wait_xcnt 0x0
	v_cndmask_b32_e64 v1, 0, 1, s0
	global_store_b16 v[2:3], v1, off
.LBB95_2022:
	s_mov_b32 s1, 0
.LBB95_2023:
	s_delay_alu instid0(SALU_CYCLE_1)
	s_and_not1_b32 vcc_lo, exec_lo, s1
	s_cbranch_vccnz .LBB95_2028
; %bb.2024:
	s_cmp_gt_i32 s2, 0
	s_mov_b32 s1, -1
	s_cbranch_scc0 .LBB95_2026
; %bb.2025:
	s_wait_xcnt 0x0
	v_cndmask_b32_e64 v1, 0, 1, s0
	s_mov_b32 s1, 0
	global_store_b8 v[2:3], v1, off
.LBB95_2026:
	s_and_not1_b32 vcc_lo, exec_lo, s1
	s_cbranch_vccnz .LBB95_2028
; %bb.2027:
	s_wait_xcnt 0x0
	v_cndmask_b32_e64 v1, 0, 1, s0
	global_store_b8 v[2:3], v1, off
.LBB95_2028:
	s_mov_b32 s7, -1
.LBB95_2029:
	s_delay_alu instid0(SALU_CYCLE_1)
	s_and_not1_b32 vcc_lo, exec_lo, s7
	s_cbranch_vccnz .LBB95_2106
; %bb.2030:
	s_wait_xcnt 0x0
	v_dual_mov_b32 v1, 0 :: v_dual_lshlrev_b32 v4, 16, v10
	s_cmp_lt_i32 s2, 11
	s_delay_alu instid0(VALU_DEP_1) | instskip(NEXT) | instid1(VALU_DEP_2)
	v_add_nc_u64_e32 v[2:3], s[4:5], v[0:1]
	v_cmp_eq_f32_e64 s1, 0xff800000, v4
	s_cbranch_scc1 .LBB95_2151
; %bb.2031:
	s_mov_b32 s4, -1
	s_mov_b32 s3, 0
	s_cmp_gt_i32 s2, 25
	s_mov_b32 s0, 0
	s_cbranch_scc0 .LBB95_2064
; %bb.2032:
	s_cmp_gt_i32 s2, 28
	s_cbranch_scc0 .LBB95_2048
; %bb.2033:
	s_cmp_gt_i32 s2, 43
	;; [unrolled: 3-line block ×3, first 2 shown]
	s_cbranch_scc0 .LBB95_2038
; %bb.2035:
	s_cmp_eq_u32 s2, 46
	s_mov_b32 s0, -1
	s_cbranch_scc0 .LBB95_2037
; %bb.2036:
	v_cndmask_b32_e64 v0, 0, 1.0, s1
	s_mov_b32 s0, 0
	s_delay_alu instid0(VALU_DEP_1) | instskip(NEXT) | instid1(VALU_DEP_1)
	v_bfe_u32 v1, v0, 16, 1
	v_add3_u32 v0, v0, v1, 0x7fff
	s_delay_alu instid0(VALU_DEP_1)
	v_lshrrev_b32_e32 v0, 16, v0
	global_store_b32 v[2:3], v0, off
.LBB95_2037:
	s_mov_b32 s4, 0
.LBB95_2038:
	s_delay_alu instid0(SALU_CYCLE_1)
	s_and_b32 vcc_lo, exec_lo, s4
	s_cbranch_vccz .LBB95_2043
; %bb.2039:
	s_cmp_eq_u32 s2, 44
	s_mov_b32 s0, -1
	s_cbranch_scc0 .LBB95_2043
; %bb.2040:
	v_cndmask_b32_e64 v4, 0, 1.0, s1
	s_mov_b32 s4, exec_lo
	s_wait_xcnt 0x0
	s_delay_alu instid0(VALU_DEP_1) | instskip(NEXT) | instid1(VALU_DEP_1)
	v_dual_mov_b32 v1, 0xff :: v_dual_lshrrev_b32 v0, 23, v4
	v_cmpx_ne_u32_e32 0xff, v0
; %bb.2041:
	v_and_b32_e32 v1, 0x400000, v4
	v_and_or_b32 v4, 0x3fffff, v4, v0
	s_delay_alu instid0(VALU_DEP_2) | instskip(NEXT) | instid1(VALU_DEP_2)
	v_cmp_ne_u32_e32 vcc_lo, 0, v1
	v_cmp_ne_u32_e64 s0, 0, v4
	s_and_b32 s0, vcc_lo, s0
	s_delay_alu instid0(SALU_CYCLE_1) | instskip(NEXT) | instid1(VALU_DEP_1)
	v_cndmask_b32_e64 v1, 0, 1, s0
	v_add_nc_u32_e32 v1, v0, v1
; %bb.2042:
	s_or_b32 exec_lo, exec_lo, s4
	s_mov_b32 s0, 0
	global_store_b8 v[2:3], v1, off
.LBB95_2043:
	s_mov_b32 s4, 0
.LBB95_2044:
	s_delay_alu instid0(SALU_CYCLE_1)
	s_and_b32 vcc_lo, exec_lo, s4
	s_cbranch_vccz .LBB95_2047
; %bb.2045:
	s_cmp_eq_u32 s2, 29
	s_mov_b32 s0, -1
	s_cbranch_scc0 .LBB95_2047
; %bb.2046:
	s_mov_b32 s0, 0
	s_wait_xcnt 0x0
	v_cndmask_b32_e64 v0, 0, 1, s1
	v_mov_b32_e32 v1, s0
	global_store_b64 v[2:3], v[0:1], off
.LBB95_2047:
	s_mov_b32 s4, 0
.LBB95_2048:
	s_delay_alu instid0(SALU_CYCLE_1)
	s_and_b32 vcc_lo, exec_lo, s4
	s_cbranch_vccz .LBB95_2063
; %bb.2049:
	s_cmp_lt_i32 s2, 27
	s_mov_b32 s4, -1
	s_cbranch_scc1 .LBB95_2055
; %bb.2050:
	s_cmp_gt_i32 s2, 27
	s_cbranch_scc0 .LBB95_2052
; %bb.2051:
	s_wait_xcnt 0x0
	v_cndmask_b32_e64 v0, 0, 1, s1
	s_mov_b32 s4, 0
	global_store_b32 v[2:3], v0, off
.LBB95_2052:
	s_and_not1_b32 vcc_lo, exec_lo, s4
	s_cbranch_vccnz .LBB95_2054
; %bb.2053:
	s_wait_xcnt 0x0
	v_cndmask_b32_e64 v0, 0, 1, s1
	global_store_b16 v[2:3], v0, off
.LBB95_2054:
	s_mov_b32 s4, 0
.LBB95_2055:
	s_delay_alu instid0(SALU_CYCLE_1)
	s_and_not1_b32 vcc_lo, exec_lo, s4
	s_cbranch_vccnz .LBB95_2063
; %bb.2056:
	s_wait_xcnt 0x0
	v_cndmask_b32_e64 v1, 0, 1.0, s1
	v_mov_b32_e32 v4, 0x80
	s_mov_b32 s4, exec_lo
	s_delay_alu instid0(VALU_DEP_2)
	v_cmpx_gt_u32_e32 0x43800000, v1
	s_cbranch_execz .LBB95_2062
; %bb.2057:
	s_mov_b32 s5, 0
	s_mov_b32 s7, exec_lo
                                        ; implicit-def: $vgpr0
	v_cmpx_lt_u32_e32 0x3bffffff, v1
	s_xor_b32 s7, exec_lo, s7
	s_cbranch_execz .LBB95_2168
; %bb.2058:
	v_bfe_u32 v0, v1, 20, 1
	s_mov_b32 s5, exec_lo
	s_delay_alu instid0(VALU_DEP_1) | instskip(NEXT) | instid1(VALU_DEP_1)
	v_add3_u32 v0, v1, v0, 0x487ffff
                                        ; implicit-def: $vgpr1
	v_lshrrev_b32_e32 v0, 20, v0
	s_and_not1_saveexec_b32 s7, s7
	s_cbranch_execnz .LBB95_2169
.LBB95_2059:
	s_or_b32 exec_lo, exec_lo, s7
	v_mov_b32_e32 v4, 0
	s_and_saveexec_b32 s7, s5
.LBB95_2060:
	v_mov_b32_e32 v4, v0
.LBB95_2061:
	s_or_b32 exec_lo, exec_lo, s7
.LBB95_2062:
	s_delay_alu instid0(SALU_CYCLE_1)
	s_or_b32 exec_lo, exec_lo, s4
	global_store_b8 v[2:3], v4, off
.LBB95_2063:
	s_mov_b32 s4, 0
.LBB95_2064:
	s_delay_alu instid0(SALU_CYCLE_1)
	s_and_b32 vcc_lo, exec_lo, s4
	s_cbranch_vccz .LBB95_2104
; %bb.2065:
	s_cmp_gt_i32 s2, 22
	s_mov_b32 s3, -1
	s_cbranch_scc0 .LBB95_2097
; %bb.2066:
	s_cmp_lt_i32 s2, 24
	s_cbranch_scc1 .LBB95_2086
; %bb.2067:
	s_cmp_gt_i32 s2, 24
	s_cbranch_scc0 .LBB95_2075
; %bb.2068:
	s_wait_xcnt 0x0
	v_cndmask_b32_e64 v1, 0, 1.0, s1
	v_mov_b32_e32 v4, 0x80
	s_mov_b32 s3, exec_lo
	s_delay_alu instid0(VALU_DEP_2)
	v_cmpx_gt_u32_e32 0x47800000, v1
	s_cbranch_execz .LBB95_2074
; %bb.2069:
	s_mov_b32 s4, 0
	s_mov_b32 s5, exec_lo
                                        ; implicit-def: $vgpr0
	v_cmpx_lt_u32_e32 0x37ffffff, v1
	s_xor_b32 s5, exec_lo, s5
	s_cbranch_execz .LBB95_2171
; %bb.2070:
	v_bfe_u32 v0, v1, 21, 1
	s_mov_b32 s4, exec_lo
	s_delay_alu instid0(VALU_DEP_1) | instskip(NEXT) | instid1(VALU_DEP_1)
	v_add3_u32 v0, v1, v0, 0x88fffff
                                        ; implicit-def: $vgpr1
	v_lshrrev_b32_e32 v0, 21, v0
	s_and_not1_saveexec_b32 s5, s5
	s_cbranch_execnz .LBB95_2172
.LBB95_2071:
	s_or_b32 exec_lo, exec_lo, s5
	v_mov_b32_e32 v4, 0
	s_and_saveexec_b32 s5, s4
.LBB95_2072:
	v_mov_b32_e32 v4, v0
.LBB95_2073:
	s_or_b32 exec_lo, exec_lo, s5
.LBB95_2074:
	s_delay_alu instid0(SALU_CYCLE_1)
	s_or_b32 exec_lo, exec_lo, s3
	s_mov_b32 s3, 0
	global_store_b8 v[2:3], v4, off
.LBB95_2075:
	s_and_b32 vcc_lo, exec_lo, s3
	s_cbranch_vccz .LBB95_2085
; %bb.2076:
	s_wait_xcnt 0x0
	v_cndmask_b32_e64 v1, 0, 1.0, s1
	s_mov_b32 s3, exec_lo
                                        ; implicit-def: $vgpr0
	s_delay_alu instid0(VALU_DEP_1)
	v_cmpx_gt_u32_e32 0x43f00000, v1
	s_xor_b32 s3, exec_lo, s3
	s_cbranch_execz .LBB95_2082
; %bb.2077:
	s_mov_b32 s4, exec_lo
                                        ; implicit-def: $vgpr0
	v_cmpx_lt_u32_e32 0x3c7fffff, v1
	s_xor_b32 s4, exec_lo, s4
; %bb.2078:
	v_bfe_u32 v0, v1, 20, 1
	s_delay_alu instid0(VALU_DEP_1) | instskip(NEXT) | instid1(VALU_DEP_1)
	v_add3_u32 v0, v1, v0, 0x407ffff
	v_and_b32_e32 v1, 0xff00000, v0
	v_lshrrev_b32_e32 v0, 20, v0
	s_delay_alu instid0(VALU_DEP_2) | instskip(NEXT) | instid1(VALU_DEP_2)
	v_cmp_ne_u32_e32 vcc_lo, 0x7f00000, v1
                                        ; implicit-def: $vgpr1
	v_cndmask_b32_e32 v0, 0x7e, v0, vcc_lo
; %bb.2079:
	s_and_not1_saveexec_b32 s4, s4
; %bb.2080:
	v_add_f32_e32 v0, 0x46800000, v1
; %bb.2081:
	s_or_b32 exec_lo, exec_lo, s4
                                        ; implicit-def: $vgpr1
.LBB95_2082:
	s_and_not1_saveexec_b32 s3, s3
; %bb.2083:
	v_mov_b32_e32 v0, 0x7f
	v_cmp_lt_u32_e32 vcc_lo, 0x7f800000, v1
	s_delay_alu instid0(VALU_DEP_2)
	v_cndmask_b32_e32 v0, 0x7e, v0, vcc_lo
; %bb.2084:
	s_or_b32 exec_lo, exec_lo, s3
	global_store_b8 v[2:3], v0, off
.LBB95_2085:
	s_mov_b32 s3, 0
.LBB95_2086:
	s_delay_alu instid0(SALU_CYCLE_1)
	s_and_not1_b32 vcc_lo, exec_lo, s3
	s_cbranch_vccnz .LBB95_2096
; %bb.2087:
	s_wait_xcnt 0x0
	v_cndmask_b32_e64 v1, 0, 1.0, s1
	s_mov_b32 s3, exec_lo
                                        ; implicit-def: $vgpr0
	s_delay_alu instid0(VALU_DEP_1)
	v_cmpx_gt_u32_e32 0x47800000, v1
	s_xor_b32 s3, exec_lo, s3
	s_cbranch_execz .LBB95_2093
; %bb.2088:
	s_mov_b32 s4, exec_lo
                                        ; implicit-def: $vgpr0
	v_cmpx_lt_u32_e32 0x387fffff, v1
	s_xor_b32 s4, exec_lo, s4
; %bb.2089:
	v_bfe_u32 v0, v1, 21, 1
	s_delay_alu instid0(VALU_DEP_1) | instskip(NEXT) | instid1(VALU_DEP_1)
	v_add3_u32 v0, v1, v0, 0x80fffff
                                        ; implicit-def: $vgpr1
	v_lshrrev_b32_e32 v0, 21, v0
; %bb.2090:
	s_and_not1_saveexec_b32 s4, s4
; %bb.2091:
	v_add_f32_e32 v0, 0x43000000, v1
; %bb.2092:
	s_or_b32 exec_lo, exec_lo, s4
                                        ; implicit-def: $vgpr1
.LBB95_2093:
	s_and_not1_saveexec_b32 s3, s3
; %bb.2094:
	v_mov_b32_e32 v0, 0x7f
	v_cmp_lt_u32_e32 vcc_lo, 0x7f800000, v1
	s_delay_alu instid0(VALU_DEP_2)
	v_cndmask_b32_e32 v0, 0x7c, v0, vcc_lo
; %bb.2095:
	s_or_b32 exec_lo, exec_lo, s3
	global_store_b8 v[2:3], v0, off
.LBB95_2096:
	s_mov_b32 s3, 0
.LBB95_2097:
	s_delay_alu instid0(SALU_CYCLE_1)
	s_and_not1_b32 vcc_lo, exec_lo, s3
	s_mov_b32 s3, 0
	s_cbranch_vccnz .LBB95_2104
; %bb.2098:
	s_cmp_gt_i32 s2, 14
	s_mov_b32 s3, -1
	s_cbranch_scc0 .LBB95_2102
; %bb.2099:
	s_cmp_eq_u32 s2, 15
	s_mov_b32 s0, -1
	s_cbranch_scc0 .LBB95_2101
; %bb.2100:
	s_wait_xcnt 0x0
	v_cndmask_b32_e64 v0, 0, 1.0, s1
	s_mov_b32 s0, 0
	s_delay_alu instid0(VALU_DEP_1) | instskip(NEXT) | instid1(VALU_DEP_1)
	v_bfe_u32 v1, v0, 16, 1
	v_add3_u32 v0, v0, v1, 0x7fff
	global_store_d16_hi_b16 v[2:3], v0, off
.LBB95_2101:
	s_mov_b32 s3, 0
.LBB95_2102:
	s_delay_alu instid0(SALU_CYCLE_1)
	s_and_b32 vcc_lo, exec_lo, s3
	s_mov_b32 s3, 0
	s_cbranch_vccz .LBB95_2104
; %bb.2103:
	s_cmp_lg_u32 s2, 11
	s_mov_b32 s3, -1
	s_cselect_b32 s0, -1, 0
.LBB95_2104:
	s_delay_alu instid0(SALU_CYCLE_1)
	s_and_b32 vcc_lo, exec_lo, s0
	s_cbranch_vccnz .LBB95_2170
.LBB95_2105:
	s_mov_b32 s0, 0
	s_branch .LBB95_2107
.LBB95_2106:
	s_mov_b32 s0, 0
	s_mov_b32 s3, 0
                                        ; implicit-def: $sgpr1
                                        ; implicit-def: $vgpr2_vgpr3
                                        ; implicit-def: $sgpr6
.LBB95_2107:
	s_and_not1_b32 s2, s8, exec_lo
	s_and_b32 s4, s10, exec_lo
	s_and_b32 s0, s0, exec_lo
	;; [unrolled: 1-line block ×3, first 2 shown]
	s_or_b32 s8, s2, s4
.LBB95_2108:
	s_wait_xcnt 0x0
	s_or_b32 exec_lo, exec_lo, s9
	s_and_saveexec_b32 s2, s8
	s_cbranch_execz .LBB95_2111
; %bb.2109:
	; divergent unreachable
	s_or_b32 exec_lo, exec_lo, s2
	s_and_saveexec_b32 s2, s30
	s_delay_alu instid0(SALU_CYCLE_1)
	s_xor_b32 s2, exec_lo, s2
	s_cbranch_execnz .LBB95_2112
.LBB95_2110:
	s_or_b32 exec_lo, exec_lo, s2
	s_and_saveexec_b32 s2, s0
	s_cbranch_execnz .LBB95_2113
	s_branch .LBB95_2150
.LBB95_2111:
	s_or_b32 exec_lo, exec_lo, s2
	s_and_saveexec_b32 s2, s30
	s_delay_alu instid0(SALU_CYCLE_1)
	s_xor_b32 s2, exec_lo, s2
	s_cbranch_execz .LBB95_2110
.LBB95_2112:
	v_cndmask_b32_e64 v0, 0, 1, s1
	s_wait_loadcnt 0x0
	global_store_b8 v[2:3], v0, off
	s_wait_xcnt 0x0
	s_or_b32 exec_lo, exec_lo, s2
	s_and_saveexec_b32 s2, s0
	s_cbranch_execz .LBB95_2150
.LBB95_2113:
	s_sext_i32_i16 s2, s6
	s_mov_b32 s0, -1
	s_cmp_lt_i32 s2, 5
	s_cbranch_scc1 .LBB95_2134
; %bb.2114:
	s_cmp_lt_i32 s2, 8
	s_cbranch_scc1 .LBB95_2124
; %bb.2115:
	;; [unrolled: 3-line block ×3, first 2 shown]
	s_cmp_gt_i32 s2, 9
	s_cbranch_scc0 .LBB95_2118
; %bb.2117:
	v_cndmask_b32_e64 v0, 0, 1, s1
	s_wait_loadcnt 0x0
	v_mov_b32_e32 v6, 0
	s_mov_b32 s0, 0
	s_delay_alu instid0(VALU_DEP_2) | instskip(NEXT) | instid1(VALU_DEP_2)
	v_cvt_f64_u32_e32 v[4:5], v0
	v_mov_b32_e32 v7, v6
	global_store_b128 v[2:3], v[4:7], off
.LBB95_2118:
	s_and_not1_b32 vcc_lo, exec_lo, s0
	s_cbranch_vccnz .LBB95_2120
; %bb.2119:
	v_cndmask_b32_e64 v0, 0, 1.0, s1
	s_wait_loadcnt 0x0
	v_mov_b32_e32 v1, 0
	global_store_b64 v[2:3], v[0:1], off
.LBB95_2120:
	s_mov_b32 s0, 0
.LBB95_2121:
	s_delay_alu instid0(SALU_CYCLE_1)
	s_and_not1_b32 vcc_lo, exec_lo, s0
	s_cbranch_vccnz .LBB95_2123
; %bb.2122:
	s_wait_xcnt 0x0
	v_cndmask_b32_e64 v0, 0, 1.0, s1
	s_delay_alu instid0(VALU_DEP_1) | instskip(NEXT) | instid1(VALU_DEP_1)
	v_cvt_f16_f32_e32 v0, v0
	v_and_b32_e32 v0, 0xffff, v0
	s_wait_loadcnt 0x0
	global_store_b32 v[2:3], v0, off
.LBB95_2123:
	s_mov_b32 s0, 0
.LBB95_2124:
	s_delay_alu instid0(SALU_CYCLE_1)
	s_and_not1_b32 vcc_lo, exec_lo, s0
	s_cbranch_vccnz .LBB95_2133
; %bb.2125:
	s_sext_i32_i16 s2, s6
	s_mov_b32 s0, -1
	s_cmp_lt_i32 s2, 6
	s_cbranch_scc1 .LBB95_2131
; %bb.2126:
	s_cmp_gt_i32 s2, 6
	s_cbranch_scc0 .LBB95_2128
; %bb.2127:
	s_wait_xcnt 0x0
	v_cndmask_b32_e64 v0, 0, 1, s1
	s_mov_b32 s0, 0
	s_wait_loadcnt 0x0
	s_delay_alu instid0(VALU_DEP_1)
	v_cvt_f64_u32_e32 v[0:1], v0
	global_store_b64 v[2:3], v[0:1], off
.LBB95_2128:
	s_and_not1_b32 vcc_lo, exec_lo, s0
	s_cbranch_vccnz .LBB95_2130
; %bb.2129:
	s_wait_xcnt 0x0
	v_cndmask_b32_e64 v0, 0, 1.0, s1
	s_wait_loadcnt 0x0
	global_store_b32 v[2:3], v0, off
.LBB95_2130:
	s_mov_b32 s0, 0
.LBB95_2131:
	s_delay_alu instid0(SALU_CYCLE_1)
	s_and_not1_b32 vcc_lo, exec_lo, s0
	s_cbranch_vccnz .LBB95_2133
; %bb.2132:
	s_wait_xcnt 0x0
	v_cndmask_b32_e64 v0, 0, 1.0, s1
	s_delay_alu instid0(VALU_DEP_1)
	v_cvt_f16_f32_e32 v0, v0
	s_wait_loadcnt 0x0
	global_store_b16 v[2:3], v0, off
.LBB95_2133:
	s_mov_b32 s0, 0
.LBB95_2134:
	s_delay_alu instid0(SALU_CYCLE_1)
	s_and_not1_b32 vcc_lo, exec_lo, s0
	s_cbranch_vccnz .LBB95_2150
; %bb.2135:
	s_sext_i32_i16 s2, s6
	s_mov_b32 s0, -1
	s_cmp_lt_i32 s2, 2
	s_cbranch_scc1 .LBB95_2145
; %bb.2136:
	s_cmp_lt_i32 s2, 3
	s_cbranch_scc1 .LBB95_2142
; %bb.2137:
	s_cmp_gt_i32 s2, 3
	s_cbranch_scc0 .LBB95_2139
; %bb.2138:
	s_mov_b32 s0, 0
	s_wait_xcnt 0x0
	v_cndmask_b32_e64 v0, 0, 1, s1
	s_wait_loadcnt 0x0
	v_mov_b32_e32 v1, s0
	global_store_b64 v[2:3], v[0:1], off
.LBB95_2139:
	s_and_not1_b32 vcc_lo, exec_lo, s0
	s_cbranch_vccnz .LBB95_2141
; %bb.2140:
	s_wait_xcnt 0x0
	v_cndmask_b32_e64 v0, 0, 1, s1
	s_wait_loadcnt 0x0
	global_store_b32 v[2:3], v0, off
.LBB95_2141:
	s_mov_b32 s0, 0
.LBB95_2142:
	s_delay_alu instid0(SALU_CYCLE_1)
	s_and_not1_b32 vcc_lo, exec_lo, s0
	s_cbranch_vccnz .LBB95_2144
; %bb.2143:
	s_wait_xcnt 0x0
	v_cndmask_b32_e64 v0, 0, 1, s1
	s_wait_loadcnt 0x0
	global_store_b16 v[2:3], v0, off
.LBB95_2144:
	s_mov_b32 s0, 0
.LBB95_2145:
	s_delay_alu instid0(SALU_CYCLE_1)
	s_and_not1_b32 vcc_lo, exec_lo, s0
	s_cbranch_vccnz .LBB95_2150
; %bb.2146:
	s_sext_i32_i16 s0, s6
	s_delay_alu instid0(SALU_CYCLE_1)
	s_cmp_gt_i32 s0, 0
	s_mov_b32 s0, -1
	s_cbranch_scc0 .LBB95_2148
; %bb.2147:
	s_wait_xcnt 0x0
	v_cndmask_b32_e64 v0, 0, 1, s1
	s_mov_b32 s0, 0
	s_wait_loadcnt 0x0
	global_store_b8 v[2:3], v0, off
.LBB95_2148:
	s_and_not1_b32 vcc_lo, exec_lo, s0
	s_cbranch_vccnz .LBB95_2150
; %bb.2149:
	s_wait_xcnt 0x0
	v_cndmask_b32_e64 v0, 0, 1, s1
	s_wait_loadcnt 0x0
	global_store_b8 v[2:3], v0, off
	s_endpgm
.LBB95_2150:
	s_endpgm
.LBB95_2151:
	s_mov_b32 s3, 0
	s_mov_b32 s0, -1
	s_branch .LBB95_2107
.LBB95_2152:
	s_or_b32 s10, s10, exec_lo
	s_trap 2
	s_cbranch_execz .LBB95_1621
	s_branch .LBB95_1622
.LBB95_2153:
	s_and_not1_saveexec_b32 s12, s12
	s_cbranch_execz .LBB95_1701
.LBB95_2154:
	v_add_f32_e32 v1, 0x46000000, v5
	s_and_not1_b32 s11, s11, exec_lo
	s_delay_alu instid0(VALU_DEP_1) | instskip(NEXT) | instid1(VALU_DEP_1)
	v_and_b32_e32 v1, 0xff, v1
	v_cmp_ne_u32_e32 vcc_lo, 0, v1
	s_and_b32 s13, vcc_lo, exec_lo
	s_delay_alu instid0(SALU_CYCLE_1)
	s_or_b32 s11, s11, s13
	s_or_b32 exec_lo, exec_lo, s12
	v_mov_b32_e32 v8, 0
	s_and_saveexec_b32 s12, s11
	s_cbranch_execnz .LBB95_1702
	s_branch .LBB95_1703
.LBB95_2155:
	s_or_b32 s10, s10, exec_lo
	s_trap 2
	s_cbranch_execz .LBB95_1749
	s_branch .LBB95_1750
.LBB95_2156:
	s_and_not1_saveexec_b32 s11, s11
	s_cbranch_execz .LBB95_1714
.LBB95_2157:
	v_add_f32_e32 v1, 0x42800000, v5
	s_and_not1_b32 s7, s7, exec_lo
	s_delay_alu instid0(VALU_DEP_1) | instskip(NEXT) | instid1(VALU_DEP_1)
	v_and_b32_e32 v1, 0xff, v1
	v_cmp_ne_u32_e32 vcc_lo, 0, v1
	s_and_b32 s12, vcc_lo, exec_lo
	s_delay_alu instid0(SALU_CYCLE_1)
	s_or_b32 s7, s7, s12
	s_or_b32 exec_lo, exec_lo, s11
	v_mov_b32_e32 v8, 0
	s_and_saveexec_b32 s11, s7
	s_cbranch_execnz .LBB95_1715
	s_branch .LBB95_1716
.LBB95_2158:
	s_and_not1_saveexec_b32 s12, s12
	s_cbranch_execz .LBB95_1820
.LBB95_2159:
	v_add_f32_e32 v1, 0x46000000, v3
	s_and_not1_b32 s11, s11, exec_lo
	s_delay_alu instid0(VALU_DEP_1) | instskip(NEXT) | instid1(VALU_DEP_1)
	v_and_b32_e32 v1, 0xff, v1
	v_cmp_ne_u32_e32 vcc_lo, 0, v1
	s_and_b32 s13, vcc_lo, exec_lo
	s_delay_alu instid0(SALU_CYCLE_1)
	s_or_b32 s11, s11, s13
	s_or_b32 exec_lo, exec_lo, s12
	v_mov_b32_e32 v6, 0
	s_and_saveexec_b32 s12, s11
	s_cbranch_execnz .LBB95_1821
	s_branch .LBB95_1822
.LBB95_2160:
	s_or_b32 s10, s10, exec_lo
	s_trap 2
	s_cbranch_execz .LBB95_1868
	s_branch .LBB95_1869
.LBB95_2161:
	s_and_not1_saveexec_b32 s11, s11
	s_cbranch_execz .LBB95_1833
.LBB95_2162:
	v_add_f32_e32 v1, 0x42800000, v3
	s_and_not1_b32 s7, s7, exec_lo
	s_delay_alu instid0(VALU_DEP_1) | instskip(NEXT) | instid1(VALU_DEP_1)
	v_and_b32_e32 v1, 0xff, v1
	v_cmp_ne_u32_e32 vcc_lo, 0, v1
	s_and_b32 s12, vcc_lo, exec_lo
	s_delay_alu instid0(SALU_CYCLE_1)
	s_or_b32 s7, s7, s12
	s_or_b32 exec_lo, exec_lo, s11
	v_mov_b32_e32 v6, 0
	s_and_saveexec_b32 s11, s7
	s_cbranch_execnz .LBB95_1834
	s_branch .LBB95_1835
.LBB95_2163:
	s_and_not1_saveexec_b32 s12, s12
	s_cbranch_execz .LBB95_1939
.LBB95_2164:
	v_add_f32_e32 v1, 0x46000000, v4
	s_and_not1_b32 s11, s11, exec_lo
	s_delay_alu instid0(VALU_DEP_1) | instskip(NEXT) | instid1(VALU_DEP_1)
	v_and_b32_e32 v1, 0xff, v1
	v_cmp_ne_u32_e32 vcc_lo, 0, v1
	s_and_b32 s13, vcc_lo, exec_lo
	s_delay_alu instid0(SALU_CYCLE_1)
	s_or_b32 s11, s11, s13
	s_or_b32 exec_lo, exec_lo, s12
	v_mov_b32_e32 v5, 0
	s_and_saveexec_b32 s12, s11
	s_cbranch_execnz .LBB95_1940
	s_branch .LBB95_1941
.LBB95_2165:
	s_or_b32 s10, s10, exec_lo
	s_trap 2
	s_cbranch_execz .LBB95_1987
	s_branch .LBB95_1988
.LBB95_2166:
	s_and_not1_saveexec_b32 s11, s11
	s_cbranch_execz .LBB95_1952
.LBB95_2167:
	v_add_f32_e32 v1, 0x42800000, v4
	s_and_not1_b32 s7, s7, exec_lo
	s_delay_alu instid0(VALU_DEP_1) | instskip(NEXT) | instid1(VALU_DEP_1)
	v_and_b32_e32 v1, 0xff, v1
	v_cmp_ne_u32_e32 vcc_lo, 0, v1
	s_and_b32 s12, vcc_lo, exec_lo
	s_delay_alu instid0(SALU_CYCLE_1)
	s_or_b32 s7, s7, s12
	s_or_b32 exec_lo, exec_lo, s11
	v_mov_b32_e32 v5, 0
	s_and_saveexec_b32 s11, s7
	s_cbranch_execnz .LBB95_1953
	s_branch .LBB95_1954
.LBB95_2168:
	s_and_not1_saveexec_b32 s7, s7
	s_cbranch_execz .LBB95_2059
.LBB95_2169:
	v_add_f32_e32 v0, 0x46000000, v1
	s_and_not1_b32 s5, s5, exec_lo
	s_delay_alu instid0(VALU_DEP_1) | instskip(NEXT) | instid1(VALU_DEP_1)
	v_and_b32_e32 v0, 0xff, v0
	v_cmp_ne_u32_e32 vcc_lo, 0, v0
	s_and_b32 s11, vcc_lo, exec_lo
	s_delay_alu instid0(SALU_CYCLE_1)
	s_or_b32 s5, s5, s11
	s_or_b32 exec_lo, exec_lo, s7
	v_mov_b32_e32 v4, 0
	s_and_saveexec_b32 s7, s5
	s_cbranch_execnz .LBB95_2060
	s_branch .LBB95_2061
.LBB95_2170:
	s_mov_b32 s3, 0
	s_or_b32 s10, s10, exec_lo
	s_trap 2
	s_branch .LBB95_2105
.LBB95_2171:
	s_and_not1_saveexec_b32 s5, s5
	s_cbranch_execz .LBB95_2071
.LBB95_2172:
	v_add_f32_e32 v0, 0x42800000, v1
	s_and_not1_b32 s4, s4, exec_lo
	s_delay_alu instid0(VALU_DEP_1) | instskip(NEXT) | instid1(VALU_DEP_1)
	v_and_b32_e32 v0, 0xff, v0
	v_cmp_ne_u32_e32 vcc_lo, 0, v0
	s_and_b32 s7, vcc_lo, exec_lo
	s_delay_alu instid0(SALU_CYCLE_1)
	s_or_b32 s4, s4, s7
	s_or_b32 exec_lo, exec_lo, s5
	v_mov_b32_e32 v4, 0
	s_and_saveexec_b32 s5, s4
	s_cbranch_execnz .LBB95_2072
	s_branch .LBB95_2073
	.section	.rodata,"a",@progbits
	.p2align	6, 0x0
	.amdhsa_kernel _ZN2at6native32elementwise_kernel_manual_unrollILi128ELi4EZNS0_15gpu_kernel_implIZZZNS0_12_GLOBAL__N_120isneginf_kernel_implERNS_18TensorIteratorBaseEENKUlvE_clEvENKUlvE2_clEvEUlN3c108BFloat16EE_EEvS5_RKT_EUlibE0_EEviT1_
		.amdhsa_group_segment_fixed_size 0
		.amdhsa_private_segment_fixed_size 0
		.amdhsa_kernarg_size 360
		.amdhsa_user_sgpr_count 2
		.amdhsa_user_sgpr_dispatch_ptr 0
		.amdhsa_user_sgpr_queue_ptr 0
		.amdhsa_user_sgpr_kernarg_segment_ptr 1
		.amdhsa_user_sgpr_dispatch_id 0
		.amdhsa_user_sgpr_kernarg_preload_length 0
		.amdhsa_user_sgpr_kernarg_preload_offset 0
		.amdhsa_user_sgpr_private_segment_size 0
		.amdhsa_wavefront_size32 1
		.amdhsa_uses_dynamic_stack 0
		.amdhsa_enable_private_segment 0
		.amdhsa_system_sgpr_workgroup_id_x 1
		.amdhsa_system_sgpr_workgroup_id_y 0
		.amdhsa_system_sgpr_workgroup_id_z 0
		.amdhsa_system_sgpr_workgroup_info 0
		.amdhsa_system_vgpr_workitem_id 0
		.amdhsa_next_free_vgpr 18
		.amdhsa_next_free_sgpr 68
		.amdhsa_named_barrier_count 0
		.amdhsa_reserve_vcc 1
		.amdhsa_float_round_mode_32 0
		.amdhsa_float_round_mode_16_64 0
		.amdhsa_float_denorm_mode_32 3
		.amdhsa_float_denorm_mode_16_64 3
		.amdhsa_fp16_overflow 0
		.amdhsa_memory_ordered 1
		.amdhsa_forward_progress 1
		.amdhsa_inst_pref_size 255
		.amdhsa_round_robin_scheduling 0
		.amdhsa_exception_fp_ieee_invalid_op 0
		.amdhsa_exception_fp_denorm_src 0
		.amdhsa_exception_fp_ieee_div_zero 0
		.amdhsa_exception_fp_ieee_overflow 0
		.amdhsa_exception_fp_ieee_underflow 0
		.amdhsa_exception_fp_ieee_inexact 0
		.amdhsa_exception_int_div_zero 0
	.end_amdhsa_kernel
	.section	.text._ZN2at6native32elementwise_kernel_manual_unrollILi128ELi4EZNS0_15gpu_kernel_implIZZZNS0_12_GLOBAL__N_120isneginf_kernel_implERNS_18TensorIteratorBaseEENKUlvE_clEvENKUlvE2_clEvEUlN3c108BFloat16EE_EEvS5_RKT_EUlibE0_EEviT1_,"axG",@progbits,_ZN2at6native32elementwise_kernel_manual_unrollILi128ELi4EZNS0_15gpu_kernel_implIZZZNS0_12_GLOBAL__N_120isneginf_kernel_implERNS_18TensorIteratorBaseEENKUlvE_clEvENKUlvE2_clEvEUlN3c108BFloat16EE_EEvS5_RKT_EUlibE0_EEviT1_,comdat
.Lfunc_end95:
	.size	_ZN2at6native32elementwise_kernel_manual_unrollILi128ELi4EZNS0_15gpu_kernel_implIZZZNS0_12_GLOBAL__N_120isneginf_kernel_implERNS_18TensorIteratorBaseEENKUlvE_clEvENKUlvE2_clEvEUlN3c108BFloat16EE_EEvS5_RKT_EUlibE0_EEviT1_, .Lfunc_end95-_ZN2at6native32elementwise_kernel_manual_unrollILi128ELi4EZNS0_15gpu_kernel_implIZZZNS0_12_GLOBAL__N_120isneginf_kernel_implERNS_18TensorIteratorBaseEENKUlvE_clEvENKUlvE2_clEvEUlN3c108BFloat16EE_EEvS5_RKT_EUlibE0_EEviT1_
                                        ; -- End function
	.set _ZN2at6native32elementwise_kernel_manual_unrollILi128ELi4EZNS0_15gpu_kernel_implIZZZNS0_12_GLOBAL__N_120isneginf_kernel_implERNS_18TensorIteratorBaseEENKUlvE_clEvENKUlvE2_clEvEUlN3c108BFloat16EE_EEvS5_RKT_EUlibE0_EEviT1_.num_vgpr, 18
	.set _ZN2at6native32elementwise_kernel_manual_unrollILi128ELi4EZNS0_15gpu_kernel_implIZZZNS0_12_GLOBAL__N_120isneginf_kernel_implERNS_18TensorIteratorBaseEENKUlvE_clEvENKUlvE2_clEvEUlN3c108BFloat16EE_EEvS5_RKT_EUlibE0_EEviT1_.num_agpr, 0
	.set _ZN2at6native32elementwise_kernel_manual_unrollILi128ELi4EZNS0_15gpu_kernel_implIZZZNS0_12_GLOBAL__N_120isneginf_kernel_implERNS_18TensorIteratorBaseEENKUlvE_clEvENKUlvE2_clEvEUlN3c108BFloat16EE_EEvS5_RKT_EUlibE0_EEviT1_.numbered_sgpr, 68
	.set _ZN2at6native32elementwise_kernel_manual_unrollILi128ELi4EZNS0_15gpu_kernel_implIZZZNS0_12_GLOBAL__N_120isneginf_kernel_implERNS_18TensorIteratorBaseEENKUlvE_clEvENKUlvE2_clEvEUlN3c108BFloat16EE_EEvS5_RKT_EUlibE0_EEviT1_.num_named_barrier, 0
	.set _ZN2at6native32elementwise_kernel_manual_unrollILi128ELi4EZNS0_15gpu_kernel_implIZZZNS0_12_GLOBAL__N_120isneginf_kernel_implERNS_18TensorIteratorBaseEENKUlvE_clEvENKUlvE2_clEvEUlN3c108BFloat16EE_EEvS5_RKT_EUlibE0_EEviT1_.private_seg_size, 0
	.set _ZN2at6native32elementwise_kernel_manual_unrollILi128ELi4EZNS0_15gpu_kernel_implIZZZNS0_12_GLOBAL__N_120isneginf_kernel_implERNS_18TensorIteratorBaseEENKUlvE_clEvENKUlvE2_clEvEUlN3c108BFloat16EE_EEvS5_RKT_EUlibE0_EEviT1_.uses_vcc, 1
	.set _ZN2at6native32elementwise_kernel_manual_unrollILi128ELi4EZNS0_15gpu_kernel_implIZZZNS0_12_GLOBAL__N_120isneginf_kernel_implERNS_18TensorIteratorBaseEENKUlvE_clEvENKUlvE2_clEvEUlN3c108BFloat16EE_EEvS5_RKT_EUlibE0_EEviT1_.uses_flat_scratch, 0
	.set _ZN2at6native32elementwise_kernel_manual_unrollILi128ELi4EZNS0_15gpu_kernel_implIZZZNS0_12_GLOBAL__N_120isneginf_kernel_implERNS_18TensorIteratorBaseEENKUlvE_clEvENKUlvE2_clEvEUlN3c108BFloat16EE_EEvS5_RKT_EUlibE0_EEviT1_.has_dyn_sized_stack, 0
	.set _ZN2at6native32elementwise_kernel_manual_unrollILi128ELi4EZNS0_15gpu_kernel_implIZZZNS0_12_GLOBAL__N_120isneginf_kernel_implERNS_18TensorIteratorBaseEENKUlvE_clEvENKUlvE2_clEvEUlN3c108BFloat16EE_EEvS5_RKT_EUlibE0_EEviT1_.has_recursion, 0
	.set _ZN2at6native32elementwise_kernel_manual_unrollILi128ELi4EZNS0_15gpu_kernel_implIZZZNS0_12_GLOBAL__N_120isneginf_kernel_implERNS_18TensorIteratorBaseEENKUlvE_clEvENKUlvE2_clEvEUlN3c108BFloat16EE_EEvS5_RKT_EUlibE0_EEviT1_.has_indirect_call, 0
	.section	.AMDGPU.csdata,"",@progbits
; Kernel info:
; codeLenInByte = 47840
; TotalNumSgprs: 70
; NumVgprs: 18
; ScratchSize: 0
; MemoryBound: 0
; FloatMode: 240
; IeeeMode: 1
; LDSByteSize: 0 bytes/workgroup (compile time only)
; SGPRBlocks: 0
; VGPRBlocks: 1
; NumSGPRsForWavesPerEU: 70
; NumVGPRsForWavesPerEU: 18
; NamedBarCnt: 0
; Occupancy: 16
; WaveLimiterHint : 1
; COMPUTE_PGM_RSRC2:SCRATCH_EN: 0
; COMPUTE_PGM_RSRC2:USER_SGPR: 2
; COMPUTE_PGM_RSRC2:TRAP_HANDLER: 0
; COMPUTE_PGM_RSRC2:TGID_X_EN: 1
; COMPUTE_PGM_RSRC2:TGID_Y_EN: 0
; COMPUTE_PGM_RSRC2:TGID_Z_EN: 0
; COMPUTE_PGM_RSRC2:TIDIG_COMP_CNT: 0
	.section	.text._ZN2at6native29vectorized_elementwise_kernelILi16EZZZNS0_12_GLOBAL__N_117clamp_kernel_implERNS_18TensorIteratorBaseEENKUlvE_clEvENKUlvE_clEvEUlhhhE_St5arrayIPcLm4EEEEviT0_T1_,"axG",@progbits,_ZN2at6native29vectorized_elementwise_kernelILi16EZZZNS0_12_GLOBAL__N_117clamp_kernel_implERNS_18TensorIteratorBaseEENKUlvE_clEvENKUlvE_clEvEUlhhhE_St5arrayIPcLm4EEEEviT0_T1_,comdat
	.globl	_ZN2at6native29vectorized_elementwise_kernelILi16EZZZNS0_12_GLOBAL__N_117clamp_kernel_implERNS_18TensorIteratorBaseEENKUlvE_clEvENKUlvE_clEvEUlhhhE_St5arrayIPcLm4EEEEviT0_T1_ ; -- Begin function _ZN2at6native29vectorized_elementwise_kernelILi16EZZZNS0_12_GLOBAL__N_117clamp_kernel_implERNS_18TensorIteratorBaseEENKUlvE_clEvENKUlvE_clEvEUlhhhE_St5arrayIPcLm4EEEEviT0_T1_
	.p2align	8
	.type	_ZN2at6native29vectorized_elementwise_kernelILi16EZZZNS0_12_GLOBAL__N_117clamp_kernel_implERNS_18TensorIteratorBaseEENKUlvE_clEvENKUlvE_clEvEUlhhhE_St5arrayIPcLm4EEEEviT0_T1_,@function
_ZN2at6native29vectorized_elementwise_kernelILi16EZZZNS0_12_GLOBAL__N_117clamp_kernel_implERNS_18TensorIteratorBaseEENKUlvE_clEvENKUlvE_clEvEUlhhhE_St5arrayIPcLm4EEEEviT0_T1_: ; @_ZN2at6native29vectorized_elementwise_kernelILi16EZZZNS0_12_GLOBAL__N_117clamp_kernel_implERNS_18TensorIteratorBaseEENKUlvE_clEvENKUlvE_clEvEUlhhhE_St5arrayIPcLm4EEEEviT0_T1_
; %bb.0:
	s_clause 0x1
	s_load_b32 s3, s[0:1], 0x0
	s_load_b256 s[4:11], s[0:1], 0x8
	s_wait_xcnt 0x0
	s_bfe_u32 s0, ttmp6, 0x4000c
	s_and_b32 s1, ttmp6, 15
	s_add_co_i32 s0, s0, 1
	s_getreg_b32 s2, hwreg(HW_REG_IB_STS2, 6, 4)
	s_mul_i32 s0, ttmp9, s0
	s_delay_alu instid0(SALU_CYCLE_1) | instskip(SKIP_2) | instid1(SALU_CYCLE_1)
	s_add_co_i32 s1, s1, s0
	s_cmp_eq_u32 s2, 0
	s_cselect_b32 s0, ttmp9, s1
	s_lshl_b32 s2, s0, 12
	s_mov_b32 s0, -1
	s_wait_kmcnt 0x0
	s_sub_co_i32 s1, s3, s2
	s_delay_alu instid0(SALU_CYCLE_1)
	s_cmp_gt_i32 s1, 0xfff
	s_cbranch_scc0 .LBB96_2
; %bb.1:
	s_ashr_i32 s3, s2, 31
	s_mov_b32 s0, 0
	s_add_nc_u64 s[12:13], s[6:7], s[2:3]
	global_load_b128 v[2:5], v0, s[12:13] scale_offset
	s_wait_xcnt 0x0
	s_add_nc_u64 s[12:13], s[8:9], s[2:3]
	global_load_b128 v[6:9], v0, s[12:13] scale_offset
	s_wait_xcnt 0x0
	;; [unrolled: 3-line block ×3, first 2 shown]
	s_add_nc_u64 s[12:13], s[4:5], s[2:3]
	s_wait_loadcnt 0x2
	v_lshrrev_b16 v14, 8, v3
	v_and_b32_e32 v16, 0xff, v2
	v_lshrrev_b16 v17, 8, v2
	v_dual_lshrrev_b32 v18, 24, v2 :: v_dual_lshrrev_b32 v2, 16, v2
	v_and_b32_e32 v22, 0xff, v4
	v_lshrrev_b16 v23, 8, v4
	v_dual_lshrrev_b32 v24, 24, v4 :: v_dual_lshrrev_b32 v4, 16, v4
	s_wait_loadcnt 0x1
	v_lshrrev_b16 v26, 8, v7
	v_and_b32_e32 v28, 0xff, v6
	v_lshrrev_b16 v29, 8, v6
	v_dual_lshrrev_b32 v30, 24, v6 :: v_dual_lshrrev_b32 v6, 16, v6
	v_and_b32_e32 v34, 0xff, v8
	v_lshrrev_b16 v35, 8, v8
	v_dual_lshrrev_b32 v36, 24, v8 :: v_dual_lshrrev_b32 v8, 16, v8
	v_and_b32_e32 v1, 0xff, v3
	v_dual_lshrrev_b32 v15, 24, v3 :: v_dual_lshrrev_b32 v3, 16, v3
	v_and_b32_e32 v19, 0xff, v5
	v_lshrrev_b16 v20, 8, v5
	v_dual_lshrrev_b32 v21, 24, v5 :: v_dual_lshrrev_b32 v5, 16, v5
	v_and_b32_e32 v25, 0xff, v7
	v_dual_lshrrev_b32 v27, 24, v7 :: v_dual_lshrrev_b32 v7, 16, v7
	v_and_b32_e32 v31, 0xff, v9
	v_lshrrev_b16 v32, 8, v9
	v_dual_lshrrev_b32 v33, 24, v9 :: v_dual_lshrrev_b32 v9, 16, v9
	s_wait_loadcnt 0x0
	v_dual_lshrrev_b32 v37, 16, v10 :: v_dual_lshrrev_b32 v38, 24, v10
	v_lshrrev_b16 v39, 8, v10
	v_and_b32_e32 v10, 0xff, v10
	v_lshrrev_b16 v42, 8, v11
	v_dual_lshrrev_b32 v43, 16, v12 :: v_dual_lshrrev_b32 v44, 24, v12
	v_and_b32_e32 v2, 0xff, v2
	v_and_b32_e32 v4, 0xff, v4
	v_and_b32_e32 v6, 0xff, v6
	v_and_b32_e32 v8, 0xff, v8
	v_max_u16 v18, v18, v30
	v_max_u16 v16, v16, v28
	;; [unrolled: 1-line block ×4, first 2 shown]
	v_dual_lshrrev_b32 v40, 16, v11 :: v_dual_lshrrev_b32 v41, 24, v11
	v_and_b32_e32 v11, 0xff, v11
	v_lshrrev_b16 v45, 8, v12
	v_dual_lshrrev_b32 v46, 16, v13 :: v_dual_lshrrev_b32 v47, 24, v13
	v_lshrrev_b16 v48, 8, v13
	v_and_b32_e32 v13, 0xff, v13
	v_and_b32_e32 v3, 0xff, v3
	;; [unrolled: 1-line block ×7, first 2 shown]
	v_max_u16 v17, v17, v29
	v_max_u16 v15, v15, v27
	;; [unrolled: 1-line block ×8, first 2 shown]
	v_min_u16 v6, v14, v42
	v_min_u16 v10, v16, v10
	;; [unrolled: 1-line block ×3, first 2 shown]
	v_max_u16 v4, v4, v8
	v_min_u16 v16, v24, v44
	v_and_b32_e32 v12, 0xff, v12
	v_and_b32_e32 v40, 0xff, v40
	;; [unrolled: 1-line block ×3, first 2 shown]
	v_max_u16 v22, v22, v34
	v_max_u16 v3, v3, v7
	v_min_u16 v1, v1, v11
	v_min_u16 v7, v15, v41
	;; [unrolled: 1-line block ×3, first 2 shown]
	v_max_u16 v5, v5, v9
	v_min_u16 v8, v19, v13
	v_min_u16 v9, v20, v48
	;; [unrolled: 1-line block ×4, first 2 shown]
	v_lshlrev_b16 v14, 8, v14
	v_min_u16 v2, v2, v37
	v_lshlrev_b16 v16, 8, v16
	v_min_u16 v4, v4, v43
	v_min_u16 v12, v22, v12
	v_lshlrev_b16 v6, 8, v6
	v_lshlrev_b16 v7, 8, v7
	v_min_u16 v3, v3, v40
	v_lshlrev_b16 v11, 8, v11
	v_lshlrev_b16 v9, 8, v9
	;; [unrolled: 1-line block ×3, first 2 shown]
	v_min_u16 v5, v5, v46
	v_lshlrev_b16 v15, 8, v15
	v_or_b32_e32 v4, v4, v16
	v_or_b32_e32 v2, v2, v14
	s_delay_alu instid0(VALU_DEP_2) | instskip(NEXT) | instid1(VALU_DEP_2)
	v_dual_lshlrev_b32 v4, 16, v4 :: v_dual_bitop2_b32 v5, v5, v13 bitop3:0x54
	v_dual_lshlrev_b32 v2, 16, v2 :: v_dual_bitop2_b32 v3, v3, v7 bitop3:0x54
	v_or_b32_e32 v1, v1, v6
	s_delay_alu instid0(VALU_DEP_3)
	v_dual_lshlrev_b32 v5, 16, v5 :: v_dual_bitop2_b32 v6, v10, v11 bitop3:0x54
	v_or_b32_e32 v7, v8, v9
	v_or_b32_e32 v8, v12, v15
	v_lshlrev_b32_e32 v3, 16, v3
	v_and_b32_e32 v1, 0xffff, v1
	v_and_b32_e32 v6, 0xffff, v6
	;; [unrolled: 1-line block ×4, first 2 shown]
	s_delay_alu instid0(VALU_DEP_4) | instskip(NEXT) | instid1(VALU_DEP_4)
	v_or_b32_e32 v3, v1, v3
	v_or_b32_e32 v2, v6, v2
	s_delay_alu instid0(VALU_DEP_4) | instskip(NEXT) | instid1(VALU_DEP_4)
	v_or_b32_e32 v5, v7, v5
	v_or_b32_e32 v4, v8, v4
	global_store_b128 v0, v[2:5], s[12:13] scale_offset
.LBB96_2:
	s_and_not1_b32 vcc_lo, exec_lo, s0
	s_cbranch_vccnz .LBB96_54
; %bb.3:
	v_cmp_le_i32_e64 s0, s1, v0
	v_or_b32_e32 v1, 0x100, v0
	v_cmp_gt_i32_e32 vcc_lo, s1, v0
	s_wait_xcnt 0x0
	s_and_saveexec_b32 s3, s0
	s_delay_alu instid0(SALU_CYCLE_1)
	s_xor_b32 s0, exec_lo, s3
; %bb.4:
	v_or_b32_e32 v1, 0x100, v0
; %bb.5:
	s_or_saveexec_b32 s3, s0
	v_dual_mov_b32 v54, 0 :: v_dual_bitop2_b32 v10, s2, v0 bitop3:0x54
	v_dual_mov_b32 v53, 0 :: v_dual_mov_b32 v52, 0
	v_dual_mov_b32 v51, 0 :: v_dual_mov_b32 v50, 0
	;; [unrolled: 1-line block ×22, first 2 shown]
	v_mov_b32_e32 v33, 0
	s_xor_b32 exec_lo, exec_lo, s3
	s_cbranch_execz .LBB96_37
; %bb.6:
	s_clause 0x2
	global_load_u8 v31, v10, s[6:7]
	global_load_u8 v34, v10, s[8:9]
	;; [unrolled: 1-line block ×3, first 2 shown]
	v_cmp_gt_u32_e64 s0, s1, v1
	v_dual_mov_b32 v27, 0 :: v_dual_mov_b32 v30, 0
	v_dual_mov_b32 v28, 0 :: v_dual_mov_b32 v3, 0
	;; [unrolled: 1-line block ×21, first 2 shown]
	v_mov_b32_e32 v54, 0
	s_wait_xcnt 0x0
	s_and_saveexec_b32 s12, s0
	s_cbranch_execz .LBB96_36
; %bb.7:
	v_dual_mov_b32 v3, 0 :: v_dual_add_nc_u32 v2, s2, v0
	v_or_b32_e32 v4, 0x200, v0
	v_dual_mov_b32 v26, 0 :: v_dual_mov_b32 v23, 0
	s_clause 0x2
	global_load_u8 v28, v2, s[6:7] offset:256
	global_load_u8 v30, v2, s[8:9] offset:256
	;; [unrolled: 1-line block ×3, first 2 shown]
	v_mov_b32_e32 v17, 0
	v_cmp_gt_u32_e64 s0, s1, v4
	v_dual_mov_b32 v4, 0 :: v_dual_mov_b32 v18, 0
	v_dual_mov_b32 v11, 0 :: v_dual_mov_b32 v14, 0
	;; [unrolled: 1-line block ×18, first 2 shown]
	s_wait_xcnt 0x0
	s_and_saveexec_b32 s13, s0
	s_cbranch_execz .LBB96_35
; %bb.8:
	v_add_nc_u64_e32 v[4:5], s[6:7], v[2:3]
	v_add_nc_u64_e32 v[6:7], s[8:9], v[2:3]
	;; [unrolled: 1-line block ×3, first 2 shown]
	v_or_b32_e32 v11, 0x300, v0
	v_dual_mov_b32 v17, 0 :: v_dual_mov_b32 v18, 0
	v_mov_b32_e32 v14, 0
	global_load_u8 v23, v[4:5], off offset:512
	global_load_u8 v26, v[6:7], off offset:512
	;; [unrolled: 1-line block ×3, first 2 shown]
	v_cmp_gt_u32_e64 s0, s1, v11
	v_dual_mov_b32 v11, 0 :: v_dual_mov_b32 v15, 0
	v_dual_mov_b32 v12, 0 :: v_dual_mov_b32 v16, 0
	;; [unrolled: 1-line block ×16, first 2 shown]
	v_mov_b32_e32 v54, 0
	s_wait_xcnt 0x0
	s_and_saveexec_b32 s6, s0
	s_cbranch_execz .LBB96_34
; %bb.9:
	global_load_u8 v18, v[4:5], off offset:768
	global_load_u8 v17, v[6:7], off offset:768
	;; [unrolled: 1-line block ×3, first 2 shown]
	v_or_b32_e32 v11, 0x400, v0
	v_dual_mov_b32 v15, 0 :: v_dual_mov_b32 v12, 0
	v_dual_mov_b32 v16, 0 :: v_dual_mov_b32 v19, 0
	s_delay_alu instid0(VALU_DEP_3)
	v_cmp_gt_u32_e64 s0, s1, v11
	v_dual_mov_b32 v11, 0 :: v_dual_mov_b32 v14, 0
	v_dual_mov_b32 v13, 0 :: v_dual_mov_b32 v21, 0
	v_dual_mov_b32 v22, 0 :: v_dual_mov_b32 v20, 0
	v_dual_mov_b32 v24, 0 :: v_dual_mov_b32 v29, 0
	v_dual_mov_b32 v25, 0 :: v_dual_mov_b32 v32, 0
	v_dual_mov_b32 v36, 0 :: v_dual_mov_b32 v35, 0
	v_dual_mov_b32 v37, 0 :: v_dual_mov_b32 v39, 0
	v_dual_mov_b32 v38, 0 :: v_dual_mov_b32 v40, 0
	v_dual_mov_b32 v41, 0 :: v_dual_mov_b32 v42, 0
	v_dual_mov_b32 v43, 0 :: v_dual_mov_b32 v44, 0
	v_dual_mov_b32 v45, 0 :: v_dual_mov_b32 v46, 0
	v_dual_mov_b32 v47, 0 :: v_dual_mov_b32 v48, 0
	v_dual_mov_b32 v49, 0 :: v_dual_mov_b32 v50, 0
	v_dual_mov_b32 v51, 0 :: v_dual_mov_b32 v52, 0
	v_dual_mov_b32 v53, 0 :: v_dual_mov_b32 v54, 0
	s_wait_xcnt 0x0
	s_and_saveexec_b32 s7, s0
	s_cbranch_execz .LBB96_33
; %bb.10:
	global_load_u8 v15, v[4:5], off offset:1024
	global_load_u8 v14, v[6:7], off offset:1024
	;; [unrolled: 1-line block ×3, first 2 shown]
	v_or_b32_e32 v12, 0x500, v0
	v_dual_mov_b32 v19, 0 :: v_dual_mov_b32 v13, 0
	v_dual_mov_b32 v21, 0 :: v_dual_mov_b32 v22, 0
	s_delay_alu instid0(VALU_DEP_3)
	v_cmp_gt_u32_e64 s0, s1, v12
	v_dual_mov_b32 v12, 0 :: v_dual_mov_b32 v16, 0
	v_dual_mov_b32 v20, 0 :: v_dual_mov_b32 v24, 0
	v_dual_mov_b32 v29, 0 :: v_dual_mov_b32 v25, 0
	v_dual_mov_b32 v32, 0 :: v_dual_mov_b32 v36, 0
	v_dual_mov_b32 v35, 0 :: v_dual_mov_b32 v37, 0
	v_dual_mov_b32 v39, 0 :: v_dual_mov_b32 v38, 0
	v_dual_mov_b32 v40, 0 :: v_dual_mov_b32 v41, 0
	v_dual_mov_b32 v42, 0 :: v_dual_mov_b32 v43, 0
	v_dual_mov_b32 v44, 0 :: v_dual_mov_b32 v45, 0
	v_dual_mov_b32 v46, 0 :: v_dual_mov_b32 v47, 0
	v_dual_mov_b32 v48, 0 :: v_dual_mov_b32 v49, 0
	v_dual_mov_b32 v50, 0 :: v_dual_mov_b32 v51, 0
	v_dual_mov_b32 v52, 0 :: v_dual_mov_b32 v53, 0
	v_mov_b32_e32 v54, 0
	s_wait_xcnt 0x0
	s_and_saveexec_b32 s8, s0
	s_cbranch_execz .LBB96_32
; %bb.11:
	global_load_u8 v19, v[4:5], off offset:1280
	global_load_u8 v16, v[6:7], off offset:1280
	;; [unrolled: 1-line block ×3, first 2 shown]
	v_or_b32_e32 v13, 0x600, v0
	v_dual_mov_b32 v22, 0 :: v_dual_mov_b32 v20, 0
	v_dual_mov_b32 v24, 0 :: v_dual_mov_b32 v29, 0
	s_delay_alu instid0(VALU_DEP_3)
	v_cmp_gt_u32_e64 s0, s1, v13
	v_dual_mov_b32 v13, 0 :: v_dual_mov_b32 v21, 0
	v_dual_mov_b32 v25, 0 :: v_dual_mov_b32 v32, 0
	;; [unrolled: 1-line block ×12, first 2 shown]
	s_wait_xcnt 0x0
	s_and_saveexec_b32 s9, s0
	s_cbranch_execz .LBB96_31
; %bb.12:
	global_load_u8 v22, v[4:5], off offset:1536
	global_load_u8 v21, v[6:7], off offset:1536
	;; [unrolled: 1-line block ×3, first 2 shown]
	v_or_b32_e32 v20, 0x700, v0
	v_dual_mov_b32 v29, 0 :: v_dual_mov_b32 v25, 0
	v_dual_mov_b32 v32, 0 :: v_dual_mov_b32 v36, 0
	s_delay_alu instid0(VALU_DEP_3)
	v_cmp_gt_u32_e64 s0, s1, v20
	v_dual_mov_b32 v20, 0 :: v_dual_mov_b32 v24, 0
	v_dual_mov_b32 v35, 0 :: v_dual_mov_b32 v37, 0
	;; [unrolled: 1-line block ×10, first 2 shown]
	v_mov_b32_e32 v54, 0
	s_wait_xcnt 0x0
	s_and_saveexec_b32 s10, s0
	s_cbranch_execz .LBB96_30
; %bb.13:
	global_load_u8 v29, v[4:5], off offset:1792
	global_load_u8 v24, v[6:7], off offset:1792
	;; [unrolled: 1-line block ×3, first 2 shown]
	v_or_b32_e32 v25, 0x800, v0
	v_dual_mov_b32 v36, 0 :: v_dual_mov_b32 v35, 0
	v_dual_mov_b32 v37, 0 :: v_dual_mov_b32 v39, 0
	s_delay_alu instid0(VALU_DEP_3)
	v_cmp_gt_u32_e64 s0, s1, v25
	v_dual_mov_b32 v25, 0 :: v_dual_mov_b32 v32, 0
	v_dual_mov_b32 v38, 0 :: v_dual_mov_b32 v40, 0
	;; [unrolled: 1-line block ×9, first 2 shown]
	s_wait_xcnt 0x0
	s_and_saveexec_b32 s11, s0
	s_cbranch_execz .LBB96_29
; %bb.14:
	global_load_u8 v36, v[4:5], off offset:2048
	global_load_u8 v32, v[6:7], off offset:2048
	;; [unrolled: 1-line block ×3, first 2 shown]
	v_or_b32_e32 v35, 0x900, v0
	v_dual_mov_b32 v39, 0 :: v_dual_mov_b32 v38, 0
	v_dual_mov_b32 v40, 0 :: v_dual_mov_b32 v41, 0
	s_delay_alu instid0(VALU_DEP_3)
	v_cmp_gt_u32_e64 s0, s1, v35
	v_dual_mov_b32 v35, 0 :: v_dual_mov_b32 v37, 0
	v_dual_mov_b32 v42, 0 :: v_dual_mov_b32 v43, 0
	;; [unrolled: 1-line block ×7, first 2 shown]
	v_mov_b32_e32 v54, 0
	s_wait_xcnt 0x0
	s_and_saveexec_b32 s14, s0
	s_cbranch_execz .LBB96_28
; %bb.15:
	global_load_u8 v39, v[4:5], off offset:2304
	global_load_u8 v37, v[6:7], off offset:2304
	;; [unrolled: 1-line block ×3, first 2 shown]
	v_or_b32_e32 v38, 0xa00, v0
	v_dual_mov_b32 v41, 0 :: v_dual_mov_b32 v42, 0
	v_dual_mov_b32 v43, 0 :: v_dual_mov_b32 v44, 0
	s_delay_alu instid0(VALU_DEP_3)
	v_cmp_gt_u32_e64 s0, s1, v38
	v_dual_mov_b32 v38, 0 :: v_dual_mov_b32 v40, 0
	v_dual_mov_b32 v45, 0 :: v_dual_mov_b32 v46, 0
	;; [unrolled: 1-line block ×6, first 2 shown]
	s_wait_xcnt 0x0
	s_and_saveexec_b32 s15, s0
	s_cbranch_execz .LBB96_27
; %bb.16:
	global_load_u8 v41, v[4:5], off offset:2560
	global_load_u8 v40, v[6:7], off offset:2560
	;; [unrolled: 1-line block ×3, first 2 shown]
	v_or_b32_e32 v42, 0xb00, v0
	v_dual_mov_b32 v44, 0 :: v_dual_mov_b32 v45, 0
	v_dual_mov_b32 v46, 0 :: v_dual_mov_b32 v47, 0
	s_delay_alu instid0(VALU_DEP_3)
	v_cmp_gt_u32_e64 s0, s1, v42
	v_dual_mov_b32 v42, 0 :: v_dual_mov_b32 v43, 0
	v_dual_mov_b32 v48, 0 :: v_dual_mov_b32 v49, 0
	;; [unrolled: 1-line block ×4, first 2 shown]
	v_mov_b32_e32 v54, 0
	s_wait_xcnt 0x0
	s_and_saveexec_b32 s16, s0
	s_cbranch_execz .LBB96_26
; %bb.17:
	global_load_u8 v44, v[4:5], off offset:2816
	global_load_u8 v43, v[6:7], off offset:2816
	;; [unrolled: 1-line block ×3, first 2 shown]
	v_or_b32_e32 v45, 0xc00, v0
	v_dual_mov_b32 v47, 0 :: v_dual_mov_b32 v48, 0
	v_dual_mov_b32 v49, 0 :: v_dual_mov_b32 v50, 0
	s_delay_alu instid0(VALU_DEP_3)
	v_cmp_gt_u32_e64 s0, s1, v45
	v_dual_mov_b32 v45, 0 :: v_dual_mov_b32 v46, 0
	v_dual_mov_b32 v51, 0 :: v_dual_mov_b32 v52, 0
	;; [unrolled: 1-line block ×3, first 2 shown]
	s_wait_xcnt 0x0
	s_and_saveexec_b32 s17, s0
	s_cbranch_execz .LBB96_25
; %bb.18:
	global_load_u8 v47, v[4:5], off offset:3072
	global_load_u8 v46, v[6:7], off offset:3072
	;; [unrolled: 1-line block ×3, first 2 shown]
	v_or_b32_e32 v48, 0xd00, v0
	v_dual_mov_b32 v50, 0 :: v_dual_mov_b32 v51, 0
	v_dual_mov_b32 v52, 0 :: v_dual_mov_b32 v53, 0
	s_delay_alu instid0(VALU_DEP_3)
	v_cmp_gt_u32_e64 s0, s1, v48
	v_dual_mov_b32 v48, 0 :: v_dual_mov_b32 v49, 0
	v_mov_b32_e32 v54, 0
	s_wait_xcnt 0x0
	s_and_saveexec_b32 s18, s0
	s_cbranch_execz .LBB96_24
; %bb.19:
	global_load_u8 v50, v[4:5], off offset:3328
	global_load_u8 v49, v[6:7], off offset:3328
	;; [unrolled: 1-line block ×3, first 2 shown]
	v_or_b32_e32 v51, 0xe00, v0
	v_dual_mov_b32 v53, 0 :: v_dual_mov_b32 v54, 0
	v_mov_b32_e32 v52, 0
	s_delay_alu instid0(VALU_DEP_3)
	v_cmp_gt_u32_e64 s0, s1, v51
	v_mov_b32_e32 v51, 0
	s_wait_xcnt 0x0
	s_and_saveexec_b32 s19, s0
	s_cbranch_execz .LBB96_23
; %bb.20:
	global_load_u8 v53, v[4:5], off offset:3584
	global_load_u8 v52, v[6:7], off offset:3584
	;; [unrolled: 1-line block ×3, first 2 shown]
	v_or_b32_e32 v54, 0xf00, v0
	s_delay_alu instid0(VALU_DEP_1)
	v_cmp_gt_u32_e64 s0, s1, v54
	v_mov_b32_e32 v54, 0
	s_wait_xcnt 0x0
	s_and_saveexec_b32 s20, s0
	s_cbranch_execz .LBB96_22
; %bb.21:
	global_load_u8 v54, v[4:5], off offset:3840
	global_load_u8 v55, v[6:7], off offset:3840
	;; [unrolled: 1-line block ×3, first 2 shown]
	s_wait_loadcnt 0x1
	s_wait_xcnt 0x2
	v_max_u16 v4, v54, v55
	s_wait_loadcnt 0x0
	s_delay_alu instid0(VALU_DEP_1)
	v_min_u16 v54, v4, v56
.LBB96_22:
	s_wait_xcnt 0x0
	s_or_b32 exec_lo, exec_lo, s20
.LBB96_23:
	s_delay_alu instid0(SALU_CYCLE_1)
	s_or_b32 exec_lo, exec_lo, s19
.LBB96_24:
	s_delay_alu instid0(SALU_CYCLE_1)
	s_or_b32 exec_lo, exec_lo, s18
.LBB96_25:
	s_delay_alu instid0(SALU_CYCLE_1)
	s_or_b32 exec_lo, exec_lo, s17
.LBB96_26:
	s_delay_alu instid0(SALU_CYCLE_1)
	s_or_b32 exec_lo, exec_lo, s16
.LBB96_27:
	s_delay_alu instid0(SALU_CYCLE_1)
	s_or_b32 exec_lo, exec_lo, s15
.LBB96_28:
	s_delay_alu instid0(SALU_CYCLE_1)
	s_or_b32 exec_lo, exec_lo, s14
.LBB96_29:
	s_delay_alu instid0(SALU_CYCLE_1)
	s_or_b32 exec_lo, exec_lo, s11
.LBB96_30:
	s_delay_alu instid0(SALU_CYCLE_1)
	s_or_b32 exec_lo, exec_lo, s10
.LBB96_31:
	s_delay_alu instid0(SALU_CYCLE_1)
	s_or_b32 exec_lo, exec_lo, s9
.LBB96_32:
	s_delay_alu instid0(SALU_CYCLE_1)
	s_or_b32 exec_lo, exec_lo, s8
.LBB96_33:
	s_delay_alu instid0(SALU_CYCLE_1)
	s_or_b32 exec_lo, exec_lo, s7
.LBB96_34:
	s_delay_alu instid0(SALU_CYCLE_1)
	s_or_b32 exec_lo, exec_lo, s6
	s_wait_loadcnt 0x0
	v_dual_mov_b32 v4, v3 :: v_dual_mov_b32 v3, v2
.LBB96_35:
	s_or_b32 exec_lo, exec_lo, s13
.LBB96_36:
	s_delay_alu instid0(SALU_CYCLE_1)
	s_or_b32 exec_lo, exec_lo, s12
.LBB96_37:
	s_delay_alu instid0(SALU_CYCLE_1)
	s_or_b32 exec_lo, exec_lo, s3
	s_and_saveexec_b32 s0, vcc_lo
	s_cbranch_execz .LBB96_54
; %bb.38:
	s_wait_loadcnt 0x1
	v_and_b32_e32 v2, 0xff, v34
	v_and_b32_e32 v5, 0xff, v31
	v_cmp_gt_u32_e32 vcc_lo, s1, v1
	s_delay_alu instid0(VALU_DEP_2) | instskip(SKIP_2) | instid1(VALU_DEP_1)
	v_max_u16 v2, v5, v2
	s_wait_loadcnt 0x0
	v_and_b32_e32 v5, 0xff, v33
	v_min_u16 v2, v2, v5
	global_store_b8 v10, v2, s[4:5]
	s_wait_xcnt 0x0
	s_and_b32 exec_lo, exec_lo, vcc_lo
	s_cbranch_execz .LBB96_54
; %bb.39:
	v_and_b32_e32 v2, 0xff, v30
	v_and_b32_e32 v5, 0xff, v28
	;; [unrolled: 1-line block ×3, first 2 shown]
	v_or_b32_e32 v1, s2, v1
	s_delay_alu instid0(VALU_DEP_3) | instskip(SKIP_1) | instid1(VALU_DEP_2)
	v_max_u16 v2, v5, v2
	v_or_b32_e32 v5, 0x200, v0
	v_min_u16 v2, v2, v6
	s_delay_alu instid0(VALU_DEP_2)
	v_cmp_gt_i32_e32 vcc_lo, s1, v5
	global_store_b8 v1, v2, s[4:5]
	s_wait_xcnt 0x0
	s_and_b32 exec_lo, exec_lo, vcc_lo
	s_cbranch_execz .LBB96_54
; %bb.40:
	v_and_b32_e32 v1, 0xff, v26
	v_and_b32_e32 v2, 0xff, v23
	;; [unrolled: 1-line block ×3, first 2 shown]
	v_or_b32_e32 v5, 0x300, v0
	s_delay_alu instid0(VALU_DEP_3) | instskip(SKIP_1) | instid1(VALU_DEP_3)
	v_max_u16 v1, v2, v1
	v_add_nc_u32_e32 v2, s2, v0
	v_cmp_gt_i32_e32 vcc_lo, s1, v5
	s_delay_alu instid0(VALU_DEP_3)
	v_min_u16 v1, v1, v3
	global_store_b8 v2, v1, s[4:5] offset:512
	s_wait_xcnt 0x0
	s_and_b32 exec_lo, exec_lo, vcc_lo
	s_cbranch_execz .LBB96_54
; %bb.41:
	v_and_b32_e32 v1, 0xff, v17
	v_and_b32_e32 v5, 0xff, v18
	v_mov_b32_e32 v3, 0
	v_and_b32_e32 v4, 0xff, v4
	s_delay_alu instid0(VALU_DEP_3) | instskip(SKIP_1) | instid1(VALU_DEP_4)
	v_max_u16 v1, v5, v1
	v_or_b32_e32 v5, 0x400, v0
	v_add_nc_u64_e32 v[2:3], s[4:5], v[2:3]
	s_delay_alu instid0(VALU_DEP_3) | instskip(NEXT) | instid1(VALU_DEP_3)
	v_min_u16 v1, v1, v4
	v_cmp_gt_u32_e32 vcc_lo, s1, v5
	global_store_b8 v[2:3], v1, off offset:768
	s_wait_xcnt 0x0
	s_and_b32 exec_lo, exec_lo, vcc_lo
	s_cbranch_execz .LBB96_54
; %bb.42:
	v_and_b32_e32 v1, 0xff, v14
	v_and_b32_e32 v4, 0xff, v15
	v_or_b32_e32 v5, 0x500, v0
	s_delay_alu instid0(VALU_DEP_2) | instskip(SKIP_1) | instid1(VALU_DEP_3)
	v_max_u16 v1, v4, v1
	v_and_b32_e32 v4, 0xff, v11
	v_cmp_gt_i32_e32 vcc_lo, s1, v5
	s_delay_alu instid0(VALU_DEP_2)
	v_min_u16 v1, v1, v4
	global_store_b8 v[2:3], v1, off offset:1024
	s_wait_xcnt 0x0
	s_and_b32 exec_lo, exec_lo, vcc_lo
	s_cbranch_execz .LBB96_54
; %bb.43:
	v_and_b32_e32 v1, 0xff, v16
	v_and_b32_e32 v4, 0xff, v19
	v_or_b32_e32 v5, 0x600, v0
	s_delay_alu instid0(VALU_DEP_2) | instskip(SKIP_1) | instid1(VALU_DEP_3)
	v_max_u16 v1, v4, v1
	v_and_b32_e32 v4, 0xff, v12
	v_cmp_gt_i32_e32 vcc_lo, s1, v5
	s_delay_alu instid0(VALU_DEP_2)
	v_min_u16 v1, v1, v4
	global_store_b8 v[2:3], v1, off offset:1280
	s_wait_xcnt 0x0
	s_and_b32 exec_lo, exec_lo, vcc_lo
	s_cbranch_execz .LBB96_54
; %bb.44:
	v_and_b32_e32 v1, 0xff, v21
	v_and_b32_e32 v4, 0xff, v22
	v_or_b32_e32 v5, 0x700, v0
	s_delay_alu instid0(VALU_DEP_2) | instskip(SKIP_1) | instid1(VALU_DEP_3)
	v_max_u16 v1, v4, v1
	v_and_b32_e32 v4, 0xff, v13
	v_cmp_gt_i32_e32 vcc_lo, s1, v5
	s_delay_alu instid0(VALU_DEP_2)
	v_min_u16 v1, v1, v4
	global_store_b8 v[2:3], v1, off offset:1536
	s_wait_xcnt 0x0
	s_and_b32 exec_lo, exec_lo, vcc_lo
	s_cbranch_execz .LBB96_54
; %bb.45:
	v_and_b32_e32 v1, 0xff, v24
	v_and_b32_e32 v4, 0xff, v29
	v_or_b32_e32 v5, 0x800, v0
	s_delay_alu instid0(VALU_DEP_2) | instskip(SKIP_1) | instid1(VALU_DEP_3)
	v_max_u16 v1, v4, v1
	v_and_b32_e32 v4, 0xff, v20
	v_cmp_gt_u32_e32 vcc_lo, s1, v5
	s_delay_alu instid0(VALU_DEP_2)
	v_min_u16 v1, v1, v4
	global_store_b8 v[2:3], v1, off offset:1792
	s_wait_xcnt 0x0
	s_and_b32 exec_lo, exec_lo, vcc_lo
	s_cbranch_execz .LBB96_54
; %bb.46:
	v_and_b32_e32 v1, 0xff, v32
	v_and_b32_e32 v4, 0xff, v36
	v_or_b32_e32 v5, 0x900, v0
	s_delay_alu instid0(VALU_DEP_2) | instskip(SKIP_1) | instid1(VALU_DEP_3)
	v_max_u16 v1, v4, v1
	v_and_b32_e32 v4, 0xff, v25
	v_cmp_gt_i32_e32 vcc_lo, s1, v5
	s_delay_alu instid0(VALU_DEP_2)
	v_min_u16 v1, v1, v4
	global_store_b8 v[2:3], v1, off offset:2048
	s_wait_xcnt 0x0
	s_and_b32 exec_lo, exec_lo, vcc_lo
	s_cbranch_execz .LBB96_54
; %bb.47:
	v_and_b32_e32 v1, 0xff, v37
	v_and_b32_e32 v4, 0xff, v39
	v_or_b32_e32 v5, 0xa00, v0
	s_delay_alu instid0(VALU_DEP_2) | instskip(SKIP_1) | instid1(VALU_DEP_3)
	v_max_u16 v1, v4, v1
	v_and_b32_e32 v4, 0xff, v35
	v_cmp_gt_i32_e32 vcc_lo, s1, v5
	;; [unrolled: 14-line block ×3, first 2 shown]
	s_delay_alu instid0(VALU_DEP_2)
	v_min_u16 v1, v1, v4
	global_store_b8 v[2:3], v1, off offset:2560
	s_wait_xcnt 0x0
	s_and_b32 exec_lo, exec_lo, vcc_lo
	s_cbranch_execz .LBB96_54
; %bb.49:
	v_and_b32_e32 v1, 0xff, v43
	v_and_b32_e32 v4, 0xff, v44
	v_or_b32_e32 v5, 0xc00, v0
	s_delay_alu instid0(VALU_DEP_2) | instskip(SKIP_1) | instid1(VALU_DEP_3)
	v_max_u16 v1, v4, v1
	v_and_b32_e32 v4, 0xff, v42
	v_cmp_gt_u32_e32 vcc_lo, s1, v5
	s_delay_alu instid0(VALU_DEP_2)
	v_min_u16 v1, v1, v4
	global_store_b8 v[2:3], v1, off offset:2816
	s_wait_xcnt 0x0
	s_and_b32 exec_lo, exec_lo, vcc_lo
	s_cbranch_execz .LBB96_54
; %bb.50:
	v_and_b32_e32 v1, 0xff, v46
	v_and_b32_e32 v4, 0xff, v47
	v_or_b32_e32 v5, 0xd00, v0
	s_delay_alu instid0(VALU_DEP_2) | instskip(SKIP_1) | instid1(VALU_DEP_3)
	v_max_u16 v1, v4, v1
	v_and_b32_e32 v4, 0xff, v45
	v_cmp_gt_i32_e32 vcc_lo, s1, v5
	s_delay_alu instid0(VALU_DEP_2)
	v_min_u16 v1, v1, v4
	global_store_b8 v[2:3], v1, off offset:3072
	s_wait_xcnt 0x0
	s_and_b32 exec_lo, exec_lo, vcc_lo
	s_cbranch_execz .LBB96_54
; %bb.51:
	v_and_b32_e32 v1, 0xff, v49
	v_and_b32_e32 v4, 0xff, v50
	v_or_b32_e32 v5, 0xe00, v0
	s_delay_alu instid0(VALU_DEP_2) | instskip(SKIP_1) | instid1(VALU_DEP_3)
	v_max_u16 v1, v4, v1
	v_and_b32_e32 v4, 0xff, v48
	v_cmp_gt_i32_e32 vcc_lo, s1, v5
	;; [unrolled: 14-line block ×3, first 2 shown]
	s_delay_alu instid0(VALU_DEP_2)
	v_min_u16 v1, v1, v4
	global_store_b8 v[2:3], v1, off offset:3584
	s_wait_xcnt 0x0
	s_and_b32 exec_lo, exec_lo, vcc_lo
	s_cbranch_execz .LBB96_54
; %bb.53:
	global_store_b8 v[2:3], v54, off offset:3840
.LBB96_54:
	s_endpgm
	.section	.rodata,"a",@progbits
	.p2align	6, 0x0
	.amdhsa_kernel _ZN2at6native29vectorized_elementwise_kernelILi16EZZZNS0_12_GLOBAL__N_117clamp_kernel_implERNS_18TensorIteratorBaseEENKUlvE_clEvENKUlvE_clEvEUlhhhE_St5arrayIPcLm4EEEEviT0_T1_
		.amdhsa_group_segment_fixed_size 0
		.amdhsa_private_segment_fixed_size 0
		.amdhsa_kernarg_size 40
		.amdhsa_user_sgpr_count 2
		.amdhsa_user_sgpr_dispatch_ptr 0
		.amdhsa_user_sgpr_queue_ptr 0
		.amdhsa_user_sgpr_kernarg_segment_ptr 1
		.amdhsa_user_sgpr_dispatch_id 0
		.amdhsa_user_sgpr_kernarg_preload_length 0
		.amdhsa_user_sgpr_kernarg_preload_offset 0
		.amdhsa_user_sgpr_private_segment_size 0
		.amdhsa_wavefront_size32 1
		.amdhsa_uses_dynamic_stack 0
		.amdhsa_enable_private_segment 0
		.amdhsa_system_sgpr_workgroup_id_x 1
		.amdhsa_system_sgpr_workgroup_id_y 0
		.amdhsa_system_sgpr_workgroup_id_z 0
		.amdhsa_system_sgpr_workgroup_info 0
		.amdhsa_system_vgpr_workitem_id 0
		.amdhsa_next_free_vgpr 57
		.amdhsa_next_free_sgpr 21
		.amdhsa_named_barrier_count 0
		.amdhsa_reserve_vcc 1
		.amdhsa_float_round_mode_32 0
		.amdhsa_float_round_mode_16_64 0
		.amdhsa_float_denorm_mode_32 3
		.amdhsa_float_denorm_mode_16_64 3
		.amdhsa_fp16_overflow 0
		.amdhsa_memory_ordered 1
		.amdhsa_forward_progress 1
		.amdhsa_inst_pref_size 42
		.amdhsa_round_robin_scheduling 0
		.amdhsa_exception_fp_ieee_invalid_op 0
		.amdhsa_exception_fp_denorm_src 0
		.amdhsa_exception_fp_ieee_div_zero 0
		.amdhsa_exception_fp_ieee_overflow 0
		.amdhsa_exception_fp_ieee_underflow 0
		.amdhsa_exception_fp_ieee_inexact 0
		.amdhsa_exception_int_div_zero 0
	.end_amdhsa_kernel
	.section	.text._ZN2at6native29vectorized_elementwise_kernelILi16EZZZNS0_12_GLOBAL__N_117clamp_kernel_implERNS_18TensorIteratorBaseEENKUlvE_clEvENKUlvE_clEvEUlhhhE_St5arrayIPcLm4EEEEviT0_T1_,"axG",@progbits,_ZN2at6native29vectorized_elementwise_kernelILi16EZZZNS0_12_GLOBAL__N_117clamp_kernel_implERNS_18TensorIteratorBaseEENKUlvE_clEvENKUlvE_clEvEUlhhhE_St5arrayIPcLm4EEEEviT0_T1_,comdat
.Lfunc_end96:
	.size	_ZN2at6native29vectorized_elementwise_kernelILi16EZZZNS0_12_GLOBAL__N_117clamp_kernel_implERNS_18TensorIteratorBaseEENKUlvE_clEvENKUlvE_clEvEUlhhhE_St5arrayIPcLm4EEEEviT0_T1_, .Lfunc_end96-_ZN2at6native29vectorized_elementwise_kernelILi16EZZZNS0_12_GLOBAL__N_117clamp_kernel_implERNS_18TensorIteratorBaseEENKUlvE_clEvENKUlvE_clEvEUlhhhE_St5arrayIPcLm4EEEEviT0_T1_
                                        ; -- End function
	.set _ZN2at6native29vectorized_elementwise_kernelILi16EZZZNS0_12_GLOBAL__N_117clamp_kernel_implERNS_18TensorIteratorBaseEENKUlvE_clEvENKUlvE_clEvEUlhhhE_St5arrayIPcLm4EEEEviT0_T1_.num_vgpr, 57
	.set _ZN2at6native29vectorized_elementwise_kernelILi16EZZZNS0_12_GLOBAL__N_117clamp_kernel_implERNS_18TensorIteratorBaseEENKUlvE_clEvENKUlvE_clEvEUlhhhE_St5arrayIPcLm4EEEEviT0_T1_.num_agpr, 0
	.set _ZN2at6native29vectorized_elementwise_kernelILi16EZZZNS0_12_GLOBAL__N_117clamp_kernel_implERNS_18TensorIteratorBaseEENKUlvE_clEvENKUlvE_clEvEUlhhhE_St5arrayIPcLm4EEEEviT0_T1_.numbered_sgpr, 21
	.set _ZN2at6native29vectorized_elementwise_kernelILi16EZZZNS0_12_GLOBAL__N_117clamp_kernel_implERNS_18TensorIteratorBaseEENKUlvE_clEvENKUlvE_clEvEUlhhhE_St5arrayIPcLm4EEEEviT0_T1_.num_named_barrier, 0
	.set _ZN2at6native29vectorized_elementwise_kernelILi16EZZZNS0_12_GLOBAL__N_117clamp_kernel_implERNS_18TensorIteratorBaseEENKUlvE_clEvENKUlvE_clEvEUlhhhE_St5arrayIPcLm4EEEEviT0_T1_.private_seg_size, 0
	.set _ZN2at6native29vectorized_elementwise_kernelILi16EZZZNS0_12_GLOBAL__N_117clamp_kernel_implERNS_18TensorIteratorBaseEENKUlvE_clEvENKUlvE_clEvEUlhhhE_St5arrayIPcLm4EEEEviT0_T1_.uses_vcc, 1
	.set _ZN2at6native29vectorized_elementwise_kernelILi16EZZZNS0_12_GLOBAL__N_117clamp_kernel_implERNS_18TensorIteratorBaseEENKUlvE_clEvENKUlvE_clEvEUlhhhE_St5arrayIPcLm4EEEEviT0_T1_.uses_flat_scratch, 0
	.set _ZN2at6native29vectorized_elementwise_kernelILi16EZZZNS0_12_GLOBAL__N_117clamp_kernel_implERNS_18TensorIteratorBaseEENKUlvE_clEvENKUlvE_clEvEUlhhhE_St5arrayIPcLm4EEEEviT0_T1_.has_dyn_sized_stack, 0
	.set _ZN2at6native29vectorized_elementwise_kernelILi16EZZZNS0_12_GLOBAL__N_117clamp_kernel_implERNS_18TensorIteratorBaseEENKUlvE_clEvENKUlvE_clEvEUlhhhE_St5arrayIPcLm4EEEEviT0_T1_.has_recursion, 0
	.set _ZN2at6native29vectorized_elementwise_kernelILi16EZZZNS0_12_GLOBAL__N_117clamp_kernel_implERNS_18TensorIteratorBaseEENKUlvE_clEvENKUlvE_clEvEUlhhhE_St5arrayIPcLm4EEEEviT0_T1_.has_indirect_call, 0
	.section	.AMDGPU.csdata,"",@progbits
; Kernel info:
; codeLenInByte = 5348
; TotalNumSgprs: 23
; NumVgprs: 57
; ScratchSize: 0
; MemoryBound: 0
; FloatMode: 240
; IeeeMode: 1
; LDSByteSize: 0 bytes/workgroup (compile time only)
; SGPRBlocks: 0
; VGPRBlocks: 3
; NumSGPRsForWavesPerEU: 23
; NumVGPRsForWavesPerEU: 57
; NamedBarCnt: 0
; Occupancy: 16
; WaveLimiterHint : 0
; COMPUTE_PGM_RSRC2:SCRATCH_EN: 0
; COMPUTE_PGM_RSRC2:USER_SGPR: 2
; COMPUTE_PGM_RSRC2:TRAP_HANDLER: 0
; COMPUTE_PGM_RSRC2:TGID_X_EN: 1
; COMPUTE_PGM_RSRC2:TGID_Y_EN: 0
; COMPUTE_PGM_RSRC2:TGID_Z_EN: 0
; COMPUTE_PGM_RSRC2:TIDIG_COMP_CNT: 0
	.section	.text._ZN2at6native29vectorized_elementwise_kernelILi8EZZZNS0_12_GLOBAL__N_117clamp_kernel_implERNS_18TensorIteratorBaseEENKUlvE_clEvENKUlvE_clEvEUlhhhE_St5arrayIPcLm4EEEEviT0_T1_,"axG",@progbits,_ZN2at6native29vectorized_elementwise_kernelILi8EZZZNS0_12_GLOBAL__N_117clamp_kernel_implERNS_18TensorIteratorBaseEENKUlvE_clEvENKUlvE_clEvEUlhhhE_St5arrayIPcLm4EEEEviT0_T1_,comdat
	.globl	_ZN2at6native29vectorized_elementwise_kernelILi8EZZZNS0_12_GLOBAL__N_117clamp_kernel_implERNS_18TensorIteratorBaseEENKUlvE_clEvENKUlvE_clEvEUlhhhE_St5arrayIPcLm4EEEEviT0_T1_ ; -- Begin function _ZN2at6native29vectorized_elementwise_kernelILi8EZZZNS0_12_GLOBAL__N_117clamp_kernel_implERNS_18TensorIteratorBaseEENKUlvE_clEvENKUlvE_clEvEUlhhhE_St5arrayIPcLm4EEEEviT0_T1_
	.p2align	8
	.type	_ZN2at6native29vectorized_elementwise_kernelILi8EZZZNS0_12_GLOBAL__N_117clamp_kernel_implERNS_18TensorIteratorBaseEENKUlvE_clEvENKUlvE_clEvEUlhhhE_St5arrayIPcLm4EEEEviT0_T1_,@function
_ZN2at6native29vectorized_elementwise_kernelILi8EZZZNS0_12_GLOBAL__N_117clamp_kernel_implERNS_18TensorIteratorBaseEENKUlvE_clEvENKUlvE_clEvEUlhhhE_St5arrayIPcLm4EEEEviT0_T1_: ; @_ZN2at6native29vectorized_elementwise_kernelILi8EZZZNS0_12_GLOBAL__N_117clamp_kernel_implERNS_18TensorIteratorBaseEENKUlvE_clEvENKUlvE_clEvEUlhhhE_St5arrayIPcLm4EEEEviT0_T1_
; %bb.0:
	s_clause 0x1
	s_load_b32 s3, s[0:1], 0x0
	s_load_b256 s[4:11], s[0:1], 0x8
	s_wait_xcnt 0x0
	s_bfe_u32 s0, ttmp6, 0x4000c
	s_and_b32 s1, ttmp6, 15
	s_add_co_i32 s0, s0, 1
	s_getreg_b32 s2, hwreg(HW_REG_IB_STS2, 6, 4)
	s_mul_i32 s0, ttmp9, s0
	s_delay_alu instid0(SALU_CYCLE_1) | instskip(SKIP_2) | instid1(SALU_CYCLE_1)
	s_add_co_i32 s1, s1, s0
	s_cmp_eq_u32 s2, 0
	s_cselect_b32 s0, ttmp9, s1
	s_lshl_b32 s2, s0, 12
	s_mov_b32 s0, -1
	s_wait_kmcnt 0x0
	s_sub_co_i32 s1, s3, s2
	s_delay_alu instid0(SALU_CYCLE_1)
	s_cmp_gt_i32 s1, 0xfff
	s_cbranch_scc0 .LBB97_2
; %bb.1:
	s_ashr_i32 s3, s2, 31
	s_mov_b32 s0, 0
	s_add_nc_u64 s[12:13], s[6:7], s[2:3]
	s_clause 0x1
	global_load_b64 v[2:3], v0, s[12:13] scale_offset
	global_load_b64 v[4:5], v0, s[12:13] offset:2048 scale_offset
	s_wait_xcnt 0x0
	s_add_nc_u64 s[12:13], s[8:9], s[2:3]
	s_clause 0x1
	global_load_b64 v[6:7], v0, s[12:13] scale_offset
	global_load_b64 v[8:9], v0, s[12:13] offset:2048 scale_offset
	s_wait_xcnt 0x0
	s_add_nc_u64 s[12:13], s[10:11], s[2:3]
	s_clause 0x1
	global_load_b64 v[10:11], v0, s[12:13] scale_offset
	global_load_b64 v[12:13], v0, s[12:13] offset:2048 scale_offset
	s_wait_xcnt 0x0
	s_add_nc_u64 s[12:13], s[4:5], s[2:3]
	s_wait_loadcnt 0x5
	v_dual_lshrrev_b32 v14, 8, v2 :: v_dual_lshrrev_b32 v15, 16, v2
	v_and_b32_e32 v1, 0xff, v2
	s_wait_loadcnt 0x3
	v_dual_lshrrev_b32 v26, 8, v6 :: v_dual_lshrrev_b32 v27, 16, v6
	v_dual_lshrrev_b32 v2, 24, v2 :: v_dual_lshrrev_b32 v17, 8, v3
	v_and_b32_e32 v16, 0xff, v3
	v_dual_lshrrev_b32 v18, 16, v3 :: v_dual_lshrrev_b32 v3, 24, v3
	v_dual_lshrrev_b32 v20, 8, v4 :: v_dual_lshrrev_b32 v21, 16, v4
	v_and_b32_e32 v25, 0xff, v6
	v_dual_lshrrev_b32 v6, 24, v6 :: v_dual_lshrrev_b32 v29, 8, v7
	v_and_b32_e32 v28, 0xff, v7
	v_dual_lshrrev_b32 v30, 16, v7 :: v_dual_lshrrev_b32 v7, 24, v7
	s_wait_loadcnt 0x2
	v_dual_lshrrev_b32 v32, 8, v8 :: v_dual_lshrrev_b32 v33, 16, v8
	v_and_b32_e32 v19, 0xff, v4
	v_dual_lshrrev_b32 v4, 24, v4 :: v_dual_lshrrev_b32 v23, 8, v5
	v_and_b32_e32 v22, 0xff, v5
	;; [unrolled: 2-line block ×4, first 2 shown]
	v_dual_lshrrev_b32 v36, 16, v9 :: v_dual_lshrrev_b32 v9, 24, v9
	s_wait_loadcnt 0x1
	v_dual_lshrrev_b32 v38, 8, v10 :: v_dual_lshrrev_b32 v39, 16, v10
	v_and_b32_e32 v14, 0xff, v14
	v_and_b32_e32 v26, 0xff, v26
	;; [unrolled: 1-line block ×3, first 2 shown]
	v_dual_lshrrev_b32 v10, 24, v10 :: v_dual_lshrrev_b32 v41, 8, v11
	v_and_b32_e32 v40, 0xff, v11
	v_dual_lshrrev_b32 v42, 16, v11 :: v_dual_lshrrev_b32 v11, 24, v11
	s_wait_loadcnt 0x0
	v_dual_lshrrev_b32 v44, 8, v12 :: v_dual_lshrrev_b32 v45, 16, v12
	v_and_b32_e32 v20, 0xff, v20
	v_and_b32_e32 v32, 0xff, v32
	v_max_u16 v3, v3, v7
	v_and_b32_e32 v15, 0xff, v15
	v_and_b32_e32 v17, 0xff, v17
	v_and_b32_e32 v18, 0xff, v18
	v_and_b32_e32 v21, 0xff, v21
	v_and_b32_e32 v27, 0xff, v27
	v_and_b32_e32 v29, 0xff, v29
	v_and_b32_e32 v30, 0xff, v30
	v_and_b32_e32 v33, 0xff, v33
	v_and_b32_e32 v38, 0xff, v38
	v_max_u16 v2, v2, v6
	v_max_u16 v5, v5, v9
	;; [unrolled: 1-line block ×3, first 2 shown]
	v_and_b32_e32 v44, 0xff, v44
	v_min_u16 v3, v3, v11
	v_max_u16 v11, v20, v32
	v_and_b32_e32 v43, 0xff, v12
	v_dual_lshrrev_b32 v12, 24, v12 :: v_dual_lshrrev_b32 v47, 8, v13
	v_and_b32_e32 v46, 0xff, v13
	v_dual_lshrrev_b32 v48, 16, v13 :: v_dual_lshrrev_b32 v13, 24, v13
	v_and_b32_e32 v39, 0xff, v39
	v_and_b32_e32 v41, 0xff, v41
	;; [unrolled: 1-line block ×4, first 2 shown]
	v_max_u16 v1, v1, v25
	v_max_u16 v6, v16, v28
	;; [unrolled: 1-line block ×3, first 2 shown]
	v_min_u16 v2, v2, v10
	v_max_u16 v10, v17, v29
	v_max_u16 v15, v18, v30
	v_max_u16 v16, v21, v33
	v_min_u16 v9, v9, v38
	v_and_b32_e32 v23, 0xff, v23
	v_and_b32_e32 v24, 0xff, v24
	;; [unrolled: 1-line block ×4, first 2 shown]
	v_max_u16 v7, v19, v31
	v_max_u16 v4, v4, v8
	v_min_u16 v11, v11, v44
	v_min_u16 v1, v1, v37
	;; [unrolled: 1-line block ×7, first 2 shown]
	v_and_b32_e32 v9, 0xffff, v9
	v_and_b32_e32 v47, 0xff, v47
	;; [unrolled: 1-line block ×3, first 2 shown]
	v_min_u16 v7, v7, v43
	v_min_u16 v4, v4, v12
	v_max_u16 v12, v23, v35
	v_max_u16 v17, v24, v36
	v_and_b32_e32 v11, 0xffff, v11
	v_and_b32_e32 v1, 0xffff, v1
	;; [unrolled: 1-line block ×3, first 2 shown]
	v_dual_lshlrev_b32 v15, 16, v15 :: v_dual_lshlrev_b32 v9, 8, v9
	v_max_u16 v8, v22, v34
	v_and_b32_e32 v7, 0xffff, v7
	v_min_u16 v12, v12, v47
	v_min_u16 v16, v17, v48
	v_lshlrev_b32_e32 v11, 8, v11
	v_min_u16 v6, v6, v40
	v_dual_lshlrev_b32 v2, 24, v2 :: v_dual_lshlrev_b32 v3, 24, v3
	v_dual_lshlrev_b32 v13, 16, v13 :: v_dual_lshlrev_b32 v14, 16, v14
	v_dual_lshlrev_b32 v10, 8, v10 :: v_dual_bitop2_b32 v1, v9, v1 bitop3:0x54
	v_min_u16 v8, v8, v46
	v_dual_lshlrev_b32 v4, 24, v4 :: v_dual_lshlrev_b32 v5, 24, v5
	v_and_b32_e32 v12, 0xffff, v12
	v_dual_lshlrev_b32 v16, 16, v16 :: v_dual_bitop2_b32 v7, v11, v7 bitop3:0x54
	v_and_b32_e32 v6, 0xffff, v6
	v_or_b32_e32 v3, v3, v14
	v_or3_b32 v1, v1, v13, v2
	v_and_b32_e32 v8, 0xffff, v8
	v_lshlrev_b32_e32 v9, 8, v12
	v_or_b32_e32 v5, v5, v16
	v_or3_b32 v4, v7, v15, v4
	v_or3_b32 v3, v6, v10, v3
	;; [unrolled: 1-line block ×3, first 2 shown]
	s_delay_alu instid0(VALU_DEP_4) | instskip(NEXT) | instid1(VALU_DEP_4)
	v_or3_b32 v5, v8, v9, v5
	v_or3_b32 v4, v4, 0, 0
	s_clause 0x1
	global_store_b64 v0, v[2:3], s[12:13] scale_offset
	global_store_b64 v0, v[4:5], s[12:13] offset:2048 scale_offset
.LBB97_2:
	s_and_not1_b32 vcc_lo, exec_lo, s0
	s_cbranch_vccnz .LBB97_54
; %bb.3:
	v_cmp_le_i32_e64 s0, s1, v0
	v_or_b32_e32 v1, 0x100, v0
	v_cmp_gt_i32_e32 vcc_lo, s1, v0
	s_wait_xcnt 0x0
	s_and_saveexec_b32 s3, s0
	s_delay_alu instid0(SALU_CYCLE_1)
	s_xor_b32 s0, exec_lo, s3
; %bb.4:
	v_or_b32_e32 v1, 0x100, v0
; %bb.5:
	s_or_saveexec_b32 s3, s0
	v_dual_mov_b32 v54, 0 :: v_dual_bitop2_b32 v10, s2, v0 bitop3:0x54
	v_dual_mov_b32 v53, 0 :: v_dual_mov_b32 v52, 0
	v_dual_mov_b32 v51, 0 :: v_dual_mov_b32 v50, 0
	;; [unrolled: 1-line block ×22, first 2 shown]
	v_mov_b32_e32 v33, 0
	s_xor_b32 exec_lo, exec_lo, s3
	s_cbranch_execz .LBB97_37
; %bb.6:
	s_clause 0x2
	global_load_u8 v31, v10, s[6:7]
	global_load_u8 v34, v10, s[8:9]
	;; [unrolled: 1-line block ×3, first 2 shown]
	v_cmp_gt_u32_e64 s0, s1, v1
	v_dual_mov_b32 v27, 0 :: v_dual_mov_b32 v30, 0
	v_dual_mov_b32 v28, 0 :: v_dual_mov_b32 v3, 0
	;; [unrolled: 1-line block ×21, first 2 shown]
	v_mov_b32_e32 v54, 0
	s_wait_xcnt 0x0
	s_and_saveexec_b32 s12, s0
	s_cbranch_execz .LBB97_36
; %bb.7:
	v_dual_mov_b32 v3, 0 :: v_dual_add_nc_u32 v2, s2, v0
	v_or_b32_e32 v4, 0x200, v0
	v_dual_mov_b32 v26, 0 :: v_dual_mov_b32 v23, 0
	s_clause 0x2
	global_load_u8 v28, v2, s[6:7] offset:256
	global_load_u8 v30, v2, s[8:9] offset:256
	;; [unrolled: 1-line block ×3, first 2 shown]
	v_mov_b32_e32 v17, 0
	v_cmp_gt_u32_e64 s0, s1, v4
	v_dual_mov_b32 v4, 0 :: v_dual_mov_b32 v18, 0
	v_dual_mov_b32 v11, 0 :: v_dual_mov_b32 v14, 0
	;; [unrolled: 1-line block ×18, first 2 shown]
	s_wait_xcnt 0x0
	s_and_saveexec_b32 s13, s0
	s_cbranch_execz .LBB97_35
; %bb.8:
	v_add_nc_u64_e32 v[4:5], s[6:7], v[2:3]
	v_add_nc_u64_e32 v[6:7], s[8:9], v[2:3]
	;; [unrolled: 1-line block ×3, first 2 shown]
	v_or_b32_e32 v11, 0x300, v0
	v_dual_mov_b32 v17, 0 :: v_dual_mov_b32 v18, 0
	v_mov_b32_e32 v14, 0
	global_load_u8 v23, v[4:5], off offset:512
	global_load_u8 v26, v[6:7], off offset:512
	;; [unrolled: 1-line block ×3, first 2 shown]
	v_cmp_gt_u32_e64 s0, s1, v11
	v_dual_mov_b32 v11, 0 :: v_dual_mov_b32 v15, 0
	v_dual_mov_b32 v12, 0 :: v_dual_mov_b32 v16, 0
	v_dual_mov_b32 v19, 0 :: v_dual_mov_b32 v13, 0
	v_dual_mov_b32 v21, 0 :: v_dual_mov_b32 v22, 0
	v_dual_mov_b32 v20, 0 :: v_dual_mov_b32 v24, 0
	v_dual_mov_b32 v29, 0 :: v_dual_mov_b32 v25, 0
	v_dual_mov_b32 v32, 0 :: v_dual_mov_b32 v36, 0
	v_dual_mov_b32 v35, 0 :: v_dual_mov_b32 v37, 0
	v_dual_mov_b32 v39, 0 :: v_dual_mov_b32 v38, 0
	v_dual_mov_b32 v40, 0 :: v_dual_mov_b32 v41, 0
	v_dual_mov_b32 v42, 0 :: v_dual_mov_b32 v43, 0
	v_dual_mov_b32 v44, 0 :: v_dual_mov_b32 v45, 0
	v_dual_mov_b32 v46, 0 :: v_dual_mov_b32 v47, 0
	v_dual_mov_b32 v48, 0 :: v_dual_mov_b32 v49, 0
	v_dual_mov_b32 v50, 0 :: v_dual_mov_b32 v51, 0
	v_dual_mov_b32 v52, 0 :: v_dual_mov_b32 v53, 0
	v_mov_b32_e32 v54, 0
	s_wait_xcnt 0x0
	s_and_saveexec_b32 s6, s0
	s_cbranch_execz .LBB97_34
; %bb.9:
	global_load_u8 v18, v[4:5], off offset:768
	global_load_u8 v17, v[6:7], off offset:768
	;; [unrolled: 1-line block ×3, first 2 shown]
	v_or_b32_e32 v11, 0x400, v0
	v_dual_mov_b32 v15, 0 :: v_dual_mov_b32 v12, 0
	v_dual_mov_b32 v16, 0 :: v_dual_mov_b32 v19, 0
	s_delay_alu instid0(VALU_DEP_3)
	v_cmp_gt_u32_e64 s0, s1, v11
	v_dual_mov_b32 v11, 0 :: v_dual_mov_b32 v14, 0
	v_dual_mov_b32 v13, 0 :: v_dual_mov_b32 v21, 0
	;; [unrolled: 1-line block ×15, first 2 shown]
	s_wait_xcnt 0x0
	s_and_saveexec_b32 s7, s0
	s_cbranch_execz .LBB97_33
; %bb.10:
	global_load_u8 v15, v[4:5], off offset:1024
	global_load_u8 v14, v[6:7], off offset:1024
	;; [unrolled: 1-line block ×3, first 2 shown]
	v_or_b32_e32 v12, 0x500, v0
	v_dual_mov_b32 v19, 0 :: v_dual_mov_b32 v13, 0
	v_dual_mov_b32 v21, 0 :: v_dual_mov_b32 v22, 0
	s_delay_alu instid0(VALU_DEP_3)
	v_cmp_gt_u32_e64 s0, s1, v12
	v_dual_mov_b32 v12, 0 :: v_dual_mov_b32 v16, 0
	v_dual_mov_b32 v20, 0 :: v_dual_mov_b32 v24, 0
	;; [unrolled: 1-line block ×13, first 2 shown]
	v_mov_b32_e32 v54, 0
	s_wait_xcnt 0x0
	s_and_saveexec_b32 s8, s0
	s_cbranch_execz .LBB97_32
; %bb.11:
	global_load_u8 v19, v[4:5], off offset:1280
	global_load_u8 v16, v[6:7], off offset:1280
	;; [unrolled: 1-line block ×3, first 2 shown]
	v_or_b32_e32 v13, 0x600, v0
	v_dual_mov_b32 v22, 0 :: v_dual_mov_b32 v20, 0
	v_dual_mov_b32 v24, 0 :: v_dual_mov_b32 v29, 0
	s_delay_alu instid0(VALU_DEP_3)
	v_cmp_gt_u32_e64 s0, s1, v13
	v_dual_mov_b32 v13, 0 :: v_dual_mov_b32 v21, 0
	v_dual_mov_b32 v25, 0 :: v_dual_mov_b32 v32, 0
	;; [unrolled: 1-line block ×12, first 2 shown]
	s_wait_xcnt 0x0
	s_and_saveexec_b32 s9, s0
	s_cbranch_execz .LBB97_31
; %bb.12:
	global_load_u8 v22, v[4:5], off offset:1536
	global_load_u8 v21, v[6:7], off offset:1536
	;; [unrolled: 1-line block ×3, first 2 shown]
	v_or_b32_e32 v20, 0x700, v0
	v_dual_mov_b32 v29, 0 :: v_dual_mov_b32 v25, 0
	v_dual_mov_b32 v32, 0 :: v_dual_mov_b32 v36, 0
	s_delay_alu instid0(VALU_DEP_3)
	v_cmp_gt_u32_e64 s0, s1, v20
	v_dual_mov_b32 v20, 0 :: v_dual_mov_b32 v24, 0
	v_dual_mov_b32 v35, 0 :: v_dual_mov_b32 v37, 0
	;; [unrolled: 1-line block ×10, first 2 shown]
	v_mov_b32_e32 v54, 0
	s_wait_xcnt 0x0
	s_and_saveexec_b32 s10, s0
	s_cbranch_execz .LBB97_30
; %bb.13:
	global_load_u8 v29, v[4:5], off offset:1792
	global_load_u8 v24, v[6:7], off offset:1792
	;; [unrolled: 1-line block ×3, first 2 shown]
	v_or_b32_e32 v25, 0x800, v0
	v_dual_mov_b32 v36, 0 :: v_dual_mov_b32 v35, 0
	v_dual_mov_b32 v37, 0 :: v_dual_mov_b32 v39, 0
	s_delay_alu instid0(VALU_DEP_3)
	v_cmp_gt_u32_e64 s0, s1, v25
	v_dual_mov_b32 v25, 0 :: v_dual_mov_b32 v32, 0
	v_dual_mov_b32 v38, 0 :: v_dual_mov_b32 v40, 0
	;; [unrolled: 1-line block ×9, first 2 shown]
	s_wait_xcnt 0x0
	s_and_saveexec_b32 s11, s0
	s_cbranch_execz .LBB97_29
; %bb.14:
	global_load_u8 v36, v[4:5], off offset:2048
	global_load_u8 v32, v[6:7], off offset:2048
	;; [unrolled: 1-line block ×3, first 2 shown]
	v_or_b32_e32 v35, 0x900, v0
	v_dual_mov_b32 v39, 0 :: v_dual_mov_b32 v38, 0
	v_dual_mov_b32 v40, 0 :: v_dual_mov_b32 v41, 0
	s_delay_alu instid0(VALU_DEP_3)
	v_cmp_gt_u32_e64 s0, s1, v35
	v_dual_mov_b32 v35, 0 :: v_dual_mov_b32 v37, 0
	v_dual_mov_b32 v42, 0 :: v_dual_mov_b32 v43, 0
	;; [unrolled: 1-line block ×7, first 2 shown]
	v_mov_b32_e32 v54, 0
	s_wait_xcnt 0x0
	s_and_saveexec_b32 s14, s0
	s_cbranch_execz .LBB97_28
; %bb.15:
	global_load_u8 v39, v[4:5], off offset:2304
	global_load_u8 v37, v[6:7], off offset:2304
	;; [unrolled: 1-line block ×3, first 2 shown]
	v_or_b32_e32 v38, 0xa00, v0
	v_dual_mov_b32 v41, 0 :: v_dual_mov_b32 v42, 0
	v_dual_mov_b32 v43, 0 :: v_dual_mov_b32 v44, 0
	s_delay_alu instid0(VALU_DEP_3)
	v_cmp_gt_u32_e64 s0, s1, v38
	v_dual_mov_b32 v38, 0 :: v_dual_mov_b32 v40, 0
	v_dual_mov_b32 v45, 0 :: v_dual_mov_b32 v46, 0
	v_dual_mov_b32 v47, 0 :: v_dual_mov_b32 v48, 0
	v_dual_mov_b32 v49, 0 :: v_dual_mov_b32 v50, 0
	v_dual_mov_b32 v51, 0 :: v_dual_mov_b32 v52, 0
	v_dual_mov_b32 v53, 0 :: v_dual_mov_b32 v54, 0
	s_wait_xcnt 0x0
	s_and_saveexec_b32 s15, s0
	s_cbranch_execz .LBB97_27
; %bb.16:
	global_load_u8 v41, v[4:5], off offset:2560
	global_load_u8 v40, v[6:7], off offset:2560
	;; [unrolled: 1-line block ×3, first 2 shown]
	v_or_b32_e32 v42, 0xb00, v0
	v_dual_mov_b32 v44, 0 :: v_dual_mov_b32 v45, 0
	v_dual_mov_b32 v46, 0 :: v_dual_mov_b32 v47, 0
	s_delay_alu instid0(VALU_DEP_3)
	v_cmp_gt_u32_e64 s0, s1, v42
	v_dual_mov_b32 v42, 0 :: v_dual_mov_b32 v43, 0
	v_dual_mov_b32 v48, 0 :: v_dual_mov_b32 v49, 0
	;; [unrolled: 1-line block ×4, first 2 shown]
	v_mov_b32_e32 v54, 0
	s_wait_xcnt 0x0
	s_and_saveexec_b32 s16, s0
	s_cbranch_execz .LBB97_26
; %bb.17:
	global_load_u8 v44, v[4:5], off offset:2816
	global_load_u8 v43, v[6:7], off offset:2816
	;; [unrolled: 1-line block ×3, first 2 shown]
	v_or_b32_e32 v45, 0xc00, v0
	v_dual_mov_b32 v47, 0 :: v_dual_mov_b32 v48, 0
	v_dual_mov_b32 v49, 0 :: v_dual_mov_b32 v50, 0
	s_delay_alu instid0(VALU_DEP_3)
	v_cmp_gt_u32_e64 s0, s1, v45
	v_dual_mov_b32 v45, 0 :: v_dual_mov_b32 v46, 0
	v_dual_mov_b32 v51, 0 :: v_dual_mov_b32 v52, 0
	;; [unrolled: 1-line block ×3, first 2 shown]
	s_wait_xcnt 0x0
	s_and_saveexec_b32 s17, s0
	s_cbranch_execz .LBB97_25
; %bb.18:
	global_load_u8 v47, v[4:5], off offset:3072
	global_load_u8 v46, v[6:7], off offset:3072
	global_load_u8 v45, v[8:9], off offset:3072
	v_or_b32_e32 v48, 0xd00, v0
	v_dual_mov_b32 v50, 0 :: v_dual_mov_b32 v51, 0
	v_dual_mov_b32 v52, 0 :: v_dual_mov_b32 v53, 0
	s_delay_alu instid0(VALU_DEP_3)
	v_cmp_gt_u32_e64 s0, s1, v48
	v_dual_mov_b32 v48, 0 :: v_dual_mov_b32 v49, 0
	v_mov_b32_e32 v54, 0
	s_wait_xcnt 0x0
	s_and_saveexec_b32 s18, s0
	s_cbranch_execz .LBB97_24
; %bb.19:
	global_load_u8 v50, v[4:5], off offset:3328
	global_load_u8 v49, v[6:7], off offset:3328
	;; [unrolled: 1-line block ×3, first 2 shown]
	v_or_b32_e32 v51, 0xe00, v0
	v_dual_mov_b32 v53, 0 :: v_dual_mov_b32 v54, 0
	v_mov_b32_e32 v52, 0
	s_delay_alu instid0(VALU_DEP_3)
	v_cmp_gt_u32_e64 s0, s1, v51
	v_mov_b32_e32 v51, 0
	s_wait_xcnt 0x0
	s_and_saveexec_b32 s19, s0
	s_cbranch_execz .LBB97_23
; %bb.20:
	global_load_u8 v53, v[4:5], off offset:3584
	global_load_u8 v52, v[6:7], off offset:3584
	global_load_u8 v51, v[8:9], off offset:3584
	v_or_b32_e32 v54, 0xf00, v0
	s_delay_alu instid0(VALU_DEP_1)
	v_cmp_gt_u32_e64 s0, s1, v54
	v_mov_b32_e32 v54, 0
	s_wait_xcnt 0x0
	s_and_saveexec_b32 s20, s0
	s_cbranch_execz .LBB97_22
; %bb.21:
	global_load_u8 v54, v[4:5], off offset:3840
	global_load_u8 v55, v[6:7], off offset:3840
	;; [unrolled: 1-line block ×3, first 2 shown]
	s_wait_loadcnt 0x1
	s_wait_xcnt 0x2
	v_max_u16 v4, v54, v55
	s_wait_loadcnt 0x0
	s_delay_alu instid0(VALU_DEP_1)
	v_min_u16 v54, v4, v56
.LBB97_22:
	s_wait_xcnt 0x0
	s_or_b32 exec_lo, exec_lo, s20
.LBB97_23:
	s_delay_alu instid0(SALU_CYCLE_1)
	s_or_b32 exec_lo, exec_lo, s19
.LBB97_24:
	s_delay_alu instid0(SALU_CYCLE_1)
	s_or_b32 exec_lo, exec_lo, s18
.LBB97_25:
	s_delay_alu instid0(SALU_CYCLE_1)
	s_or_b32 exec_lo, exec_lo, s17
.LBB97_26:
	s_delay_alu instid0(SALU_CYCLE_1)
	s_or_b32 exec_lo, exec_lo, s16
.LBB97_27:
	s_delay_alu instid0(SALU_CYCLE_1)
	s_or_b32 exec_lo, exec_lo, s15
.LBB97_28:
	s_delay_alu instid0(SALU_CYCLE_1)
	s_or_b32 exec_lo, exec_lo, s14
.LBB97_29:
	s_delay_alu instid0(SALU_CYCLE_1)
	s_or_b32 exec_lo, exec_lo, s11
.LBB97_30:
	s_delay_alu instid0(SALU_CYCLE_1)
	s_or_b32 exec_lo, exec_lo, s10
.LBB97_31:
	s_delay_alu instid0(SALU_CYCLE_1)
	s_or_b32 exec_lo, exec_lo, s9
.LBB97_32:
	s_delay_alu instid0(SALU_CYCLE_1)
	s_or_b32 exec_lo, exec_lo, s8
.LBB97_33:
	s_delay_alu instid0(SALU_CYCLE_1)
	s_or_b32 exec_lo, exec_lo, s7
.LBB97_34:
	s_delay_alu instid0(SALU_CYCLE_1)
	s_or_b32 exec_lo, exec_lo, s6
	s_wait_loadcnt 0x0
	v_dual_mov_b32 v4, v3 :: v_dual_mov_b32 v3, v2
.LBB97_35:
	s_or_b32 exec_lo, exec_lo, s13
.LBB97_36:
	s_delay_alu instid0(SALU_CYCLE_1)
	s_or_b32 exec_lo, exec_lo, s12
.LBB97_37:
	s_delay_alu instid0(SALU_CYCLE_1)
	s_or_b32 exec_lo, exec_lo, s3
	s_and_saveexec_b32 s0, vcc_lo
	s_cbranch_execz .LBB97_54
; %bb.38:
	s_wait_loadcnt 0x1
	v_and_b32_e32 v2, 0xff, v34
	v_and_b32_e32 v5, 0xff, v31
	v_cmp_gt_u32_e32 vcc_lo, s1, v1
	s_delay_alu instid0(VALU_DEP_2) | instskip(SKIP_2) | instid1(VALU_DEP_1)
	v_max_u16 v2, v5, v2
	s_wait_loadcnt 0x0
	v_and_b32_e32 v5, 0xff, v33
	v_min_u16 v2, v2, v5
	global_store_b8 v10, v2, s[4:5]
	s_wait_xcnt 0x0
	s_and_b32 exec_lo, exec_lo, vcc_lo
	s_cbranch_execz .LBB97_54
; %bb.39:
	v_and_b32_e32 v2, 0xff, v30
	v_and_b32_e32 v5, 0xff, v28
	;; [unrolled: 1-line block ×3, first 2 shown]
	v_or_b32_e32 v1, s2, v1
	s_delay_alu instid0(VALU_DEP_3) | instskip(SKIP_1) | instid1(VALU_DEP_2)
	v_max_u16 v2, v5, v2
	v_or_b32_e32 v5, 0x200, v0
	v_min_u16 v2, v2, v6
	s_delay_alu instid0(VALU_DEP_2)
	v_cmp_gt_i32_e32 vcc_lo, s1, v5
	global_store_b8 v1, v2, s[4:5]
	s_wait_xcnt 0x0
	s_and_b32 exec_lo, exec_lo, vcc_lo
	s_cbranch_execz .LBB97_54
; %bb.40:
	v_and_b32_e32 v1, 0xff, v26
	v_and_b32_e32 v2, 0xff, v23
	;; [unrolled: 1-line block ×3, first 2 shown]
	v_or_b32_e32 v5, 0x300, v0
	s_delay_alu instid0(VALU_DEP_3) | instskip(SKIP_1) | instid1(VALU_DEP_3)
	v_max_u16 v1, v2, v1
	v_add_nc_u32_e32 v2, s2, v0
	v_cmp_gt_i32_e32 vcc_lo, s1, v5
	s_delay_alu instid0(VALU_DEP_3)
	v_min_u16 v1, v1, v3
	global_store_b8 v2, v1, s[4:5] offset:512
	s_wait_xcnt 0x0
	s_and_b32 exec_lo, exec_lo, vcc_lo
	s_cbranch_execz .LBB97_54
; %bb.41:
	v_and_b32_e32 v1, 0xff, v17
	v_and_b32_e32 v5, 0xff, v18
	v_mov_b32_e32 v3, 0
	v_and_b32_e32 v4, 0xff, v4
	s_delay_alu instid0(VALU_DEP_3) | instskip(SKIP_1) | instid1(VALU_DEP_4)
	v_max_u16 v1, v5, v1
	v_or_b32_e32 v5, 0x400, v0
	v_add_nc_u64_e32 v[2:3], s[4:5], v[2:3]
	s_delay_alu instid0(VALU_DEP_3) | instskip(NEXT) | instid1(VALU_DEP_3)
	v_min_u16 v1, v1, v4
	v_cmp_gt_u32_e32 vcc_lo, s1, v5
	global_store_b8 v[2:3], v1, off offset:768
	s_wait_xcnt 0x0
	s_and_b32 exec_lo, exec_lo, vcc_lo
	s_cbranch_execz .LBB97_54
; %bb.42:
	v_and_b32_e32 v1, 0xff, v14
	v_and_b32_e32 v4, 0xff, v15
	v_or_b32_e32 v5, 0x500, v0
	s_delay_alu instid0(VALU_DEP_2) | instskip(SKIP_1) | instid1(VALU_DEP_3)
	v_max_u16 v1, v4, v1
	v_and_b32_e32 v4, 0xff, v11
	v_cmp_gt_i32_e32 vcc_lo, s1, v5
	s_delay_alu instid0(VALU_DEP_2)
	v_min_u16 v1, v1, v4
	global_store_b8 v[2:3], v1, off offset:1024
	s_wait_xcnt 0x0
	s_and_b32 exec_lo, exec_lo, vcc_lo
	s_cbranch_execz .LBB97_54
; %bb.43:
	v_and_b32_e32 v1, 0xff, v16
	v_and_b32_e32 v4, 0xff, v19
	v_or_b32_e32 v5, 0x600, v0
	s_delay_alu instid0(VALU_DEP_2) | instskip(SKIP_1) | instid1(VALU_DEP_3)
	v_max_u16 v1, v4, v1
	v_and_b32_e32 v4, 0xff, v12
	v_cmp_gt_i32_e32 vcc_lo, s1, v5
	s_delay_alu instid0(VALU_DEP_2)
	v_min_u16 v1, v1, v4
	;; [unrolled: 14-line block ×3, first 2 shown]
	global_store_b8 v[2:3], v1, off offset:1536
	s_wait_xcnt 0x0
	s_and_b32 exec_lo, exec_lo, vcc_lo
	s_cbranch_execz .LBB97_54
; %bb.45:
	v_and_b32_e32 v1, 0xff, v24
	v_and_b32_e32 v4, 0xff, v29
	v_or_b32_e32 v5, 0x800, v0
	s_delay_alu instid0(VALU_DEP_2) | instskip(SKIP_1) | instid1(VALU_DEP_3)
	v_max_u16 v1, v4, v1
	v_and_b32_e32 v4, 0xff, v20
	v_cmp_gt_u32_e32 vcc_lo, s1, v5
	s_delay_alu instid0(VALU_DEP_2)
	v_min_u16 v1, v1, v4
	global_store_b8 v[2:3], v1, off offset:1792
	s_wait_xcnt 0x0
	s_and_b32 exec_lo, exec_lo, vcc_lo
	s_cbranch_execz .LBB97_54
; %bb.46:
	v_and_b32_e32 v1, 0xff, v32
	v_and_b32_e32 v4, 0xff, v36
	v_or_b32_e32 v5, 0x900, v0
	s_delay_alu instid0(VALU_DEP_2) | instskip(SKIP_1) | instid1(VALU_DEP_3)
	v_max_u16 v1, v4, v1
	v_and_b32_e32 v4, 0xff, v25
	v_cmp_gt_i32_e32 vcc_lo, s1, v5
	s_delay_alu instid0(VALU_DEP_2)
	v_min_u16 v1, v1, v4
	global_store_b8 v[2:3], v1, off offset:2048
	s_wait_xcnt 0x0
	s_and_b32 exec_lo, exec_lo, vcc_lo
	s_cbranch_execz .LBB97_54
; %bb.47:
	v_and_b32_e32 v1, 0xff, v37
	v_and_b32_e32 v4, 0xff, v39
	v_or_b32_e32 v5, 0xa00, v0
	s_delay_alu instid0(VALU_DEP_2) | instskip(SKIP_1) | instid1(VALU_DEP_3)
	v_max_u16 v1, v4, v1
	v_and_b32_e32 v4, 0xff, v35
	v_cmp_gt_i32_e32 vcc_lo, s1, v5
	;; [unrolled: 14-line block ×3, first 2 shown]
	s_delay_alu instid0(VALU_DEP_2)
	v_min_u16 v1, v1, v4
	global_store_b8 v[2:3], v1, off offset:2560
	s_wait_xcnt 0x0
	s_and_b32 exec_lo, exec_lo, vcc_lo
	s_cbranch_execz .LBB97_54
; %bb.49:
	v_and_b32_e32 v1, 0xff, v43
	v_and_b32_e32 v4, 0xff, v44
	v_or_b32_e32 v5, 0xc00, v0
	s_delay_alu instid0(VALU_DEP_2) | instskip(SKIP_1) | instid1(VALU_DEP_3)
	v_max_u16 v1, v4, v1
	v_and_b32_e32 v4, 0xff, v42
	v_cmp_gt_u32_e32 vcc_lo, s1, v5
	s_delay_alu instid0(VALU_DEP_2)
	v_min_u16 v1, v1, v4
	global_store_b8 v[2:3], v1, off offset:2816
	s_wait_xcnt 0x0
	s_and_b32 exec_lo, exec_lo, vcc_lo
	s_cbranch_execz .LBB97_54
; %bb.50:
	v_and_b32_e32 v1, 0xff, v46
	v_and_b32_e32 v4, 0xff, v47
	v_or_b32_e32 v5, 0xd00, v0
	s_delay_alu instid0(VALU_DEP_2) | instskip(SKIP_1) | instid1(VALU_DEP_3)
	v_max_u16 v1, v4, v1
	v_and_b32_e32 v4, 0xff, v45
	v_cmp_gt_i32_e32 vcc_lo, s1, v5
	s_delay_alu instid0(VALU_DEP_2)
	v_min_u16 v1, v1, v4
	global_store_b8 v[2:3], v1, off offset:3072
	s_wait_xcnt 0x0
	s_and_b32 exec_lo, exec_lo, vcc_lo
	s_cbranch_execz .LBB97_54
; %bb.51:
	v_and_b32_e32 v1, 0xff, v49
	v_and_b32_e32 v4, 0xff, v50
	v_or_b32_e32 v5, 0xe00, v0
	s_delay_alu instid0(VALU_DEP_2) | instskip(SKIP_1) | instid1(VALU_DEP_3)
	v_max_u16 v1, v4, v1
	v_and_b32_e32 v4, 0xff, v48
	v_cmp_gt_i32_e32 vcc_lo, s1, v5
	;; [unrolled: 14-line block ×3, first 2 shown]
	s_delay_alu instid0(VALU_DEP_2)
	v_min_u16 v1, v1, v4
	global_store_b8 v[2:3], v1, off offset:3584
	s_wait_xcnt 0x0
	s_and_b32 exec_lo, exec_lo, vcc_lo
	s_cbranch_execz .LBB97_54
; %bb.53:
	global_store_b8 v[2:3], v54, off offset:3840
.LBB97_54:
	s_endpgm
	.section	.rodata,"a",@progbits
	.p2align	6, 0x0
	.amdhsa_kernel _ZN2at6native29vectorized_elementwise_kernelILi8EZZZNS0_12_GLOBAL__N_117clamp_kernel_implERNS_18TensorIteratorBaseEENKUlvE_clEvENKUlvE_clEvEUlhhhE_St5arrayIPcLm4EEEEviT0_T1_
		.amdhsa_group_segment_fixed_size 0
		.amdhsa_private_segment_fixed_size 0
		.amdhsa_kernarg_size 40
		.amdhsa_user_sgpr_count 2
		.amdhsa_user_sgpr_dispatch_ptr 0
		.amdhsa_user_sgpr_queue_ptr 0
		.amdhsa_user_sgpr_kernarg_segment_ptr 1
		.amdhsa_user_sgpr_dispatch_id 0
		.amdhsa_user_sgpr_kernarg_preload_length 0
		.amdhsa_user_sgpr_kernarg_preload_offset 0
		.amdhsa_user_sgpr_private_segment_size 0
		.amdhsa_wavefront_size32 1
		.amdhsa_uses_dynamic_stack 0
		.amdhsa_enable_private_segment 0
		.amdhsa_system_sgpr_workgroup_id_x 1
		.amdhsa_system_sgpr_workgroup_id_y 0
		.amdhsa_system_sgpr_workgroup_id_z 0
		.amdhsa_system_sgpr_workgroup_info 0
		.amdhsa_system_vgpr_workitem_id 0
		.amdhsa_next_free_vgpr 57
		.amdhsa_next_free_sgpr 21
		.amdhsa_named_barrier_count 0
		.amdhsa_reserve_vcc 1
		.amdhsa_float_round_mode_32 0
		.amdhsa_float_round_mode_16_64 0
		.amdhsa_float_denorm_mode_32 3
		.amdhsa_float_denorm_mode_16_64 3
		.amdhsa_fp16_overflow 0
		.amdhsa_memory_ordered 1
		.amdhsa_forward_progress 1
		.amdhsa_inst_pref_size 44
		.amdhsa_round_robin_scheduling 0
		.amdhsa_exception_fp_ieee_invalid_op 0
		.amdhsa_exception_fp_denorm_src 0
		.amdhsa_exception_fp_ieee_div_zero 0
		.amdhsa_exception_fp_ieee_overflow 0
		.amdhsa_exception_fp_ieee_underflow 0
		.amdhsa_exception_fp_ieee_inexact 0
		.amdhsa_exception_int_div_zero 0
	.end_amdhsa_kernel
	.section	.text._ZN2at6native29vectorized_elementwise_kernelILi8EZZZNS0_12_GLOBAL__N_117clamp_kernel_implERNS_18TensorIteratorBaseEENKUlvE_clEvENKUlvE_clEvEUlhhhE_St5arrayIPcLm4EEEEviT0_T1_,"axG",@progbits,_ZN2at6native29vectorized_elementwise_kernelILi8EZZZNS0_12_GLOBAL__N_117clamp_kernel_implERNS_18TensorIteratorBaseEENKUlvE_clEvENKUlvE_clEvEUlhhhE_St5arrayIPcLm4EEEEviT0_T1_,comdat
.Lfunc_end97:
	.size	_ZN2at6native29vectorized_elementwise_kernelILi8EZZZNS0_12_GLOBAL__N_117clamp_kernel_implERNS_18TensorIteratorBaseEENKUlvE_clEvENKUlvE_clEvEUlhhhE_St5arrayIPcLm4EEEEviT0_T1_, .Lfunc_end97-_ZN2at6native29vectorized_elementwise_kernelILi8EZZZNS0_12_GLOBAL__N_117clamp_kernel_implERNS_18TensorIteratorBaseEENKUlvE_clEvENKUlvE_clEvEUlhhhE_St5arrayIPcLm4EEEEviT0_T1_
                                        ; -- End function
	.set _ZN2at6native29vectorized_elementwise_kernelILi8EZZZNS0_12_GLOBAL__N_117clamp_kernel_implERNS_18TensorIteratorBaseEENKUlvE_clEvENKUlvE_clEvEUlhhhE_St5arrayIPcLm4EEEEviT0_T1_.num_vgpr, 57
	.set _ZN2at6native29vectorized_elementwise_kernelILi8EZZZNS0_12_GLOBAL__N_117clamp_kernel_implERNS_18TensorIteratorBaseEENKUlvE_clEvENKUlvE_clEvEUlhhhE_St5arrayIPcLm4EEEEviT0_T1_.num_agpr, 0
	.set _ZN2at6native29vectorized_elementwise_kernelILi8EZZZNS0_12_GLOBAL__N_117clamp_kernel_implERNS_18TensorIteratorBaseEENKUlvE_clEvENKUlvE_clEvEUlhhhE_St5arrayIPcLm4EEEEviT0_T1_.numbered_sgpr, 21
	.set _ZN2at6native29vectorized_elementwise_kernelILi8EZZZNS0_12_GLOBAL__N_117clamp_kernel_implERNS_18TensorIteratorBaseEENKUlvE_clEvENKUlvE_clEvEUlhhhE_St5arrayIPcLm4EEEEviT0_T1_.num_named_barrier, 0
	.set _ZN2at6native29vectorized_elementwise_kernelILi8EZZZNS0_12_GLOBAL__N_117clamp_kernel_implERNS_18TensorIteratorBaseEENKUlvE_clEvENKUlvE_clEvEUlhhhE_St5arrayIPcLm4EEEEviT0_T1_.private_seg_size, 0
	.set _ZN2at6native29vectorized_elementwise_kernelILi8EZZZNS0_12_GLOBAL__N_117clamp_kernel_implERNS_18TensorIteratorBaseEENKUlvE_clEvENKUlvE_clEvEUlhhhE_St5arrayIPcLm4EEEEviT0_T1_.uses_vcc, 1
	.set _ZN2at6native29vectorized_elementwise_kernelILi8EZZZNS0_12_GLOBAL__N_117clamp_kernel_implERNS_18TensorIteratorBaseEENKUlvE_clEvENKUlvE_clEvEUlhhhE_St5arrayIPcLm4EEEEviT0_T1_.uses_flat_scratch, 0
	.set _ZN2at6native29vectorized_elementwise_kernelILi8EZZZNS0_12_GLOBAL__N_117clamp_kernel_implERNS_18TensorIteratorBaseEENKUlvE_clEvENKUlvE_clEvEUlhhhE_St5arrayIPcLm4EEEEviT0_T1_.has_dyn_sized_stack, 0
	.set _ZN2at6native29vectorized_elementwise_kernelILi8EZZZNS0_12_GLOBAL__N_117clamp_kernel_implERNS_18TensorIteratorBaseEENKUlvE_clEvENKUlvE_clEvEUlhhhE_St5arrayIPcLm4EEEEviT0_T1_.has_recursion, 0
	.set _ZN2at6native29vectorized_elementwise_kernelILi8EZZZNS0_12_GLOBAL__N_117clamp_kernel_implERNS_18TensorIteratorBaseEENKUlvE_clEvENKUlvE_clEvEUlhhhE_St5arrayIPcLm4EEEEviT0_T1_.has_indirect_call, 0
	.section	.AMDGPU.csdata,"",@progbits
; Kernel info:
; codeLenInByte = 5508
; TotalNumSgprs: 23
; NumVgprs: 57
; ScratchSize: 0
; MemoryBound: 0
; FloatMode: 240
; IeeeMode: 1
; LDSByteSize: 0 bytes/workgroup (compile time only)
; SGPRBlocks: 0
; VGPRBlocks: 3
; NumSGPRsForWavesPerEU: 23
; NumVGPRsForWavesPerEU: 57
; NamedBarCnt: 0
; Occupancy: 16
; WaveLimiterHint : 1
; COMPUTE_PGM_RSRC2:SCRATCH_EN: 0
; COMPUTE_PGM_RSRC2:USER_SGPR: 2
; COMPUTE_PGM_RSRC2:TRAP_HANDLER: 0
; COMPUTE_PGM_RSRC2:TGID_X_EN: 1
; COMPUTE_PGM_RSRC2:TGID_Y_EN: 0
; COMPUTE_PGM_RSRC2:TGID_Z_EN: 0
; COMPUTE_PGM_RSRC2:TIDIG_COMP_CNT: 0
	.section	.text._ZN2at6native29vectorized_elementwise_kernelILi4EZZZNS0_12_GLOBAL__N_117clamp_kernel_implERNS_18TensorIteratorBaseEENKUlvE_clEvENKUlvE_clEvEUlhhhE_St5arrayIPcLm4EEEEviT0_T1_,"axG",@progbits,_ZN2at6native29vectorized_elementwise_kernelILi4EZZZNS0_12_GLOBAL__N_117clamp_kernel_implERNS_18TensorIteratorBaseEENKUlvE_clEvENKUlvE_clEvEUlhhhE_St5arrayIPcLm4EEEEviT0_T1_,comdat
	.globl	_ZN2at6native29vectorized_elementwise_kernelILi4EZZZNS0_12_GLOBAL__N_117clamp_kernel_implERNS_18TensorIteratorBaseEENKUlvE_clEvENKUlvE_clEvEUlhhhE_St5arrayIPcLm4EEEEviT0_T1_ ; -- Begin function _ZN2at6native29vectorized_elementwise_kernelILi4EZZZNS0_12_GLOBAL__N_117clamp_kernel_implERNS_18TensorIteratorBaseEENKUlvE_clEvENKUlvE_clEvEUlhhhE_St5arrayIPcLm4EEEEviT0_T1_
	.p2align	8
	.type	_ZN2at6native29vectorized_elementwise_kernelILi4EZZZNS0_12_GLOBAL__N_117clamp_kernel_implERNS_18TensorIteratorBaseEENKUlvE_clEvENKUlvE_clEvEUlhhhE_St5arrayIPcLm4EEEEviT0_T1_,@function
_ZN2at6native29vectorized_elementwise_kernelILi4EZZZNS0_12_GLOBAL__N_117clamp_kernel_implERNS_18TensorIteratorBaseEENKUlvE_clEvENKUlvE_clEvEUlhhhE_St5arrayIPcLm4EEEEviT0_T1_: ; @_ZN2at6native29vectorized_elementwise_kernelILi4EZZZNS0_12_GLOBAL__N_117clamp_kernel_implERNS_18TensorIteratorBaseEENKUlvE_clEvENKUlvE_clEvEUlhhhE_St5arrayIPcLm4EEEEviT0_T1_
; %bb.0:
	s_clause 0x1
	s_load_b32 s3, s[0:1], 0x0
	s_load_b256 s[4:11], s[0:1], 0x8
	s_wait_xcnt 0x0
	s_bfe_u32 s0, ttmp6, 0x4000c
	s_and_b32 s1, ttmp6, 15
	s_add_co_i32 s0, s0, 1
	s_getreg_b32 s2, hwreg(HW_REG_IB_STS2, 6, 4)
	s_mul_i32 s0, ttmp9, s0
	s_delay_alu instid0(SALU_CYCLE_1) | instskip(SKIP_2) | instid1(SALU_CYCLE_1)
	s_add_co_i32 s1, s1, s0
	s_cmp_eq_u32 s2, 0
	s_cselect_b32 s0, ttmp9, s1
	s_lshl_b32 s2, s0, 12
	s_mov_b32 s0, -1
	s_wait_kmcnt 0x0
	s_sub_co_i32 s1, s3, s2
	s_delay_alu instid0(SALU_CYCLE_1)
	s_cmp_gt_i32 s1, 0xfff
	s_cbranch_scc0 .LBB98_2
; %bb.1:
	s_ashr_i32 s3, s2, 31
	s_mov_b32 s0, 0
	s_add_nc_u64 s[12:13], s[6:7], s[2:3]
	s_clause 0x3
	global_load_b32 v1, v0, s[12:13] scale_offset
	global_load_b32 v2, v0, s[12:13] offset:1024 scale_offset
	global_load_b32 v3, v0, s[12:13] offset:2048 scale_offset
	global_load_b32 v4, v0, s[12:13] offset:3072 scale_offset
	s_wait_xcnt 0x0
	s_add_nc_u64 s[12:13], s[8:9], s[2:3]
	s_clause 0x3
	global_load_b32 v5, v0, s[12:13] scale_offset
	global_load_b32 v6, v0, s[12:13] offset:1024 scale_offset
	global_load_b32 v7, v0, s[12:13] offset:2048 scale_offset
	global_load_b32 v8, v0, s[12:13] offset:3072 scale_offset
	s_wait_xcnt 0x0
	;; [unrolled: 7-line block ×3, first 2 shown]
	s_add_nc_u64 s[12:13], s[4:5], s[2:3]
	s_wait_loadcnt 0xb
	v_and_b32_e32 v13, 0xff, v1
	v_dual_lshrrev_b32 v14, 8, v1 :: v_dual_lshrrev_b32 v15, 16, v1
	s_wait_loadcnt 0x7
	v_and_b32_e32 v25, 0xff, v5
	v_dual_lshrrev_b32 v26, 8, v5 :: v_dual_lshrrev_b32 v27, 16, v5
	v_dual_lshrrev_b32 v1, 24, v1 :: v_dual_lshrrev_b32 v17, 8, v2
	s_wait_loadcnt 0x6
	v_dual_lshrrev_b32 v5, 24, v5 :: v_dual_lshrrev_b32 v29, 8, v6
	v_and_b32_e32 v16, 0xff, v2
	v_dual_lshrrev_b32 v18, 16, v2 :: v_dual_lshrrev_b32 v2, 24, v2
	v_dual_lshrrev_b32 v20, 8, v3 :: v_dual_lshrrev_b32 v21, 16, v3
	v_and_b32_e32 v28, 0xff, v6
	v_dual_lshrrev_b32 v30, 16, v6 :: v_dual_lshrrev_b32 v6, 24, v6
	s_wait_loadcnt 0x5
	v_dual_lshrrev_b32 v32, 8, v7 :: v_dual_lshrrev_b32 v33, 16, v7
	v_and_b32_e32 v19, 0xff, v3
	v_dual_lshrrev_b32 v3, 24, v3 :: v_dual_lshrrev_b32 v23, 8, v4
	v_and_b32_e32 v31, 0xff, v7
	s_wait_loadcnt 0x4
	v_dual_lshrrev_b32 v7, 24, v7 :: v_dual_lshrrev_b32 v35, 8, v8
	v_and_b32_e32 v22, 0xff, v4
	v_dual_lshrrev_b32 v24, 16, v4 :: v_dual_lshrrev_b32 v4, 24, v4
	v_and_b32_e32 v34, 0xff, v8
	v_dual_lshrrev_b32 v36, 16, v8 :: v_dual_lshrrev_b32 v8, 24, v8
	s_wait_loadcnt 0x3
	v_and_b32_e32 v37, 0xff, v9
	v_dual_lshrrev_b32 v38, 8, v9 :: v_dual_lshrrev_b32 v39, 16, v9
	v_and_b32_e32 v14, 0xff, v14
	v_and_b32_e32 v26, 0xff, v26
	v_max_u16 v13, v13, v25
	s_wait_loadcnt 0x2
	v_dual_lshrrev_b32 v9, 24, v9 :: v_dual_lshrrev_b32 v41, 8, v10
	v_and_b32_e32 v17, 0xff, v17
	v_and_b32_e32 v29, 0xff, v29
	v_max_u16 v1, v1, v5
	v_and_b32_e32 v40, 0xff, v10
	v_dual_lshrrev_b32 v42, 16, v10 :: v_dual_lshrrev_b32 v10, 24, v10
	s_wait_loadcnt 0x1
	v_dual_lshrrev_b32 v44, 8, v11 :: v_dual_lshrrev_b32 v45, 16, v11
	v_and_b32_e32 v20, 0xff, v20
	v_and_b32_e32 v32, 0xff, v32
	v_max_u16 v2, v2, v6
	v_and_b32_e32 v43, 0xff, v11
	s_wait_loadcnt 0x0
	v_dual_lshrrev_b32 v11, 24, v11 :: v_dual_lshrrev_b32 v47, 8, v12
	v_and_b32_e32 v23, 0xff, v23
	v_and_b32_e32 v35, 0xff, v35
	v_max_u16 v3, v3, v7
	v_and_b32_e32 v46, 0xff, v12
	v_dual_lshrrev_b32 v48, 16, v12 :: v_dual_lshrrev_b32 v12, 24, v12
	v_and_b32_e32 v15, 0xff, v15
	v_and_b32_e32 v27, 0xff, v27
	v_and_b32_e32 v38, 0xff, v38
	v_max_u16 v4, v4, v8
	v_min_u16 v8, v13, v37
	v_max_u16 v13, v14, v26
	v_and_b32_e32 v18, 0xff, v18
	v_and_b32_e32 v30, 0xff, v30
	v_and_b32_e32 v41, 0xff, v41
	v_max_u16 v5, v16, v28
	v_min_u16 v1, v1, v9
	v_max_u16 v9, v17, v29
	;; [unrolled: 6-line block ×4, first 2 shown]
	v_and_b32_e32 v39, 0xff, v39
	v_max_u16 v14, v15, v27
	v_min_u16 v4, v4, v12
	v_min_u16 v12, v13, v38
	v_and_b32_e32 v42, 0xff, v42
	v_min_u16 v5, v5, v40
	v_max_u16 v15, v18, v30
	v_min_u16 v9, v9, v41
	v_and_b32_e32 v45, 0xff, v45
	v_min_u16 v6, v6, v43
	v_max_u16 v16, v21, v33
	;; [unrolled: 4-line block ×3, first 2 shown]
	v_min_u16 v11, v11, v47
	v_and_b32_e32 v8, 0xffff, v8
	v_min_u16 v13, v14, v39
	v_and_b32_e32 v12, 0xffff, v12
	v_and_b32_e32 v5, 0xffff, v5
	v_min_u16 v14, v15, v42
	v_and_b32_e32 v9, 0xffff, v9
	v_and_b32_e32 v6, 0xffff, v6
	v_min_u16 v15, v16, v45
	v_and_b32_e32 v10, 0xffff, v10
	v_and_b32_e32 v7, 0xffff, v7
	v_min_u16 v16, v17, v48
	v_and_b32_e32 v11, 0xffff, v11
	v_dual_lshlrev_b32 v1, 24, v1 :: v_dual_lshlrev_b32 v2, 24, v2
	v_dual_lshlrev_b32 v13, 16, v13 :: v_dual_lshlrev_b32 v14, 16, v14
	v_lshl_or_b32 v8, v12, 8, v8
	v_lshl_or_b32 v5, v9, 8, v5
	v_dual_lshlrev_b32 v3, 24, v3 :: v_dual_lshlrev_b32 v4, 24, v4
	v_dual_lshlrev_b32 v15, 16, v15 :: v_dual_lshlrev_b32 v16, 16, v16
	v_lshl_or_b32 v6, v10, 8, v6
	v_lshl_or_b32 v7, v11, 8, v7
	v_or3_b32 v1, v8, v13, v1
	v_or3_b32 v2, v5, v14, v2
	s_delay_alu instid0(VALU_DEP_4) | instskip(NEXT) | instid1(VALU_DEP_4)
	v_or3_b32 v3, v6, v15, v3
	v_or3_b32 v4, v7, v16, v4
	s_clause 0x3
	global_store_b32 v0, v1, s[12:13] scale_offset
	global_store_b32 v0, v2, s[12:13] offset:1024 scale_offset
	global_store_b32 v0, v3, s[12:13] offset:2048 scale_offset
	;; [unrolled: 1-line block ×3, first 2 shown]
.LBB98_2:
	s_and_not1_b32 vcc_lo, exec_lo, s0
	s_cbranch_vccnz .LBB98_54
; %bb.3:
	v_cmp_le_i32_e64 s0, s1, v0
	s_wait_xcnt 0x3
	v_or_b32_e32 v1, 0x100, v0
	v_cmp_gt_i32_e32 vcc_lo, s1, v0
	s_wait_xcnt 0x0
	s_and_saveexec_b32 s3, s0
	s_delay_alu instid0(SALU_CYCLE_1)
	s_xor_b32 s0, exec_lo, s3
; %bb.4:
	v_or_b32_e32 v1, 0x100, v0
; %bb.5:
	s_or_saveexec_b32 s3, s0
	v_dual_mov_b32 v54, 0 :: v_dual_bitop2_b32 v10, s2, v0 bitop3:0x54
	v_dual_mov_b32 v53, 0 :: v_dual_mov_b32 v52, 0
	v_dual_mov_b32 v51, 0 :: v_dual_mov_b32 v50, 0
	v_dual_mov_b32 v49, 0 :: v_dual_mov_b32 v48, 0
	v_dual_mov_b32 v47, 0 :: v_dual_mov_b32 v46, 0
	v_dual_mov_b32 v45, 0 :: v_dual_mov_b32 v44, 0
	v_dual_mov_b32 v43, 0 :: v_dual_mov_b32 v42, 0
	v_dual_mov_b32 v41, 0 :: v_dual_mov_b32 v40, 0
	v_dual_mov_b32 v38, 0 :: v_dual_mov_b32 v39, 0
	v_dual_mov_b32 v37, 0 :: v_dual_mov_b32 v35, 0
	v_dual_mov_b32 v36, 0 :: v_dual_mov_b32 v32, 0
	v_dual_mov_b32 v25, 0 :: v_dual_mov_b32 v29, 0
	v_dual_mov_b32 v24, 0 :: v_dual_mov_b32 v20, 0
	v_dual_mov_b32 v22, 0 :: v_dual_mov_b32 v21, 0
	v_dual_mov_b32 v13, 0 :: v_dual_mov_b32 v19, 0
	v_dual_mov_b32 v16, 0 :: v_dual_mov_b32 v12, 0
	v_dual_mov_b32 v15, 0 :: v_dual_mov_b32 v14, 0
	v_dual_mov_b32 v11, 0 :: v_dual_mov_b32 v18, 0
	v_dual_mov_b32 v17, 0 :: v_dual_mov_b32 v4, 0
	v_dual_mov_b32 v23, 0 :: v_dual_mov_b32 v26, 0
	v_dual_mov_b32 v3, 0 :: v_dual_mov_b32 v28, 0
	v_dual_mov_b32 v30, 0 :: v_dual_mov_b32 v27, 0
	v_dual_mov_b32 v31, 0 :: v_dual_mov_b32 v34, 0
	v_mov_b32_e32 v33, 0
	s_xor_b32 exec_lo, exec_lo, s3
	s_cbranch_execz .LBB98_37
; %bb.6:
	s_clause 0x2
	global_load_u8 v31, v10, s[6:7]
	global_load_u8 v34, v10, s[8:9]
	;; [unrolled: 1-line block ×3, first 2 shown]
	v_cmp_gt_u32_e64 s0, s1, v1
	v_dual_mov_b32 v27, 0 :: v_dual_mov_b32 v30, 0
	v_dual_mov_b32 v28, 0 :: v_dual_mov_b32 v3, 0
	;; [unrolled: 1-line block ×21, first 2 shown]
	v_mov_b32_e32 v54, 0
	s_wait_xcnt 0x0
	s_and_saveexec_b32 s12, s0
	s_cbranch_execz .LBB98_36
; %bb.7:
	v_dual_mov_b32 v3, 0 :: v_dual_add_nc_u32 v2, s2, v0
	v_or_b32_e32 v4, 0x200, v0
	v_dual_mov_b32 v26, 0 :: v_dual_mov_b32 v23, 0
	s_clause 0x2
	global_load_u8 v28, v2, s[6:7] offset:256
	global_load_u8 v30, v2, s[8:9] offset:256
	;; [unrolled: 1-line block ×3, first 2 shown]
	v_mov_b32_e32 v17, 0
	v_cmp_gt_u32_e64 s0, s1, v4
	v_dual_mov_b32 v4, 0 :: v_dual_mov_b32 v18, 0
	v_dual_mov_b32 v11, 0 :: v_dual_mov_b32 v14, 0
	;; [unrolled: 1-line block ×18, first 2 shown]
	s_wait_xcnt 0x0
	s_and_saveexec_b32 s13, s0
	s_cbranch_execz .LBB98_35
; %bb.8:
	v_add_nc_u64_e32 v[4:5], s[6:7], v[2:3]
	v_add_nc_u64_e32 v[6:7], s[8:9], v[2:3]
	;; [unrolled: 1-line block ×3, first 2 shown]
	v_or_b32_e32 v11, 0x300, v0
	v_dual_mov_b32 v17, 0 :: v_dual_mov_b32 v18, 0
	v_mov_b32_e32 v14, 0
	global_load_u8 v23, v[4:5], off offset:512
	global_load_u8 v26, v[6:7], off offset:512
	;; [unrolled: 1-line block ×3, first 2 shown]
	v_cmp_gt_u32_e64 s0, s1, v11
	v_dual_mov_b32 v11, 0 :: v_dual_mov_b32 v15, 0
	v_dual_mov_b32 v12, 0 :: v_dual_mov_b32 v16, 0
	;; [unrolled: 1-line block ×16, first 2 shown]
	v_mov_b32_e32 v54, 0
	s_wait_xcnt 0x0
	s_and_saveexec_b32 s6, s0
	s_cbranch_execz .LBB98_34
; %bb.9:
	global_load_u8 v18, v[4:5], off offset:768
	global_load_u8 v17, v[6:7], off offset:768
	;; [unrolled: 1-line block ×3, first 2 shown]
	v_or_b32_e32 v11, 0x400, v0
	v_dual_mov_b32 v15, 0 :: v_dual_mov_b32 v12, 0
	v_dual_mov_b32 v16, 0 :: v_dual_mov_b32 v19, 0
	s_delay_alu instid0(VALU_DEP_3)
	v_cmp_gt_u32_e64 s0, s1, v11
	v_dual_mov_b32 v11, 0 :: v_dual_mov_b32 v14, 0
	v_dual_mov_b32 v13, 0 :: v_dual_mov_b32 v21, 0
	;; [unrolled: 1-line block ×15, first 2 shown]
	s_wait_xcnt 0x0
	s_and_saveexec_b32 s7, s0
	s_cbranch_execz .LBB98_33
; %bb.10:
	global_load_u8 v15, v[4:5], off offset:1024
	global_load_u8 v14, v[6:7], off offset:1024
	;; [unrolled: 1-line block ×3, first 2 shown]
	v_or_b32_e32 v12, 0x500, v0
	v_dual_mov_b32 v19, 0 :: v_dual_mov_b32 v13, 0
	v_dual_mov_b32 v21, 0 :: v_dual_mov_b32 v22, 0
	s_delay_alu instid0(VALU_DEP_3)
	v_cmp_gt_u32_e64 s0, s1, v12
	v_dual_mov_b32 v12, 0 :: v_dual_mov_b32 v16, 0
	v_dual_mov_b32 v20, 0 :: v_dual_mov_b32 v24, 0
	v_dual_mov_b32 v29, 0 :: v_dual_mov_b32 v25, 0
	v_dual_mov_b32 v32, 0 :: v_dual_mov_b32 v36, 0
	v_dual_mov_b32 v35, 0 :: v_dual_mov_b32 v37, 0
	v_dual_mov_b32 v39, 0 :: v_dual_mov_b32 v38, 0
	v_dual_mov_b32 v40, 0 :: v_dual_mov_b32 v41, 0
	v_dual_mov_b32 v42, 0 :: v_dual_mov_b32 v43, 0
	v_dual_mov_b32 v44, 0 :: v_dual_mov_b32 v45, 0
	v_dual_mov_b32 v46, 0 :: v_dual_mov_b32 v47, 0
	v_dual_mov_b32 v48, 0 :: v_dual_mov_b32 v49, 0
	v_dual_mov_b32 v50, 0 :: v_dual_mov_b32 v51, 0
	v_dual_mov_b32 v52, 0 :: v_dual_mov_b32 v53, 0
	v_mov_b32_e32 v54, 0
	s_wait_xcnt 0x0
	s_and_saveexec_b32 s8, s0
	s_cbranch_execz .LBB98_32
; %bb.11:
	global_load_u8 v19, v[4:5], off offset:1280
	global_load_u8 v16, v[6:7], off offset:1280
	;; [unrolled: 1-line block ×3, first 2 shown]
	v_or_b32_e32 v13, 0x600, v0
	v_dual_mov_b32 v22, 0 :: v_dual_mov_b32 v20, 0
	v_dual_mov_b32 v24, 0 :: v_dual_mov_b32 v29, 0
	s_delay_alu instid0(VALU_DEP_3)
	v_cmp_gt_u32_e64 s0, s1, v13
	v_dual_mov_b32 v13, 0 :: v_dual_mov_b32 v21, 0
	v_dual_mov_b32 v25, 0 :: v_dual_mov_b32 v32, 0
	;; [unrolled: 1-line block ×12, first 2 shown]
	s_wait_xcnt 0x0
	s_and_saveexec_b32 s9, s0
	s_cbranch_execz .LBB98_31
; %bb.12:
	global_load_u8 v22, v[4:5], off offset:1536
	global_load_u8 v21, v[6:7], off offset:1536
	;; [unrolled: 1-line block ×3, first 2 shown]
	v_or_b32_e32 v20, 0x700, v0
	v_dual_mov_b32 v29, 0 :: v_dual_mov_b32 v25, 0
	v_dual_mov_b32 v32, 0 :: v_dual_mov_b32 v36, 0
	s_delay_alu instid0(VALU_DEP_3)
	v_cmp_gt_u32_e64 s0, s1, v20
	v_dual_mov_b32 v20, 0 :: v_dual_mov_b32 v24, 0
	v_dual_mov_b32 v35, 0 :: v_dual_mov_b32 v37, 0
	;; [unrolled: 1-line block ×10, first 2 shown]
	v_mov_b32_e32 v54, 0
	s_wait_xcnt 0x0
	s_and_saveexec_b32 s10, s0
	s_cbranch_execz .LBB98_30
; %bb.13:
	global_load_u8 v29, v[4:5], off offset:1792
	global_load_u8 v24, v[6:7], off offset:1792
	global_load_u8 v20, v[8:9], off offset:1792
	v_or_b32_e32 v25, 0x800, v0
	v_dual_mov_b32 v36, 0 :: v_dual_mov_b32 v35, 0
	v_dual_mov_b32 v37, 0 :: v_dual_mov_b32 v39, 0
	s_delay_alu instid0(VALU_DEP_3)
	v_cmp_gt_u32_e64 s0, s1, v25
	v_dual_mov_b32 v25, 0 :: v_dual_mov_b32 v32, 0
	v_dual_mov_b32 v38, 0 :: v_dual_mov_b32 v40, 0
	;; [unrolled: 1-line block ×9, first 2 shown]
	s_wait_xcnt 0x0
	s_and_saveexec_b32 s11, s0
	s_cbranch_execz .LBB98_29
; %bb.14:
	global_load_u8 v36, v[4:5], off offset:2048
	global_load_u8 v32, v[6:7], off offset:2048
	;; [unrolled: 1-line block ×3, first 2 shown]
	v_or_b32_e32 v35, 0x900, v0
	v_dual_mov_b32 v39, 0 :: v_dual_mov_b32 v38, 0
	v_dual_mov_b32 v40, 0 :: v_dual_mov_b32 v41, 0
	s_delay_alu instid0(VALU_DEP_3)
	v_cmp_gt_u32_e64 s0, s1, v35
	v_dual_mov_b32 v35, 0 :: v_dual_mov_b32 v37, 0
	v_dual_mov_b32 v42, 0 :: v_dual_mov_b32 v43, 0
	;; [unrolled: 1-line block ×7, first 2 shown]
	v_mov_b32_e32 v54, 0
	s_wait_xcnt 0x0
	s_and_saveexec_b32 s14, s0
	s_cbranch_execz .LBB98_28
; %bb.15:
	global_load_u8 v39, v[4:5], off offset:2304
	global_load_u8 v37, v[6:7], off offset:2304
	;; [unrolled: 1-line block ×3, first 2 shown]
	v_or_b32_e32 v38, 0xa00, v0
	v_dual_mov_b32 v41, 0 :: v_dual_mov_b32 v42, 0
	v_dual_mov_b32 v43, 0 :: v_dual_mov_b32 v44, 0
	s_delay_alu instid0(VALU_DEP_3)
	v_cmp_gt_u32_e64 s0, s1, v38
	v_dual_mov_b32 v38, 0 :: v_dual_mov_b32 v40, 0
	v_dual_mov_b32 v45, 0 :: v_dual_mov_b32 v46, 0
	;; [unrolled: 1-line block ×6, first 2 shown]
	s_wait_xcnt 0x0
	s_and_saveexec_b32 s15, s0
	s_cbranch_execz .LBB98_27
; %bb.16:
	global_load_u8 v41, v[4:5], off offset:2560
	global_load_u8 v40, v[6:7], off offset:2560
	;; [unrolled: 1-line block ×3, first 2 shown]
	v_or_b32_e32 v42, 0xb00, v0
	v_dual_mov_b32 v44, 0 :: v_dual_mov_b32 v45, 0
	v_dual_mov_b32 v46, 0 :: v_dual_mov_b32 v47, 0
	s_delay_alu instid0(VALU_DEP_3)
	v_cmp_gt_u32_e64 s0, s1, v42
	v_dual_mov_b32 v42, 0 :: v_dual_mov_b32 v43, 0
	v_dual_mov_b32 v48, 0 :: v_dual_mov_b32 v49, 0
	;; [unrolled: 1-line block ×4, first 2 shown]
	v_mov_b32_e32 v54, 0
	s_wait_xcnt 0x0
	s_and_saveexec_b32 s16, s0
	s_cbranch_execz .LBB98_26
; %bb.17:
	global_load_u8 v44, v[4:5], off offset:2816
	global_load_u8 v43, v[6:7], off offset:2816
	;; [unrolled: 1-line block ×3, first 2 shown]
	v_or_b32_e32 v45, 0xc00, v0
	v_dual_mov_b32 v47, 0 :: v_dual_mov_b32 v48, 0
	v_dual_mov_b32 v49, 0 :: v_dual_mov_b32 v50, 0
	s_delay_alu instid0(VALU_DEP_3)
	v_cmp_gt_u32_e64 s0, s1, v45
	v_dual_mov_b32 v45, 0 :: v_dual_mov_b32 v46, 0
	v_dual_mov_b32 v51, 0 :: v_dual_mov_b32 v52, 0
	;; [unrolled: 1-line block ×3, first 2 shown]
	s_wait_xcnt 0x0
	s_and_saveexec_b32 s17, s0
	s_cbranch_execz .LBB98_25
; %bb.18:
	global_load_u8 v47, v[4:5], off offset:3072
	global_load_u8 v46, v[6:7], off offset:3072
	;; [unrolled: 1-line block ×3, first 2 shown]
	v_or_b32_e32 v48, 0xd00, v0
	v_dual_mov_b32 v50, 0 :: v_dual_mov_b32 v51, 0
	v_dual_mov_b32 v52, 0 :: v_dual_mov_b32 v53, 0
	s_delay_alu instid0(VALU_DEP_3)
	v_cmp_gt_u32_e64 s0, s1, v48
	v_dual_mov_b32 v48, 0 :: v_dual_mov_b32 v49, 0
	v_mov_b32_e32 v54, 0
	s_wait_xcnt 0x0
	s_and_saveexec_b32 s18, s0
	s_cbranch_execz .LBB98_24
; %bb.19:
	global_load_u8 v50, v[4:5], off offset:3328
	global_load_u8 v49, v[6:7], off offset:3328
	;; [unrolled: 1-line block ×3, first 2 shown]
	v_or_b32_e32 v51, 0xe00, v0
	v_dual_mov_b32 v53, 0 :: v_dual_mov_b32 v54, 0
	v_mov_b32_e32 v52, 0
	s_delay_alu instid0(VALU_DEP_3)
	v_cmp_gt_u32_e64 s0, s1, v51
	v_mov_b32_e32 v51, 0
	s_wait_xcnt 0x0
	s_and_saveexec_b32 s19, s0
	s_cbranch_execz .LBB98_23
; %bb.20:
	global_load_u8 v53, v[4:5], off offset:3584
	global_load_u8 v52, v[6:7], off offset:3584
	;; [unrolled: 1-line block ×3, first 2 shown]
	v_or_b32_e32 v54, 0xf00, v0
	s_delay_alu instid0(VALU_DEP_1)
	v_cmp_gt_u32_e64 s0, s1, v54
	v_mov_b32_e32 v54, 0
	s_wait_xcnt 0x0
	s_and_saveexec_b32 s20, s0
	s_cbranch_execz .LBB98_22
; %bb.21:
	global_load_u8 v54, v[4:5], off offset:3840
	global_load_u8 v55, v[6:7], off offset:3840
	;; [unrolled: 1-line block ×3, first 2 shown]
	s_wait_loadcnt 0x1
	s_wait_xcnt 0x2
	v_max_u16 v4, v54, v55
	s_wait_loadcnt 0x0
	s_delay_alu instid0(VALU_DEP_1)
	v_min_u16 v54, v4, v56
.LBB98_22:
	s_wait_xcnt 0x0
	s_or_b32 exec_lo, exec_lo, s20
.LBB98_23:
	s_delay_alu instid0(SALU_CYCLE_1)
	s_or_b32 exec_lo, exec_lo, s19
.LBB98_24:
	s_delay_alu instid0(SALU_CYCLE_1)
	s_or_b32 exec_lo, exec_lo, s18
.LBB98_25:
	s_delay_alu instid0(SALU_CYCLE_1)
	s_or_b32 exec_lo, exec_lo, s17
.LBB98_26:
	s_delay_alu instid0(SALU_CYCLE_1)
	s_or_b32 exec_lo, exec_lo, s16
.LBB98_27:
	s_delay_alu instid0(SALU_CYCLE_1)
	s_or_b32 exec_lo, exec_lo, s15
.LBB98_28:
	s_delay_alu instid0(SALU_CYCLE_1)
	s_or_b32 exec_lo, exec_lo, s14
.LBB98_29:
	s_delay_alu instid0(SALU_CYCLE_1)
	s_or_b32 exec_lo, exec_lo, s11
.LBB98_30:
	s_delay_alu instid0(SALU_CYCLE_1)
	s_or_b32 exec_lo, exec_lo, s10
.LBB98_31:
	s_delay_alu instid0(SALU_CYCLE_1)
	s_or_b32 exec_lo, exec_lo, s9
.LBB98_32:
	s_delay_alu instid0(SALU_CYCLE_1)
	s_or_b32 exec_lo, exec_lo, s8
.LBB98_33:
	s_delay_alu instid0(SALU_CYCLE_1)
	s_or_b32 exec_lo, exec_lo, s7
.LBB98_34:
	s_delay_alu instid0(SALU_CYCLE_1)
	s_or_b32 exec_lo, exec_lo, s6
	s_wait_loadcnt 0x0
	v_dual_mov_b32 v4, v3 :: v_dual_mov_b32 v3, v2
.LBB98_35:
	s_or_b32 exec_lo, exec_lo, s13
.LBB98_36:
	s_delay_alu instid0(SALU_CYCLE_1)
	s_or_b32 exec_lo, exec_lo, s12
.LBB98_37:
	s_delay_alu instid0(SALU_CYCLE_1)
	s_or_b32 exec_lo, exec_lo, s3
	s_and_saveexec_b32 s0, vcc_lo
	s_cbranch_execz .LBB98_54
; %bb.38:
	s_wait_loadcnt 0x1
	v_and_b32_e32 v2, 0xff, v34
	v_and_b32_e32 v5, 0xff, v31
	v_cmp_gt_u32_e32 vcc_lo, s1, v1
	s_delay_alu instid0(VALU_DEP_2) | instskip(SKIP_2) | instid1(VALU_DEP_1)
	v_max_u16 v2, v5, v2
	s_wait_loadcnt 0x0
	v_and_b32_e32 v5, 0xff, v33
	v_min_u16 v2, v2, v5
	global_store_b8 v10, v2, s[4:5]
	s_wait_xcnt 0x0
	s_and_b32 exec_lo, exec_lo, vcc_lo
	s_cbranch_execz .LBB98_54
; %bb.39:
	v_and_b32_e32 v2, 0xff, v30
	v_and_b32_e32 v5, 0xff, v28
	;; [unrolled: 1-line block ×3, first 2 shown]
	v_or_b32_e32 v1, s2, v1
	s_delay_alu instid0(VALU_DEP_3) | instskip(SKIP_1) | instid1(VALU_DEP_2)
	v_max_u16 v2, v5, v2
	v_or_b32_e32 v5, 0x200, v0
	v_min_u16 v2, v2, v6
	s_delay_alu instid0(VALU_DEP_2)
	v_cmp_gt_i32_e32 vcc_lo, s1, v5
	global_store_b8 v1, v2, s[4:5]
	s_wait_xcnt 0x0
	s_and_b32 exec_lo, exec_lo, vcc_lo
	s_cbranch_execz .LBB98_54
; %bb.40:
	v_and_b32_e32 v1, 0xff, v26
	v_and_b32_e32 v2, 0xff, v23
	;; [unrolled: 1-line block ×3, first 2 shown]
	v_or_b32_e32 v5, 0x300, v0
	s_delay_alu instid0(VALU_DEP_3) | instskip(SKIP_1) | instid1(VALU_DEP_3)
	v_max_u16 v1, v2, v1
	v_add_nc_u32_e32 v2, s2, v0
	v_cmp_gt_i32_e32 vcc_lo, s1, v5
	s_delay_alu instid0(VALU_DEP_3)
	v_min_u16 v1, v1, v3
	global_store_b8 v2, v1, s[4:5] offset:512
	s_wait_xcnt 0x0
	s_and_b32 exec_lo, exec_lo, vcc_lo
	s_cbranch_execz .LBB98_54
; %bb.41:
	v_and_b32_e32 v1, 0xff, v17
	v_and_b32_e32 v5, 0xff, v18
	v_mov_b32_e32 v3, 0
	v_and_b32_e32 v4, 0xff, v4
	s_delay_alu instid0(VALU_DEP_3) | instskip(SKIP_1) | instid1(VALU_DEP_4)
	v_max_u16 v1, v5, v1
	v_or_b32_e32 v5, 0x400, v0
	v_add_nc_u64_e32 v[2:3], s[4:5], v[2:3]
	s_delay_alu instid0(VALU_DEP_3) | instskip(NEXT) | instid1(VALU_DEP_3)
	v_min_u16 v1, v1, v4
	v_cmp_gt_u32_e32 vcc_lo, s1, v5
	global_store_b8 v[2:3], v1, off offset:768
	s_wait_xcnt 0x0
	s_and_b32 exec_lo, exec_lo, vcc_lo
	s_cbranch_execz .LBB98_54
; %bb.42:
	v_and_b32_e32 v1, 0xff, v14
	v_and_b32_e32 v4, 0xff, v15
	v_or_b32_e32 v5, 0x500, v0
	s_delay_alu instid0(VALU_DEP_2) | instskip(SKIP_1) | instid1(VALU_DEP_3)
	v_max_u16 v1, v4, v1
	v_and_b32_e32 v4, 0xff, v11
	v_cmp_gt_i32_e32 vcc_lo, s1, v5
	s_delay_alu instid0(VALU_DEP_2)
	v_min_u16 v1, v1, v4
	global_store_b8 v[2:3], v1, off offset:1024
	s_wait_xcnt 0x0
	s_and_b32 exec_lo, exec_lo, vcc_lo
	s_cbranch_execz .LBB98_54
; %bb.43:
	v_and_b32_e32 v1, 0xff, v16
	v_and_b32_e32 v4, 0xff, v19
	v_or_b32_e32 v5, 0x600, v0
	s_delay_alu instid0(VALU_DEP_2) | instskip(SKIP_1) | instid1(VALU_DEP_3)
	v_max_u16 v1, v4, v1
	v_and_b32_e32 v4, 0xff, v12
	v_cmp_gt_i32_e32 vcc_lo, s1, v5
	s_delay_alu instid0(VALU_DEP_2)
	v_min_u16 v1, v1, v4
	;; [unrolled: 14-line block ×3, first 2 shown]
	global_store_b8 v[2:3], v1, off offset:1536
	s_wait_xcnt 0x0
	s_and_b32 exec_lo, exec_lo, vcc_lo
	s_cbranch_execz .LBB98_54
; %bb.45:
	v_and_b32_e32 v1, 0xff, v24
	v_and_b32_e32 v4, 0xff, v29
	v_or_b32_e32 v5, 0x800, v0
	s_delay_alu instid0(VALU_DEP_2) | instskip(SKIP_1) | instid1(VALU_DEP_3)
	v_max_u16 v1, v4, v1
	v_and_b32_e32 v4, 0xff, v20
	v_cmp_gt_u32_e32 vcc_lo, s1, v5
	s_delay_alu instid0(VALU_DEP_2)
	v_min_u16 v1, v1, v4
	global_store_b8 v[2:3], v1, off offset:1792
	s_wait_xcnt 0x0
	s_and_b32 exec_lo, exec_lo, vcc_lo
	s_cbranch_execz .LBB98_54
; %bb.46:
	v_and_b32_e32 v1, 0xff, v32
	v_and_b32_e32 v4, 0xff, v36
	v_or_b32_e32 v5, 0x900, v0
	s_delay_alu instid0(VALU_DEP_2) | instskip(SKIP_1) | instid1(VALU_DEP_3)
	v_max_u16 v1, v4, v1
	v_and_b32_e32 v4, 0xff, v25
	v_cmp_gt_i32_e32 vcc_lo, s1, v5
	s_delay_alu instid0(VALU_DEP_2)
	v_min_u16 v1, v1, v4
	global_store_b8 v[2:3], v1, off offset:2048
	s_wait_xcnt 0x0
	s_and_b32 exec_lo, exec_lo, vcc_lo
	s_cbranch_execz .LBB98_54
; %bb.47:
	v_and_b32_e32 v1, 0xff, v37
	v_and_b32_e32 v4, 0xff, v39
	v_or_b32_e32 v5, 0xa00, v0
	s_delay_alu instid0(VALU_DEP_2) | instskip(SKIP_1) | instid1(VALU_DEP_3)
	v_max_u16 v1, v4, v1
	v_and_b32_e32 v4, 0xff, v35
	v_cmp_gt_i32_e32 vcc_lo, s1, v5
	;; [unrolled: 14-line block ×3, first 2 shown]
	s_delay_alu instid0(VALU_DEP_2)
	v_min_u16 v1, v1, v4
	global_store_b8 v[2:3], v1, off offset:2560
	s_wait_xcnt 0x0
	s_and_b32 exec_lo, exec_lo, vcc_lo
	s_cbranch_execz .LBB98_54
; %bb.49:
	v_and_b32_e32 v1, 0xff, v43
	v_and_b32_e32 v4, 0xff, v44
	v_or_b32_e32 v5, 0xc00, v0
	s_delay_alu instid0(VALU_DEP_2) | instskip(SKIP_1) | instid1(VALU_DEP_3)
	v_max_u16 v1, v4, v1
	v_and_b32_e32 v4, 0xff, v42
	v_cmp_gt_u32_e32 vcc_lo, s1, v5
	s_delay_alu instid0(VALU_DEP_2)
	v_min_u16 v1, v1, v4
	global_store_b8 v[2:3], v1, off offset:2816
	s_wait_xcnt 0x0
	s_and_b32 exec_lo, exec_lo, vcc_lo
	s_cbranch_execz .LBB98_54
; %bb.50:
	v_and_b32_e32 v1, 0xff, v46
	v_and_b32_e32 v4, 0xff, v47
	v_or_b32_e32 v5, 0xd00, v0
	s_delay_alu instid0(VALU_DEP_2) | instskip(SKIP_1) | instid1(VALU_DEP_3)
	v_max_u16 v1, v4, v1
	v_and_b32_e32 v4, 0xff, v45
	v_cmp_gt_i32_e32 vcc_lo, s1, v5
	s_delay_alu instid0(VALU_DEP_2)
	v_min_u16 v1, v1, v4
	global_store_b8 v[2:3], v1, off offset:3072
	s_wait_xcnt 0x0
	s_and_b32 exec_lo, exec_lo, vcc_lo
	s_cbranch_execz .LBB98_54
; %bb.51:
	v_and_b32_e32 v1, 0xff, v49
	v_and_b32_e32 v4, 0xff, v50
	v_or_b32_e32 v5, 0xe00, v0
	s_delay_alu instid0(VALU_DEP_2) | instskip(SKIP_1) | instid1(VALU_DEP_3)
	v_max_u16 v1, v4, v1
	v_and_b32_e32 v4, 0xff, v48
	v_cmp_gt_i32_e32 vcc_lo, s1, v5
	;; [unrolled: 14-line block ×3, first 2 shown]
	s_delay_alu instid0(VALU_DEP_2)
	v_min_u16 v1, v1, v4
	global_store_b8 v[2:3], v1, off offset:3584
	s_wait_xcnt 0x0
	s_and_b32 exec_lo, exec_lo, vcc_lo
	s_cbranch_execz .LBB98_54
; %bb.53:
	global_store_b8 v[2:3], v54, off offset:3840
.LBB98_54:
	s_endpgm
	.section	.rodata,"a",@progbits
	.p2align	6, 0x0
	.amdhsa_kernel _ZN2at6native29vectorized_elementwise_kernelILi4EZZZNS0_12_GLOBAL__N_117clamp_kernel_implERNS_18TensorIteratorBaseEENKUlvE_clEvENKUlvE_clEvEUlhhhE_St5arrayIPcLm4EEEEviT0_T1_
		.amdhsa_group_segment_fixed_size 0
		.amdhsa_private_segment_fixed_size 0
		.amdhsa_kernarg_size 40
		.amdhsa_user_sgpr_count 2
		.amdhsa_user_sgpr_dispatch_ptr 0
		.amdhsa_user_sgpr_queue_ptr 0
		.amdhsa_user_sgpr_kernarg_segment_ptr 1
		.amdhsa_user_sgpr_dispatch_id 0
		.amdhsa_user_sgpr_kernarg_preload_length 0
		.amdhsa_user_sgpr_kernarg_preload_offset 0
		.amdhsa_user_sgpr_private_segment_size 0
		.amdhsa_wavefront_size32 1
		.amdhsa_uses_dynamic_stack 0
		.amdhsa_enable_private_segment 0
		.amdhsa_system_sgpr_workgroup_id_x 1
		.amdhsa_system_sgpr_workgroup_id_y 0
		.amdhsa_system_sgpr_workgroup_id_z 0
		.amdhsa_system_sgpr_workgroup_info 0
		.amdhsa_system_vgpr_workitem_id 0
		.amdhsa_next_free_vgpr 57
		.amdhsa_next_free_sgpr 21
		.amdhsa_named_barrier_count 0
		.amdhsa_reserve_vcc 1
		.amdhsa_float_round_mode_32 0
		.amdhsa_float_round_mode_16_64 0
		.amdhsa_float_denorm_mode_32 3
		.amdhsa_float_denorm_mode_16_64 3
		.amdhsa_fp16_overflow 0
		.amdhsa_memory_ordered 1
		.amdhsa_forward_progress 1
		.amdhsa_inst_pref_size 44
		.amdhsa_round_robin_scheduling 0
		.amdhsa_exception_fp_ieee_invalid_op 0
		.amdhsa_exception_fp_denorm_src 0
		.amdhsa_exception_fp_ieee_div_zero 0
		.amdhsa_exception_fp_ieee_overflow 0
		.amdhsa_exception_fp_ieee_underflow 0
		.amdhsa_exception_fp_ieee_inexact 0
		.amdhsa_exception_int_div_zero 0
	.end_amdhsa_kernel
	.section	.text._ZN2at6native29vectorized_elementwise_kernelILi4EZZZNS0_12_GLOBAL__N_117clamp_kernel_implERNS_18TensorIteratorBaseEENKUlvE_clEvENKUlvE_clEvEUlhhhE_St5arrayIPcLm4EEEEviT0_T1_,"axG",@progbits,_ZN2at6native29vectorized_elementwise_kernelILi4EZZZNS0_12_GLOBAL__N_117clamp_kernel_implERNS_18TensorIteratorBaseEENKUlvE_clEvENKUlvE_clEvEUlhhhE_St5arrayIPcLm4EEEEviT0_T1_,comdat
.Lfunc_end98:
	.size	_ZN2at6native29vectorized_elementwise_kernelILi4EZZZNS0_12_GLOBAL__N_117clamp_kernel_implERNS_18TensorIteratorBaseEENKUlvE_clEvENKUlvE_clEvEUlhhhE_St5arrayIPcLm4EEEEviT0_T1_, .Lfunc_end98-_ZN2at6native29vectorized_elementwise_kernelILi4EZZZNS0_12_GLOBAL__N_117clamp_kernel_implERNS_18TensorIteratorBaseEENKUlvE_clEvENKUlvE_clEvEUlhhhE_St5arrayIPcLm4EEEEviT0_T1_
                                        ; -- End function
	.set _ZN2at6native29vectorized_elementwise_kernelILi4EZZZNS0_12_GLOBAL__N_117clamp_kernel_implERNS_18TensorIteratorBaseEENKUlvE_clEvENKUlvE_clEvEUlhhhE_St5arrayIPcLm4EEEEviT0_T1_.num_vgpr, 57
	.set _ZN2at6native29vectorized_elementwise_kernelILi4EZZZNS0_12_GLOBAL__N_117clamp_kernel_implERNS_18TensorIteratorBaseEENKUlvE_clEvENKUlvE_clEvEUlhhhE_St5arrayIPcLm4EEEEviT0_T1_.num_agpr, 0
	.set _ZN2at6native29vectorized_elementwise_kernelILi4EZZZNS0_12_GLOBAL__N_117clamp_kernel_implERNS_18TensorIteratorBaseEENKUlvE_clEvENKUlvE_clEvEUlhhhE_St5arrayIPcLm4EEEEviT0_T1_.numbered_sgpr, 21
	.set _ZN2at6native29vectorized_elementwise_kernelILi4EZZZNS0_12_GLOBAL__N_117clamp_kernel_implERNS_18TensorIteratorBaseEENKUlvE_clEvENKUlvE_clEvEUlhhhE_St5arrayIPcLm4EEEEviT0_T1_.num_named_barrier, 0
	.set _ZN2at6native29vectorized_elementwise_kernelILi4EZZZNS0_12_GLOBAL__N_117clamp_kernel_implERNS_18TensorIteratorBaseEENKUlvE_clEvENKUlvE_clEvEUlhhhE_St5arrayIPcLm4EEEEviT0_T1_.private_seg_size, 0
	.set _ZN2at6native29vectorized_elementwise_kernelILi4EZZZNS0_12_GLOBAL__N_117clamp_kernel_implERNS_18TensorIteratorBaseEENKUlvE_clEvENKUlvE_clEvEUlhhhE_St5arrayIPcLm4EEEEviT0_T1_.uses_vcc, 1
	.set _ZN2at6native29vectorized_elementwise_kernelILi4EZZZNS0_12_GLOBAL__N_117clamp_kernel_implERNS_18TensorIteratorBaseEENKUlvE_clEvENKUlvE_clEvEUlhhhE_St5arrayIPcLm4EEEEviT0_T1_.uses_flat_scratch, 0
	.set _ZN2at6native29vectorized_elementwise_kernelILi4EZZZNS0_12_GLOBAL__N_117clamp_kernel_implERNS_18TensorIteratorBaseEENKUlvE_clEvENKUlvE_clEvEUlhhhE_St5arrayIPcLm4EEEEviT0_T1_.has_dyn_sized_stack, 0
	.set _ZN2at6native29vectorized_elementwise_kernelILi4EZZZNS0_12_GLOBAL__N_117clamp_kernel_implERNS_18TensorIteratorBaseEENKUlvE_clEvENKUlvE_clEvEUlhhhE_St5arrayIPcLm4EEEEviT0_T1_.has_recursion, 0
	.set _ZN2at6native29vectorized_elementwise_kernelILi4EZZZNS0_12_GLOBAL__N_117clamp_kernel_implERNS_18TensorIteratorBaseEENKUlvE_clEvENKUlvE_clEvEUlhhhE_St5arrayIPcLm4EEEEviT0_T1_.has_indirect_call, 0
	.section	.AMDGPU.csdata,"",@progbits
; Kernel info:
; codeLenInByte = 5600
; TotalNumSgprs: 23
; NumVgprs: 57
; ScratchSize: 0
; MemoryBound: 0
; FloatMode: 240
; IeeeMode: 1
; LDSByteSize: 0 bytes/workgroup (compile time only)
; SGPRBlocks: 0
; VGPRBlocks: 3
; NumSGPRsForWavesPerEU: 23
; NumVGPRsForWavesPerEU: 57
; NamedBarCnt: 0
; Occupancy: 16
; WaveLimiterHint : 1
; COMPUTE_PGM_RSRC2:SCRATCH_EN: 0
; COMPUTE_PGM_RSRC2:USER_SGPR: 2
; COMPUTE_PGM_RSRC2:TRAP_HANDLER: 0
; COMPUTE_PGM_RSRC2:TGID_X_EN: 1
; COMPUTE_PGM_RSRC2:TGID_Y_EN: 0
; COMPUTE_PGM_RSRC2:TGID_Z_EN: 0
; COMPUTE_PGM_RSRC2:TIDIG_COMP_CNT: 0
	.section	.text._ZN2at6native29vectorized_elementwise_kernelILi2EZZZNS0_12_GLOBAL__N_117clamp_kernel_implERNS_18TensorIteratorBaseEENKUlvE_clEvENKUlvE_clEvEUlhhhE_St5arrayIPcLm4EEEEviT0_T1_,"axG",@progbits,_ZN2at6native29vectorized_elementwise_kernelILi2EZZZNS0_12_GLOBAL__N_117clamp_kernel_implERNS_18TensorIteratorBaseEENKUlvE_clEvENKUlvE_clEvEUlhhhE_St5arrayIPcLm4EEEEviT0_T1_,comdat
	.globl	_ZN2at6native29vectorized_elementwise_kernelILi2EZZZNS0_12_GLOBAL__N_117clamp_kernel_implERNS_18TensorIteratorBaseEENKUlvE_clEvENKUlvE_clEvEUlhhhE_St5arrayIPcLm4EEEEviT0_T1_ ; -- Begin function _ZN2at6native29vectorized_elementwise_kernelILi2EZZZNS0_12_GLOBAL__N_117clamp_kernel_implERNS_18TensorIteratorBaseEENKUlvE_clEvENKUlvE_clEvEUlhhhE_St5arrayIPcLm4EEEEviT0_T1_
	.p2align	8
	.type	_ZN2at6native29vectorized_elementwise_kernelILi2EZZZNS0_12_GLOBAL__N_117clamp_kernel_implERNS_18TensorIteratorBaseEENKUlvE_clEvENKUlvE_clEvEUlhhhE_St5arrayIPcLm4EEEEviT0_T1_,@function
_ZN2at6native29vectorized_elementwise_kernelILi2EZZZNS0_12_GLOBAL__N_117clamp_kernel_implERNS_18TensorIteratorBaseEENKUlvE_clEvENKUlvE_clEvEUlhhhE_St5arrayIPcLm4EEEEviT0_T1_: ; @_ZN2at6native29vectorized_elementwise_kernelILi2EZZZNS0_12_GLOBAL__N_117clamp_kernel_implERNS_18TensorIteratorBaseEENKUlvE_clEvENKUlvE_clEvEUlhhhE_St5arrayIPcLm4EEEEviT0_T1_
; %bb.0:
	s_clause 0x1
	s_load_b32 s3, s[0:1], 0x0
	s_load_b256 s[4:11], s[0:1], 0x8
	s_wait_xcnt 0x0
	s_bfe_u32 s0, ttmp6, 0x4000c
	s_and_b32 s1, ttmp6, 15
	s_add_co_i32 s0, s0, 1
	s_getreg_b32 s2, hwreg(HW_REG_IB_STS2, 6, 4)
	s_mul_i32 s0, ttmp9, s0
	s_delay_alu instid0(SALU_CYCLE_1) | instskip(SKIP_2) | instid1(SALU_CYCLE_1)
	s_add_co_i32 s1, s1, s0
	s_cmp_eq_u32 s2, 0
	s_cselect_b32 s0, ttmp9, s1
	s_lshl_b32 s2, s0, 12
	s_mov_b32 s0, -1
	s_wait_kmcnt 0x0
	s_sub_co_i32 s1, s3, s2
	s_delay_alu instid0(SALU_CYCLE_1)
	s_cmp_gt_i32 s1, 0xfff
	s_cbranch_scc0 .LBB99_2
; %bb.1:
	s_ashr_i32 s3, s2, 31
	s_mov_b32 s0, 0
	s_add_nc_u64 s[12:13], s[6:7], s[2:3]
	s_add_nc_u64 s[14:15], s[8:9], s[2:3]
	s_clause 0xe
	global_load_u16 v1, v0, s[12:13] scale_offset
	global_load_u16 v2, v0, s[12:13] offset:512 scale_offset
	global_load_u16 v3, v0, s[12:13] offset:1024 scale_offset
	;; [unrolled: 1-line block ×7, first 2 shown]
	global_load_u16 v9, v0, s[14:15] scale_offset
	global_load_u16 v10, v0, s[14:15] offset:512 scale_offset
	global_load_u16 v11, v0, s[14:15] offset:1024 scale_offset
	;; [unrolled: 1-line block ×6, first 2 shown]
	s_wait_xcnt 0x7
	s_add_nc_u64 s[12:13], s[10:11], s[2:3]
	s_clause 0x8
	global_load_u16 v16, v0, s[14:15] offset:3584 scale_offset
	global_load_u16 v17, v0, s[12:13] scale_offset
	global_load_u16 v18, v0, s[12:13] offset:512 scale_offset
	global_load_u16 v19, v0, s[12:13] offset:1024 scale_offset
	;; [unrolled: 1-line block ×7, first 2 shown]
	s_wait_xcnt 0x0
	s_add_nc_u64 s[12:13], s[4:5], s[2:3]
	s_wait_loadcnt 0x10
	v_and_b32_e32 v32, 0xff, v8
	v_and_b32_e32 v25, 0xff, v1
	v_lshrrev_b16 v1, 8, v1
	s_wait_loadcnt 0xf
	v_and_b32_e32 v33, 0xff, v9
	v_lshrrev_b16 v9, 8, v9
	v_and_b32_e32 v26, 0xff, v2
	v_lshrrev_b16 v2, 8, v2
	s_wait_loadcnt 0xe
	v_and_b32_e32 v34, 0xff, v10
	v_lshrrev_b16 v10, 8, v10
	;; [unrolled: 5-line block ×5, first 2 shown]
	v_and_b32_e32 v30, 0xff, v6
	v_lshrrev_b16 v6, 8, v6
	v_and_b32_e32 v31, 0xff, v7
	v_lshrrev_b16 v7, 8, v7
	v_lshrrev_b16 v8, 8, v8
	s_wait_loadcnt 0xa
	v_and_b32_e32 v38, 0xff, v14
	v_lshrrev_b16 v14, 8, v14
	s_wait_loadcnt 0x9
	v_and_b32_e32 v39, 0xff, v15
	;; [unrolled: 3-line block ×4, first 2 shown]
	v_lshrrev_b16 v17, 8, v17
	v_max_u16 v1, v1, v9
	s_wait_loadcnt 0x6
	v_and_b32_e32 v42, 0xff, v18
	v_lshrrev_b16 v18, 8, v18
	v_max_u16 v2, v2, v10
	s_wait_loadcnt 0x5
	v_and_b32_e32 v43, 0xff, v19
	;; [unrolled: 4-line block ×5, first 2 shown]
	v_lshrrev_b16 v22, 8, v22
	s_wait_loadcnt 0x1
	v_and_b32_e32 v47, 0xff, v23
	v_lshrrev_b16 v23, 8, v23
	s_wait_loadcnt 0x0
	v_and_b32_e32 v48, 0xff, v24
	v_lshrrev_b16 v24, 8, v24
	v_max_u16 v25, v25, v33
	v_max_u16 v6, v6, v14
	;; [unrolled: 1-line block ×4, first 2 shown]
	v_min_u16 v1, v1, v17
	v_max_u16 v9, v26, v34
	v_min_u16 v2, v2, v18
	v_max_u16 v10, v27, v35
	;; [unrolled: 2-line block ×5, first 2 shown]
	v_max_u16 v14, v31, v39
	v_max_u16 v15, v32, v40
	v_min_u16 v16, v25, v41
	v_min_u16 v6, v6, v22
	;; [unrolled: 1-line block ×4, first 2 shown]
	v_lshlrev_b16 v1, 8, v1
	v_min_u16 v9, v9, v42
	v_lshlrev_b16 v2, 8, v2
	v_min_u16 v10, v10, v43
	;; [unrolled: 2-line block ×5, first 2 shown]
	v_min_u16 v14, v14, v47
	v_min_u16 v15, v15, v48
	v_lshlrev_b16 v6, 8, v6
	v_lshlrev_b16 v7, 8, v7
	;; [unrolled: 1-line block ×3, first 2 shown]
	v_or_b32_e32 v1, v1, v16
	v_or_b32_e32 v2, v2, v9
	;; [unrolled: 1-line block ×8, first 2 shown]
	s_clause 0x7
	global_store_b16 v0, v1, s[12:13] scale_offset
	global_store_b16 v0, v2, s[12:13] offset:512 scale_offset
	global_store_b16 v0, v3, s[12:13] offset:1024 scale_offset
	;; [unrolled: 1-line block ×7, first 2 shown]
.LBB99_2:
	s_and_not1_b32 vcc_lo, exec_lo, s0
	s_cbranch_vccnz .LBB99_54
; %bb.3:
	v_cmp_le_i32_e64 s0, s1, v0
	s_wait_xcnt 0x7
	v_or_b32_e32 v1, 0x100, v0
	v_cmp_gt_i32_e32 vcc_lo, s1, v0
	s_wait_xcnt 0x0
	s_and_saveexec_b32 s3, s0
	s_delay_alu instid0(SALU_CYCLE_1)
	s_xor_b32 s0, exec_lo, s3
; %bb.4:
	v_or_b32_e32 v1, 0x100, v0
; %bb.5:
	s_or_saveexec_b32 s3, s0
	v_dual_mov_b32 v54, 0 :: v_dual_bitop2_b32 v10, s2, v0 bitop3:0x54
	v_dual_mov_b32 v53, 0 :: v_dual_mov_b32 v52, 0
	v_dual_mov_b32 v51, 0 :: v_dual_mov_b32 v50, 0
	;; [unrolled: 1-line block ×22, first 2 shown]
	v_mov_b32_e32 v33, 0
	s_xor_b32 exec_lo, exec_lo, s3
	s_cbranch_execz .LBB99_37
; %bb.6:
	s_clause 0x2
	global_load_u8 v31, v10, s[6:7]
	global_load_u8 v34, v10, s[8:9]
	;; [unrolled: 1-line block ×3, first 2 shown]
	v_cmp_gt_u32_e64 s0, s1, v1
	v_dual_mov_b32 v27, 0 :: v_dual_mov_b32 v30, 0
	v_dual_mov_b32 v28, 0 :: v_dual_mov_b32 v3, 0
	;; [unrolled: 1-line block ×21, first 2 shown]
	v_mov_b32_e32 v54, 0
	s_wait_xcnt 0x0
	s_and_saveexec_b32 s12, s0
	s_cbranch_execz .LBB99_36
; %bb.7:
	v_dual_mov_b32 v3, 0 :: v_dual_add_nc_u32 v2, s2, v0
	v_or_b32_e32 v4, 0x200, v0
	v_dual_mov_b32 v26, 0 :: v_dual_mov_b32 v23, 0
	s_clause 0x2
	global_load_u8 v28, v2, s[6:7] offset:256
	global_load_u8 v30, v2, s[8:9] offset:256
	;; [unrolled: 1-line block ×3, first 2 shown]
	v_mov_b32_e32 v17, 0
	v_cmp_gt_u32_e64 s0, s1, v4
	v_dual_mov_b32 v4, 0 :: v_dual_mov_b32 v18, 0
	v_dual_mov_b32 v11, 0 :: v_dual_mov_b32 v14, 0
	;; [unrolled: 1-line block ×18, first 2 shown]
	s_wait_xcnt 0x0
	s_and_saveexec_b32 s13, s0
	s_cbranch_execz .LBB99_35
; %bb.8:
	v_add_nc_u64_e32 v[4:5], s[6:7], v[2:3]
	v_add_nc_u64_e32 v[6:7], s[8:9], v[2:3]
	;; [unrolled: 1-line block ×3, first 2 shown]
	v_or_b32_e32 v11, 0x300, v0
	v_dual_mov_b32 v17, 0 :: v_dual_mov_b32 v18, 0
	v_mov_b32_e32 v14, 0
	global_load_u8 v23, v[4:5], off offset:512
	global_load_u8 v26, v[6:7], off offset:512
	;; [unrolled: 1-line block ×3, first 2 shown]
	v_cmp_gt_u32_e64 s0, s1, v11
	v_dual_mov_b32 v11, 0 :: v_dual_mov_b32 v15, 0
	v_dual_mov_b32 v12, 0 :: v_dual_mov_b32 v16, 0
	;; [unrolled: 1-line block ×16, first 2 shown]
	v_mov_b32_e32 v54, 0
	s_wait_xcnt 0x0
	s_and_saveexec_b32 s6, s0
	s_cbranch_execz .LBB99_34
; %bb.9:
	global_load_u8 v18, v[4:5], off offset:768
	global_load_u8 v17, v[6:7], off offset:768
	global_load_u8 v3, v[8:9], off offset:768
	v_or_b32_e32 v11, 0x400, v0
	v_dual_mov_b32 v15, 0 :: v_dual_mov_b32 v12, 0
	v_dual_mov_b32 v16, 0 :: v_dual_mov_b32 v19, 0
	s_delay_alu instid0(VALU_DEP_3)
	v_cmp_gt_u32_e64 s0, s1, v11
	v_dual_mov_b32 v11, 0 :: v_dual_mov_b32 v14, 0
	v_dual_mov_b32 v13, 0 :: v_dual_mov_b32 v21, 0
	;; [unrolled: 1-line block ×15, first 2 shown]
	s_wait_xcnt 0x0
	s_and_saveexec_b32 s7, s0
	s_cbranch_execz .LBB99_33
; %bb.10:
	global_load_u8 v15, v[4:5], off offset:1024
	global_load_u8 v14, v[6:7], off offset:1024
	;; [unrolled: 1-line block ×3, first 2 shown]
	v_or_b32_e32 v12, 0x500, v0
	v_dual_mov_b32 v19, 0 :: v_dual_mov_b32 v13, 0
	v_dual_mov_b32 v21, 0 :: v_dual_mov_b32 v22, 0
	s_delay_alu instid0(VALU_DEP_3)
	v_cmp_gt_u32_e64 s0, s1, v12
	v_dual_mov_b32 v12, 0 :: v_dual_mov_b32 v16, 0
	v_dual_mov_b32 v20, 0 :: v_dual_mov_b32 v24, 0
	;; [unrolled: 1-line block ×13, first 2 shown]
	v_mov_b32_e32 v54, 0
	s_wait_xcnt 0x0
	s_and_saveexec_b32 s8, s0
	s_cbranch_execz .LBB99_32
; %bb.11:
	global_load_u8 v19, v[4:5], off offset:1280
	global_load_u8 v16, v[6:7], off offset:1280
	;; [unrolled: 1-line block ×3, first 2 shown]
	v_or_b32_e32 v13, 0x600, v0
	v_dual_mov_b32 v22, 0 :: v_dual_mov_b32 v20, 0
	v_dual_mov_b32 v24, 0 :: v_dual_mov_b32 v29, 0
	s_delay_alu instid0(VALU_DEP_3)
	v_cmp_gt_u32_e64 s0, s1, v13
	v_dual_mov_b32 v13, 0 :: v_dual_mov_b32 v21, 0
	v_dual_mov_b32 v25, 0 :: v_dual_mov_b32 v32, 0
	;; [unrolled: 1-line block ×12, first 2 shown]
	s_wait_xcnt 0x0
	s_and_saveexec_b32 s9, s0
	s_cbranch_execz .LBB99_31
; %bb.12:
	global_load_u8 v22, v[4:5], off offset:1536
	global_load_u8 v21, v[6:7], off offset:1536
	;; [unrolled: 1-line block ×3, first 2 shown]
	v_or_b32_e32 v20, 0x700, v0
	v_dual_mov_b32 v29, 0 :: v_dual_mov_b32 v25, 0
	v_dual_mov_b32 v32, 0 :: v_dual_mov_b32 v36, 0
	s_delay_alu instid0(VALU_DEP_3)
	v_cmp_gt_u32_e64 s0, s1, v20
	v_dual_mov_b32 v20, 0 :: v_dual_mov_b32 v24, 0
	v_dual_mov_b32 v35, 0 :: v_dual_mov_b32 v37, 0
	;; [unrolled: 1-line block ×10, first 2 shown]
	v_mov_b32_e32 v54, 0
	s_wait_xcnt 0x0
	s_and_saveexec_b32 s10, s0
	s_cbranch_execz .LBB99_30
; %bb.13:
	global_load_u8 v29, v[4:5], off offset:1792
	global_load_u8 v24, v[6:7], off offset:1792
	;; [unrolled: 1-line block ×3, first 2 shown]
	v_or_b32_e32 v25, 0x800, v0
	v_dual_mov_b32 v36, 0 :: v_dual_mov_b32 v35, 0
	v_dual_mov_b32 v37, 0 :: v_dual_mov_b32 v39, 0
	s_delay_alu instid0(VALU_DEP_3)
	v_cmp_gt_u32_e64 s0, s1, v25
	v_dual_mov_b32 v25, 0 :: v_dual_mov_b32 v32, 0
	v_dual_mov_b32 v38, 0 :: v_dual_mov_b32 v40, 0
	;; [unrolled: 1-line block ×9, first 2 shown]
	s_wait_xcnt 0x0
	s_and_saveexec_b32 s11, s0
	s_cbranch_execz .LBB99_29
; %bb.14:
	global_load_u8 v36, v[4:5], off offset:2048
	global_load_u8 v32, v[6:7], off offset:2048
	global_load_u8 v25, v[8:9], off offset:2048
	v_or_b32_e32 v35, 0x900, v0
	v_dual_mov_b32 v39, 0 :: v_dual_mov_b32 v38, 0
	v_dual_mov_b32 v40, 0 :: v_dual_mov_b32 v41, 0
	s_delay_alu instid0(VALU_DEP_3)
	v_cmp_gt_u32_e64 s0, s1, v35
	v_dual_mov_b32 v35, 0 :: v_dual_mov_b32 v37, 0
	v_dual_mov_b32 v42, 0 :: v_dual_mov_b32 v43, 0
	;; [unrolled: 1-line block ×7, first 2 shown]
	v_mov_b32_e32 v54, 0
	s_wait_xcnt 0x0
	s_and_saveexec_b32 s14, s0
	s_cbranch_execz .LBB99_28
; %bb.15:
	global_load_u8 v39, v[4:5], off offset:2304
	global_load_u8 v37, v[6:7], off offset:2304
	;; [unrolled: 1-line block ×3, first 2 shown]
	v_or_b32_e32 v38, 0xa00, v0
	v_dual_mov_b32 v41, 0 :: v_dual_mov_b32 v42, 0
	v_dual_mov_b32 v43, 0 :: v_dual_mov_b32 v44, 0
	s_delay_alu instid0(VALU_DEP_3)
	v_cmp_gt_u32_e64 s0, s1, v38
	v_dual_mov_b32 v38, 0 :: v_dual_mov_b32 v40, 0
	v_dual_mov_b32 v45, 0 :: v_dual_mov_b32 v46, 0
	;; [unrolled: 1-line block ×6, first 2 shown]
	s_wait_xcnt 0x0
	s_and_saveexec_b32 s15, s0
	s_cbranch_execz .LBB99_27
; %bb.16:
	global_load_u8 v41, v[4:5], off offset:2560
	global_load_u8 v40, v[6:7], off offset:2560
	;; [unrolled: 1-line block ×3, first 2 shown]
	v_or_b32_e32 v42, 0xb00, v0
	v_dual_mov_b32 v44, 0 :: v_dual_mov_b32 v45, 0
	v_dual_mov_b32 v46, 0 :: v_dual_mov_b32 v47, 0
	s_delay_alu instid0(VALU_DEP_3)
	v_cmp_gt_u32_e64 s0, s1, v42
	v_dual_mov_b32 v42, 0 :: v_dual_mov_b32 v43, 0
	v_dual_mov_b32 v48, 0 :: v_dual_mov_b32 v49, 0
	v_dual_mov_b32 v50, 0 :: v_dual_mov_b32 v51, 0
	v_dual_mov_b32 v52, 0 :: v_dual_mov_b32 v53, 0
	v_mov_b32_e32 v54, 0
	s_wait_xcnt 0x0
	s_and_saveexec_b32 s16, s0
	s_cbranch_execz .LBB99_26
; %bb.17:
	global_load_u8 v44, v[4:5], off offset:2816
	global_load_u8 v43, v[6:7], off offset:2816
	;; [unrolled: 1-line block ×3, first 2 shown]
	v_or_b32_e32 v45, 0xc00, v0
	v_dual_mov_b32 v47, 0 :: v_dual_mov_b32 v48, 0
	v_dual_mov_b32 v49, 0 :: v_dual_mov_b32 v50, 0
	s_delay_alu instid0(VALU_DEP_3)
	v_cmp_gt_u32_e64 s0, s1, v45
	v_dual_mov_b32 v45, 0 :: v_dual_mov_b32 v46, 0
	v_dual_mov_b32 v51, 0 :: v_dual_mov_b32 v52, 0
	;; [unrolled: 1-line block ×3, first 2 shown]
	s_wait_xcnt 0x0
	s_and_saveexec_b32 s17, s0
	s_cbranch_execz .LBB99_25
; %bb.18:
	global_load_u8 v47, v[4:5], off offset:3072
	global_load_u8 v46, v[6:7], off offset:3072
	global_load_u8 v45, v[8:9], off offset:3072
	v_or_b32_e32 v48, 0xd00, v0
	v_dual_mov_b32 v50, 0 :: v_dual_mov_b32 v51, 0
	v_dual_mov_b32 v52, 0 :: v_dual_mov_b32 v53, 0
	s_delay_alu instid0(VALU_DEP_3)
	v_cmp_gt_u32_e64 s0, s1, v48
	v_dual_mov_b32 v48, 0 :: v_dual_mov_b32 v49, 0
	v_mov_b32_e32 v54, 0
	s_wait_xcnt 0x0
	s_and_saveexec_b32 s18, s0
	s_cbranch_execz .LBB99_24
; %bb.19:
	global_load_u8 v50, v[4:5], off offset:3328
	global_load_u8 v49, v[6:7], off offset:3328
	;; [unrolled: 1-line block ×3, first 2 shown]
	v_or_b32_e32 v51, 0xe00, v0
	v_dual_mov_b32 v53, 0 :: v_dual_mov_b32 v54, 0
	v_mov_b32_e32 v52, 0
	s_delay_alu instid0(VALU_DEP_3)
	v_cmp_gt_u32_e64 s0, s1, v51
	v_mov_b32_e32 v51, 0
	s_wait_xcnt 0x0
	s_and_saveexec_b32 s19, s0
	s_cbranch_execz .LBB99_23
; %bb.20:
	global_load_u8 v53, v[4:5], off offset:3584
	global_load_u8 v52, v[6:7], off offset:3584
	;; [unrolled: 1-line block ×3, first 2 shown]
	v_or_b32_e32 v54, 0xf00, v0
	s_delay_alu instid0(VALU_DEP_1)
	v_cmp_gt_u32_e64 s0, s1, v54
	v_mov_b32_e32 v54, 0
	s_wait_xcnt 0x0
	s_and_saveexec_b32 s20, s0
	s_cbranch_execz .LBB99_22
; %bb.21:
	global_load_u8 v54, v[4:5], off offset:3840
	global_load_u8 v55, v[6:7], off offset:3840
	;; [unrolled: 1-line block ×3, first 2 shown]
	s_wait_loadcnt 0x1
	s_wait_xcnt 0x2
	v_max_u16 v4, v54, v55
	s_wait_loadcnt 0x0
	s_delay_alu instid0(VALU_DEP_1)
	v_min_u16 v54, v4, v56
.LBB99_22:
	s_wait_xcnt 0x0
	s_or_b32 exec_lo, exec_lo, s20
.LBB99_23:
	s_delay_alu instid0(SALU_CYCLE_1)
	s_or_b32 exec_lo, exec_lo, s19
.LBB99_24:
	s_delay_alu instid0(SALU_CYCLE_1)
	s_or_b32 exec_lo, exec_lo, s18
.LBB99_25:
	s_delay_alu instid0(SALU_CYCLE_1)
	s_or_b32 exec_lo, exec_lo, s17
.LBB99_26:
	s_delay_alu instid0(SALU_CYCLE_1)
	s_or_b32 exec_lo, exec_lo, s16
.LBB99_27:
	s_delay_alu instid0(SALU_CYCLE_1)
	s_or_b32 exec_lo, exec_lo, s15
.LBB99_28:
	s_delay_alu instid0(SALU_CYCLE_1)
	s_or_b32 exec_lo, exec_lo, s14
.LBB99_29:
	s_delay_alu instid0(SALU_CYCLE_1)
	s_or_b32 exec_lo, exec_lo, s11
.LBB99_30:
	s_delay_alu instid0(SALU_CYCLE_1)
	s_or_b32 exec_lo, exec_lo, s10
.LBB99_31:
	s_delay_alu instid0(SALU_CYCLE_1)
	s_or_b32 exec_lo, exec_lo, s9
.LBB99_32:
	s_delay_alu instid0(SALU_CYCLE_1)
	s_or_b32 exec_lo, exec_lo, s8
.LBB99_33:
	s_delay_alu instid0(SALU_CYCLE_1)
	s_or_b32 exec_lo, exec_lo, s7
.LBB99_34:
	s_delay_alu instid0(SALU_CYCLE_1)
	s_or_b32 exec_lo, exec_lo, s6
	s_wait_loadcnt 0x0
	v_dual_mov_b32 v4, v3 :: v_dual_mov_b32 v3, v2
.LBB99_35:
	s_or_b32 exec_lo, exec_lo, s13
.LBB99_36:
	s_delay_alu instid0(SALU_CYCLE_1)
	s_or_b32 exec_lo, exec_lo, s12
.LBB99_37:
	s_delay_alu instid0(SALU_CYCLE_1)
	s_or_b32 exec_lo, exec_lo, s3
	s_and_saveexec_b32 s0, vcc_lo
	s_cbranch_execz .LBB99_54
; %bb.38:
	s_wait_loadcnt 0x1
	v_and_b32_e32 v2, 0xff, v34
	v_and_b32_e32 v5, 0xff, v31
	v_cmp_gt_u32_e32 vcc_lo, s1, v1
	s_delay_alu instid0(VALU_DEP_2) | instskip(SKIP_2) | instid1(VALU_DEP_1)
	v_max_u16 v2, v5, v2
	s_wait_loadcnt 0x0
	v_and_b32_e32 v5, 0xff, v33
	v_min_u16 v2, v2, v5
	global_store_b8 v10, v2, s[4:5]
	s_wait_xcnt 0x0
	s_and_b32 exec_lo, exec_lo, vcc_lo
	s_cbranch_execz .LBB99_54
; %bb.39:
	v_and_b32_e32 v2, 0xff, v30
	v_and_b32_e32 v5, 0xff, v28
	;; [unrolled: 1-line block ×3, first 2 shown]
	v_or_b32_e32 v1, s2, v1
	s_delay_alu instid0(VALU_DEP_3) | instskip(SKIP_1) | instid1(VALU_DEP_2)
	v_max_u16 v2, v5, v2
	v_or_b32_e32 v5, 0x200, v0
	v_min_u16 v2, v2, v6
	s_delay_alu instid0(VALU_DEP_2)
	v_cmp_gt_i32_e32 vcc_lo, s1, v5
	global_store_b8 v1, v2, s[4:5]
	s_wait_xcnt 0x0
	s_and_b32 exec_lo, exec_lo, vcc_lo
	s_cbranch_execz .LBB99_54
; %bb.40:
	v_and_b32_e32 v1, 0xff, v26
	v_and_b32_e32 v2, 0xff, v23
	;; [unrolled: 1-line block ×3, first 2 shown]
	v_or_b32_e32 v5, 0x300, v0
	s_delay_alu instid0(VALU_DEP_3) | instskip(SKIP_1) | instid1(VALU_DEP_3)
	v_max_u16 v1, v2, v1
	v_add_nc_u32_e32 v2, s2, v0
	v_cmp_gt_i32_e32 vcc_lo, s1, v5
	s_delay_alu instid0(VALU_DEP_3)
	v_min_u16 v1, v1, v3
	global_store_b8 v2, v1, s[4:5] offset:512
	s_wait_xcnt 0x0
	s_and_b32 exec_lo, exec_lo, vcc_lo
	s_cbranch_execz .LBB99_54
; %bb.41:
	v_and_b32_e32 v1, 0xff, v17
	v_and_b32_e32 v5, 0xff, v18
	v_mov_b32_e32 v3, 0
	v_and_b32_e32 v4, 0xff, v4
	s_delay_alu instid0(VALU_DEP_3) | instskip(SKIP_1) | instid1(VALU_DEP_4)
	v_max_u16 v1, v5, v1
	v_or_b32_e32 v5, 0x400, v0
	v_add_nc_u64_e32 v[2:3], s[4:5], v[2:3]
	s_delay_alu instid0(VALU_DEP_3) | instskip(NEXT) | instid1(VALU_DEP_3)
	v_min_u16 v1, v1, v4
	v_cmp_gt_u32_e32 vcc_lo, s1, v5
	global_store_b8 v[2:3], v1, off offset:768
	s_wait_xcnt 0x0
	s_and_b32 exec_lo, exec_lo, vcc_lo
	s_cbranch_execz .LBB99_54
; %bb.42:
	v_and_b32_e32 v1, 0xff, v14
	v_and_b32_e32 v4, 0xff, v15
	v_or_b32_e32 v5, 0x500, v0
	s_delay_alu instid0(VALU_DEP_2) | instskip(SKIP_1) | instid1(VALU_DEP_3)
	v_max_u16 v1, v4, v1
	v_and_b32_e32 v4, 0xff, v11
	v_cmp_gt_i32_e32 vcc_lo, s1, v5
	s_delay_alu instid0(VALU_DEP_2)
	v_min_u16 v1, v1, v4
	global_store_b8 v[2:3], v1, off offset:1024
	s_wait_xcnt 0x0
	s_and_b32 exec_lo, exec_lo, vcc_lo
	s_cbranch_execz .LBB99_54
; %bb.43:
	v_and_b32_e32 v1, 0xff, v16
	v_and_b32_e32 v4, 0xff, v19
	v_or_b32_e32 v5, 0x600, v0
	s_delay_alu instid0(VALU_DEP_2) | instskip(SKIP_1) | instid1(VALU_DEP_3)
	v_max_u16 v1, v4, v1
	v_and_b32_e32 v4, 0xff, v12
	v_cmp_gt_i32_e32 vcc_lo, s1, v5
	s_delay_alu instid0(VALU_DEP_2)
	v_min_u16 v1, v1, v4
	;; [unrolled: 14-line block ×3, first 2 shown]
	global_store_b8 v[2:3], v1, off offset:1536
	s_wait_xcnt 0x0
	s_and_b32 exec_lo, exec_lo, vcc_lo
	s_cbranch_execz .LBB99_54
; %bb.45:
	v_and_b32_e32 v1, 0xff, v24
	v_and_b32_e32 v4, 0xff, v29
	v_or_b32_e32 v5, 0x800, v0
	s_delay_alu instid0(VALU_DEP_2) | instskip(SKIP_1) | instid1(VALU_DEP_3)
	v_max_u16 v1, v4, v1
	v_and_b32_e32 v4, 0xff, v20
	v_cmp_gt_u32_e32 vcc_lo, s1, v5
	s_delay_alu instid0(VALU_DEP_2)
	v_min_u16 v1, v1, v4
	global_store_b8 v[2:3], v1, off offset:1792
	s_wait_xcnt 0x0
	s_and_b32 exec_lo, exec_lo, vcc_lo
	s_cbranch_execz .LBB99_54
; %bb.46:
	v_and_b32_e32 v1, 0xff, v32
	v_and_b32_e32 v4, 0xff, v36
	v_or_b32_e32 v5, 0x900, v0
	s_delay_alu instid0(VALU_DEP_2) | instskip(SKIP_1) | instid1(VALU_DEP_3)
	v_max_u16 v1, v4, v1
	v_and_b32_e32 v4, 0xff, v25
	v_cmp_gt_i32_e32 vcc_lo, s1, v5
	s_delay_alu instid0(VALU_DEP_2)
	v_min_u16 v1, v1, v4
	global_store_b8 v[2:3], v1, off offset:2048
	s_wait_xcnt 0x0
	s_and_b32 exec_lo, exec_lo, vcc_lo
	s_cbranch_execz .LBB99_54
; %bb.47:
	v_and_b32_e32 v1, 0xff, v37
	v_and_b32_e32 v4, 0xff, v39
	v_or_b32_e32 v5, 0xa00, v0
	s_delay_alu instid0(VALU_DEP_2) | instskip(SKIP_1) | instid1(VALU_DEP_3)
	v_max_u16 v1, v4, v1
	v_and_b32_e32 v4, 0xff, v35
	v_cmp_gt_i32_e32 vcc_lo, s1, v5
	;; [unrolled: 14-line block ×3, first 2 shown]
	s_delay_alu instid0(VALU_DEP_2)
	v_min_u16 v1, v1, v4
	global_store_b8 v[2:3], v1, off offset:2560
	s_wait_xcnt 0x0
	s_and_b32 exec_lo, exec_lo, vcc_lo
	s_cbranch_execz .LBB99_54
; %bb.49:
	v_and_b32_e32 v1, 0xff, v43
	v_and_b32_e32 v4, 0xff, v44
	v_or_b32_e32 v5, 0xc00, v0
	s_delay_alu instid0(VALU_DEP_2) | instskip(SKIP_1) | instid1(VALU_DEP_3)
	v_max_u16 v1, v4, v1
	v_and_b32_e32 v4, 0xff, v42
	v_cmp_gt_u32_e32 vcc_lo, s1, v5
	s_delay_alu instid0(VALU_DEP_2)
	v_min_u16 v1, v1, v4
	global_store_b8 v[2:3], v1, off offset:2816
	s_wait_xcnt 0x0
	s_and_b32 exec_lo, exec_lo, vcc_lo
	s_cbranch_execz .LBB99_54
; %bb.50:
	v_and_b32_e32 v1, 0xff, v46
	v_and_b32_e32 v4, 0xff, v47
	v_or_b32_e32 v5, 0xd00, v0
	s_delay_alu instid0(VALU_DEP_2) | instskip(SKIP_1) | instid1(VALU_DEP_3)
	v_max_u16 v1, v4, v1
	v_and_b32_e32 v4, 0xff, v45
	v_cmp_gt_i32_e32 vcc_lo, s1, v5
	s_delay_alu instid0(VALU_DEP_2)
	v_min_u16 v1, v1, v4
	global_store_b8 v[2:3], v1, off offset:3072
	s_wait_xcnt 0x0
	s_and_b32 exec_lo, exec_lo, vcc_lo
	s_cbranch_execz .LBB99_54
; %bb.51:
	v_and_b32_e32 v1, 0xff, v49
	v_and_b32_e32 v4, 0xff, v50
	v_or_b32_e32 v5, 0xe00, v0
	s_delay_alu instid0(VALU_DEP_2) | instskip(SKIP_1) | instid1(VALU_DEP_3)
	v_max_u16 v1, v4, v1
	v_and_b32_e32 v4, 0xff, v48
	v_cmp_gt_i32_e32 vcc_lo, s1, v5
	;; [unrolled: 14-line block ×3, first 2 shown]
	s_delay_alu instid0(VALU_DEP_2)
	v_min_u16 v1, v1, v4
	global_store_b8 v[2:3], v1, off offset:3584
	s_wait_xcnt 0x0
	s_and_b32 exec_lo, exec_lo, vcc_lo
	s_cbranch_execz .LBB99_54
; %bb.53:
	global_store_b8 v[2:3], v54, off offset:3840
.LBB99_54:
	s_endpgm
	.section	.rodata,"a",@progbits
	.p2align	6, 0x0
	.amdhsa_kernel _ZN2at6native29vectorized_elementwise_kernelILi2EZZZNS0_12_GLOBAL__N_117clamp_kernel_implERNS_18TensorIteratorBaseEENKUlvE_clEvENKUlvE_clEvEUlhhhE_St5arrayIPcLm4EEEEviT0_T1_
		.amdhsa_group_segment_fixed_size 0
		.amdhsa_private_segment_fixed_size 0
		.amdhsa_kernarg_size 40
		.amdhsa_user_sgpr_count 2
		.amdhsa_user_sgpr_dispatch_ptr 0
		.amdhsa_user_sgpr_queue_ptr 0
		.amdhsa_user_sgpr_kernarg_segment_ptr 1
		.amdhsa_user_sgpr_dispatch_id 0
		.amdhsa_user_sgpr_kernarg_preload_length 0
		.amdhsa_user_sgpr_kernarg_preload_offset 0
		.amdhsa_user_sgpr_private_segment_size 0
		.amdhsa_wavefront_size32 1
		.amdhsa_uses_dynamic_stack 0
		.amdhsa_enable_private_segment 0
		.amdhsa_system_sgpr_workgroup_id_x 1
		.amdhsa_system_sgpr_workgroup_id_y 0
		.amdhsa_system_sgpr_workgroup_id_z 0
		.amdhsa_system_sgpr_workgroup_info 0
		.amdhsa_system_vgpr_workitem_id 0
		.amdhsa_next_free_vgpr 57
		.amdhsa_next_free_sgpr 21
		.amdhsa_named_barrier_count 0
		.amdhsa_reserve_vcc 1
		.amdhsa_float_round_mode_32 0
		.amdhsa_float_round_mode_16_64 0
		.amdhsa_float_denorm_mode_32 3
		.amdhsa_float_denorm_mode_16_64 3
		.amdhsa_fp16_overflow 0
		.amdhsa_memory_ordered 1
		.amdhsa_forward_progress 1
		.amdhsa_inst_pref_size 44
		.amdhsa_round_robin_scheduling 0
		.amdhsa_exception_fp_ieee_invalid_op 0
		.amdhsa_exception_fp_denorm_src 0
		.amdhsa_exception_fp_ieee_div_zero 0
		.amdhsa_exception_fp_ieee_overflow 0
		.amdhsa_exception_fp_ieee_underflow 0
		.amdhsa_exception_fp_ieee_inexact 0
		.amdhsa_exception_int_div_zero 0
	.end_amdhsa_kernel
	.section	.text._ZN2at6native29vectorized_elementwise_kernelILi2EZZZNS0_12_GLOBAL__N_117clamp_kernel_implERNS_18TensorIteratorBaseEENKUlvE_clEvENKUlvE_clEvEUlhhhE_St5arrayIPcLm4EEEEviT0_T1_,"axG",@progbits,_ZN2at6native29vectorized_elementwise_kernelILi2EZZZNS0_12_GLOBAL__N_117clamp_kernel_implERNS_18TensorIteratorBaseEENKUlvE_clEvENKUlvE_clEvEUlhhhE_St5arrayIPcLm4EEEEviT0_T1_,comdat
.Lfunc_end99:
	.size	_ZN2at6native29vectorized_elementwise_kernelILi2EZZZNS0_12_GLOBAL__N_117clamp_kernel_implERNS_18TensorIteratorBaseEENKUlvE_clEvENKUlvE_clEvEUlhhhE_St5arrayIPcLm4EEEEviT0_T1_, .Lfunc_end99-_ZN2at6native29vectorized_elementwise_kernelILi2EZZZNS0_12_GLOBAL__N_117clamp_kernel_implERNS_18TensorIteratorBaseEENKUlvE_clEvENKUlvE_clEvEUlhhhE_St5arrayIPcLm4EEEEviT0_T1_
                                        ; -- End function
	.set _ZN2at6native29vectorized_elementwise_kernelILi2EZZZNS0_12_GLOBAL__N_117clamp_kernel_implERNS_18TensorIteratorBaseEENKUlvE_clEvENKUlvE_clEvEUlhhhE_St5arrayIPcLm4EEEEviT0_T1_.num_vgpr, 57
	.set _ZN2at6native29vectorized_elementwise_kernelILi2EZZZNS0_12_GLOBAL__N_117clamp_kernel_implERNS_18TensorIteratorBaseEENKUlvE_clEvENKUlvE_clEvEUlhhhE_St5arrayIPcLm4EEEEviT0_T1_.num_agpr, 0
	.set _ZN2at6native29vectorized_elementwise_kernelILi2EZZZNS0_12_GLOBAL__N_117clamp_kernel_implERNS_18TensorIteratorBaseEENKUlvE_clEvENKUlvE_clEvEUlhhhE_St5arrayIPcLm4EEEEviT0_T1_.numbered_sgpr, 21
	.set _ZN2at6native29vectorized_elementwise_kernelILi2EZZZNS0_12_GLOBAL__N_117clamp_kernel_implERNS_18TensorIteratorBaseEENKUlvE_clEvENKUlvE_clEvEUlhhhE_St5arrayIPcLm4EEEEviT0_T1_.num_named_barrier, 0
	.set _ZN2at6native29vectorized_elementwise_kernelILi2EZZZNS0_12_GLOBAL__N_117clamp_kernel_implERNS_18TensorIteratorBaseEENKUlvE_clEvENKUlvE_clEvEUlhhhE_St5arrayIPcLm4EEEEviT0_T1_.private_seg_size, 0
	.set _ZN2at6native29vectorized_elementwise_kernelILi2EZZZNS0_12_GLOBAL__N_117clamp_kernel_implERNS_18TensorIteratorBaseEENKUlvE_clEvENKUlvE_clEvEUlhhhE_St5arrayIPcLm4EEEEviT0_T1_.uses_vcc, 1
	.set _ZN2at6native29vectorized_elementwise_kernelILi2EZZZNS0_12_GLOBAL__N_117clamp_kernel_implERNS_18TensorIteratorBaseEENKUlvE_clEvENKUlvE_clEvEUlhhhE_St5arrayIPcLm4EEEEviT0_T1_.uses_flat_scratch, 0
	.set _ZN2at6native29vectorized_elementwise_kernelILi2EZZZNS0_12_GLOBAL__N_117clamp_kernel_implERNS_18TensorIteratorBaseEENKUlvE_clEvENKUlvE_clEvEUlhhhE_St5arrayIPcLm4EEEEviT0_T1_.has_dyn_sized_stack, 0
	.set _ZN2at6native29vectorized_elementwise_kernelILi2EZZZNS0_12_GLOBAL__N_117clamp_kernel_implERNS_18TensorIteratorBaseEENKUlvE_clEvENKUlvE_clEvEUlhhhE_St5arrayIPcLm4EEEEviT0_T1_.has_recursion, 0
	.set _ZN2at6native29vectorized_elementwise_kernelILi2EZZZNS0_12_GLOBAL__N_117clamp_kernel_implERNS_18TensorIteratorBaseEENKUlvE_clEvENKUlvE_clEvEUlhhhE_St5arrayIPcLm4EEEEviT0_T1_.has_indirect_call, 0
	.section	.AMDGPU.csdata,"",@progbits
; Kernel info:
; codeLenInByte = 5612
; TotalNumSgprs: 23
; NumVgprs: 57
; ScratchSize: 0
; MemoryBound: 0
; FloatMode: 240
; IeeeMode: 1
; LDSByteSize: 0 bytes/workgroup (compile time only)
; SGPRBlocks: 0
; VGPRBlocks: 3
; NumSGPRsForWavesPerEU: 23
; NumVGPRsForWavesPerEU: 57
; NamedBarCnt: 0
; Occupancy: 16
; WaveLimiterHint : 1
; COMPUTE_PGM_RSRC2:SCRATCH_EN: 0
; COMPUTE_PGM_RSRC2:USER_SGPR: 2
; COMPUTE_PGM_RSRC2:TRAP_HANDLER: 0
; COMPUTE_PGM_RSRC2:TGID_X_EN: 1
; COMPUTE_PGM_RSRC2:TGID_Y_EN: 0
; COMPUTE_PGM_RSRC2:TGID_Z_EN: 0
; COMPUTE_PGM_RSRC2:TIDIG_COMP_CNT: 0
	.section	.text._ZN2at6native27unrolled_elementwise_kernelIZZZNS0_12_GLOBAL__N_117clamp_kernel_implERNS_18TensorIteratorBaseEENKUlvE_clEvENKUlvE_clEvEUlhhhE_St5arrayIPcLm4EELi4E23TrivialOffsetCalculatorILi3EjESB_ILi1EjENS0_6memory15LoadWithoutCastENSE_16StoreWithoutCastEEEviT_T0_T2_T3_T4_T5_,"axG",@progbits,_ZN2at6native27unrolled_elementwise_kernelIZZZNS0_12_GLOBAL__N_117clamp_kernel_implERNS_18TensorIteratorBaseEENKUlvE_clEvENKUlvE_clEvEUlhhhE_St5arrayIPcLm4EELi4E23TrivialOffsetCalculatorILi3EjESB_ILi1EjENS0_6memory15LoadWithoutCastENSE_16StoreWithoutCastEEEviT_T0_T2_T3_T4_T5_,comdat
	.globl	_ZN2at6native27unrolled_elementwise_kernelIZZZNS0_12_GLOBAL__N_117clamp_kernel_implERNS_18TensorIteratorBaseEENKUlvE_clEvENKUlvE_clEvEUlhhhE_St5arrayIPcLm4EELi4E23TrivialOffsetCalculatorILi3EjESB_ILi1EjENS0_6memory15LoadWithoutCastENSE_16StoreWithoutCastEEEviT_T0_T2_T3_T4_T5_ ; -- Begin function _ZN2at6native27unrolled_elementwise_kernelIZZZNS0_12_GLOBAL__N_117clamp_kernel_implERNS_18TensorIteratorBaseEENKUlvE_clEvENKUlvE_clEvEUlhhhE_St5arrayIPcLm4EELi4E23TrivialOffsetCalculatorILi3EjESB_ILi1EjENS0_6memory15LoadWithoutCastENSE_16StoreWithoutCastEEEviT_T0_T2_T3_T4_T5_
	.p2align	8
	.type	_ZN2at6native27unrolled_elementwise_kernelIZZZNS0_12_GLOBAL__N_117clamp_kernel_implERNS_18TensorIteratorBaseEENKUlvE_clEvENKUlvE_clEvEUlhhhE_St5arrayIPcLm4EELi4E23TrivialOffsetCalculatorILi3EjESB_ILi1EjENS0_6memory15LoadWithoutCastENSE_16StoreWithoutCastEEEviT_T0_T2_T3_T4_T5_,@function
_ZN2at6native27unrolled_elementwise_kernelIZZZNS0_12_GLOBAL__N_117clamp_kernel_implERNS_18TensorIteratorBaseEENKUlvE_clEvENKUlvE_clEvEUlhhhE_St5arrayIPcLm4EELi4E23TrivialOffsetCalculatorILi3EjESB_ILi1EjENS0_6memory15LoadWithoutCastENSE_16StoreWithoutCastEEEviT_T0_T2_T3_T4_T5_: ; @_ZN2at6native27unrolled_elementwise_kernelIZZZNS0_12_GLOBAL__N_117clamp_kernel_implERNS_18TensorIteratorBaseEENKUlvE_clEvENKUlvE_clEvEUlhhhE_St5arrayIPcLm4EELi4E23TrivialOffsetCalculatorILi3EjESB_ILi1EjENS0_6memory15LoadWithoutCastENSE_16StoreWithoutCastEEEviT_T0_T2_T3_T4_T5_
; %bb.0:
	s_load_b32 s3, s[0:1], 0x0
	s_bfe_u32 s2, ttmp6, 0x4000c
	s_and_b32 s4, ttmp6, 15
	s_add_co_i32 s2, s2, 1
	s_getreg_b32 s5, hwreg(HW_REG_IB_STS2, 6, 4)
	s_mul_i32 s2, ttmp9, s2
	s_delay_alu instid0(SALU_CYCLE_1)
	s_add_co_i32 s4, s4, s2
	s_cmp_eq_u32 s5, 0
	s_cselect_b32 s2, ttmp9, s4
	s_mov_b32 s4, exec_lo
	s_lshl_b32 s2, s2, 10
	s_wait_kmcnt 0x0
	s_sub_co_i32 s3, s3, s2
	s_delay_alu instid0(SALU_CYCLE_1)
	v_cmpx_gt_i32_e64 s3, v0
	s_cbranch_execz .LBB100_13
; %bb.1:
	s_load_b256 s[4:11], s[0:1], 0x8
	v_dual_mov_b32 v3, 0 :: v_dual_bitop2_b32 v2, s2, v0 bitop3:0x54
	v_or_b32_e32 v7, 0x100, v0
	v_or_b32_e32 v1, 0x200, v0
	s_wait_kmcnt 0x0
	s_clause 0x2
	global_load_u8 v4, v2, s[6:7]
	global_load_u8 v6, v2, s[8:9]
	;; [unrolled: 1-line block ×3, first 2 shown]
	v_cmp_le_u32_e64 s0, s3, v7
	v_cmp_gt_u32_e32 vcc_lo, s3, v7
	s_wait_xcnt 0x0
	s_and_saveexec_b32 s1, s0
	s_delay_alu instid0(SALU_CYCLE_1)
	s_xor_b32 s0, exec_lo, s1
; %bb.2:
	v_or_b32_e32 v1, 0x200, v0
; %bb.3:
	s_or_saveexec_b32 s1, s0
	v_dual_mov_b32 v8, v3 :: v_dual_add_nc_u32 v7, s2, v7
	v_dual_mov_b32 v10, v3 :: v_dual_mov_b32 v11, v3
	v_dual_mov_b32 v9, v3 :: v_dual_mov_b32 v12, v3
	;; [unrolled: 1-line block ×3, first 2 shown]
	s_xor_b32 exec_lo, exec_lo, s1
	s_cbranch_execz .LBB100_9
; %bb.4:
	s_clause 0x2
	global_load_u8 v12, v7, s[6:7]
	global_load_u8 v14, v7, s[8:9]
	;; [unrolled: 1-line block ×3, first 2 shown]
	v_dual_mov_b32 v9, 0 :: v_dual_mov_b32 v11, 0
	v_dual_mov_b32 v10, 0 :: v_dual_mov_b32 v8, 0
	s_mov_b32 s12, exec_lo
	s_wait_xcnt 0x0
	v_cmpx_gt_u32_e64 s3, v1
	s_cbranch_execz .LBB100_8
; %bb.5:
	v_add_nc_u32_e32 v8, s2, v1
	v_or_b32_e32 v15, 0x300, v0
	s_mov_b32 s13, exec_lo
	s_clause 0x2
	global_load_u8 v10, v8, s[6:7]
	global_load_u8 v11, v8, s[8:9]
	;; [unrolled: 1-line block ×3, first 2 shown]
	s_wait_xcnt 0x0
	v_mov_b32_e32 v8, 0
	v_cmpx_gt_u32_e64 s3, v15
	s_cbranch_execz .LBB100_7
; %bb.6:
	v_add_nc_u32_e32 v8, s2, v15
	s_clause 0x2
	global_load_u8 v15, v8, s[6:7]
	global_load_u8 v16, v8, s[8:9]
	;; [unrolled: 1-line block ×3, first 2 shown]
	s_wait_loadcnt 0x1
	s_wait_xcnt 0x0
	v_max_u16 v8, v15, v16
	s_wait_loadcnt 0x0
	s_delay_alu instid0(VALU_DEP_1)
	v_min_u16 v8, v8, v17
.LBB100_7:
	s_or_b32 exec_lo, exec_lo, s13
.LBB100_8:
	s_delay_alu instid0(SALU_CYCLE_1)
	s_or_b32 exec_lo, exec_lo, s12
.LBB100_9:
	s_delay_alu instid0(SALU_CYCLE_1)
	s_or_b32 exec_lo, exec_lo, s1
	s_wait_loadcnt 0x1
	v_and_b32_e32 v6, 0xff, v6
	v_and_b32_e32 v4, 0xff, v4
	s_wait_loadcnt 0x0
	v_and_b32_e32 v5, 0xff, v5
	v_add_nc_u64_e32 v[2:3], s[4:5], v[2:3]
	s_delay_alu instid0(VALU_DEP_3) | instskip(NEXT) | instid1(VALU_DEP_1)
	v_max_u16 v4, v4, v6
	v_min_u16 v4, v4, v5
	global_store_b8 v[2:3], v4, off
	s_wait_xcnt 0x0
	s_and_b32 exec_lo, exec_lo, vcc_lo
	s_cbranch_execz .LBB100_13
; %bb.10:
	v_and_b32_e32 v2, 0xff, v14
	v_and_b32_e32 v3, 0xff, v12
	v_cmp_gt_u32_e32 vcc_lo, s3, v1
	s_delay_alu instid0(VALU_DEP_2) | instskip(SKIP_1) | instid1(VALU_DEP_1)
	v_max_u16 v2, v3, v2
	v_and_b32_e32 v3, 0xff, v13
	v_min_u16 v2, v2, v3
	global_store_b8 v7, v2, s[4:5]
	s_wait_xcnt 0x0
	s_and_b32 exec_lo, exec_lo, vcc_lo
	s_cbranch_execz .LBB100_13
; %bb.11:
	v_and_b32_e32 v2, 0xff, v11
	v_and_b32_e32 v3, 0xff, v10
	;; [unrolled: 1-line block ×3, first 2 shown]
	v_or_b32_e32 v0, 0x300, v0
	v_add_nc_u32_e32 v1, s2, v1
	s_delay_alu instid0(VALU_DEP_4) | instskip(NEXT) | instid1(VALU_DEP_3)
	v_max_u16 v2, v3, v2
	v_cmp_gt_u32_e32 vcc_lo, s3, v0
	s_delay_alu instid0(VALU_DEP_2)
	v_min_u16 v2, v2, v4
	global_store_b8 v1, v2, s[4:5]
	s_wait_xcnt 0x0
	s_and_b32 exec_lo, exec_lo, vcc_lo
	s_cbranch_execz .LBB100_13
; %bb.12:
	v_add_nc_u32_e32 v0, s2, v0
	global_store_b8 v0, v8, s[4:5]
.LBB100_13:
	s_endpgm
	.section	.rodata,"a",@progbits
	.p2align	6, 0x0
	.amdhsa_kernel _ZN2at6native27unrolled_elementwise_kernelIZZZNS0_12_GLOBAL__N_117clamp_kernel_implERNS_18TensorIteratorBaseEENKUlvE_clEvENKUlvE_clEvEUlhhhE_St5arrayIPcLm4EELi4E23TrivialOffsetCalculatorILi3EjESB_ILi1EjENS0_6memory15LoadWithoutCastENSE_16StoreWithoutCastEEEviT_T0_T2_T3_T4_T5_
		.amdhsa_group_segment_fixed_size 0
		.amdhsa_private_segment_fixed_size 0
		.amdhsa_kernarg_size 44
		.amdhsa_user_sgpr_count 2
		.amdhsa_user_sgpr_dispatch_ptr 0
		.amdhsa_user_sgpr_queue_ptr 0
		.amdhsa_user_sgpr_kernarg_segment_ptr 1
		.amdhsa_user_sgpr_dispatch_id 0
		.amdhsa_user_sgpr_kernarg_preload_length 0
		.amdhsa_user_sgpr_kernarg_preload_offset 0
		.amdhsa_user_sgpr_private_segment_size 0
		.amdhsa_wavefront_size32 1
		.amdhsa_uses_dynamic_stack 0
		.amdhsa_enable_private_segment 0
		.amdhsa_system_sgpr_workgroup_id_x 1
		.amdhsa_system_sgpr_workgroup_id_y 0
		.amdhsa_system_sgpr_workgroup_id_z 0
		.amdhsa_system_sgpr_workgroup_info 0
		.amdhsa_system_vgpr_workitem_id 0
		.amdhsa_next_free_vgpr 18
		.amdhsa_next_free_sgpr 14
		.amdhsa_named_barrier_count 0
		.amdhsa_reserve_vcc 1
		.amdhsa_float_round_mode_32 0
		.amdhsa_float_round_mode_16_64 0
		.amdhsa_float_denorm_mode_32 3
		.amdhsa_float_denorm_mode_16_64 3
		.amdhsa_fp16_overflow 0
		.amdhsa_memory_ordered 1
		.amdhsa_forward_progress 1
		.amdhsa_inst_pref_size 6
		.amdhsa_round_robin_scheduling 0
		.amdhsa_exception_fp_ieee_invalid_op 0
		.amdhsa_exception_fp_denorm_src 0
		.amdhsa_exception_fp_ieee_div_zero 0
		.amdhsa_exception_fp_ieee_overflow 0
		.amdhsa_exception_fp_ieee_underflow 0
		.amdhsa_exception_fp_ieee_inexact 0
		.amdhsa_exception_int_div_zero 0
	.end_amdhsa_kernel
	.section	.text._ZN2at6native27unrolled_elementwise_kernelIZZZNS0_12_GLOBAL__N_117clamp_kernel_implERNS_18TensorIteratorBaseEENKUlvE_clEvENKUlvE_clEvEUlhhhE_St5arrayIPcLm4EELi4E23TrivialOffsetCalculatorILi3EjESB_ILi1EjENS0_6memory15LoadWithoutCastENSE_16StoreWithoutCastEEEviT_T0_T2_T3_T4_T5_,"axG",@progbits,_ZN2at6native27unrolled_elementwise_kernelIZZZNS0_12_GLOBAL__N_117clamp_kernel_implERNS_18TensorIteratorBaseEENKUlvE_clEvENKUlvE_clEvEUlhhhE_St5arrayIPcLm4EELi4E23TrivialOffsetCalculatorILi3EjESB_ILi1EjENS0_6memory15LoadWithoutCastENSE_16StoreWithoutCastEEEviT_T0_T2_T3_T4_T5_,comdat
.Lfunc_end100:
	.size	_ZN2at6native27unrolled_elementwise_kernelIZZZNS0_12_GLOBAL__N_117clamp_kernel_implERNS_18TensorIteratorBaseEENKUlvE_clEvENKUlvE_clEvEUlhhhE_St5arrayIPcLm4EELi4E23TrivialOffsetCalculatorILi3EjESB_ILi1EjENS0_6memory15LoadWithoutCastENSE_16StoreWithoutCastEEEviT_T0_T2_T3_T4_T5_, .Lfunc_end100-_ZN2at6native27unrolled_elementwise_kernelIZZZNS0_12_GLOBAL__N_117clamp_kernel_implERNS_18TensorIteratorBaseEENKUlvE_clEvENKUlvE_clEvEUlhhhE_St5arrayIPcLm4EELi4E23TrivialOffsetCalculatorILi3EjESB_ILi1EjENS0_6memory15LoadWithoutCastENSE_16StoreWithoutCastEEEviT_T0_T2_T3_T4_T5_
                                        ; -- End function
	.set _ZN2at6native27unrolled_elementwise_kernelIZZZNS0_12_GLOBAL__N_117clamp_kernel_implERNS_18TensorIteratorBaseEENKUlvE_clEvENKUlvE_clEvEUlhhhE_St5arrayIPcLm4EELi4E23TrivialOffsetCalculatorILi3EjESB_ILi1EjENS0_6memory15LoadWithoutCastENSE_16StoreWithoutCastEEEviT_T0_T2_T3_T4_T5_.num_vgpr, 18
	.set _ZN2at6native27unrolled_elementwise_kernelIZZZNS0_12_GLOBAL__N_117clamp_kernel_implERNS_18TensorIteratorBaseEENKUlvE_clEvENKUlvE_clEvEUlhhhE_St5arrayIPcLm4EELi4E23TrivialOffsetCalculatorILi3EjESB_ILi1EjENS0_6memory15LoadWithoutCastENSE_16StoreWithoutCastEEEviT_T0_T2_T3_T4_T5_.num_agpr, 0
	.set _ZN2at6native27unrolled_elementwise_kernelIZZZNS0_12_GLOBAL__N_117clamp_kernel_implERNS_18TensorIteratorBaseEENKUlvE_clEvENKUlvE_clEvEUlhhhE_St5arrayIPcLm4EELi4E23TrivialOffsetCalculatorILi3EjESB_ILi1EjENS0_6memory15LoadWithoutCastENSE_16StoreWithoutCastEEEviT_T0_T2_T3_T4_T5_.numbered_sgpr, 14
	.set _ZN2at6native27unrolled_elementwise_kernelIZZZNS0_12_GLOBAL__N_117clamp_kernel_implERNS_18TensorIteratorBaseEENKUlvE_clEvENKUlvE_clEvEUlhhhE_St5arrayIPcLm4EELi4E23TrivialOffsetCalculatorILi3EjESB_ILi1EjENS0_6memory15LoadWithoutCastENSE_16StoreWithoutCastEEEviT_T0_T2_T3_T4_T5_.num_named_barrier, 0
	.set _ZN2at6native27unrolled_elementwise_kernelIZZZNS0_12_GLOBAL__N_117clamp_kernel_implERNS_18TensorIteratorBaseEENKUlvE_clEvENKUlvE_clEvEUlhhhE_St5arrayIPcLm4EELi4E23TrivialOffsetCalculatorILi3EjESB_ILi1EjENS0_6memory15LoadWithoutCastENSE_16StoreWithoutCastEEEviT_T0_T2_T3_T4_T5_.private_seg_size, 0
	.set _ZN2at6native27unrolled_elementwise_kernelIZZZNS0_12_GLOBAL__N_117clamp_kernel_implERNS_18TensorIteratorBaseEENKUlvE_clEvENKUlvE_clEvEUlhhhE_St5arrayIPcLm4EELi4E23TrivialOffsetCalculatorILi3EjESB_ILi1EjENS0_6memory15LoadWithoutCastENSE_16StoreWithoutCastEEEviT_T0_T2_T3_T4_T5_.uses_vcc, 1
	.set _ZN2at6native27unrolled_elementwise_kernelIZZZNS0_12_GLOBAL__N_117clamp_kernel_implERNS_18TensorIteratorBaseEENKUlvE_clEvENKUlvE_clEvEUlhhhE_St5arrayIPcLm4EELi4E23TrivialOffsetCalculatorILi3EjESB_ILi1EjENS0_6memory15LoadWithoutCastENSE_16StoreWithoutCastEEEviT_T0_T2_T3_T4_T5_.uses_flat_scratch, 0
	.set _ZN2at6native27unrolled_elementwise_kernelIZZZNS0_12_GLOBAL__N_117clamp_kernel_implERNS_18TensorIteratorBaseEENKUlvE_clEvENKUlvE_clEvEUlhhhE_St5arrayIPcLm4EELi4E23TrivialOffsetCalculatorILi3EjESB_ILi1EjENS0_6memory15LoadWithoutCastENSE_16StoreWithoutCastEEEviT_T0_T2_T3_T4_T5_.has_dyn_sized_stack, 0
	.set _ZN2at6native27unrolled_elementwise_kernelIZZZNS0_12_GLOBAL__N_117clamp_kernel_implERNS_18TensorIteratorBaseEENKUlvE_clEvENKUlvE_clEvEUlhhhE_St5arrayIPcLm4EELi4E23TrivialOffsetCalculatorILi3EjESB_ILi1EjENS0_6memory15LoadWithoutCastENSE_16StoreWithoutCastEEEviT_T0_T2_T3_T4_T5_.has_recursion, 0
	.set _ZN2at6native27unrolled_elementwise_kernelIZZZNS0_12_GLOBAL__N_117clamp_kernel_implERNS_18TensorIteratorBaseEENKUlvE_clEvENKUlvE_clEvEUlhhhE_St5arrayIPcLm4EELi4E23TrivialOffsetCalculatorILi3EjESB_ILi1EjENS0_6memory15LoadWithoutCastENSE_16StoreWithoutCastEEEviT_T0_T2_T3_T4_T5_.has_indirect_call, 0
	.section	.AMDGPU.csdata,"",@progbits
; Kernel info:
; codeLenInByte = 756
; TotalNumSgprs: 16
; NumVgprs: 18
; ScratchSize: 0
; MemoryBound: 0
; FloatMode: 240
; IeeeMode: 1
; LDSByteSize: 0 bytes/workgroup (compile time only)
; SGPRBlocks: 0
; VGPRBlocks: 1
; NumSGPRsForWavesPerEU: 16
; NumVGPRsForWavesPerEU: 18
; NamedBarCnt: 0
; Occupancy: 16
; WaveLimiterHint : 0
; COMPUTE_PGM_RSRC2:SCRATCH_EN: 0
; COMPUTE_PGM_RSRC2:USER_SGPR: 2
; COMPUTE_PGM_RSRC2:TRAP_HANDLER: 0
; COMPUTE_PGM_RSRC2:TGID_X_EN: 1
; COMPUTE_PGM_RSRC2:TGID_Y_EN: 0
; COMPUTE_PGM_RSRC2:TGID_Z_EN: 0
; COMPUTE_PGM_RSRC2:TIDIG_COMP_CNT: 0
	.section	.text._ZN2at6native32elementwise_kernel_manual_unrollILi128ELi8EZNS0_22gpu_kernel_impl_nocastIZZZNS0_12_GLOBAL__N_117clamp_kernel_implERNS_18TensorIteratorBaseEENKUlvE_clEvENKUlvE_clEvEUlhhhE_EEvS5_RKT_EUlibE_EEviT1_,"axG",@progbits,_ZN2at6native32elementwise_kernel_manual_unrollILi128ELi8EZNS0_22gpu_kernel_impl_nocastIZZZNS0_12_GLOBAL__N_117clamp_kernel_implERNS_18TensorIteratorBaseEENKUlvE_clEvENKUlvE_clEvEUlhhhE_EEvS5_RKT_EUlibE_EEviT1_,comdat
	.globl	_ZN2at6native32elementwise_kernel_manual_unrollILi128ELi8EZNS0_22gpu_kernel_impl_nocastIZZZNS0_12_GLOBAL__N_117clamp_kernel_implERNS_18TensorIteratorBaseEENKUlvE_clEvENKUlvE_clEvEUlhhhE_EEvS5_RKT_EUlibE_EEviT1_ ; -- Begin function _ZN2at6native32elementwise_kernel_manual_unrollILi128ELi8EZNS0_22gpu_kernel_impl_nocastIZZZNS0_12_GLOBAL__N_117clamp_kernel_implERNS_18TensorIteratorBaseEENKUlvE_clEvENKUlvE_clEvEUlhhhE_EEvS5_RKT_EUlibE_EEviT1_
	.p2align	8
	.type	_ZN2at6native32elementwise_kernel_manual_unrollILi128ELi8EZNS0_22gpu_kernel_impl_nocastIZZZNS0_12_GLOBAL__N_117clamp_kernel_implERNS_18TensorIteratorBaseEENKUlvE_clEvENKUlvE_clEvEUlhhhE_EEvS5_RKT_EUlibE_EEviT1_,@function
_ZN2at6native32elementwise_kernel_manual_unrollILi128ELi8EZNS0_22gpu_kernel_impl_nocastIZZZNS0_12_GLOBAL__N_117clamp_kernel_implERNS_18TensorIteratorBaseEENKUlvE_clEvENKUlvE_clEvEUlhhhE_EEvS5_RKT_EUlibE_EEviT1_: ; @_ZN2at6native32elementwise_kernel_manual_unrollILi128ELi8EZNS0_22gpu_kernel_impl_nocastIZZZNS0_12_GLOBAL__N_117clamp_kernel_implERNS_18TensorIteratorBaseEENKUlvE_clEvENKUlvE_clEvEUlhhhE_EEvS5_RKT_EUlibE_EEviT1_
; %bb.0:
	s_clause 0x1
	s_load_b32 s33, s[0:1], 0x8
	s_load_b32 s39, s[0:1], 0x0
	s_bfe_u32 s2, ttmp6, 0x4000c
	s_and_b32 s3, ttmp6, 15
	s_add_co_i32 s2, s2, 1
	s_getreg_b32 s4, hwreg(HW_REG_IB_STS2, 6, 4)
	s_mul_i32 s2, ttmp9, s2
	s_add_nc_u64 s[20:21], s[0:1], 8
	s_add_co_i32 s3, s3, s2
	s_cmp_eq_u32 s4, 0
	s_mov_b32 s25, 0
	s_cselect_b32 s2, ttmp9, s3
	s_wait_xcnt 0x0
	s_mov_b32 s0, exec_lo
	v_lshl_or_b32 v0, s2, 10, v0
	s_delay_alu instid0(VALU_DEP_1) | instskip(SKIP_2) | instid1(SALU_CYCLE_1)
	v_or_b32_e32 v5, 0x380, v0
	s_wait_kmcnt 0x0
	s_add_co_i32 s34, s33, -1
	s_cmp_gt_u32 s34, 1
	s_cselect_b32 s35, -1, 0
	v_cmpx_le_i32_e64 s39, v5
	s_xor_b32 s36, exec_lo, s0
	s_cbranch_execz .LBB101_106
; %bb.1:
	s_clause 0x3
	s_load_b128 s[16:19], s[20:21], 0x4
	s_load_b64 s[22:23], s[20:21], 0x14
	s_load_b256 s[8:15], s[20:21], 0xc4
	s_load_b256 s[0:7], s[20:21], 0x1c8
	s_cmp_lg_u32 s33, 0
	s_mov_b32 s27, s25
	s_cselect_b32 s40, -1, 0
	s_min_u32 s38, s34, 15
	s_cmp_gt_u32 s33, 1
	s_cselect_b32 s37, -1, 0
	s_wait_kmcnt 0x0
	s_mov_b32 s24, s17
	s_mov_b32 s26, s22
	s_mov_b32 s17, exec_lo
	v_cmpx_gt_i32_e64 s39, v0
	s_cbranch_execnz .LBB101_9
; %bb.2:
	s_or_b32 exec_lo, exec_lo, s17
	s_delay_alu instid0(SALU_CYCLE_1)
	s_mov_b32 s17, exec_lo
	v_cmpx_gt_i32_e64 s39, v0
	s_cbranch_execnz .LBB101_21
.LBB101_3:
	s_or_b32 exec_lo, exec_lo, s17
	s_delay_alu instid0(SALU_CYCLE_1)
	s_mov_b32 s17, exec_lo
	v_cmpx_gt_i32_e64 s39, v0
	s_cbranch_execnz .LBB101_33
.LBB101_4:
	s_or_b32 exec_lo, exec_lo, s17
	s_delay_alu instid0(SALU_CYCLE_1)
	s_mov_b32 s17, exec_lo
	v_cmpx_gt_i32_e64 s39, v0
	s_cbranch_execnz .LBB101_45
.LBB101_5:
	s_or_b32 exec_lo, exec_lo, s17
	s_delay_alu instid0(SALU_CYCLE_1)
	s_mov_b32 s17, exec_lo
	v_cmpx_gt_i32_e64 s39, v0
	s_cbranch_execnz .LBB101_57
.LBB101_6:
	s_or_b32 exec_lo, exec_lo, s17
	s_delay_alu instid0(SALU_CYCLE_1)
	s_mov_b32 s17, exec_lo
	v_cmpx_gt_i32_e64 s39, v0
	s_cbranch_execnz .LBB101_69
.LBB101_7:
	s_or_b32 exec_lo, exec_lo, s17
	s_delay_alu instid0(SALU_CYCLE_1)
	s_mov_b32 s17, exec_lo
	v_cmpx_gt_i32_e64 s39, v0
	s_cbranch_execnz .LBB101_81
.LBB101_8:
	s_or_b32 exec_lo, exec_lo, s17
	s_delay_alu instid0(SALU_CYCLE_1)
	s_mov_b32 s17, exec_lo
	v_cmpx_gt_i32_e64 s39, v0
	s_cbranch_execnz .LBB101_93
	s_branch .LBB101_105
.LBB101_9:
	s_and_not1_b32 vcc_lo, exec_lo, s35
	s_cbranch_vccnz .LBB101_15
; %bb.10:
	s_and_not1_b32 vcc_lo, exec_lo, s40
	s_cbranch_vccnz .LBB101_16
; %bb.11:
	v_dual_mov_b32 v5, 0 :: v_dual_mov_b32 v1, v0
	v_dual_mov_b32 v7, 0 :: v_dual_mov_b32 v4, 0
	v_mov_b32_e32 v6, 0
	s_add_co_i32 s22, s38, 1
	s_mov_b64 s[28:29], 0xffffffffffffffe0
	s_and_b32 s22, s22, 30
	s_add_nc_u64 s[28:29], s[20:21], s[28:29]
	s_mov_b64 s[30:31], s[20:21]
.LBB101_12:                             ; =>This Inner Loop Header: Depth=1
	s_clause 0x1
	s_load_b128 s[52:55], s[30:31], 0x4
	s_load_b64 s[42:43], s[30:31], 0x14
	s_load_b256 s[44:51], s[28:29], 0xe4
	s_add_co_i32 s22, s22, -2
	s_wait_xcnt 0x0
	s_add_nc_u64 s[30:31], s[30:31], 24
	s_cmp_lg_u32 s22, 0
	s_add_nc_u64 s[28:29], s[28:29], 32
	s_wait_kmcnt 0x0
	v_mul_hi_u32 v2, s53, v1
	s_delay_alu instid0(VALU_DEP_1) | instskip(NEXT) | instid1(VALU_DEP_1)
	v_add_nc_u32_e32 v2, v1, v2
	v_lshrrev_b32_e32 v2, s54, v2
	s_delay_alu instid0(VALU_DEP_1) | instskip(SKIP_1) | instid1(VALU_DEP_1)
	v_mul_hi_u32 v3, s42, v2
	v_mul_lo_u32 v8, v2, s52
	v_dual_add_nc_u32 v3, v2, v3 :: v_dual_sub_nc_u32 v8, v1, v8
	s_delay_alu instid0(VALU_DEP_1) | instskip(NEXT) | instid1(VALU_DEP_2)
	v_lshrrev_b32_e32 v1, s43, v3
	v_mad_u32 v6, v8, s45, v6
	v_mad_u32 v4, v8, s44, v4
	;; [unrolled: 1-line block ×4, first 2 shown]
	v_mul_lo_u32 v3, v1, s55
	s_delay_alu instid0(VALU_DEP_1) | instskip(NEXT) | instid1(VALU_DEP_1)
	v_sub_nc_u32_e32 v2, v2, v3
	v_mad_u32 v6, v2, s49, v6
	v_mad_u32 v4, v2, s48, v4
	;; [unrolled: 1-line block ×4, first 2 shown]
	s_cbranch_scc1 .LBB101_12
; %bb.13:
	s_bitcmp1_b32 s38, 0
	s_cselect_b32 s22, -1, 0
	s_delay_alu instid0(SALU_CYCLE_1)
	s_and_b32 vcc_lo, exec_lo, s22
	s_cbranch_vccnz .LBB101_17
; %bb.14:
	s_load_b96 s[48:50], s[30:31], 0x4
	s_load_b128 s[44:47], s[28:29], 0xe4
	s_wait_kmcnt 0x0
	v_mul_hi_u32 v2, s49, v1
	s_delay_alu instid0(VALU_DEP_1) | instskip(NEXT) | instid1(VALU_DEP_1)
	v_add_nc_u32_e32 v2, v1, v2
	v_lshrrev_b32_e32 v2, s50, v2
	s_delay_alu instid0(VALU_DEP_1) | instskip(NEXT) | instid1(VALU_DEP_1)
	v_mul_lo_u32 v2, v2, s48
	v_sub_nc_u32_e32 v1, v1, v2
	s_delay_alu instid0(VALU_DEP_1)
	v_mad_u32 v4, v1, s44, v4
	v_mad_u32 v6, v1, s45, v6
	;; [unrolled: 1-line block ×4, first 2 shown]
	s_cbranch_execz .LBB101_18
	s_branch .LBB101_20
.LBB101_15:
                                        ; implicit-def: $vgpr6
                                        ; implicit-def: $vgpr4
                                        ; implicit-def: $vgpr7
                                        ; implicit-def: $vgpr5
	s_branch .LBB101_18
.LBB101_16:
	v_dual_mov_b32 v6, 0 :: v_dual_mov_b32 v4, 0
	v_dual_mov_b32 v7, 0 :: v_dual_mov_b32 v5, 0
.LBB101_17:
	s_cbranch_execnz .LBB101_20
.LBB101_18:
	v_mov_b32_e32 v1, 0
	s_and_not1_b32 vcc_lo, exec_lo, s37
	s_delay_alu instid0(VALU_DEP_1) | instskip(NEXT) | instid1(VALU_DEP_1)
	v_mul_u64_e32 v[2:3], s[24:25], v[0:1]
	v_add_nc_u32_e32 v2, v0, v3
	s_delay_alu instid0(VALU_DEP_1) | instskip(NEXT) | instid1(VALU_DEP_1)
	v_lshrrev_b32_e32 v2, s18, v2
	v_mul_lo_u32 v3, v2, s16
	s_delay_alu instid0(VALU_DEP_1) | instskip(NEXT) | instid1(VALU_DEP_1)
	v_sub_nc_u32_e32 v3, v0, v3
	v_mul_lo_u32 v6, v3, s9
	v_mul_lo_u32 v4, v3, s8
	;; [unrolled: 1-line block ×4, first 2 shown]
	s_cbranch_vccnz .LBB101_20
; %bb.19:
	v_mov_b32_e32 v3, v1
	s_delay_alu instid0(VALU_DEP_1) | instskip(NEXT) | instid1(VALU_DEP_1)
	v_mul_u64_e32 v[8:9], s[26:27], v[2:3]
	v_add_nc_u32_e32 v1, v2, v9
	s_delay_alu instid0(VALU_DEP_1) | instskip(NEXT) | instid1(VALU_DEP_1)
	v_lshrrev_b32_e32 v1, s23, v1
	v_mul_lo_u32 v1, v1, s19
	s_delay_alu instid0(VALU_DEP_1) | instskip(NEXT) | instid1(VALU_DEP_1)
	v_sub_nc_u32_e32 v1, v2, v1
	v_mad_u32 v4, v1, s12, v4
	v_mad_u32 v6, v1, s13, v6
	;; [unrolled: 1-line block ×4, first 2 shown]
.LBB101_20:
	global_load_u8 v1, v6, s[2:3]
	global_load_u8 v2, v5, s[4:5]
	;; [unrolled: 1-line block ×3, first 2 shown]
	v_add_nc_u32_e32 v0, 0x80, v0
	s_wait_loadcnt 0x1
	v_max_u16 v1, v1, v2
	s_wait_loadcnt 0x0
	s_delay_alu instid0(VALU_DEP_1) | instskip(SKIP_3) | instid1(SALU_CYCLE_1)
	v_min_u16 v1, v1, v3
	global_store_b8 v4, v1, s[0:1]
	s_wait_xcnt 0x0
	s_or_b32 exec_lo, exec_lo, s17
	s_mov_b32 s17, exec_lo
	v_cmpx_gt_i32_e64 s39, v0
	s_cbranch_execz .LBB101_3
.LBB101_21:
	s_and_not1_b32 vcc_lo, exec_lo, s35
	s_cbranch_vccnz .LBB101_27
; %bb.22:
	s_and_not1_b32 vcc_lo, exec_lo, s40
	s_cbranch_vccnz .LBB101_28
; %bb.23:
	v_dual_mov_b32 v6, 0 :: v_dual_mov_b32 v1, v0
	v_dual_mov_b32 v7, 0 :: v_dual_mov_b32 v4, 0
	v_mov_b32_e32 v5, 0
	s_add_co_i32 s22, s38, 1
	s_mov_b64 s[28:29], 0xffffffffffffffe0
	s_and_b32 s22, s22, 30
	s_add_nc_u64 s[28:29], s[20:21], s[28:29]
	s_mov_b64 s[30:31], s[20:21]
.LBB101_24:                             ; =>This Inner Loop Header: Depth=1
	s_clause 0x1
	s_load_b128 s[52:55], s[30:31], 0x4
	s_load_b64 s[42:43], s[30:31], 0x14
	s_load_b256 s[44:51], s[28:29], 0xe4
	s_add_co_i32 s22, s22, -2
	s_wait_xcnt 0x0
	s_add_nc_u64 s[30:31], s[30:31], 24
	s_cmp_eq_u32 s22, 0
	s_add_nc_u64 s[28:29], s[28:29], 32
	s_wait_kmcnt 0x0
	v_mul_hi_u32 v2, s53, v1
	s_delay_alu instid0(VALU_DEP_1) | instskip(NEXT) | instid1(VALU_DEP_1)
	v_add_nc_u32_e32 v2, v1, v2
	v_lshrrev_b32_e32 v2, s54, v2
	s_delay_alu instid0(VALU_DEP_1) | instskip(SKIP_1) | instid1(VALU_DEP_1)
	v_mul_hi_u32 v3, s42, v2
	v_mul_lo_u32 v8, v2, s52
	v_dual_add_nc_u32 v3, v2, v3 :: v_dual_sub_nc_u32 v8, v1, v8
	s_delay_alu instid0(VALU_DEP_1) | instskip(NEXT) | instid1(VALU_DEP_2)
	v_lshrrev_b32_e32 v1, s43, v3
	v_mad_u32 v5, v8, s45, v5
	v_mad_u32 v4, v8, s44, v4
	;; [unrolled: 1-line block ×4, first 2 shown]
	v_mul_lo_u32 v3, v1, s55
	s_delay_alu instid0(VALU_DEP_1) | instskip(NEXT) | instid1(VALU_DEP_1)
	v_sub_nc_u32_e32 v2, v2, v3
	v_mad_u32 v5, v2, s49, v5
	v_mad_u32 v4, v2, s48, v4
	;; [unrolled: 1-line block ×4, first 2 shown]
	s_cbranch_scc0 .LBB101_24
; %bb.25:
	s_bitcmp1_b32 s38, 0
	s_cselect_b32 s22, -1, 0
	s_delay_alu instid0(SALU_CYCLE_1)
	s_and_b32 vcc_lo, exec_lo, s22
	s_cbranch_vccnz .LBB101_29
; %bb.26:
	s_load_b96 s[48:50], s[30:31], 0x4
	s_load_b128 s[44:47], s[28:29], 0xe4
	s_wait_kmcnt 0x0
	v_mul_hi_u32 v2, s49, v1
	s_delay_alu instid0(VALU_DEP_1) | instskip(NEXT) | instid1(VALU_DEP_1)
	v_add_nc_u32_e32 v2, v1, v2
	v_lshrrev_b32_e32 v2, s50, v2
	s_delay_alu instid0(VALU_DEP_1) | instskip(NEXT) | instid1(VALU_DEP_1)
	v_mul_lo_u32 v2, v2, s48
	v_sub_nc_u32_e32 v1, v1, v2
	s_delay_alu instid0(VALU_DEP_1)
	v_mad_u32 v4, v1, s44, v4
	v_mad_u32 v5, v1, s45, v5
	;; [unrolled: 1-line block ×4, first 2 shown]
	s_branch .LBB101_29
.LBB101_27:
                                        ; implicit-def: $vgpr5
                                        ; implicit-def: $vgpr4
                                        ; implicit-def: $vgpr7
                                        ; implicit-def: $vgpr6
	s_branch .LBB101_30
.LBB101_28:
	v_dual_mov_b32 v5, 0 :: v_dual_mov_b32 v4, 0
	v_dual_mov_b32 v7, 0 :: v_dual_mov_b32 v6, 0
.LBB101_29:
	s_cbranch_execnz .LBB101_32
.LBB101_30:
	v_mov_b32_e32 v1, 0
	s_and_not1_b32 vcc_lo, exec_lo, s37
	s_delay_alu instid0(VALU_DEP_1) | instskip(NEXT) | instid1(VALU_DEP_1)
	v_mul_u64_e32 v[2:3], s[24:25], v[0:1]
	v_add_nc_u32_e32 v2, v0, v3
	s_delay_alu instid0(VALU_DEP_1) | instskip(NEXT) | instid1(VALU_DEP_1)
	v_lshrrev_b32_e32 v2, s18, v2
	v_mul_lo_u32 v3, v2, s16
	s_delay_alu instid0(VALU_DEP_1) | instskip(NEXT) | instid1(VALU_DEP_1)
	v_sub_nc_u32_e32 v3, v0, v3
	v_mul_lo_u32 v5, v3, s9
	v_mul_lo_u32 v4, v3, s8
	;; [unrolled: 1-line block ×4, first 2 shown]
	s_cbranch_vccnz .LBB101_32
; %bb.31:
	v_mov_b32_e32 v3, v1
	s_delay_alu instid0(VALU_DEP_1) | instskip(NEXT) | instid1(VALU_DEP_1)
	v_mul_u64_e32 v[8:9], s[26:27], v[2:3]
	v_add_nc_u32_e32 v1, v2, v9
	s_delay_alu instid0(VALU_DEP_1) | instskip(NEXT) | instid1(VALU_DEP_1)
	v_lshrrev_b32_e32 v1, s23, v1
	v_mul_lo_u32 v1, v1, s19
	s_delay_alu instid0(VALU_DEP_1) | instskip(NEXT) | instid1(VALU_DEP_1)
	v_sub_nc_u32_e32 v1, v2, v1
	v_mad_u32 v4, v1, s12, v4
	v_mad_u32 v5, v1, s13, v5
	;; [unrolled: 1-line block ×4, first 2 shown]
.LBB101_32:
	global_load_u8 v1, v5, s[2:3]
	global_load_u8 v2, v6, s[4:5]
	;; [unrolled: 1-line block ×3, first 2 shown]
	v_add_nc_u32_e32 v0, 0x80, v0
	s_wait_loadcnt 0x1
	v_max_u16 v1, v1, v2
	s_wait_loadcnt 0x0
	s_delay_alu instid0(VALU_DEP_1) | instskip(SKIP_3) | instid1(SALU_CYCLE_1)
	v_min_u16 v1, v1, v3
	global_store_b8 v4, v1, s[0:1]
	s_wait_xcnt 0x0
	s_or_b32 exec_lo, exec_lo, s17
	s_mov_b32 s17, exec_lo
	v_cmpx_gt_i32_e64 s39, v0
	s_cbranch_execz .LBB101_4
.LBB101_33:
	s_and_not1_b32 vcc_lo, exec_lo, s35
	s_cbranch_vccnz .LBB101_39
; %bb.34:
	s_and_not1_b32 vcc_lo, exec_lo, s40
	s_cbranch_vccnz .LBB101_40
; %bb.35:
	v_dual_mov_b32 v6, 0 :: v_dual_mov_b32 v1, v0
	v_dual_mov_b32 v7, 0 :: v_dual_mov_b32 v4, 0
	v_mov_b32_e32 v5, 0
	s_add_co_i32 s22, s38, 1
	s_mov_b64 s[28:29], 0xffffffffffffffe0
	s_and_b32 s22, s22, 30
	s_add_nc_u64 s[28:29], s[20:21], s[28:29]
	s_mov_b64 s[30:31], s[20:21]
.LBB101_36:                             ; =>This Inner Loop Header: Depth=1
	s_clause 0x1
	s_load_b128 s[52:55], s[30:31], 0x4
	s_load_b64 s[42:43], s[30:31], 0x14
	s_load_b256 s[44:51], s[28:29], 0xe4
	s_add_co_i32 s22, s22, -2
	s_wait_xcnt 0x0
	s_add_nc_u64 s[30:31], s[30:31], 24
	s_cmp_eq_u32 s22, 0
	s_add_nc_u64 s[28:29], s[28:29], 32
	s_wait_kmcnt 0x0
	v_mul_hi_u32 v2, s53, v1
	s_delay_alu instid0(VALU_DEP_1) | instskip(NEXT) | instid1(VALU_DEP_1)
	v_add_nc_u32_e32 v2, v1, v2
	v_lshrrev_b32_e32 v2, s54, v2
	s_delay_alu instid0(VALU_DEP_1) | instskip(SKIP_1) | instid1(VALU_DEP_1)
	v_mul_hi_u32 v3, s42, v2
	v_mul_lo_u32 v8, v2, s52
	v_dual_add_nc_u32 v3, v2, v3 :: v_dual_sub_nc_u32 v8, v1, v8
	s_delay_alu instid0(VALU_DEP_1) | instskip(NEXT) | instid1(VALU_DEP_2)
	v_lshrrev_b32_e32 v1, s43, v3
	v_mad_u32 v5, v8, s45, v5
	v_mad_u32 v4, v8, s44, v4
	;; [unrolled: 1-line block ×4, first 2 shown]
	v_mul_lo_u32 v3, v1, s55
	s_delay_alu instid0(VALU_DEP_1) | instskip(NEXT) | instid1(VALU_DEP_1)
	v_sub_nc_u32_e32 v2, v2, v3
	v_mad_u32 v5, v2, s49, v5
	v_mad_u32 v4, v2, s48, v4
	;; [unrolled: 1-line block ×4, first 2 shown]
	s_cbranch_scc0 .LBB101_36
; %bb.37:
	s_bitcmp1_b32 s38, 0
	s_cselect_b32 s22, -1, 0
	s_delay_alu instid0(SALU_CYCLE_1)
	s_and_b32 vcc_lo, exec_lo, s22
	s_cbranch_vccnz .LBB101_41
; %bb.38:
	s_load_b96 s[48:50], s[30:31], 0x4
	s_load_b128 s[44:47], s[28:29], 0xe4
	s_wait_kmcnt 0x0
	v_mul_hi_u32 v2, s49, v1
	s_delay_alu instid0(VALU_DEP_1) | instskip(NEXT) | instid1(VALU_DEP_1)
	v_add_nc_u32_e32 v2, v1, v2
	v_lshrrev_b32_e32 v2, s50, v2
	s_delay_alu instid0(VALU_DEP_1) | instskip(NEXT) | instid1(VALU_DEP_1)
	v_mul_lo_u32 v2, v2, s48
	v_sub_nc_u32_e32 v1, v1, v2
	s_delay_alu instid0(VALU_DEP_1)
	v_mad_u32 v4, v1, s44, v4
	v_mad_u32 v5, v1, s45, v5
	;; [unrolled: 1-line block ×4, first 2 shown]
	s_branch .LBB101_41
.LBB101_39:
                                        ; implicit-def: $vgpr5
                                        ; implicit-def: $vgpr4
                                        ; implicit-def: $vgpr7
                                        ; implicit-def: $vgpr6
	s_branch .LBB101_42
.LBB101_40:
	v_dual_mov_b32 v5, 0 :: v_dual_mov_b32 v4, 0
	v_dual_mov_b32 v7, 0 :: v_dual_mov_b32 v6, 0
.LBB101_41:
	s_cbranch_execnz .LBB101_44
.LBB101_42:
	v_mov_b32_e32 v1, 0
	s_and_not1_b32 vcc_lo, exec_lo, s37
	s_delay_alu instid0(VALU_DEP_1) | instskip(NEXT) | instid1(VALU_DEP_1)
	v_mul_u64_e32 v[2:3], s[24:25], v[0:1]
	v_add_nc_u32_e32 v2, v0, v3
	s_delay_alu instid0(VALU_DEP_1) | instskip(NEXT) | instid1(VALU_DEP_1)
	v_lshrrev_b32_e32 v2, s18, v2
	v_mul_lo_u32 v3, v2, s16
	s_delay_alu instid0(VALU_DEP_1) | instskip(NEXT) | instid1(VALU_DEP_1)
	v_sub_nc_u32_e32 v3, v0, v3
	v_mul_lo_u32 v5, v3, s9
	v_mul_lo_u32 v4, v3, s8
	;; [unrolled: 1-line block ×4, first 2 shown]
	s_cbranch_vccnz .LBB101_44
; %bb.43:
	v_mov_b32_e32 v3, v1
	s_delay_alu instid0(VALU_DEP_1) | instskip(NEXT) | instid1(VALU_DEP_1)
	v_mul_u64_e32 v[8:9], s[26:27], v[2:3]
	v_add_nc_u32_e32 v1, v2, v9
	s_delay_alu instid0(VALU_DEP_1) | instskip(NEXT) | instid1(VALU_DEP_1)
	v_lshrrev_b32_e32 v1, s23, v1
	v_mul_lo_u32 v1, v1, s19
	s_delay_alu instid0(VALU_DEP_1) | instskip(NEXT) | instid1(VALU_DEP_1)
	v_sub_nc_u32_e32 v1, v2, v1
	v_mad_u32 v4, v1, s12, v4
	v_mad_u32 v5, v1, s13, v5
	;; [unrolled: 1-line block ×4, first 2 shown]
.LBB101_44:
	global_load_u8 v1, v5, s[2:3]
	global_load_u8 v2, v6, s[4:5]
	global_load_u8 v3, v7, s[6:7]
	v_add_nc_u32_e32 v0, 0x80, v0
	s_wait_loadcnt 0x1
	v_max_u16 v1, v1, v2
	s_wait_loadcnt 0x0
	s_delay_alu instid0(VALU_DEP_1) | instskip(SKIP_3) | instid1(SALU_CYCLE_1)
	v_min_u16 v1, v1, v3
	global_store_b8 v4, v1, s[0:1]
	s_wait_xcnt 0x0
	s_or_b32 exec_lo, exec_lo, s17
	s_mov_b32 s17, exec_lo
	v_cmpx_gt_i32_e64 s39, v0
	s_cbranch_execz .LBB101_5
.LBB101_45:
	s_and_not1_b32 vcc_lo, exec_lo, s35
	s_cbranch_vccnz .LBB101_51
; %bb.46:
	s_and_not1_b32 vcc_lo, exec_lo, s40
	s_cbranch_vccnz .LBB101_52
; %bb.47:
	v_dual_mov_b32 v5, 0 :: v_dual_mov_b32 v1, v0
	v_dual_mov_b32 v7, 0 :: v_dual_mov_b32 v4, 0
	v_mov_b32_e32 v6, 0
	s_add_co_i32 s22, s38, 1
	s_mov_b64 s[28:29], 0xffffffffffffffe0
	s_and_b32 s22, s22, 30
	s_add_nc_u64 s[28:29], s[20:21], s[28:29]
	s_mov_b64 s[30:31], s[20:21]
.LBB101_48:                             ; =>This Inner Loop Header: Depth=1
	s_clause 0x1
	s_load_b128 s[52:55], s[30:31], 0x4
	s_load_b64 s[42:43], s[30:31], 0x14
	s_load_b256 s[44:51], s[28:29], 0xe4
	s_add_co_i32 s22, s22, -2
	s_wait_xcnt 0x0
	s_add_nc_u64 s[30:31], s[30:31], 24
	s_cmp_eq_u32 s22, 0
	s_add_nc_u64 s[28:29], s[28:29], 32
	s_wait_kmcnt 0x0
	v_mul_hi_u32 v2, s53, v1
	s_delay_alu instid0(VALU_DEP_1) | instskip(NEXT) | instid1(VALU_DEP_1)
	v_add_nc_u32_e32 v2, v1, v2
	v_lshrrev_b32_e32 v2, s54, v2
	s_delay_alu instid0(VALU_DEP_1) | instskip(SKIP_1) | instid1(VALU_DEP_1)
	v_mul_hi_u32 v3, s42, v2
	v_mul_lo_u32 v8, v2, s52
	v_dual_add_nc_u32 v3, v2, v3 :: v_dual_sub_nc_u32 v8, v1, v8
	s_delay_alu instid0(VALU_DEP_1) | instskip(NEXT) | instid1(VALU_DEP_2)
	v_lshrrev_b32_e32 v1, s43, v3
	v_mad_u32 v6, v8, s45, v6
	v_mad_u32 v4, v8, s44, v4
	;; [unrolled: 1-line block ×4, first 2 shown]
	v_mul_lo_u32 v3, v1, s55
	s_delay_alu instid0(VALU_DEP_1) | instskip(NEXT) | instid1(VALU_DEP_1)
	v_sub_nc_u32_e32 v2, v2, v3
	v_mad_u32 v6, v2, s49, v6
	v_mad_u32 v4, v2, s48, v4
	;; [unrolled: 1-line block ×4, first 2 shown]
	s_cbranch_scc0 .LBB101_48
; %bb.49:
	s_bitcmp1_b32 s38, 0
	s_cselect_b32 s22, -1, 0
	s_delay_alu instid0(SALU_CYCLE_1)
	s_and_b32 vcc_lo, exec_lo, s22
	s_cbranch_vccnz .LBB101_53
; %bb.50:
	s_load_b96 s[48:50], s[30:31], 0x4
	s_load_b128 s[44:47], s[28:29], 0xe4
	s_wait_kmcnt 0x0
	v_mul_hi_u32 v2, s49, v1
	s_delay_alu instid0(VALU_DEP_1) | instskip(NEXT) | instid1(VALU_DEP_1)
	v_add_nc_u32_e32 v2, v1, v2
	v_lshrrev_b32_e32 v2, s50, v2
	s_delay_alu instid0(VALU_DEP_1) | instskip(NEXT) | instid1(VALU_DEP_1)
	v_mul_lo_u32 v2, v2, s48
	v_sub_nc_u32_e32 v1, v1, v2
	s_delay_alu instid0(VALU_DEP_1)
	v_mad_u32 v4, v1, s44, v4
	v_mad_u32 v6, v1, s45, v6
	;; [unrolled: 1-line block ×4, first 2 shown]
	s_branch .LBB101_53
.LBB101_51:
                                        ; implicit-def: $vgpr6
                                        ; implicit-def: $vgpr4
                                        ; implicit-def: $vgpr7
                                        ; implicit-def: $vgpr5
	s_branch .LBB101_54
.LBB101_52:
	v_dual_mov_b32 v6, 0 :: v_dual_mov_b32 v4, 0
	v_dual_mov_b32 v7, 0 :: v_dual_mov_b32 v5, 0
.LBB101_53:
	s_cbranch_execnz .LBB101_56
.LBB101_54:
	v_mov_b32_e32 v1, 0
	s_and_not1_b32 vcc_lo, exec_lo, s37
	s_delay_alu instid0(VALU_DEP_1) | instskip(NEXT) | instid1(VALU_DEP_1)
	v_mul_u64_e32 v[2:3], s[24:25], v[0:1]
	v_add_nc_u32_e32 v2, v0, v3
	s_delay_alu instid0(VALU_DEP_1) | instskip(NEXT) | instid1(VALU_DEP_1)
	v_lshrrev_b32_e32 v2, s18, v2
	v_mul_lo_u32 v3, v2, s16
	s_delay_alu instid0(VALU_DEP_1) | instskip(NEXT) | instid1(VALU_DEP_1)
	v_sub_nc_u32_e32 v3, v0, v3
	v_mul_lo_u32 v6, v3, s9
	v_mul_lo_u32 v4, v3, s8
	;; [unrolled: 1-line block ×4, first 2 shown]
	s_cbranch_vccnz .LBB101_56
; %bb.55:
	v_mov_b32_e32 v3, v1
	s_delay_alu instid0(VALU_DEP_1) | instskip(NEXT) | instid1(VALU_DEP_1)
	v_mul_u64_e32 v[8:9], s[26:27], v[2:3]
	v_add_nc_u32_e32 v1, v2, v9
	s_delay_alu instid0(VALU_DEP_1) | instskip(NEXT) | instid1(VALU_DEP_1)
	v_lshrrev_b32_e32 v1, s23, v1
	v_mul_lo_u32 v1, v1, s19
	s_delay_alu instid0(VALU_DEP_1) | instskip(NEXT) | instid1(VALU_DEP_1)
	v_sub_nc_u32_e32 v1, v2, v1
	v_mad_u32 v4, v1, s12, v4
	v_mad_u32 v6, v1, s13, v6
	;; [unrolled: 1-line block ×4, first 2 shown]
.LBB101_56:
	global_load_u8 v1, v6, s[2:3]
	global_load_u8 v2, v5, s[4:5]
	;; [unrolled: 1-line block ×3, first 2 shown]
	v_add_nc_u32_e32 v0, 0x80, v0
	s_wait_loadcnt 0x1
	v_max_u16 v1, v1, v2
	s_wait_loadcnt 0x0
	s_delay_alu instid0(VALU_DEP_1) | instskip(SKIP_3) | instid1(SALU_CYCLE_1)
	v_min_u16 v1, v1, v3
	global_store_b8 v4, v1, s[0:1]
	s_wait_xcnt 0x0
	s_or_b32 exec_lo, exec_lo, s17
	s_mov_b32 s17, exec_lo
	v_cmpx_gt_i32_e64 s39, v0
	s_cbranch_execz .LBB101_6
.LBB101_57:
	s_and_not1_b32 vcc_lo, exec_lo, s35
	s_cbranch_vccnz .LBB101_63
; %bb.58:
	s_and_not1_b32 vcc_lo, exec_lo, s40
	s_cbranch_vccnz .LBB101_64
; %bb.59:
	v_dual_mov_b32 v6, 0 :: v_dual_mov_b32 v1, v0
	v_dual_mov_b32 v7, 0 :: v_dual_mov_b32 v4, 0
	v_mov_b32_e32 v5, 0
	s_add_co_i32 s22, s38, 1
	s_mov_b64 s[28:29], 0xffffffffffffffe0
	s_and_b32 s22, s22, 30
	s_add_nc_u64 s[28:29], s[20:21], s[28:29]
	s_mov_b64 s[30:31], s[20:21]
.LBB101_60:                             ; =>This Inner Loop Header: Depth=1
	s_clause 0x1
	s_load_b128 s[52:55], s[30:31], 0x4
	s_load_b64 s[42:43], s[30:31], 0x14
	s_load_b256 s[44:51], s[28:29], 0xe4
	s_add_co_i32 s22, s22, -2
	s_wait_xcnt 0x0
	s_add_nc_u64 s[30:31], s[30:31], 24
	s_cmp_eq_u32 s22, 0
	s_add_nc_u64 s[28:29], s[28:29], 32
	s_wait_kmcnt 0x0
	v_mul_hi_u32 v2, s53, v1
	s_delay_alu instid0(VALU_DEP_1) | instskip(NEXT) | instid1(VALU_DEP_1)
	v_add_nc_u32_e32 v2, v1, v2
	v_lshrrev_b32_e32 v2, s54, v2
	s_delay_alu instid0(VALU_DEP_1) | instskip(SKIP_1) | instid1(VALU_DEP_1)
	v_mul_hi_u32 v3, s42, v2
	v_mul_lo_u32 v8, v2, s52
	v_dual_add_nc_u32 v3, v2, v3 :: v_dual_sub_nc_u32 v8, v1, v8
	s_delay_alu instid0(VALU_DEP_1) | instskip(NEXT) | instid1(VALU_DEP_2)
	v_lshrrev_b32_e32 v1, s43, v3
	v_mad_u32 v5, v8, s45, v5
	v_mad_u32 v4, v8, s44, v4
	;; [unrolled: 1-line block ×4, first 2 shown]
	v_mul_lo_u32 v3, v1, s55
	s_delay_alu instid0(VALU_DEP_1) | instskip(NEXT) | instid1(VALU_DEP_1)
	v_sub_nc_u32_e32 v2, v2, v3
	v_mad_u32 v5, v2, s49, v5
	v_mad_u32 v4, v2, s48, v4
	v_mad_u32 v7, v2, s51, v7
	v_mad_u32 v6, v2, s50, v6
	s_cbranch_scc0 .LBB101_60
; %bb.61:
	s_bitcmp1_b32 s38, 0
	s_cselect_b32 s22, -1, 0
	s_delay_alu instid0(SALU_CYCLE_1)
	s_and_b32 vcc_lo, exec_lo, s22
	s_cbranch_vccnz .LBB101_65
; %bb.62:
	s_load_b96 s[48:50], s[30:31], 0x4
	s_load_b128 s[44:47], s[28:29], 0xe4
	s_wait_kmcnt 0x0
	v_mul_hi_u32 v2, s49, v1
	s_delay_alu instid0(VALU_DEP_1) | instskip(NEXT) | instid1(VALU_DEP_1)
	v_add_nc_u32_e32 v2, v1, v2
	v_lshrrev_b32_e32 v2, s50, v2
	s_delay_alu instid0(VALU_DEP_1) | instskip(NEXT) | instid1(VALU_DEP_1)
	v_mul_lo_u32 v2, v2, s48
	v_sub_nc_u32_e32 v1, v1, v2
	s_delay_alu instid0(VALU_DEP_1)
	v_mad_u32 v4, v1, s44, v4
	v_mad_u32 v5, v1, s45, v5
	;; [unrolled: 1-line block ×4, first 2 shown]
	s_branch .LBB101_65
.LBB101_63:
                                        ; implicit-def: $vgpr5
                                        ; implicit-def: $vgpr4
                                        ; implicit-def: $vgpr7
                                        ; implicit-def: $vgpr6
	s_branch .LBB101_66
.LBB101_64:
	v_dual_mov_b32 v5, 0 :: v_dual_mov_b32 v4, 0
	v_dual_mov_b32 v7, 0 :: v_dual_mov_b32 v6, 0
.LBB101_65:
	s_cbranch_execnz .LBB101_68
.LBB101_66:
	v_mov_b32_e32 v1, 0
	s_and_not1_b32 vcc_lo, exec_lo, s37
	s_delay_alu instid0(VALU_DEP_1) | instskip(NEXT) | instid1(VALU_DEP_1)
	v_mul_u64_e32 v[2:3], s[24:25], v[0:1]
	v_add_nc_u32_e32 v2, v0, v3
	s_delay_alu instid0(VALU_DEP_1) | instskip(NEXT) | instid1(VALU_DEP_1)
	v_lshrrev_b32_e32 v2, s18, v2
	v_mul_lo_u32 v3, v2, s16
	s_delay_alu instid0(VALU_DEP_1) | instskip(NEXT) | instid1(VALU_DEP_1)
	v_sub_nc_u32_e32 v3, v0, v3
	v_mul_lo_u32 v5, v3, s9
	v_mul_lo_u32 v4, v3, s8
	;; [unrolled: 1-line block ×4, first 2 shown]
	s_cbranch_vccnz .LBB101_68
; %bb.67:
	v_mov_b32_e32 v3, v1
	s_delay_alu instid0(VALU_DEP_1) | instskip(NEXT) | instid1(VALU_DEP_1)
	v_mul_u64_e32 v[8:9], s[26:27], v[2:3]
	v_add_nc_u32_e32 v1, v2, v9
	s_delay_alu instid0(VALU_DEP_1) | instskip(NEXT) | instid1(VALU_DEP_1)
	v_lshrrev_b32_e32 v1, s23, v1
	v_mul_lo_u32 v1, v1, s19
	s_delay_alu instid0(VALU_DEP_1) | instskip(NEXT) | instid1(VALU_DEP_1)
	v_sub_nc_u32_e32 v1, v2, v1
	v_mad_u32 v4, v1, s12, v4
	v_mad_u32 v5, v1, s13, v5
	;; [unrolled: 1-line block ×4, first 2 shown]
.LBB101_68:
	global_load_u8 v1, v5, s[2:3]
	global_load_u8 v2, v6, s[4:5]
	;; [unrolled: 1-line block ×3, first 2 shown]
	v_add_nc_u32_e32 v0, 0x80, v0
	s_wait_loadcnt 0x1
	v_max_u16 v1, v1, v2
	s_wait_loadcnt 0x0
	s_delay_alu instid0(VALU_DEP_1) | instskip(SKIP_3) | instid1(SALU_CYCLE_1)
	v_min_u16 v1, v1, v3
	global_store_b8 v4, v1, s[0:1]
	s_wait_xcnt 0x0
	s_or_b32 exec_lo, exec_lo, s17
	s_mov_b32 s17, exec_lo
	v_cmpx_gt_i32_e64 s39, v0
	s_cbranch_execz .LBB101_7
.LBB101_69:
	s_and_not1_b32 vcc_lo, exec_lo, s35
	s_cbranch_vccnz .LBB101_75
; %bb.70:
	s_and_not1_b32 vcc_lo, exec_lo, s40
	s_cbranch_vccnz .LBB101_76
; %bb.71:
	v_dual_mov_b32 v6, 0 :: v_dual_mov_b32 v1, v0
	v_dual_mov_b32 v7, 0 :: v_dual_mov_b32 v4, 0
	v_mov_b32_e32 v5, 0
	s_add_co_i32 s22, s38, 1
	s_mov_b64 s[28:29], 0xffffffffffffffe0
	s_and_b32 s22, s22, 30
	s_add_nc_u64 s[28:29], s[20:21], s[28:29]
	s_mov_b64 s[30:31], s[20:21]
.LBB101_72:                             ; =>This Inner Loop Header: Depth=1
	s_clause 0x1
	s_load_b128 s[52:55], s[30:31], 0x4
	s_load_b64 s[42:43], s[30:31], 0x14
	s_load_b256 s[44:51], s[28:29], 0xe4
	s_add_co_i32 s22, s22, -2
	s_wait_xcnt 0x0
	s_add_nc_u64 s[30:31], s[30:31], 24
	s_cmp_eq_u32 s22, 0
	s_add_nc_u64 s[28:29], s[28:29], 32
	s_wait_kmcnt 0x0
	v_mul_hi_u32 v2, s53, v1
	s_delay_alu instid0(VALU_DEP_1) | instskip(NEXT) | instid1(VALU_DEP_1)
	v_add_nc_u32_e32 v2, v1, v2
	v_lshrrev_b32_e32 v2, s54, v2
	s_delay_alu instid0(VALU_DEP_1) | instskip(SKIP_1) | instid1(VALU_DEP_1)
	v_mul_hi_u32 v3, s42, v2
	v_mul_lo_u32 v8, v2, s52
	v_dual_add_nc_u32 v3, v2, v3 :: v_dual_sub_nc_u32 v8, v1, v8
	s_delay_alu instid0(VALU_DEP_1) | instskip(NEXT) | instid1(VALU_DEP_2)
	v_lshrrev_b32_e32 v1, s43, v3
	v_mad_u32 v5, v8, s45, v5
	v_mad_u32 v4, v8, s44, v4
	;; [unrolled: 1-line block ×4, first 2 shown]
	v_mul_lo_u32 v3, v1, s55
	s_delay_alu instid0(VALU_DEP_1) | instskip(NEXT) | instid1(VALU_DEP_1)
	v_sub_nc_u32_e32 v2, v2, v3
	v_mad_u32 v5, v2, s49, v5
	v_mad_u32 v4, v2, s48, v4
	v_mad_u32 v7, v2, s51, v7
	v_mad_u32 v6, v2, s50, v6
	s_cbranch_scc0 .LBB101_72
; %bb.73:
	s_bitcmp1_b32 s38, 0
	s_cselect_b32 s22, -1, 0
	s_delay_alu instid0(SALU_CYCLE_1)
	s_and_b32 vcc_lo, exec_lo, s22
	s_cbranch_vccnz .LBB101_77
; %bb.74:
	s_load_b96 s[48:50], s[30:31], 0x4
	s_load_b128 s[44:47], s[28:29], 0xe4
	s_wait_kmcnt 0x0
	v_mul_hi_u32 v2, s49, v1
	s_delay_alu instid0(VALU_DEP_1) | instskip(NEXT) | instid1(VALU_DEP_1)
	v_add_nc_u32_e32 v2, v1, v2
	v_lshrrev_b32_e32 v2, s50, v2
	s_delay_alu instid0(VALU_DEP_1) | instskip(NEXT) | instid1(VALU_DEP_1)
	v_mul_lo_u32 v2, v2, s48
	v_sub_nc_u32_e32 v1, v1, v2
	s_delay_alu instid0(VALU_DEP_1)
	v_mad_u32 v4, v1, s44, v4
	v_mad_u32 v5, v1, s45, v5
	;; [unrolled: 1-line block ×4, first 2 shown]
	s_branch .LBB101_77
.LBB101_75:
                                        ; implicit-def: $vgpr5
                                        ; implicit-def: $vgpr4
                                        ; implicit-def: $vgpr7
                                        ; implicit-def: $vgpr6
	s_branch .LBB101_78
.LBB101_76:
	v_dual_mov_b32 v5, 0 :: v_dual_mov_b32 v4, 0
	v_dual_mov_b32 v7, 0 :: v_dual_mov_b32 v6, 0
.LBB101_77:
	s_cbranch_execnz .LBB101_80
.LBB101_78:
	v_mov_b32_e32 v1, 0
	s_and_not1_b32 vcc_lo, exec_lo, s37
	s_delay_alu instid0(VALU_DEP_1) | instskip(NEXT) | instid1(VALU_DEP_1)
	v_mul_u64_e32 v[2:3], s[24:25], v[0:1]
	v_add_nc_u32_e32 v2, v0, v3
	s_delay_alu instid0(VALU_DEP_1) | instskip(NEXT) | instid1(VALU_DEP_1)
	v_lshrrev_b32_e32 v2, s18, v2
	v_mul_lo_u32 v3, v2, s16
	s_delay_alu instid0(VALU_DEP_1) | instskip(NEXT) | instid1(VALU_DEP_1)
	v_sub_nc_u32_e32 v3, v0, v3
	v_mul_lo_u32 v5, v3, s9
	v_mul_lo_u32 v4, v3, s8
	;; [unrolled: 1-line block ×4, first 2 shown]
	s_cbranch_vccnz .LBB101_80
; %bb.79:
	v_mov_b32_e32 v3, v1
	s_delay_alu instid0(VALU_DEP_1) | instskip(NEXT) | instid1(VALU_DEP_1)
	v_mul_u64_e32 v[8:9], s[26:27], v[2:3]
	v_add_nc_u32_e32 v1, v2, v9
	s_delay_alu instid0(VALU_DEP_1) | instskip(NEXT) | instid1(VALU_DEP_1)
	v_lshrrev_b32_e32 v1, s23, v1
	v_mul_lo_u32 v1, v1, s19
	s_delay_alu instid0(VALU_DEP_1) | instskip(NEXT) | instid1(VALU_DEP_1)
	v_sub_nc_u32_e32 v1, v2, v1
	v_mad_u32 v4, v1, s12, v4
	v_mad_u32 v5, v1, s13, v5
	;; [unrolled: 1-line block ×4, first 2 shown]
.LBB101_80:
	global_load_u8 v1, v5, s[2:3]
	global_load_u8 v2, v6, s[4:5]
	;; [unrolled: 1-line block ×3, first 2 shown]
	v_add_nc_u32_e32 v0, 0x80, v0
	s_wait_loadcnt 0x1
	v_max_u16 v1, v1, v2
	s_wait_loadcnt 0x0
	s_delay_alu instid0(VALU_DEP_1) | instskip(SKIP_3) | instid1(SALU_CYCLE_1)
	v_min_u16 v1, v1, v3
	global_store_b8 v4, v1, s[0:1]
	s_wait_xcnt 0x0
	s_or_b32 exec_lo, exec_lo, s17
	s_mov_b32 s17, exec_lo
	v_cmpx_gt_i32_e64 s39, v0
	s_cbranch_execz .LBB101_8
.LBB101_81:
	s_and_not1_b32 vcc_lo, exec_lo, s35
	s_cbranch_vccnz .LBB101_87
; %bb.82:
	s_and_not1_b32 vcc_lo, exec_lo, s40
	s_cbranch_vccnz .LBB101_88
; %bb.83:
	v_dual_mov_b32 v5, 0 :: v_dual_mov_b32 v1, v0
	v_dual_mov_b32 v7, 0 :: v_dual_mov_b32 v4, 0
	v_mov_b32_e32 v6, 0
	s_add_co_i32 s22, s38, 1
	s_mov_b64 s[28:29], 0xffffffffffffffe0
	s_and_b32 s22, s22, 30
	s_add_nc_u64 s[28:29], s[20:21], s[28:29]
	s_mov_b64 s[30:31], s[20:21]
.LBB101_84:                             ; =>This Inner Loop Header: Depth=1
	s_clause 0x1
	s_load_b128 s[52:55], s[30:31], 0x4
	s_load_b64 s[42:43], s[30:31], 0x14
	s_load_b256 s[44:51], s[28:29], 0xe4
	s_add_co_i32 s22, s22, -2
	s_wait_xcnt 0x0
	s_add_nc_u64 s[30:31], s[30:31], 24
	s_cmp_eq_u32 s22, 0
	s_add_nc_u64 s[28:29], s[28:29], 32
	s_wait_kmcnt 0x0
	v_mul_hi_u32 v2, s53, v1
	s_delay_alu instid0(VALU_DEP_1) | instskip(NEXT) | instid1(VALU_DEP_1)
	v_add_nc_u32_e32 v2, v1, v2
	v_lshrrev_b32_e32 v2, s54, v2
	s_delay_alu instid0(VALU_DEP_1) | instskip(SKIP_1) | instid1(VALU_DEP_1)
	v_mul_hi_u32 v3, s42, v2
	v_mul_lo_u32 v8, v2, s52
	v_dual_add_nc_u32 v3, v2, v3 :: v_dual_sub_nc_u32 v8, v1, v8
	s_delay_alu instid0(VALU_DEP_1) | instskip(NEXT) | instid1(VALU_DEP_2)
	v_lshrrev_b32_e32 v1, s43, v3
	v_mad_u32 v6, v8, s45, v6
	v_mad_u32 v4, v8, s44, v4
	v_mad_u32 v7, v8, s47, v7
	v_mad_u32 v5, v8, s46, v5
	v_mul_lo_u32 v3, v1, s55
	s_delay_alu instid0(VALU_DEP_1) | instskip(NEXT) | instid1(VALU_DEP_1)
	v_sub_nc_u32_e32 v2, v2, v3
	v_mad_u32 v6, v2, s49, v6
	v_mad_u32 v4, v2, s48, v4
	;; [unrolled: 1-line block ×4, first 2 shown]
	s_cbranch_scc0 .LBB101_84
; %bb.85:
	s_bitcmp1_b32 s38, 0
	s_cselect_b32 s22, -1, 0
	s_delay_alu instid0(SALU_CYCLE_1)
	s_and_b32 vcc_lo, exec_lo, s22
	s_cbranch_vccnz .LBB101_89
; %bb.86:
	s_load_b96 s[48:50], s[30:31], 0x4
	s_load_b128 s[44:47], s[28:29], 0xe4
	s_wait_kmcnt 0x0
	v_mul_hi_u32 v2, s49, v1
	s_delay_alu instid0(VALU_DEP_1) | instskip(NEXT) | instid1(VALU_DEP_1)
	v_add_nc_u32_e32 v2, v1, v2
	v_lshrrev_b32_e32 v2, s50, v2
	s_delay_alu instid0(VALU_DEP_1) | instskip(NEXT) | instid1(VALU_DEP_1)
	v_mul_lo_u32 v2, v2, s48
	v_sub_nc_u32_e32 v1, v1, v2
	s_delay_alu instid0(VALU_DEP_1)
	v_mad_u32 v4, v1, s44, v4
	v_mad_u32 v6, v1, s45, v6
	;; [unrolled: 1-line block ×4, first 2 shown]
	s_branch .LBB101_89
.LBB101_87:
                                        ; implicit-def: $vgpr6
                                        ; implicit-def: $vgpr4
                                        ; implicit-def: $vgpr7
                                        ; implicit-def: $vgpr5
	s_branch .LBB101_90
.LBB101_88:
	v_dual_mov_b32 v6, 0 :: v_dual_mov_b32 v4, 0
	v_dual_mov_b32 v7, 0 :: v_dual_mov_b32 v5, 0
.LBB101_89:
	s_cbranch_execnz .LBB101_92
.LBB101_90:
	v_mov_b32_e32 v1, 0
	s_and_not1_b32 vcc_lo, exec_lo, s37
	s_delay_alu instid0(VALU_DEP_1) | instskip(NEXT) | instid1(VALU_DEP_1)
	v_mul_u64_e32 v[2:3], s[24:25], v[0:1]
	v_add_nc_u32_e32 v2, v0, v3
	s_delay_alu instid0(VALU_DEP_1) | instskip(NEXT) | instid1(VALU_DEP_1)
	v_lshrrev_b32_e32 v2, s18, v2
	v_mul_lo_u32 v3, v2, s16
	s_delay_alu instid0(VALU_DEP_1) | instskip(NEXT) | instid1(VALU_DEP_1)
	v_sub_nc_u32_e32 v3, v0, v3
	v_mul_lo_u32 v6, v3, s9
	v_mul_lo_u32 v4, v3, s8
	;; [unrolled: 1-line block ×4, first 2 shown]
	s_cbranch_vccnz .LBB101_92
; %bb.91:
	v_mov_b32_e32 v3, v1
	s_delay_alu instid0(VALU_DEP_1) | instskip(NEXT) | instid1(VALU_DEP_1)
	v_mul_u64_e32 v[8:9], s[26:27], v[2:3]
	v_add_nc_u32_e32 v1, v2, v9
	s_delay_alu instid0(VALU_DEP_1) | instskip(NEXT) | instid1(VALU_DEP_1)
	v_lshrrev_b32_e32 v1, s23, v1
	v_mul_lo_u32 v1, v1, s19
	s_delay_alu instid0(VALU_DEP_1) | instskip(NEXT) | instid1(VALU_DEP_1)
	v_sub_nc_u32_e32 v1, v2, v1
	v_mad_u32 v4, v1, s12, v4
	v_mad_u32 v6, v1, s13, v6
	;; [unrolled: 1-line block ×4, first 2 shown]
.LBB101_92:
	global_load_u8 v1, v6, s[2:3]
	global_load_u8 v2, v5, s[4:5]
	;; [unrolled: 1-line block ×3, first 2 shown]
	v_add_nc_u32_e32 v0, 0x80, v0
	s_wait_loadcnt 0x1
	v_max_u16 v1, v1, v2
	s_wait_loadcnt 0x0
	s_delay_alu instid0(VALU_DEP_1) | instskip(SKIP_3) | instid1(SALU_CYCLE_1)
	v_min_u16 v1, v1, v3
	global_store_b8 v4, v1, s[0:1]
	s_wait_xcnt 0x0
	s_or_b32 exec_lo, exec_lo, s17
	s_mov_b32 s17, exec_lo
	v_cmpx_gt_i32_e64 s39, v0
	s_cbranch_execz .LBB101_105
.LBB101_93:
	s_and_not1_b32 vcc_lo, exec_lo, s35
	s_cbranch_vccnz .LBB101_99
; %bb.94:
	s_and_not1_b32 vcc_lo, exec_lo, s40
	s_cbranch_vccnz .LBB101_100
; %bb.95:
	v_dual_mov_b32 v5, 0 :: v_dual_mov_b32 v1, v0
	v_dual_mov_b32 v7, 0 :: v_dual_mov_b32 v4, 0
	v_mov_b32_e32 v6, 0
	s_add_co_i32 s22, s38, 1
	s_mov_b64 s[28:29], 0xffffffffffffffe0
	s_and_b32 s22, s22, 30
	s_add_nc_u64 s[28:29], s[20:21], s[28:29]
	s_mov_b64 s[30:31], s[20:21]
.LBB101_96:                             ; =>This Inner Loop Header: Depth=1
	s_clause 0x1
	s_load_b128 s[48:51], s[30:31], 0x4
	s_load_b64 s[52:53], s[30:31], 0x14
	s_load_b256 s[40:47], s[28:29], 0xe4
	s_add_co_i32 s22, s22, -2
	s_wait_xcnt 0x0
	s_add_nc_u64 s[30:31], s[30:31], 24
	s_cmp_eq_u32 s22, 0
	s_add_nc_u64 s[28:29], s[28:29], 32
	s_wait_kmcnt 0x0
	v_mul_hi_u32 v2, s49, v1
	s_delay_alu instid0(VALU_DEP_1) | instskip(NEXT) | instid1(VALU_DEP_1)
	v_add_nc_u32_e32 v2, v1, v2
	v_lshrrev_b32_e32 v2, s50, v2
	s_delay_alu instid0(VALU_DEP_1) | instskip(SKIP_1) | instid1(VALU_DEP_1)
	v_mul_hi_u32 v3, s52, v2
	v_mul_lo_u32 v8, v2, s48
	v_dual_add_nc_u32 v3, v2, v3 :: v_dual_sub_nc_u32 v8, v1, v8
	s_delay_alu instid0(VALU_DEP_1) | instskip(NEXT) | instid1(VALU_DEP_2)
	v_lshrrev_b32_e32 v1, s53, v3
	v_mad_u32 v6, v8, s41, v6
	v_mad_u32 v4, v8, s40, v4
	;; [unrolled: 1-line block ×4, first 2 shown]
	v_mul_lo_u32 v3, v1, s51
	s_delay_alu instid0(VALU_DEP_1) | instskip(NEXT) | instid1(VALU_DEP_1)
	v_sub_nc_u32_e32 v2, v2, v3
	v_mad_u32 v6, v2, s45, v6
	v_mad_u32 v4, v2, s44, v4
	;; [unrolled: 1-line block ×4, first 2 shown]
	s_cbranch_scc0 .LBB101_96
; %bb.97:
	s_bitcmp1_b32 s38, 0
	s_cselect_b32 s22, -1, 0
	s_delay_alu instid0(SALU_CYCLE_1)
	s_and_b32 vcc_lo, exec_lo, s22
	s_cbranch_vccnz .LBB101_101
; %bb.98:
	s_load_b96 s[44:46], s[30:31], 0x4
	s_load_b128 s[40:43], s[28:29], 0xe4
	s_wait_kmcnt 0x0
	v_mul_hi_u32 v2, s45, v1
	s_delay_alu instid0(VALU_DEP_1) | instskip(NEXT) | instid1(VALU_DEP_1)
	v_add_nc_u32_e32 v2, v1, v2
	v_lshrrev_b32_e32 v2, s46, v2
	s_delay_alu instid0(VALU_DEP_1) | instskip(NEXT) | instid1(VALU_DEP_1)
	v_mul_lo_u32 v2, v2, s44
	v_sub_nc_u32_e32 v1, v1, v2
	s_delay_alu instid0(VALU_DEP_1)
	v_mad_u32 v4, v1, s40, v4
	v_mad_u32 v6, v1, s41, v6
	;; [unrolled: 1-line block ×4, first 2 shown]
	s_branch .LBB101_101
.LBB101_99:
                                        ; implicit-def: $vgpr6
                                        ; implicit-def: $vgpr4
                                        ; implicit-def: $vgpr7
                                        ; implicit-def: $vgpr5
	s_branch .LBB101_102
.LBB101_100:
	v_dual_mov_b32 v6, 0 :: v_dual_mov_b32 v4, 0
	v_dual_mov_b32 v7, 0 :: v_dual_mov_b32 v5, 0
.LBB101_101:
	s_cbranch_execnz .LBB101_104
.LBB101_102:
	v_mov_b32_e32 v1, 0
	s_and_not1_b32 vcc_lo, exec_lo, s37
	s_delay_alu instid0(VALU_DEP_1) | instskip(NEXT) | instid1(VALU_DEP_1)
	v_mul_u64_e32 v[2:3], s[24:25], v[0:1]
	v_add_nc_u32_e32 v2, v0, v3
	s_delay_alu instid0(VALU_DEP_1) | instskip(NEXT) | instid1(VALU_DEP_1)
	v_lshrrev_b32_e32 v2, s18, v2
	v_mul_lo_u32 v3, v2, s16
	s_delay_alu instid0(VALU_DEP_1) | instskip(NEXT) | instid1(VALU_DEP_1)
	v_sub_nc_u32_e32 v0, v0, v3
	v_mul_lo_u32 v6, v0, s9
	v_mul_lo_u32 v4, v0, s8
	;; [unrolled: 1-line block ×4, first 2 shown]
	s_cbranch_vccnz .LBB101_104
; %bb.103:
	v_mov_b32_e32 v3, v1
	s_delay_alu instid0(VALU_DEP_1) | instskip(NEXT) | instid1(VALU_DEP_1)
	v_mul_u64_e32 v[0:1], s[26:27], v[2:3]
	v_add_nc_u32_e32 v0, v2, v1
	s_delay_alu instid0(VALU_DEP_1) | instskip(NEXT) | instid1(VALU_DEP_1)
	v_lshrrev_b32_e32 v0, s23, v0
	v_mul_lo_u32 v0, v0, s19
	s_delay_alu instid0(VALU_DEP_1) | instskip(NEXT) | instid1(VALU_DEP_1)
	v_sub_nc_u32_e32 v0, v2, v0
	v_mad_u32 v4, v0, s12, v4
	v_mad_u32 v6, v0, s13, v6
	;; [unrolled: 1-line block ×4, first 2 shown]
.LBB101_104:
	global_load_u8 v0, v6, s[2:3]
	global_load_u8 v1, v5, s[4:5]
	;; [unrolled: 1-line block ×3, first 2 shown]
	s_wait_loadcnt 0x1
	v_max_u16 v0, v0, v1
	s_wait_loadcnt 0x0
	s_delay_alu instid0(VALU_DEP_1)
	v_min_u16 v0, v0, v2
	global_store_b8 v4, v0, s[0:1]
.LBB101_105:
	s_wait_xcnt 0x0
	s_or_b32 exec_lo, exec_lo, s17
                                        ; implicit-def: $vgpr5
                                        ; implicit-def: $vgpr0
.LBB101_106:
	s_and_not1_saveexec_b32 s0, s36
	s_cbranch_execz .LBB101_113
; %bb.107:
	v_cndmask_b32_e64 v10, 0, 1, s35
	s_and_not1_b32 vcc_lo, exec_lo, s35
	s_cbranch_vccnz .LBB101_114
; %bb.108:
	s_cmp_lg_u32 s33, 0
	s_mov_b32 s4, 0
	s_cbranch_scc0 .LBB101_118
; %bb.109:
	s_min_u32 s5, s34, 15
	v_dual_mov_b32 v4, 0 :: v_dual_mov_b32 v6, v0
	v_dual_mov_b32 v2, 0 :: v_dual_mov_b32 v1, 0
	v_mov_b32_e32 v3, 0
	s_add_co_i32 s2, s5, 1
	s_mov_b64 s[0:1], 0xffffffffffffffe0
	s_and_b32 s6, s2, 30
	s_add_nc_u64 s[0:1], s[20:21], s[0:1]
	s_mov_b64 s[2:3], s[20:21]
.LBB101_110:                            ; =>This Inner Loop Header: Depth=1
	s_clause 0x1
	s_load_b128 s[16:19], s[2:3], 0x4
	s_load_b64 s[22:23], s[2:3], 0x14
	s_load_b256 s[8:15], s[0:1], 0xe4
	s_add_co_i32 s6, s6, -2
	s_wait_xcnt 0x0
	s_add_nc_u64 s[2:3], s[2:3], 24
	s_cmp_lg_u32 s6, 0
	s_add_nc_u64 s[0:1], s[0:1], 32
	s_wait_kmcnt 0x0
	v_mul_hi_u32 v7, s17, v6
	s_delay_alu instid0(VALU_DEP_1) | instskip(NEXT) | instid1(VALU_DEP_1)
	v_add_nc_u32_e32 v7, v6, v7
	v_lshrrev_b32_e32 v7, s18, v7
	s_delay_alu instid0(VALU_DEP_1) | instskip(SKIP_1) | instid1(VALU_DEP_1)
	v_mul_hi_u32 v8, s22, v7
	v_mul_lo_u32 v9, v7, s16
	v_dual_add_nc_u32 v8, v7, v8 :: v_dual_sub_nc_u32 v9, v6, v9
	s_delay_alu instid0(VALU_DEP_1) | instskip(NEXT) | instid1(VALU_DEP_2)
	v_lshrrev_b32_e32 v6, s23, v8
	v_mad_u32 v3, v9, s9, v3
	v_mad_u32 v1, v9, s8, v1
	;; [unrolled: 1-line block ×4, first 2 shown]
	v_mul_lo_u32 v8, v6, s19
	s_delay_alu instid0(VALU_DEP_1) | instskip(NEXT) | instid1(VALU_DEP_1)
	v_sub_nc_u32_e32 v7, v7, v8
	v_mad_u32 v3, v7, s13, v3
	v_mad_u32 v1, v7, s12, v1
	;; [unrolled: 1-line block ×4, first 2 shown]
	s_cbranch_scc1 .LBB101_110
; %bb.111:
	s_bitcmp1_b32 s5, 0
	s_cselect_b32 s5, -1, 0
	s_delay_alu instid0(SALU_CYCLE_1)
	s_and_b32 vcc_lo, exec_lo, s5
	s_cbranch_vccnz .LBB101_115
; %bb.112:
	s_load_b96 s[12:14], s[2:3], 0x4
	s_load_b128 s[8:11], s[0:1], 0xe4
	s_wait_kmcnt 0x0
	v_mul_hi_u32 v7, s13, v6
	s_delay_alu instid0(VALU_DEP_1) | instskip(NEXT) | instid1(VALU_DEP_1)
	v_add_nc_u32_e32 v7, v6, v7
	v_lshrrev_b32_e32 v7, s14, v7
	s_delay_alu instid0(VALU_DEP_1) | instskip(NEXT) | instid1(VALU_DEP_1)
	v_mul_lo_u32 v7, v7, s12
	v_sub_nc_u32_e32 v6, v6, v7
	s_delay_alu instid0(VALU_DEP_1)
	v_mad_u32 v1, v6, s8, v1
	v_mad_u32 v3, v6, s9, v3
	;; [unrolled: 1-line block ×4, first 2 shown]
	s_and_not1_b32 vcc_lo, exec_lo, s4
	s_cbranch_vccz .LBB101_116
	s_branch .LBB101_119
.LBB101_113:
	s_endpgm
.LBB101_114:
	s_mov_b32 s4, -1
                                        ; implicit-def: $vgpr3
                                        ; implicit-def: $vgpr1
                                        ; implicit-def: $vgpr2
                                        ; implicit-def: $vgpr4
.LBB101_115:
	s_delay_alu instid0(SALU_CYCLE_1)
	s_and_not1_b32 vcc_lo, exec_lo, s4
	s_cbranch_vccnz .LBB101_119
.LBB101_116:
	s_clause 0x1
	s_load_b96 s[4:6], s[20:21], 0x4
	s_load_b128 s[0:3], s[20:21], 0xc4
	s_cmp_lt_u32 s33, 2
	s_wait_kmcnt 0x0
	v_mul_hi_u32 v1, s5, v0
	s_delay_alu instid0(VALU_DEP_1) | instskip(NEXT) | instid1(VALU_DEP_1)
	v_add_nc_u32_e32 v1, v0, v1
	v_lshrrev_b32_e32 v6, s6, v1
	s_delay_alu instid0(VALU_DEP_1) | instskip(NEXT) | instid1(VALU_DEP_1)
	v_mul_lo_u32 v1, v6, s4
	v_sub_nc_u32_e32 v4, v0, v1
	s_delay_alu instid0(VALU_DEP_1)
	v_mul_lo_u32 v3, v4, s1
	v_mul_lo_u32 v1, v4, s0
	;; [unrolled: 1-line block ×4, first 2 shown]
	s_cbranch_scc1 .LBB101_119
; %bb.117:
	s_clause 0x1
	s_load_b96 s[4:6], s[20:21], 0x10
	s_load_b128 s[0:3], s[20:21], 0xd4
	s_wait_kmcnt 0x0
	v_mul_hi_u32 v7, s5, v6
	s_delay_alu instid0(VALU_DEP_1) | instskip(NEXT) | instid1(VALU_DEP_1)
	v_add_nc_u32_e32 v7, v6, v7
	v_lshrrev_b32_e32 v7, s6, v7
	s_delay_alu instid0(VALU_DEP_1) | instskip(NEXT) | instid1(VALU_DEP_1)
	v_mul_lo_u32 v7, v7, s4
	v_sub_nc_u32_e32 v6, v6, v7
	s_delay_alu instid0(VALU_DEP_1)
	v_mad_u32 v1, v6, s0, v1
	v_mad_u32 v3, v6, s1, v3
	;; [unrolled: 1-line block ×4, first 2 shown]
	s_branch .LBB101_119
.LBB101_118:
	v_dual_mov_b32 v3, 0 :: v_dual_mov_b32 v1, 0
	v_dual_mov_b32 v2, 0 :: v_dual_mov_b32 v4, 0
	s_and_not1_b32 vcc_lo, exec_lo, s4
	s_cbranch_vccz .LBB101_116
.LBB101_119:
	v_cmp_ne_u32_e32 vcc_lo, 1, v10
	v_add_nc_u32_e32 v11, 0x80, v0
	s_cbranch_vccnz .LBB101_125
; %bb.120:
	s_cmp_lg_u32 s33, 0
	s_mov_b32 s4, 0
	s_cbranch_scc0 .LBB101_129
; %bb.121:
	s_min_u32 s5, s34, 15
	v_dual_mov_b32 v8, 0 :: v_dual_mov_b32 v12, v11
	v_dual_mov_b32 v7, 0 :: v_dual_mov_b32 v6, 0
	v_mov_b32_e32 v9, 0
	s_add_co_i32 s2, s5, 1
	s_mov_b64 s[0:1], 0xffffffffffffffe0
	s_and_b32 s6, s2, 30
	s_add_nc_u64 s[0:1], s[20:21], s[0:1]
	s_mov_b64 s[2:3], s[20:21]
.LBB101_122:                            ; =>This Inner Loop Header: Depth=1
	s_clause 0x1
	s_load_b128 s[16:19], s[2:3], 0x4
	s_load_b64 s[22:23], s[2:3], 0x14
	s_load_b256 s[8:15], s[0:1], 0xe4
	s_add_co_i32 s6, s6, -2
	s_wait_xcnt 0x0
	s_add_nc_u64 s[2:3], s[2:3], 24
	s_cmp_lg_u32 s6, 0
	s_add_nc_u64 s[0:1], s[0:1], 32
	s_wait_kmcnt 0x0
	v_mul_hi_u32 v13, s17, v12
	s_delay_alu instid0(VALU_DEP_1) | instskip(NEXT) | instid1(VALU_DEP_1)
	v_add_nc_u32_e32 v13, v12, v13
	v_lshrrev_b32_e32 v13, s18, v13
	s_delay_alu instid0(VALU_DEP_1) | instskip(SKIP_1) | instid1(VALU_DEP_1)
	v_mul_hi_u32 v14, s22, v13
	v_mul_lo_u32 v15, v13, s16
	v_dual_add_nc_u32 v14, v13, v14 :: v_dual_sub_nc_u32 v15, v12, v15
	s_delay_alu instid0(VALU_DEP_1) | instskip(NEXT) | instid1(VALU_DEP_2)
	v_lshrrev_b32_e32 v12, s23, v14
	v_mad_u32 v9, v15, s9, v9
	v_mad_u32 v6, v15, s8, v6
	;; [unrolled: 1-line block ×4, first 2 shown]
	v_mul_lo_u32 v14, v12, s19
	s_delay_alu instid0(VALU_DEP_1) | instskip(NEXT) | instid1(VALU_DEP_1)
	v_sub_nc_u32_e32 v13, v13, v14
	v_mad_u32 v9, v13, s13, v9
	v_mad_u32 v6, v13, s12, v6
	;; [unrolled: 1-line block ×4, first 2 shown]
	s_cbranch_scc1 .LBB101_122
; %bb.123:
	s_bitcmp1_b32 s5, 0
	s_cselect_b32 s5, -1, 0
	s_delay_alu instid0(SALU_CYCLE_1)
	s_and_b32 vcc_lo, exec_lo, s5
	s_cbranch_vccnz .LBB101_126
; %bb.124:
	s_load_b96 s[12:14], s[2:3], 0x4
	s_load_b128 s[8:11], s[0:1], 0xe4
	s_wait_kmcnt 0x0
	v_mul_hi_u32 v13, s13, v12
	s_delay_alu instid0(VALU_DEP_1) | instskip(NEXT) | instid1(VALU_DEP_1)
	v_add_nc_u32_e32 v13, v12, v13
	v_lshrrev_b32_e32 v13, s14, v13
	s_delay_alu instid0(VALU_DEP_1) | instskip(NEXT) | instid1(VALU_DEP_1)
	v_mul_lo_u32 v13, v13, s12
	v_sub_nc_u32_e32 v12, v12, v13
	s_delay_alu instid0(VALU_DEP_1)
	v_mad_u32 v6, v12, s8, v6
	v_mad_u32 v9, v12, s9, v9
	v_mad_u32 v8, v12, s10, v8
	v_mad_u32 v7, v12, s11, v7
	s_and_not1_b32 vcc_lo, exec_lo, s4
	s_cbranch_vccz .LBB101_127
	s_branch .LBB101_130
.LBB101_125:
	s_mov_b32 s4, -1
                                        ; implicit-def: $vgpr9
                                        ; implicit-def: $vgpr6
                                        ; implicit-def: $vgpr7
                                        ; implicit-def: $vgpr8
.LBB101_126:
	s_delay_alu instid0(SALU_CYCLE_1)
	s_and_not1_b32 vcc_lo, exec_lo, s4
	s_cbranch_vccnz .LBB101_130
.LBB101_127:
	s_clause 0x1
	s_load_b96 s[4:6], s[20:21], 0x4
	s_load_b128 s[0:3], s[20:21], 0xc4
	s_cmp_lt_u32 s33, 2
	s_wait_kmcnt 0x0
	v_mul_hi_u32 v6, s5, v11
	s_delay_alu instid0(VALU_DEP_1) | instskip(NEXT) | instid1(VALU_DEP_1)
	v_add_nc_u32_e32 v6, v11, v6
	v_lshrrev_b32_e32 v12, s6, v6
	s_delay_alu instid0(VALU_DEP_1) | instskip(NEXT) | instid1(VALU_DEP_1)
	v_mul_lo_u32 v6, v12, s4
	v_sub_nc_u32_e32 v8, v11, v6
	s_delay_alu instid0(VALU_DEP_1)
	v_mul_lo_u32 v9, v8, s1
	v_mul_lo_u32 v6, v8, s0
	;; [unrolled: 1-line block ×4, first 2 shown]
	s_cbranch_scc1 .LBB101_130
; %bb.128:
	s_clause 0x1
	s_load_b96 s[4:6], s[20:21], 0x10
	s_load_b128 s[0:3], s[20:21], 0xd4
	s_wait_kmcnt 0x0
	v_mul_hi_u32 v11, s5, v12
	s_delay_alu instid0(VALU_DEP_1) | instskip(NEXT) | instid1(VALU_DEP_1)
	v_add_nc_u32_e32 v11, v12, v11
	v_lshrrev_b32_e32 v11, s6, v11
	s_delay_alu instid0(VALU_DEP_1) | instskip(NEXT) | instid1(VALU_DEP_1)
	v_mul_lo_u32 v11, v11, s4
	v_sub_nc_u32_e32 v11, v12, v11
	s_delay_alu instid0(VALU_DEP_1)
	v_mad_u32 v6, v11, s0, v6
	v_mad_u32 v9, v11, s1, v9
	v_mad_u32 v8, v11, s2, v8
	v_mad_u32 v7, v11, s3, v7
	s_branch .LBB101_130
.LBB101_129:
	v_dual_mov_b32 v9, 0 :: v_dual_mov_b32 v6, 0
	v_dual_mov_b32 v7, 0 :: v_dual_mov_b32 v8, 0
	s_and_not1_b32 vcc_lo, exec_lo, s4
	s_cbranch_vccz .LBB101_127
.LBB101_130:
	v_cmp_ne_u32_e32 vcc_lo, 1, v10
	v_add_nc_u32_e32 v15, 0x100, v0
	s_cbranch_vccnz .LBB101_136
; %bb.131:
	s_cmp_lg_u32 s33, 0
	s_mov_b32 s4, 0
	s_cbranch_scc0 .LBB101_140
; %bb.132:
	s_min_u32 s5, s34, 15
	v_dual_mov_b32 v14, 0 :: v_dual_mov_b32 v16, v15
	v_dual_mov_b32 v12, 0 :: v_dual_mov_b32 v11, 0
	v_mov_b32_e32 v13, 0
	s_add_co_i32 s2, s5, 1
	s_mov_b64 s[0:1], 0xffffffffffffffe0
	s_and_b32 s6, s2, 30
	s_add_nc_u64 s[0:1], s[20:21], s[0:1]
	s_mov_b64 s[2:3], s[20:21]
.LBB101_133:                            ; =>This Inner Loop Header: Depth=1
	s_clause 0x1
	s_load_b128 s[16:19], s[2:3], 0x4
	s_load_b64 s[22:23], s[2:3], 0x14
	s_load_b256 s[8:15], s[0:1], 0xe4
	s_add_co_i32 s6, s6, -2
	s_wait_xcnt 0x0
	s_add_nc_u64 s[2:3], s[2:3], 24
	s_cmp_lg_u32 s6, 0
	s_add_nc_u64 s[0:1], s[0:1], 32
	s_wait_kmcnt 0x0
	v_mul_hi_u32 v17, s17, v16
	s_delay_alu instid0(VALU_DEP_1) | instskip(NEXT) | instid1(VALU_DEP_1)
	v_add_nc_u32_e32 v17, v16, v17
	v_lshrrev_b32_e32 v17, s18, v17
	s_delay_alu instid0(VALU_DEP_1) | instskip(SKIP_1) | instid1(VALU_DEP_1)
	v_mul_hi_u32 v18, s22, v17
	v_mul_lo_u32 v19, v17, s16
	v_dual_add_nc_u32 v18, v17, v18 :: v_dual_sub_nc_u32 v19, v16, v19
	s_delay_alu instid0(VALU_DEP_1) | instskip(NEXT) | instid1(VALU_DEP_2)
	v_lshrrev_b32_e32 v16, s23, v18
	v_mad_u32 v13, v19, s9, v13
	v_mad_u32 v11, v19, s8, v11
	;; [unrolled: 1-line block ×4, first 2 shown]
	v_mul_lo_u32 v18, v16, s19
	s_delay_alu instid0(VALU_DEP_1) | instskip(NEXT) | instid1(VALU_DEP_1)
	v_sub_nc_u32_e32 v17, v17, v18
	v_mad_u32 v13, v17, s13, v13
	v_mad_u32 v11, v17, s12, v11
	;; [unrolled: 1-line block ×4, first 2 shown]
	s_cbranch_scc1 .LBB101_133
; %bb.134:
	s_bitcmp1_b32 s5, 0
	s_cselect_b32 s5, -1, 0
	s_delay_alu instid0(SALU_CYCLE_1)
	s_and_b32 vcc_lo, exec_lo, s5
	s_cbranch_vccnz .LBB101_137
; %bb.135:
	s_load_b96 s[12:14], s[2:3], 0x4
	s_load_b128 s[8:11], s[0:1], 0xe4
	s_wait_kmcnt 0x0
	v_mul_hi_u32 v17, s13, v16
	s_delay_alu instid0(VALU_DEP_1) | instskip(NEXT) | instid1(VALU_DEP_1)
	v_add_nc_u32_e32 v17, v16, v17
	v_lshrrev_b32_e32 v17, s14, v17
	s_delay_alu instid0(VALU_DEP_1) | instskip(NEXT) | instid1(VALU_DEP_1)
	v_mul_lo_u32 v17, v17, s12
	v_sub_nc_u32_e32 v16, v16, v17
	s_delay_alu instid0(VALU_DEP_1)
	v_mad_u32 v11, v16, s8, v11
	v_mad_u32 v13, v16, s9, v13
	;; [unrolled: 1-line block ×4, first 2 shown]
	s_and_not1_b32 vcc_lo, exec_lo, s4
	s_cbranch_vccz .LBB101_138
	s_branch .LBB101_141
.LBB101_136:
	s_mov_b32 s4, -1
                                        ; implicit-def: $vgpr13
                                        ; implicit-def: $vgpr11
                                        ; implicit-def: $vgpr12
                                        ; implicit-def: $vgpr14
.LBB101_137:
	s_delay_alu instid0(SALU_CYCLE_1)
	s_and_not1_b32 vcc_lo, exec_lo, s4
	s_cbranch_vccnz .LBB101_141
.LBB101_138:
	s_clause 0x1
	s_load_b96 s[4:6], s[20:21], 0x4
	s_load_b128 s[0:3], s[20:21], 0xc4
	s_cmp_lt_u32 s33, 2
	s_wait_kmcnt 0x0
	v_mul_hi_u32 v11, s5, v15
	s_delay_alu instid0(VALU_DEP_1) | instskip(NEXT) | instid1(VALU_DEP_1)
	v_add_nc_u32_e32 v11, v15, v11
	v_lshrrev_b32_e32 v16, s6, v11
	s_delay_alu instid0(VALU_DEP_1) | instskip(NEXT) | instid1(VALU_DEP_1)
	v_mul_lo_u32 v11, v16, s4
	v_sub_nc_u32_e32 v14, v15, v11
	s_delay_alu instid0(VALU_DEP_1)
	v_mul_lo_u32 v13, v14, s1
	v_mul_lo_u32 v11, v14, s0
	;; [unrolled: 1-line block ×4, first 2 shown]
	s_cbranch_scc1 .LBB101_141
; %bb.139:
	s_clause 0x1
	s_load_b96 s[4:6], s[20:21], 0x10
	s_load_b128 s[0:3], s[20:21], 0xd4
	s_wait_kmcnt 0x0
	v_mul_hi_u32 v15, s5, v16
	s_delay_alu instid0(VALU_DEP_1) | instskip(NEXT) | instid1(VALU_DEP_1)
	v_add_nc_u32_e32 v15, v16, v15
	v_lshrrev_b32_e32 v15, s6, v15
	s_delay_alu instid0(VALU_DEP_1) | instskip(NEXT) | instid1(VALU_DEP_1)
	v_mul_lo_u32 v15, v15, s4
	v_sub_nc_u32_e32 v15, v16, v15
	s_delay_alu instid0(VALU_DEP_1)
	v_mad_u32 v11, v15, s0, v11
	v_mad_u32 v13, v15, s1, v13
	;; [unrolled: 1-line block ×4, first 2 shown]
	s_branch .LBB101_141
.LBB101_140:
	v_dual_mov_b32 v13, 0 :: v_dual_mov_b32 v11, 0
	v_dual_mov_b32 v12, 0 :: v_dual_mov_b32 v14, 0
	s_and_not1_b32 vcc_lo, exec_lo, s4
	s_cbranch_vccz .LBB101_138
.LBB101_141:
	v_cmp_ne_u32_e32 vcc_lo, 1, v10
	v_add_nc_u32_e32 v19, 0x180, v0
	s_cbranch_vccnz .LBB101_147
; %bb.142:
	s_cmp_lg_u32 s33, 0
	s_mov_b32 s4, 0
	s_cbranch_scc0 .LBB101_151
; %bb.143:
	s_min_u32 s5, s34, 15
	v_dual_mov_b32 v18, 0 :: v_dual_mov_b32 v20, v19
	v_dual_mov_b32 v16, 0 :: v_dual_mov_b32 v15, 0
	v_mov_b32_e32 v17, 0
	s_add_co_i32 s2, s5, 1
	s_mov_b64 s[0:1], 0xffffffffffffffe0
	s_and_b32 s6, s2, 30
	s_add_nc_u64 s[0:1], s[20:21], s[0:1]
	s_mov_b64 s[2:3], s[20:21]
.LBB101_144:                            ; =>This Inner Loop Header: Depth=1
	s_clause 0x1
	s_load_b128 s[16:19], s[2:3], 0x4
	s_load_b64 s[22:23], s[2:3], 0x14
	s_load_b256 s[8:15], s[0:1], 0xe4
	s_add_co_i32 s6, s6, -2
	s_wait_xcnt 0x0
	s_add_nc_u64 s[2:3], s[2:3], 24
	s_cmp_lg_u32 s6, 0
	s_add_nc_u64 s[0:1], s[0:1], 32
	s_wait_kmcnt 0x0
	v_mul_hi_u32 v21, s17, v20
	s_delay_alu instid0(VALU_DEP_1) | instskip(NEXT) | instid1(VALU_DEP_1)
	v_add_nc_u32_e32 v21, v20, v21
	v_lshrrev_b32_e32 v21, s18, v21
	s_delay_alu instid0(VALU_DEP_1) | instskip(SKIP_1) | instid1(VALU_DEP_1)
	v_mul_hi_u32 v22, s22, v21
	v_mul_lo_u32 v23, v21, s16
	v_dual_add_nc_u32 v22, v21, v22 :: v_dual_sub_nc_u32 v23, v20, v23
	s_delay_alu instid0(VALU_DEP_1) | instskip(NEXT) | instid1(VALU_DEP_2)
	v_lshrrev_b32_e32 v20, s23, v22
	v_mad_u32 v17, v23, s9, v17
	v_mad_u32 v15, v23, s8, v15
	;; [unrolled: 1-line block ×4, first 2 shown]
	v_mul_lo_u32 v22, v20, s19
	s_delay_alu instid0(VALU_DEP_1) | instskip(NEXT) | instid1(VALU_DEP_1)
	v_sub_nc_u32_e32 v21, v21, v22
	v_mad_u32 v17, v21, s13, v17
	v_mad_u32 v15, v21, s12, v15
	;; [unrolled: 1-line block ×4, first 2 shown]
	s_cbranch_scc1 .LBB101_144
; %bb.145:
	s_bitcmp1_b32 s5, 0
	s_cselect_b32 s5, -1, 0
	s_delay_alu instid0(SALU_CYCLE_1)
	s_and_b32 vcc_lo, exec_lo, s5
	s_cbranch_vccnz .LBB101_148
; %bb.146:
	s_load_b96 s[12:14], s[2:3], 0x4
	s_load_b128 s[8:11], s[0:1], 0xe4
	s_wait_kmcnt 0x0
	v_mul_hi_u32 v21, s13, v20
	s_delay_alu instid0(VALU_DEP_1) | instskip(NEXT) | instid1(VALU_DEP_1)
	v_add_nc_u32_e32 v21, v20, v21
	v_lshrrev_b32_e32 v21, s14, v21
	s_delay_alu instid0(VALU_DEP_1) | instskip(NEXT) | instid1(VALU_DEP_1)
	v_mul_lo_u32 v21, v21, s12
	v_sub_nc_u32_e32 v20, v20, v21
	s_delay_alu instid0(VALU_DEP_1)
	v_mad_u32 v15, v20, s8, v15
	v_mad_u32 v17, v20, s9, v17
	;; [unrolled: 1-line block ×4, first 2 shown]
	s_and_not1_b32 vcc_lo, exec_lo, s4
	s_cbranch_vccz .LBB101_149
	s_branch .LBB101_152
.LBB101_147:
	s_mov_b32 s4, -1
                                        ; implicit-def: $vgpr17
                                        ; implicit-def: $vgpr15
                                        ; implicit-def: $vgpr16
                                        ; implicit-def: $vgpr18
.LBB101_148:
	s_delay_alu instid0(SALU_CYCLE_1)
	s_and_not1_b32 vcc_lo, exec_lo, s4
	s_cbranch_vccnz .LBB101_152
.LBB101_149:
	s_clause 0x1
	s_load_b96 s[4:6], s[20:21], 0x4
	s_load_b128 s[0:3], s[20:21], 0xc4
	s_cmp_lt_u32 s33, 2
	s_wait_kmcnt 0x0
	v_mul_hi_u32 v15, s5, v19
	s_delay_alu instid0(VALU_DEP_1) | instskip(NEXT) | instid1(VALU_DEP_1)
	v_add_nc_u32_e32 v15, v19, v15
	v_lshrrev_b32_e32 v20, s6, v15
	s_delay_alu instid0(VALU_DEP_1) | instskip(NEXT) | instid1(VALU_DEP_1)
	v_mul_lo_u32 v15, v20, s4
	v_sub_nc_u32_e32 v18, v19, v15
	s_delay_alu instid0(VALU_DEP_1)
	v_mul_lo_u32 v17, v18, s1
	v_mul_lo_u32 v15, v18, s0
	;; [unrolled: 1-line block ×4, first 2 shown]
	s_cbranch_scc1 .LBB101_152
; %bb.150:
	s_clause 0x1
	s_load_b96 s[4:6], s[20:21], 0x10
	s_load_b128 s[0:3], s[20:21], 0xd4
	s_wait_kmcnt 0x0
	v_mul_hi_u32 v19, s5, v20
	s_delay_alu instid0(VALU_DEP_1) | instskip(NEXT) | instid1(VALU_DEP_1)
	v_add_nc_u32_e32 v19, v20, v19
	v_lshrrev_b32_e32 v19, s6, v19
	s_delay_alu instid0(VALU_DEP_1) | instskip(NEXT) | instid1(VALU_DEP_1)
	v_mul_lo_u32 v19, v19, s4
	v_sub_nc_u32_e32 v19, v20, v19
	s_delay_alu instid0(VALU_DEP_1)
	v_mad_u32 v15, v19, s0, v15
	v_mad_u32 v17, v19, s1, v17
	;; [unrolled: 1-line block ×4, first 2 shown]
	s_branch .LBB101_152
.LBB101_151:
	v_dual_mov_b32 v17, 0 :: v_dual_mov_b32 v15, 0
	v_dual_mov_b32 v16, 0 :: v_dual_mov_b32 v18, 0
	s_and_not1_b32 vcc_lo, exec_lo, s4
	s_cbranch_vccz .LBB101_149
.LBB101_152:
	v_cmp_ne_u32_e32 vcc_lo, 1, v10
	v_add_nc_u32_e32 v23, 0x200, v0
	s_cbranch_vccnz .LBB101_158
; %bb.153:
	s_cmp_lg_u32 s33, 0
	s_mov_b32 s4, 0
	s_cbranch_scc0 .LBB101_162
; %bb.154:
	s_min_u32 s5, s34, 15
	v_dual_mov_b32 v22, 0 :: v_dual_mov_b32 v24, v23
	v_dual_mov_b32 v20, 0 :: v_dual_mov_b32 v19, 0
	v_mov_b32_e32 v21, 0
	s_add_co_i32 s2, s5, 1
	s_mov_b64 s[0:1], 0xffffffffffffffe0
	s_and_b32 s6, s2, 30
	s_add_nc_u64 s[0:1], s[20:21], s[0:1]
	s_mov_b64 s[2:3], s[20:21]
.LBB101_155:                            ; =>This Inner Loop Header: Depth=1
	s_clause 0x1
	s_load_b128 s[16:19], s[2:3], 0x4
	s_load_b64 s[22:23], s[2:3], 0x14
	s_load_b256 s[8:15], s[0:1], 0xe4
	s_add_co_i32 s6, s6, -2
	s_wait_xcnt 0x0
	s_add_nc_u64 s[2:3], s[2:3], 24
	s_cmp_lg_u32 s6, 0
	s_add_nc_u64 s[0:1], s[0:1], 32
	s_wait_kmcnt 0x0
	v_mul_hi_u32 v25, s17, v24
	s_delay_alu instid0(VALU_DEP_1) | instskip(NEXT) | instid1(VALU_DEP_1)
	v_add_nc_u32_e32 v25, v24, v25
	v_lshrrev_b32_e32 v25, s18, v25
	s_delay_alu instid0(VALU_DEP_1) | instskip(SKIP_1) | instid1(VALU_DEP_1)
	v_mul_hi_u32 v26, s22, v25
	v_mul_lo_u32 v27, v25, s16
	v_dual_add_nc_u32 v26, v25, v26 :: v_dual_sub_nc_u32 v27, v24, v27
	s_delay_alu instid0(VALU_DEP_1) | instskip(NEXT) | instid1(VALU_DEP_2)
	v_lshrrev_b32_e32 v24, s23, v26
	v_mad_u32 v21, v27, s9, v21
	v_mad_u32 v19, v27, s8, v19
	;; [unrolled: 1-line block ×4, first 2 shown]
	v_mul_lo_u32 v26, v24, s19
	s_delay_alu instid0(VALU_DEP_1) | instskip(NEXT) | instid1(VALU_DEP_1)
	v_sub_nc_u32_e32 v25, v25, v26
	v_mad_u32 v21, v25, s13, v21
	v_mad_u32 v19, v25, s12, v19
	;; [unrolled: 1-line block ×4, first 2 shown]
	s_cbranch_scc1 .LBB101_155
; %bb.156:
	s_bitcmp1_b32 s5, 0
	s_cselect_b32 s5, -1, 0
	s_delay_alu instid0(SALU_CYCLE_1)
	s_and_b32 vcc_lo, exec_lo, s5
	s_cbranch_vccnz .LBB101_159
; %bb.157:
	s_load_b96 s[12:14], s[2:3], 0x4
	s_load_b128 s[8:11], s[0:1], 0xe4
	s_wait_kmcnt 0x0
	v_mul_hi_u32 v25, s13, v24
	s_delay_alu instid0(VALU_DEP_1) | instskip(NEXT) | instid1(VALU_DEP_1)
	v_add_nc_u32_e32 v25, v24, v25
	v_lshrrev_b32_e32 v25, s14, v25
	s_delay_alu instid0(VALU_DEP_1) | instskip(NEXT) | instid1(VALU_DEP_1)
	v_mul_lo_u32 v25, v25, s12
	v_sub_nc_u32_e32 v24, v24, v25
	s_delay_alu instid0(VALU_DEP_1)
	v_mad_u32 v19, v24, s8, v19
	v_mad_u32 v21, v24, s9, v21
	;; [unrolled: 1-line block ×4, first 2 shown]
	s_and_not1_b32 vcc_lo, exec_lo, s4
	s_cbranch_vccz .LBB101_160
	s_branch .LBB101_163
.LBB101_158:
	s_mov_b32 s4, -1
                                        ; implicit-def: $vgpr21
                                        ; implicit-def: $vgpr19
                                        ; implicit-def: $vgpr20
                                        ; implicit-def: $vgpr22
.LBB101_159:
	s_delay_alu instid0(SALU_CYCLE_1)
	s_and_not1_b32 vcc_lo, exec_lo, s4
	s_cbranch_vccnz .LBB101_163
.LBB101_160:
	s_clause 0x1
	s_load_b96 s[4:6], s[20:21], 0x4
	s_load_b128 s[0:3], s[20:21], 0xc4
	s_cmp_lt_u32 s33, 2
	s_wait_kmcnt 0x0
	v_mul_hi_u32 v19, s5, v23
	s_delay_alu instid0(VALU_DEP_1) | instskip(NEXT) | instid1(VALU_DEP_1)
	v_add_nc_u32_e32 v19, v23, v19
	v_lshrrev_b32_e32 v24, s6, v19
	s_delay_alu instid0(VALU_DEP_1) | instskip(NEXT) | instid1(VALU_DEP_1)
	v_mul_lo_u32 v19, v24, s4
	v_sub_nc_u32_e32 v22, v23, v19
	s_delay_alu instid0(VALU_DEP_1)
	v_mul_lo_u32 v21, v22, s1
	v_mul_lo_u32 v19, v22, s0
	;; [unrolled: 1-line block ×4, first 2 shown]
	s_cbranch_scc1 .LBB101_163
; %bb.161:
	s_clause 0x1
	s_load_b96 s[4:6], s[20:21], 0x10
	s_load_b128 s[0:3], s[20:21], 0xd4
	s_wait_kmcnt 0x0
	v_mul_hi_u32 v23, s5, v24
	s_delay_alu instid0(VALU_DEP_1) | instskip(NEXT) | instid1(VALU_DEP_1)
	v_add_nc_u32_e32 v23, v24, v23
	v_lshrrev_b32_e32 v23, s6, v23
	s_delay_alu instid0(VALU_DEP_1) | instskip(NEXT) | instid1(VALU_DEP_1)
	v_mul_lo_u32 v23, v23, s4
	v_sub_nc_u32_e32 v23, v24, v23
	s_delay_alu instid0(VALU_DEP_1)
	v_mad_u32 v19, v23, s0, v19
	v_mad_u32 v21, v23, s1, v21
	;; [unrolled: 1-line block ×4, first 2 shown]
	s_branch .LBB101_163
.LBB101_162:
	v_dual_mov_b32 v21, 0 :: v_dual_mov_b32 v19, 0
	v_dual_mov_b32 v20, 0 :: v_dual_mov_b32 v22, 0
	s_and_not1_b32 vcc_lo, exec_lo, s4
	s_cbranch_vccz .LBB101_160
.LBB101_163:
	v_cmp_ne_u32_e32 vcc_lo, 1, v10
	v_add_nc_u32_e32 v27, 0x280, v0
	s_cbranch_vccnz .LBB101_169
; %bb.164:
	s_cmp_lg_u32 s33, 0
	s_mov_b32 s4, 0
	s_cbranch_scc0 .LBB101_173
; %bb.165:
	s_min_u32 s5, s34, 15
	v_dual_mov_b32 v25, 0 :: v_dual_mov_b32 v28, v27
	v_dual_mov_b32 v24, 0 :: v_dual_mov_b32 v23, 0
	v_mov_b32_e32 v26, 0
	s_add_co_i32 s2, s5, 1
	s_mov_b64 s[0:1], 0xffffffffffffffe0
	s_and_b32 s6, s2, 30
	s_add_nc_u64 s[0:1], s[20:21], s[0:1]
	s_mov_b64 s[2:3], s[20:21]
.LBB101_166:                            ; =>This Inner Loop Header: Depth=1
	s_clause 0x1
	s_load_b128 s[16:19], s[2:3], 0x4
	s_load_b64 s[22:23], s[2:3], 0x14
	s_load_b256 s[8:15], s[0:1], 0xe4
	s_add_co_i32 s6, s6, -2
	s_wait_xcnt 0x0
	s_add_nc_u64 s[2:3], s[2:3], 24
	s_cmp_lg_u32 s6, 0
	s_add_nc_u64 s[0:1], s[0:1], 32
	s_wait_kmcnt 0x0
	v_mul_hi_u32 v29, s17, v28
	s_delay_alu instid0(VALU_DEP_1) | instskip(NEXT) | instid1(VALU_DEP_1)
	v_add_nc_u32_e32 v29, v28, v29
	v_lshrrev_b32_e32 v29, s18, v29
	s_delay_alu instid0(VALU_DEP_1) | instskip(SKIP_1) | instid1(VALU_DEP_1)
	v_mul_hi_u32 v30, s22, v29
	v_mul_lo_u32 v31, v29, s16
	v_dual_add_nc_u32 v30, v29, v30 :: v_dual_sub_nc_u32 v31, v28, v31
	s_delay_alu instid0(VALU_DEP_1) | instskip(NEXT) | instid1(VALU_DEP_2)
	v_lshrrev_b32_e32 v28, s23, v30
	v_mad_u32 v26, v31, s9, v26
	v_mad_u32 v23, v31, s8, v23
	;; [unrolled: 1-line block ×4, first 2 shown]
	v_mul_lo_u32 v30, v28, s19
	s_delay_alu instid0(VALU_DEP_1) | instskip(NEXT) | instid1(VALU_DEP_1)
	v_sub_nc_u32_e32 v29, v29, v30
	v_mad_u32 v26, v29, s13, v26
	v_mad_u32 v23, v29, s12, v23
	;; [unrolled: 1-line block ×4, first 2 shown]
	s_cbranch_scc1 .LBB101_166
; %bb.167:
	s_bitcmp1_b32 s5, 0
	s_cselect_b32 s5, -1, 0
	s_delay_alu instid0(SALU_CYCLE_1)
	s_and_b32 vcc_lo, exec_lo, s5
	s_cbranch_vccnz .LBB101_170
; %bb.168:
	s_load_b96 s[12:14], s[2:3], 0x4
	s_load_b128 s[8:11], s[0:1], 0xe4
	s_wait_kmcnt 0x0
	v_mul_hi_u32 v29, s13, v28
	s_delay_alu instid0(VALU_DEP_1) | instskip(NEXT) | instid1(VALU_DEP_1)
	v_add_nc_u32_e32 v29, v28, v29
	v_lshrrev_b32_e32 v29, s14, v29
	s_delay_alu instid0(VALU_DEP_1) | instskip(NEXT) | instid1(VALU_DEP_1)
	v_mul_lo_u32 v29, v29, s12
	v_sub_nc_u32_e32 v28, v28, v29
	s_delay_alu instid0(VALU_DEP_1)
	v_mad_u32 v23, v28, s8, v23
	v_mad_u32 v26, v28, s9, v26
	;; [unrolled: 1-line block ×4, first 2 shown]
	s_and_not1_b32 vcc_lo, exec_lo, s4
	s_cbranch_vccz .LBB101_171
	s_branch .LBB101_174
.LBB101_169:
	s_mov_b32 s4, -1
                                        ; implicit-def: $vgpr26
                                        ; implicit-def: $vgpr23
                                        ; implicit-def: $vgpr24
                                        ; implicit-def: $vgpr25
.LBB101_170:
	s_delay_alu instid0(SALU_CYCLE_1)
	s_and_not1_b32 vcc_lo, exec_lo, s4
	s_cbranch_vccnz .LBB101_174
.LBB101_171:
	s_clause 0x1
	s_load_b96 s[4:6], s[20:21], 0x4
	s_load_b128 s[0:3], s[20:21], 0xc4
	s_cmp_lt_u32 s33, 2
	s_wait_kmcnt 0x0
	v_mul_hi_u32 v23, s5, v27
	s_delay_alu instid0(VALU_DEP_1) | instskip(NEXT) | instid1(VALU_DEP_1)
	v_add_nc_u32_e32 v23, v27, v23
	v_lshrrev_b32_e32 v28, s6, v23
	s_delay_alu instid0(VALU_DEP_1) | instskip(NEXT) | instid1(VALU_DEP_1)
	v_mul_lo_u32 v23, v28, s4
	v_sub_nc_u32_e32 v25, v27, v23
	s_delay_alu instid0(VALU_DEP_1)
	v_mul_lo_u32 v26, v25, s1
	v_mul_lo_u32 v23, v25, s0
	;; [unrolled: 1-line block ×4, first 2 shown]
	s_cbranch_scc1 .LBB101_174
; %bb.172:
	s_clause 0x1
	s_load_b96 s[4:6], s[20:21], 0x10
	s_load_b128 s[0:3], s[20:21], 0xd4
	s_wait_kmcnt 0x0
	v_mul_hi_u32 v27, s5, v28
	s_delay_alu instid0(VALU_DEP_1) | instskip(NEXT) | instid1(VALU_DEP_1)
	v_add_nc_u32_e32 v27, v28, v27
	v_lshrrev_b32_e32 v27, s6, v27
	s_delay_alu instid0(VALU_DEP_1) | instskip(NEXT) | instid1(VALU_DEP_1)
	v_mul_lo_u32 v27, v27, s4
	v_sub_nc_u32_e32 v27, v28, v27
	s_delay_alu instid0(VALU_DEP_1)
	v_mad_u32 v23, v27, s0, v23
	v_mad_u32 v26, v27, s1, v26
	;; [unrolled: 1-line block ×4, first 2 shown]
	s_branch .LBB101_174
.LBB101_173:
	v_dual_mov_b32 v26, 0 :: v_dual_mov_b32 v23, 0
	v_dual_mov_b32 v24, 0 :: v_dual_mov_b32 v25, 0
	s_and_not1_b32 vcc_lo, exec_lo, s4
	s_cbranch_vccz .LBB101_171
.LBB101_174:
	v_cmp_ne_u32_e32 vcc_lo, 1, v10
	v_add_nc_u32_e32 v30, 0x300, v0
	s_cbranch_vccnz .LBB101_180
; %bb.175:
	s_cmp_lg_u32 s33, 0
	s_mov_b32 s4, 0
	s_cbranch_scc0 .LBB101_184
; %bb.176:
	s_min_u32 s5, s34, 15
	v_dual_mov_b32 v29, 0 :: v_dual_mov_b32 v31, v30
	v_dual_mov_b32 v27, 0 :: v_dual_mov_b32 v0, 0
	v_mov_b32_e32 v28, 0
	s_add_co_i32 s2, s5, 1
	s_mov_b64 s[0:1], 0xffffffffffffffe0
	s_and_b32 s6, s2, 30
	s_add_nc_u64 s[0:1], s[20:21], s[0:1]
	s_mov_b64 s[2:3], s[20:21]
.LBB101_177:                            ; =>This Inner Loop Header: Depth=1
	s_clause 0x1
	s_load_b128 s[16:19], s[2:3], 0x4
	s_load_b64 s[22:23], s[2:3], 0x14
	s_load_b256 s[8:15], s[0:1], 0xe4
	s_add_co_i32 s6, s6, -2
	s_wait_xcnt 0x0
	s_add_nc_u64 s[2:3], s[2:3], 24
	s_cmp_lg_u32 s6, 0
	s_add_nc_u64 s[0:1], s[0:1], 32
	s_wait_kmcnt 0x0
	v_mul_hi_u32 v32, s17, v31
	s_delay_alu instid0(VALU_DEP_1) | instskip(NEXT) | instid1(VALU_DEP_1)
	v_add_nc_u32_e32 v32, v31, v32
	v_lshrrev_b32_e32 v32, s18, v32
	s_delay_alu instid0(VALU_DEP_1) | instskip(SKIP_1) | instid1(VALU_DEP_1)
	v_mul_hi_u32 v33, s22, v32
	v_mul_lo_u32 v34, v32, s16
	v_dual_add_nc_u32 v33, v32, v33 :: v_dual_sub_nc_u32 v34, v31, v34
	s_delay_alu instid0(VALU_DEP_1) | instskip(NEXT) | instid1(VALU_DEP_2)
	v_lshrrev_b32_e32 v31, s23, v33
	v_mad_u32 v28, v34, s9, v28
	v_mad_u32 v0, v34, s8, v0
	;; [unrolled: 1-line block ×4, first 2 shown]
	v_mul_lo_u32 v33, v31, s19
	s_delay_alu instid0(VALU_DEP_1) | instskip(NEXT) | instid1(VALU_DEP_1)
	v_sub_nc_u32_e32 v32, v32, v33
	v_mad_u32 v28, v32, s13, v28
	v_mad_u32 v0, v32, s12, v0
	;; [unrolled: 1-line block ×4, first 2 shown]
	s_cbranch_scc1 .LBB101_177
; %bb.178:
	s_bitcmp1_b32 s5, 0
	s_cselect_b32 s5, -1, 0
	s_delay_alu instid0(SALU_CYCLE_1)
	s_and_b32 vcc_lo, exec_lo, s5
	s_cbranch_vccnz .LBB101_181
; %bb.179:
	s_load_b96 s[12:14], s[2:3], 0x4
	s_load_b128 s[8:11], s[0:1], 0xe4
	s_wait_kmcnt 0x0
	v_mul_hi_u32 v32, s13, v31
	s_delay_alu instid0(VALU_DEP_1) | instskip(NEXT) | instid1(VALU_DEP_1)
	v_add_nc_u32_e32 v32, v31, v32
	v_lshrrev_b32_e32 v32, s14, v32
	s_delay_alu instid0(VALU_DEP_1) | instskip(NEXT) | instid1(VALU_DEP_1)
	v_mul_lo_u32 v32, v32, s12
	v_sub_nc_u32_e32 v31, v31, v32
	s_delay_alu instid0(VALU_DEP_1)
	v_mad_u32 v0, v31, s8, v0
	v_mad_u32 v28, v31, s9, v28
	v_mad_u32 v29, v31, s10, v29
	v_mad_u32 v27, v31, s11, v27
	s_and_not1_b32 vcc_lo, exec_lo, s4
	s_cbranch_vccz .LBB101_182
	s_branch .LBB101_185
.LBB101_180:
	s_mov_b32 s4, -1
                                        ; implicit-def: $vgpr28
                                        ; implicit-def: $vgpr0
                                        ; implicit-def: $vgpr27
                                        ; implicit-def: $vgpr29
.LBB101_181:
	s_delay_alu instid0(SALU_CYCLE_1)
	s_and_not1_b32 vcc_lo, exec_lo, s4
	s_cbranch_vccnz .LBB101_185
.LBB101_182:
	s_clause 0x1
	s_load_b96 s[4:6], s[20:21], 0x4
	s_load_b128 s[0:3], s[20:21], 0xc4
	s_cmp_lt_u32 s33, 2
	s_wait_kmcnt 0x0
	v_mul_hi_u32 v0, s5, v30
	s_delay_alu instid0(VALU_DEP_1) | instskip(NEXT) | instid1(VALU_DEP_1)
	v_add_nc_u32_e32 v0, v30, v0
	v_lshrrev_b32_e32 v31, s6, v0
	s_delay_alu instid0(VALU_DEP_1) | instskip(NEXT) | instid1(VALU_DEP_1)
	v_mul_lo_u32 v0, v31, s4
	v_sub_nc_u32_e32 v29, v30, v0
	s_delay_alu instid0(VALU_DEP_1)
	v_mul_lo_u32 v28, v29, s1
	v_mul_lo_u32 v0, v29, s0
	;; [unrolled: 1-line block ×4, first 2 shown]
	s_cbranch_scc1 .LBB101_185
; %bb.183:
	s_clause 0x1
	s_load_b96 s[4:6], s[20:21], 0x10
	s_load_b128 s[0:3], s[20:21], 0xd4
	s_wait_kmcnt 0x0
	v_mul_hi_u32 v30, s5, v31
	s_delay_alu instid0(VALU_DEP_1) | instskip(NEXT) | instid1(VALU_DEP_1)
	v_add_nc_u32_e32 v30, v31, v30
	v_lshrrev_b32_e32 v30, s6, v30
	s_delay_alu instid0(VALU_DEP_1) | instskip(NEXT) | instid1(VALU_DEP_1)
	v_mul_lo_u32 v30, v30, s4
	v_sub_nc_u32_e32 v30, v31, v30
	s_delay_alu instid0(VALU_DEP_1)
	v_mad_u32 v0, v30, s0, v0
	v_mad_u32 v28, v30, s1, v28
	;; [unrolled: 1-line block ×4, first 2 shown]
	s_branch .LBB101_185
.LBB101_184:
	v_dual_mov_b32 v28, 0 :: v_dual_mov_b32 v0, 0
	v_dual_mov_b32 v27, 0 :: v_dual_mov_b32 v29, 0
	s_and_not1_b32 vcc_lo, exec_lo, s4
	s_cbranch_vccz .LBB101_182
.LBB101_185:
	v_cmp_ne_u32_e32 vcc_lo, 1, v10
	s_cbranch_vccnz .LBB101_191
; %bb.186:
	s_cmp_lg_u32 s33, 0
	s_mov_b32 s4, 0
	s_cbranch_scc0 .LBB101_195
; %bb.187:
	s_min_u32 s5, s34, 15
	v_dual_mov_b32 v31, 0 :: v_dual_mov_b32 v33, v5
	v_dual_mov_b32 v30, 0 :: v_dual_mov_b32 v10, 0
	v_mov_b32_e32 v32, 0
	s_add_co_i32 s2, s5, 1
	s_mov_b64 s[0:1], 0xffffffffffffffe0
	s_and_b32 s6, s2, 30
	s_add_nc_u64 s[0:1], s[20:21], s[0:1]
	s_mov_b64 s[2:3], s[20:21]
.LBB101_188:                            ; =>This Inner Loop Header: Depth=1
	s_clause 0x1
	s_load_b128 s[16:19], s[2:3], 0x4
	s_load_b64 s[22:23], s[2:3], 0x14
	s_load_b256 s[8:15], s[0:1], 0xe4
	s_add_co_i32 s6, s6, -2
	s_wait_xcnt 0x0
	s_add_nc_u64 s[2:3], s[2:3], 24
	s_cmp_lg_u32 s6, 0
	s_add_nc_u64 s[0:1], s[0:1], 32
	s_wait_kmcnt 0x0
	v_mul_hi_u32 v34, s17, v33
	s_delay_alu instid0(VALU_DEP_1) | instskip(NEXT) | instid1(VALU_DEP_1)
	v_add_nc_u32_e32 v34, v33, v34
	v_lshrrev_b32_e32 v34, s18, v34
	s_delay_alu instid0(VALU_DEP_1) | instskip(SKIP_1) | instid1(VALU_DEP_1)
	v_mul_hi_u32 v35, s22, v34
	v_mul_lo_u32 v36, v34, s16
	v_dual_add_nc_u32 v35, v34, v35 :: v_dual_sub_nc_u32 v36, v33, v36
	s_delay_alu instid0(VALU_DEP_1) | instskip(NEXT) | instid1(VALU_DEP_2)
	v_lshrrev_b32_e32 v33, s23, v35
	v_mad_u32 v32, v36, s9, v32
	v_mad_u32 v10, v36, s8, v10
	v_mad_u32 v30, v36, s11, v30
	v_mad_u32 v31, v36, s10, v31
	v_mul_lo_u32 v35, v33, s19
	s_delay_alu instid0(VALU_DEP_1) | instskip(NEXT) | instid1(VALU_DEP_1)
	v_sub_nc_u32_e32 v34, v34, v35
	v_mad_u32 v32, v34, s13, v32
	v_mad_u32 v10, v34, s12, v10
	;; [unrolled: 1-line block ×4, first 2 shown]
	s_cbranch_scc1 .LBB101_188
; %bb.189:
	s_bitcmp1_b32 s5, 0
	s_cselect_b32 s5, -1, 0
	s_delay_alu instid0(SALU_CYCLE_1)
	s_and_b32 vcc_lo, exec_lo, s5
	s_cbranch_vccnz .LBB101_192
; %bb.190:
	s_load_b96 s[12:14], s[2:3], 0x4
	s_load_b128 s[8:11], s[0:1], 0xe4
	s_wait_kmcnt 0x0
	v_mul_hi_u32 v34, s13, v33
	s_delay_alu instid0(VALU_DEP_1) | instskip(NEXT) | instid1(VALU_DEP_1)
	v_add_nc_u32_e32 v34, v33, v34
	v_lshrrev_b32_e32 v34, s14, v34
	s_delay_alu instid0(VALU_DEP_1) | instskip(NEXT) | instid1(VALU_DEP_1)
	v_mul_lo_u32 v34, v34, s12
	v_sub_nc_u32_e32 v33, v33, v34
	s_delay_alu instid0(VALU_DEP_1)
	v_mad_u32 v10, v33, s8, v10
	v_mad_u32 v32, v33, s9, v32
	;; [unrolled: 1-line block ×4, first 2 shown]
	s_and_not1_b32 vcc_lo, exec_lo, s4
	s_cbranch_vccz .LBB101_193
	s_branch .LBB101_196
.LBB101_191:
	s_mov_b32 s4, -1
                                        ; implicit-def: $vgpr32
                                        ; implicit-def: $vgpr10
                                        ; implicit-def: $vgpr30
                                        ; implicit-def: $vgpr31
.LBB101_192:
	s_delay_alu instid0(SALU_CYCLE_1)
	s_and_not1_b32 vcc_lo, exec_lo, s4
	s_cbranch_vccnz .LBB101_196
.LBB101_193:
	s_clause 0x1
	s_load_b96 s[4:6], s[20:21], 0x4
	s_load_b128 s[0:3], s[20:21], 0xc4
	s_cmp_lt_u32 s33, 2
	s_wait_kmcnt 0x0
	v_mul_hi_u32 v10, s5, v5
	s_delay_alu instid0(VALU_DEP_1) | instskip(NEXT) | instid1(VALU_DEP_1)
	v_add_nc_u32_e32 v10, v5, v10
	v_lshrrev_b32_e32 v33, s6, v10
	s_delay_alu instid0(VALU_DEP_1) | instskip(NEXT) | instid1(VALU_DEP_1)
	v_mul_lo_u32 v10, v33, s4
	v_sub_nc_u32_e32 v5, v5, v10
	s_delay_alu instid0(VALU_DEP_1)
	v_mul_lo_u32 v32, v5, s1
	v_mul_lo_u32 v10, v5, s0
	;; [unrolled: 1-line block ×4, first 2 shown]
	s_cbranch_scc1 .LBB101_196
; %bb.194:
	s_clause 0x1
	s_load_b96 s[4:6], s[20:21], 0x10
	s_load_b128 s[0:3], s[20:21], 0xd4
	s_wait_kmcnt 0x0
	v_mul_hi_u32 v5, s5, v33
	s_delay_alu instid0(VALU_DEP_1) | instskip(NEXT) | instid1(VALU_DEP_1)
	v_add_nc_u32_e32 v5, v33, v5
	v_lshrrev_b32_e32 v5, s6, v5
	s_delay_alu instid0(VALU_DEP_1) | instskip(NEXT) | instid1(VALU_DEP_1)
	v_mul_lo_u32 v5, v5, s4
	v_sub_nc_u32_e32 v5, v33, v5
	s_delay_alu instid0(VALU_DEP_1)
	v_mad_u32 v10, v5, s0, v10
	v_mad_u32 v32, v5, s1, v32
	;; [unrolled: 1-line block ×4, first 2 shown]
	s_branch .LBB101_196
.LBB101_195:
	v_dual_mov_b32 v32, 0 :: v_dual_mov_b32 v10, 0
	v_dual_mov_b32 v30, 0 :: v_dual_mov_b32 v31, 0
	s_and_not1_b32 vcc_lo, exec_lo, s4
	s_cbranch_vccz .LBB101_193
.LBB101_196:
	s_load_b256 s[0:7], s[20:21], 0x1c8
	s_wait_kmcnt 0x0
	global_load_u8 v5, v3, s[2:3]
	global_load_u8 v33, v4, s[4:5]
	;; [unrolled: 1-line block ×15, first 2 shown]
                                        ; kill: killed $vgpr29
                                        ; kill: killed $vgpr26
                                        ; kill: killed $vgpr14
                                        ; kill: killed $vgpr9
                                        ; kill: killed $vgpr28
                                        ; kill: killed $vgpr18
                                        ; kill: killed $vgpr13
                                        ; kill: killed $sgpr2_sgpr3
                                        ; kill: killed $vgpr32
                                        ; kill: killed $vgpr22
                                        ; kill: killed $vgpr17
                                        ; kill: killed $vgpr4
                                        ; kill: killed $vgpr25
                                        ; kill: killed $vgpr21
                                        ; kill: killed $vgpr8
                                        ; kill: killed $vgpr3
	global_load_u8 v3, v31, s[4:5]
	s_clause 0x7
	global_load_u8 v4, v2, s[6:7]
	global_load_u8 v8, v7, s[6:7]
	;; [unrolled: 1-line block ×8, first 2 shown]
	s_wait_loadcnt 0x16
	s_wait_xcnt 0x7
	v_max_u16 v2, v5, v33
	s_wait_loadcnt 0x14
	v_max_u16 v5, v34, v35
	s_wait_loadcnt 0x12
	s_wait_xcnt 0x6
	v_max_u16 v7, v36, v37
	s_wait_loadcnt 0x10
	s_wait_xcnt 0x5
	;; [unrolled: 3-line block ×4, first 2 shown]
	v_max_u16 v20, v42, v43
	s_wait_loadcnt 0xa
	v_max_u16 v22, v44, v45
	s_wait_loadcnt 0x8
	;; [unrolled: 2-line block ×3, first 2 shown]
	v_min_u16 v2, v2, v4
	s_wait_loadcnt 0x6
	v_min_u16 v4, v5, v8
	s_wait_loadcnt 0x5
	;; [unrolled: 2-line block ×7, first 2 shown]
	v_min_u16 v3, v3, v21
	s_clause 0x7
	global_store_b8 v1, v2, s[0:1]
	global_store_b8 v6, v4, s[0:1]
	;; [unrolled: 1-line block ×8, first 2 shown]
	s_endpgm
	.section	.rodata,"a",@progbits
	.p2align	6, 0x0
	.amdhsa_kernel _ZN2at6native32elementwise_kernel_manual_unrollILi128ELi8EZNS0_22gpu_kernel_impl_nocastIZZZNS0_12_GLOBAL__N_117clamp_kernel_implERNS_18TensorIteratorBaseEENKUlvE_clEvENKUlvE_clEvEUlhhhE_EEvS5_RKT_EUlibE_EEviT1_
		.amdhsa_group_segment_fixed_size 0
		.amdhsa_private_segment_fixed_size 0
		.amdhsa_kernarg_size 504
		.amdhsa_user_sgpr_count 2
		.amdhsa_user_sgpr_dispatch_ptr 0
		.amdhsa_user_sgpr_queue_ptr 0
		.amdhsa_user_sgpr_kernarg_segment_ptr 1
		.amdhsa_user_sgpr_dispatch_id 0
		.amdhsa_user_sgpr_kernarg_preload_length 0
		.amdhsa_user_sgpr_kernarg_preload_offset 0
		.amdhsa_user_sgpr_private_segment_size 0
		.amdhsa_wavefront_size32 1
		.amdhsa_uses_dynamic_stack 0
		.amdhsa_enable_private_segment 0
		.amdhsa_system_sgpr_workgroup_id_x 1
		.amdhsa_system_sgpr_workgroup_id_y 0
		.amdhsa_system_sgpr_workgroup_id_z 0
		.amdhsa_system_sgpr_workgroup_info 0
		.amdhsa_system_vgpr_workitem_id 0
		.amdhsa_next_free_vgpr 47
		.amdhsa_next_free_sgpr 56
		.amdhsa_named_barrier_count 0
		.amdhsa_reserve_vcc 1
		.amdhsa_float_round_mode_32 0
		.amdhsa_float_round_mode_16_64 0
		.amdhsa_float_denorm_mode_32 3
		.amdhsa_float_denorm_mode_16_64 3
		.amdhsa_fp16_overflow 0
		.amdhsa_memory_ordered 1
		.amdhsa_forward_progress 1
		.amdhsa_inst_pref_size 90
		.amdhsa_round_robin_scheduling 0
		.amdhsa_exception_fp_ieee_invalid_op 0
		.amdhsa_exception_fp_denorm_src 0
		.amdhsa_exception_fp_ieee_div_zero 0
		.amdhsa_exception_fp_ieee_overflow 0
		.amdhsa_exception_fp_ieee_underflow 0
		.amdhsa_exception_fp_ieee_inexact 0
		.amdhsa_exception_int_div_zero 0
	.end_amdhsa_kernel
	.section	.text._ZN2at6native32elementwise_kernel_manual_unrollILi128ELi8EZNS0_22gpu_kernel_impl_nocastIZZZNS0_12_GLOBAL__N_117clamp_kernel_implERNS_18TensorIteratorBaseEENKUlvE_clEvENKUlvE_clEvEUlhhhE_EEvS5_RKT_EUlibE_EEviT1_,"axG",@progbits,_ZN2at6native32elementwise_kernel_manual_unrollILi128ELi8EZNS0_22gpu_kernel_impl_nocastIZZZNS0_12_GLOBAL__N_117clamp_kernel_implERNS_18TensorIteratorBaseEENKUlvE_clEvENKUlvE_clEvEUlhhhE_EEvS5_RKT_EUlibE_EEviT1_,comdat
.Lfunc_end101:
	.size	_ZN2at6native32elementwise_kernel_manual_unrollILi128ELi8EZNS0_22gpu_kernel_impl_nocastIZZZNS0_12_GLOBAL__N_117clamp_kernel_implERNS_18TensorIteratorBaseEENKUlvE_clEvENKUlvE_clEvEUlhhhE_EEvS5_RKT_EUlibE_EEviT1_, .Lfunc_end101-_ZN2at6native32elementwise_kernel_manual_unrollILi128ELi8EZNS0_22gpu_kernel_impl_nocastIZZZNS0_12_GLOBAL__N_117clamp_kernel_implERNS_18TensorIteratorBaseEENKUlvE_clEvENKUlvE_clEvEUlhhhE_EEvS5_RKT_EUlibE_EEviT1_
                                        ; -- End function
	.set _ZN2at6native32elementwise_kernel_manual_unrollILi128ELi8EZNS0_22gpu_kernel_impl_nocastIZZZNS0_12_GLOBAL__N_117clamp_kernel_implERNS_18TensorIteratorBaseEENKUlvE_clEvENKUlvE_clEvEUlhhhE_EEvS5_RKT_EUlibE_EEviT1_.num_vgpr, 47
	.set _ZN2at6native32elementwise_kernel_manual_unrollILi128ELi8EZNS0_22gpu_kernel_impl_nocastIZZZNS0_12_GLOBAL__N_117clamp_kernel_implERNS_18TensorIteratorBaseEENKUlvE_clEvENKUlvE_clEvEUlhhhE_EEvS5_RKT_EUlibE_EEviT1_.num_agpr, 0
	.set _ZN2at6native32elementwise_kernel_manual_unrollILi128ELi8EZNS0_22gpu_kernel_impl_nocastIZZZNS0_12_GLOBAL__N_117clamp_kernel_implERNS_18TensorIteratorBaseEENKUlvE_clEvENKUlvE_clEvEUlhhhE_EEvS5_RKT_EUlibE_EEviT1_.numbered_sgpr, 56
	.set _ZN2at6native32elementwise_kernel_manual_unrollILi128ELi8EZNS0_22gpu_kernel_impl_nocastIZZZNS0_12_GLOBAL__N_117clamp_kernel_implERNS_18TensorIteratorBaseEENKUlvE_clEvENKUlvE_clEvEUlhhhE_EEvS5_RKT_EUlibE_EEviT1_.num_named_barrier, 0
	.set _ZN2at6native32elementwise_kernel_manual_unrollILi128ELi8EZNS0_22gpu_kernel_impl_nocastIZZZNS0_12_GLOBAL__N_117clamp_kernel_implERNS_18TensorIteratorBaseEENKUlvE_clEvENKUlvE_clEvEUlhhhE_EEvS5_RKT_EUlibE_EEviT1_.private_seg_size, 0
	.set _ZN2at6native32elementwise_kernel_manual_unrollILi128ELi8EZNS0_22gpu_kernel_impl_nocastIZZZNS0_12_GLOBAL__N_117clamp_kernel_implERNS_18TensorIteratorBaseEENKUlvE_clEvENKUlvE_clEvEUlhhhE_EEvS5_RKT_EUlibE_EEviT1_.uses_vcc, 1
	.set _ZN2at6native32elementwise_kernel_manual_unrollILi128ELi8EZNS0_22gpu_kernel_impl_nocastIZZZNS0_12_GLOBAL__N_117clamp_kernel_implERNS_18TensorIteratorBaseEENKUlvE_clEvENKUlvE_clEvEUlhhhE_EEvS5_RKT_EUlibE_EEviT1_.uses_flat_scratch, 0
	.set _ZN2at6native32elementwise_kernel_manual_unrollILi128ELi8EZNS0_22gpu_kernel_impl_nocastIZZZNS0_12_GLOBAL__N_117clamp_kernel_implERNS_18TensorIteratorBaseEENKUlvE_clEvENKUlvE_clEvEUlhhhE_EEvS5_RKT_EUlibE_EEviT1_.has_dyn_sized_stack, 0
	.set _ZN2at6native32elementwise_kernel_manual_unrollILi128ELi8EZNS0_22gpu_kernel_impl_nocastIZZZNS0_12_GLOBAL__N_117clamp_kernel_implERNS_18TensorIteratorBaseEENKUlvE_clEvENKUlvE_clEvEUlhhhE_EEvS5_RKT_EUlibE_EEviT1_.has_recursion, 0
	.set _ZN2at6native32elementwise_kernel_manual_unrollILi128ELi8EZNS0_22gpu_kernel_impl_nocastIZZZNS0_12_GLOBAL__N_117clamp_kernel_implERNS_18TensorIteratorBaseEENKUlvE_clEvENKUlvE_clEvEUlhhhE_EEvS5_RKT_EUlibE_EEviT1_.has_indirect_call, 0
	.section	.AMDGPU.csdata,"",@progbits
; Kernel info:
; codeLenInByte = 11480
; TotalNumSgprs: 58
; NumVgprs: 47
; ScratchSize: 0
; MemoryBound: 0
; FloatMode: 240
; IeeeMode: 1
; LDSByteSize: 0 bytes/workgroup (compile time only)
; SGPRBlocks: 0
; VGPRBlocks: 2
; NumSGPRsForWavesPerEU: 58
; NumVGPRsForWavesPerEU: 47
; NamedBarCnt: 0
; Occupancy: 16
; WaveLimiterHint : 1
; COMPUTE_PGM_RSRC2:SCRATCH_EN: 0
; COMPUTE_PGM_RSRC2:USER_SGPR: 2
; COMPUTE_PGM_RSRC2:TRAP_HANDLER: 0
; COMPUTE_PGM_RSRC2:TGID_X_EN: 1
; COMPUTE_PGM_RSRC2:TGID_Y_EN: 0
; COMPUTE_PGM_RSRC2:TGID_Z_EN: 0
; COMPUTE_PGM_RSRC2:TIDIG_COMP_CNT: 0
	.section	.text._ZN2at6native32elementwise_kernel_manual_unrollILi128ELi4EZNS0_15gpu_kernel_implIZZZNS0_12_GLOBAL__N_117clamp_kernel_implERNS_18TensorIteratorBaseEENKUlvE_clEvENKUlvE_clEvEUlhhhE_EEvS5_RKT_EUlibE_EEviT1_,"axG",@progbits,_ZN2at6native32elementwise_kernel_manual_unrollILi128ELi4EZNS0_15gpu_kernel_implIZZZNS0_12_GLOBAL__N_117clamp_kernel_implERNS_18TensorIteratorBaseEENKUlvE_clEvENKUlvE_clEvEUlhhhE_EEvS5_RKT_EUlibE_EEviT1_,comdat
	.globl	_ZN2at6native32elementwise_kernel_manual_unrollILi128ELi4EZNS0_15gpu_kernel_implIZZZNS0_12_GLOBAL__N_117clamp_kernel_implERNS_18TensorIteratorBaseEENKUlvE_clEvENKUlvE_clEvEUlhhhE_EEvS5_RKT_EUlibE_EEviT1_ ; -- Begin function _ZN2at6native32elementwise_kernel_manual_unrollILi128ELi4EZNS0_15gpu_kernel_implIZZZNS0_12_GLOBAL__N_117clamp_kernel_implERNS_18TensorIteratorBaseEENKUlvE_clEvENKUlvE_clEvEUlhhhE_EEvS5_RKT_EUlibE_EEviT1_
	.p2align	8
	.type	_ZN2at6native32elementwise_kernel_manual_unrollILi128ELi4EZNS0_15gpu_kernel_implIZZZNS0_12_GLOBAL__N_117clamp_kernel_implERNS_18TensorIteratorBaseEENKUlvE_clEvENKUlvE_clEvEUlhhhE_EEvS5_RKT_EUlibE_EEviT1_,@function
_ZN2at6native32elementwise_kernel_manual_unrollILi128ELi4EZNS0_15gpu_kernel_implIZZZNS0_12_GLOBAL__N_117clamp_kernel_implERNS_18TensorIteratorBaseEENKUlvE_clEvENKUlvE_clEvEUlhhhE_EEvS5_RKT_EUlibE_EEviT1_: ; @_ZN2at6native32elementwise_kernel_manual_unrollILi128ELi4EZNS0_15gpu_kernel_implIZZZNS0_12_GLOBAL__N_117clamp_kernel_implERNS_18TensorIteratorBaseEENKUlvE_clEvENKUlvE_clEvEUlhhhE_EEvS5_RKT_EUlibE_EEviT1_
; %bb.0:
	v_mov_b32_e32 v1, 0
	s_bfe_u32 s3, ttmp6, 0x4000c
	s_clause 0x1
	s_load_b128 s[12:15], s[0:1], 0x28
	s_load_b256 s[4:11], s[0:1], 0x8
	s_add_co_i32 s3, s3, 1
	global_load_b32 v1, v1, s[0:1] offset:57
	s_load_b32 s20, s[0:1], 0x0
	s_and_b32 s16, ttmp6, 15
	s_wait_xcnt 0x0
	s_mul_i32 s0, ttmp9, s3
	s_getreg_b32 s18, hwreg(HW_REG_IB_STS2, 6, 4)
	s_add_co_i32 s16, s16, s0
	s_mov_b32 s19, 0
	s_wait_loadcnt 0x0
	v_readfirstlane_b32 s2, v1
	s_lshr_b32 s3, s2, 16
	s_lshr_b32 s17, s2, 8
	;; [unrolled: 1-line block ×3, first 2 shown]
	s_cmp_eq_u32 s18, 0
	s_cselect_b32 s0, ttmp9, s16
	s_mov_b32 s16, 0
	v_lshl_or_b32 v26, s0, 9, v0
	s_mov_b32 s0, exec_lo
	s_delay_alu instid0(VALU_DEP_1) | instskip(SKIP_1) | instid1(VALU_DEP_1)
	v_or_b32_e32 v0, 0x180, v26
	s_wait_kmcnt 0x0
	v_cmpx_le_i32_e64 s20, v0
	s_xor_b32 s18, exec_lo, s0
	s_cbranch_execz .LBB102_2015
; %bb.1:
	s_mov_b32 s28, -1
	s_mov_b32 s25, 0
	s_mov_b32 s23, 0
	;; [unrolled: 1-line block ×4, first 2 shown]
	s_mov_b32 s24, exec_lo
	v_cmpx_gt_i32_e64 s20, v26
	s_cbranch_execz .LBB102_500
; %bb.2:
	v_mul_lo_u32 v0, v26, s13
	s_and_b32 s0, s17, 0xff
	s_delay_alu instid0(SALU_CYCLE_1) | instskip(NEXT) | instid1(VALU_DEP_1)
	s_cmp_lt_i32 s0, 11
	v_ashrrev_i32_e32 v1, 31, v0
	s_delay_alu instid0(VALU_DEP_1)
	v_add_nc_u64_e32 v[2:3], s[6:7], v[0:1]
	s_cbranch_scc1 .LBB102_9
; %bb.3:
	s_and_b32 s19, 0xffff, s0
	s_delay_alu instid0(SALU_CYCLE_1)
	s_cmp_gt_i32 s19, 25
	s_cbranch_scc0 .LBB102_18
; %bb.4:
	s_cmp_gt_i32 s19, 28
	s_cbranch_scc0 .LBB102_28
; %bb.5:
	;; [unrolled: 3-line block ×4, first 2 shown]
	s_cmp_eq_u32 s19, 46
	s_cbranch_scc0 .LBB102_37
; %bb.8:
	global_load_b32 v0, v[2:3], off
	s_mov_b32 s21, -1
	s_wait_loadcnt 0x0
	v_lshlrev_b32_e32 v0, 16, v0
	s_delay_alu instid0(VALU_DEP_1) | instskip(NEXT) | instid1(VALU_DEP_1)
	v_trunc_f32_e32 v0, v0
	v_mul_f32_e64 v1, 0x2f800000, |v0|
	s_delay_alu instid0(VALU_DEP_1) | instskip(NEXT) | instid1(VALU_DEP_1)
	v_floor_f32_e32 v1, v1
	v_fma_f32 v1, 0xcf800000, v1, |v0|
	v_ashrrev_i32_e32 v0, 31, v0
	s_delay_alu instid0(VALU_DEP_2) | instskip(NEXT) | instid1(VALU_DEP_1)
	v_cvt_u32_f32_e32 v1, v1
	v_xor_b32_e32 v1, v1, v0
	s_delay_alu instid0(VALU_DEP_1)
	v_sub_nc_u32_e32 v0, v1, v0
	s_branch .LBB102_39
.LBB102_9:
                                        ; implicit-def: $vgpr0
	s_cbranch_execnz .LBB102_101
.LBB102_10:
	s_and_not1_b32 vcc_lo, exec_lo, s21
	s_cbranch_vccnz .LBB102_148
.LBB102_11:
	s_wait_xcnt 0x0
	v_mul_lo_u32 v2, v26, s14
	s_and_b32 s0, s3, 0xff
	s_delay_alu instid0(SALU_CYCLE_1) | instskip(NEXT) | instid1(VALU_DEP_1)
	s_cmp_lt_i32 s0, 11
	v_ashrrev_i32_e32 v3, 31, v2
	s_delay_alu instid0(VALU_DEP_1)
	v_add_nc_u64_e32 v[4:5], s[8:9], v[2:3]
	s_cbranch_scc1 .LBB102_19
; %bb.12:
	s_and_b32 s19, 0xffff, s0
	s_delay_alu instid0(SALU_CYCLE_1)
	s_cmp_gt_i32 s19, 25
	s_cbranch_scc0 .LBB102_29
; %bb.13:
	s_cmp_gt_i32 s19, 28
	s_cbranch_scc0 .LBB102_32
; %bb.14:
	;; [unrolled: 3-line block ×4, first 2 shown]
	s_cmp_eq_u32 s19, 46
	s_mov_b32 s26, 0
	s_cbranch_scc0 .LBB102_149
; %bb.17:
	s_wait_loadcnt 0x0
	global_load_b32 v1, v[4:5], off
	s_mov_b32 s21, -1
	s_mov_b32 s22, 0
	s_wait_loadcnt 0x0
	v_lshlrev_b32_e32 v1, 16, v1
	s_delay_alu instid0(VALU_DEP_1) | instskip(NEXT) | instid1(VALU_DEP_1)
	v_trunc_f32_e32 v1, v1
	v_mul_f32_e64 v2, 0x2f800000, |v1|
	s_delay_alu instid0(VALU_DEP_1) | instskip(NEXT) | instid1(VALU_DEP_1)
	v_floor_f32_e32 v2, v2
	v_fma_f32 v2, 0xcf800000, v2, |v1|
	v_ashrrev_i32_e32 v1, 31, v1
	s_delay_alu instid0(VALU_DEP_2) | instskip(NEXT) | instid1(VALU_DEP_1)
	v_cvt_u32_f32_e32 v2, v2
	v_xor_b32_e32 v2, v2, v1
	s_delay_alu instid0(VALU_DEP_1)
	v_sub_nc_u32_e32 v2, v2, v1
	s_branch .LBB102_151
.LBB102_18:
                                        ; implicit-def: $vgpr0
	s_cbranch_execnz .LBB102_68
	s_branch .LBB102_100
.LBB102_19:
	s_mov_b32 s22, 0
	s_mov_b32 s21, 0
                                        ; implicit-def: $vgpr2
	s_cbranch_execnz .LBB102_213
.LBB102_20:
	s_and_not1_b32 vcc_lo, exec_lo, s21
	s_cbranch_vccnz .LBB102_261
.LBB102_21:
	s_wait_xcnt 0x0
	v_mul_lo_u32 v4, v26, s15
	s_and_b32 s0, 0xffff, s1
	s_delay_alu instid0(SALU_CYCLE_1) | instskip(NEXT) | instid1(VALU_DEP_1)
	s_cmp_lt_i32 s0, 11
	v_ashrrev_i32_e32 v5, 31, v4
	s_delay_alu instid0(VALU_DEP_1)
	v_add_nc_u64_e32 v[4:5], s[10:11], v[4:5]
	s_cbranch_scc1 .LBB102_30
; %bb.22:
	s_cmp_gt_i32 s0, 25
	s_cbranch_scc0 .LBB102_33
; %bb.23:
	s_cmp_gt_i32 s0, 28
	s_cbranch_scc0 .LBB102_36
	;; [unrolled: 3-line block ×4, first 2 shown]
; %bb.26:
	s_cmp_eq_u32 s0, 46
	s_mov_b32 s26, 0
	s_cbranch_scc0 .LBB102_262
; %bb.27:
	s_wait_loadcnt 0x0
	global_load_b32 v1, v[4:5], off
	s_mov_b32 s19, -1
	s_mov_b32 s21, 0
	s_wait_loadcnt 0x0
	v_lshlrev_b32_e32 v1, 16, v1
	s_delay_alu instid0(VALU_DEP_1) | instskip(NEXT) | instid1(VALU_DEP_1)
	v_trunc_f32_e32 v1, v1
	v_mul_f32_e64 v3, 0x2f800000, |v1|
	s_delay_alu instid0(VALU_DEP_1) | instskip(NEXT) | instid1(VALU_DEP_1)
	v_floor_f32_e32 v3, v3
	v_fma_f32 v3, 0xcf800000, v3, |v1|
	v_ashrrev_i32_e32 v1, 31, v1
	s_delay_alu instid0(VALU_DEP_2) | instskip(NEXT) | instid1(VALU_DEP_1)
	v_cvt_u32_f32_e32 v3, v3
	v_xor_b32_e32 v3, v3, v1
	s_delay_alu instid0(VALU_DEP_1)
	v_sub_nc_u32_e32 v6, v3, v1
	s_branch .LBB102_264
.LBB102_28:
	s_mov_b32 s22, -1
                                        ; implicit-def: $vgpr0
	s_branch .LBB102_51
.LBB102_29:
	s_mov_b32 s26, -1
	s_mov_b32 s22, 0
	s_mov_b32 s21, 0
                                        ; implicit-def: $vgpr2
	s_branch .LBB102_179
.LBB102_30:
	s_mov_b32 s26, -1
	s_mov_b32 s21, 0
	s_mov_b32 s19, 0
                                        ; implicit-def: $vgpr6
	s_branch .LBB102_325
.LBB102_31:
	s_mov_b32 s22, -1
                                        ; implicit-def: $vgpr0
	s_branch .LBB102_46
.LBB102_32:
	s_mov_b32 s26, -1
	s_mov_b32 s22, 0
	s_mov_b32 s21, 0
                                        ; implicit-def: $vgpr2
	s_branch .LBB102_162
.LBB102_33:
	s_mov_b32 s26, -1
	s_mov_b32 s21, 0
	s_mov_b32 s19, 0
                                        ; implicit-def: $vgpr6
	s_branch .LBB102_291
.LBB102_34:
	s_mov_b32 s22, -1
	s_branch .LBB102_38
.LBB102_35:
	s_mov_b32 s26, -1
	s_mov_b32 s22, 0
	s_mov_b32 s21, 0
                                        ; implicit-def: $vgpr2
	s_branch .LBB102_157
.LBB102_36:
	s_mov_b32 s26, -1
	s_mov_b32 s21, 0
	s_mov_b32 s19, 0
                                        ; implicit-def: $vgpr6
	s_branch .LBB102_274
.LBB102_37:
	s_mov_b32 s23, -1
.LBB102_38:
                                        ; implicit-def: $vgpr0
.LBB102_39:
	s_and_b32 vcc_lo, exec_lo, s22
	s_cbranch_vccz .LBB102_45
; %bb.40:
	s_cmp_eq_u32 s19, 44
	s_cbranch_scc0 .LBB102_44
; %bb.41:
	global_load_u8 v0, v[2:3], off
	s_mov_b32 s23, 0
	s_mov_b32 s21, -1
	s_wait_loadcnt 0x0
	v_lshlrev_b32_e32 v1, 23, v0
	v_cmp_ne_u32_e32 vcc_lo, 0, v0
	s_delay_alu instid0(VALU_DEP_2) | instskip(NEXT) | instid1(VALU_DEP_1)
	v_trunc_f32_e32 v1, v1
	v_mul_f32_e64 v4, 0x2f800000, |v1|
	s_delay_alu instid0(VALU_DEP_1) | instskip(NEXT) | instid1(VALU_DEP_1)
	v_floor_f32_e32 v4, v4
	v_fma_f32 v4, 0xcf800000, v4, |v1|
	v_ashrrev_i32_e32 v1, 31, v1
	s_delay_alu instid0(VALU_DEP_2) | instskip(NEXT) | instid1(VALU_DEP_1)
	v_cvt_u32_f32_e32 v4, v4
	v_xor_b32_e32 v4, v4, v1
	s_delay_alu instid0(VALU_DEP_1) | instskip(NEXT) | instid1(VALU_DEP_1)
	v_sub_nc_u32_e32 v1, v4, v1
	v_cndmask_b32_e32 v0, 0, v1, vcc_lo
	s_branch .LBB102_45
.LBB102_42:
	s_mov_b32 s26, -1
	s_mov_b32 s22, 0
	s_branch .LBB102_150
.LBB102_43:
	s_mov_b32 s26, -1
	s_mov_b32 s21, 0
	s_mov_b32 s19, 0
                                        ; implicit-def: $vgpr6
	s_branch .LBB102_269
.LBB102_44:
	s_mov_b32 s23, -1
                                        ; implicit-def: $vgpr0
.LBB102_45:
	s_mov_b32 s22, 0
.LBB102_46:
	s_delay_alu instid0(SALU_CYCLE_1)
	s_and_b32 vcc_lo, exec_lo, s22
	s_cbranch_vccz .LBB102_50
; %bb.47:
	s_cmp_eq_u32 s19, 29
	s_cbranch_scc0 .LBB102_49
; %bb.48:
	global_load_b64 v[0:1], v[2:3], off
	s_mov_b32 s21, -1
	s_mov_b32 s23, 0
	s_branch .LBB102_50
.LBB102_49:
	s_mov_b32 s23, -1
                                        ; implicit-def: $vgpr0
.LBB102_50:
	s_mov_b32 s22, 0
.LBB102_51:
	s_delay_alu instid0(SALU_CYCLE_1)
	s_and_b32 vcc_lo, exec_lo, s22
	s_cbranch_vccz .LBB102_67
; %bb.52:
	s_cmp_lt_i32 s19, 27
	s_cbranch_scc1 .LBB102_55
; %bb.53:
	s_cmp_gt_i32 s19, 27
	s_cbranch_scc0 .LBB102_56
; %bb.54:
	s_wait_loadcnt 0x0
	global_load_b32 v0, v[2:3], off
	s_mov_b32 s21, 0
	s_branch .LBB102_57
.LBB102_55:
	s_mov_b32 s21, -1
                                        ; implicit-def: $vgpr0
	s_branch .LBB102_60
.LBB102_56:
	s_mov_b32 s21, -1
                                        ; implicit-def: $vgpr0
.LBB102_57:
	s_delay_alu instid0(SALU_CYCLE_1)
	s_and_not1_b32 vcc_lo, exec_lo, s21
	s_cbranch_vccnz .LBB102_59
; %bb.58:
	s_wait_loadcnt 0x0
	global_load_u16 v0, v[2:3], off
.LBB102_59:
	s_mov_b32 s21, 0
.LBB102_60:
	s_delay_alu instid0(SALU_CYCLE_1)
	s_and_not1_b32 vcc_lo, exec_lo, s21
	s_cbranch_vccnz .LBB102_66
; %bb.61:
	s_wait_loadcnt 0x0
	global_load_u8 v1, v[2:3], off
	s_mov_b32 s22, 0
	s_mov_b32 s21, exec_lo
	s_wait_loadcnt 0x0
	v_cmpx_lt_i16_e32 0x7f, v1
	s_xor_b32 s21, exec_lo, s21
	s_cbranch_execz .LBB102_77
; %bb.62:
	v_cmp_ne_u16_e32 vcc_lo, 0x80, v1
	s_and_b32 s22, vcc_lo, exec_lo
	s_and_not1_saveexec_b32 s21, s21
	s_cbranch_execnz .LBB102_78
.LBB102_63:
	s_or_b32 exec_lo, exec_lo, s21
	v_mov_b32_e32 v0, 0
	s_and_saveexec_b32 s21, s22
	s_cbranch_execz .LBB102_65
.LBB102_64:
	v_and_b32_e32 v0, 0xffff, v1
	s_delay_alu instid0(VALU_DEP_1) | instskip(SKIP_1) | instid1(VALU_DEP_2)
	v_and_b32_e32 v4, 7, v0
	v_bfe_u32 v7, v0, 3, 4
	v_clz_i32_u32_e32 v5, v4
	s_delay_alu instid0(VALU_DEP_2) | instskip(NEXT) | instid1(VALU_DEP_2)
	v_cmp_eq_u32_e32 vcc_lo, 0, v7
	v_min_u32_e32 v5, 32, v5
	s_delay_alu instid0(VALU_DEP_1) | instskip(NEXT) | instid1(VALU_DEP_1)
	v_subrev_nc_u32_e32 v6, 28, v5
	v_dual_lshlrev_b32 v0, v6, v0 :: v_dual_sub_nc_u32 v5, 29, v5
	s_delay_alu instid0(VALU_DEP_1) | instskip(NEXT) | instid1(VALU_DEP_1)
	v_dual_lshlrev_b32 v1, 24, v1 :: v_dual_bitop2_b32 v0, 7, v0 bitop3:0x40
	v_dual_cndmask_b32 v0, v4, v0 :: v_dual_cndmask_b32 v5, v7, v5
	s_delay_alu instid0(VALU_DEP_2) | instskip(NEXT) | instid1(VALU_DEP_2)
	v_and_b32_e32 v1, 0x80000000, v1
	v_lshlrev_b32_e32 v0, 20, v0
	s_delay_alu instid0(VALU_DEP_3) | instskip(NEXT) | instid1(VALU_DEP_1)
	v_lshl_add_u32 v4, v5, 23, 0x3b800000
	v_or3_b32 v0, v1, v4, v0
	s_delay_alu instid0(VALU_DEP_1) | instskip(NEXT) | instid1(VALU_DEP_1)
	v_trunc_f32_e32 v0, v0
	v_mul_f32_e64 v1, 0x2f800000, |v0|
	s_delay_alu instid0(VALU_DEP_1) | instskip(NEXT) | instid1(VALU_DEP_1)
	v_floor_f32_e32 v1, v1
	v_fma_f32 v1, 0xcf800000, v1, |v0|
	v_ashrrev_i32_e32 v0, 31, v0
	s_delay_alu instid0(VALU_DEP_2) | instskip(NEXT) | instid1(VALU_DEP_1)
	v_cvt_u32_f32_e32 v1, v1
	v_xor_b32_e32 v1, v1, v0
	s_delay_alu instid0(VALU_DEP_1)
	v_sub_nc_u32_e32 v0, v1, v0
.LBB102_65:
	s_or_b32 exec_lo, exec_lo, s21
.LBB102_66:
	s_mov_b32 s21, -1
.LBB102_67:
	s_branch .LBB102_100
.LBB102_68:
	s_cmp_gt_i32 s19, 22
	s_cbranch_scc0 .LBB102_76
; %bb.69:
	s_cmp_lt_i32 s19, 24
	s_cbranch_scc1 .LBB102_79
; %bb.70:
	s_cmp_gt_i32 s19, 24
	s_cbranch_scc0 .LBB102_80
; %bb.71:
	s_wait_loadcnt 0x0
	global_load_u8 v1, v[2:3], off
	s_mov_b32 s22, 0
	s_mov_b32 s21, exec_lo
	s_wait_loadcnt 0x0
	v_cmpx_lt_i16_e32 0x7f, v1
	s_xor_b32 s21, exec_lo, s21
	s_cbranch_execz .LBB102_92
; %bb.72:
	v_cmp_ne_u16_e32 vcc_lo, 0x80, v1
	s_and_b32 s22, vcc_lo, exec_lo
	s_and_not1_saveexec_b32 s21, s21
	s_cbranch_execnz .LBB102_93
.LBB102_73:
	s_or_b32 exec_lo, exec_lo, s21
	v_mov_b32_e32 v0, 0
	s_and_saveexec_b32 s21, s22
	s_cbranch_execz .LBB102_75
.LBB102_74:
	v_and_b32_e32 v0, 0xffff, v1
	s_delay_alu instid0(VALU_DEP_1) | instskip(SKIP_1) | instid1(VALU_DEP_2)
	v_and_b32_e32 v4, 3, v0
	v_bfe_u32 v7, v0, 2, 5
	v_clz_i32_u32_e32 v5, v4
	s_delay_alu instid0(VALU_DEP_2) | instskip(NEXT) | instid1(VALU_DEP_2)
	v_cmp_eq_u32_e32 vcc_lo, 0, v7
	v_min_u32_e32 v5, 32, v5
	s_delay_alu instid0(VALU_DEP_1) | instskip(NEXT) | instid1(VALU_DEP_1)
	v_subrev_nc_u32_e32 v6, 29, v5
	v_dual_lshlrev_b32 v0, v6, v0 :: v_dual_sub_nc_u32 v5, 30, v5
	s_delay_alu instid0(VALU_DEP_1) | instskip(NEXT) | instid1(VALU_DEP_1)
	v_dual_lshlrev_b32 v1, 24, v1 :: v_dual_bitop2_b32 v0, 3, v0 bitop3:0x40
	v_dual_cndmask_b32 v0, v4, v0 :: v_dual_cndmask_b32 v5, v7, v5
	s_delay_alu instid0(VALU_DEP_2) | instskip(NEXT) | instid1(VALU_DEP_2)
	v_and_b32_e32 v1, 0x80000000, v1
	v_lshlrev_b32_e32 v0, 21, v0
	s_delay_alu instid0(VALU_DEP_3) | instskip(NEXT) | instid1(VALU_DEP_1)
	v_lshl_add_u32 v4, v5, 23, 0x37800000
	v_or3_b32 v0, v1, v4, v0
	s_delay_alu instid0(VALU_DEP_1) | instskip(NEXT) | instid1(VALU_DEP_1)
	v_trunc_f32_e32 v0, v0
	v_mul_f32_e64 v1, 0x2f800000, |v0|
	s_delay_alu instid0(VALU_DEP_1) | instskip(NEXT) | instid1(VALU_DEP_1)
	v_floor_f32_e32 v1, v1
	v_fma_f32 v1, 0xcf800000, v1, |v0|
	v_ashrrev_i32_e32 v0, 31, v0
	s_delay_alu instid0(VALU_DEP_2) | instskip(NEXT) | instid1(VALU_DEP_1)
	v_cvt_u32_f32_e32 v1, v1
	v_xor_b32_e32 v1, v1, v0
	s_delay_alu instid0(VALU_DEP_1)
	v_sub_nc_u32_e32 v0, v1, v0
.LBB102_75:
	s_or_b32 exec_lo, exec_lo, s21
	s_mov_b32 s21, 0
	s_branch .LBB102_81
.LBB102_76:
	s_mov_b32 s22, -1
                                        ; implicit-def: $vgpr0
	s_branch .LBB102_87
.LBB102_77:
	s_and_not1_saveexec_b32 s21, s21
	s_cbranch_execz .LBB102_63
.LBB102_78:
	v_cmp_ne_u16_e32 vcc_lo, 0, v1
	s_and_not1_b32 s22, s22, exec_lo
	s_and_b32 s26, vcc_lo, exec_lo
	s_delay_alu instid0(SALU_CYCLE_1)
	s_or_b32 s22, s22, s26
	s_or_b32 exec_lo, exec_lo, s21
	v_mov_b32_e32 v0, 0
	s_and_saveexec_b32 s21, s22
	s_cbranch_execnz .LBB102_64
	s_branch .LBB102_65
.LBB102_79:
	s_mov_b32 s21, -1
                                        ; implicit-def: $vgpr0
	s_branch .LBB102_84
.LBB102_80:
	s_mov_b32 s21, -1
                                        ; implicit-def: $vgpr0
.LBB102_81:
	s_delay_alu instid0(SALU_CYCLE_1)
	s_and_b32 vcc_lo, exec_lo, s21
	s_cbranch_vccz .LBB102_83
; %bb.82:
	s_wait_loadcnt 0x0
	global_load_u8 v0, v[2:3], off
	s_wait_loadcnt 0x0
	v_lshlrev_b32_e32 v0, 24, v0
	s_delay_alu instid0(VALU_DEP_1) | instskip(NEXT) | instid1(VALU_DEP_1)
	v_and_b32_e32 v1, 0x7f000000, v0
	v_clz_i32_u32_e32 v4, v1
	v_cmp_ne_u32_e32 vcc_lo, 0, v1
	v_add_nc_u32_e32 v6, 0x1000000, v1
	s_delay_alu instid0(VALU_DEP_3) | instskip(NEXT) | instid1(VALU_DEP_1)
	v_min_u32_e32 v4, 32, v4
	v_sub_nc_u32_e64 v4, v4, 4 clamp
	s_delay_alu instid0(VALU_DEP_1) | instskip(NEXT) | instid1(VALU_DEP_1)
	v_dual_lshlrev_b32 v5, v4, v1 :: v_dual_lshlrev_b32 v4, 23, v4
	v_lshrrev_b32_e32 v5, 4, v5
	s_delay_alu instid0(VALU_DEP_1) | instskip(NEXT) | instid1(VALU_DEP_1)
	v_dual_sub_nc_u32 v4, v5, v4 :: v_dual_ashrrev_i32 v5, 8, v6
	v_add_nc_u32_e32 v4, 0x3c000000, v4
	s_delay_alu instid0(VALU_DEP_1) | instskip(NEXT) | instid1(VALU_DEP_1)
	v_and_or_b32 v4, 0x7f800000, v5, v4
	v_cndmask_b32_e32 v1, 0, v4, vcc_lo
	s_delay_alu instid0(VALU_DEP_1) | instskip(NEXT) | instid1(VALU_DEP_1)
	v_and_or_b32 v0, 0x80000000, v0, v1
	v_trunc_f32_e32 v0, v0
	s_delay_alu instid0(VALU_DEP_1) | instskip(NEXT) | instid1(VALU_DEP_1)
	v_mul_f32_e64 v1, 0x2f800000, |v0|
	v_floor_f32_e32 v1, v1
	s_delay_alu instid0(VALU_DEP_1) | instskip(SKIP_1) | instid1(VALU_DEP_2)
	v_fma_f32 v1, 0xcf800000, v1, |v0|
	v_ashrrev_i32_e32 v0, 31, v0
	v_cvt_u32_f32_e32 v1, v1
	s_delay_alu instid0(VALU_DEP_1) | instskip(NEXT) | instid1(VALU_DEP_1)
	v_xor_b32_e32 v1, v1, v0
	v_sub_nc_u32_e32 v0, v1, v0
.LBB102_83:
	s_mov_b32 s21, 0
.LBB102_84:
	s_delay_alu instid0(SALU_CYCLE_1)
	s_and_not1_b32 vcc_lo, exec_lo, s21
	s_cbranch_vccnz .LBB102_86
; %bb.85:
	s_wait_loadcnt 0x0
	global_load_u8 v0, v[2:3], off
	s_wait_loadcnt 0x0
	v_lshlrev_b32_e32 v1, 25, v0
	v_lshlrev_b16 v0, 8, v0
	s_delay_alu instid0(VALU_DEP_1) | instskip(SKIP_1) | instid1(VALU_DEP_2)
	v_and_or_b32 v5, 0x7f00, v0, 0.5
	v_bfe_i32 v0, v0, 0, 16
	v_add_f32_e32 v5, -0.5, v5
	v_lshrrev_b32_e32 v4, 4, v1
	v_cmp_gt_u32_e32 vcc_lo, 0x8000000, v1
	s_delay_alu instid0(VALU_DEP_2) | instskip(NEXT) | instid1(VALU_DEP_1)
	v_or_b32_e32 v4, 0x70000000, v4
	v_mul_f32_e32 v4, 0x7800000, v4
	s_delay_alu instid0(VALU_DEP_1) | instskip(NEXT) | instid1(VALU_DEP_1)
	v_cndmask_b32_e32 v1, v4, v5, vcc_lo
	v_and_or_b32 v0, 0x80000000, v0, v1
	s_delay_alu instid0(VALU_DEP_1) | instskip(NEXT) | instid1(VALU_DEP_1)
	v_trunc_f32_e32 v0, v0
	v_mul_f32_e64 v1, 0x2f800000, |v0|
	s_delay_alu instid0(VALU_DEP_1) | instskip(NEXT) | instid1(VALU_DEP_1)
	v_floor_f32_e32 v1, v1
	v_fma_f32 v1, 0xcf800000, v1, |v0|
	v_ashrrev_i32_e32 v0, 31, v0
	s_delay_alu instid0(VALU_DEP_2) | instskip(NEXT) | instid1(VALU_DEP_1)
	v_cvt_u32_f32_e32 v1, v1
	v_xor_b32_e32 v1, v1, v0
	s_delay_alu instid0(VALU_DEP_1)
	v_sub_nc_u32_e32 v0, v1, v0
.LBB102_86:
	s_mov_b32 s22, 0
	s_mov_b32 s21, -1
.LBB102_87:
	s_and_not1_b32 vcc_lo, exec_lo, s22
	s_cbranch_vccnz .LBB102_100
; %bb.88:
	s_cmp_gt_i32 s19, 14
	s_cbranch_scc0 .LBB102_91
; %bb.89:
	s_cmp_eq_u32 s19, 15
	s_cbranch_scc0 .LBB102_94
; %bb.90:
	s_wait_loadcnt 0x0
	global_load_u16 v0, v[2:3], off
	s_mov_b32 s21, -1
	s_mov_b32 s23, 0
	s_wait_loadcnt 0x0
	v_lshlrev_b32_e32 v0, 16, v0
	s_delay_alu instid0(VALU_DEP_1) | instskip(NEXT) | instid1(VALU_DEP_1)
	v_trunc_f32_e32 v0, v0
	v_mul_f32_e64 v1, 0x2f800000, |v0|
	s_delay_alu instid0(VALU_DEP_1) | instskip(NEXT) | instid1(VALU_DEP_1)
	v_floor_f32_e32 v1, v1
	v_fma_f32 v1, 0xcf800000, v1, |v0|
	v_ashrrev_i32_e32 v0, 31, v0
	s_delay_alu instid0(VALU_DEP_2) | instskip(NEXT) | instid1(VALU_DEP_1)
	v_cvt_u32_f32_e32 v1, v1
	v_xor_b32_e32 v1, v1, v0
	s_delay_alu instid0(VALU_DEP_1)
	v_sub_nc_u32_e32 v0, v1, v0
	s_branch .LBB102_95
.LBB102_91:
	s_mov_b32 s22, -1
                                        ; implicit-def: $vgpr0
	s_branch .LBB102_96
.LBB102_92:
	s_and_not1_saveexec_b32 s21, s21
	s_cbranch_execz .LBB102_73
.LBB102_93:
	v_cmp_ne_u16_e32 vcc_lo, 0, v1
	s_and_not1_b32 s22, s22, exec_lo
	s_and_b32 s26, vcc_lo, exec_lo
	s_delay_alu instid0(SALU_CYCLE_1)
	s_or_b32 s22, s22, s26
	s_or_b32 exec_lo, exec_lo, s21
	v_mov_b32_e32 v0, 0
	s_and_saveexec_b32 s21, s22
	s_cbranch_execnz .LBB102_74
	s_branch .LBB102_75
.LBB102_94:
	s_mov_b32 s23, -1
                                        ; implicit-def: $vgpr0
.LBB102_95:
	s_mov_b32 s22, 0
.LBB102_96:
	s_delay_alu instid0(SALU_CYCLE_1)
	s_and_b32 vcc_lo, exec_lo, s22
	s_cbranch_vccz .LBB102_100
; %bb.97:
	s_cmp_eq_u32 s19, 11
	s_cbranch_scc0 .LBB102_99
; %bb.98:
	s_wait_loadcnt 0x0
	global_load_u8 v0, v[2:3], off
	s_mov_b32 s23, 0
	s_mov_b32 s21, -1
	s_wait_loadcnt 0x0
	v_cmp_ne_u16_e32 vcc_lo, 0, v0
	v_cndmask_b32_e64 v0, 0, 1, vcc_lo
	s_branch .LBB102_100
.LBB102_99:
	s_mov_b32 s23, -1
                                        ; implicit-def: $vgpr0
.LBB102_100:
	s_branch .LBB102_10
.LBB102_101:
	s_and_b32 s0, 0xffff, s0
	s_delay_alu instid0(SALU_CYCLE_1)
	s_cmp_lt_i32 s0, 5
	s_cbranch_scc1 .LBB102_106
; %bb.102:
	s_cmp_lt_i32 s0, 8
	s_cbranch_scc1 .LBB102_107
; %bb.103:
	;; [unrolled: 3-line block ×3, first 2 shown]
	s_cmp_gt_i32 s0, 9
	s_cbranch_scc0 .LBB102_109
; %bb.105:
	s_wait_loadcnt 0x0
	global_load_b64 v[0:1], v[2:3], off
	s_mov_b32 s19, 0
	s_wait_loadcnt 0x0
	v_trunc_f64_e32 v[0:1], v[0:1]
	s_delay_alu instid0(VALU_DEP_1) | instskip(NEXT) | instid1(VALU_DEP_1)
	v_ldexp_f64 v[4:5], v[0:1], 0xffffffe0
	v_floor_f64_e32 v[4:5], v[4:5]
	s_delay_alu instid0(VALU_DEP_1) | instskip(NEXT) | instid1(VALU_DEP_1)
	v_fmamk_f64 v[0:1], v[4:5], 0xc1f00000, v[0:1]
	v_cvt_u32_f64_e32 v0, v[0:1]
	s_branch .LBB102_110
.LBB102_106:
                                        ; implicit-def: $vgpr0
	s_branch .LBB102_128
.LBB102_107:
	s_mov_b32 s19, -1
                                        ; implicit-def: $vgpr0
	s_branch .LBB102_116
.LBB102_108:
	s_mov_b32 s19, -1
                                        ; implicit-def: $vgpr0
	s_branch .LBB102_113
.LBB102_109:
	s_mov_b32 s19, -1
                                        ; implicit-def: $vgpr0
.LBB102_110:
	s_delay_alu instid0(SALU_CYCLE_1)
	s_and_not1_b32 vcc_lo, exec_lo, s19
	s_cbranch_vccnz .LBB102_112
; %bb.111:
	s_wait_loadcnt 0x0
	global_load_b32 v0, v[2:3], off
	s_wait_loadcnt 0x0
	v_trunc_f32_e32 v0, v0
	s_delay_alu instid0(VALU_DEP_1) | instskip(NEXT) | instid1(VALU_DEP_1)
	v_mul_f32_e64 v1, 0x2f800000, |v0|
	v_floor_f32_e32 v1, v1
	s_delay_alu instid0(VALU_DEP_1) | instskip(SKIP_1) | instid1(VALU_DEP_2)
	v_fma_f32 v1, 0xcf800000, v1, |v0|
	v_ashrrev_i32_e32 v0, 31, v0
	v_cvt_u32_f32_e32 v1, v1
	s_delay_alu instid0(VALU_DEP_1) | instskip(NEXT) | instid1(VALU_DEP_1)
	v_xor_b32_e32 v1, v1, v0
	v_sub_nc_u32_e32 v0, v1, v0
.LBB102_112:
	s_mov_b32 s19, 0
.LBB102_113:
	s_delay_alu instid0(SALU_CYCLE_1)
	s_and_not1_b32 vcc_lo, exec_lo, s19
	s_cbranch_vccnz .LBB102_115
; %bb.114:
	s_wait_loadcnt 0x0
	global_load_b32 v0, v[2:3], off
	s_wait_loadcnt 0x0
	v_cvt_f32_f16_e32 v0, v0
	s_delay_alu instid0(VALU_DEP_1)
	v_cvt_i32_f32_e32 v0, v0
.LBB102_115:
	s_mov_b32 s19, 0
.LBB102_116:
	s_delay_alu instid0(SALU_CYCLE_1)
	s_and_not1_b32 vcc_lo, exec_lo, s19
	s_cbranch_vccnz .LBB102_127
; %bb.117:
	s_cmp_lt_i32 s0, 6
	s_cbranch_scc1 .LBB102_120
; %bb.118:
	s_cmp_gt_i32 s0, 6
	s_cbranch_scc0 .LBB102_121
; %bb.119:
	s_wait_loadcnt 0x0
	global_load_b64 v[0:1], v[2:3], off
	s_mov_b32 s19, 0
	s_wait_loadcnt 0x0
	v_trunc_f64_e32 v[0:1], v[0:1]
	s_delay_alu instid0(VALU_DEP_1) | instskip(NEXT) | instid1(VALU_DEP_1)
	v_ldexp_f64 v[4:5], v[0:1], 0xffffffe0
	v_floor_f64_e32 v[4:5], v[4:5]
	s_delay_alu instid0(VALU_DEP_1) | instskip(NEXT) | instid1(VALU_DEP_1)
	v_fmamk_f64 v[0:1], v[4:5], 0xc1f00000, v[0:1]
	v_cvt_u32_f64_e32 v0, v[0:1]
	s_branch .LBB102_122
.LBB102_120:
	s_mov_b32 s19, -1
                                        ; implicit-def: $vgpr0
	s_branch .LBB102_125
.LBB102_121:
	s_mov_b32 s19, -1
                                        ; implicit-def: $vgpr0
.LBB102_122:
	s_delay_alu instid0(SALU_CYCLE_1)
	s_and_not1_b32 vcc_lo, exec_lo, s19
	s_cbranch_vccnz .LBB102_124
; %bb.123:
	s_wait_loadcnt 0x0
	global_load_b32 v0, v[2:3], off
	s_wait_loadcnt 0x0
	v_trunc_f32_e32 v0, v0
	s_delay_alu instid0(VALU_DEP_1) | instskip(NEXT) | instid1(VALU_DEP_1)
	v_mul_f32_e64 v1, 0x2f800000, |v0|
	v_floor_f32_e32 v1, v1
	s_delay_alu instid0(VALU_DEP_1) | instskip(SKIP_1) | instid1(VALU_DEP_2)
	v_fma_f32 v1, 0xcf800000, v1, |v0|
	v_ashrrev_i32_e32 v0, 31, v0
	v_cvt_u32_f32_e32 v1, v1
	s_delay_alu instid0(VALU_DEP_1) | instskip(NEXT) | instid1(VALU_DEP_1)
	v_xor_b32_e32 v1, v1, v0
	v_sub_nc_u32_e32 v0, v1, v0
.LBB102_124:
	s_mov_b32 s19, 0
.LBB102_125:
	s_delay_alu instid0(SALU_CYCLE_1)
	s_and_not1_b32 vcc_lo, exec_lo, s19
	s_cbranch_vccnz .LBB102_127
; %bb.126:
	s_wait_loadcnt 0x0
	global_load_u16 v0, v[2:3], off
	s_wait_loadcnt 0x0
	v_cvt_f32_f16_e32 v0, v0
	s_delay_alu instid0(VALU_DEP_1)
	v_cvt_i32_f32_e32 v0, v0
.LBB102_127:
	s_cbranch_execnz .LBB102_147
.LBB102_128:
	s_cmp_lt_i32 s0, 2
	s_cbranch_scc1 .LBB102_132
; %bb.129:
	s_cmp_lt_i32 s0, 3
	s_cbranch_scc1 .LBB102_133
; %bb.130:
	s_cmp_gt_i32 s0, 3
	s_cbranch_scc0 .LBB102_134
; %bb.131:
	s_wait_loadcnt 0x0
	global_load_b64 v[0:1], v[2:3], off
	s_mov_b32 s19, 0
	s_branch .LBB102_135
.LBB102_132:
	s_mov_b32 s19, -1
                                        ; implicit-def: $vgpr0
	s_branch .LBB102_141
.LBB102_133:
	s_mov_b32 s19, -1
                                        ; implicit-def: $vgpr0
	s_branch .LBB102_138
.LBB102_134:
	s_mov_b32 s19, -1
                                        ; implicit-def: $vgpr0
.LBB102_135:
	s_delay_alu instid0(SALU_CYCLE_1)
	s_and_not1_b32 vcc_lo, exec_lo, s19
	s_cbranch_vccnz .LBB102_137
; %bb.136:
	s_wait_loadcnt 0x0
	global_load_b32 v0, v[2:3], off
.LBB102_137:
	s_mov_b32 s19, 0
.LBB102_138:
	s_delay_alu instid0(SALU_CYCLE_1)
	s_and_not1_b32 vcc_lo, exec_lo, s19
	s_cbranch_vccnz .LBB102_140
; %bb.139:
	s_wait_loadcnt 0x0
	global_load_u16 v0, v[2:3], off
.LBB102_140:
	s_mov_b32 s19, 0
.LBB102_141:
	s_delay_alu instid0(SALU_CYCLE_1)
	s_and_not1_b32 vcc_lo, exec_lo, s19
	s_cbranch_vccnz .LBB102_147
; %bb.142:
	s_cmp_gt_i32 s0, 0
	s_mov_b32 s0, 0
	s_cbranch_scc0 .LBB102_144
; %bb.143:
	s_wait_loadcnt 0x0
	global_load_u8 v0, v[2:3], off
	s_branch .LBB102_145
.LBB102_144:
	s_mov_b32 s0, -1
                                        ; implicit-def: $vgpr0
.LBB102_145:
	s_delay_alu instid0(SALU_CYCLE_1)
	s_and_not1_b32 vcc_lo, exec_lo, s0
	s_cbranch_vccnz .LBB102_147
; %bb.146:
	s_wait_loadcnt 0x0
	global_load_u8 v0, v[2:3], off
.LBB102_147:
	s_branch .LBB102_11
.LBB102_148:
	s_mov_b32 s0, 0
	s_mov_b32 s21, 0
	;; [unrolled: 1-line block ×3, first 2 shown]
	s_branch .LBB102_498
.LBB102_149:
	s_mov_b32 s22, -1
.LBB102_150:
	s_mov_b32 s21, 0
                                        ; implicit-def: $vgpr2
.LBB102_151:
	s_and_b32 vcc_lo, exec_lo, s26
	s_cbranch_vccz .LBB102_156
; %bb.152:
	s_cmp_eq_u32 s19, 44
	s_cbranch_scc0 .LBB102_155
; %bb.153:
	s_wait_loadcnt 0x0
	global_load_u8 v1, v[4:5], off
	s_mov_b32 s22, 0
	s_mov_b32 s21, -1
	s_wait_loadcnt 0x0
	v_lshlrev_b32_e32 v2, 23, v1
	v_cmp_ne_u32_e32 vcc_lo, 0, v1
	s_delay_alu instid0(VALU_DEP_2) | instskip(NEXT) | instid1(VALU_DEP_1)
	v_trunc_f32_e32 v2, v2
	v_mul_f32_e64 v3, 0x2f800000, |v2|
	s_delay_alu instid0(VALU_DEP_1) | instskip(NEXT) | instid1(VALU_DEP_1)
	v_floor_f32_e32 v3, v3
	v_fma_f32 v3, 0xcf800000, v3, |v2|
	v_ashrrev_i32_e32 v2, 31, v2
	s_delay_alu instid0(VALU_DEP_2) | instskip(NEXT) | instid1(VALU_DEP_1)
	v_cvt_u32_f32_e32 v3, v3
	v_xor_b32_e32 v3, v3, v2
	s_delay_alu instid0(VALU_DEP_1) | instskip(NEXT) | instid1(VALU_DEP_1)
	v_sub_nc_u32_e32 v2, v3, v2
	v_cndmask_b32_e32 v2, 0, v2, vcc_lo
	s_branch .LBB102_156
.LBB102_154:
	s_mov_b32 s26, -1
	s_mov_b32 s21, 0
	s_branch .LBB102_263
.LBB102_155:
	s_mov_b32 s22, -1
                                        ; implicit-def: $vgpr2
.LBB102_156:
	s_mov_b32 s26, 0
.LBB102_157:
	s_delay_alu instid0(SALU_CYCLE_1)
	s_and_b32 vcc_lo, exec_lo, s26
	s_cbranch_vccz .LBB102_161
; %bb.158:
	s_cmp_eq_u32 s19, 29
	s_cbranch_scc0 .LBB102_160
; %bb.159:
	global_load_b64 v[2:3], v[4:5], off
	s_mov_b32 s21, -1
	s_mov_b32 s22, 0
	s_branch .LBB102_161
.LBB102_160:
	s_mov_b32 s22, -1
                                        ; implicit-def: $vgpr2
.LBB102_161:
	s_mov_b32 s26, 0
.LBB102_162:
	s_delay_alu instid0(SALU_CYCLE_1)
	s_and_b32 vcc_lo, exec_lo, s26
	s_cbranch_vccz .LBB102_178
; %bb.163:
	s_cmp_lt_i32 s19, 27
	s_cbranch_scc1 .LBB102_166
; %bb.164:
	s_cmp_gt_i32 s19, 27
	s_cbranch_scc0 .LBB102_167
; %bb.165:
	s_wait_loadcnt 0x0
	global_load_b32 v2, v[4:5], off
	s_mov_b32 s21, 0
	s_branch .LBB102_168
.LBB102_166:
	s_mov_b32 s21, -1
                                        ; implicit-def: $vgpr2
	s_branch .LBB102_171
.LBB102_167:
	s_mov_b32 s21, -1
                                        ; implicit-def: $vgpr2
.LBB102_168:
	s_delay_alu instid0(SALU_CYCLE_1)
	s_and_not1_b32 vcc_lo, exec_lo, s21
	s_cbranch_vccnz .LBB102_170
; %bb.169:
	s_wait_loadcnt 0x0
	global_load_u16 v2, v[4:5], off
.LBB102_170:
	s_mov_b32 s21, 0
.LBB102_171:
	s_delay_alu instid0(SALU_CYCLE_1)
	s_and_not1_b32 vcc_lo, exec_lo, s21
	s_cbranch_vccnz .LBB102_177
; %bb.172:
	s_wait_loadcnt 0x0
	global_load_u8 v1, v[4:5], off
	s_mov_b32 s26, 0
	s_mov_b32 s21, exec_lo
	s_wait_loadcnt 0x0
	v_cmpx_lt_i16_e32 0x7f, v1
	s_xor_b32 s21, exec_lo, s21
	s_cbranch_execz .LBB102_189
; %bb.173:
	v_cmp_ne_u16_e32 vcc_lo, 0x80, v1
	s_and_b32 s26, vcc_lo, exec_lo
	s_and_not1_saveexec_b32 s21, s21
	s_cbranch_execnz .LBB102_190
.LBB102_174:
	s_or_b32 exec_lo, exec_lo, s21
	v_mov_b32_e32 v2, 0
	s_and_saveexec_b32 s21, s26
	s_cbranch_execz .LBB102_176
.LBB102_175:
	v_and_b32_e32 v2, 0xffff, v1
	s_delay_alu instid0(VALU_DEP_1) | instskip(SKIP_1) | instid1(VALU_DEP_2)
	v_dual_lshlrev_b32 v1, 24, v1 :: v_dual_bitop2_b32 v3, 7, v2 bitop3:0x40
	v_bfe_u32 v8, v2, 3, 4
	v_and_b32_e32 v1, 0x80000000, v1
	s_delay_alu instid0(VALU_DEP_3) | instskip(NEXT) | instid1(VALU_DEP_3)
	v_clz_i32_u32_e32 v6, v3
	v_cmp_eq_u32_e32 vcc_lo, 0, v8
	s_delay_alu instid0(VALU_DEP_2) | instskip(NEXT) | instid1(VALU_DEP_1)
	v_min_u32_e32 v6, 32, v6
	v_subrev_nc_u32_e32 v7, 28, v6
	v_sub_nc_u32_e32 v6, 29, v6
	s_delay_alu instid0(VALU_DEP_2) | instskip(NEXT) | instid1(VALU_DEP_2)
	v_lshlrev_b32_e32 v2, v7, v2
	v_cndmask_b32_e32 v6, v8, v6, vcc_lo
	s_delay_alu instid0(VALU_DEP_2) | instskip(NEXT) | instid1(VALU_DEP_1)
	v_and_b32_e32 v2, 7, v2
	v_cndmask_b32_e32 v2, v3, v2, vcc_lo
	s_delay_alu instid0(VALU_DEP_3) | instskip(NEXT) | instid1(VALU_DEP_2)
	v_lshl_add_u32 v3, v6, 23, 0x3b800000
	v_lshlrev_b32_e32 v2, 20, v2
	s_delay_alu instid0(VALU_DEP_1) | instskip(NEXT) | instid1(VALU_DEP_1)
	v_or3_b32 v1, v1, v3, v2
	v_trunc_f32_e32 v1, v1
	s_delay_alu instid0(VALU_DEP_1) | instskip(NEXT) | instid1(VALU_DEP_1)
	v_mul_f32_e64 v2, 0x2f800000, |v1|
	v_floor_f32_e32 v2, v2
	s_delay_alu instid0(VALU_DEP_1) | instskip(SKIP_1) | instid1(VALU_DEP_2)
	v_fma_f32 v2, 0xcf800000, v2, |v1|
	v_ashrrev_i32_e32 v1, 31, v1
	v_cvt_u32_f32_e32 v2, v2
	s_delay_alu instid0(VALU_DEP_1) | instskip(NEXT) | instid1(VALU_DEP_1)
	v_xor_b32_e32 v2, v2, v1
	v_sub_nc_u32_e32 v2, v2, v1
.LBB102_176:
	s_or_b32 exec_lo, exec_lo, s21
.LBB102_177:
	s_mov_b32 s21, -1
.LBB102_178:
	s_mov_b32 s26, 0
.LBB102_179:
	s_delay_alu instid0(SALU_CYCLE_1)
	s_and_b32 vcc_lo, exec_lo, s26
	s_cbranch_vccz .LBB102_212
; %bb.180:
	s_cmp_gt_i32 s19, 22
	s_cbranch_scc0 .LBB102_188
; %bb.181:
	s_cmp_lt_i32 s19, 24
	s_cbranch_scc1 .LBB102_191
; %bb.182:
	s_cmp_gt_i32 s19, 24
	s_cbranch_scc0 .LBB102_192
; %bb.183:
	s_wait_loadcnt 0x0
	global_load_u8 v1, v[4:5], off
	s_mov_b32 s26, 0
	s_mov_b32 s21, exec_lo
	s_wait_loadcnt 0x0
	v_cmpx_lt_i16_e32 0x7f, v1
	s_xor_b32 s21, exec_lo, s21
	s_cbranch_execz .LBB102_204
; %bb.184:
	v_cmp_ne_u16_e32 vcc_lo, 0x80, v1
	s_and_b32 s26, vcc_lo, exec_lo
	s_and_not1_saveexec_b32 s21, s21
	s_cbranch_execnz .LBB102_205
.LBB102_185:
	s_or_b32 exec_lo, exec_lo, s21
	v_mov_b32_e32 v2, 0
	s_and_saveexec_b32 s21, s26
	s_cbranch_execz .LBB102_187
.LBB102_186:
	v_and_b32_e32 v2, 0xffff, v1
	s_delay_alu instid0(VALU_DEP_1) | instskip(SKIP_1) | instid1(VALU_DEP_2)
	v_dual_lshlrev_b32 v1, 24, v1 :: v_dual_bitop2_b32 v3, 3, v2 bitop3:0x40
	v_bfe_u32 v8, v2, 2, 5
	v_and_b32_e32 v1, 0x80000000, v1
	s_delay_alu instid0(VALU_DEP_3) | instskip(NEXT) | instid1(VALU_DEP_3)
	v_clz_i32_u32_e32 v6, v3
	v_cmp_eq_u32_e32 vcc_lo, 0, v8
	s_delay_alu instid0(VALU_DEP_2) | instskip(NEXT) | instid1(VALU_DEP_1)
	v_min_u32_e32 v6, 32, v6
	v_subrev_nc_u32_e32 v7, 29, v6
	v_sub_nc_u32_e32 v6, 30, v6
	s_delay_alu instid0(VALU_DEP_2) | instskip(NEXT) | instid1(VALU_DEP_2)
	v_lshlrev_b32_e32 v2, v7, v2
	v_cndmask_b32_e32 v6, v8, v6, vcc_lo
	s_delay_alu instid0(VALU_DEP_2) | instskip(NEXT) | instid1(VALU_DEP_1)
	v_and_b32_e32 v2, 3, v2
	v_cndmask_b32_e32 v2, v3, v2, vcc_lo
	s_delay_alu instid0(VALU_DEP_3) | instskip(NEXT) | instid1(VALU_DEP_2)
	v_lshl_add_u32 v3, v6, 23, 0x37800000
	v_lshlrev_b32_e32 v2, 21, v2
	s_delay_alu instid0(VALU_DEP_1) | instskip(NEXT) | instid1(VALU_DEP_1)
	v_or3_b32 v1, v1, v3, v2
	v_trunc_f32_e32 v1, v1
	s_delay_alu instid0(VALU_DEP_1) | instskip(NEXT) | instid1(VALU_DEP_1)
	v_mul_f32_e64 v2, 0x2f800000, |v1|
	v_floor_f32_e32 v2, v2
	s_delay_alu instid0(VALU_DEP_1) | instskip(SKIP_1) | instid1(VALU_DEP_2)
	v_fma_f32 v2, 0xcf800000, v2, |v1|
	v_ashrrev_i32_e32 v1, 31, v1
	v_cvt_u32_f32_e32 v2, v2
	s_delay_alu instid0(VALU_DEP_1) | instskip(NEXT) | instid1(VALU_DEP_1)
	v_xor_b32_e32 v2, v2, v1
	v_sub_nc_u32_e32 v2, v2, v1
.LBB102_187:
	s_or_b32 exec_lo, exec_lo, s21
	s_mov_b32 s21, 0
	s_branch .LBB102_193
.LBB102_188:
	s_mov_b32 s26, -1
                                        ; implicit-def: $vgpr2
	s_branch .LBB102_199
.LBB102_189:
	s_and_not1_saveexec_b32 s21, s21
	s_cbranch_execz .LBB102_174
.LBB102_190:
	v_cmp_ne_u16_e32 vcc_lo, 0, v1
	s_and_not1_b32 s26, s26, exec_lo
	s_and_b32 s27, vcc_lo, exec_lo
	s_delay_alu instid0(SALU_CYCLE_1)
	s_or_b32 s26, s26, s27
	s_or_b32 exec_lo, exec_lo, s21
	v_mov_b32_e32 v2, 0
	s_and_saveexec_b32 s21, s26
	s_cbranch_execnz .LBB102_175
	s_branch .LBB102_176
.LBB102_191:
	s_mov_b32 s21, -1
                                        ; implicit-def: $vgpr2
	s_branch .LBB102_196
.LBB102_192:
	s_mov_b32 s21, -1
                                        ; implicit-def: $vgpr2
.LBB102_193:
	s_delay_alu instid0(SALU_CYCLE_1)
	s_and_b32 vcc_lo, exec_lo, s21
	s_cbranch_vccz .LBB102_195
; %bb.194:
	s_wait_loadcnt 0x0
	global_load_u8 v1, v[4:5], off
	s_wait_loadcnt 0x0
	v_lshlrev_b32_e32 v1, 24, v1
	s_delay_alu instid0(VALU_DEP_1) | instskip(NEXT) | instid1(VALU_DEP_1)
	v_and_b32_e32 v2, 0x7f000000, v1
	v_clz_i32_u32_e32 v3, v2
	v_cmp_ne_u32_e32 vcc_lo, 0, v2
	v_add_nc_u32_e32 v7, 0x1000000, v2
	s_delay_alu instid0(VALU_DEP_3) | instskip(NEXT) | instid1(VALU_DEP_1)
	v_min_u32_e32 v3, 32, v3
	v_sub_nc_u32_e64 v3, v3, 4 clamp
	s_delay_alu instid0(VALU_DEP_1) | instskip(NEXT) | instid1(VALU_DEP_1)
	v_dual_lshlrev_b32 v6, v3, v2 :: v_dual_lshlrev_b32 v3, 23, v3
	v_lshrrev_b32_e32 v6, 4, v6
	s_delay_alu instid0(VALU_DEP_1) | instskip(SKIP_1) | instid1(VALU_DEP_2)
	v_sub_nc_u32_e32 v3, v6, v3
	v_ashrrev_i32_e32 v6, 8, v7
	v_add_nc_u32_e32 v3, 0x3c000000, v3
	s_delay_alu instid0(VALU_DEP_1) | instskip(NEXT) | instid1(VALU_DEP_1)
	v_and_or_b32 v3, 0x7f800000, v6, v3
	v_cndmask_b32_e32 v2, 0, v3, vcc_lo
	s_delay_alu instid0(VALU_DEP_1) | instskip(NEXT) | instid1(VALU_DEP_1)
	v_and_or_b32 v1, 0x80000000, v1, v2
	v_trunc_f32_e32 v1, v1
	s_delay_alu instid0(VALU_DEP_1) | instskip(NEXT) | instid1(VALU_DEP_1)
	v_mul_f32_e64 v2, 0x2f800000, |v1|
	v_floor_f32_e32 v2, v2
	s_delay_alu instid0(VALU_DEP_1) | instskip(SKIP_1) | instid1(VALU_DEP_2)
	v_fma_f32 v2, 0xcf800000, v2, |v1|
	v_ashrrev_i32_e32 v1, 31, v1
	v_cvt_u32_f32_e32 v2, v2
	s_delay_alu instid0(VALU_DEP_1) | instskip(NEXT) | instid1(VALU_DEP_1)
	v_xor_b32_e32 v2, v2, v1
	v_sub_nc_u32_e32 v2, v2, v1
.LBB102_195:
	s_mov_b32 s21, 0
.LBB102_196:
	s_delay_alu instid0(SALU_CYCLE_1)
	s_and_not1_b32 vcc_lo, exec_lo, s21
	s_cbranch_vccnz .LBB102_198
; %bb.197:
	s_wait_loadcnt 0x0
	global_load_u8 v1, v[4:5], off
	s_wait_loadcnt 0x0
	v_lshlrev_b32_e32 v2, 25, v1
	v_lshlrev_b16 v1, 8, v1
	s_delay_alu instid0(VALU_DEP_1) | instskip(SKIP_1) | instid1(VALU_DEP_2)
	v_and_or_b32 v6, 0x7f00, v1, 0.5
	v_bfe_i32 v1, v1, 0, 16
	v_add_f32_e32 v6, -0.5, v6
	v_lshrrev_b32_e32 v3, 4, v2
	v_cmp_gt_u32_e32 vcc_lo, 0x8000000, v2
	s_delay_alu instid0(VALU_DEP_2) | instskip(NEXT) | instid1(VALU_DEP_1)
	v_or_b32_e32 v3, 0x70000000, v3
	v_mul_f32_e32 v3, 0x7800000, v3
	s_delay_alu instid0(VALU_DEP_1) | instskip(NEXT) | instid1(VALU_DEP_1)
	v_cndmask_b32_e32 v2, v3, v6, vcc_lo
	v_and_or_b32 v1, 0x80000000, v1, v2
	s_delay_alu instid0(VALU_DEP_1) | instskip(NEXT) | instid1(VALU_DEP_1)
	v_trunc_f32_e32 v1, v1
	v_mul_f32_e64 v2, 0x2f800000, |v1|
	s_delay_alu instid0(VALU_DEP_1) | instskip(NEXT) | instid1(VALU_DEP_1)
	v_floor_f32_e32 v2, v2
	v_fma_f32 v2, 0xcf800000, v2, |v1|
	v_ashrrev_i32_e32 v1, 31, v1
	s_delay_alu instid0(VALU_DEP_2) | instskip(NEXT) | instid1(VALU_DEP_1)
	v_cvt_u32_f32_e32 v2, v2
	v_xor_b32_e32 v2, v2, v1
	s_delay_alu instid0(VALU_DEP_1)
	v_sub_nc_u32_e32 v2, v2, v1
.LBB102_198:
	s_mov_b32 s26, 0
	s_mov_b32 s21, -1
.LBB102_199:
	s_and_not1_b32 vcc_lo, exec_lo, s26
	s_cbranch_vccnz .LBB102_212
; %bb.200:
	s_cmp_gt_i32 s19, 14
	s_cbranch_scc0 .LBB102_203
; %bb.201:
	s_cmp_eq_u32 s19, 15
	s_cbranch_scc0 .LBB102_206
; %bb.202:
	s_wait_loadcnt 0x0
	global_load_u16 v1, v[4:5], off
	s_mov_b32 s21, -1
	s_mov_b32 s22, 0
	s_wait_loadcnt 0x0
	v_lshlrev_b32_e32 v1, 16, v1
	s_delay_alu instid0(VALU_DEP_1) | instskip(NEXT) | instid1(VALU_DEP_1)
	v_trunc_f32_e32 v1, v1
	v_mul_f32_e64 v2, 0x2f800000, |v1|
	s_delay_alu instid0(VALU_DEP_1) | instskip(NEXT) | instid1(VALU_DEP_1)
	v_floor_f32_e32 v2, v2
	v_fma_f32 v2, 0xcf800000, v2, |v1|
	v_ashrrev_i32_e32 v1, 31, v1
	s_delay_alu instid0(VALU_DEP_2) | instskip(NEXT) | instid1(VALU_DEP_1)
	v_cvt_u32_f32_e32 v2, v2
	v_xor_b32_e32 v2, v2, v1
	s_delay_alu instid0(VALU_DEP_1)
	v_sub_nc_u32_e32 v2, v2, v1
	s_branch .LBB102_207
.LBB102_203:
	s_mov_b32 s26, -1
                                        ; implicit-def: $vgpr2
	s_branch .LBB102_208
.LBB102_204:
	s_and_not1_saveexec_b32 s21, s21
	s_cbranch_execz .LBB102_185
.LBB102_205:
	v_cmp_ne_u16_e32 vcc_lo, 0, v1
	s_and_not1_b32 s26, s26, exec_lo
	s_and_b32 s27, vcc_lo, exec_lo
	s_delay_alu instid0(SALU_CYCLE_1)
	s_or_b32 s26, s26, s27
	s_or_b32 exec_lo, exec_lo, s21
	v_mov_b32_e32 v2, 0
	s_and_saveexec_b32 s21, s26
	s_cbranch_execnz .LBB102_186
	s_branch .LBB102_187
.LBB102_206:
	s_mov_b32 s22, -1
                                        ; implicit-def: $vgpr2
.LBB102_207:
	s_mov_b32 s26, 0
.LBB102_208:
	s_delay_alu instid0(SALU_CYCLE_1)
	s_and_b32 vcc_lo, exec_lo, s26
	s_cbranch_vccz .LBB102_212
; %bb.209:
	s_cmp_eq_u32 s19, 11
	s_cbranch_scc0 .LBB102_211
; %bb.210:
	s_wait_loadcnt 0x0
	global_load_u8 v1, v[4:5], off
	s_mov_b32 s22, 0
	s_mov_b32 s21, -1
	s_wait_loadcnt 0x0
	v_cmp_ne_u16_e32 vcc_lo, 0, v1
	v_cndmask_b32_e64 v2, 0, 1, vcc_lo
	s_branch .LBB102_212
.LBB102_211:
	s_mov_b32 s22, -1
                                        ; implicit-def: $vgpr2
.LBB102_212:
	s_branch .LBB102_20
.LBB102_213:
	s_and_b32 s0, 0xffff, s0
	s_delay_alu instid0(SALU_CYCLE_1)
	s_cmp_lt_i32 s0, 5
	s_cbranch_scc1 .LBB102_218
; %bb.214:
	s_cmp_lt_i32 s0, 8
	s_cbranch_scc1 .LBB102_219
; %bb.215:
	;; [unrolled: 3-line block ×3, first 2 shown]
	s_cmp_gt_i32 s0, 9
	s_cbranch_scc0 .LBB102_221
; %bb.217:
	s_wait_loadcnt 0x0
	global_load_b64 v[2:3], v[4:5], off
	s_mov_b32 s19, 0
	s_wait_loadcnt 0x0
	v_trunc_f64_e32 v[2:3], v[2:3]
	s_delay_alu instid0(VALU_DEP_1) | instskip(NEXT) | instid1(VALU_DEP_1)
	v_ldexp_f64 v[6:7], v[2:3], 0xffffffe0
	v_floor_f64_e32 v[6:7], v[6:7]
	s_delay_alu instid0(VALU_DEP_1) | instskip(NEXT) | instid1(VALU_DEP_1)
	v_fmamk_f64 v[2:3], v[6:7], 0xc1f00000, v[2:3]
	v_cvt_u32_f64_e32 v2, v[2:3]
	s_branch .LBB102_222
.LBB102_218:
	s_mov_b32 s19, -1
                                        ; implicit-def: $vgpr2
	s_branch .LBB102_240
.LBB102_219:
	s_mov_b32 s19, -1
                                        ; implicit-def: $vgpr2
	s_branch .LBB102_228
.LBB102_220:
	s_mov_b32 s19, -1
                                        ; implicit-def: $vgpr2
	s_branch .LBB102_225
.LBB102_221:
	s_mov_b32 s19, -1
                                        ; implicit-def: $vgpr2
.LBB102_222:
	s_delay_alu instid0(SALU_CYCLE_1)
	s_and_not1_b32 vcc_lo, exec_lo, s19
	s_cbranch_vccnz .LBB102_224
; %bb.223:
	s_wait_loadcnt 0x0
	global_load_b32 v1, v[4:5], off
	s_wait_loadcnt 0x0
	v_trunc_f32_e32 v1, v1
	s_delay_alu instid0(VALU_DEP_1) | instskip(NEXT) | instid1(VALU_DEP_1)
	v_mul_f32_e64 v2, 0x2f800000, |v1|
	v_floor_f32_e32 v2, v2
	s_delay_alu instid0(VALU_DEP_1) | instskip(SKIP_1) | instid1(VALU_DEP_2)
	v_fma_f32 v2, 0xcf800000, v2, |v1|
	v_ashrrev_i32_e32 v1, 31, v1
	v_cvt_u32_f32_e32 v2, v2
	s_delay_alu instid0(VALU_DEP_1) | instskip(NEXT) | instid1(VALU_DEP_1)
	v_xor_b32_e32 v2, v2, v1
	v_sub_nc_u32_e32 v2, v2, v1
.LBB102_224:
	s_mov_b32 s19, 0
.LBB102_225:
	s_delay_alu instid0(SALU_CYCLE_1)
	s_and_not1_b32 vcc_lo, exec_lo, s19
	s_cbranch_vccnz .LBB102_227
; %bb.226:
	s_wait_loadcnt 0x0
	global_load_b32 v1, v[4:5], off
	s_wait_loadcnt 0x0
	v_cvt_f32_f16_e32 v1, v1
	s_delay_alu instid0(VALU_DEP_1)
	v_cvt_i32_f32_e32 v2, v1
.LBB102_227:
	s_mov_b32 s19, 0
.LBB102_228:
	s_delay_alu instid0(SALU_CYCLE_1)
	s_and_not1_b32 vcc_lo, exec_lo, s19
	s_cbranch_vccnz .LBB102_239
; %bb.229:
	s_cmp_lt_i32 s0, 6
	s_cbranch_scc1 .LBB102_232
; %bb.230:
	s_cmp_gt_i32 s0, 6
	s_cbranch_scc0 .LBB102_233
; %bb.231:
	s_wait_loadcnt 0x0
	global_load_b64 v[2:3], v[4:5], off
	s_mov_b32 s19, 0
	s_wait_loadcnt 0x0
	v_trunc_f64_e32 v[2:3], v[2:3]
	s_delay_alu instid0(VALU_DEP_1) | instskip(NEXT) | instid1(VALU_DEP_1)
	v_ldexp_f64 v[6:7], v[2:3], 0xffffffe0
	v_floor_f64_e32 v[6:7], v[6:7]
	s_delay_alu instid0(VALU_DEP_1) | instskip(NEXT) | instid1(VALU_DEP_1)
	v_fmamk_f64 v[2:3], v[6:7], 0xc1f00000, v[2:3]
	v_cvt_u32_f64_e32 v2, v[2:3]
	s_branch .LBB102_234
.LBB102_232:
	s_mov_b32 s19, -1
                                        ; implicit-def: $vgpr2
	s_branch .LBB102_237
.LBB102_233:
	s_mov_b32 s19, -1
                                        ; implicit-def: $vgpr2
.LBB102_234:
	s_delay_alu instid0(SALU_CYCLE_1)
	s_and_not1_b32 vcc_lo, exec_lo, s19
	s_cbranch_vccnz .LBB102_236
; %bb.235:
	s_wait_loadcnt 0x0
	global_load_b32 v1, v[4:5], off
	s_wait_loadcnt 0x0
	v_trunc_f32_e32 v1, v1
	s_delay_alu instid0(VALU_DEP_1) | instskip(NEXT) | instid1(VALU_DEP_1)
	v_mul_f32_e64 v2, 0x2f800000, |v1|
	v_floor_f32_e32 v2, v2
	s_delay_alu instid0(VALU_DEP_1) | instskip(SKIP_1) | instid1(VALU_DEP_2)
	v_fma_f32 v2, 0xcf800000, v2, |v1|
	v_ashrrev_i32_e32 v1, 31, v1
	v_cvt_u32_f32_e32 v2, v2
	s_delay_alu instid0(VALU_DEP_1) | instskip(NEXT) | instid1(VALU_DEP_1)
	v_xor_b32_e32 v2, v2, v1
	v_sub_nc_u32_e32 v2, v2, v1
.LBB102_236:
	s_mov_b32 s19, 0
.LBB102_237:
	s_delay_alu instid0(SALU_CYCLE_1)
	s_and_not1_b32 vcc_lo, exec_lo, s19
	s_cbranch_vccnz .LBB102_239
; %bb.238:
	s_wait_loadcnt 0x0
	global_load_u16 v1, v[4:5], off
	s_wait_loadcnt 0x0
	v_cvt_f32_f16_e32 v1, v1
	s_delay_alu instid0(VALU_DEP_1)
	v_cvt_i32_f32_e32 v2, v1
.LBB102_239:
	s_mov_b32 s19, 0
.LBB102_240:
	s_delay_alu instid0(SALU_CYCLE_1)
	s_and_not1_b32 vcc_lo, exec_lo, s19
	s_cbranch_vccnz .LBB102_260
; %bb.241:
	s_cmp_lt_i32 s0, 2
	s_cbranch_scc1 .LBB102_245
; %bb.242:
	s_cmp_lt_i32 s0, 3
	s_cbranch_scc1 .LBB102_246
; %bb.243:
	s_cmp_gt_i32 s0, 3
	s_cbranch_scc0 .LBB102_247
; %bb.244:
	s_wait_loadcnt 0x0
	global_load_b64 v[2:3], v[4:5], off
	s_mov_b32 s19, 0
	s_branch .LBB102_248
.LBB102_245:
	s_mov_b32 s19, -1
                                        ; implicit-def: $vgpr2
	s_branch .LBB102_254
.LBB102_246:
	s_mov_b32 s19, -1
                                        ; implicit-def: $vgpr2
	s_branch .LBB102_251
.LBB102_247:
	s_mov_b32 s19, -1
                                        ; implicit-def: $vgpr2
.LBB102_248:
	s_delay_alu instid0(SALU_CYCLE_1)
	s_and_not1_b32 vcc_lo, exec_lo, s19
	s_cbranch_vccnz .LBB102_250
; %bb.249:
	s_wait_loadcnt 0x0
	global_load_b32 v2, v[4:5], off
.LBB102_250:
	s_mov_b32 s19, 0
.LBB102_251:
	s_delay_alu instid0(SALU_CYCLE_1)
	s_and_not1_b32 vcc_lo, exec_lo, s19
	s_cbranch_vccnz .LBB102_253
; %bb.252:
	s_wait_loadcnt 0x0
	global_load_u16 v2, v[4:5], off
.LBB102_253:
	s_mov_b32 s19, 0
.LBB102_254:
	s_delay_alu instid0(SALU_CYCLE_1)
	s_and_not1_b32 vcc_lo, exec_lo, s19
	s_cbranch_vccnz .LBB102_260
; %bb.255:
	s_cmp_gt_i32 s0, 0
	s_mov_b32 s0, 0
	s_cbranch_scc0 .LBB102_257
; %bb.256:
	s_wait_loadcnt 0x0
	global_load_u8 v2, v[4:5], off
	s_branch .LBB102_258
.LBB102_257:
	s_mov_b32 s0, -1
                                        ; implicit-def: $vgpr2
.LBB102_258:
	s_delay_alu instid0(SALU_CYCLE_1)
	s_and_not1_b32 vcc_lo, exec_lo, s0
	s_cbranch_vccnz .LBB102_260
; %bb.259:
	s_wait_loadcnt 0x0
	global_load_u8 v2, v[4:5], off
.LBB102_260:
	s_branch .LBB102_21
.LBB102_261:
	s_mov_b32 s0, 0
	s_mov_b32 s21, 0
	s_branch .LBB102_498
.LBB102_262:
	s_mov_b32 s21, -1
.LBB102_263:
	s_mov_b32 s19, 0
                                        ; implicit-def: $vgpr6
.LBB102_264:
	s_and_b32 vcc_lo, exec_lo, s26
	s_cbranch_vccz .LBB102_268
; %bb.265:
	s_cmp_eq_u32 s0, 44
	s_cbranch_scc0 .LBB102_267
; %bb.266:
	s_wait_loadcnt 0x0
	global_load_u8 v1, v[4:5], off
	s_mov_b32 s21, 0
	s_mov_b32 s19, -1
	s_wait_loadcnt 0x0
	v_lshlrev_b32_e32 v3, 23, v1
	v_cmp_ne_u32_e32 vcc_lo, 0, v1
	s_delay_alu instid0(VALU_DEP_2) | instskip(NEXT) | instid1(VALU_DEP_1)
	v_trunc_f32_e32 v3, v3
	v_mul_f32_e64 v6, 0x2f800000, |v3|
	s_delay_alu instid0(VALU_DEP_1) | instskip(NEXT) | instid1(VALU_DEP_1)
	v_floor_f32_e32 v6, v6
	v_fma_f32 v6, 0xcf800000, v6, |v3|
	v_ashrrev_i32_e32 v3, 31, v3
	s_delay_alu instid0(VALU_DEP_2) | instskip(NEXT) | instid1(VALU_DEP_1)
	v_cvt_u32_f32_e32 v6, v6
	v_xor_b32_e32 v6, v6, v3
	s_delay_alu instid0(VALU_DEP_1) | instskip(NEXT) | instid1(VALU_DEP_1)
	v_sub_nc_u32_e32 v3, v6, v3
	v_cndmask_b32_e32 v6, 0, v3, vcc_lo
	s_branch .LBB102_268
.LBB102_267:
	s_mov_b32 s21, -1
                                        ; implicit-def: $vgpr6
.LBB102_268:
	s_mov_b32 s26, 0
.LBB102_269:
	s_delay_alu instid0(SALU_CYCLE_1)
	s_and_b32 vcc_lo, exec_lo, s26
	s_cbranch_vccz .LBB102_273
; %bb.270:
	s_cmp_eq_u32 s0, 29
	s_cbranch_scc0 .LBB102_272
; %bb.271:
	global_load_b64 v[6:7], v[4:5], off
	s_mov_b32 s19, -1
	s_mov_b32 s21, 0
	s_branch .LBB102_273
.LBB102_272:
	s_mov_b32 s21, -1
                                        ; implicit-def: $vgpr6
.LBB102_273:
	s_mov_b32 s26, 0
.LBB102_274:
	s_delay_alu instid0(SALU_CYCLE_1)
	s_and_b32 vcc_lo, exec_lo, s26
	s_cbranch_vccz .LBB102_290
; %bb.275:
	s_cmp_lt_i32 s0, 27
	s_cbranch_scc1 .LBB102_278
; %bb.276:
	s_cmp_gt_i32 s0, 27
	s_cbranch_scc0 .LBB102_279
; %bb.277:
	s_wait_loadcnt 0x0
	global_load_b32 v6, v[4:5], off
	s_mov_b32 s19, 0
	s_branch .LBB102_280
.LBB102_278:
	s_mov_b32 s19, -1
                                        ; implicit-def: $vgpr6
	s_branch .LBB102_283
.LBB102_279:
	s_mov_b32 s19, -1
                                        ; implicit-def: $vgpr6
.LBB102_280:
	s_delay_alu instid0(SALU_CYCLE_1)
	s_and_not1_b32 vcc_lo, exec_lo, s19
	s_cbranch_vccnz .LBB102_282
; %bb.281:
	s_wait_loadcnt 0x0
	global_load_u16 v6, v[4:5], off
.LBB102_282:
	s_mov_b32 s19, 0
.LBB102_283:
	s_delay_alu instid0(SALU_CYCLE_1)
	s_and_not1_b32 vcc_lo, exec_lo, s19
	s_cbranch_vccnz .LBB102_289
; %bb.284:
	s_wait_loadcnt 0x0
	global_load_u8 v1, v[4:5], off
	s_mov_b32 s26, 0
	s_mov_b32 s19, exec_lo
	s_wait_loadcnt 0x0
	v_cmpx_lt_i16_e32 0x7f, v1
	s_xor_b32 s19, exec_lo, s19
	s_cbranch_execz .LBB102_301
; %bb.285:
	v_cmp_ne_u16_e32 vcc_lo, 0x80, v1
	s_and_b32 s26, vcc_lo, exec_lo
	s_and_not1_saveexec_b32 s19, s19
	s_cbranch_execnz .LBB102_302
.LBB102_286:
	s_or_b32 exec_lo, exec_lo, s19
	v_mov_b32_e32 v6, 0
	s_and_saveexec_b32 s19, s26
	s_cbranch_execz .LBB102_288
.LBB102_287:
	v_and_b32_e32 v3, 0xffff, v1
	s_delay_alu instid0(VALU_DEP_1) | instskip(SKIP_1) | instid1(VALU_DEP_2)
	v_dual_lshlrev_b32 v1, 24, v1 :: v_dual_bitop2_b32 v6, 7, v3 bitop3:0x40
	v_bfe_u32 v9, v3, 3, 4
	v_and_b32_e32 v1, 0x80000000, v1
	s_delay_alu instid0(VALU_DEP_3) | instskip(NEXT) | instid1(VALU_DEP_3)
	v_clz_i32_u32_e32 v7, v6
	v_cmp_eq_u32_e32 vcc_lo, 0, v9
	s_delay_alu instid0(VALU_DEP_2) | instskip(NEXT) | instid1(VALU_DEP_1)
	v_min_u32_e32 v7, 32, v7
	v_subrev_nc_u32_e32 v8, 28, v7
	v_sub_nc_u32_e32 v7, 29, v7
	s_delay_alu instid0(VALU_DEP_2) | instskip(NEXT) | instid1(VALU_DEP_2)
	v_lshlrev_b32_e32 v3, v8, v3
	v_cndmask_b32_e32 v7, v9, v7, vcc_lo
	s_delay_alu instid0(VALU_DEP_2) | instskip(NEXT) | instid1(VALU_DEP_1)
	v_and_b32_e32 v3, 7, v3
	v_cndmask_b32_e32 v3, v6, v3, vcc_lo
	s_delay_alu instid0(VALU_DEP_3) | instskip(NEXT) | instid1(VALU_DEP_2)
	v_lshl_add_u32 v6, v7, 23, 0x3b800000
	v_lshlrev_b32_e32 v3, 20, v3
	s_delay_alu instid0(VALU_DEP_1) | instskip(NEXT) | instid1(VALU_DEP_1)
	v_or3_b32 v1, v1, v6, v3
	v_trunc_f32_e32 v1, v1
	s_delay_alu instid0(VALU_DEP_1) | instskip(NEXT) | instid1(VALU_DEP_1)
	v_mul_f32_e64 v3, 0x2f800000, |v1|
	v_floor_f32_e32 v3, v3
	s_delay_alu instid0(VALU_DEP_1) | instskip(SKIP_1) | instid1(VALU_DEP_2)
	v_fma_f32 v3, 0xcf800000, v3, |v1|
	v_ashrrev_i32_e32 v1, 31, v1
	v_cvt_u32_f32_e32 v3, v3
	s_delay_alu instid0(VALU_DEP_1) | instskip(NEXT) | instid1(VALU_DEP_1)
	v_xor_b32_e32 v3, v3, v1
	v_sub_nc_u32_e32 v6, v3, v1
.LBB102_288:
	s_or_b32 exec_lo, exec_lo, s19
.LBB102_289:
	s_mov_b32 s19, -1
.LBB102_290:
	s_mov_b32 s26, 0
.LBB102_291:
	s_delay_alu instid0(SALU_CYCLE_1)
	s_and_b32 vcc_lo, exec_lo, s26
	s_cbranch_vccz .LBB102_324
; %bb.292:
	s_cmp_gt_i32 s0, 22
	s_cbranch_scc0 .LBB102_300
; %bb.293:
	s_cmp_lt_i32 s0, 24
	s_cbranch_scc1 .LBB102_303
; %bb.294:
	s_cmp_gt_i32 s0, 24
	s_cbranch_scc0 .LBB102_304
; %bb.295:
	s_wait_loadcnt 0x0
	global_load_u8 v1, v[4:5], off
	s_mov_b32 s26, 0
	s_mov_b32 s19, exec_lo
	s_wait_loadcnt 0x0
	v_cmpx_lt_i16_e32 0x7f, v1
	s_xor_b32 s19, exec_lo, s19
	s_cbranch_execz .LBB102_316
; %bb.296:
	v_cmp_ne_u16_e32 vcc_lo, 0x80, v1
	s_and_b32 s26, vcc_lo, exec_lo
	s_and_not1_saveexec_b32 s19, s19
	s_cbranch_execnz .LBB102_317
.LBB102_297:
	s_or_b32 exec_lo, exec_lo, s19
	v_mov_b32_e32 v6, 0
	s_and_saveexec_b32 s19, s26
	s_cbranch_execz .LBB102_299
.LBB102_298:
	v_and_b32_e32 v3, 0xffff, v1
	s_delay_alu instid0(VALU_DEP_1) | instskip(SKIP_1) | instid1(VALU_DEP_2)
	v_dual_lshlrev_b32 v1, 24, v1 :: v_dual_bitop2_b32 v6, 3, v3 bitop3:0x40
	v_bfe_u32 v9, v3, 2, 5
	v_and_b32_e32 v1, 0x80000000, v1
	s_delay_alu instid0(VALU_DEP_3) | instskip(NEXT) | instid1(VALU_DEP_3)
	v_clz_i32_u32_e32 v7, v6
	v_cmp_eq_u32_e32 vcc_lo, 0, v9
	s_delay_alu instid0(VALU_DEP_2) | instskip(NEXT) | instid1(VALU_DEP_1)
	v_min_u32_e32 v7, 32, v7
	v_subrev_nc_u32_e32 v8, 29, v7
	v_sub_nc_u32_e32 v7, 30, v7
	s_delay_alu instid0(VALU_DEP_2) | instskip(NEXT) | instid1(VALU_DEP_2)
	v_lshlrev_b32_e32 v3, v8, v3
	v_cndmask_b32_e32 v7, v9, v7, vcc_lo
	s_delay_alu instid0(VALU_DEP_2) | instskip(NEXT) | instid1(VALU_DEP_1)
	v_and_b32_e32 v3, 3, v3
	v_cndmask_b32_e32 v3, v6, v3, vcc_lo
	s_delay_alu instid0(VALU_DEP_3) | instskip(NEXT) | instid1(VALU_DEP_2)
	v_lshl_add_u32 v6, v7, 23, 0x37800000
	v_lshlrev_b32_e32 v3, 21, v3
	s_delay_alu instid0(VALU_DEP_1) | instskip(NEXT) | instid1(VALU_DEP_1)
	v_or3_b32 v1, v1, v6, v3
	v_trunc_f32_e32 v1, v1
	s_delay_alu instid0(VALU_DEP_1) | instskip(NEXT) | instid1(VALU_DEP_1)
	v_mul_f32_e64 v3, 0x2f800000, |v1|
	v_floor_f32_e32 v3, v3
	s_delay_alu instid0(VALU_DEP_1) | instskip(SKIP_1) | instid1(VALU_DEP_2)
	v_fma_f32 v3, 0xcf800000, v3, |v1|
	v_ashrrev_i32_e32 v1, 31, v1
	v_cvt_u32_f32_e32 v3, v3
	s_delay_alu instid0(VALU_DEP_1) | instskip(NEXT) | instid1(VALU_DEP_1)
	v_xor_b32_e32 v3, v3, v1
	v_sub_nc_u32_e32 v6, v3, v1
.LBB102_299:
	s_or_b32 exec_lo, exec_lo, s19
	s_mov_b32 s19, 0
	s_branch .LBB102_305
.LBB102_300:
	s_mov_b32 s26, -1
                                        ; implicit-def: $vgpr6
	s_branch .LBB102_311
.LBB102_301:
	s_and_not1_saveexec_b32 s19, s19
	s_cbranch_execz .LBB102_286
.LBB102_302:
	v_cmp_ne_u16_e32 vcc_lo, 0, v1
	s_and_not1_b32 s26, s26, exec_lo
	s_and_b32 s27, vcc_lo, exec_lo
	s_delay_alu instid0(SALU_CYCLE_1)
	s_or_b32 s26, s26, s27
	s_or_b32 exec_lo, exec_lo, s19
	v_mov_b32_e32 v6, 0
	s_and_saveexec_b32 s19, s26
	s_cbranch_execnz .LBB102_287
	s_branch .LBB102_288
.LBB102_303:
	s_mov_b32 s19, -1
                                        ; implicit-def: $vgpr6
	s_branch .LBB102_308
.LBB102_304:
	s_mov_b32 s19, -1
                                        ; implicit-def: $vgpr6
.LBB102_305:
	s_delay_alu instid0(SALU_CYCLE_1)
	s_and_b32 vcc_lo, exec_lo, s19
	s_cbranch_vccz .LBB102_307
; %bb.306:
	s_wait_loadcnt 0x0
	global_load_u8 v1, v[4:5], off
	s_wait_loadcnt 0x0
	v_lshlrev_b32_e32 v1, 24, v1
	s_delay_alu instid0(VALU_DEP_1) | instskip(NEXT) | instid1(VALU_DEP_1)
	v_and_b32_e32 v3, 0x7f000000, v1
	v_clz_i32_u32_e32 v6, v3
	v_cmp_ne_u32_e32 vcc_lo, 0, v3
	v_add_nc_u32_e32 v8, 0x1000000, v3
	s_delay_alu instid0(VALU_DEP_3) | instskip(NEXT) | instid1(VALU_DEP_1)
	v_min_u32_e32 v6, 32, v6
	v_sub_nc_u32_e64 v6, v6, 4 clamp
	s_delay_alu instid0(VALU_DEP_1) | instskip(NEXT) | instid1(VALU_DEP_1)
	v_dual_lshlrev_b32 v7, v6, v3 :: v_dual_lshlrev_b32 v6, 23, v6
	v_lshrrev_b32_e32 v7, 4, v7
	s_delay_alu instid0(VALU_DEP_1) | instskip(NEXT) | instid1(VALU_DEP_1)
	v_dual_sub_nc_u32 v6, v7, v6 :: v_dual_ashrrev_i32 v7, 8, v8
	v_add_nc_u32_e32 v6, 0x3c000000, v6
	s_delay_alu instid0(VALU_DEP_1) | instskip(NEXT) | instid1(VALU_DEP_1)
	v_and_or_b32 v6, 0x7f800000, v7, v6
	v_cndmask_b32_e32 v3, 0, v6, vcc_lo
	s_delay_alu instid0(VALU_DEP_1) | instskip(NEXT) | instid1(VALU_DEP_1)
	v_and_or_b32 v1, 0x80000000, v1, v3
	v_trunc_f32_e32 v1, v1
	s_delay_alu instid0(VALU_DEP_1) | instskip(NEXT) | instid1(VALU_DEP_1)
	v_mul_f32_e64 v3, 0x2f800000, |v1|
	v_floor_f32_e32 v3, v3
	s_delay_alu instid0(VALU_DEP_1) | instskip(SKIP_1) | instid1(VALU_DEP_2)
	v_fma_f32 v3, 0xcf800000, v3, |v1|
	v_ashrrev_i32_e32 v1, 31, v1
	v_cvt_u32_f32_e32 v3, v3
	s_delay_alu instid0(VALU_DEP_1) | instskip(NEXT) | instid1(VALU_DEP_1)
	v_xor_b32_e32 v3, v3, v1
	v_sub_nc_u32_e32 v6, v3, v1
.LBB102_307:
	s_mov_b32 s19, 0
.LBB102_308:
	s_delay_alu instid0(SALU_CYCLE_1)
	s_and_not1_b32 vcc_lo, exec_lo, s19
	s_cbranch_vccnz .LBB102_310
; %bb.309:
	s_wait_loadcnt 0x0
	global_load_u8 v1, v[4:5], off
	s_wait_loadcnt 0x0
	v_lshlrev_b32_e32 v3, 25, v1
	v_lshlrev_b16 v1, 8, v1
	s_delay_alu instid0(VALU_DEP_1) | instskip(SKIP_1) | instid1(VALU_DEP_2)
	v_and_or_b32 v7, 0x7f00, v1, 0.5
	v_bfe_i32 v1, v1, 0, 16
	v_add_f32_e32 v7, -0.5, v7
	v_lshrrev_b32_e32 v6, 4, v3
	v_cmp_gt_u32_e32 vcc_lo, 0x8000000, v3
	s_delay_alu instid0(VALU_DEP_2) | instskip(NEXT) | instid1(VALU_DEP_1)
	v_or_b32_e32 v6, 0x70000000, v6
	v_mul_f32_e32 v6, 0x7800000, v6
	s_delay_alu instid0(VALU_DEP_1) | instskip(NEXT) | instid1(VALU_DEP_1)
	v_cndmask_b32_e32 v3, v6, v7, vcc_lo
	v_and_or_b32 v1, 0x80000000, v1, v3
	s_delay_alu instid0(VALU_DEP_1) | instskip(NEXT) | instid1(VALU_DEP_1)
	v_trunc_f32_e32 v1, v1
	v_mul_f32_e64 v3, 0x2f800000, |v1|
	s_delay_alu instid0(VALU_DEP_1) | instskip(NEXT) | instid1(VALU_DEP_1)
	v_floor_f32_e32 v3, v3
	v_fma_f32 v3, 0xcf800000, v3, |v1|
	v_ashrrev_i32_e32 v1, 31, v1
	s_delay_alu instid0(VALU_DEP_2) | instskip(NEXT) | instid1(VALU_DEP_1)
	v_cvt_u32_f32_e32 v3, v3
	v_xor_b32_e32 v3, v3, v1
	s_delay_alu instid0(VALU_DEP_1)
	v_sub_nc_u32_e32 v6, v3, v1
.LBB102_310:
	s_mov_b32 s26, 0
	s_mov_b32 s19, -1
.LBB102_311:
	s_and_not1_b32 vcc_lo, exec_lo, s26
	s_cbranch_vccnz .LBB102_324
; %bb.312:
	s_cmp_gt_i32 s0, 14
	s_cbranch_scc0 .LBB102_315
; %bb.313:
	s_cmp_eq_u32 s0, 15
	s_cbranch_scc0 .LBB102_318
; %bb.314:
	s_wait_loadcnt 0x0
	global_load_u16 v1, v[4:5], off
	s_mov_b32 s19, -1
	s_mov_b32 s21, 0
	s_wait_loadcnt 0x0
	v_lshlrev_b32_e32 v1, 16, v1
	s_delay_alu instid0(VALU_DEP_1) | instskip(NEXT) | instid1(VALU_DEP_1)
	v_trunc_f32_e32 v1, v1
	v_mul_f32_e64 v3, 0x2f800000, |v1|
	s_delay_alu instid0(VALU_DEP_1) | instskip(NEXT) | instid1(VALU_DEP_1)
	v_floor_f32_e32 v3, v3
	v_fma_f32 v3, 0xcf800000, v3, |v1|
	v_ashrrev_i32_e32 v1, 31, v1
	s_delay_alu instid0(VALU_DEP_2) | instskip(NEXT) | instid1(VALU_DEP_1)
	v_cvt_u32_f32_e32 v3, v3
	v_xor_b32_e32 v3, v3, v1
	s_delay_alu instid0(VALU_DEP_1)
	v_sub_nc_u32_e32 v6, v3, v1
	s_branch .LBB102_319
.LBB102_315:
	s_mov_b32 s26, -1
                                        ; implicit-def: $vgpr6
	s_branch .LBB102_320
.LBB102_316:
	s_and_not1_saveexec_b32 s19, s19
	s_cbranch_execz .LBB102_297
.LBB102_317:
	v_cmp_ne_u16_e32 vcc_lo, 0, v1
	s_and_not1_b32 s26, s26, exec_lo
	s_and_b32 s27, vcc_lo, exec_lo
	s_delay_alu instid0(SALU_CYCLE_1)
	s_or_b32 s26, s26, s27
	s_or_b32 exec_lo, exec_lo, s19
	v_mov_b32_e32 v6, 0
	s_and_saveexec_b32 s19, s26
	s_cbranch_execnz .LBB102_298
	s_branch .LBB102_299
.LBB102_318:
	s_mov_b32 s21, -1
                                        ; implicit-def: $vgpr6
.LBB102_319:
	s_mov_b32 s26, 0
.LBB102_320:
	s_delay_alu instid0(SALU_CYCLE_1)
	s_and_b32 vcc_lo, exec_lo, s26
	s_cbranch_vccz .LBB102_324
; %bb.321:
	s_cmp_eq_u32 s0, 11
	s_cbranch_scc0 .LBB102_323
; %bb.322:
	s_wait_loadcnt 0x0
	global_load_u8 v1, v[4:5], off
	s_mov_b32 s21, 0
	s_mov_b32 s19, -1
	s_wait_loadcnt 0x0
	v_cmp_ne_u16_e32 vcc_lo, 0, v1
	v_cndmask_b32_e64 v6, 0, 1, vcc_lo
	s_branch .LBB102_324
.LBB102_323:
	s_mov_b32 s21, -1
                                        ; implicit-def: $vgpr6
.LBB102_324:
	s_mov_b32 s26, 0
.LBB102_325:
	s_delay_alu instid0(SALU_CYCLE_1)
	s_and_b32 vcc_lo, exec_lo, s26
	s_cbranch_vccz .LBB102_374
; %bb.326:
	s_cmp_lt_i32 s0, 5
	s_cbranch_scc1 .LBB102_331
; %bb.327:
	s_cmp_lt_i32 s0, 8
	s_cbranch_scc1 .LBB102_332
	;; [unrolled: 3-line block ×3, first 2 shown]
; %bb.329:
	s_cmp_gt_i32 s0, 9
	s_cbranch_scc0 .LBB102_334
; %bb.330:
	s_wait_loadcnt 0x0
	global_load_b64 v[6:7], v[4:5], off
	s_mov_b32 s19, 0
	s_wait_loadcnt 0x0
	v_trunc_f64_e32 v[6:7], v[6:7]
	s_delay_alu instid0(VALU_DEP_1) | instskip(NEXT) | instid1(VALU_DEP_1)
	v_ldexp_f64 v[8:9], v[6:7], 0xffffffe0
	v_floor_f64_e32 v[8:9], v[8:9]
	s_delay_alu instid0(VALU_DEP_1) | instskip(NEXT) | instid1(VALU_DEP_1)
	v_fmamk_f64 v[6:7], v[8:9], 0xc1f00000, v[6:7]
	v_cvt_u32_f64_e32 v6, v[6:7]
	s_branch .LBB102_335
.LBB102_331:
	s_mov_b32 s19, -1
                                        ; implicit-def: $vgpr6
	s_branch .LBB102_353
.LBB102_332:
	s_mov_b32 s19, -1
                                        ; implicit-def: $vgpr6
	s_branch .LBB102_341
.LBB102_333:
	s_mov_b32 s19, -1
                                        ; implicit-def: $vgpr6
	s_branch .LBB102_338
.LBB102_334:
	s_mov_b32 s19, -1
                                        ; implicit-def: $vgpr6
.LBB102_335:
	s_delay_alu instid0(SALU_CYCLE_1)
	s_and_not1_b32 vcc_lo, exec_lo, s19
	s_cbranch_vccnz .LBB102_337
; %bb.336:
	s_wait_loadcnt 0x0
	global_load_b32 v1, v[4:5], off
	s_wait_loadcnt 0x0
	v_trunc_f32_e32 v1, v1
	s_delay_alu instid0(VALU_DEP_1) | instskip(NEXT) | instid1(VALU_DEP_1)
	v_mul_f32_e64 v3, 0x2f800000, |v1|
	v_floor_f32_e32 v3, v3
	s_delay_alu instid0(VALU_DEP_1) | instskip(SKIP_1) | instid1(VALU_DEP_2)
	v_fma_f32 v3, 0xcf800000, v3, |v1|
	v_ashrrev_i32_e32 v1, 31, v1
	v_cvt_u32_f32_e32 v3, v3
	s_delay_alu instid0(VALU_DEP_1) | instskip(NEXT) | instid1(VALU_DEP_1)
	v_xor_b32_e32 v3, v3, v1
	v_sub_nc_u32_e32 v6, v3, v1
.LBB102_337:
	s_mov_b32 s19, 0
.LBB102_338:
	s_delay_alu instid0(SALU_CYCLE_1)
	s_and_not1_b32 vcc_lo, exec_lo, s19
	s_cbranch_vccnz .LBB102_340
; %bb.339:
	s_wait_loadcnt 0x0
	global_load_b32 v1, v[4:5], off
	s_wait_loadcnt 0x0
	v_cvt_f32_f16_e32 v1, v1
	s_delay_alu instid0(VALU_DEP_1)
	v_cvt_i32_f32_e32 v6, v1
.LBB102_340:
	s_mov_b32 s19, 0
.LBB102_341:
	s_delay_alu instid0(SALU_CYCLE_1)
	s_and_not1_b32 vcc_lo, exec_lo, s19
	s_cbranch_vccnz .LBB102_352
; %bb.342:
	s_cmp_lt_i32 s0, 6
	s_cbranch_scc1 .LBB102_345
; %bb.343:
	s_cmp_gt_i32 s0, 6
	s_cbranch_scc0 .LBB102_346
; %bb.344:
	s_wait_loadcnt 0x0
	global_load_b64 v[6:7], v[4:5], off
	s_mov_b32 s19, 0
	s_wait_loadcnt 0x0
	v_trunc_f64_e32 v[6:7], v[6:7]
	s_delay_alu instid0(VALU_DEP_1) | instskip(NEXT) | instid1(VALU_DEP_1)
	v_ldexp_f64 v[8:9], v[6:7], 0xffffffe0
	v_floor_f64_e32 v[8:9], v[8:9]
	s_delay_alu instid0(VALU_DEP_1) | instskip(NEXT) | instid1(VALU_DEP_1)
	v_fmamk_f64 v[6:7], v[8:9], 0xc1f00000, v[6:7]
	v_cvt_u32_f64_e32 v6, v[6:7]
	s_branch .LBB102_347
.LBB102_345:
	s_mov_b32 s19, -1
                                        ; implicit-def: $vgpr6
	s_branch .LBB102_350
.LBB102_346:
	s_mov_b32 s19, -1
                                        ; implicit-def: $vgpr6
.LBB102_347:
	s_delay_alu instid0(SALU_CYCLE_1)
	s_and_not1_b32 vcc_lo, exec_lo, s19
	s_cbranch_vccnz .LBB102_349
; %bb.348:
	s_wait_loadcnt 0x0
	global_load_b32 v1, v[4:5], off
	s_wait_loadcnt 0x0
	v_trunc_f32_e32 v1, v1
	s_delay_alu instid0(VALU_DEP_1) | instskip(NEXT) | instid1(VALU_DEP_1)
	v_mul_f32_e64 v3, 0x2f800000, |v1|
	v_floor_f32_e32 v3, v3
	s_delay_alu instid0(VALU_DEP_1) | instskip(SKIP_1) | instid1(VALU_DEP_2)
	v_fma_f32 v3, 0xcf800000, v3, |v1|
	v_ashrrev_i32_e32 v1, 31, v1
	v_cvt_u32_f32_e32 v3, v3
	s_delay_alu instid0(VALU_DEP_1) | instskip(NEXT) | instid1(VALU_DEP_1)
	v_xor_b32_e32 v3, v3, v1
	v_sub_nc_u32_e32 v6, v3, v1
.LBB102_349:
	s_mov_b32 s19, 0
.LBB102_350:
	s_delay_alu instid0(SALU_CYCLE_1)
	s_and_not1_b32 vcc_lo, exec_lo, s19
	s_cbranch_vccnz .LBB102_352
; %bb.351:
	s_wait_loadcnt 0x0
	global_load_u16 v1, v[4:5], off
	s_wait_loadcnt 0x0
	v_cvt_f32_f16_e32 v1, v1
	s_delay_alu instid0(VALU_DEP_1)
	v_cvt_i32_f32_e32 v6, v1
.LBB102_352:
	s_mov_b32 s19, 0
.LBB102_353:
	s_delay_alu instid0(SALU_CYCLE_1)
	s_and_not1_b32 vcc_lo, exec_lo, s19
	s_cbranch_vccnz .LBB102_373
; %bb.354:
	s_cmp_lt_i32 s0, 2
	s_cbranch_scc1 .LBB102_358
; %bb.355:
	s_cmp_lt_i32 s0, 3
	s_cbranch_scc1 .LBB102_359
; %bb.356:
	s_cmp_gt_i32 s0, 3
	s_cbranch_scc0 .LBB102_360
; %bb.357:
	s_wait_loadcnt 0x0
	global_load_b64 v[6:7], v[4:5], off
	s_mov_b32 s19, 0
	s_branch .LBB102_361
.LBB102_358:
	s_mov_b32 s19, -1
                                        ; implicit-def: $vgpr6
	s_branch .LBB102_367
.LBB102_359:
	s_mov_b32 s19, -1
                                        ; implicit-def: $vgpr6
	s_branch .LBB102_364
.LBB102_360:
	s_mov_b32 s19, -1
                                        ; implicit-def: $vgpr6
.LBB102_361:
	s_delay_alu instid0(SALU_CYCLE_1)
	s_and_not1_b32 vcc_lo, exec_lo, s19
	s_cbranch_vccnz .LBB102_363
; %bb.362:
	s_wait_loadcnt 0x0
	global_load_b32 v6, v[4:5], off
.LBB102_363:
	s_mov_b32 s19, 0
.LBB102_364:
	s_delay_alu instid0(SALU_CYCLE_1)
	s_and_not1_b32 vcc_lo, exec_lo, s19
	s_cbranch_vccnz .LBB102_366
; %bb.365:
	s_wait_loadcnt 0x0
	global_load_u16 v6, v[4:5], off
.LBB102_366:
	s_mov_b32 s19, 0
.LBB102_367:
	s_delay_alu instid0(SALU_CYCLE_1)
	s_and_not1_b32 vcc_lo, exec_lo, s19
	s_cbranch_vccnz .LBB102_373
; %bb.368:
	s_cmp_gt_i32 s0, 0
	s_mov_b32 s0, 0
	s_cbranch_scc0 .LBB102_370
; %bb.369:
	s_wait_loadcnt 0x0
	global_load_u8 v6, v[4:5], off
	s_branch .LBB102_371
.LBB102_370:
	s_mov_b32 s0, -1
                                        ; implicit-def: $vgpr6
.LBB102_371:
	s_delay_alu instid0(SALU_CYCLE_1)
	s_and_not1_b32 vcc_lo, exec_lo, s0
	s_cbranch_vccnz .LBB102_373
; %bb.372:
	s_wait_loadcnt 0x0
	global_load_u8 v6, v[4:5], off
.LBB102_373:
	s_mov_b32 s19, -1
.LBB102_374:
	s_delay_alu instid0(SALU_CYCLE_1)
	s_and_not1_b32 vcc_lo, exec_lo, s19
	s_cbranch_vccnz .LBB102_382
; %bb.375:
	s_wait_xcnt 0x0
	v_mul_lo_u32 v4, v26, s12
	s_wait_loadcnt 0x0
	v_and_b32_e32 v1, 0xff, v2
	v_and_b32_e32 v0, 0xff, v0
	s_delay_alu instid0(VALU_DEP_4) | instskip(SKIP_1) | instid1(SALU_CYCLE_1)
	v_and_b32_e32 v3, 0xff, v6
	s_and_b32 s19, s2, 0xff
	s_cmp_lt_i32 s19, 11
	s_delay_alu instid0(VALU_DEP_2) | instskip(SKIP_1) | instid1(VALU_DEP_1)
	v_max_u16 v2, v0, v1
	v_ashrrev_i32_e32 v5, 31, v4
	v_add_nc_u64_e32 v[0:1], s[4:5], v[4:5]
	s_delay_alu instid0(VALU_DEP_3)
	v_min_u16 v4, v2, v3
	s_cbranch_scc1 .LBB102_383
; %bb.376:
	s_and_b32 s26, 0xffff, s19
	s_delay_alu instid0(SALU_CYCLE_1)
	s_cmp_gt_i32 s26, 25
	s_cbranch_scc0 .LBB102_384
; %bb.377:
	s_cmp_gt_i32 s26, 28
	s_cbranch_scc0 .LBB102_385
; %bb.378:
	;; [unrolled: 3-line block ×4, first 2 shown]
	s_mov_b32 s28, 0
	s_mov_b32 s0, -1
	s_cmp_eq_u32 s26, 46
	s_mov_b32 s27, 0
	s_cbranch_scc0 .LBB102_388
; %bb.381:
	v_cvt_f32_ubyte0_e32 v2, v4
	s_mov_b32 s27, -1
	s_mov_b32 s0, 0
	s_delay_alu instid0(VALU_DEP_1) | instskip(NEXT) | instid1(VALU_DEP_1)
	v_bfe_u32 v3, v2, 16, 1
	v_add3_u32 v2, v2, v3, 0x7fff
	s_delay_alu instid0(VALU_DEP_1)
	v_lshrrev_b32_e32 v2, 16, v2
	global_store_b32 v[0:1], v2, off
	s_branch .LBB102_388
.LBB102_382:
	s_mov_b32 s0, 0
	s_branch .LBB102_498
.LBB102_383:
	s_mov_b32 s26, -1
	s_mov_b32 s0, 0
	s_mov_b32 s27, 0
	s_branch .LBB102_457
.LBB102_384:
	s_mov_b32 s0, 0
	s_mov_b32 s27, 0
	s_branch .LBB102_415
.LBB102_385:
	s_mov_b32 s0, 0
	s_mov_b32 s27, 0
	s_branch .LBB102_398
.LBB102_386:
	s_mov_b32 s0, 0
	s_mov_b32 s27, 0
	s_branch .LBB102_394
.LBB102_387:
	s_mov_b32 s0, 0
	s_mov_b32 s27, 0
.LBB102_388:
	s_and_b32 vcc_lo, exec_lo, s28
	s_cbranch_vccz .LBB102_393
; %bb.389:
	s_cmp_eq_u32 s26, 44
	s_mov_b32 s0, -1
	s_cbranch_scc0 .LBB102_393
; %bb.390:
	v_cvt_f32_ubyte0_e32 v5, v4
	s_mov_b32 s27, exec_lo
	s_wait_xcnt 0x0
	s_delay_alu instid0(VALU_DEP_1) | instskip(NEXT) | instid1(VALU_DEP_1)
	v_dual_mov_b32 v3, 0xff :: v_dual_lshrrev_b32 v2, 23, v5
	v_cmpx_ne_u32_e32 0xff, v2
; %bb.391:
	v_and_b32_e32 v3, 0x400000, v5
	v_and_or_b32 v5, 0x3fffff, v5, v2
	s_delay_alu instid0(VALU_DEP_2) | instskip(NEXT) | instid1(VALU_DEP_2)
	v_cmp_ne_u32_e32 vcc_lo, 0, v3
	v_cmp_ne_u32_e64 s0, 0, v5
	s_and_b32 s0, vcc_lo, s0
	s_delay_alu instid0(SALU_CYCLE_1) | instskip(NEXT) | instid1(VALU_DEP_1)
	v_cndmask_b32_e64 v3, 0, 1, s0
	v_add_nc_u32_e32 v3, v2, v3
; %bb.392:
	s_or_b32 exec_lo, exec_lo, s27
	s_mov_b32 s27, -1
	s_mov_b32 s0, 0
	global_store_b8 v[0:1], v3, off
.LBB102_393:
	s_mov_b32 s28, 0
.LBB102_394:
	s_delay_alu instid0(SALU_CYCLE_1)
	s_and_b32 vcc_lo, exec_lo, s28
	s_cbranch_vccz .LBB102_397
; %bb.395:
	s_cmp_eq_u32 s26, 29
	s_mov_b32 s0, -1
	s_cbranch_scc0 .LBB102_397
; %bb.396:
	s_mov_b32 s0, 0
	s_wait_xcnt 0x0
	v_and_b32_e32 v2, 0xffff, v4
	v_mov_b32_e32 v3, s0
	s_mov_b32 s27, -1
	s_mov_b32 s28, 0
	global_store_b64 v[0:1], v[2:3], off
	s_branch .LBB102_398
.LBB102_397:
	s_mov_b32 s28, 0
.LBB102_398:
	s_delay_alu instid0(SALU_CYCLE_1)
	s_and_b32 vcc_lo, exec_lo, s28
	s_cbranch_vccz .LBB102_414
; %bb.399:
	s_cmp_lt_i32 s26, 27
	s_mov_b32 s27, -1
	s_cbranch_scc1 .LBB102_405
; %bb.400:
	s_cmp_gt_i32 s26, 27
	s_cbranch_scc0 .LBB102_402
; %bb.401:
	s_wait_xcnt 0x0
	v_and_b32_e32 v2, 0xffff, v4
	s_mov_b32 s27, 0
	global_store_b32 v[0:1], v2, off
.LBB102_402:
	s_and_not1_b32 vcc_lo, exec_lo, s27
	s_cbranch_vccnz .LBB102_404
; %bb.403:
	global_store_b16 v[0:1], v4, off
.LBB102_404:
	s_mov_b32 s27, 0
.LBB102_405:
	s_delay_alu instid0(SALU_CYCLE_1)
	s_and_not1_b32 vcc_lo, exec_lo, s27
	s_cbranch_vccnz .LBB102_413
; %bb.406:
	s_wait_xcnt 0x0
	v_cvt_f32_ubyte0_e32 v3, v4
	v_mov_b32_e32 v5, 0x80
	s_mov_b32 s27, exec_lo
	s_delay_alu instid0(VALU_DEP_2)
	v_cmpx_gt_u32_e32 0x43800000, v3
	s_cbranch_execz .LBB102_412
; %bb.407:
	s_mov_b32 s28, 0
	s_mov_b32 s29, exec_lo
                                        ; implicit-def: $vgpr2
	v_cmpx_lt_u32_e32 0x3bffffff, v3
	s_xor_b32 s29, exec_lo, s29
	s_cbranch_execz .LBB102_642
; %bb.408:
	v_bfe_u32 v2, v3, 20, 1
	s_mov_b32 s28, exec_lo
	s_delay_alu instid0(VALU_DEP_1) | instskip(NEXT) | instid1(VALU_DEP_1)
	v_add3_u32 v2, v3, v2, 0x487ffff
                                        ; implicit-def: $vgpr3
	v_lshrrev_b32_e32 v2, 20, v2
	s_and_not1_saveexec_b32 s29, s29
	s_cbranch_execnz .LBB102_643
.LBB102_409:
	s_or_b32 exec_lo, exec_lo, s29
	v_mov_b32_e32 v5, 0
	s_and_saveexec_b32 s29, s28
.LBB102_410:
	v_mov_b32_e32 v5, v2
.LBB102_411:
	s_or_b32 exec_lo, exec_lo, s29
.LBB102_412:
	s_delay_alu instid0(SALU_CYCLE_1)
	s_or_b32 exec_lo, exec_lo, s27
	global_store_b8 v[0:1], v5, off
.LBB102_413:
	s_mov_b32 s27, -1
.LBB102_414:
	s_mov_b32 s28, 0
.LBB102_415:
	s_delay_alu instid0(SALU_CYCLE_1)
	s_and_b32 vcc_lo, exec_lo, s28
	s_cbranch_vccz .LBB102_456
; %bb.416:
	s_cmp_gt_i32 s26, 22
	s_mov_b32 s28, -1
	s_cbranch_scc0 .LBB102_448
; %bb.417:
	s_cmp_lt_i32 s26, 24
	s_mov_b32 s27, -1
	s_cbranch_scc1 .LBB102_437
; %bb.418:
	s_cmp_gt_i32 s26, 24
	s_cbranch_scc0 .LBB102_426
; %bb.419:
	s_wait_xcnt 0x0
	v_cvt_f32_ubyte0_e32 v3, v4
	v_mov_b32_e32 v5, 0x80
	s_mov_b32 s27, exec_lo
	s_delay_alu instid0(VALU_DEP_2)
	v_cmpx_gt_u32_e32 0x47800000, v3
	s_cbranch_execz .LBB102_425
; %bb.420:
	s_mov_b32 s28, 0
	s_mov_b32 s29, exec_lo
                                        ; implicit-def: $vgpr2
	v_cmpx_lt_u32_e32 0x37ffffff, v3
	s_xor_b32 s29, exec_lo, s29
	s_cbranch_execz .LBB102_770
; %bb.421:
	v_bfe_u32 v2, v3, 21, 1
	s_mov_b32 s28, exec_lo
	s_delay_alu instid0(VALU_DEP_1) | instskip(NEXT) | instid1(VALU_DEP_1)
	v_add3_u32 v2, v3, v2, 0x88fffff
                                        ; implicit-def: $vgpr3
	v_lshrrev_b32_e32 v2, 21, v2
	s_and_not1_saveexec_b32 s29, s29
	s_cbranch_execnz .LBB102_771
.LBB102_422:
	s_or_b32 exec_lo, exec_lo, s29
	v_mov_b32_e32 v5, 0
	s_and_saveexec_b32 s29, s28
.LBB102_423:
	v_mov_b32_e32 v5, v2
.LBB102_424:
	s_or_b32 exec_lo, exec_lo, s29
.LBB102_425:
	s_delay_alu instid0(SALU_CYCLE_1)
	s_or_b32 exec_lo, exec_lo, s27
	s_mov_b32 s27, 0
	global_store_b8 v[0:1], v5, off
.LBB102_426:
	s_and_b32 vcc_lo, exec_lo, s27
	s_cbranch_vccz .LBB102_436
; %bb.427:
	s_wait_xcnt 0x0
	v_cvt_f32_ubyte0_e32 v3, v4
	s_mov_b32 s27, exec_lo
                                        ; implicit-def: $vgpr2
	s_delay_alu instid0(VALU_DEP_1)
	v_cmpx_gt_u32_e32 0x43f00000, v3
	s_xor_b32 s27, exec_lo, s27
	s_cbranch_execz .LBB102_433
; %bb.428:
	s_mov_b32 s28, exec_lo
                                        ; implicit-def: $vgpr2
	v_cmpx_lt_u32_e32 0x3c7fffff, v3
	s_xor_b32 s28, exec_lo, s28
; %bb.429:
	v_bfe_u32 v2, v3, 20, 1
	s_delay_alu instid0(VALU_DEP_1) | instskip(NEXT) | instid1(VALU_DEP_1)
	v_add3_u32 v2, v3, v2, 0x407ffff
	v_and_b32_e32 v3, 0xff00000, v2
	v_lshrrev_b32_e32 v2, 20, v2
	s_delay_alu instid0(VALU_DEP_2) | instskip(NEXT) | instid1(VALU_DEP_2)
	v_cmp_ne_u32_e32 vcc_lo, 0x7f00000, v3
                                        ; implicit-def: $vgpr3
	v_cndmask_b32_e32 v2, 0x7e, v2, vcc_lo
; %bb.430:
	s_and_not1_saveexec_b32 s28, s28
; %bb.431:
	v_add_f32_e32 v2, 0x46800000, v3
; %bb.432:
	s_or_b32 exec_lo, exec_lo, s28
                                        ; implicit-def: $vgpr3
.LBB102_433:
	s_and_not1_saveexec_b32 s27, s27
; %bb.434:
	v_mov_b32_e32 v2, 0x7f
	v_cmp_lt_u32_e32 vcc_lo, 0x7f800000, v3
	s_delay_alu instid0(VALU_DEP_2)
	v_cndmask_b32_e32 v2, 0x7e, v2, vcc_lo
; %bb.435:
	s_or_b32 exec_lo, exec_lo, s27
	global_store_b8 v[0:1], v2, off
.LBB102_436:
	s_mov_b32 s27, 0
.LBB102_437:
	s_delay_alu instid0(SALU_CYCLE_1)
	s_and_not1_b32 vcc_lo, exec_lo, s27
	s_cbranch_vccnz .LBB102_447
; %bb.438:
	s_wait_xcnt 0x0
	v_cvt_f32_ubyte0_e32 v3, v4
	s_mov_b32 s27, exec_lo
                                        ; implicit-def: $vgpr2
	s_delay_alu instid0(VALU_DEP_1)
	v_cmpx_gt_u32_e32 0x47800000, v3
	s_xor_b32 s27, exec_lo, s27
	s_cbranch_execz .LBB102_444
; %bb.439:
	s_mov_b32 s28, exec_lo
                                        ; implicit-def: $vgpr2
	v_cmpx_lt_u32_e32 0x387fffff, v3
	s_xor_b32 s28, exec_lo, s28
; %bb.440:
	v_bfe_u32 v2, v3, 21, 1
	s_delay_alu instid0(VALU_DEP_1) | instskip(NEXT) | instid1(VALU_DEP_1)
	v_add3_u32 v2, v3, v2, 0x80fffff
                                        ; implicit-def: $vgpr3
	v_lshrrev_b32_e32 v2, 21, v2
; %bb.441:
	s_and_not1_saveexec_b32 s28, s28
; %bb.442:
	v_add_f32_e32 v2, 0x43000000, v3
; %bb.443:
	s_or_b32 exec_lo, exec_lo, s28
                                        ; implicit-def: $vgpr3
.LBB102_444:
	s_and_not1_saveexec_b32 s27, s27
; %bb.445:
	v_mov_b32_e32 v2, 0x7f
	v_cmp_lt_u32_e32 vcc_lo, 0x7f800000, v3
	s_delay_alu instid0(VALU_DEP_2)
	v_cndmask_b32_e32 v2, 0x7c, v2, vcc_lo
; %bb.446:
	s_or_b32 exec_lo, exec_lo, s27
	global_store_b8 v[0:1], v2, off
.LBB102_447:
	s_mov_b32 s28, 0
	s_mov_b32 s27, -1
.LBB102_448:
	s_and_not1_b32 vcc_lo, exec_lo, s28
	s_cbranch_vccnz .LBB102_456
; %bb.449:
	s_cmp_gt_i32 s26, 14
	s_mov_b32 s28, -1
	s_cbranch_scc0 .LBB102_453
; %bb.450:
	s_cmp_eq_u32 s26, 15
	s_mov_b32 s0, -1
	s_cbranch_scc0 .LBB102_452
; %bb.451:
	s_wait_xcnt 0x0
	v_cvt_f32_ubyte0_e32 v2, v4
	s_mov_b32 s27, -1
	s_mov_b32 s0, 0
	s_delay_alu instid0(VALU_DEP_1) | instskip(NEXT) | instid1(VALU_DEP_1)
	v_bfe_u32 v3, v2, 16, 1
	v_add3_u32 v2, v2, v3, 0x7fff
	global_store_d16_hi_b16 v[0:1], v2, off
.LBB102_452:
	s_mov_b32 s28, 0
.LBB102_453:
	s_delay_alu instid0(SALU_CYCLE_1)
	s_and_b32 vcc_lo, exec_lo, s28
	s_cbranch_vccz .LBB102_456
; %bb.454:
	s_cmp_eq_u32 s26, 11
	s_mov_b32 s0, -1
	s_cbranch_scc0 .LBB102_456
; %bb.455:
	v_cmp_ne_u16_e32 vcc_lo, 0, v4
	s_mov_b32 s0, 0
	s_mov_b32 s27, -1
	s_wait_xcnt 0x0
	v_cndmask_b32_e64 v2, 0, 1, vcc_lo
	global_store_b8 v[0:1], v2, off
.LBB102_456:
	s_mov_b32 s26, 0
.LBB102_457:
	s_delay_alu instid0(SALU_CYCLE_1)
	s_and_b32 vcc_lo, exec_lo, s26
	s_cbranch_vccz .LBB102_496
; %bb.458:
	s_and_b32 s19, 0xffff, s19
	s_mov_b32 s26, -1
	s_cmp_lt_i32 s19, 5
	s_cbranch_scc1 .LBB102_479
; %bb.459:
	s_cmp_lt_i32 s19, 8
	s_cbranch_scc1 .LBB102_469
; %bb.460:
	;; [unrolled: 3-line block ×3, first 2 shown]
	s_cmp_gt_i32 s19, 9
	s_cbranch_scc0 .LBB102_463
; %bb.462:
	s_wait_xcnt 0x0
	v_and_b32_e32 v2, 0xffff, v4
	v_mov_b32_e32 v8, 0
	s_mov_b32 s26, 0
	s_delay_alu instid0(VALU_DEP_2) | instskip(NEXT) | instid1(VALU_DEP_2)
	v_cvt_f64_u32_e32 v[6:7], v2
	v_mov_b32_e32 v9, v8
	global_store_b128 v[0:1], v[6:9], off
.LBB102_463:
	s_and_not1_b32 vcc_lo, exec_lo, s26
	s_cbranch_vccnz .LBB102_465
; %bb.464:
	s_wait_xcnt 0x0
	v_cvt_f32_ubyte0_e32 v2, v4
	v_mov_b32_e32 v3, 0
	global_store_b64 v[0:1], v[2:3], off
.LBB102_465:
	s_mov_b32 s26, 0
.LBB102_466:
	s_delay_alu instid0(SALU_CYCLE_1)
	s_and_not1_b32 vcc_lo, exec_lo, s26
	s_cbranch_vccnz .LBB102_468
; %bb.467:
	s_wait_xcnt 0x0
	v_cvt_f16_u16_e32 v2, v4
	s_delay_alu instid0(VALU_DEP_1)
	v_and_b32_e32 v2, 0xffff, v2
	global_store_b32 v[0:1], v2, off
.LBB102_468:
	s_mov_b32 s26, 0
.LBB102_469:
	s_delay_alu instid0(SALU_CYCLE_1)
	s_and_not1_b32 vcc_lo, exec_lo, s26
	s_cbranch_vccnz .LBB102_478
; %bb.470:
	s_cmp_lt_i32 s19, 6
	s_mov_b32 s26, -1
	s_cbranch_scc1 .LBB102_476
; %bb.471:
	s_cmp_gt_i32 s19, 6
	s_cbranch_scc0 .LBB102_473
; %bb.472:
	s_wait_xcnt 0x0
	v_and_b32_e32 v2, 0xffff, v4
	s_mov_b32 s26, 0
	s_delay_alu instid0(VALU_DEP_1)
	v_cvt_f64_u32_e32 v[2:3], v2
	global_store_b64 v[0:1], v[2:3], off
.LBB102_473:
	s_and_not1_b32 vcc_lo, exec_lo, s26
	s_cbranch_vccnz .LBB102_475
; %bb.474:
	s_wait_xcnt 0x0
	v_cvt_f32_ubyte0_e32 v2, v4
	global_store_b32 v[0:1], v2, off
.LBB102_475:
	s_mov_b32 s26, 0
.LBB102_476:
	s_delay_alu instid0(SALU_CYCLE_1)
	s_and_not1_b32 vcc_lo, exec_lo, s26
	s_cbranch_vccnz .LBB102_478
; %bb.477:
	s_wait_xcnt 0x0
	v_cvt_f16_u16_e32 v2, v4
	global_store_b16 v[0:1], v2, off
.LBB102_478:
	s_mov_b32 s26, 0
.LBB102_479:
	s_delay_alu instid0(SALU_CYCLE_1)
	s_and_not1_b32 vcc_lo, exec_lo, s26
	s_cbranch_vccnz .LBB102_495
; %bb.480:
	s_cmp_lt_i32 s19, 2
	s_mov_b32 s26, -1
	s_cbranch_scc1 .LBB102_490
; %bb.481:
	s_cmp_lt_i32 s19, 3
	s_cbranch_scc1 .LBB102_487
; %bb.482:
	s_wait_xcnt 0x0
	v_and_b32_e32 v2, 0xffff, v4
	s_cmp_gt_i32 s19, 3
	s_cbranch_scc0 .LBB102_484
; %bb.483:
	s_mov_b32 s26, 0
	s_delay_alu instid0(SALU_CYCLE_1)
	v_mov_b32_e32 v3, s26
	global_store_b64 v[0:1], v[2:3], off
.LBB102_484:
	s_and_not1_b32 vcc_lo, exec_lo, s26
	s_cbranch_vccnz .LBB102_486
; %bb.485:
	global_store_b32 v[0:1], v2, off
.LBB102_486:
	s_mov_b32 s26, 0
.LBB102_487:
	s_delay_alu instid0(SALU_CYCLE_1)
	s_and_not1_b32 vcc_lo, exec_lo, s26
	s_cbranch_vccnz .LBB102_489
; %bb.488:
	global_store_b16 v[0:1], v4, off
.LBB102_489:
	s_mov_b32 s26, 0
.LBB102_490:
	s_delay_alu instid0(SALU_CYCLE_1)
	s_and_not1_b32 vcc_lo, exec_lo, s26
	s_cbranch_vccnz .LBB102_495
; %bb.491:
	s_cmp_gt_i32 s19, 0
	s_mov_b32 s19, -1
	s_cbranch_scc0 .LBB102_493
; %bb.492:
	s_mov_b32 s19, 0
	global_store_b8 v[0:1], v4, off
.LBB102_493:
	s_and_not1_b32 vcc_lo, exec_lo, s19
	s_cbranch_vccnz .LBB102_495
; %bb.494:
	global_store_b8 v[0:1], v4, off
.LBB102_495:
	s_mov_b32 s27, -1
.LBB102_496:
	s_delay_alu instid0(SALU_CYCLE_1)
	s_and_not1_b32 vcc_lo, exec_lo, s27
	s_cbranch_vccnz .LBB102_498
; %bb.497:
	v_add_nc_u32_e32 v26, 0x80, v26
	s_mov_b32 s26, -1
	s_branch .LBB102_499
.LBB102_498:
	s_mov_b32 s26, 0
                                        ; implicit-def: $vgpr26
.LBB102_499:
	s_and_b32 s19, s0, exec_lo
	s_and_b32 s21, s21, exec_lo
	;; [unrolled: 1-line block ×4, first 2 shown]
	s_or_not1_b32 s28, s26, exec_lo
.LBB102_500:
	s_wait_xcnt 0x0
	s_or_b32 exec_lo, exec_lo, s24
	s_mov_b32 s27, 0
	s_mov_b32 s26, 0
                                        ; implicit-def: $sgpr0
                                        ; implicit-def: $vgpr2_vgpr3
                                        ; implicit-def: $vgpr0
	s_and_saveexec_b32 s24, s28
	s_cbranch_execz .LBB102_509
; %bb.501:
	s_mov_b32 s31, -1
	s_mov_b32 s25, s23
	s_mov_b32 s28, s22
	;; [unrolled: 1-line block ×4, first 2 shown]
	s_mov_b32 s29, exec_lo
	v_cmpx_gt_i32_e64 s20, v26
	s_cbranch_execz .LBB102_1011
; %bb.502:
	s_wait_loadcnt 0x0
	v_mul_lo_u32 v0, v26, s13
	s_and_b32 s0, s17, 0xff
	s_delay_alu instid0(SALU_CYCLE_1) | instskip(NEXT) | instid1(VALU_DEP_1)
	s_cmp_lt_i32 s0, 11
	v_ashrrev_i32_e32 v1, 31, v0
	s_delay_alu instid0(VALU_DEP_1)
	v_add_nc_u64_e32 v[2:3], s[6:7], v[0:1]
	s_cbranch_scc1 .LBB102_512
; %bb.503:
	s_and_b32 s26, 0xffff, s0
	s_delay_alu instid0(SALU_CYCLE_1)
	s_cmp_gt_i32 s26, 25
	s_cbranch_scc0 .LBB102_521
; %bb.504:
	s_cmp_gt_i32 s26, 28
	s_cbranch_scc0 .LBB102_523
; %bb.505:
	s_cmp_gt_i32 s26, 43
	s_cbranch_scc0 .LBB102_525
; %bb.506:
	s_cmp_gt_i32 s26, 45
	s_cbranch_scc0 .LBB102_527
; %bb.507:
	s_cmp_eq_u32 s26, 46
	s_mov_b32 s28, 0
	s_cbranch_scc0 .LBB102_529
; %bb.508:
	global_load_b32 v0, v[2:3], off
	s_mov_b32 s27, -1
	s_mov_b32 s25, 0
	s_wait_loadcnt 0x0
	v_lshlrev_b32_e32 v0, 16, v0
	s_delay_alu instid0(VALU_DEP_1) | instskip(NEXT) | instid1(VALU_DEP_1)
	v_trunc_f32_e32 v0, v0
	v_mul_f32_e64 v1, 0x2f800000, |v0|
	s_delay_alu instid0(VALU_DEP_1) | instskip(NEXT) | instid1(VALU_DEP_1)
	v_floor_f32_e32 v1, v1
	v_fma_f32 v1, 0xcf800000, v1, |v0|
	v_ashrrev_i32_e32 v0, 31, v0
	s_delay_alu instid0(VALU_DEP_2) | instskip(NEXT) | instid1(VALU_DEP_1)
	v_cvt_u32_f32_e32 v1, v1
	v_xor_b32_e32 v1, v1, v0
	s_delay_alu instid0(VALU_DEP_1)
	v_sub_nc_u32_e32 v0, v1, v0
	s_branch .LBB102_531
.LBB102_509:
	s_or_b32 exec_lo, exec_lo, s24
	s_mov_b32 s20, 0
	s_and_saveexec_b32 s24, s23
	s_cbranch_execnz .LBB102_1599
.LBB102_510:
	s_or_b32 exec_lo, exec_lo, s24
	s_and_saveexec_b32 s23, s25
	s_delay_alu instid0(SALU_CYCLE_1)
	s_xor_b32 s23, exec_lo, s23
	s_cbranch_execz .LBB102_1600
.LBB102_511:
	s_wait_loadcnt 0x0
	global_load_u8 v0, v[2:3], off
	s_or_b32 s26, s26, exec_lo
	s_wait_loadcnt 0x0
	v_cmp_ne_u16_e32 vcc_lo, 0, v0
	v_cndmask_b32_e64 v0, 0, 1, vcc_lo
	s_wait_xcnt 0x0
	s_or_b32 exec_lo, exec_lo, s23
	s_and_saveexec_b32 s23, s27
	s_cbranch_execz .LBB102_1646
	s_branch .LBB102_1601
.LBB102_512:
	s_mov_b32 s27, 0
	s_mov_b32 s25, s23
                                        ; implicit-def: $vgpr0
	s_cbranch_execnz .LBB102_593
.LBB102_513:
	s_and_not1_b32 vcc_lo, exec_lo, s27
	s_cbranch_vccnz .LBB102_641
.LBB102_514:
	s_wait_xcnt 0x0
	v_mul_lo_u32 v2, v26, s14
	s_and_b32 s0, s3, 0xff
	s_delay_alu instid0(SALU_CYCLE_1) | instskip(NEXT) | instid1(VALU_DEP_1)
	s_cmp_lt_i32 s0, 11
	v_ashrrev_i32_e32 v3, 31, v2
	s_delay_alu instid0(VALU_DEP_1)
	v_add_nc_u64_e32 v[4:5], s[8:9], v[2:3]
	s_cbranch_scc1 .LBB102_522
; %bb.515:
	s_and_b32 s26, 0xffff, s0
	s_delay_alu instid0(SALU_CYCLE_1)
	s_cmp_gt_i32 s26, 25
	s_cbranch_scc0 .LBB102_524
; %bb.516:
	s_cmp_gt_i32 s26, 28
	s_cbranch_scc0 .LBB102_526
; %bb.517:
	;; [unrolled: 3-line block ×4, first 2 shown]
	s_cmp_eq_u32 s26, 46
	s_mov_b32 s30, 0
	s_cbranch_scc0 .LBB102_644
; %bb.520:
	s_wait_loadcnt 0x0
	global_load_b32 v1, v[4:5], off
	s_mov_b32 s27, -1
	s_mov_b32 s28, 0
	s_wait_loadcnt 0x0
	v_lshlrev_b32_e32 v1, 16, v1
	s_delay_alu instid0(VALU_DEP_1) | instskip(NEXT) | instid1(VALU_DEP_1)
	v_trunc_f32_e32 v1, v1
	v_mul_f32_e64 v2, 0x2f800000, |v1|
	s_delay_alu instid0(VALU_DEP_1) | instskip(NEXT) | instid1(VALU_DEP_1)
	v_floor_f32_e32 v2, v2
	v_fma_f32 v2, 0xcf800000, v2, |v1|
	v_ashrrev_i32_e32 v1, 31, v1
	s_delay_alu instid0(VALU_DEP_2) | instskip(NEXT) | instid1(VALU_DEP_1)
	v_cvt_u32_f32_e32 v2, v2
	v_xor_b32_e32 v2, v2, v1
	s_delay_alu instid0(VALU_DEP_1)
	v_sub_nc_u32_e32 v2, v2, v1
	s_branch .LBB102_646
.LBB102_521:
	s_mov_b32 s28, -1
	s_mov_b32 s27, 0
	s_mov_b32 s25, s23
                                        ; implicit-def: $vgpr0
	s_branch .LBB102_559
.LBB102_522:
	s_mov_b32 s26, -1
	s_mov_b32 s27, 0
	s_mov_b32 s28, s22
                                        ; implicit-def: $vgpr2
	s_branch .LBB102_707
.LBB102_523:
	s_mov_b32 s28, -1
	s_mov_b32 s27, 0
	s_mov_b32 s25, s23
                                        ; implicit-def: $vgpr0
	s_branch .LBB102_542
.LBB102_524:
	s_mov_b32 s30, -1
	s_mov_b32 s27, 0
	s_mov_b32 s28, s22
                                        ; implicit-def: $vgpr2
	s_branch .LBB102_673
.LBB102_525:
	s_mov_b32 s28, -1
	s_mov_b32 s27, 0
	s_mov_b32 s25, s23
                                        ; implicit-def: $vgpr0
	s_branch .LBB102_537
.LBB102_526:
	s_mov_b32 s30, -1
	s_mov_b32 s27, 0
	s_mov_b32 s28, s22
                                        ; implicit-def: $vgpr2
	s_branch .LBB102_656
.LBB102_527:
	s_mov_b32 s28, -1
	s_mov_b32 s27, 0
	s_mov_b32 s25, s23
	s_branch .LBB102_530
.LBB102_528:
	s_mov_b32 s30, -1
	s_mov_b32 s27, 0
	s_mov_b32 s28, s22
                                        ; implicit-def: $vgpr2
	s_branch .LBB102_651
.LBB102_529:
	s_mov_b32 s25, -1
	s_mov_b32 s27, 0
.LBB102_530:
                                        ; implicit-def: $vgpr0
.LBB102_531:
	s_and_b32 vcc_lo, exec_lo, s28
	s_cbranch_vccz .LBB102_536
; %bb.532:
	s_cmp_eq_u32 s26, 44
	s_cbranch_scc0 .LBB102_535
; %bb.533:
	global_load_u8 v0, v[2:3], off
	s_mov_b32 s25, 0
	s_mov_b32 s27, -1
	s_wait_loadcnt 0x0
	v_lshlrev_b32_e32 v1, 23, v0
	v_cmp_ne_u32_e32 vcc_lo, 0, v0
	s_delay_alu instid0(VALU_DEP_2) | instskip(NEXT) | instid1(VALU_DEP_1)
	v_trunc_f32_e32 v1, v1
	v_mul_f32_e64 v4, 0x2f800000, |v1|
	s_delay_alu instid0(VALU_DEP_1) | instskip(NEXT) | instid1(VALU_DEP_1)
	v_floor_f32_e32 v4, v4
	v_fma_f32 v4, 0xcf800000, v4, |v1|
	v_ashrrev_i32_e32 v1, 31, v1
	s_delay_alu instid0(VALU_DEP_2) | instskip(NEXT) | instid1(VALU_DEP_1)
	v_cvt_u32_f32_e32 v4, v4
	v_xor_b32_e32 v4, v4, v1
	s_delay_alu instid0(VALU_DEP_1) | instskip(NEXT) | instid1(VALU_DEP_1)
	v_sub_nc_u32_e32 v1, v4, v1
	v_cndmask_b32_e32 v0, 0, v1, vcc_lo
	s_branch .LBB102_536
.LBB102_534:
	s_mov_b32 s30, -1
	s_mov_b32 s27, 0
	s_mov_b32 s28, s22
	s_branch .LBB102_645
.LBB102_535:
	s_mov_b32 s25, -1
                                        ; implicit-def: $vgpr0
.LBB102_536:
	s_mov_b32 s28, 0
.LBB102_537:
	s_delay_alu instid0(SALU_CYCLE_1)
	s_and_b32 vcc_lo, exec_lo, s28
	s_cbranch_vccz .LBB102_541
; %bb.538:
	s_cmp_eq_u32 s26, 29
	s_cbranch_scc0 .LBB102_540
; %bb.539:
	global_load_b64 v[0:1], v[2:3], off
	s_mov_b32 s27, -1
	s_mov_b32 s25, 0
	s_branch .LBB102_541
.LBB102_540:
	s_mov_b32 s25, -1
                                        ; implicit-def: $vgpr0
.LBB102_541:
	s_mov_b32 s28, 0
.LBB102_542:
	s_delay_alu instid0(SALU_CYCLE_1)
	s_and_b32 vcc_lo, exec_lo, s28
	s_cbranch_vccz .LBB102_558
; %bb.543:
	s_cmp_lt_i32 s26, 27
	s_cbranch_scc1 .LBB102_546
; %bb.544:
	s_cmp_gt_i32 s26, 27
	s_cbranch_scc0 .LBB102_547
; %bb.545:
	s_wait_loadcnt 0x0
	global_load_b32 v0, v[2:3], off
	s_mov_b32 s27, 0
	s_branch .LBB102_548
.LBB102_546:
	s_mov_b32 s27, -1
                                        ; implicit-def: $vgpr0
	s_branch .LBB102_551
.LBB102_547:
	s_mov_b32 s27, -1
                                        ; implicit-def: $vgpr0
.LBB102_548:
	s_delay_alu instid0(SALU_CYCLE_1)
	s_and_not1_b32 vcc_lo, exec_lo, s27
	s_cbranch_vccnz .LBB102_550
; %bb.549:
	s_wait_loadcnt 0x0
	global_load_u16 v0, v[2:3], off
.LBB102_550:
	s_mov_b32 s27, 0
.LBB102_551:
	s_delay_alu instid0(SALU_CYCLE_1)
	s_and_not1_b32 vcc_lo, exec_lo, s27
	s_cbranch_vccnz .LBB102_557
; %bb.552:
	s_wait_loadcnt 0x0
	global_load_u8 v1, v[2:3], off
	s_mov_b32 s28, 0
	s_mov_b32 s27, exec_lo
	s_wait_loadcnt 0x0
	v_cmpx_lt_i16_e32 0x7f, v1
	s_xor_b32 s27, exec_lo, s27
	s_cbranch_execz .LBB102_569
; %bb.553:
	v_cmp_ne_u16_e32 vcc_lo, 0x80, v1
	s_and_b32 s28, vcc_lo, exec_lo
	s_and_not1_saveexec_b32 s27, s27
	s_cbranch_execnz .LBB102_570
.LBB102_554:
	s_or_b32 exec_lo, exec_lo, s27
	v_mov_b32_e32 v0, 0
	s_and_saveexec_b32 s27, s28
	s_cbranch_execz .LBB102_556
.LBB102_555:
	v_and_b32_e32 v0, 0xffff, v1
	s_delay_alu instid0(VALU_DEP_1) | instskip(SKIP_1) | instid1(VALU_DEP_2)
	v_and_b32_e32 v4, 7, v0
	v_bfe_u32 v7, v0, 3, 4
	v_clz_i32_u32_e32 v5, v4
	s_delay_alu instid0(VALU_DEP_2) | instskip(NEXT) | instid1(VALU_DEP_2)
	v_cmp_eq_u32_e32 vcc_lo, 0, v7
	v_min_u32_e32 v5, 32, v5
	s_delay_alu instid0(VALU_DEP_1) | instskip(NEXT) | instid1(VALU_DEP_1)
	v_subrev_nc_u32_e32 v6, 28, v5
	v_dual_lshlrev_b32 v0, v6, v0 :: v_dual_sub_nc_u32 v5, 29, v5
	s_delay_alu instid0(VALU_DEP_1) | instskip(NEXT) | instid1(VALU_DEP_1)
	v_dual_lshlrev_b32 v1, 24, v1 :: v_dual_bitop2_b32 v0, 7, v0 bitop3:0x40
	v_dual_cndmask_b32 v0, v4, v0 :: v_dual_cndmask_b32 v5, v7, v5
	s_delay_alu instid0(VALU_DEP_2) | instskip(NEXT) | instid1(VALU_DEP_2)
	v_and_b32_e32 v1, 0x80000000, v1
	v_lshlrev_b32_e32 v0, 20, v0
	s_delay_alu instid0(VALU_DEP_3) | instskip(NEXT) | instid1(VALU_DEP_1)
	v_lshl_add_u32 v4, v5, 23, 0x3b800000
	v_or3_b32 v0, v1, v4, v0
	s_delay_alu instid0(VALU_DEP_1) | instskip(NEXT) | instid1(VALU_DEP_1)
	v_trunc_f32_e32 v0, v0
	v_mul_f32_e64 v1, 0x2f800000, |v0|
	s_delay_alu instid0(VALU_DEP_1) | instskip(NEXT) | instid1(VALU_DEP_1)
	v_floor_f32_e32 v1, v1
	v_fma_f32 v1, 0xcf800000, v1, |v0|
	v_ashrrev_i32_e32 v0, 31, v0
	s_delay_alu instid0(VALU_DEP_2) | instskip(NEXT) | instid1(VALU_DEP_1)
	v_cvt_u32_f32_e32 v1, v1
	v_xor_b32_e32 v1, v1, v0
	s_delay_alu instid0(VALU_DEP_1)
	v_sub_nc_u32_e32 v0, v1, v0
.LBB102_556:
	s_or_b32 exec_lo, exec_lo, s27
.LBB102_557:
	s_mov_b32 s27, -1
.LBB102_558:
	s_mov_b32 s28, 0
.LBB102_559:
	s_delay_alu instid0(SALU_CYCLE_1)
	s_and_b32 vcc_lo, exec_lo, s28
	s_cbranch_vccz .LBB102_592
; %bb.560:
	s_cmp_gt_i32 s26, 22
	s_cbranch_scc0 .LBB102_568
; %bb.561:
	s_cmp_lt_i32 s26, 24
	s_cbranch_scc1 .LBB102_571
; %bb.562:
	s_cmp_gt_i32 s26, 24
	s_cbranch_scc0 .LBB102_572
; %bb.563:
	s_wait_loadcnt 0x0
	global_load_u8 v1, v[2:3], off
	s_mov_b32 s28, 0
	s_mov_b32 s27, exec_lo
	s_wait_loadcnt 0x0
	v_cmpx_lt_i16_e32 0x7f, v1
	s_xor_b32 s27, exec_lo, s27
	s_cbranch_execz .LBB102_584
; %bb.564:
	v_cmp_ne_u16_e32 vcc_lo, 0x80, v1
	s_and_b32 s28, vcc_lo, exec_lo
	s_and_not1_saveexec_b32 s27, s27
	s_cbranch_execnz .LBB102_585
.LBB102_565:
	s_or_b32 exec_lo, exec_lo, s27
	v_mov_b32_e32 v0, 0
	s_and_saveexec_b32 s27, s28
	s_cbranch_execz .LBB102_567
.LBB102_566:
	v_and_b32_e32 v0, 0xffff, v1
	s_delay_alu instid0(VALU_DEP_1) | instskip(SKIP_1) | instid1(VALU_DEP_2)
	v_and_b32_e32 v4, 3, v0
	v_bfe_u32 v7, v0, 2, 5
	v_clz_i32_u32_e32 v5, v4
	s_delay_alu instid0(VALU_DEP_2) | instskip(NEXT) | instid1(VALU_DEP_2)
	v_cmp_eq_u32_e32 vcc_lo, 0, v7
	v_min_u32_e32 v5, 32, v5
	s_delay_alu instid0(VALU_DEP_1) | instskip(NEXT) | instid1(VALU_DEP_1)
	v_subrev_nc_u32_e32 v6, 29, v5
	v_dual_lshlrev_b32 v0, v6, v0 :: v_dual_sub_nc_u32 v5, 30, v5
	s_delay_alu instid0(VALU_DEP_1) | instskip(NEXT) | instid1(VALU_DEP_1)
	v_dual_lshlrev_b32 v1, 24, v1 :: v_dual_bitop2_b32 v0, 3, v0 bitop3:0x40
	v_dual_cndmask_b32 v0, v4, v0 :: v_dual_cndmask_b32 v5, v7, v5
	s_delay_alu instid0(VALU_DEP_2) | instskip(NEXT) | instid1(VALU_DEP_2)
	v_and_b32_e32 v1, 0x80000000, v1
	v_lshlrev_b32_e32 v0, 21, v0
	s_delay_alu instid0(VALU_DEP_3) | instskip(NEXT) | instid1(VALU_DEP_1)
	v_lshl_add_u32 v4, v5, 23, 0x37800000
	v_or3_b32 v0, v1, v4, v0
	s_delay_alu instid0(VALU_DEP_1) | instskip(NEXT) | instid1(VALU_DEP_1)
	v_trunc_f32_e32 v0, v0
	v_mul_f32_e64 v1, 0x2f800000, |v0|
	s_delay_alu instid0(VALU_DEP_1) | instskip(NEXT) | instid1(VALU_DEP_1)
	v_floor_f32_e32 v1, v1
	v_fma_f32 v1, 0xcf800000, v1, |v0|
	v_ashrrev_i32_e32 v0, 31, v0
	s_delay_alu instid0(VALU_DEP_2) | instskip(NEXT) | instid1(VALU_DEP_1)
	v_cvt_u32_f32_e32 v1, v1
	v_xor_b32_e32 v1, v1, v0
	s_delay_alu instid0(VALU_DEP_1)
	v_sub_nc_u32_e32 v0, v1, v0
.LBB102_567:
	s_or_b32 exec_lo, exec_lo, s27
	s_mov_b32 s27, 0
	s_branch .LBB102_573
.LBB102_568:
	s_mov_b32 s28, -1
                                        ; implicit-def: $vgpr0
	s_branch .LBB102_579
.LBB102_569:
	s_and_not1_saveexec_b32 s27, s27
	s_cbranch_execz .LBB102_554
.LBB102_570:
	v_cmp_ne_u16_e32 vcc_lo, 0, v1
	s_and_not1_b32 s28, s28, exec_lo
	s_and_b32 s30, vcc_lo, exec_lo
	s_delay_alu instid0(SALU_CYCLE_1)
	s_or_b32 s28, s28, s30
	s_or_b32 exec_lo, exec_lo, s27
	v_mov_b32_e32 v0, 0
	s_and_saveexec_b32 s27, s28
	s_cbranch_execnz .LBB102_555
	s_branch .LBB102_556
.LBB102_571:
	s_mov_b32 s27, -1
                                        ; implicit-def: $vgpr0
	s_branch .LBB102_576
.LBB102_572:
	s_mov_b32 s27, -1
                                        ; implicit-def: $vgpr0
.LBB102_573:
	s_delay_alu instid0(SALU_CYCLE_1)
	s_and_b32 vcc_lo, exec_lo, s27
	s_cbranch_vccz .LBB102_575
; %bb.574:
	s_wait_loadcnt 0x0
	global_load_u8 v0, v[2:3], off
	s_wait_loadcnt 0x0
	v_lshlrev_b32_e32 v0, 24, v0
	s_delay_alu instid0(VALU_DEP_1) | instskip(NEXT) | instid1(VALU_DEP_1)
	v_and_b32_e32 v1, 0x7f000000, v0
	v_clz_i32_u32_e32 v4, v1
	v_cmp_ne_u32_e32 vcc_lo, 0, v1
	v_add_nc_u32_e32 v6, 0x1000000, v1
	s_delay_alu instid0(VALU_DEP_3) | instskip(NEXT) | instid1(VALU_DEP_1)
	v_min_u32_e32 v4, 32, v4
	v_sub_nc_u32_e64 v4, v4, 4 clamp
	s_delay_alu instid0(VALU_DEP_1) | instskip(NEXT) | instid1(VALU_DEP_1)
	v_dual_lshlrev_b32 v5, v4, v1 :: v_dual_lshlrev_b32 v4, 23, v4
	v_lshrrev_b32_e32 v5, 4, v5
	s_delay_alu instid0(VALU_DEP_1) | instskip(NEXT) | instid1(VALU_DEP_1)
	v_dual_sub_nc_u32 v4, v5, v4 :: v_dual_ashrrev_i32 v5, 8, v6
	v_add_nc_u32_e32 v4, 0x3c000000, v4
	s_delay_alu instid0(VALU_DEP_1) | instskip(NEXT) | instid1(VALU_DEP_1)
	v_and_or_b32 v4, 0x7f800000, v5, v4
	v_cndmask_b32_e32 v1, 0, v4, vcc_lo
	s_delay_alu instid0(VALU_DEP_1) | instskip(NEXT) | instid1(VALU_DEP_1)
	v_and_or_b32 v0, 0x80000000, v0, v1
	v_trunc_f32_e32 v0, v0
	s_delay_alu instid0(VALU_DEP_1) | instskip(NEXT) | instid1(VALU_DEP_1)
	v_mul_f32_e64 v1, 0x2f800000, |v0|
	v_floor_f32_e32 v1, v1
	s_delay_alu instid0(VALU_DEP_1) | instskip(SKIP_1) | instid1(VALU_DEP_2)
	v_fma_f32 v1, 0xcf800000, v1, |v0|
	v_ashrrev_i32_e32 v0, 31, v0
	v_cvt_u32_f32_e32 v1, v1
	s_delay_alu instid0(VALU_DEP_1) | instskip(NEXT) | instid1(VALU_DEP_1)
	v_xor_b32_e32 v1, v1, v0
	v_sub_nc_u32_e32 v0, v1, v0
.LBB102_575:
	s_mov_b32 s27, 0
.LBB102_576:
	s_delay_alu instid0(SALU_CYCLE_1)
	s_and_not1_b32 vcc_lo, exec_lo, s27
	s_cbranch_vccnz .LBB102_578
; %bb.577:
	s_wait_loadcnt 0x0
	global_load_u8 v0, v[2:3], off
	s_wait_loadcnt 0x0
	v_lshlrev_b32_e32 v1, 25, v0
	v_lshlrev_b16 v0, 8, v0
	s_delay_alu instid0(VALU_DEP_1) | instskip(SKIP_1) | instid1(VALU_DEP_2)
	v_and_or_b32 v5, 0x7f00, v0, 0.5
	v_bfe_i32 v0, v0, 0, 16
	v_add_f32_e32 v5, -0.5, v5
	v_lshrrev_b32_e32 v4, 4, v1
	v_cmp_gt_u32_e32 vcc_lo, 0x8000000, v1
	s_delay_alu instid0(VALU_DEP_2) | instskip(NEXT) | instid1(VALU_DEP_1)
	v_or_b32_e32 v4, 0x70000000, v4
	v_mul_f32_e32 v4, 0x7800000, v4
	s_delay_alu instid0(VALU_DEP_1) | instskip(NEXT) | instid1(VALU_DEP_1)
	v_cndmask_b32_e32 v1, v4, v5, vcc_lo
	v_and_or_b32 v0, 0x80000000, v0, v1
	s_delay_alu instid0(VALU_DEP_1) | instskip(NEXT) | instid1(VALU_DEP_1)
	v_trunc_f32_e32 v0, v0
	v_mul_f32_e64 v1, 0x2f800000, |v0|
	s_delay_alu instid0(VALU_DEP_1) | instskip(NEXT) | instid1(VALU_DEP_1)
	v_floor_f32_e32 v1, v1
	v_fma_f32 v1, 0xcf800000, v1, |v0|
	v_ashrrev_i32_e32 v0, 31, v0
	s_delay_alu instid0(VALU_DEP_2) | instskip(NEXT) | instid1(VALU_DEP_1)
	v_cvt_u32_f32_e32 v1, v1
	v_xor_b32_e32 v1, v1, v0
	s_delay_alu instid0(VALU_DEP_1)
	v_sub_nc_u32_e32 v0, v1, v0
.LBB102_578:
	s_mov_b32 s28, 0
	s_mov_b32 s27, -1
.LBB102_579:
	s_and_not1_b32 vcc_lo, exec_lo, s28
	s_cbranch_vccnz .LBB102_592
; %bb.580:
	s_cmp_gt_i32 s26, 14
	s_cbranch_scc0 .LBB102_583
; %bb.581:
	s_cmp_eq_u32 s26, 15
	s_cbranch_scc0 .LBB102_586
; %bb.582:
	s_wait_loadcnt 0x0
	global_load_u16 v0, v[2:3], off
	s_mov_b32 s27, -1
	s_mov_b32 s25, 0
	s_wait_loadcnt 0x0
	v_lshlrev_b32_e32 v0, 16, v0
	s_delay_alu instid0(VALU_DEP_1) | instskip(NEXT) | instid1(VALU_DEP_1)
	v_trunc_f32_e32 v0, v0
	v_mul_f32_e64 v1, 0x2f800000, |v0|
	s_delay_alu instid0(VALU_DEP_1) | instskip(NEXT) | instid1(VALU_DEP_1)
	v_floor_f32_e32 v1, v1
	v_fma_f32 v1, 0xcf800000, v1, |v0|
	v_ashrrev_i32_e32 v0, 31, v0
	s_delay_alu instid0(VALU_DEP_2) | instskip(NEXT) | instid1(VALU_DEP_1)
	v_cvt_u32_f32_e32 v1, v1
	v_xor_b32_e32 v1, v1, v0
	s_delay_alu instid0(VALU_DEP_1)
	v_sub_nc_u32_e32 v0, v1, v0
	s_branch .LBB102_587
.LBB102_583:
	s_mov_b32 s28, -1
                                        ; implicit-def: $vgpr0
	s_branch .LBB102_588
.LBB102_584:
	s_and_not1_saveexec_b32 s27, s27
	s_cbranch_execz .LBB102_565
.LBB102_585:
	v_cmp_ne_u16_e32 vcc_lo, 0, v1
	s_and_not1_b32 s28, s28, exec_lo
	s_and_b32 s30, vcc_lo, exec_lo
	s_delay_alu instid0(SALU_CYCLE_1)
	s_or_b32 s28, s28, s30
	s_or_b32 exec_lo, exec_lo, s27
	v_mov_b32_e32 v0, 0
	s_and_saveexec_b32 s27, s28
	s_cbranch_execnz .LBB102_566
	s_branch .LBB102_567
.LBB102_586:
	s_mov_b32 s25, -1
                                        ; implicit-def: $vgpr0
.LBB102_587:
	s_mov_b32 s28, 0
.LBB102_588:
	s_delay_alu instid0(SALU_CYCLE_1)
	s_and_b32 vcc_lo, exec_lo, s28
	s_cbranch_vccz .LBB102_592
; %bb.589:
	s_cmp_eq_u32 s26, 11
	s_cbranch_scc0 .LBB102_591
; %bb.590:
	s_wait_loadcnt 0x0
	global_load_u8 v0, v[2:3], off
	s_mov_b32 s25, 0
	s_mov_b32 s27, -1
	s_wait_loadcnt 0x0
	v_cmp_ne_u16_e32 vcc_lo, 0, v0
	v_cndmask_b32_e64 v0, 0, 1, vcc_lo
	s_branch .LBB102_592
.LBB102_591:
	s_mov_b32 s25, -1
                                        ; implicit-def: $vgpr0
.LBB102_592:
	s_branch .LBB102_513
.LBB102_593:
	s_and_b32 s0, 0xffff, s0
	s_delay_alu instid0(SALU_CYCLE_1)
	s_cmp_lt_i32 s0, 5
	s_cbranch_scc1 .LBB102_598
; %bb.594:
	s_cmp_lt_i32 s0, 8
	s_cbranch_scc1 .LBB102_599
; %bb.595:
	;; [unrolled: 3-line block ×3, first 2 shown]
	s_cmp_gt_i32 s0, 9
	s_cbranch_scc0 .LBB102_601
; %bb.597:
	s_wait_loadcnt 0x0
	global_load_b64 v[0:1], v[2:3], off
	s_mov_b32 s26, 0
	s_wait_loadcnt 0x0
	v_trunc_f64_e32 v[0:1], v[0:1]
	s_delay_alu instid0(VALU_DEP_1) | instskip(NEXT) | instid1(VALU_DEP_1)
	v_ldexp_f64 v[4:5], v[0:1], 0xffffffe0
	v_floor_f64_e32 v[4:5], v[4:5]
	s_delay_alu instid0(VALU_DEP_1) | instskip(NEXT) | instid1(VALU_DEP_1)
	v_fmamk_f64 v[0:1], v[4:5], 0xc1f00000, v[0:1]
	v_cvt_u32_f64_e32 v0, v[0:1]
	s_branch .LBB102_602
.LBB102_598:
	s_mov_b32 s26, -1
                                        ; implicit-def: $vgpr0
	s_branch .LBB102_620
.LBB102_599:
	s_mov_b32 s26, -1
                                        ; implicit-def: $vgpr0
	s_branch .LBB102_608
.LBB102_600:
	s_mov_b32 s26, -1
                                        ; implicit-def: $vgpr0
	s_branch .LBB102_605
.LBB102_601:
	s_mov_b32 s26, -1
                                        ; implicit-def: $vgpr0
.LBB102_602:
	s_delay_alu instid0(SALU_CYCLE_1)
	s_and_not1_b32 vcc_lo, exec_lo, s26
	s_cbranch_vccnz .LBB102_604
; %bb.603:
	s_wait_loadcnt 0x0
	global_load_b32 v0, v[2:3], off
	s_wait_loadcnt 0x0
	v_trunc_f32_e32 v0, v0
	s_delay_alu instid0(VALU_DEP_1) | instskip(NEXT) | instid1(VALU_DEP_1)
	v_mul_f32_e64 v1, 0x2f800000, |v0|
	v_floor_f32_e32 v1, v1
	s_delay_alu instid0(VALU_DEP_1) | instskip(SKIP_1) | instid1(VALU_DEP_2)
	v_fma_f32 v1, 0xcf800000, v1, |v0|
	v_ashrrev_i32_e32 v0, 31, v0
	v_cvt_u32_f32_e32 v1, v1
	s_delay_alu instid0(VALU_DEP_1) | instskip(NEXT) | instid1(VALU_DEP_1)
	v_xor_b32_e32 v1, v1, v0
	v_sub_nc_u32_e32 v0, v1, v0
.LBB102_604:
	s_mov_b32 s26, 0
.LBB102_605:
	s_delay_alu instid0(SALU_CYCLE_1)
	s_and_not1_b32 vcc_lo, exec_lo, s26
	s_cbranch_vccnz .LBB102_607
; %bb.606:
	s_wait_loadcnt 0x0
	global_load_b32 v0, v[2:3], off
	s_wait_loadcnt 0x0
	v_cvt_f32_f16_e32 v0, v0
	s_delay_alu instid0(VALU_DEP_1)
	v_cvt_i32_f32_e32 v0, v0
.LBB102_607:
	s_mov_b32 s26, 0
.LBB102_608:
	s_delay_alu instid0(SALU_CYCLE_1)
	s_and_not1_b32 vcc_lo, exec_lo, s26
	s_cbranch_vccnz .LBB102_619
; %bb.609:
	s_cmp_lt_i32 s0, 6
	s_cbranch_scc1 .LBB102_612
; %bb.610:
	s_cmp_gt_i32 s0, 6
	s_cbranch_scc0 .LBB102_613
; %bb.611:
	s_wait_loadcnt 0x0
	global_load_b64 v[0:1], v[2:3], off
	s_mov_b32 s26, 0
	s_wait_loadcnt 0x0
	v_trunc_f64_e32 v[0:1], v[0:1]
	s_delay_alu instid0(VALU_DEP_1) | instskip(NEXT) | instid1(VALU_DEP_1)
	v_ldexp_f64 v[4:5], v[0:1], 0xffffffe0
	v_floor_f64_e32 v[4:5], v[4:5]
	s_delay_alu instid0(VALU_DEP_1) | instskip(NEXT) | instid1(VALU_DEP_1)
	v_fmamk_f64 v[0:1], v[4:5], 0xc1f00000, v[0:1]
	v_cvt_u32_f64_e32 v0, v[0:1]
	s_branch .LBB102_614
.LBB102_612:
	s_mov_b32 s26, -1
                                        ; implicit-def: $vgpr0
	s_branch .LBB102_617
.LBB102_613:
	s_mov_b32 s26, -1
                                        ; implicit-def: $vgpr0
.LBB102_614:
	s_delay_alu instid0(SALU_CYCLE_1)
	s_and_not1_b32 vcc_lo, exec_lo, s26
	s_cbranch_vccnz .LBB102_616
; %bb.615:
	s_wait_loadcnt 0x0
	global_load_b32 v0, v[2:3], off
	s_wait_loadcnt 0x0
	v_trunc_f32_e32 v0, v0
	s_delay_alu instid0(VALU_DEP_1) | instskip(NEXT) | instid1(VALU_DEP_1)
	v_mul_f32_e64 v1, 0x2f800000, |v0|
	v_floor_f32_e32 v1, v1
	s_delay_alu instid0(VALU_DEP_1) | instskip(SKIP_1) | instid1(VALU_DEP_2)
	v_fma_f32 v1, 0xcf800000, v1, |v0|
	v_ashrrev_i32_e32 v0, 31, v0
	v_cvt_u32_f32_e32 v1, v1
	s_delay_alu instid0(VALU_DEP_1) | instskip(NEXT) | instid1(VALU_DEP_1)
	v_xor_b32_e32 v1, v1, v0
	v_sub_nc_u32_e32 v0, v1, v0
.LBB102_616:
	s_mov_b32 s26, 0
.LBB102_617:
	s_delay_alu instid0(SALU_CYCLE_1)
	s_and_not1_b32 vcc_lo, exec_lo, s26
	s_cbranch_vccnz .LBB102_619
; %bb.618:
	s_wait_loadcnt 0x0
	global_load_u16 v0, v[2:3], off
	s_wait_loadcnt 0x0
	v_cvt_f32_f16_e32 v0, v0
	s_delay_alu instid0(VALU_DEP_1)
	v_cvt_i32_f32_e32 v0, v0
.LBB102_619:
	s_mov_b32 s26, 0
.LBB102_620:
	s_delay_alu instid0(SALU_CYCLE_1)
	s_and_not1_b32 vcc_lo, exec_lo, s26
	s_cbranch_vccnz .LBB102_640
; %bb.621:
	s_cmp_lt_i32 s0, 2
	s_cbranch_scc1 .LBB102_625
; %bb.622:
	s_cmp_lt_i32 s0, 3
	s_cbranch_scc1 .LBB102_626
; %bb.623:
	s_cmp_gt_i32 s0, 3
	s_cbranch_scc0 .LBB102_627
; %bb.624:
	s_wait_loadcnt 0x0
	global_load_b64 v[0:1], v[2:3], off
	s_mov_b32 s26, 0
	s_branch .LBB102_628
.LBB102_625:
	s_mov_b32 s26, -1
                                        ; implicit-def: $vgpr0
	s_branch .LBB102_634
.LBB102_626:
	s_mov_b32 s26, -1
                                        ; implicit-def: $vgpr0
	s_branch .LBB102_631
.LBB102_627:
	s_mov_b32 s26, -1
                                        ; implicit-def: $vgpr0
.LBB102_628:
	s_delay_alu instid0(SALU_CYCLE_1)
	s_and_not1_b32 vcc_lo, exec_lo, s26
	s_cbranch_vccnz .LBB102_630
; %bb.629:
	s_wait_loadcnt 0x0
	global_load_b32 v0, v[2:3], off
.LBB102_630:
	s_mov_b32 s26, 0
.LBB102_631:
	s_delay_alu instid0(SALU_CYCLE_1)
	s_and_not1_b32 vcc_lo, exec_lo, s26
	s_cbranch_vccnz .LBB102_633
; %bb.632:
	s_wait_loadcnt 0x0
	global_load_u16 v0, v[2:3], off
.LBB102_633:
	s_mov_b32 s26, 0
.LBB102_634:
	s_delay_alu instid0(SALU_CYCLE_1)
	s_and_not1_b32 vcc_lo, exec_lo, s26
	s_cbranch_vccnz .LBB102_640
; %bb.635:
	s_cmp_gt_i32 s0, 0
	s_mov_b32 s0, 0
	s_cbranch_scc0 .LBB102_637
; %bb.636:
	s_wait_loadcnt 0x0
	global_load_u8 v0, v[2:3], off
	s_branch .LBB102_638
.LBB102_637:
	s_mov_b32 s0, -1
                                        ; implicit-def: $vgpr0
.LBB102_638:
	s_delay_alu instid0(SALU_CYCLE_1)
	s_and_not1_b32 vcc_lo, exec_lo, s0
	s_cbranch_vccnz .LBB102_640
; %bb.639:
	s_wait_loadcnt 0x0
	global_load_u8 v0, v[2:3], off
.LBB102_640:
	s_branch .LBB102_514
.LBB102_641:
	s_mov_b32 s30, 0
	s_mov_b32 s0, s19
	;; [unrolled: 1-line block ×4, first 2 shown]
	s_branch .LBB102_1009
.LBB102_642:
	s_and_not1_saveexec_b32 s29, s29
	s_cbranch_execz .LBB102_409
.LBB102_643:
	v_add_f32_e32 v2, 0x46000000, v3
	s_and_not1_b32 s28, s28, exec_lo
	s_delay_alu instid0(VALU_DEP_1) | instskip(NEXT) | instid1(VALU_DEP_1)
	v_and_b32_e32 v2, 0xff, v2
	v_cmp_ne_u32_e32 vcc_lo, 0, v2
	s_and_b32 s30, vcc_lo, exec_lo
	s_delay_alu instid0(SALU_CYCLE_1)
	s_or_b32 s28, s28, s30
	s_or_b32 exec_lo, exec_lo, s29
	v_mov_b32_e32 v5, 0
	s_and_saveexec_b32 s29, s28
	s_cbranch_execnz .LBB102_410
	s_branch .LBB102_411
.LBB102_644:
	s_mov_b32 s28, -1
	s_mov_b32 s27, 0
.LBB102_645:
                                        ; implicit-def: $vgpr2
.LBB102_646:
	s_and_b32 vcc_lo, exec_lo, s30
	s_cbranch_vccz .LBB102_650
; %bb.647:
	s_cmp_eq_u32 s26, 44
	s_cbranch_scc0 .LBB102_649
; %bb.648:
	s_wait_loadcnt 0x0
	global_load_u8 v1, v[4:5], off
	s_mov_b32 s28, 0
	s_mov_b32 s27, -1
	s_wait_loadcnt 0x0
	v_lshlrev_b32_e32 v2, 23, v1
	v_cmp_ne_u32_e32 vcc_lo, 0, v1
	s_delay_alu instid0(VALU_DEP_2) | instskip(NEXT) | instid1(VALU_DEP_1)
	v_trunc_f32_e32 v2, v2
	v_mul_f32_e64 v3, 0x2f800000, |v2|
	s_delay_alu instid0(VALU_DEP_1) | instskip(NEXT) | instid1(VALU_DEP_1)
	v_floor_f32_e32 v3, v3
	v_fma_f32 v3, 0xcf800000, v3, |v2|
	v_ashrrev_i32_e32 v2, 31, v2
	s_delay_alu instid0(VALU_DEP_2) | instskip(NEXT) | instid1(VALU_DEP_1)
	v_cvt_u32_f32_e32 v3, v3
	v_xor_b32_e32 v3, v3, v2
	s_delay_alu instid0(VALU_DEP_1) | instskip(NEXT) | instid1(VALU_DEP_1)
	v_sub_nc_u32_e32 v2, v3, v2
	v_cndmask_b32_e32 v2, 0, v2, vcc_lo
	s_branch .LBB102_650
.LBB102_649:
	s_mov_b32 s28, -1
                                        ; implicit-def: $vgpr2
.LBB102_650:
	s_mov_b32 s30, 0
.LBB102_651:
	s_delay_alu instid0(SALU_CYCLE_1)
	s_and_b32 vcc_lo, exec_lo, s30
	s_cbranch_vccz .LBB102_655
; %bb.652:
	s_cmp_eq_u32 s26, 29
	s_cbranch_scc0 .LBB102_654
; %bb.653:
	global_load_b64 v[2:3], v[4:5], off
	s_mov_b32 s27, -1
	s_mov_b32 s28, 0
	s_branch .LBB102_655
.LBB102_654:
	s_mov_b32 s28, -1
                                        ; implicit-def: $vgpr2
.LBB102_655:
	s_mov_b32 s30, 0
.LBB102_656:
	s_delay_alu instid0(SALU_CYCLE_1)
	s_and_b32 vcc_lo, exec_lo, s30
	s_cbranch_vccz .LBB102_672
; %bb.657:
	s_cmp_lt_i32 s26, 27
	s_cbranch_scc1 .LBB102_660
; %bb.658:
	s_cmp_gt_i32 s26, 27
	s_cbranch_scc0 .LBB102_661
; %bb.659:
	s_wait_loadcnt 0x0
	global_load_b32 v2, v[4:5], off
	s_mov_b32 s27, 0
	s_branch .LBB102_662
.LBB102_660:
	s_mov_b32 s27, -1
                                        ; implicit-def: $vgpr2
	s_branch .LBB102_665
.LBB102_661:
	s_mov_b32 s27, -1
                                        ; implicit-def: $vgpr2
.LBB102_662:
	s_delay_alu instid0(SALU_CYCLE_1)
	s_and_not1_b32 vcc_lo, exec_lo, s27
	s_cbranch_vccnz .LBB102_664
; %bb.663:
	s_wait_loadcnt 0x0
	global_load_u16 v2, v[4:5], off
.LBB102_664:
	s_mov_b32 s27, 0
.LBB102_665:
	s_delay_alu instid0(SALU_CYCLE_1)
	s_and_not1_b32 vcc_lo, exec_lo, s27
	s_cbranch_vccnz .LBB102_671
; %bb.666:
	s_wait_loadcnt 0x0
	global_load_u8 v1, v[4:5], off
	s_mov_b32 s30, 0
	s_mov_b32 s27, exec_lo
	s_wait_loadcnt 0x0
	v_cmpx_lt_i16_e32 0x7f, v1
	s_xor_b32 s27, exec_lo, s27
	s_cbranch_execz .LBB102_683
; %bb.667:
	v_cmp_ne_u16_e32 vcc_lo, 0x80, v1
	s_and_b32 s30, vcc_lo, exec_lo
	s_and_not1_saveexec_b32 s27, s27
	s_cbranch_execnz .LBB102_684
.LBB102_668:
	s_or_b32 exec_lo, exec_lo, s27
	v_mov_b32_e32 v2, 0
	s_and_saveexec_b32 s27, s30
	s_cbranch_execz .LBB102_670
.LBB102_669:
	v_and_b32_e32 v2, 0xffff, v1
	s_delay_alu instid0(VALU_DEP_1) | instskip(SKIP_1) | instid1(VALU_DEP_2)
	v_dual_lshlrev_b32 v1, 24, v1 :: v_dual_bitop2_b32 v3, 7, v2 bitop3:0x40
	v_bfe_u32 v8, v2, 3, 4
	v_and_b32_e32 v1, 0x80000000, v1
	s_delay_alu instid0(VALU_DEP_3) | instskip(NEXT) | instid1(VALU_DEP_3)
	v_clz_i32_u32_e32 v6, v3
	v_cmp_eq_u32_e32 vcc_lo, 0, v8
	s_delay_alu instid0(VALU_DEP_2) | instskip(NEXT) | instid1(VALU_DEP_1)
	v_min_u32_e32 v6, 32, v6
	v_subrev_nc_u32_e32 v7, 28, v6
	v_sub_nc_u32_e32 v6, 29, v6
	s_delay_alu instid0(VALU_DEP_2) | instskip(NEXT) | instid1(VALU_DEP_2)
	v_lshlrev_b32_e32 v2, v7, v2
	v_cndmask_b32_e32 v6, v8, v6, vcc_lo
	s_delay_alu instid0(VALU_DEP_2) | instskip(NEXT) | instid1(VALU_DEP_1)
	v_and_b32_e32 v2, 7, v2
	v_cndmask_b32_e32 v2, v3, v2, vcc_lo
	s_delay_alu instid0(VALU_DEP_3) | instskip(NEXT) | instid1(VALU_DEP_2)
	v_lshl_add_u32 v3, v6, 23, 0x3b800000
	v_lshlrev_b32_e32 v2, 20, v2
	s_delay_alu instid0(VALU_DEP_1) | instskip(NEXT) | instid1(VALU_DEP_1)
	v_or3_b32 v1, v1, v3, v2
	v_trunc_f32_e32 v1, v1
	s_delay_alu instid0(VALU_DEP_1) | instskip(NEXT) | instid1(VALU_DEP_1)
	v_mul_f32_e64 v2, 0x2f800000, |v1|
	v_floor_f32_e32 v2, v2
	s_delay_alu instid0(VALU_DEP_1) | instskip(SKIP_1) | instid1(VALU_DEP_2)
	v_fma_f32 v2, 0xcf800000, v2, |v1|
	v_ashrrev_i32_e32 v1, 31, v1
	v_cvt_u32_f32_e32 v2, v2
	s_delay_alu instid0(VALU_DEP_1) | instskip(NEXT) | instid1(VALU_DEP_1)
	v_xor_b32_e32 v2, v2, v1
	v_sub_nc_u32_e32 v2, v2, v1
.LBB102_670:
	s_or_b32 exec_lo, exec_lo, s27
.LBB102_671:
	s_mov_b32 s27, -1
.LBB102_672:
	s_mov_b32 s30, 0
.LBB102_673:
	s_delay_alu instid0(SALU_CYCLE_1)
	s_and_b32 vcc_lo, exec_lo, s30
	s_cbranch_vccz .LBB102_706
; %bb.674:
	s_cmp_gt_i32 s26, 22
	s_cbranch_scc0 .LBB102_682
; %bb.675:
	s_cmp_lt_i32 s26, 24
	s_cbranch_scc1 .LBB102_685
; %bb.676:
	s_cmp_gt_i32 s26, 24
	s_cbranch_scc0 .LBB102_686
; %bb.677:
	s_wait_loadcnt 0x0
	global_load_u8 v1, v[4:5], off
	s_mov_b32 s30, 0
	s_mov_b32 s27, exec_lo
	s_wait_loadcnt 0x0
	v_cmpx_lt_i16_e32 0x7f, v1
	s_xor_b32 s27, exec_lo, s27
	s_cbranch_execz .LBB102_698
; %bb.678:
	v_cmp_ne_u16_e32 vcc_lo, 0x80, v1
	s_and_b32 s30, vcc_lo, exec_lo
	s_and_not1_saveexec_b32 s27, s27
	s_cbranch_execnz .LBB102_699
.LBB102_679:
	s_or_b32 exec_lo, exec_lo, s27
	v_mov_b32_e32 v2, 0
	s_and_saveexec_b32 s27, s30
	s_cbranch_execz .LBB102_681
.LBB102_680:
	v_and_b32_e32 v2, 0xffff, v1
	s_delay_alu instid0(VALU_DEP_1) | instskip(SKIP_1) | instid1(VALU_DEP_2)
	v_dual_lshlrev_b32 v1, 24, v1 :: v_dual_bitop2_b32 v3, 3, v2 bitop3:0x40
	v_bfe_u32 v8, v2, 2, 5
	v_and_b32_e32 v1, 0x80000000, v1
	s_delay_alu instid0(VALU_DEP_3) | instskip(NEXT) | instid1(VALU_DEP_3)
	v_clz_i32_u32_e32 v6, v3
	v_cmp_eq_u32_e32 vcc_lo, 0, v8
	s_delay_alu instid0(VALU_DEP_2) | instskip(NEXT) | instid1(VALU_DEP_1)
	v_min_u32_e32 v6, 32, v6
	v_subrev_nc_u32_e32 v7, 29, v6
	v_sub_nc_u32_e32 v6, 30, v6
	s_delay_alu instid0(VALU_DEP_2) | instskip(NEXT) | instid1(VALU_DEP_2)
	v_lshlrev_b32_e32 v2, v7, v2
	v_cndmask_b32_e32 v6, v8, v6, vcc_lo
	s_delay_alu instid0(VALU_DEP_2) | instskip(NEXT) | instid1(VALU_DEP_1)
	v_and_b32_e32 v2, 3, v2
	v_cndmask_b32_e32 v2, v3, v2, vcc_lo
	s_delay_alu instid0(VALU_DEP_3) | instskip(NEXT) | instid1(VALU_DEP_2)
	v_lshl_add_u32 v3, v6, 23, 0x37800000
	v_lshlrev_b32_e32 v2, 21, v2
	s_delay_alu instid0(VALU_DEP_1) | instskip(NEXT) | instid1(VALU_DEP_1)
	v_or3_b32 v1, v1, v3, v2
	v_trunc_f32_e32 v1, v1
	s_delay_alu instid0(VALU_DEP_1) | instskip(NEXT) | instid1(VALU_DEP_1)
	v_mul_f32_e64 v2, 0x2f800000, |v1|
	v_floor_f32_e32 v2, v2
	s_delay_alu instid0(VALU_DEP_1) | instskip(SKIP_1) | instid1(VALU_DEP_2)
	v_fma_f32 v2, 0xcf800000, v2, |v1|
	v_ashrrev_i32_e32 v1, 31, v1
	v_cvt_u32_f32_e32 v2, v2
	s_delay_alu instid0(VALU_DEP_1) | instskip(NEXT) | instid1(VALU_DEP_1)
	v_xor_b32_e32 v2, v2, v1
	v_sub_nc_u32_e32 v2, v2, v1
.LBB102_681:
	s_or_b32 exec_lo, exec_lo, s27
	s_mov_b32 s27, 0
	s_branch .LBB102_687
.LBB102_682:
	s_mov_b32 s30, -1
                                        ; implicit-def: $vgpr2
	s_branch .LBB102_693
.LBB102_683:
	s_and_not1_saveexec_b32 s27, s27
	s_cbranch_execz .LBB102_668
.LBB102_684:
	v_cmp_ne_u16_e32 vcc_lo, 0, v1
	s_and_not1_b32 s30, s30, exec_lo
	s_and_b32 s31, vcc_lo, exec_lo
	s_delay_alu instid0(SALU_CYCLE_1)
	s_or_b32 s30, s30, s31
	s_or_b32 exec_lo, exec_lo, s27
	v_mov_b32_e32 v2, 0
	s_and_saveexec_b32 s27, s30
	s_cbranch_execnz .LBB102_669
	s_branch .LBB102_670
.LBB102_685:
	s_mov_b32 s27, -1
                                        ; implicit-def: $vgpr2
	s_branch .LBB102_690
.LBB102_686:
	s_mov_b32 s27, -1
                                        ; implicit-def: $vgpr2
.LBB102_687:
	s_delay_alu instid0(SALU_CYCLE_1)
	s_and_b32 vcc_lo, exec_lo, s27
	s_cbranch_vccz .LBB102_689
; %bb.688:
	s_wait_loadcnt 0x0
	global_load_u8 v1, v[4:5], off
	s_wait_loadcnt 0x0
	v_lshlrev_b32_e32 v1, 24, v1
	s_delay_alu instid0(VALU_DEP_1) | instskip(NEXT) | instid1(VALU_DEP_1)
	v_and_b32_e32 v2, 0x7f000000, v1
	v_clz_i32_u32_e32 v3, v2
	v_cmp_ne_u32_e32 vcc_lo, 0, v2
	v_add_nc_u32_e32 v7, 0x1000000, v2
	s_delay_alu instid0(VALU_DEP_3) | instskip(NEXT) | instid1(VALU_DEP_1)
	v_min_u32_e32 v3, 32, v3
	v_sub_nc_u32_e64 v3, v3, 4 clamp
	s_delay_alu instid0(VALU_DEP_1) | instskip(NEXT) | instid1(VALU_DEP_1)
	v_dual_lshlrev_b32 v6, v3, v2 :: v_dual_lshlrev_b32 v3, 23, v3
	v_lshrrev_b32_e32 v6, 4, v6
	s_delay_alu instid0(VALU_DEP_1) | instskip(SKIP_1) | instid1(VALU_DEP_2)
	v_sub_nc_u32_e32 v3, v6, v3
	v_ashrrev_i32_e32 v6, 8, v7
	v_add_nc_u32_e32 v3, 0x3c000000, v3
	s_delay_alu instid0(VALU_DEP_1) | instskip(NEXT) | instid1(VALU_DEP_1)
	v_and_or_b32 v3, 0x7f800000, v6, v3
	v_cndmask_b32_e32 v2, 0, v3, vcc_lo
	s_delay_alu instid0(VALU_DEP_1) | instskip(NEXT) | instid1(VALU_DEP_1)
	v_and_or_b32 v1, 0x80000000, v1, v2
	v_trunc_f32_e32 v1, v1
	s_delay_alu instid0(VALU_DEP_1) | instskip(NEXT) | instid1(VALU_DEP_1)
	v_mul_f32_e64 v2, 0x2f800000, |v1|
	v_floor_f32_e32 v2, v2
	s_delay_alu instid0(VALU_DEP_1) | instskip(SKIP_1) | instid1(VALU_DEP_2)
	v_fma_f32 v2, 0xcf800000, v2, |v1|
	v_ashrrev_i32_e32 v1, 31, v1
	v_cvt_u32_f32_e32 v2, v2
	s_delay_alu instid0(VALU_DEP_1) | instskip(NEXT) | instid1(VALU_DEP_1)
	v_xor_b32_e32 v2, v2, v1
	v_sub_nc_u32_e32 v2, v2, v1
.LBB102_689:
	s_mov_b32 s27, 0
.LBB102_690:
	s_delay_alu instid0(SALU_CYCLE_1)
	s_and_not1_b32 vcc_lo, exec_lo, s27
	s_cbranch_vccnz .LBB102_692
; %bb.691:
	s_wait_loadcnt 0x0
	global_load_u8 v1, v[4:5], off
	s_wait_loadcnt 0x0
	v_lshlrev_b32_e32 v2, 25, v1
	v_lshlrev_b16 v1, 8, v1
	s_delay_alu instid0(VALU_DEP_1) | instskip(SKIP_1) | instid1(VALU_DEP_2)
	v_and_or_b32 v6, 0x7f00, v1, 0.5
	v_bfe_i32 v1, v1, 0, 16
	v_add_f32_e32 v6, -0.5, v6
	v_lshrrev_b32_e32 v3, 4, v2
	v_cmp_gt_u32_e32 vcc_lo, 0x8000000, v2
	s_delay_alu instid0(VALU_DEP_2) | instskip(NEXT) | instid1(VALU_DEP_1)
	v_or_b32_e32 v3, 0x70000000, v3
	v_mul_f32_e32 v3, 0x7800000, v3
	s_delay_alu instid0(VALU_DEP_1) | instskip(NEXT) | instid1(VALU_DEP_1)
	v_cndmask_b32_e32 v2, v3, v6, vcc_lo
	v_and_or_b32 v1, 0x80000000, v1, v2
	s_delay_alu instid0(VALU_DEP_1) | instskip(NEXT) | instid1(VALU_DEP_1)
	v_trunc_f32_e32 v1, v1
	v_mul_f32_e64 v2, 0x2f800000, |v1|
	s_delay_alu instid0(VALU_DEP_1) | instskip(NEXT) | instid1(VALU_DEP_1)
	v_floor_f32_e32 v2, v2
	v_fma_f32 v2, 0xcf800000, v2, |v1|
	v_ashrrev_i32_e32 v1, 31, v1
	s_delay_alu instid0(VALU_DEP_2) | instskip(NEXT) | instid1(VALU_DEP_1)
	v_cvt_u32_f32_e32 v2, v2
	v_xor_b32_e32 v2, v2, v1
	s_delay_alu instid0(VALU_DEP_1)
	v_sub_nc_u32_e32 v2, v2, v1
.LBB102_692:
	s_mov_b32 s30, 0
	s_mov_b32 s27, -1
.LBB102_693:
	s_and_not1_b32 vcc_lo, exec_lo, s30
	s_cbranch_vccnz .LBB102_706
; %bb.694:
	s_cmp_gt_i32 s26, 14
	s_cbranch_scc0 .LBB102_697
; %bb.695:
	s_cmp_eq_u32 s26, 15
	s_cbranch_scc0 .LBB102_700
; %bb.696:
	s_wait_loadcnt 0x0
	global_load_u16 v1, v[4:5], off
	s_mov_b32 s27, -1
	s_mov_b32 s28, 0
	s_wait_loadcnt 0x0
	v_lshlrev_b32_e32 v1, 16, v1
	s_delay_alu instid0(VALU_DEP_1) | instskip(NEXT) | instid1(VALU_DEP_1)
	v_trunc_f32_e32 v1, v1
	v_mul_f32_e64 v2, 0x2f800000, |v1|
	s_delay_alu instid0(VALU_DEP_1) | instskip(NEXT) | instid1(VALU_DEP_1)
	v_floor_f32_e32 v2, v2
	v_fma_f32 v2, 0xcf800000, v2, |v1|
	v_ashrrev_i32_e32 v1, 31, v1
	s_delay_alu instid0(VALU_DEP_2) | instskip(NEXT) | instid1(VALU_DEP_1)
	v_cvt_u32_f32_e32 v2, v2
	v_xor_b32_e32 v2, v2, v1
	s_delay_alu instid0(VALU_DEP_1)
	v_sub_nc_u32_e32 v2, v2, v1
	s_branch .LBB102_701
.LBB102_697:
	s_mov_b32 s30, -1
                                        ; implicit-def: $vgpr2
	s_branch .LBB102_702
.LBB102_698:
	s_and_not1_saveexec_b32 s27, s27
	s_cbranch_execz .LBB102_679
.LBB102_699:
	v_cmp_ne_u16_e32 vcc_lo, 0, v1
	s_and_not1_b32 s30, s30, exec_lo
	s_and_b32 s31, vcc_lo, exec_lo
	s_delay_alu instid0(SALU_CYCLE_1)
	s_or_b32 s30, s30, s31
	s_or_b32 exec_lo, exec_lo, s27
	v_mov_b32_e32 v2, 0
	s_and_saveexec_b32 s27, s30
	s_cbranch_execnz .LBB102_680
	s_branch .LBB102_681
.LBB102_700:
	s_mov_b32 s28, -1
                                        ; implicit-def: $vgpr2
.LBB102_701:
	s_mov_b32 s30, 0
.LBB102_702:
	s_delay_alu instid0(SALU_CYCLE_1)
	s_and_b32 vcc_lo, exec_lo, s30
	s_cbranch_vccz .LBB102_706
; %bb.703:
	s_cmp_eq_u32 s26, 11
	s_cbranch_scc0 .LBB102_705
; %bb.704:
	s_wait_loadcnt 0x0
	global_load_u8 v1, v[4:5], off
	s_mov_b32 s28, 0
	s_mov_b32 s27, -1
	s_wait_loadcnt 0x0
	v_cmp_ne_u16_e32 vcc_lo, 0, v1
	v_cndmask_b32_e64 v2, 0, 1, vcc_lo
	s_branch .LBB102_706
.LBB102_705:
	s_mov_b32 s28, -1
                                        ; implicit-def: $vgpr2
.LBB102_706:
	s_mov_b32 s26, 0
.LBB102_707:
	s_delay_alu instid0(SALU_CYCLE_1)
	s_and_b32 vcc_lo, exec_lo, s26
	s_cbranch_vccz .LBB102_756
; %bb.708:
	s_and_b32 s0, 0xffff, s0
	s_delay_alu instid0(SALU_CYCLE_1)
	s_cmp_lt_i32 s0, 5
	s_cbranch_scc1 .LBB102_713
; %bb.709:
	s_cmp_lt_i32 s0, 8
	s_cbranch_scc1 .LBB102_714
; %bb.710:
	;; [unrolled: 3-line block ×3, first 2 shown]
	s_cmp_gt_i32 s0, 9
	s_cbranch_scc0 .LBB102_716
; %bb.712:
	s_wait_loadcnt 0x0
	global_load_b64 v[2:3], v[4:5], off
	s_mov_b32 s26, 0
	s_wait_loadcnt 0x0
	v_trunc_f64_e32 v[2:3], v[2:3]
	s_delay_alu instid0(VALU_DEP_1) | instskip(NEXT) | instid1(VALU_DEP_1)
	v_ldexp_f64 v[6:7], v[2:3], 0xffffffe0
	v_floor_f64_e32 v[6:7], v[6:7]
	s_delay_alu instid0(VALU_DEP_1) | instskip(NEXT) | instid1(VALU_DEP_1)
	v_fmamk_f64 v[2:3], v[6:7], 0xc1f00000, v[2:3]
	v_cvt_u32_f64_e32 v2, v[2:3]
	s_branch .LBB102_717
.LBB102_713:
	s_mov_b32 s26, -1
                                        ; implicit-def: $vgpr2
	s_branch .LBB102_735
.LBB102_714:
	s_mov_b32 s26, -1
                                        ; implicit-def: $vgpr2
	s_branch .LBB102_723
.LBB102_715:
	s_mov_b32 s26, -1
                                        ; implicit-def: $vgpr2
	s_branch .LBB102_720
.LBB102_716:
	s_mov_b32 s26, -1
                                        ; implicit-def: $vgpr2
.LBB102_717:
	s_delay_alu instid0(SALU_CYCLE_1)
	s_and_not1_b32 vcc_lo, exec_lo, s26
	s_cbranch_vccnz .LBB102_719
; %bb.718:
	s_wait_loadcnt 0x0
	global_load_b32 v1, v[4:5], off
	s_wait_loadcnt 0x0
	v_trunc_f32_e32 v1, v1
	s_delay_alu instid0(VALU_DEP_1) | instskip(NEXT) | instid1(VALU_DEP_1)
	v_mul_f32_e64 v2, 0x2f800000, |v1|
	v_floor_f32_e32 v2, v2
	s_delay_alu instid0(VALU_DEP_1) | instskip(SKIP_1) | instid1(VALU_DEP_2)
	v_fma_f32 v2, 0xcf800000, v2, |v1|
	v_ashrrev_i32_e32 v1, 31, v1
	v_cvt_u32_f32_e32 v2, v2
	s_delay_alu instid0(VALU_DEP_1) | instskip(NEXT) | instid1(VALU_DEP_1)
	v_xor_b32_e32 v2, v2, v1
	v_sub_nc_u32_e32 v2, v2, v1
.LBB102_719:
	s_mov_b32 s26, 0
.LBB102_720:
	s_delay_alu instid0(SALU_CYCLE_1)
	s_and_not1_b32 vcc_lo, exec_lo, s26
	s_cbranch_vccnz .LBB102_722
; %bb.721:
	s_wait_loadcnt 0x0
	global_load_b32 v1, v[4:5], off
	s_wait_loadcnt 0x0
	v_cvt_f32_f16_e32 v1, v1
	s_delay_alu instid0(VALU_DEP_1)
	v_cvt_i32_f32_e32 v2, v1
.LBB102_722:
	s_mov_b32 s26, 0
.LBB102_723:
	s_delay_alu instid0(SALU_CYCLE_1)
	s_and_not1_b32 vcc_lo, exec_lo, s26
	s_cbranch_vccnz .LBB102_734
; %bb.724:
	s_cmp_lt_i32 s0, 6
	s_cbranch_scc1 .LBB102_727
; %bb.725:
	s_cmp_gt_i32 s0, 6
	s_cbranch_scc0 .LBB102_728
; %bb.726:
	s_wait_loadcnt 0x0
	global_load_b64 v[2:3], v[4:5], off
	s_mov_b32 s26, 0
	s_wait_loadcnt 0x0
	v_trunc_f64_e32 v[2:3], v[2:3]
	s_delay_alu instid0(VALU_DEP_1) | instskip(NEXT) | instid1(VALU_DEP_1)
	v_ldexp_f64 v[6:7], v[2:3], 0xffffffe0
	v_floor_f64_e32 v[6:7], v[6:7]
	s_delay_alu instid0(VALU_DEP_1) | instskip(NEXT) | instid1(VALU_DEP_1)
	v_fmamk_f64 v[2:3], v[6:7], 0xc1f00000, v[2:3]
	v_cvt_u32_f64_e32 v2, v[2:3]
	s_branch .LBB102_729
.LBB102_727:
	s_mov_b32 s26, -1
                                        ; implicit-def: $vgpr2
	s_branch .LBB102_732
.LBB102_728:
	s_mov_b32 s26, -1
                                        ; implicit-def: $vgpr2
.LBB102_729:
	s_delay_alu instid0(SALU_CYCLE_1)
	s_and_not1_b32 vcc_lo, exec_lo, s26
	s_cbranch_vccnz .LBB102_731
; %bb.730:
	s_wait_loadcnt 0x0
	global_load_b32 v1, v[4:5], off
	s_wait_loadcnt 0x0
	v_trunc_f32_e32 v1, v1
	s_delay_alu instid0(VALU_DEP_1) | instskip(NEXT) | instid1(VALU_DEP_1)
	v_mul_f32_e64 v2, 0x2f800000, |v1|
	v_floor_f32_e32 v2, v2
	s_delay_alu instid0(VALU_DEP_1) | instskip(SKIP_1) | instid1(VALU_DEP_2)
	v_fma_f32 v2, 0xcf800000, v2, |v1|
	v_ashrrev_i32_e32 v1, 31, v1
	v_cvt_u32_f32_e32 v2, v2
	s_delay_alu instid0(VALU_DEP_1) | instskip(NEXT) | instid1(VALU_DEP_1)
	v_xor_b32_e32 v2, v2, v1
	v_sub_nc_u32_e32 v2, v2, v1
.LBB102_731:
	s_mov_b32 s26, 0
.LBB102_732:
	s_delay_alu instid0(SALU_CYCLE_1)
	s_and_not1_b32 vcc_lo, exec_lo, s26
	s_cbranch_vccnz .LBB102_734
; %bb.733:
	s_wait_loadcnt 0x0
	global_load_u16 v1, v[4:5], off
	s_wait_loadcnt 0x0
	v_cvt_f32_f16_e32 v1, v1
	s_delay_alu instid0(VALU_DEP_1)
	v_cvt_i32_f32_e32 v2, v1
.LBB102_734:
	s_mov_b32 s26, 0
.LBB102_735:
	s_delay_alu instid0(SALU_CYCLE_1)
	s_and_not1_b32 vcc_lo, exec_lo, s26
	s_cbranch_vccnz .LBB102_755
; %bb.736:
	s_cmp_lt_i32 s0, 2
	s_cbranch_scc1 .LBB102_740
; %bb.737:
	s_cmp_lt_i32 s0, 3
	s_cbranch_scc1 .LBB102_741
; %bb.738:
	s_cmp_gt_i32 s0, 3
	s_cbranch_scc0 .LBB102_742
; %bb.739:
	s_wait_loadcnt 0x0
	global_load_b64 v[2:3], v[4:5], off
	s_mov_b32 s26, 0
	s_branch .LBB102_743
.LBB102_740:
	s_mov_b32 s26, -1
                                        ; implicit-def: $vgpr2
	s_branch .LBB102_749
.LBB102_741:
	s_mov_b32 s26, -1
                                        ; implicit-def: $vgpr2
	s_branch .LBB102_746
.LBB102_742:
	s_mov_b32 s26, -1
                                        ; implicit-def: $vgpr2
.LBB102_743:
	s_delay_alu instid0(SALU_CYCLE_1)
	s_and_not1_b32 vcc_lo, exec_lo, s26
	s_cbranch_vccnz .LBB102_745
; %bb.744:
	s_wait_loadcnt 0x0
	global_load_b32 v2, v[4:5], off
.LBB102_745:
	s_mov_b32 s26, 0
.LBB102_746:
	s_delay_alu instid0(SALU_CYCLE_1)
	s_and_not1_b32 vcc_lo, exec_lo, s26
	s_cbranch_vccnz .LBB102_748
; %bb.747:
	s_wait_loadcnt 0x0
	global_load_u16 v2, v[4:5], off
.LBB102_748:
	s_mov_b32 s26, 0
.LBB102_749:
	s_delay_alu instid0(SALU_CYCLE_1)
	s_and_not1_b32 vcc_lo, exec_lo, s26
	s_cbranch_vccnz .LBB102_755
; %bb.750:
	s_cmp_gt_i32 s0, 0
	s_mov_b32 s0, 0
	s_cbranch_scc0 .LBB102_752
; %bb.751:
	s_wait_loadcnt 0x0
	global_load_u8 v2, v[4:5], off
	s_branch .LBB102_753
.LBB102_752:
	s_mov_b32 s0, -1
                                        ; implicit-def: $vgpr2
.LBB102_753:
	s_delay_alu instid0(SALU_CYCLE_1)
	s_and_not1_b32 vcc_lo, exec_lo, s0
	s_cbranch_vccnz .LBB102_755
; %bb.754:
	s_wait_loadcnt 0x0
	global_load_u8 v2, v[4:5], off
.LBB102_755:
	s_mov_b32 s27, -1
.LBB102_756:
	s_delay_alu instid0(SALU_CYCLE_1)
	s_and_not1_b32 vcc_lo, exec_lo, s27
	s_cbranch_vccnz .LBB102_764
; %bb.757:
	s_wait_xcnt 0x0
	v_mul_lo_u32 v4, v26, s15
	s_and_b32 s0, 0xffff, s1
	s_delay_alu instid0(SALU_CYCLE_1) | instskip(NEXT) | instid1(VALU_DEP_1)
	s_cmp_lt_i32 s0, 11
	v_ashrrev_i32_e32 v5, 31, v4
	s_delay_alu instid0(VALU_DEP_1)
	v_add_nc_u64_e32 v[4:5], s[10:11], v[4:5]
	s_cbranch_scc1 .LBB102_765
; %bb.758:
	s_cmp_gt_i32 s0, 25
	s_cbranch_scc0 .LBB102_766
; %bb.759:
	s_cmp_gt_i32 s0, 28
	s_cbranch_scc0 .LBB102_767
; %bb.760:
	s_cmp_gt_i32 s0, 43
	s_cbranch_scc0 .LBB102_768
; %bb.761:
	s_cmp_gt_i32 s0, 45
	s_cbranch_scc0 .LBB102_769
; %bb.762:
	s_cmp_eq_u32 s0, 46
	s_mov_b32 s30, 0
	s_cbranch_scc0 .LBB102_772
; %bb.763:
	s_wait_loadcnt 0x0
	global_load_b32 v1, v[4:5], off
	s_mov_b32 s27, -1
	s_mov_b32 s26, 0
	s_wait_loadcnt 0x0
	v_lshlrev_b32_e32 v1, 16, v1
	s_delay_alu instid0(VALU_DEP_1) | instskip(NEXT) | instid1(VALU_DEP_1)
	v_trunc_f32_e32 v1, v1
	v_mul_f32_e64 v3, 0x2f800000, |v1|
	s_delay_alu instid0(VALU_DEP_1) | instskip(NEXT) | instid1(VALU_DEP_1)
	v_floor_f32_e32 v3, v3
	v_fma_f32 v3, 0xcf800000, v3, |v1|
	v_ashrrev_i32_e32 v1, 31, v1
	s_delay_alu instid0(VALU_DEP_2) | instskip(NEXT) | instid1(VALU_DEP_1)
	v_cvt_u32_f32_e32 v3, v3
	v_xor_b32_e32 v3, v3, v1
	s_delay_alu instid0(VALU_DEP_1)
	v_sub_nc_u32_e32 v6, v3, v1
	s_branch .LBB102_774
.LBB102_764:
	s_mov_b32 s30, 0
	s_mov_b32 s0, s19
	;; [unrolled: 1-line block ×3, first 2 shown]
	s_branch .LBB102_1009
.LBB102_765:
	s_mov_b32 s30, -1
	s_mov_b32 s27, 0
	s_mov_b32 s26, s21
                                        ; implicit-def: $vgpr6
	s_branch .LBB102_835
.LBB102_766:
	s_mov_b32 s30, -1
	s_mov_b32 s27, 0
	s_mov_b32 s26, s21
                                        ; implicit-def: $vgpr6
	s_branch .LBB102_801
.LBB102_767:
	s_mov_b32 s30, -1
	s_mov_b32 s27, 0
	s_mov_b32 s26, s21
                                        ; implicit-def: $vgpr6
	s_branch .LBB102_784
.LBB102_768:
	s_mov_b32 s30, -1
	s_mov_b32 s27, 0
	s_mov_b32 s26, s21
                                        ; implicit-def: $vgpr6
	s_branch .LBB102_779
.LBB102_769:
	s_mov_b32 s30, -1
	s_mov_b32 s27, 0
	s_mov_b32 s26, s21
	s_branch .LBB102_773
.LBB102_770:
	s_and_not1_saveexec_b32 s29, s29
	s_cbranch_execz .LBB102_422
.LBB102_771:
	v_add_f32_e32 v2, 0x42800000, v3
	s_and_not1_b32 s28, s28, exec_lo
	s_delay_alu instid0(VALU_DEP_1) | instskip(NEXT) | instid1(VALU_DEP_1)
	v_and_b32_e32 v2, 0xff, v2
	v_cmp_ne_u32_e32 vcc_lo, 0, v2
	s_and_b32 s30, vcc_lo, exec_lo
	s_delay_alu instid0(SALU_CYCLE_1)
	s_or_b32 s28, s28, s30
	s_or_b32 exec_lo, exec_lo, s29
	v_mov_b32_e32 v5, 0
	s_and_saveexec_b32 s29, s28
	s_cbranch_execnz .LBB102_423
	s_branch .LBB102_424
.LBB102_772:
	s_mov_b32 s26, -1
	s_mov_b32 s27, 0
.LBB102_773:
                                        ; implicit-def: $vgpr6
.LBB102_774:
	s_and_b32 vcc_lo, exec_lo, s30
	s_cbranch_vccz .LBB102_778
; %bb.775:
	s_cmp_eq_u32 s0, 44
	s_cbranch_scc0 .LBB102_777
; %bb.776:
	s_wait_loadcnt 0x0
	global_load_u8 v1, v[4:5], off
	s_mov_b32 s26, 0
	s_mov_b32 s27, -1
	s_wait_loadcnt 0x0
	v_lshlrev_b32_e32 v3, 23, v1
	v_cmp_ne_u32_e32 vcc_lo, 0, v1
	s_delay_alu instid0(VALU_DEP_2) | instskip(NEXT) | instid1(VALU_DEP_1)
	v_trunc_f32_e32 v3, v3
	v_mul_f32_e64 v6, 0x2f800000, |v3|
	s_delay_alu instid0(VALU_DEP_1) | instskip(NEXT) | instid1(VALU_DEP_1)
	v_floor_f32_e32 v6, v6
	v_fma_f32 v6, 0xcf800000, v6, |v3|
	v_ashrrev_i32_e32 v3, 31, v3
	s_delay_alu instid0(VALU_DEP_2) | instskip(NEXT) | instid1(VALU_DEP_1)
	v_cvt_u32_f32_e32 v6, v6
	v_xor_b32_e32 v6, v6, v3
	s_delay_alu instid0(VALU_DEP_1) | instskip(NEXT) | instid1(VALU_DEP_1)
	v_sub_nc_u32_e32 v3, v6, v3
	v_cndmask_b32_e32 v6, 0, v3, vcc_lo
	s_branch .LBB102_778
.LBB102_777:
	s_mov_b32 s26, -1
                                        ; implicit-def: $vgpr6
.LBB102_778:
	s_mov_b32 s30, 0
.LBB102_779:
	s_delay_alu instid0(SALU_CYCLE_1)
	s_and_b32 vcc_lo, exec_lo, s30
	s_cbranch_vccz .LBB102_783
; %bb.780:
	s_cmp_eq_u32 s0, 29
	s_cbranch_scc0 .LBB102_782
; %bb.781:
	global_load_b64 v[6:7], v[4:5], off
	s_mov_b32 s27, -1
	s_mov_b32 s26, 0
	s_branch .LBB102_783
.LBB102_782:
	s_mov_b32 s26, -1
                                        ; implicit-def: $vgpr6
.LBB102_783:
	s_mov_b32 s30, 0
.LBB102_784:
	s_delay_alu instid0(SALU_CYCLE_1)
	s_and_b32 vcc_lo, exec_lo, s30
	s_cbranch_vccz .LBB102_800
; %bb.785:
	s_cmp_lt_i32 s0, 27
	s_cbranch_scc1 .LBB102_788
; %bb.786:
	s_cmp_gt_i32 s0, 27
	s_cbranch_scc0 .LBB102_789
; %bb.787:
	s_wait_loadcnt 0x0
	global_load_b32 v6, v[4:5], off
	s_mov_b32 s27, 0
	s_branch .LBB102_790
.LBB102_788:
	s_mov_b32 s27, -1
                                        ; implicit-def: $vgpr6
	s_branch .LBB102_793
.LBB102_789:
	s_mov_b32 s27, -1
                                        ; implicit-def: $vgpr6
.LBB102_790:
	s_delay_alu instid0(SALU_CYCLE_1)
	s_and_not1_b32 vcc_lo, exec_lo, s27
	s_cbranch_vccnz .LBB102_792
; %bb.791:
	s_wait_loadcnt 0x0
	global_load_u16 v6, v[4:5], off
.LBB102_792:
	s_mov_b32 s27, 0
.LBB102_793:
	s_delay_alu instid0(SALU_CYCLE_1)
	s_and_not1_b32 vcc_lo, exec_lo, s27
	s_cbranch_vccnz .LBB102_799
; %bb.794:
	s_wait_loadcnt 0x0
	global_load_u8 v1, v[4:5], off
	s_mov_b32 s30, 0
	s_mov_b32 s27, exec_lo
	s_wait_loadcnt 0x0
	v_cmpx_lt_i16_e32 0x7f, v1
	s_xor_b32 s27, exec_lo, s27
	s_cbranch_execz .LBB102_811
; %bb.795:
	v_cmp_ne_u16_e32 vcc_lo, 0x80, v1
	s_and_b32 s30, vcc_lo, exec_lo
	s_and_not1_saveexec_b32 s27, s27
	s_cbranch_execnz .LBB102_812
.LBB102_796:
	s_or_b32 exec_lo, exec_lo, s27
	v_mov_b32_e32 v6, 0
	s_and_saveexec_b32 s27, s30
	s_cbranch_execz .LBB102_798
.LBB102_797:
	v_and_b32_e32 v3, 0xffff, v1
	s_delay_alu instid0(VALU_DEP_1) | instskip(SKIP_1) | instid1(VALU_DEP_2)
	v_dual_lshlrev_b32 v1, 24, v1 :: v_dual_bitop2_b32 v6, 7, v3 bitop3:0x40
	v_bfe_u32 v9, v3, 3, 4
	v_and_b32_e32 v1, 0x80000000, v1
	s_delay_alu instid0(VALU_DEP_3) | instskip(NEXT) | instid1(VALU_DEP_3)
	v_clz_i32_u32_e32 v7, v6
	v_cmp_eq_u32_e32 vcc_lo, 0, v9
	s_delay_alu instid0(VALU_DEP_2) | instskip(NEXT) | instid1(VALU_DEP_1)
	v_min_u32_e32 v7, 32, v7
	v_subrev_nc_u32_e32 v8, 28, v7
	v_sub_nc_u32_e32 v7, 29, v7
	s_delay_alu instid0(VALU_DEP_2) | instskip(NEXT) | instid1(VALU_DEP_2)
	v_lshlrev_b32_e32 v3, v8, v3
	v_cndmask_b32_e32 v7, v9, v7, vcc_lo
	s_delay_alu instid0(VALU_DEP_2) | instskip(NEXT) | instid1(VALU_DEP_1)
	v_and_b32_e32 v3, 7, v3
	v_cndmask_b32_e32 v3, v6, v3, vcc_lo
	s_delay_alu instid0(VALU_DEP_3) | instskip(NEXT) | instid1(VALU_DEP_2)
	v_lshl_add_u32 v6, v7, 23, 0x3b800000
	v_lshlrev_b32_e32 v3, 20, v3
	s_delay_alu instid0(VALU_DEP_1) | instskip(NEXT) | instid1(VALU_DEP_1)
	v_or3_b32 v1, v1, v6, v3
	v_trunc_f32_e32 v1, v1
	s_delay_alu instid0(VALU_DEP_1) | instskip(NEXT) | instid1(VALU_DEP_1)
	v_mul_f32_e64 v3, 0x2f800000, |v1|
	v_floor_f32_e32 v3, v3
	s_delay_alu instid0(VALU_DEP_1) | instskip(SKIP_1) | instid1(VALU_DEP_2)
	v_fma_f32 v3, 0xcf800000, v3, |v1|
	v_ashrrev_i32_e32 v1, 31, v1
	v_cvt_u32_f32_e32 v3, v3
	s_delay_alu instid0(VALU_DEP_1) | instskip(NEXT) | instid1(VALU_DEP_1)
	v_xor_b32_e32 v3, v3, v1
	v_sub_nc_u32_e32 v6, v3, v1
.LBB102_798:
	s_or_b32 exec_lo, exec_lo, s27
.LBB102_799:
	s_mov_b32 s27, -1
.LBB102_800:
	s_mov_b32 s30, 0
.LBB102_801:
	s_delay_alu instid0(SALU_CYCLE_1)
	s_and_b32 vcc_lo, exec_lo, s30
	s_cbranch_vccz .LBB102_834
; %bb.802:
	s_cmp_gt_i32 s0, 22
	s_cbranch_scc0 .LBB102_810
; %bb.803:
	s_cmp_lt_i32 s0, 24
	s_cbranch_scc1 .LBB102_813
; %bb.804:
	s_cmp_gt_i32 s0, 24
	s_cbranch_scc0 .LBB102_814
; %bb.805:
	s_wait_loadcnt 0x0
	global_load_u8 v1, v[4:5], off
	s_mov_b32 s30, 0
	s_mov_b32 s27, exec_lo
	s_wait_loadcnt 0x0
	v_cmpx_lt_i16_e32 0x7f, v1
	s_xor_b32 s27, exec_lo, s27
	s_cbranch_execz .LBB102_826
; %bb.806:
	v_cmp_ne_u16_e32 vcc_lo, 0x80, v1
	s_and_b32 s30, vcc_lo, exec_lo
	s_and_not1_saveexec_b32 s27, s27
	s_cbranch_execnz .LBB102_827
.LBB102_807:
	s_or_b32 exec_lo, exec_lo, s27
	v_mov_b32_e32 v6, 0
	s_and_saveexec_b32 s27, s30
	s_cbranch_execz .LBB102_809
.LBB102_808:
	v_and_b32_e32 v3, 0xffff, v1
	s_delay_alu instid0(VALU_DEP_1) | instskip(SKIP_1) | instid1(VALU_DEP_2)
	v_dual_lshlrev_b32 v1, 24, v1 :: v_dual_bitop2_b32 v6, 3, v3 bitop3:0x40
	v_bfe_u32 v9, v3, 2, 5
	v_and_b32_e32 v1, 0x80000000, v1
	s_delay_alu instid0(VALU_DEP_3) | instskip(NEXT) | instid1(VALU_DEP_3)
	v_clz_i32_u32_e32 v7, v6
	v_cmp_eq_u32_e32 vcc_lo, 0, v9
	s_delay_alu instid0(VALU_DEP_2) | instskip(NEXT) | instid1(VALU_DEP_1)
	v_min_u32_e32 v7, 32, v7
	v_subrev_nc_u32_e32 v8, 29, v7
	v_sub_nc_u32_e32 v7, 30, v7
	s_delay_alu instid0(VALU_DEP_2) | instskip(NEXT) | instid1(VALU_DEP_2)
	v_lshlrev_b32_e32 v3, v8, v3
	v_cndmask_b32_e32 v7, v9, v7, vcc_lo
	s_delay_alu instid0(VALU_DEP_2) | instskip(NEXT) | instid1(VALU_DEP_1)
	v_and_b32_e32 v3, 3, v3
	v_cndmask_b32_e32 v3, v6, v3, vcc_lo
	s_delay_alu instid0(VALU_DEP_3) | instskip(NEXT) | instid1(VALU_DEP_2)
	v_lshl_add_u32 v6, v7, 23, 0x37800000
	v_lshlrev_b32_e32 v3, 21, v3
	s_delay_alu instid0(VALU_DEP_1) | instskip(NEXT) | instid1(VALU_DEP_1)
	v_or3_b32 v1, v1, v6, v3
	v_trunc_f32_e32 v1, v1
	s_delay_alu instid0(VALU_DEP_1) | instskip(NEXT) | instid1(VALU_DEP_1)
	v_mul_f32_e64 v3, 0x2f800000, |v1|
	v_floor_f32_e32 v3, v3
	s_delay_alu instid0(VALU_DEP_1) | instskip(SKIP_1) | instid1(VALU_DEP_2)
	v_fma_f32 v3, 0xcf800000, v3, |v1|
	v_ashrrev_i32_e32 v1, 31, v1
	v_cvt_u32_f32_e32 v3, v3
	s_delay_alu instid0(VALU_DEP_1) | instskip(NEXT) | instid1(VALU_DEP_1)
	v_xor_b32_e32 v3, v3, v1
	v_sub_nc_u32_e32 v6, v3, v1
.LBB102_809:
	s_or_b32 exec_lo, exec_lo, s27
	s_mov_b32 s27, 0
	s_branch .LBB102_815
.LBB102_810:
	s_mov_b32 s30, -1
                                        ; implicit-def: $vgpr6
	s_branch .LBB102_821
.LBB102_811:
	s_and_not1_saveexec_b32 s27, s27
	s_cbranch_execz .LBB102_796
.LBB102_812:
	v_cmp_ne_u16_e32 vcc_lo, 0, v1
	s_and_not1_b32 s30, s30, exec_lo
	s_and_b32 s31, vcc_lo, exec_lo
	s_delay_alu instid0(SALU_CYCLE_1)
	s_or_b32 s30, s30, s31
	s_or_b32 exec_lo, exec_lo, s27
	v_mov_b32_e32 v6, 0
	s_and_saveexec_b32 s27, s30
	s_cbranch_execnz .LBB102_797
	s_branch .LBB102_798
.LBB102_813:
	s_mov_b32 s27, -1
                                        ; implicit-def: $vgpr6
	s_branch .LBB102_818
.LBB102_814:
	s_mov_b32 s27, -1
                                        ; implicit-def: $vgpr6
.LBB102_815:
	s_delay_alu instid0(SALU_CYCLE_1)
	s_and_b32 vcc_lo, exec_lo, s27
	s_cbranch_vccz .LBB102_817
; %bb.816:
	s_wait_loadcnt 0x0
	global_load_u8 v1, v[4:5], off
	s_wait_loadcnt 0x0
	v_lshlrev_b32_e32 v1, 24, v1
	s_delay_alu instid0(VALU_DEP_1) | instskip(NEXT) | instid1(VALU_DEP_1)
	v_and_b32_e32 v3, 0x7f000000, v1
	v_clz_i32_u32_e32 v6, v3
	v_cmp_ne_u32_e32 vcc_lo, 0, v3
	v_add_nc_u32_e32 v8, 0x1000000, v3
	s_delay_alu instid0(VALU_DEP_3) | instskip(NEXT) | instid1(VALU_DEP_1)
	v_min_u32_e32 v6, 32, v6
	v_sub_nc_u32_e64 v6, v6, 4 clamp
	s_delay_alu instid0(VALU_DEP_1) | instskip(NEXT) | instid1(VALU_DEP_1)
	v_dual_lshlrev_b32 v7, v6, v3 :: v_dual_lshlrev_b32 v6, 23, v6
	v_lshrrev_b32_e32 v7, 4, v7
	s_delay_alu instid0(VALU_DEP_1) | instskip(NEXT) | instid1(VALU_DEP_1)
	v_dual_sub_nc_u32 v6, v7, v6 :: v_dual_ashrrev_i32 v7, 8, v8
	v_add_nc_u32_e32 v6, 0x3c000000, v6
	s_delay_alu instid0(VALU_DEP_1) | instskip(NEXT) | instid1(VALU_DEP_1)
	v_and_or_b32 v6, 0x7f800000, v7, v6
	v_cndmask_b32_e32 v3, 0, v6, vcc_lo
	s_delay_alu instid0(VALU_DEP_1) | instskip(NEXT) | instid1(VALU_DEP_1)
	v_and_or_b32 v1, 0x80000000, v1, v3
	v_trunc_f32_e32 v1, v1
	s_delay_alu instid0(VALU_DEP_1) | instskip(NEXT) | instid1(VALU_DEP_1)
	v_mul_f32_e64 v3, 0x2f800000, |v1|
	v_floor_f32_e32 v3, v3
	s_delay_alu instid0(VALU_DEP_1) | instskip(SKIP_1) | instid1(VALU_DEP_2)
	v_fma_f32 v3, 0xcf800000, v3, |v1|
	v_ashrrev_i32_e32 v1, 31, v1
	v_cvt_u32_f32_e32 v3, v3
	s_delay_alu instid0(VALU_DEP_1) | instskip(NEXT) | instid1(VALU_DEP_1)
	v_xor_b32_e32 v3, v3, v1
	v_sub_nc_u32_e32 v6, v3, v1
.LBB102_817:
	s_mov_b32 s27, 0
.LBB102_818:
	s_delay_alu instid0(SALU_CYCLE_1)
	s_and_not1_b32 vcc_lo, exec_lo, s27
	s_cbranch_vccnz .LBB102_820
; %bb.819:
	s_wait_loadcnt 0x0
	global_load_u8 v1, v[4:5], off
	s_wait_loadcnt 0x0
	v_lshlrev_b32_e32 v3, 25, v1
	v_lshlrev_b16 v1, 8, v1
	s_delay_alu instid0(VALU_DEP_1) | instskip(SKIP_1) | instid1(VALU_DEP_2)
	v_and_or_b32 v7, 0x7f00, v1, 0.5
	v_bfe_i32 v1, v1, 0, 16
	v_add_f32_e32 v7, -0.5, v7
	v_lshrrev_b32_e32 v6, 4, v3
	v_cmp_gt_u32_e32 vcc_lo, 0x8000000, v3
	s_delay_alu instid0(VALU_DEP_2) | instskip(NEXT) | instid1(VALU_DEP_1)
	v_or_b32_e32 v6, 0x70000000, v6
	v_mul_f32_e32 v6, 0x7800000, v6
	s_delay_alu instid0(VALU_DEP_1) | instskip(NEXT) | instid1(VALU_DEP_1)
	v_cndmask_b32_e32 v3, v6, v7, vcc_lo
	v_and_or_b32 v1, 0x80000000, v1, v3
	s_delay_alu instid0(VALU_DEP_1) | instskip(NEXT) | instid1(VALU_DEP_1)
	v_trunc_f32_e32 v1, v1
	v_mul_f32_e64 v3, 0x2f800000, |v1|
	s_delay_alu instid0(VALU_DEP_1) | instskip(NEXT) | instid1(VALU_DEP_1)
	v_floor_f32_e32 v3, v3
	v_fma_f32 v3, 0xcf800000, v3, |v1|
	v_ashrrev_i32_e32 v1, 31, v1
	s_delay_alu instid0(VALU_DEP_2) | instskip(NEXT) | instid1(VALU_DEP_1)
	v_cvt_u32_f32_e32 v3, v3
	v_xor_b32_e32 v3, v3, v1
	s_delay_alu instid0(VALU_DEP_1)
	v_sub_nc_u32_e32 v6, v3, v1
.LBB102_820:
	s_mov_b32 s30, 0
	s_mov_b32 s27, -1
.LBB102_821:
	s_and_not1_b32 vcc_lo, exec_lo, s30
	s_cbranch_vccnz .LBB102_834
; %bb.822:
	s_cmp_gt_i32 s0, 14
	s_cbranch_scc0 .LBB102_825
; %bb.823:
	s_cmp_eq_u32 s0, 15
	s_cbranch_scc0 .LBB102_828
; %bb.824:
	s_wait_loadcnt 0x0
	global_load_u16 v1, v[4:5], off
	s_mov_b32 s27, -1
	s_mov_b32 s26, 0
	s_wait_loadcnt 0x0
	v_lshlrev_b32_e32 v1, 16, v1
	s_delay_alu instid0(VALU_DEP_1) | instskip(NEXT) | instid1(VALU_DEP_1)
	v_trunc_f32_e32 v1, v1
	v_mul_f32_e64 v3, 0x2f800000, |v1|
	s_delay_alu instid0(VALU_DEP_1) | instskip(NEXT) | instid1(VALU_DEP_1)
	v_floor_f32_e32 v3, v3
	v_fma_f32 v3, 0xcf800000, v3, |v1|
	v_ashrrev_i32_e32 v1, 31, v1
	s_delay_alu instid0(VALU_DEP_2) | instskip(NEXT) | instid1(VALU_DEP_1)
	v_cvt_u32_f32_e32 v3, v3
	v_xor_b32_e32 v3, v3, v1
	s_delay_alu instid0(VALU_DEP_1)
	v_sub_nc_u32_e32 v6, v3, v1
	s_branch .LBB102_829
.LBB102_825:
	s_mov_b32 s30, -1
                                        ; implicit-def: $vgpr6
	s_branch .LBB102_830
.LBB102_826:
	s_and_not1_saveexec_b32 s27, s27
	s_cbranch_execz .LBB102_807
.LBB102_827:
	v_cmp_ne_u16_e32 vcc_lo, 0, v1
	s_and_not1_b32 s30, s30, exec_lo
	s_and_b32 s31, vcc_lo, exec_lo
	s_delay_alu instid0(SALU_CYCLE_1)
	s_or_b32 s30, s30, s31
	s_or_b32 exec_lo, exec_lo, s27
	v_mov_b32_e32 v6, 0
	s_and_saveexec_b32 s27, s30
	s_cbranch_execnz .LBB102_808
	s_branch .LBB102_809
.LBB102_828:
	s_mov_b32 s26, -1
                                        ; implicit-def: $vgpr6
.LBB102_829:
	s_mov_b32 s30, 0
.LBB102_830:
	s_delay_alu instid0(SALU_CYCLE_1)
	s_and_b32 vcc_lo, exec_lo, s30
	s_cbranch_vccz .LBB102_834
; %bb.831:
	s_cmp_eq_u32 s0, 11
	s_cbranch_scc0 .LBB102_833
; %bb.832:
	s_wait_loadcnt 0x0
	global_load_u8 v1, v[4:5], off
	s_mov_b32 s26, 0
	s_mov_b32 s27, -1
	s_wait_loadcnt 0x0
	v_cmp_ne_u16_e32 vcc_lo, 0, v1
	v_cndmask_b32_e64 v6, 0, 1, vcc_lo
	s_branch .LBB102_834
.LBB102_833:
	s_mov_b32 s26, -1
                                        ; implicit-def: $vgpr6
.LBB102_834:
	s_mov_b32 s30, 0
.LBB102_835:
	s_delay_alu instid0(SALU_CYCLE_1)
	s_and_b32 vcc_lo, exec_lo, s30
	s_cbranch_vccz .LBB102_884
; %bb.836:
	s_cmp_lt_i32 s0, 5
	s_cbranch_scc1 .LBB102_841
; %bb.837:
	s_cmp_lt_i32 s0, 8
	s_cbranch_scc1 .LBB102_842
	;; [unrolled: 3-line block ×3, first 2 shown]
; %bb.839:
	s_cmp_gt_i32 s0, 9
	s_cbranch_scc0 .LBB102_844
; %bb.840:
	s_wait_loadcnt 0x0
	global_load_b64 v[6:7], v[4:5], off
	s_mov_b32 s27, 0
	s_wait_loadcnt 0x0
	v_trunc_f64_e32 v[6:7], v[6:7]
	s_delay_alu instid0(VALU_DEP_1) | instskip(NEXT) | instid1(VALU_DEP_1)
	v_ldexp_f64 v[8:9], v[6:7], 0xffffffe0
	v_floor_f64_e32 v[8:9], v[8:9]
	s_delay_alu instid0(VALU_DEP_1) | instskip(NEXT) | instid1(VALU_DEP_1)
	v_fmamk_f64 v[6:7], v[8:9], 0xc1f00000, v[6:7]
	v_cvt_u32_f64_e32 v6, v[6:7]
	s_branch .LBB102_845
.LBB102_841:
	s_mov_b32 s27, -1
                                        ; implicit-def: $vgpr6
	s_branch .LBB102_863
.LBB102_842:
	s_mov_b32 s27, -1
                                        ; implicit-def: $vgpr6
	s_branch .LBB102_851
.LBB102_843:
	s_mov_b32 s27, -1
                                        ; implicit-def: $vgpr6
	s_branch .LBB102_848
.LBB102_844:
	s_mov_b32 s27, -1
                                        ; implicit-def: $vgpr6
.LBB102_845:
	s_delay_alu instid0(SALU_CYCLE_1)
	s_and_not1_b32 vcc_lo, exec_lo, s27
	s_cbranch_vccnz .LBB102_847
; %bb.846:
	s_wait_loadcnt 0x0
	global_load_b32 v1, v[4:5], off
	s_wait_loadcnt 0x0
	v_trunc_f32_e32 v1, v1
	s_delay_alu instid0(VALU_DEP_1) | instskip(NEXT) | instid1(VALU_DEP_1)
	v_mul_f32_e64 v3, 0x2f800000, |v1|
	v_floor_f32_e32 v3, v3
	s_delay_alu instid0(VALU_DEP_1) | instskip(SKIP_1) | instid1(VALU_DEP_2)
	v_fma_f32 v3, 0xcf800000, v3, |v1|
	v_ashrrev_i32_e32 v1, 31, v1
	v_cvt_u32_f32_e32 v3, v3
	s_delay_alu instid0(VALU_DEP_1) | instskip(NEXT) | instid1(VALU_DEP_1)
	v_xor_b32_e32 v3, v3, v1
	v_sub_nc_u32_e32 v6, v3, v1
.LBB102_847:
	s_mov_b32 s27, 0
.LBB102_848:
	s_delay_alu instid0(SALU_CYCLE_1)
	s_and_not1_b32 vcc_lo, exec_lo, s27
	s_cbranch_vccnz .LBB102_850
; %bb.849:
	s_wait_loadcnt 0x0
	global_load_b32 v1, v[4:5], off
	s_wait_loadcnt 0x0
	v_cvt_f32_f16_e32 v1, v1
	s_delay_alu instid0(VALU_DEP_1)
	v_cvt_i32_f32_e32 v6, v1
.LBB102_850:
	s_mov_b32 s27, 0
.LBB102_851:
	s_delay_alu instid0(SALU_CYCLE_1)
	s_and_not1_b32 vcc_lo, exec_lo, s27
	s_cbranch_vccnz .LBB102_862
; %bb.852:
	s_cmp_lt_i32 s0, 6
	s_cbranch_scc1 .LBB102_855
; %bb.853:
	s_cmp_gt_i32 s0, 6
	s_cbranch_scc0 .LBB102_856
; %bb.854:
	s_wait_loadcnt 0x0
	global_load_b64 v[6:7], v[4:5], off
	s_mov_b32 s27, 0
	s_wait_loadcnt 0x0
	v_trunc_f64_e32 v[6:7], v[6:7]
	s_delay_alu instid0(VALU_DEP_1) | instskip(NEXT) | instid1(VALU_DEP_1)
	v_ldexp_f64 v[8:9], v[6:7], 0xffffffe0
	v_floor_f64_e32 v[8:9], v[8:9]
	s_delay_alu instid0(VALU_DEP_1) | instskip(NEXT) | instid1(VALU_DEP_1)
	v_fmamk_f64 v[6:7], v[8:9], 0xc1f00000, v[6:7]
	v_cvt_u32_f64_e32 v6, v[6:7]
	s_branch .LBB102_857
.LBB102_855:
	s_mov_b32 s27, -1
                                        ; implicit-def: $vgpr6
	s_branch .LBB102_860
.LBB102_856:
	s_mov_b32 s27, -1
                                        ; implicit-def: $vgpr6
.LBB102_857:
	s_delay_alu instid0(SALU_CYCLE_1)
	s_and_not1_b32 vcc_lo, exec_lo, s27
	s_cbranch_vccnz .LBB102_859
; %bb.858:
	s_wait_loadcnt 0x0
	global_load_b32 v1, v[4:5], off
	s_wait_loadcnt 0x0
	v_trunc_f32_e32 v1, v1
	s_delay_alu instid0(VALU_DEP_1) | instskip(NEXT) | instid1(VALU_DEP_1)
	v_mul_f32_e64 v3, 0x2f800000, |v1|
	v_floor_f32_e32 v3, v3
	s_delay_alu instid0(VALU_DEP_1) | instskip(SKIP_1) | instid1(VALU_DEP_2)
	v_fma_f32 v3, 0xcf800000, v3, |v1|
	v_ashrrev_i32_e32 v1, 31, v1
	v_cvt_u32_f32_e32 v3, v3
	s_delay_alu instid0(VALU_DEP_1) | instskip(NEXT) | instid1(VALU_DEP_1)
	v_xor_b32_e32 v3, v3, v1
	v_sub_nc_u32_e32 v6, v3, v1
.LBB102_859:
	s_mov_b32 s27, 0
.LBB102_860:
	s_delay_alu instid0(SALU_CYCLE_1)
	s_and_not1_b32 vcc_lo, exec_lo, s27
	s_cbranch_vccnz .LBB102_862
; %bb.861:
	s_wait_loadcnt 0x0
	global_load_u16 v1, v[4:5], off
	s_wait_loadcnt 0x0
	v_cvt_f32_f16_e32 v1, v1
	s_delay_alu instid0(VALU_DEP_1)
	v_cvt_i32_f32_e32 v6, v1
.LBB102_862:
	s_mov_b32 s27, 0
.LBB102_863:
	s_delay_alu instid0(SALU_CYCLE_1)
	s_and_not1_b32 vcc_lo, exec_lo, s27
	s_cbranch_vccnz .LBB102_883
; %bb.864:
	s_cmp_lt_i32 s0, 2
	s_cbranch_scc1 .LBB102_868
; %bb.865:
	s_cmp_lt_i32 s0, 3
	s_cbranch_scc1 .LBB102_869
; %bb.866:
	s_cmp_gt_i32 s0, 3
	s_cbranch_scc0 .LBB102_870
; %bb.867:
	s_wait_loadcnt 0x0
	global_load_b64 v[6:7], v[4:5], off
	s_mov_b32 s27, 0
	s_branch .LBB102_871
.LBB102_868:
	s_mov_b32 s27, -1
                                        ; implicit-def: $vgpr6
	s_branch .LBB102_877
.LBB102_869:
	s_mov_b32 s27, -1
                                        ; implicit-def: $vgpr6
	s_branch .LBB102_874
.LBB102_870:
	s_mov_b32 s27, -1
                                        ; implicit-def: $vgpr6
.LBB102_871:
	s_delay_alu instid0(SALU_CYCLE_1)
	s_and_not1_b32 vcc_lo, exec_lo, s27
	s_cbranch_vccnz .LBB102_873
; %bb.872:
	s_wait_loadcnt 0x0
	global_load_b32 v6, v[4:5], off
.LBB102_873:
	s_mov_b32 s27, 0
.LBB102_874:
	s_delay_alu instid0(SALU_CYCLE_1)
	s_and_not1_b32 vcc_lo, exec_lo, s27
	s_cbranch_vccnz .LBB102_876
; %bb.875:
	s_wait_loadcnt 0x0
	global_load_u16 v6, v[4:5], off
.LBB102_876:
	s_mov_b32 s27, 0
.LBB102_877:
	s_delay_alu instid0(SALU_CYCLE_1)
	s_and_not1_b32 vcc_lo, exec_lo, s27
	s_cbranch_vccnz .LBB102_883
; %bb.878:
	s_cmp_gt_i32 s0, 0
	s_mov_b32 s0, 0
	s_cbranch_scc0 .LBB102_880
; %bb.879:
	s_wait_loadcnt 0x0
	global_load_u8 v6, v[4:5], off
	s_branch .LBB102_881
.LBB102_880:
	s_mov_b32 s0, -1
                                        ; implicit-def: $vgpr6
.LBB102_881:
	s_delay_alu instid0(SALU_CYCLE_1)
	s_and_not1_b32 vcc_lo, exec_lo, s0
	s_cbranch_vccnz .LBB102_883
; %bb.882:
	s_wait_loadcnt 0x0
	global_load_u8 v6, v[4:5], off
.LBB102_883:
	s_mov_b32 s27, -1
.LBB102_884:
	s_delay_alu instid0(SALU_CYCLE_1)
	s_and_not1_b32 vcc_lo, exec_lo, s27
	s_cbranch_vccnz .LBB102_892
; %bb.885:
	s_wait_xcnt 0x0
	v_mul_lo_u32 v4, v26, s12
	s_wait_loadcnt 0x0
	v_and_b32_e32 v1, 0xff, v2
	v_and_b32_e32 v0, 0xff, v0
	s_delay_alu instid0(VALU_DEP_4) | instskip(SKIP_1) | instid1(SALU_CYCLE_1)
	v_and_b32_e32 v3, 0xff, v6
	s_and_b32 s27, s2, 0xff
	s_cmp_lt_i32 s27, 11
	s_delay_alu instid0(VALU_DEP_2) | instskip(SKIP_1) | instid1(VALU_DEP_1)
	v_max_u16 v2, v0, v1
	v_ashrrev_i32_e32 v5, 31, v4
	v_add_nc_u64_e32 v[0:1], s[4:5], v[4:5]
	s_delay_alu instid0(VALU_DEP_3)
	v_min_u16 v4, v2, v3
	s_cbranch_scc1 .LBB102_893
; %bb.886:
	s_and_b32 s30, 0xffff, s27
	s_delay_alu instid0(SALU_CYCLE_1)
	s_cmp_gt_i32 s30, 25
	s_cbranch_scc0 .LBB102_894
; %bb.887:
	s_cmp_gt_i32 s30, 28
	s_cbranch_scc0 .LBB102_895
; %bb.888:
	;; [unrolled: 3-line block ×4, first 2 shown]
	s_mov_b32 s33, 0
	s_mov_b32 s0, -1
	s_cmp_eq_u32 s30, 46
	s_mov_b32 s31, 0
	s_cbranch_scc0 .LBB102_898
; %bb.891:
	v_cvt_f32_ubyte0_e32 v2, v4
	s_mov_b32 s31, -1
	s_mov_b32 s0, 0
	s_delay_alu instid0(VALU_DEP_1) | instskip(NEXT) | instid1(VALU_DEP_1)
	v_bfe_u32 v3, v2, 16, 1
	v_add3_u32 v2, v2, v3, 0x7fff
	s_delay_alu instid0(VALU_DEP_1)
	v_lshrrev_b32_e32 v2, 16, v2
	global_store_b32 v[0:1], v2, off
	s_branch .LBB102_898
.LBB102_892:
	s_mov_b32 s30, 0
	s_mov_b32 s0, s19
	s_branch .LBB102_1009
.LBB102_893:
	s_mov_b32 s30, -1
	s_mov_b32 s31, 0
	s_mov_b32 s0, s19
	s_branch .LBB102_967
.LBB102_894:
	s_mov_b32 s33, -1
	s_mov_b32 s31, 0
	s_mov_b32 s0, s19
	s_branch .LBB102_925
.LBB102_895:
	s_mov_b32 s33, -1
	s_mov_b32 s31, 0
	s_mov_b32 s0, s19
	s_branch .LBB102_908
.LBB102_896:
	s_mov_b32 s33, -1
	s_mov_b32 s31, 0
	s_mov_b32 s0, s19
	s_branch .LBB102_904
.LBB102_897:
	s_mov_b32 s33, -1
	s_mov_b32 s31, 0
	s_mov_b32 s0, s19
.LBB102_898:
	s_and_b32 vcc_lo, exec_lo, s33
	s_cbranch_vccz .LBB102_903
; %bb.899:
	s_cmp_eq_u32 s30, 44
	s_mov_b32 s0, -1
	s_cbranch_scc0 .LBB102_903
; %bb.900:
	v_cvt_f32_ubyte0_e32 v5, v4
	s_mov_b32 s31, exec_lo
	s_wait_xcnt 0x0
	s_delay_alu instid0(VALU_DEP_1) | instskip(NEXT) | instid1(VALU_DEP_1)
	v_dual_mov_b32 v3, 0xff :: v_dual_lshrrev_b32 v2, 23, v5
	v_cmpx_ne_u32_e32 0xff, v2
; %bb.901:
	v_and_b32_e32 v3, 0x400000, v5
	v_and_or_b32 v5, 0x3fffff, v5, v2
	s_delay_alu instid0(VALU_DEP_2) | instskip(NEXT) | instid1(VALU_DEP_2)
	v_cmp_ne_u32_e32 vcc_lo, 0, v3
	v_cmp_ne_u32_e64 s0, 0, v5
	s_and_b32 s0, vcc_lo, s0
	s_delay_alu instid0(SALU_CYCLE_1) | instskip(NEXT) | instid1(VALU_DEP_1)
	v_cndmask_b32_e64 v3, 0, 1, s0
	v_add_nc_u32_e32 v3, v2, v3
; %bb.902:
	s_or_b32 exec_lo, exec_lo, s31
	s_mov_b32 s31, -1
	s_mov_b32 s0, 0
	global_store_b8 v[0:1], v3, off
.LBB102_903:
	s_mov_b32 s33, 0
.LBB102_904:
	s_delay_alu instid0(SALU_CYCLE_1)
	s_and_b32 vcc_lo, exec_lo, s33
	s_cbranch_vccz .LBB102_907
; %bb.905:
	s_cmp_eq_u32 s30, 29
	s_mov_b32 s0, -1
	s_cbranch_scc0 .LBB102_907
; %bb.906:
	s_mov_b32 s0, 0
	s_wait_xcnt 0x0
	v_and_b32_e32 v2, 0xffff, v4
	v_mov_b32_e32 v3, s0
	s_mov_b32 s31, -1
	s_mov_b32 s33, 0
	global_store_b64 v[0:1], v[2:3], off
	s_branch .LBB102_908
.LBB102_907:
	s_mov_b32 s33, 0
.LBB102_908:
	s_delay_alu instid0(SALU_CYCLE_1)
	s_and_b32 vcc_lo, exec_lo, s33
	s_cbranch_vccz .LBB102_924
; %bb.909:
	s_cmp_lt_i32 s30, 27
	s_mov_b32 s31, -1
	s_cbranch_scc1 .LBB102_915
; %bb.910:
	s_cmp_gt_i32 s30, 27
	s_cbranch_scc0 .LBB102_912
; %bb.911:
	s_wait_xcnt 0x0
	v_and_b32_e32 v2, 0xffff, v4
	s_mov_b32 s31, 0
	global_store_b32 v[0:1], v2, off
.LBB102_912:
	s_and_not1_b32 vcc_lo, exec_lo, s31
	s_cbranch_vccnz .LBB102_914
; %bb.913:
	global_store_b16 v[0:1], v4, off
.LBB102_914:
	s_mov_b32 s31, 0
.LBB102_915:
	s_delay_alu instid0(SALU_CYCLE_1)
	s_and_not1_b32 vcc_lo, exec_lo, s31
	s_cbranch_vccnz .LBB102_923
; %bb.916:
	s_wait_xcnt 0x0
	v_cvt_f32_ubyte0_e32 v3, v4
	v_mov_b32_e32 v5, 0x80
	s_mov_b32 s31, exec_lo
	s_delay_alu instid0(VALU_DEP_2)
	v_cmpx_gt_u32_e32 0x43800000, v3
	s_cbranch_execz .LBB102_922
; %bb.917:
	s_mov_b32 s33, 0
	s_mov_b32 s34, exec_lo
                                        ; implicit-def: $vgpr2
	v_cmpx_lt_u32_e32 0x3bffffff, v3
	s_xor_b32 s34, exec_lo, s34
	s_cbranch_execz .LBB102_1151
; %bb.918:
	v_bfe_u32 v2, v3, 20, 1
	s_mov_b32 s33, exec_lo
	s_delay_alu instid0(VALU_DEP_1) | instskip(NEXT) | instid1(VALU_DEP_1)
	v_add3_u32 v2, v3, v2, 0x487ffff
                                        ; implicit-def: $vgpr3
	v_lshrrev_b32_e32 v2, 20, v2
	s_and_not1_saveexec_b32 s34, s34
	s_cbranch_execnz .LBB102_1152
.LBB102_919:
	s_or_b32 exec_lo, exec_lo, s34
	v_mov_b32_e32 v5, 0
	s_and_saveexec_b32 s34, s33
.LBB102_920:
	v_mov_b32_e32 v5, v2
.LBB102_921:
	s_or_b32 exec_lo, exec_lo, s34
.LBB102_922:
	s_delay_alu instid0(SALU_CYCLE_1)
	s_or_b32 exec_lo, exec_lo, s31
	global_store_b8 v[0:1], v5, off
.LBB102_923:
	s_mov_b32 s31, -1
.LBB102_924:
	s_mov_b32 s33, 0
.LBB102_925:
	s_delay_alu instid0(SALU_CYCLE_1)
	s_and_b32 vcc_lo, exec_lo, s33
	s_cbranch_vccz .LBB102_966
; %bb.926:
	s_cmp_gt_i32 s30, 22
	s_mov_b32 s33, -1
	s_cbranch_scc0 .LBB102_958
; %bb.927:
	s_cmp_lt_i32 s30, 24
	s_mov_b32 s31, -1
	s_cbranch_scc1 .LBB102_947
; %bb.928:
	s_cmp_gt_i32 s30, 24
	s_cbranch_scc0 .LBB102_936
; %bb.929:
	s_wait_xcnt 0x0
	v_cvt_f32_ubyte0_e32 v3, v4
	v_mov_b32_e32 v5, 0x80
	s_mov_b32 s31, exec_lo
	s_delay_alu instid0(VALU_DEP_2)
	v_cmpx_gt_u32_e32 0x47800000, v3
	s_cbranch_execz .LBB102_935
; %bb.930:
	s_mov_b32 s33, 0
	s_mov_b32 s34, exec_lo
                                        ; implicit-def: $vgpr2
	v_cmpx_lt_u32_e32 0x37ffffff, v3
	s_xor_b32 s34, exec_lo, s34
	s_cbranch_execz .LBB102_1279
; %bb.931:
	v_bfe_u32 v2, v3, 21, 1
	s_mov_b32 s33, exec_lo
	s_delay_alu instid0(VALU_DEP_1) | instskip(NEXT) | instid1(VALU_DEP_1)
	v_add3_u32 v2, v3, v2, 0x88fffff
                                        ; implicit-def: $vgpr3
	v_lshrrev_b32_e32 v2, 21, v2
	s_and_not1_saveexec_b32 s34, s34
	s_cbranch_execnz .LBB102_1280
.LBB102_932:
	s_or_b32 exec_lo, exec_lo, s34
	v_mov_b32_e32 v5, 0
	s_and_saveexec_b32 s34, s33
.LBB102_933:
	v_mov_b32_e32 v5, v2
.LBB102_934:
	s_or_b32 exec_lo, exec_lo, s34
.LBB102_935:
	s_delay_alu instid0(SALU_CYCLE_1)
	s_or_b32 exec_lo, exec_lo, s31
	s_mov_b32 s31, 0
	global_store_b8 v[0:1], v5, off
.LBB102_936:
	s_and_b32 vcc_lo, exec_lo, s31
	s_cbranch_vccz .LBB102_946
; %bb.937:
	s_wait_xcnt 0x0
	v_cvt_f32_ubyte0_e32 v3, v4
	s_mov_b32 s31, exec_lo
                                        ; implicit-def: $vgpr2
	s_delay_alu instid0(VALU_DEP_1)
	v_cmpx_gt_u32_e32 0x43f00000, v3
	s_xor_b32 s31, exec_lo, s31
	s_cbranch_execz .LBB102_943
; %bb.938:
	s_mov_b32 s33, exec_lo
                                        ; implicit-def: $vgpr2
	v_cmpx_lt_u32_e32 0x3c7fffff, v3
	s_xor_b32 s33, exec_lo, s33
; %bb.939:
	v_bfe_u32 v2, v3, 20, 1
	s_delay_alu instid0(VALU_DEP_1) | instskip(NEXT) | instid1(VALU_DEP_1)
	v_add3_u32 v2, v3, v2, 0x407ffff
	v_and_b32_e32 v3, 0xff00000, v2
	v_lshrrev_b32_e32 v2, 20, v2
	s_delay_alu instid0(VALU_DEP_2) | instskip(NEXT) | instid1(VALU_DEP_2)
	v_cmp_ne_u32_e32 vcc_lo, 0x7f00000, v3
                                        ; implicit-def: $vgpr3
	v_cndmask_b32_e32 v2, 0x7e, v2, vcc_lo
; %bb.940:
	s_and_not1_saveexec_b32 s33, s33
; %bb.941:
	v_add_f32_e32 v2, 0x46800000, v3
; %bb.942:
	s_or_b32 exec_lo, exec_lo, s33
                                        ; implicit-def: $vgpr3
.LBB102_943:
	s_and_not1_saveexec_b32 s31, s31
; %bb.944:
	v_mov_b32_e32 v2, 0x7f
	v_cmp_lt_u32_e32 vcc_lo, 0x7f800000, v3
	s_delay_alu instid0(VALU_DEP_2)
	v_cndmask_b32_e32 v2, 0x7e, v2, vcc_lo
; %bb.945:
	s_or_b32 exec_lo, exec_lo, s31
	global_store_b8 v[0:1], v2, off
.LBB102_946:
	s_mov_b32 s31, 0
.LBB102_947:
	s_delay_alu instid0(SALU_CYCLE_1)
	s_and_not1_b32 vcc_lo, exec_lo, s31
	s_cbranch_vccnz .LBB102_957
; %bb.948:
	s_wait_xcnt 0x0
	v_cvt_f32_ubyte0_e32 v3, v4
	s_mov_b32 s31, exec_lo
                                        ; implicit-def: $vgpr2
	s_delay_alu instid0(VALU_DEP_1)
	v_cmpx_gt_u32_e32 0x47800000, v3
	s_xor_b32 s31, exec_lo, s31
	s_cbranch_execz .LBB102_954
; %bb.949:
	s_mov_b32 s33, exec_lo
                                        ; implicit-def: $vgpr2
	v_cmpx_lt_u32_e32 0x387fffff, v3
	s_xor_b32 s33, exec_lo, s33
; %bb.950:
	v_bfe_u32 v2, v3, 21, 1
	s_delay_alu instid0(VALU_DEP_1) | instskip(NEXT) | instid1(VALU_DEP_1)
	v_add3_u32 v2, v3, v2, 0x80fffff
                                        ; implicit-def: $vgpr3
	v_lshrrev_b32_e32 v2, 21, v2
; %bb.951:
	s_and_not1_saveexec_b32 s33, s33
; %bb.952:
	v_add_f32_e32 v2, 0x43000000, v3
; %bb.953:
	s_or_b32 exec_lo, exec_lo, s33
                                        ; implicit-def: $vgpr3
.LBB102_954:
	s_and_not1_saveexec_b32 s31, s31
; %bb.955:
	v_mov_b32_e32 v2, 0x7f
	v_cmp_lt_u32_e32 vcc_lo, 0x7f800000, v3
	s_delay_alu instid0(VALU_DEP_2)
	v_cndmask_b32_e32 v2, 0x7c, v2, vcc_lo
; %bb.956:
	s_or_b32 exec_lo, exec_lo, s31
	global_store_b8 v[0:1], v2, off
.LBB102_957:
	s_mov_b32 s33, 0
	s_mov_b32 s31, -1
.LBB102_958:
	s_and_not1_b32 vcc_lo, exec_lo, s33
	s_cbranch_vccnz .LBB102_966
; %bb.959:
	s_cmp_gt_i32 s30, 14
	s_mov_b32 s33, -1
	s_cbranch_scc0 .LBB102_963
; %bb.960:
	s_cmp_eq_u32 s30, 15
	s_mov_b32 s0, -1
	s_cbranch_scc0 .LBB102_962
; %bb.961:
	s_wait_xcnt 0x0
	v_cvt_f32_ubyte0_e32 v2, v4
	s_mov_b32 s31, -1
	s_mov_b32 s0, 0
	s_delay_alu instid0(VALU_DEP_1) | instskip(NEXT) | instid1(VALU_DEP_1)
	v_bfe_u32 v3, v2, 16, 1
	v_add3_u32 v2, v2, v3, 0x7fff
	global_store_d16_hi_b16 v[0:1], v2, off
.LBB102_962:
	s_mov_b32 s33, 0
.LBB102_963:
	s_delay_alu instid0(SALU_CYCLE_1)
	s_and_b32 vcc_lo, exec_lo, s33
	s_cbranch_vccz .LBB102_966
; %bb.964:
	s_cmp_eq_u32 s30, 11
	s_mov_b32 s0, -1
	s_cbranch_scc0 .LBB102_966
; %bb.965:
	v_cmp_ne_u16_e32 vcc_lo, 0, v4
	s_mov_b32 s0, 0
	s_mov_b32 s31, -1
	s_wait_xcnt 0x0
	v_cndmask_b32_e64 v2, 0, 1, vcc_lo
	global_store_b8 v[0:1], v2, off
.LBB102_966:
	s_mov_b32 s30, 0
.LBB102_967:
	s_delay_alu instid0(SALU_CYCLE_1)
	s_and_b32 vcc_lo, exec_lo, s30
	s_cbranch_vccz .LBB102_1006
; %bb.968:
	s_and_b32 s27, 0xffff, s27
	s_mov_b32 s30, -1
	s_cmp_lt_i32 s27, 5
	s_cbranch_scc1 .LBB102_989
; %bb.969:
	s_cmp_lt_i32 s27, 8
	s_cbranch_scc1 .LBB102_979
; %bb.970:
	;; [unrolled: 3-line block ×3, first 2 shown]
	s_cmp_gt_i32 s27, 9
	s_cbranch_scc0 .LBB102_973
; %bb.972:
	s_wait_xcnt 0x0
	v_and_b32_e32 v2, 0xffff, v4
	v_mov_b32_e32 v8, 0
	s_mov_b32 s30, 0
	s_delay_alu instid0(VALU_DEP_2) | instskip(NEXT) | instid1(VALU_DEP_2)
	v_cvt_f64_u32_e32 v[6:7], v2
	v_mov_b32_e32 v9, v8
	global_store_b128 v[0:1], v[6:9], off
.LBB102_973:
	s_and_not1_b32 vcc_lo, exec_lo, s30
	s_cbranch_vccnz .LBB102_975
; %bb.974:
	s_wait_xcnt 0x0
	v_cvt_f32_ubyte0_e32 v2, v4
	v_mov_b32_e32 v3, 0
	global_store_b64 v[0:1], v[2:3], off
.LBB102_975:
	s_mov_b32 s30, 0
.LBB102_976:
	s_delay_alu instid0(SALU_CYCLE_1)
	s_and_not1_b32 vcc_lo, exec_lo, s30
	s_cbranch_vccnz .LBB102_978
; %bb.977:
	s_wait_xcnt 0x0
	v_cvt_f16_u16_e32 v2, v4
	s_delay_alu instid0(VALU_DEP_1)
	v_and_b32_e32 v2, 0xffff, v2
	global_store_b32 v[0:1], v2, off
.LBB102_978:
	s_mov_b32 s30, 0
.LBB102_979:
	s_delay_alu instid0(SALU_CYCLE_1)
	s_and_not1_b32 vcc_lo, exec_lo, s30
	s_cbranch_vccnz .LBB102_988
; %bb.980:
	s_cmp_lt_i32 s27, 6
	s_mov_b32 s30, -1
	s_cbranch_scc1 .LBB102_986
; %bb.981:
	s_cmp_gt_i32 s27, 6
	s_cbranch_scc0 .LBB102_983
; %bb.982:
	s_wait_xcnt 0x0
	v_and_b32_e32 v2, 0xffff, v4
	s_mov_b32 s30, 0
	s_delay_alu instid0(VALU_DEP_1)
	v_cvt_f64_u32_e32 v[2:3], v2
	global_store_b64 v[0:1], v[2:3], off
.LBB102_983:
	s_and_not1_b32 vcc_lo, exec_lo, s30
	s_cbranch_vccnz .LBB102_985
; %bb.984:
	s_wait_xcnt 0x0
	v_cvt_f32_ubyte0_e32 v2, v4
	global_store_b32 v[0:1], v2, off
.LBB102_985:
	s_mov_b32 s30, 0
.LBB102_986:
	s_delay_alu instid0(SALU_CYCLE_1)
	s_and_not1_b32 vcc_lo, exec_lo, s30
	s_cbranch_vccnz .LBB102_988
; %bb.987:
	s_wait_xcnt 0x0
	v_cvt_f16_u16_e32 v2, v4
	global_store_b16 v[0:1], v2, off
.LBB102_988:
	s_mov_b32 s30, 0
.LBB102_989:
	s_delay_alu instid0(SALU_CYCLE_1)
	s_and_not1_b32 vcc_lo, exec_lo, s30
	s_cbranch_vccnz .LBB102_1005
; %bb.990:
	s_cmp_lt_i32 s27, 2
	s_mov_b32 s30, -1
	s_cbranch_scc1 .LBB102_1000
; %bb.991:
	s_cmp_lt_i32 s27, 3
	s_cbranch_scc1 .LBB102_997
; %bb.992:
	s_wait_xcnt 0x0
	v_and_b32_e32 v2, 0xffff, v4
	s_cmp_gt_i32 s27, 3
	s_cbranch_scc0 .LBB102_994
; %bb.993:
	s_mov_b32 s30, 0
	s_delay_alu instid0(SALU_CYCLE_1)
	v_mov_b32_e32 v3, s30
	global_store_b64 v[0:1], v[2:3], off
.LBB102_994:
	s_and_not1_b32 vcc_lo, exec_lo, s30
	s_cbranch_vccnz .LBB102_996
; %bb.995:
	global_store_b32 v[0:1], v2, off
.LBB102_996:
	s_mov_b32 s30, 0
.LBB102_997:
	s_delay_alu instid0(SALU_CYCLE_1)
	s_and_not1_b32 vcc_lo, exec_lo, s30
	s_cbranch_vccnz .LBB102_999
; %bb.998:
	global_store_b16 v[0:1], v4, off
.LBB102_999:
	s_mov_b32 s30, 0
.LBB102_1000:
	s_delay_alu instid0(SALU_CYCLE_1)
	s_and_not1_b32 vcc_lo, exec_lo, s30
	s_cbranch_vccnz .LBB102_1005
; %bb.1001:
	s_cmp_gt_i32 s27, 0
	s_mov_b32 s27, -1
	s_cbranch_scc0 .LBB102_1003
; %bb.1002:
	s_mov_b32 s27, 0
	global_store_b8 v[0:1], v4, off
.LBB102_1003:
	s_and_not1_b32 vcc_lo, exec_lo, s27
	s_cbranch_vccnz .LBB102_1005
; %bb.1004:
	global_store_b8 v[0:1], v4, off
.LBB102_1005:
	s_mov_b32 s31, -1
.LBB102_1006:
	s_delay_alu instid0(SALU_CYCLE_1)
	s_and_not1_b32 vcc_lo, exec_lo, s31
	s_cbranch_vccnz .LBB102_1008
; %bb.1007:
	v_add_nc_u32_e32 v26, 0x80, v26
	s_mov_b32 s30, -1
	s_branch .LBB102_1010
.LBB102_1008:
	s_mov_b32 s30, 0
.LBB102_1009:
                                        ; implicit-def: $vgpr26
.LBB102_1010:
	s_and_not1_b32 s27, s19, exec_lo
	s_and_b32 s0, s0, exec_lo
	s_and_not1_b32 s31, s21, exec_lo
	s_and_b32 s33, s26, exec_lo
	s_or_b32 s26, s27, s0
	s_or_b32 s27, s31, s33
	s_and_not1_b32 s0, s22, exec_lo
	s_and_b32 s28, s28, exec_lo
	s_and_not1_b32 s31, s23, exec_lo
	s_and_b32 s25, s25, exec_lo
	s_or_b32 s28, s0, s28
	s_or_b32 s25, s31, s25
	s_or_not1_b32 s31, s30, exec_lo
.LBB102_1011:
	s_wait_xcnt 0x0
	s_or_b32 exec_lo, exec_lo, s29
	s_mov_b32 s30, 0
	s_mov_b32 s33, 0
	s_mov_b32 s34, 0
                                        ; implicit-def: $sgpr0
                                        ; implicit-def: $vgpr2_vgpr3
                                        ; implicit-def: $vgpr0
	s_and_saveexec_b32 s29, s31
	s_cbranch_execz .LBB102_1598
; %bb.1012:
	s_mov_b32 s39, -1
	s_mov_b32 s31, s25
	s_mov_b32 s33, s28
	;; [unrolled: 1-line block ×4, first 2 shown]
	s_mov_b32 s30, exec_lo
	v_cmpx_gt_i32_e64 s20, v26
	s_cbranch_execz .LBB102_1520
; %bb.1013:
	s_wait_loadcnt 0x0
	v_mul_lo_u32 v0, v26, s13
	s_and_b32 s0, s17, 0xff
	s_delay_alu instid0(SALU_CYCLE_1) | instskip(NEXT) | instid1(VALU_DEP_1)
	s_cmp_lt_i32 s0, 11
	v_ashrrev_i32_e32 v1, 31, v0
	s_delay_alu instid0(VALU_DEP_1)
	v_add_nc_u64_e32 v[2:3], s[6:7], v[0:1]
	s_cbranch_scc1 .LBB102_1020
; %bb.1014:
	s_and_b32 s33, 0xffff, s0
	s_delay_alu instid0(SALU_CYCLE_1)
	s_cmp_gt_i32 s33, 25
	s_cbranch_scc0 .LBB102_1021
; %bb.1015:
	s_cmp_gt_i32 s33, 28
	s_cbranch_scc0 .LBB102_1022
; %bb.1016:
	;; [unrolled: 3-line block ×4, first 2 shown]
	s_cmp_eq_u32 s33, 46
	s_mov_b32 s35, 0
	s_cbranch_scc0 .LBB102_1025
; %bb.1019:
	global_load_b32 v0, v[2:3], off
	s_mov_b32 s34, -1
	s_mov_b32 s31, 0
	s_wait_loadcnt 0x0
	v_lshlrev_b32_e32 v0, 16, v0
	s_delay_alu instid0(VALU_DEP_1) | instskip(NEXT) | instid1(VALU_DEP_1)
	v_trunc_f32_e32 v0, v0
	v_mul_f32_e64 v1, 0x2f800000, |v0|
	s_delay_alu instid0(VALU_DEP_1) | instskip(NEXT) | instid1(VALU_DEP_1)
	v_floor_f32_e32 v1, v1
	v_fma_f32 v1, 0xcf800000, v1, |v0|
	v_ashrrev_i32_e32 v0, 31, v0
	s_delay_alu instid0(VALU_DEP_2) | instskip(NEXT) | instid1(VALU_DEP_1)
	v_cvt_u32_f32_e32 v1, v1
	v_xor_b32_e32 v1, v1, v0
	s_delay_alu instid0(VALU_DEP_1)
	v_sub_nc_u32_e32 v0, v1, v0
	s_branch .LBB102_1027
.LBB102_1020:
	s_mov_b32 s33, -1
	s_mov_b32 s34, 0
	s_mov_b32 s31, s25
                                        ; implicit-def: $vgpr0
	s_branch .LBB102_1088
.LBB102_1021:
	s_mov_b32 s35, -1
	s_mov_b32 s34, 0
	s_mov_b32 s31, s25
                                        ; implicit-def: $vgpr0
	s_branch .LBB102_1054
.LBB102_1022:
	s_mov_b32 s35, -1
	s_mov_b32 s34, 0
	s_mov_b32 s31, s25
                                        ; implicit-def: $vgpr0
	s_branch .LBB102_1037
.LBB102_1023:
	s_mov_b32 s35, -1
	s_mov_b32 s34, 0
	s_mov_b32 s31, s25
                                        ; implicit-def: $vgpr0
	s_branch .LBB102_1032
.LBB102_1024:
	s_mov_b32 s35, -1
	s_mov_b32 s34, 0
	s_mov_b32 s31, s25
	s_branch .LBB102_1026
.LBB102_1025:
	s_mov_b32 s31, -1
	s_mov_b32 s34, 0
.LBB102_1026:
                                        ; implicit-def: $vgpr0
.LBB102_1027:
	s_and_b32 vcc_lo, exec_lo, s35
	s_cbranch_vccz .LBB102_1031
; %bb.1028:
	s_cmp_eq_u32 s33, 44
	s_cbranch_scc0 .LBB102_1030
; %bb.1029:
	global_load_u8 v0, v[2:3], off
	s_mov_b32 s31, 0
	s_mov_b32 s34, -1
	s_wait_loadcnt 0x0
	v_lshlrev_b32_e32 v1, 23, v0
	v_cmp_ne_u32_e32 vcc_lo, 0, v0
	s_delay_alu instid0(VALU_DEP_2) | instskip(NEXT) | instid1(VALU_DEP_1)
	v_trunc_f32_e32 v1, v1
	v_mul_f32_e64 v4, 0x2f800000, |v1|
	s_delay_alu instid0(VALU_DEP_1) | instskip(NEXT) | instid1(VALU_DEP_1)
	v_floor_f32_e32 v4, v4
	v_fma_f32 v4, 0xcf800000, v4, |v1|
	v_ashrrev_i32_e32 v1, 31, v1
	s_delay_alu instid0(VALU_DEP_2) | instskip(NEXT) | instid1(VALU_DEP_1)
	v_cvt_u32_f32_e32 v4, v4
	v_xor_b32_e32 v4, v4, v1
	s_delay_alu instid0(VALU_DEP_1) | instskip(NEXT) | instid1(VALU_DEP_1)
	v_sub_nc_u32_e32 v1, v4, v1
	v_cndmask_b32_e32 v0, 0, v1, vcc_lo
	s_branch .LBB102_1031
.LBB102_1030:
	s_mov_b32 s31, -1
                                        ; implicit-def: $vgpr0
.LBB102_1031:
	s_mov_b32 s35, 0
.LBB102_1032:
	s_delay_alu instid0(SALU_CYCLE_1)
	s_and_b32 vcc_lo, exec_lo, s35
	s_cbranch_vccz .LBB102_1036
; %bb.1033:
	s_cmp_eq_u32 s33, 29
	s_cbranch_scc0 .LBB102_1035
; %bb.1034:
	global_load_b64 v[0:1], v[2:3], off
	s_mov_b32 s34, -1
	s_mov_b32 s31, 0
	s_branch .LBB102_1036
.LBB102_1035:
	s_mov_b32 s31, -1
                                        ; implicit-def: $vgpr0
.LBB102_1036:
	s_mov_b32 s35, 0
.LBB102_1037:
	s_delay_alu instid0(SALU_CYCLE_1)
	s_and_b32 vcc_lo, exec_lo, s35
	s_cbranch_vccz .LBB102_1053
; %bb.1038:
	s_cmp_lt_i32 s33, 27
	s_cbranch_scc1 .LBB102_1041
; %bb.1039:
	s_cmp_gt_i32 s33, 27
	s_cbranch_scc0 .LBB102_1042
; %bb.1040:
	s_wait_loadcnt 0x0
	global_load_b32 v0, v[2:3], off
	s_mov_b32 s34, 0
	s_branch .LBB102_1043
.LBB102_1041:
	s_mov_b32 s34, -1
                                        ; implicit-def: $vgpr0
	s_branch .LBB102_1046
.LBB102_1042:
	s_mov_b32 s34, -1
                                        ; implicit-def: $vgpr0
.LBB102_1043:
	s_delay_alu instid0(SALU_CYCLE_1)
	s_and_not1_b32 vcc_lo, exec_lo, s34
	s_cbranch_vccnz .LBB102_1045
; %bb.1044:
	s_wait_loadcnt 0x0
	global_load_u16 v0, v[2:3], off
.LBB102_1045:
	s_mov_b32 s34, 0
.LBB102_1046:
	s_delay_alu instid0(SALU_CYCLE_1)
	s_and_not1_b32 vcc_lo, exec_lo, s34
	s_cbranch_vccnz .LBB102_1052
; %bb.1047:
	s_wait_loadcnt 0x0
	global_load_u8 v1, v[2:3], off
	s_mov_b32 s35, 0
	s_mov_b32 s34, exec_lo
	s_wait_loadcnt 0x0
	v_cmpx_lt_i16_e32 0x7f, v1
	s_xor_b32 s34, exec_lo, s34
	s_cbranch_execz .LBB102_1064
; %bb.1048:
	v_cmp_ne_u16_e32 vcc_lo, 0x80, v1
	s_and_b32 s35, vcc_lo, exec_lo
	s_and_not1_saveexec_b32 s34, s34
	s_cbranch_execnz .LBB102_1065
.LBB102_1049:
	s_or_b32 exec_lo, exec_lo, s34
	v_mov_b32_e32 v0, 0
	s_and_saveexec_b32 s34, s35
	s_cbranch_execz .LBB102_1051
.LBB102_1050:
	v_and_b32_e32 v0, 0xffff, v1
	s_delay_alu instid0(VALU_DEP_1) | instskip(SKIP_1) | instid1(VALU_DEP_2)
	v_and_b32_e32 v4, 7, v0
	v_bfe_u32 v7, v0, 3, 4
	v_clz_i32_u32_e32 v5, v4
	s_delay_alu instid0(VALU_DEP_2) | instskip(NEXT) | instid1(VALU_DEP_2)
	v_cmp_eq_u32_e32 vcc_lo, 0, v7
	v_min_u32_e32 v5, 32, v5
	s_delay_alu instid0(VALU_DEP_1) | instskip(NEXT) | instid1(VALU_DEP_1)
	v_subrev_nc_u32_e32 v6, 28, v5
	v_dual_lshlrev_b32 v0, v6, v0 :: v_dual_sub_nc_u32 v5, 29, v5
	s_delay_alu instid0(VALU_DEP_1) | instskip(NEXT) | instid1(VALU_DEP_1)
	v_dual_lshlrev_b32 v1, 24, v1 :: v_dual_bitop2_b32 v0, 7, v0 bitop3:0x40
	v_dual_cndmask_b32 v0, v4, v0 :: v_dual_cndmask_b32 v5, v7, v5
	s_delay_alu instid0(VALU_DEP_2) | instskip(NEXT) | instid1(VALU_DEP_2)
	v_and_b32_e32 v1, 0x80000000, v1
	v_lshlrev_b32_e32 v0, 20, v0
	s_delay_alu instid0(VALU_DEP_3) | instskip(NEXT) | instid1(VALU_DEP_1)
	v_lshl_add_u32 v4, v5, 23, 0x3b800000
	v_or3_b32 v0, v1, v4, v0
	s_delay_alu instid0(VALU_DEP_1) | instskip(NEXT) | instid1(VALU_DEP_1)
	v_trunc_f32_e32 v0, v0
	v_mul_f32_e64 v1, 0x2f800000, |v0|
	s_delay_alu instid0(VALU_DEP_1) | instskip(NEXT) | instid1(VALU_DEP_1)
	v_floor_f32_e32 v1, v1
	v_fma_f32 v1, 0xcf800000, v1, |v0|
	v_ashrrev_i32_e32 v0, 31, v0
	s_delay_alu instid0(VALU_DEP_2) | instskip(NEXT) | instid1(VALU_DEP_1)
	v_cvt_u32_f32_e32 v1, v1
	v_xor_b32_e32 v1, v1, v0
	s_delay_alu instid0(VALU_DEP_1)
	v_sub_nc_u32_e32 v0, v1, v0
.LBB102_1051:
	s_or_b32 exec_lo, exec_lo, s34
.LBB102_1052:
	s_mov_b32 s34, -1
.LBB102_1053:
	s_mov_b32 s35, 0
.LBB102_1054:
	s_delay_alu instid0(SALU_CYCLE_1)
	s_and_b32 vcc_lo, exec_lo, s35
	s_cbranch_vccz .LBB102_1087
; %bb.1055:
	s_cmp_gt_i32 s33, 22
	s_cbranch_scc0 .LBB102_1063
; %bb.1056:
	s_cmp_lt_i32 s33, 24
	s_cbranch_scc1 .LBB102_1066
; %bb.1057:
	s_cmp_gt_i32 s33, 24
	s_cbranch_scc0 .LBB102_1067
; %bb.1058:
	s_wait_loadcnt 0x0
	global_load_u8 v1, v[2:3], off
	s_mov_b32 s35, 0
	s_mov_b32 s34, exec_lo
	s_wait_loadcnt 0x0
	v_cmpx_lt_i16_e32 0x7f, v1
	s_xor_b32 s34, exec_lo, s34
	s_cbranch_execz .LBB102_1079
; %bb.1059:
	v_cmp_ne_u16_e32 vcc_lo, 0x80, v1
	s_and_b32 s35, vcc_lo, exec_lo
	s_and_not1_saveexec_b32 s34, s34
	s_cbranch_execnz .LBB102_1080
.LBB102_1060:
	s_or_b32 exec_lo, exec_lo, s34
	v_mov_b32_e32 v0, 0
	s_and_saveexec_b32 s34, s35
	s_cbranch_execz .LBB102_1062
.LBB102_1061:
	v_and_b32_e32 v0, 0xffff, v1
	s_delay_alu instid0(VALU_DEP_1) | instskip(SKIP_1) | instid1(VALU_DEP_2)
	v_and_b32_e32 v4, 3, v0
	v_bfe_u32 v7, v0, 2, 5
	v_clz_i32_u32_e32 v5, v4
	s_delay_alu instid0(VALU_DEP_2) | instskip(NEXT) | instid1(VALU_DEP_2)
	v_cmp_eq_u32_e32 vcc_lo, 0, v7
	v_min_u32_e32 v5, 32, v5
	s_delay_alu instid0(VALU_DEP_1) | instskip(NEXT) | instid1(VALU_DEP_1)
	v_subrev_nc_u32_e32 v6, 29, v5
	v_dual_lshlrev_b32 v0, v6, v0 :: v_dual_sub_nc_u32 v5, 30, v5
	s_delay_alu instid0(VALU_DEP_1) | instskip(NEXT) | instid1(VALU_DEP_1)
	v_dual_lshlrev_b32 v1, 24, v1 :: v_dual_bitop2_b32 v0, 3, v0 bitop3:0x40
	v_dual_cndmask_b32 v0, v4, v0 :: v_dual_cndmask_b32 v5, v7, v5
	s_delay_alu instid0(VALU_DEP_2) | instskip(NEXT) | instid1(VALU_DEP_2)
	v_and_b32_e32 v1, 0x80000000, v1
	v_lshlrev_b32_e32 v0, 21, v0
	s_delay_alu instid0(VALU_DEP_3) | instskip(NEXT) | instid1(VALU_DEP_1)
	v_lshl_add_u32 v4, v5, 23, 0x37800000
	v_or3_b32 v0, v1, v4, v0
	s_delay_alu instid0(VALU_DEP_1) | instskip(NEXT) | instid1(VALU_DEP_1)
	v_trunc_f32_e32 v0, v0
	v_mul_f32_e64 v1, 0x2f800000, |v0|
	s_delay_alu instid0(VALU_DEP_1) | instskip(NEXT) | instid1(VALU_DEP_1)
	v_floor_f32_e32 v1, v1
	v_fma_f32 v1, 0xcf800000, v1, |v0|
	v_ashrrev_i32_e32 v0, 31, v0
	s_delay_alu instid0(VALU_DEP_2) | instskip(NEXT) | instid1(VALU_DEP_1)
	v_cvt_u32_f32_e32 v1, v1
	v_xor_b32_e32 v1, v1, v0
	s_delay_alu instid0(VALU_DEP_1)
	v_sub_nc_u32_e32 v0, v1, v0
.LBB102_1062:
	s_or_b32 exec_lo, exec_lo, s34
	s_mov_b32 s34, 0
	s_branch .LBB102_1068
.LBB102_1063:
	s_mov_b32 s35, -1
                                        ; implicit-def: $vgpr0
	s_branch .LBB102_1074
.LBB102_1064:
	s_and_not1_saveexec_b32 s34, s34
	s_cbranch_execz .LBB102_1049
.LBB102_1065:
	v_cmp_ne_u16_e32 vcc_lo, 0, v1
	s_and_not1_b32 s35, s35, exec_lo
	s_and_b32 s36, vcc_lo, exec_lo
	s_delay_alu instid0(SALU_CYCLE_1)
	s_or_b32 s35, s35, s36
	s_or_b32 exec_lo, exec_lo, s34
	v_mov_b32_e32 v0, 0
	s_and_saveexec_b32 s34, s35
	s_cbranch_execnz .LBB102_1050
	s_branch .LBB102_1051
.LBB102_1066:
	s_mov_b32 s34, -1
                                        ; implicit-def: $vgpr0
	s_branch .LBB102_1071
.LBB102_1067:
	s_mov_b32 s34, -1
                                        ; implicit-def: $vgpr0
.LBB102_1068:
	s_delay_alu instid0(SALU_CYCLE_1)
	s_and_b32 vcc_lo, exec_lo, s34
	s_cbranch_vccz .LBB102_1070
; %bb.1069:
	s_wait_loadcnt 0x0
	global_load_u8 v0, v[2:3], off
	s_wait_loadcnt 0x0
	v_lshlrev_b32_e32 v0, 24, v0
	s_delay_alu instid0(VALU_DEP_1) | instskip(NEXT) | instid1(VALU_DEP_1)
	v_and_b32_e32 v1, 0x7f000000, v0
	v_clz_i32_u32_e32 v4, v1
	v_cmp_ne_u32_e32 vcc_lo, 0, v1
	v_add_nc_u32_e32 v6, 0x1000000, v1
	s_delay_alu instid0(VALU_DEP_3) | instskip(NEXT) | instid1(VALU_DEP_1)
	v_min_u32_e32 v4, 32, v4
	v_sub_nc_u32_e64 v4, v4, 4 clamp
	s_delay_alu instid0(VALU_DEP_1) | instskip(NEXT) | instid1(VALU_DEP_1)
	v_dual_lshlrev_b32 v5, v4, v1 :: v_dual_lshlrev_b32 v4, 23, v4
	v_lshrrev_b32_e32 v5, 4, v5
	s_delay_alu instid0(VALU_DEP_1) | instskip(NEXT) | instid1(VALU_DEP_1)
	v_dual_sub_nc_u32 v4, v5, v4 :: v_dual_ashrrev_i32 v5, 8, v6
	v_add_nc_u32_e32 v4, 0x3c000000, v4
	s_delay_alu instid0(VALU_DEP_1) | instskip(NEXT) | instid1(VALU_DEP_1)
	v_and_or_b32 v4, 0x7f800000, v5, v4
	v_cndmask_b32_e32 v1, 0, v4, vcc_lo
	s_delay_alu instid0(VALU_DEP_1) | instskip(NEXT) | instid1(VALU_DEP_1)
	v_and_or_b32 v0, 0x80000000, v0, v1
	v_trunc_f32_e32 v0, v0
	s_delay_alu instid0(VALU_DEP_1) | instskip(NEXT) | instid1(VALU_DEP_1)
	v_mul_f32_e64 v1, 0x2f800000, |v0|
	v_floor_f32_e32 v1, v1
	s_delay_alu instid0(VALU_DEP_1) | instskip(SKIP_1) | instid1(VALU_DEP_2)
	v_fma_f32 v1, 0xcf800000, v1, |v0|
	v_ashrrev_i32_e32 v0, 31, v0
	v_cvt_u32_f32_e32 v1, v1
	s_delay_alu instid0(VALU_DEP_1) | instskip(NEXT) | instid1(VALU_DEP_1)
	v_xor_b32_e32 v1, v1, v0
	v_sub_nc_u32_e32 v0, v1, v0
.LBB102_1070:
	s_mov_b32 s34, 0
.LBB102_1071:
	s_delay_alu instid0(SALU_CYCLE_1)
	s_and_not1_b32 vcc_lo, exec_lo, s34
	s_cbranch_vccnz .LBB102_1073
; %bb.1072:
	s_wait_loadcnt 0x0
	global_load_u8 v0, v[2:3], off
	s_wait_loadcnt 0x0
	v_lshlrev_b32_e32 v1, 25, v0
	v_lshlrev_b16 v0, 8, v0
	s_delay_alu instid0(VALU_DEP_1) | instskip(SKIP_1) | instid1(VALU_DEP_2)
	v_and_or_b32 v5, 0x7f00, v0, 0.5
	v_bfe_i32 v0, v0, 0, 16
	v_add_f32_e32 v5, -0.5, v5
	v_lshrrev_b32_e32 v4, 4, v1
	v_cmp_gt_u32_e32 vcc_lo, 0x8000000, v1
	s_delay_alu instid0(VALU_DEP_2) | instskip(NEXT) | instid1(VALU_DEP_1)
	v_or_b32_e32 v4, 0x70000000, v4
	v_mul_f32_e32 v4, 0x7800000, v4
	s_delay_alu instid0(VALU_DEP_1) | instskip(NEXT) | instid1(VALU_DEP_1)
	v_cndmask_b32_e32 v1, v4, v5, vcc_lo
	v_and_or_b32 v0, 0x80000000, v0, v1
	s_delay_alu instid0(VALU_DEP_1) | instskip(NEXT) | instid1(VALU_DEP_1)
	v_trunc_f32_e32 v0, v0
	v_mul_f32_e64 v1, 0x2f800000, |v0|
	s_delay_alu instid0(VALU_DEP_1) | instskip(NEXT) | instid1(VALU_DEP_1)
	v_floor_f32_e32 v1, v1
	v_fma_f32 v1, 0xcf800000, v1, |v0|
	v_ashrrev_i32_e32 v0, 31, v0
	s_delay_alu instid0(VALU_DEP_2) | instskip(NEXT) | instid1(VALU_DEP_1)
	v_cvt_u32_f32_e32 v1, v1
	v_xor_b32_e32 v1, v1, v0
	s_delay_alu instid0(VALU_DEP_1)
	v_sub_nc_u32_e32 v0, v1, v0
.LBB102_1073:
	s_mov_b32 s35, 0
	s_mov_b32 s34, -1
.LBB102_1074:
	s_and_not1_b32 vcc_lo, exec_lo, s35
	s_cbranch_vccnz .LBB102_1087
; %bb.1075:
	s_cmp_gt_i32 s33, 14
	s_cbranch_scc0 .LBB102_1078
; %bb.1076:
	s_cmp_eq_u32 s33, 15
	s_cbranch_scc0 .LBB102_1081
; %bb.1077:
	s_wait_loadcnt 0x0
	global_load_u16 v0, v[2:3], off
	s_mov_b32 s34, -1
	s_mov_b32 s31, 0
	s_wait_loadcnt 0x0
	v_lshlrev_b32_e32 v0, 16, v0
	s_delay_alu instid0(VALU_DEP_1) | instskip(NEXT) | instid1(VALU_DEP_1)
	v_trunc_f32_e32 v0, v0
	v_mul_f32_e64 v1, 0x2f800000, |v0|
	s_delay_alu instid0(VALU_DEP_1) | instskip(NEXT) | instid1(VALU_DEP_1)
	v_floor_f32_e32 v1, v1
	v_fma_f32 v1, 0xcf800000, v1, |v0|
	v_ashrrev_i32_e32 v0, 31, v0
	s_delay_alu instid0(VALU_DEP_2) | instskip(NEXT) | instid1(VALU_DEP_1)
	v_cvt_u32_f32_e32 v1, v1
	v_xor_b32_e32 v1, v1, v0
	s_delay_alu instid0(VALU_DEP_1)
	v_sub_nc_u32_e32 v0, v1, v0
	s_branch .LBB102_1082
.LBB102_1078:
	s_mov_b32 s35, -1
                                        ; implicit-def: $vgpr0
	s_branch .LBB102_1083
.LBB102_1079:
	s_and_not1_saveexec_b32 s34, s34
	s_cbranch_execz .LBB102_1060
.LBB102_1080:
	v_cmp_ne_u16_e32 vcc_lo, 0, v1
	s_and_not1_b32 s35, s35, exec_lo
	s_and_b32 s36, vcc_lo, exec_lo
	s_delay_alu instid0(SALU_CYCLE_1)
	s_or_b32 s35, s35, s36
	s_or_b32 exec_lo, exec_lo, s34
	v_mov_b32_e32 v0, 0
	s_and_saveexec_b32 s34, s35
	s_cbranch_execnz .LBB102_1061
	s_branch .LBB102_1062
.LBB102_1081:
	s_mov_b32 s31, -1
                                        ; implicit-def: $vgpr0
.LBB102_1082:
	s_mov_b32 s35, 0
.LBB102_1083:
	s_delay_alu instid0(SALU_CYCLE_1)
	s_and_b32 vcc_lo, exec_lo, s35
	s_cbranch_vccz .LBB102_1087
; %bb.1084:
	s_cmp_eq_u32 s33, 11
	s_cbranch_scc0 .LBB102_1086
; %bb.1085:
	s_wait_loadcnt 0x0
	global_load_u8 v0, v[2:3], off
	s_mov_b32 s31, 0
	s_mov_b32 s34, -1
	s_wait_loadcnt 0x0
	v_cmp_ne_u16_e32 vcc_lo, 0, v0
	v_cndmask_b32_e64 v0, 0, 1, vcc_lo
	s_branch .LBB102_1087
.LBB102_1086:
	s_mov_b32 s31, -1
                                        ; implicit-def: $vgpr0
.LBB102_1087:
	s_mov_b32 s33, 0
.LBB102_1088:
	s_delay_alu instid0(SALU_CYCLE_1)
	s_and_b32 vcc_lo, exec_lo, s33
	s_cbranch_vccz .LBB102_1137
; %bb.1089:
	s_and_b32 s0, 0xffff, s0
	s_delay_alu instid0(SALU_CYCLE_1)
	s_cmp_lt_i32 s0, 5
	s_cbranch_scc1 .LBB102_1094
; %bb.1090:
	s_cmp_lt_i32 s0, 8
	s_cbranch_scc1 .LBB102_1095
; %bb.1091:
	;; [unrolled: 3-line block ×3, first 2 shown]
	s_cmp_gt_i32 s0, 9
	s_cbranch_scc0 .LBB102_1097
; %bb.1093:
	s_wait_loadcnt 0x0
	global_load_b64 v[0:1], v[2:3], off
	s_mov_b32 s33, 0
	s_wait_loadcnt 0x0
	v_trunc_f64_e32 v[0:1], v[0:1]
	s_delay_alu instid0(VALU_DEP_1) | instskip(NEXT) | instid1(VALU_DEP_1)
	v_ldexp_f64 v[4:5], v[0:1], 0xffffffe0
	v_floor_f64_e32 v[4:5], v[4:5]
	s_delay_alu instid0(VALU_DEP_1) | instskip(NEXT) | instid1(VALU_DEP_1)
	v_fmamk_f64 v[0:1], v[4:5], 0xc1f00000, v[0:1]
	v_cvt_u32_f64_e32 v0, v[0:1]
	s_branch .LBB102_1098
.LBB102_1094:
	s_mov_b32 s33, -1
                                        ; implicit-def: $vgpr0
	s_branch .LBB102_1116
.LBB102_1095:
	s_mov_b32 s33, -1
                                        ; implicit-def: $vgpr0
	s_branch .LBB102_1104
.LBB102_1096:
	s_mov_b32 s33, -1
                                        ; implicit-def: $vgpr0
	s_branch .LBB102_1101
.LBB102_1097:
	s_mov_b32 s33, -1
                                        ; implicit-def: $vgpr0
.LBB102_1098:
	s_delay_alu instid0(SALU_CYCLE_1)
	s_and_not1_b32 vcc_lo, exec_lo, s33
	s_cbranch_vccnz .LBB102_1100
; %bb.1099:
	s_wait_loadcnt 0x0
	global_load_b32 v0, v[2:3], off
	s_wait_loadcnt 0x0
	v_trunc_f32_e32 v0, v0
	s_delay_alu instid0(VALU_DEP_1) | instskip(NEXT) | instid1(VALU_DEP_1)
	v_mul_f32_e64 v1, 0x2f800000, |v0|
	v_floor_f32_e32 v1, v1
	s_delay_alu instid0(VALU_DEP_1) | instskip(SKIP_1) | instid1(VALU_DEP_2)
	v_fma_f32 v1, 0xcf800000, v1, |v0|
	v_ashrrev_i32_e32 v0, 31, v0
	v_cvt_u32_f32_e32 v1, v1
	s_delay_alu instid0(VALU_DEP_1) | instskip(NEXT) | instid1(VALU_DEP_1)
	v_xor_b32_e32 v1, v1, v0
	v_sub_nc_u32_e32 v0, v1, v0
.LBB102_1100:
	s_mov_b32 s33, 0
.LBB102_1101:
	s_delay_alu instid0(SALU_CYCLE_1)
	s_and_not1_b32 vcc_lo, exec_lo, s33
	s_cbranch_vccnz .LBB102_1103
; %bb.1102:
	s_wait_loadcnt 0x0
	global_load_b32 v0, v[2:3], off
	s_wait_loadcnt 0x0
	v_cvt_f32_f16_e32 v0, v0
	s_delay_alu instid0(VALU_DEP_1)
	v_cvt_i32_f32_e32 v0, v0
.LBB102_1103:
	s_mov_b32 s33, 0
.LBB102_1104:
	s_delay_alu instid0(SALU_CYCLE_1)
	s_and_not1_b32 vcc_lo, exec_lo, s33
	s_cbranch_vccnz .LBB102_1115
; %bb.1105:
	s_cmp_lt_i32 s0, 6
	s_cbranch_scc1 .LBB102_1108
; %bb.1106:
	s_cmp_gt_i32 s0, 6
	s_cbranch_scc0 .LBB102_1109
; %bb.1107:
	s_wait_loadcnt 0x0
	global_load_b64 v[0:1], v[2:3], off
	s_mov_b32 s33, 0
	s_wait_loadcnt 0x0
	v_trunc_f64_e32 v[0:1], v[0:1]
	s_delay_alu instid0(VALU_DEP_1) | instskip(NEXT) | instid1(VALU_DEP_1)
	v_ldexp_f64 v[4:5], v[0:1], 0xffffffe0
	v_floor_f64_e32 v[4:5], v[4:5]
	s_delay_alu instid0(VALU_DEP_1) | instskip(NEXT) | instid1(VALU_DEP_1)
	v_fmamk_f64 v[0:1], v[4:5], 0xc1f00000, v[0:1]
	v_cvt_u32_f64_e32 v0, v[0:1]
	s_branch .LBB102_1110
.LBB102_1108:
	s_mov_b32 s33, -1
                                        ; implicit-def: $vgpr0
	s_branch .LBB102_1113
.LBB102_1109:
	s_mov_b32 s33, -1
                                        ; implicit-def: $vgpr0
.LBB102_1110:
	s_delay_alu instid0(SALU_CYCLE_1)
	s_and_not1_b32 vcc_lo, exec_lo, s33
	s_cbranch_vccnz .LBB102_1112
; %bb.1111:
	s_wait_loadcnt 0x0
	global_load_b32 v0, v[2:3], off
	s_wait_loadcnt 0x0
	v_trunc_f32_e32 v0, v0
	s_delay_alu instid0(VALU_DEP_1) | instskip(NEXT) | instid1(VALU_DEP_1)
	v_mul_f32_e64 v1, 0x2f800000, |v0|
	v_floor_f32_e32 v1, v1
	s_delay_alu instid0(VALU_DEP_1) | instskip(SKIP_1) | instid1(VALU_DEP_2)
	v_fma_f32 v1, 0xcf800000, v1, |v0|
	v_ashrrev_i32_e32 v0, 31, v0
	v_cvt_u32_f32_e32 v1, v1
	s_delay_alu instid0(VALU_DEP_1) | instskip(NEXT) | instid1(VALU_DEP_1)
	v_xor_b32_e32 v1, v1, v0
	v_sub_nc_u32_e32 v0, v1, v0
.LBB102_1112:
	s_mov_b32 s33, 0
.LBB102_1113:
	s_delay_alu instid0(SALU_CYCLE_1)
	s_and_not1_b32 vcc_lo, exec_lo, s33
	s_cbranch_vccnz .LBB102_1115
; %bb.1114:
	s_wait_loadcnt 0x0
	global_load_u16 v0, v[2:3], off
	s_wait_loadcnt 0x0
	v_cvt_f32_f16_e32 v0, v0
	s_delay_alu instid0(VALU_DEP_1)
	v_cvt_i32_f32_e32 v0, v0
.LBB102_1115:
	s_mov_b32 s33, 0
.LBB102_1116:
	s_delay_alu instid0(SALU_CYCLE_1)
	s_and_not1_b32 vcc_lo, exec_lo, s33
	s_cbranch_vccnz .LBB102_1136
; %bb.1117:
	s_cmp_lt_i32 s0, 2
	s_cbranch_scc1 .LBB102_1121
; %bb.1118:
	s_cmp_lt_i32 s0, 3
	s_cbranch_scc1 .LBB102_1122
; %bb.1119:
	s_cmp_gt_i32 s0, 3
	s_cbranch_scc0 .LBB102_1123
; %bb.1120:
	s_wait_loadcnt 0x0
	global_load_b64 v[0:1], v[2:3], off
	s_mov_b32 s33, 0
	s_branch .LBB102_1124
.LBB102_1121:
	s_mov_b32 s33, -1
                                        ; implicit-def: $vgpr0
	s_branch .LBB102_1130
.LBB102_1122:
	s_mov_b32 s33, -1
                                        ; implicit-def: $vgpr0
	s_branch .LBB102_1127
.LBB102_1123:
	s_mov_b32 s33, -1
                                        ; implicit-def: $vgpr0
.LBB102_1124:
	s_delay_alu instid0(SALU_CYCLE_1)
	s_and_not1_b32 vcc_lo, exec_lo, s33
	s_cbranch_vccnz .LBB102_1126
; %bb.1125:
	s_wait_loadcnt 0x0
	global_load_b32 v0, v[2:3], off
.LBB102_1126:
	s_mov_b32 s33, 0
.LBB102_1127:
	s_delay_alu instid0(SALU_CYCLE_1)
	s_and_not1_b32 vcc_lo, exec_lo, s33
	s_cbranch_vccnz .LBB102_1129
; %bb.1128:
	s_wait_loadcnt 0x0
	global_load_u16 v0, v[2:3], off
.LBB102_1129:
	s_mov_b32 s33, 0
.LBB102_1130:
	s_delay_alu instid0(SALU_CYCLE_1)
	s_and_not1_b32 vcc_lo, exec_lo, s33
	s_cbranch_vccnz .LBB102_1136
; %bb.1131:
	s_cmp_gt_i32 s0, 0
	s_mov_b32 s0, 0
	s_cbranch_scc0 .LBB102_1133
; %bb.1132:
	s_wait_loadcnt 0x0
	global_load_u8 v0, v[2:3], off
	s_branch .LBB102_1134
.LBB102_1133:
	s_mov_b32 s0, -1
                                        ; implicit-def: $vgpr0
.LBB102_1134:
	s_delay_alu instid0(SALU_CYCLE_1)
	s_and_not1_b32 vcc_lo, exec_lo, s0
	s_cbranch_vccnz .LBB102_1136
; %bb.1135:
	s_wait_loadcnt 0x0
	global_load_u8 v0, v[2:3], off
.LBB102_1136:
	s_mov_b32 s34, -1
.LBB102_1137:
	s_delay_alu instid0(SALU_CYCLE_1)
	s_and_not1_b32 vcc_lo, exec_lo, s34
	s_cbranch_vccnz .LBB102_1145
; %bb.1138:
	s_wait_xcnt 0x0
	v_mul_lo_u32 v2, v26, s14
	s_and_b32 s0, s3, 0xff
	s_delay_alu instid0(SALU_CYCLE_1) | instskip(NEXT) | instid1(VALU_DEP_1)
	s_cmp_lt_i32 s0, 11
	v_ashrrev_i32_e32 v3, 31, v2
	s_delay_alu instid0(VALU_DEP_1)
	v_add_nc_u64_e32 v[4:5], s[8:9], v[2:3]
	s_cbranch_scc1 .LBB102_1146
; %bb.1139:
	s_and_b32 s34, 0xffff, s0
	s_delay_alu instid0(SALU_CYCLE_1)
	s_cmp_gt_i32 s34, 25
	s_cbranch_scc0 .LBB102_1147
; %bb.1140:
	s_cmp_gt_i32 s34, 28
	s_cbranch_scc0 .LBB102_1148
; %bb.1141:
	;; [unrolled: 3-line block ×4, first 2 shown]
	s_cmp_eq_u32 s34, 46
	s_mov_b32 s36, 0
	s_cbranch_scc0 .LBB102_1153
; %bb.1144:
	s_wait_loadcnt 0x0
	global_load_b32 v1, v[4:5], off
	s_mov_b32 s35, -1
	s_mov_b32 s33, 0
	s_wait_loadcnt 0x0
	v_lshlrev_b32_e32 v1, 16, v1
	s_delay_alu instid0(VALU_DEP_1) | instskip(NEXT) | instid1(VALU_DEP_1)
	v_trunc_f32_e32 v1, v1
	v_mul_f32_e64 v2, 0x2f800000, |v1|
	s_delay_alu instid0(VALU_DEP_1) | instskip(NEXT) | instid1(VALU_DEP_1)
	v_floor_f32_e32 v2, v2
	v_fma_f32 v2, 0xcf800000, v2, |v1|
	v_ashrrev_i32_e32 v1, 31, v1
	s_delay_alu instid0(VALU_DEP_2) | instskip(NEXT) | instid1(VALU_DEP_1)
	v_cvt_u32_f32_e32 v2, v2
	v_xor_b32_e32 v2, v2, v1
	s_delay_alu instid0(VALU_DEP_1)
	v_sub_nc_u32_e32 v2, v2, v1
	s_branch .LBB102_1155
.LBB102_1145:
	s_mov_b32 s36, 0
	s_mov_b32 s0, s26
	s_mov_b32 s34, s27
	s_mov_b32 s33, s28
	s_branch .LBB102_1518
.LBB102_1146:
	s_mov_b32 s34, -1
	s_mov_b32 s35, 0
	s_mov_b32 s33, s28
                                        ; implicit-def: $vgpr2
	s_branch .LBB102_1216
.LBB102_1147:
	s_mov_b32 s36, -1
	s_mov_b32 s35, 0
	s_mov_b32 s33, s28
                                        ; implicit-def: $vgpr2
	s_branch .LBB102_1182
.LBB102_1148:
	s_mov_b32 s36, -1
	s_mov_b32 s35, 0
	s_mov_b32 s33, s28
                                        ; implicit-def: $vgpr2
	s_branch .LBB102_1165
.LBB102_1149:
	s_mov_b32 s36, -1
	s_mov_b32 s35, 0
	s_mov_b32 s33, s28
                                        ; implicit-def: $vgpr2
	s_branch .LBB102_1160
.LBB102_1150:
	s_mov_b32 s36, -1
	s_mov_b32 s35, 0
	s_mov_b32 s33, s28
	s_branch .LBB102_1154
.LBB102_1151:
	s_and_not1_saveexec_b32 s34, s34
	s_cbranch_execz .LBB102_919
.LBB102_1152:
	v_add_f32_e32 v2, 0x46000000, v3
	s_and_not1_b32 s33, s33, exec_lo
	s_delay_alu instid0(VALU_DEP_1) | instskip(NEXT) | instid1(VALU_DEP_1)
	v_and_b32_e32 v2, 0xff, v2
	v_cmp_ne_u32_e32 vcc_lo, 0, v2
	s_and_b32 s35, vcc_lo, exec_lo
	s_delay_alu instid0(SALU_CYCLE_1)
	s_or_b32 s33, s33, s35
	s_or_b32 exec_lo, exec_lo, s34
	v_mov_b32_e32 v5, 0
	s_and_saveexec_b32 s34, s33
	s_cbranch_execnz .LBB102_920
	s_branch .LBB102_921
.LBB102_1153:
	s_mov_b32 s33, -1
	s_mov_b32 s35, 0
.LBB102_1154:
                                        ; implicit-def: $vgpr2
.LBB102_1155:
	s_and_b32 vcc_lo, exec_lo, s36
	s_cbranch_vccz .LBB102_1159
; %bb.1156:
	s_cmp_eq_u32 s34, 44
	s_cbranch_scc0 .LBB102_1158
; %bb.1157:
	s_wait_loadcnt 0x0
	global_load_u8 v1, v[4:5], off
	s_mov_b32 s33, 0
	s_mov_b32 s35, -1
	s_wait_loadcnt 0x0
	v_lshlrev_b32_e32 v2, 23, v1
	v_cmp_ne_u32_e32 vcc_lo, 0, v1
	s_delay_alu instid0(VALU_DEP_2) | instskip(NEXT) | instid1(VALU_DEP_1)
	v_trunc_f32_e32 v2, v2
	v_mul_f32_e64 v3, 0x2f800000, |v2|
	s_delay_alu instid0(VALU_DEP_1) | instskip(NEXT) | instid1(VALU_DEP_1)
	v_floor_f32_e32 v3, v3
	v_fma_f32 v3, 0xcf800000, v3, |v2|
	v_ashrrev_i32_e32 v2, 31, v2
	s_delay_alu instid0(VALU_DEP_2) | instskip(NEXT) | instid1(VALU_DEP_1)
	v_cvt_u32_f32_e32 v3, v3
	v_xor_b32_e32 v3, v3, v2
	s_delay_alu instid0(VALU_DEP_1) | instskip(NEXT) | instid1(VALU_DEP_1)
	v_sub_nc_u32_e32 v2, v3, v2
	v_cndmask_b32_e32 v2, 0, v2, vcc_lo
	s_branch .LBB102_1159
.LBB102_1158:
	s_mov_b32 s33, -1
                                        ; implicit-def: $vgpr2
.LBB102_1159:
	s_mov_b32 s36, 0
.LBB102_1160:
	s_delay_alu instid0(SALU_CYCLE_1)
	s_and_b32 vcc_lo, exec_lo, s36
	s_cbranch_vccz .LBB102_1164
; %bb.1161:
	s_cmp_eq_u32 s34, 29
	s_cbranch_scc0 .LBB102_1163
; %bb.1162:
	global_load_b64 v[2:3], v[4:5], off
	s_mov_b32 s35, -1
	s_mov_b32 s33, 0
	s_branch .LBB102_1164
.LBB102_1163:
	s_mov_b32 s33, -1
                                        ; implicit-def: $vgpr2
.LBB102_1164:
	s_mov_b32 s36, 0
.LBB102_1165:
	s_delay_alu instid0(SALU_CYCLE_1)
	s_and_b32 vcc_lo, exec_lo, s36
	s_cbranch_vccz .LBB102_1181
; %bb.1166:
	s_cmp_lt_i32 s34, 27
	s_cbranch_scc1 .LBB102_1169
; %bb.1167:
	s_cmp_gt_i32 s34, 27
	s_cbranch_scc0 .LBB102_1170
; %bb.1168:
	s_wait_loadcnt 0x0
	global_load_b32 v2, v[4:5], off
	s_mov_b32 s35, 0
	s_branch .LBB102_1171
.LBB102_1169:
	s_mov_b32 s35, -1
                                        ; implicit-def: $vgpr2
	s_branch .LBB102_1174
.LBB102_1170:
	s_mov_b32 s35, -1
                                        ; implicit-def: $vgpr2
.LBB102_1171:
	s_delay_alu instid0(SALU_CYCLE_1)
	s_and_not1_b32 vcc_lo, exec_lo, s35
	s_cbranch_vccnz .LBB102_1173
; %bb.1172:
	s_wait_loadcnt 0x0
	global_load_u16 v2, v[4:5], off
.LBB102_1173:
	s_mov_b32 s35, 0
.LBB102_1174:
	s_delay_alu instid0(SALU_CYCLE_1)
	s_and_not1_b32 vcc_lo, exec_lo, s35
	s_cbranch_vccnz .LBB102_1180
; %bb.1175:
	s_wait_loadcnt 0x0
	global_load_u8 v1, v[4:5], off
	s_mov_b32 s36, 0
	s_mov_b32 s35, exec_lo
	s_wait_loadcnt 0x0
	v_cmpx_lt_i16_e32 0x7f, v1
	s_xor_b32 s35, exec_lo, s35
	s_cbranch_execz .LBB102_1192
; %bb.1176:
	v_cmp_ne_u16_e32 vcc_lo, 0x80, v1
	s_and_b32 s36, vcc_lo, exec_lo
	s_and_not1_saveexec_b32 s35, s35
	s_cbranch_execnz .LBB102_1193
.LBB102_1177:
	s_or_b32 exec_lo, exec_lo, s35
	v_mov_b32_e32 v2, 0
	s_and_saveexec_b32 s35, s36
	s_cbranch_execz .LBB102_1179
.LBB102_1178:
	v_and_b32_e32 v2, 0xffff, v1
	s_delay_alu instid0(VALU_DEP_1) | instskip(SKIP_1) | instid1(VALU_DEP_2)
	v_dual_lshlrev_b32 v1, 24, v1 :: v_dual_bitop2_b32 v3, 7, v2 bitop3:0x40
	v_bfe_u32 v8, v2, 3, 4
	v_and_b32_e32 v1, 0x80000000, v1
	s_delay_alu instid0(VALU_DEP_3) | instskip(NEXT) | instid1(VALU_DEP_3)
	v_clz_i32_u32_e32 v6, v3
	v_cmp_eq_u32_e32 vcc_lo, 0, v8
	s_delay_alu instid0(VALU_DEP_2) | instskip(NEXT) | instid1(VALU_DEP_1)
	v_min_u32_e32 v6, 32, v6
	v_subrev_nc_u32_e32 v7, 28, v6
	v_sub_nc_u32_e32 v6, 29, v6
	s_delay_alu instid0(VALU_DEP_2) | instskip(NEXT) | instid1(VALU_DEP_2)
	v_lshlrev_b32_e32 v2, v7, v2
	v_cndmask_b32_e32 v6, v8, v6, vcc_lo
	s_delay_alu instid0(VALU_DEP_2) | instskip(NEXT) | instid1(VALU_DEP_1)
	v_and_b32_e32 v2, 7, v2
	v_cndmask_b32_e32 v2, v3, v2, vcc_lo
	s_delay_alu instid0(VALU_DEP_3) | instskip(NEXT) | instid1(VALU_DEP_2)
	v_lshl_add_u32 v3, v6, 23, 0x3b800000
	v_lshlrev_b32_e32 v2, 20, v2
	s_delay_alu instid0(VALU_DEP_1) | instskip(NEXT) | instid1(VALU_DEP_1)
	v_or3_b32 v1, v1, v3, v2
	v_trunc_f32_e32 v1, v1
	s_delay_alu instid0(VALU_DEP_1) | instskip(NEXT) | instid1(VALU_DEP_1)
	v_mul_f32_e64 v2, 0x2f800000, |v1|
	v_floor_f32_e32 v2, v2
	s_delay_alu instid0(VALU_DEP_1) | instskip(SKIP_1) | instid1(VALU_DEP_2)
	v_fma_f32 v2, 0xcf800000, v2, |v1|
	v_ashrrev_i32_e32 v1, 31, v1
	v_cvt_u32_f32_e32 v2, v2
	s_delay_alu instid0(VALU_DEP_1) | instskip(NEXT) | instid1(VALU_DEP_1)
	v_xor_b32_e32 v2, v2, v1
	v_sub_nc_u32_e32 v2, v2, v1
.LBB102_1179:
	s_or_b32 exec_lo, exec_lo, s35
.LBB102_1180:
	s_mov_b32 s35, -1
.LBB102_1181:
	s_mov_b32 s36, 0
.LBB102_1182:
	s_delay_alu instid0(SALU_CYCLE_1)
	s_and_b32 vcc_lo, exec_lo, s36
	s_cbranch_vccz .LBB102_1215
; %bb.1183:
	s_cmp_gt_i32 s34, 22
	s_cbranch_scc0 .LBB102_1191
; %bb.1184:
	s_cmp_lt_i32 s34, 24
	s_cbranch_scc1 .LBB102_1194
; %bb.1185:
	s_cmp_gt_i32 s34, 24
	s_cbranch_scc0 .LBB102_1195
; %bb.1186:
	s_wait_loadcnt 0x0
	global_load_u8 v1, v[4:5], off
	s_mov_b32 s36, 0
	s_mov_b32 s35, exec_lo
	s_wait_loadcnt 0x0
	v_cmpx_lt_i16_e32 0x7f, v1
	s_xor_b32 s35, exec_lo, s35
	s_cbranch_execz .LBB102_1207
; %bb.1187:
	v_cmp_ne_u16_e32 vcc_lo, 0x80, v1
	s_and_b32 s36, vcc_lo, exec_lo
	s_and_not1_saveexec_b32 s35, s35
	s_cbranch_execnz .LBB102_1208
.LBB102_1188:
	s_or_b32 exec_lo, exec_lo, s35
	v_mov_b32_e32 v2, 0
	s_and_saveexec_b32 s35, s36
	s_cbranch_execz .LBB102_1190
.LBB102_1189:
	v_and_b32_e32 v2, 0xffff, v1
	s_delay_alu instid0(VALU_DEP_1) | instskip(SKIP_1) | instid1(VALU_DEP_2)
	v_dual_lshlrev_b32 v1, 24, v1 :: v_dual_bitop2_b32 v3, 3, v2 bitop3:0x40
	v_bfe_u32 v8, v2, 2, 5
	v_and_b32_e32 v1, 0x80000000, v1
	s_delay_alu instid0(VALU_DEP_3) | instskip(NEXT) | instid1(VALU_DEP_3)
	v_clz_i32_u32_e32 v6, v3
	v_cmp_eq_u32_e32 vcc_lo, 0, v8
	s_delay_alu instid0(VALU_DEP_2) | instskip(NEXT) | instid1(VALU_DEP_1)
	v_min_u32_e32 v6, 32, v6
	v_subrev_nc_u32_e32 v7, 29, v6
	v_sub_nc_u32_e32 v6, 30, v6
	s_delay_alu instid0(VALU_DEP_2) | instskip(NEXT) | instid1(VALU_DEP_2)
	v_lshlrev_b32_e32 v2, v7, v2
	v_cndmask_b32_e32 v6, v8, v6, vcc_lo
	s_delay_alu instid0(VALU_DEP_2) | instskip(NEXT) | instid1(VALU_DEP_1)
	v_and_b32_e32 v2, 3, v2
	v_cndmask_b32_e32 v2, v3, v2, vcc_lo
	s_delay_alu instid0(VALU_DEP_3) | instskip(NEXT) | instid1(VALU_DEP_2)
	v_lshl_add_u32 v3, v6, 23, 0x37800000
	v_lshlrev_b32_e32 v2, 21, v2
	s_delay_alu instid0(VALU_DEP_1) | instskip(NEXT) | instid1(VALU_DEP_1)
	v_or3_b32 v1, v1, v3, v2
	v_trunc_f32_e32 v1, v1
	s_delay_alu instid0(VALU_DEP_1) | instskip(NEXT) | instid1(VALU_DEP_1)
	v_mul_f32_e64 v2, 0x2f800000, |v1|
	v_floor_f32_e32 v2, v2
	s_delay_alu instid0(VALU_DEP_1) | instskip(SKIP_1) | instid1(VALU_DEP_2)
	v_fma_f32 v2, 0xcf800000, v2, |v1|
	v_ashrrev_i32_e32 v1, 31, v1
	v_cvt_u32_f32_e32 v2, v2
	s_delay_alu instid0(VALU_DEP_1) | instskip(NEXT) | instid1(VALU_DEP_1)
	v_xor_b32_e32 v2, v2, v1
	v_sub_nc_u32_e32 v2, v2, v1
.LBB102_1190:
	s_or_b32 exec_lo, exec_lo, s35
	s_mov_b32 s35, 0
	s_branch .LBB102_1196
.LBB102_1191:
	s_mov_b32 s36, -1
                                        ; implicit-def: $vgpr2
	s_branch .LBB102_1202
.LBB102_1192:
	s_and_not1_saveexec_b32 s35, s35
	s_cbranch_execz .LBB102_1177
.LBB102_1193:
	v_cmp_ne_u16_e32 vcc_lo, 0, v1
	s_and_not1_b32 s36, s36, exec_lo
	s_and_b32 s37, vcc_lo, exec_lo
	s_delay_alu instid0(SALU_CYCLE_1)
	s_or_b32 s36, s36, s37
	s_or_b32 exec_lo, exec_lo, s35
	v_mov_b32_e32 v2, 0
	s_and_saveexec_b32 s35, s36
	s_cbranch_execnz .LBB102_1178
	s_branch .LBB102_1179
.LBB102_1194:
	s_mov_b32 s35, -1
                                        ; implicit-def: $vgpr2
	s_branch .LBB102_1199
.LBB102_1195:
	s_mov_b32 s35, -1
                                        ; implicit-def: $vgpr2
.LBB102_1196:
	s_delay_alu instid0(SALU_CYCLE_1)
	s_and_b32 vcc_lo, exec_lo, s35
	s_cbranch_vccz .LBB102_1198
; %bb.1197:
	s_wait_loadcnt 0x0
	global_load_u8 v1, v[4:5], off
	s_wait_loadcnt 0x0
	v_lshlrev_b32_e32 v1, 24, v1
	s_delay_alu instid0(VALU_DEP_1) | instskip(NEXT) | instid1(VALU_DEP_1)
	v_and_b32_e32 v2, 0x7f000000, v1
	v_clz_i32_u32_e32 v3, v2
	v_cmp_ne_u32_e32 vcc_lo, 0, v2
	v_add_nc_u32_e32 v7, 0x1000000, v2
	s_delay_alu instid0(VALU_DEP_3) | instskip(NEXT) | instid1(VALU_DEP_1)
	v_min_u32_e32 v3, 32, v3
	v_sub_nc_u32_e64 v3, v3, 4 clamp
	s_delay_alu instid0(VALU_DEP_1) | instskip(NEXT) | instid1(VALU_DEP_1)
	v_dual_lshlrev_b32 v6, v3, v2 :: v_dual_lshlrev_b32 v3, 23, v3
	v_lshrrev_b32_e32 v6, 4, v6
	s_delay_alu instid0(VALU_DEP_1) | instskip(SKIP_1) | instid1(VALU_DEP_2)
	v_sub_nc_u32_e32 v3, v6, v3
	v_ashrrev_i32_e32 v6, 8, v7
	v_add_nc_u32_e32 v3, 0x3c000000, v3
	s_delay_alu instid0(VALU_DEP_1) | instskip(NEXT) | instid1(VALU_DEP_1)
	v_and_or_b32 v3, 0x7f800000, v6, v3
	v_cndmask_b32_e32 v2, 0, v3, vcc_lo
	s_delay_alu instid0(VALU_DEP_1) | instskip(NEXT) | instid1(VALU_DEP_1)
	v_and_or_b32 v1, 0x80000000, v1, v2
	v_trunc_f32_e32 v1, v1
	s_delay_alu instid0(VALU_DEP_1) | instskip(NEXT) | instid1(VALU_DEP_1)
	v_mul_f32_e64 v2, 0x2f800000, |v1|
	v_floor_f32_e32 v2, v2
	s_delay_alu instid0(VALU_DEP_1) | instskip(SKIP_1) | instid1(VALU_DEP_2)
	v_fma_f32 v2, 0xcf800000, v2, |v1|
	v_ashrrev_i32_e32 v1, 31, v1
	v_cvt_u32_f32_e32 v2, v2
	s_delay_alu instid0(VALU_DEP_1) | instskip(NEXT) | instid1(VALU_DEP_1)
	v_xor_b32_e32 v2, v2, v1
	v_sub_nc_u32_e32 v2, v2, v1
.LBB102_1198:
	s_mov_b32 s35, 0
.LBB102_1199:
	s_delay_alu instid0(SALU_CYCLE_1)
	s_and_not1_b32 vcc_lo, exec_lo, s35
	s_cbranch_vccnz .LBB102_1201
; %bb.1200:
	s_wait_loadcnt 0x0
	global_load_u8 v1, v[4:5], off
	s_wait_loadcnt 0x0
	v_lshlrev_b32_e32 v2, 25, v1
	v_lshlrev_b16 v1, 8, v1
	s_delay_alu instid0(VALU_DEP_1) | instskip(SKIP_1) | instid1(VALU_DEP_2)
	v_and_or_b32 v6, 0x7f00, v1, 0.5
	v_bfe_i32 v1, v1, 0, 16
	v_add_f32_e32 v6, -0.5, v6
	v_lshrrev_b32_e32 v3, 4, v2
	v_cmp_gt_u32_e32 vcc_lo, 0x8000000, v2
	s_delay_alu instid0(VALU_DEP_2) | instskip(NEXT) | instid1(VALU_DEP_1)
	v_or_b32_e32 v3, 0x70000000, v3
	v_mul_f32_e32 v3, 0x7800000, v3
	s_delay_alu instid0(VALU_DEP_1) | instskip(NEXT) | instid1(VALU_DEP_1)
	v_cndmask_b32_e32 v2, v3, v6, vcc_lo
	v_and_or_b32 v1, 0x80000000, v1, v2
	s_delay_alu instid0(VALU_DEP_1) | instskip(NEXT) | instid1(VALU_DEP_1)
	v_trunc_f32_e32 v1, v1
	v_mul_f32_e64 v2, 0x2f800000, |v1|
	s_delay_alu instid0(VALU_DEP_1) | instskip(NEXT) | instid1(VALU_DEP_1)
	v_floor_f32_e32 v2, v2
	v_fma_f32 v2, 0xcf800000, v2, |v1|
	v_ashrrev_i32_e32 v1, 31, v1
	s_delay_alu instid0(VALU_DEP_2) | instskip(NEXT) | instid1(VALU_DEP_1)
	v_cvt_u32_f32_e32 v2, v2
	v_xor_b32_e32 v2, v2, v1
	s_delay_alu instid0(VALU_DEP_1)
	v_sub_nc_u32_e32 v2, v2, v1
.LBB102_1201:
	s_mov_b32 s36, 0
	s_mov_b32 s35, -1
.LBB102_1202:
	s_and_not1_b32 vcc_lo, exec_lo, s36
	s_cbranch_vccnz .LBB102_1215
; %bb.1203:
	s_cmp_gt_i32 s34, 14
	s_cbranch_scc0 .LBB102_1206
; %bb.1204:
	s_cmp_eq_u32 s34, 15
	s_cbranch_scc0 .LBB102_1209
; %bb.1205:
	s_wait_loadcnt 0x0
	global_load_u16 v1, v[4:5], off
	s_mov_b32 s35, -1
	s_mov_b32 s33, 0
	s_wait_loadcnt 0x0
	v_lshlrev_b32_e32 v1, 16, v1
	s_delay_alu instid0(VALU_DEP_1) | instskip(NEXT) | instid1(VALU_DEP_1)
	v_trunc_f32_e32 v1, v1
	v_mul_f32_e64 v2, 0x2f800000, |v1|
	s_delay_alu instid0(VALU_DEP_1) | instskip(NEXT) | instid1(VALU_DEP_1)
	v_floor_f32_e32 v2, v2
	v_fma_f32 v2, 0xcf800000, v2, |v1|
	v_ashrrev_i32_e32 v1, 31, v1
	s_delay_alu instid0(VALU_DEP_2) | instskip(NEXT) | instid1(VALU_DEP_1)
	v_cvt_u32_f32_e32 v2, v2
	v_xor_b32_e32 v2, v2, v1
	s_delay_alu instid0(VALU_DEP_1)
	v_sub_nc_u32_e32 v2, v2, v1
	s_branch .LBB102_1210
.LBB102_1206:
	s_mov_b32 s36, -1
                                        ; implicit-def: $vgpr2
	s_branch .LBB102_1211
.LBB102_1207:
	s_and_not1_saveexec_b32 s35, s35
	s_cbranch_execz .LBB102_1188
.LBB102_1208:
	v_cmp_ne_u16_e32 vcc_lo, 0, v1
	s_and_not1_b32 s36, s36, exec_lo
	s_and_b32 s37, vcc_lo, exec_lo
	s_delay_alu instid0(SALU_CYCLE_1)
	s_or_b32 s36, s36, s37
	s_or_b32 exec_lo, exec_lo, s35
	v_mov_b32_e32 v2, 0
	s_and_saveexec_b32 s35, s36
	s_cbranch_execnz .LBB102_1189
	s_branch .LBB102_1190
.LBB102_1209:
	s_mov_b32 s33, -1
                                        ; implicit-def: $vgpr2
.LBB102_1210:
	s_mov_b32 s36, 0
.LBB102_1211:
	s_delay_alu instid0(SALU_CYCLE_1)
	s_and_b32 vcc_lo, exec_lo, s36
	s_cbranch_vccz .LBB102_1215
; %bb.1212:
	s_cmp_eq_u32 s34, 11
	s_cbranch_scc0 .LBB102_1214
; %bb.1213:
	s_wait_loadcnt 0x0
	global_load_u8 v1, v[4:5], off
	s_mov_b32 s33, 0
	s_mov_b32 s35, -1
	s_wait_loadcnt 0x0
	v_cmp_ne_u16_e32 vcc_lo, 0, v1
	v_cndmask_b32_e64 v2, 0, 1, vcc_lo
	s_branch .LBB102_1215
.LBB102_1214:
	s_mov_b32 s33, -1
                                        ; implicit-def: $vgpr2
.LBB102_1215:
	s_mov_b32 s34, 0
.LBB102_1216:
	s_delay_alu instid0(SALU_CYCLE_1)
	s_and_b32 vcc_lo, exec_lo, s34
	s_cbranch_vccz .LBB102_1265
; %bb.1217:
	s_and_b32 s0, 0xffff, s0
	s_delay_alu instid0(SALU_CYCLE_1)
	s_cmp_lt_i32 s0, 5
	s_cbranch_scc1 .LBB102_1222
; %bb.1218:
	s_cmp_lt_i32 s0, 8
	s_cbranch_scc1 .LBB102_1223
; %bb.1219:
	;; [unrolled: 3-line block ×3, first 2 shown]
	s_cmp_gt_i32 s0, 9
	s_cbranch_scc0 .LBB102_1225
; %bb.1221:
	s_wait_loadcnt 0x0
	global_load_b64 v[2:3], v[4:5], off
	s_mov_b32 s34, 0
	s_wait_loadcnt 0x0
	v_trunc_f64_e32 v[2:3], v[2:3]
	s_delay_alu instid0(VALU_DEP_1) | instskip(NEXT) | instid1(VALU_DEP_1)
	v_ldexp_f64 v[6:7], v[2:3], 0xffffffe0
	v_floor_f64_e32 v[6:7], v[6:7]
	s_delay_alu instid0(VALU_DEP_1) | instskip(NEXT) | instid1(VALU_DEP_1)
	v_fmamk_f64 v[2:3], v[6:7], 0xc1f00000, v[2:3]
	v_cvt_u32_f64_e32 v2, v[2:3]
	s_branch .LBB102_1226
.LBB102_1222:
	s_mov_b32 s34, -1
                                        ; implicit-def: $vgpr2
	s_branch .LBB102_1244
.LBB102_1223:
	s_mov_b32 s34, -1
                                        ; implicit-def: $vgpr2
	s_branch .LBB102_1232
.LBB102_1224:
	s_mov_b32 s34, -1
                                        ; implicit-def: $vgpr2
	s_branch .LBB102_1229
.LBB102_1225:
	s_mov_b32 s34, -1
                                        ; implicit-def: $vgpr2
.LBB102_1226:
	s_delay_alu instid0(SALU_CYCLE_1)
	s_and_not1_b32 vcc_lo, exec_lo, s34
	s_cbranch_vccnz .LBB102_1228
; %bb.1227:
	s_wait_loadcnt 0x0
	global_load_b32 v1, v[4:5], off
	s_wait_loadcnt 0x0
	v_trunc_f32_e32 v1, v1
	s_delay_alu instid0(VALU_DEP_1) | instskip(NEXT) | instid1(VALU_DEP_1)
	v_mul_f32_e64 v2, 0x2f800000, |v1|
	v_floor_f32_e32 v2, v2
	s_delay_alu instid0(VALU_DEP_1) | instskip(SKIP_1) | instid1(VALU_DEP_2)
	v_fma_f32 v2, 0xcf800000, v2, |v1|
	v_ashrrev_i32_e32 v1, 31, v1
	v_cvt_u32_f32_e32 v2, v2
	s_delay_alu instid0(VALU_DEP_1) | instskip(NEXT) | instid1(VALU_DEP_1)
	v_xor_b32_e32 v2, v2, v1
	v_sub_nc_u32_e32 v2, v2, v1
.LBB102_1228:
	s_mov_b32 s34, 0
.LBB102_1229:
	s_delay_alu instid0(SALU_CYCLE_1)
	s_and_not1_b32 vcc_lo, exec_lo, s34
	s_cbranch_vccnz .LBB102_1231
; %bb.1230:
	s_wait_loadcnt 0x0
	global_load_b32 v1, v[4:5], off
	s_wait_loadcnt 0x0
	v_cvt_f32_f16_e32 v1, v1
	s_delay_alu instid0(VALU_DEP_1)
	v_cvt_i32_f32_e32 v2, v1
.LBB102_1231:
	s_mov_b32 s34, 0
.LBB102_1232:
	s_delay_alu instid0(SALU_CYCLE_1)
	s_and_not1_b32 vcc_lo, exec_lo, s34
	s_cbranch_vccnz .LBB102_1243
; %bb.1233:
	s_cmp_lt_i32 s0, 6
	s_cbranch_scc1 .LBB102_1236
; %bb.1234:
	s_cmp_gt_i32 s0, 6
	s_cbranch_scc0 .LBB102_1237
; %bb.1235:
	s_wait_loadcnt 0x0
	global_load_b64 v[2:3], v[4:5], off
	s_mov_b32 s34, 0
	s_wait_loadcnt 0x0
	v_trunc_f64_e32 v[2:3], v[2:3]
	s_delay_alu instid0(VALU_DEP_1) | instskip(NEXT) | instid1(VALU_DEP_1)
	v_ldexp_f64 v[6:7], v[2:3], 0xffffffe0
	v_floor_f64_e32 v[6:7], v[6:7]
	s_delay_alu instid0(VALU_DEP_1) | instskip(NEXT) | instid1(VALU_DEP_1)
	v_fmamk_f64 v[2:3], v[6:7], 0xc1f00000, v[2:3]
	v_cvt_u32_f64_e32 v2, v[2:3]
	s_branch .LBB102_1238
.LBB102_1236:
	s_mov_b32 s34, -1
                                        ; implicit-def: $vgpr2
	s_branch .LBB102_1241
.LBB102_1237:
	s_mov_b32 s34, -1
                                        ; implicit-def: $vgpr2
.LBB102_1238:
	s_delay_alu instid0(SALU_CYCLE_1)
	s_and_not1_b32 vcc_lo, exec_lo, s34
	s_cbranch_vccnz .LBB102_1240
; %bb.1239:
	s_wait_loadcnt 0x0
	global_load_b32 v1, v[4:5], off
	s_wait_loadcnt 0x0
	v_trunc_f32_e32 v1, v1
	s_delay_alu instid0(VALU_DEP_1) | instskip(NEXT) | instid1(VALU_DEP_1)
	v_mul_f32_e64 v2, 0x2f800000, |v1|
	v_floor_f32_e32 v2, v2
	s_delay_alu instid0(VALU_DEP_1) | instskip(SKIP_1) | instid1(VALU_DEP_2)
	v_fma_f32 v2, 0xcf800000, v2, |v1|
	v_ashrrev_i32_e32 v1, 31, v1
	v_cvt_u32_f32_e32 v2, v2
	s_delay_alu instid0(VALU_DEP_1) | instskip(NEXT) | instid1(VALU_DEP_1)
	v_xor_b32_e32 v2, v2, v1
	v_sub_nc_u32_e32 v2, v2, v1
.LBB102_1240:
	s_mov_b32 s34, 0
.LBB102_1241:
	s_delay_alu instid0(SALU_CYCLE_1)
	s_and_not1_b32 vcc_lo, exec_lo, s34
	s_cbranch_vccnz .LBB102_1243
; %bb.1242:
	s_wait_loadcnt 0x0
	global_load_u16 v1, v[4:5], off
	s_wait_loadcnt 0x0
	v_cvt_f32_f16_e32 v1, v1
	s_delay_alu instid0(VALU_DEP_1)
	v_cvt_i32_f32_e32 v2, v1
.LBB102_1243:
	s_mov_b32 s34, 0
.LBB102_1244:
	s_delay_alu instid0(SALU_CYCLE_1)
	s_and_not1_b32 vcc_lo, exec_lo, s34
	s_cbranch_vccnz .LBB102_1264
; %bb.1245:
	s_cmp_lt_i32 s0, 2
	s_cbranch_scc1 .LBB102_1249
; %bb.1246:
	s_cmp_lt_i32 s0, 3
	s_cbranch_scc1 .LBB102_1250
; %bb.1247:
	s_cmp_gt_i32 s0, 3
	s_cbranch_scc0 .LBB102_1251
; %bb.1248:
	s_wait_loadcnt 0x0
	global_load_b64 v[2:3], v[4:5], off
	s_mov_b32 s34, 0
	s_branch .LBB102_1252
.LBB102_1249:
	s_mov_b32 s34, -1
                                        ; implicit-def: $vgpr2
	s_branch .LBB102_1258
.LBB102_1250:
	s_mov_b32 s34, -1
                                        ; implicit-def: $vgpr2
	s_branch .LBB102_1255
.LBB102_1251:
	s_mov_b32 s34, -1
                                        ; implicit-def: $vgpr2
.LBB102_1252:
	s_delay_alu instid0(SALU_CYCLE_1)
	s_and_not1_b32 vcc_lo, exec_lo, s34
	s_cbranch_vccnz .LBB102_1254
; %bb.1253:
	s_wait_loadcnt 0x0
	global_load_b32 v2, v[4:5], off
.LBB102_1254:
	s_mov_b32 s34, 0
.LBB102_1255:
	s_delay_alu instid0(SALU_CYCLE_1)
	s_and_not1_b32 vcc_lo, exec_lo, s34
	s_cbranch_vccnz .LBB102_1257
; %bb.1256:
	s_wait_loadcnt 0x0
	global_load_u16 v2, v[4:5], off
.LBB102_1257:
	s_mov_b32 s34, 0
.LBB102_1258:
	s_delay_alu instid0(SALU_CYCLE_1)
	s_and_not1_b32 vcc_lo, exec_lo, s34
	s_cbranch_vccnz .LBB102_1264
; %bb.1259:
	s_cmp_gt_i32 s0, 0
	s_mov_b32 s0, 0
	s_cbranch_scc0 .LBB102_1261
; %bb.1260:
	s_wait_loadcnt 0x0
	global_load_u8 v2, v[4:5], off
	s_branch .LBB102_1262
.LBB102_1261:
	s_mov_b32 s0, -1
                                        ; implicit-def: $vgpr2
.LBB102_1262:
	s_delay_alu instid0(SALU_CYCLE_1)
	s_and_not1_b32 vcc_lo, exec_lo, s0
	s_cbranch_vccnz .LBB102_1264
; %bb.1263:
	s_wait_loadcnt 0x0
	global_load_u8 v2, v[4:5], off
.LBB102_1264:
	s_mov_b32 s35, -1
.LBB102_1265:
	s_delay_alu instid0(SALU_CYCLE_1)
	s_and_not1_b32 vcc_lo, exec_lo, s35
	s_cbranch_vccnz .LBB102_1273
; %bb.1266:
	s_wait_xcnt 0x0
	v_mul_lo_u32 v4, v26, s15
	s_and_b32 s0, 0xffff, s1
	s_delay_alu instid0(SALU_CYCLE_1) | instskip(NEXT) | instid1(VALU_DEP_1)
	s_cmp_lt_i32 s0, 11
	v_ashrrev_i32_e32 v5, 31, v4
	s_delay_alu instid0(VALU_DEP_1)
	v_add_nc_u64_e32 v[4:5], s[10:11], v[4:5]
	s_cbranch_scc1 .LBB102_1274
; %bb.1267:
	s_cmp_gt_i32 s0, 25
	s_cbranch_scc0 .LBB102_1275
; %bb.1268:
	s_cmp_gt_i32 s0, 28
	s_cbranch_scc0 .LBB102_1276
	;; [unrolled: 3-line block ×4, first 2 shown]
; %bb.1271:
	s_cmp_eq_u32 s0, 46
	s_mov_b32 s36, 0
	s_cbranch_scc0 .LBB102_1281
; %bb.1272:
	s_wait_loadcnt 0x0
	global_load_b32 v1, v[4:5], off
	s_mov_b32 s35, -1
	s_mov_b32 s34, 0
	s_wait_loadcnt 0x0
	v_lshlrev_b32_e32 v1, 16, v1
	s_delay_alu instid0(VALU_DEP_1) | instskip(NEXT) | instid1(VALU_DEP_1)
	v_trunc_f32_e32 v1, v1
	v_mul_f32_e64 v3, 0x2f800000, |v1|
	s_delay_alu instid0(VALU_DEP_1) | instskip(NEXT) | instid1(VALU_DEP_1)
	v_floor_f32_e32 v3, v3
	v_fma_f32 v3, 0xcf800000, v3, |v1|
	v_ashrrev_i32_e32 v1, 31, v1
	s_delay_alu instid0(VALU_DEP_2) | instskip(NEXT) | instid1(VALU_DEP_1)
	v_cvt_u32_f32_e32 v3, v3
	v_xor_b32_e32 v3, v3, v1
	s_delay_alu instid0(VALU_DEP_1)
	v_sub_nc_u32_e32 v6, v3, v1
	s_branch .LBB102_1283
.LBB102_1273:
	s_mov_b32 s36, 0
	s_mov_b32 s0, s26
	;; [unrolled: 1-line block ×3, first 2 shown]
	s_branch .LBB102_1518
.LBB102_1274:
	s_mov_b32 s36, -1
	s_mov_b32 s35, 0
	s_mov_b32 s34, s27
                                        ; implicit-def: $vgpr6
	s_branch .LBB102_1344
.LBB102_1275:
	s_mov_b32 s36, -1
	s_mov_b32 s35, 0
	s_mov_b32 s34, s27
                                        ; implicit-def: $vgpr6
	s_branch .LBB102_1310
.LBB102_1276:
	s_mov_b32 s36, -1
	s_mov_b32 s35, 0
	s_mov_b32 s34, s27
                                        ; implicit-def: $vgpr6
	s_branch .LBB102_1293
.LBB102_1277:
	s_mov_b32 s36, -1
	s_mov_b32 s35, 0
	s_mov_b32 s34, s27
                                        ; implicit-def: $vgpr6
	s_branch .LBB102_1288
.LBB102_1278:
	s_mov_b32 s36, -1
	s_mov_b32 s35, 0
	s_mov_b32 s34, s27
	s_branch .LBB102_1282
.LBB102_1279:
	s_and_not1_saveexec_b32 s34, s34
	s_cbranch_execz .LBB102_932
.LBB102_1280:
	v_add_f32_e32 v2, 0x42800000, v3
	s_and_not1_b32 s33, s33, exec_lo
	s_delay_alu instid0(VALU_DEP_1) | instskip(NEXT) | instid1(VALU_DEP_1)
	v_and_b32_e32 v2, 0xff, v2
	v_cmp_ne_u32_e32 vcc_lo, 0, v2
	s_and_b32 s35, vcc_lo, exec_lo
	s_delay_alu instid0(SALU_CYCLE_1)
	s_or_b32 s33, s33, s35
	s_or_b32 exec_lo, exec_lo, s34
	v_mov_b32_e32 v5, 0
	s_and_saveexec_b32 s34, s33
	s_cbranch_execnz .LBB102_933
	s_branch .LBB102_934
.LBB102_1281:
	s_mov_b32 s34, -1
	s_mov_b32 s35, 0
.LBB102_1282:
                                        ; implicit-def: $vgpr6
.LBB102_1283:
	s_and_b32 vcc_lo, exec_lo, s36
	s_cbranch_vccz .LBB102_1287
; %bb.1284:
	s_cmp_eq_u32 s0, 44
	s_cbranch_scc0 .LBB102_1286
; %bb.1285:
	s_wait_loadcnt 0x0
	global_load_u8 v1, v[4:5], off
	s_mov_b32 s34, 0
	s_mov_b32 s35, -1
	s_wait_loadcnt 0x0
	v_lshlrev_b32_e32 v3, 23, v1
	v_cmp_ne_u32_e32 vcc_lo, 0, v1
	s_delay_alu instid0(VALU_DEP_2) | instskip(NEXT) | instid1(VALU_DEP_1)
	v_trunc_f32_e32 v3, v3
	v_mul_f32_e64 v6, 0x2f800000, |v3|
	s_delay_alu instid0(VALU_DEP_1) | instskip(NEXT) | instid1(VALU_DEP_1)
	v_floor_f32_e32 v6, v6
	v_fma_f32 v6, 0xcf800000, v6, |v3|
	v_ashrrev_i32_e32 v3, 31, v3
	s_delay_alu instid0(VALU_DEP_2) | instskip(NEXT) | instid1(VALU_DEP_1)
	v_cvt_u32_f32_e32 v6, v6
	v_xor_b32_e32 v6, v6, v3
	s_delay_alu instid0(VALU_DEP_1) | instskip(NEXT) | instid1(VALU_DEP_1)
	v_sub_nc_u32_e32 v3, v6, v3
	v_cndmask_b32_e32 v6, 0, v3, vcc_lo
	s_branch .LBB102_1287
.LBB102_1286:
	s_mov_b32 s34, -1
                                        ; implicit-def: $vgpr6
.LBB102_1287:
	s_mov_b32 s36, 0
.LBB102_1288:
	s_delay_alu instid0(SALU_CYCLE_1)
	s_and_b32 vcc_lo, exec_lo, s36
	s_cbranch_vccz .LBB102_1292
; %bb.1289:
	s_cmp_eq_u32 s0, 29
	s_cbranch_scc0 .LBB102_1291
; %bb.1290:
	global_load_b64 v[6:7], v[4:5], off
	s_mov_b32 s35, -1
	s_mov_b32 s34, 0
	s_branch .LBB102_1292
.LBB102_1291:
	s_mov_b32 s34, -1
                                        ; implicit-def: $vgpr6
.LBB102_1292:
	s_mov_b32 s36, 0
.LBB102_1293:
	s_delay_alu instid0(SALU_CYCLE_1)
	s_and_b32 vcc_lo, exec_lo, s36
	s_cbranch_vccz .LBB102_1309
; %bb.1294:
	s_cmp_lt_i32 s0, 27
	s_cbranch_scc1 .LBB102_1297
; %bb.1295:
	s_cmp_gt_i32 s0, 27
	s_cbranch_scc0 .LBB102_1298
; %bb.1296:
	s_wait_loadcnt 0x0
	global_load_b32 v6, v[4:5], off
	s_mov_b32 s35, 0
	s_branch .LBB102_1299
.LBB102_1297:
	s_mov_b32 s35, -1
                                        ; implicit-def: $vgpr6
	s_branch .LBB102_1302
.LBB102_1298:
	s_mov_b32 s35, -1
                                        ; implicit-def: $vgpr6
.LBB102_1299:
	s_delay_alu instid0(SALU_CYCLE_1)
	s_and_not1_b32 vcc_lo, exec_lo, s35
	s_cbranch_vccnz .LBB102_1301
; %bb.1300:
	s_wait_loadcnt 0x0
	global_load_u16 v6, v[4:5], off
.LBB102_1301:
	s_mov_b32 s35, 0
.LBB102_1302:
	s_delay_alu instid0(SALU_CYCLE_1)
	s_and_not1_b32 vcc_lo, exec_lo, s35
	s_cbranch_vccnz .LBB102_1308
; %bb.1303:
	s_wait_loadcnt 0x0
	global_load_u8 v1, v[4:5], off
	s_mov_b32 s36, 0
	s_mov_b32 s35, exec_lo
	s_wait_loadcnt 0x0
	v_cmpx_lt_i16_e32 0x7f, v1
	s_xor_b32 s35, exec_lo, s35
	s_cbranch_execz .LBB102_1320
; %bb.1304:
	v_cmp_ne_u16_e32 vcc_lo, 0x80, v1
	s_and_b32 s36, vcc_lo, exec_lo
	s_and_not1_saveexec_b32 s35, s35
	s_cbranch_execnz .LBB102_1321
.LBB102_1305:
	s_or_b32 exec_lo, exec_lo, s35
	v_mov_b32_e32 v6, 0
	s_and_saveexec_b32 s35, s36
	s_cbranch_execz .LBB102_1307
.LBB102_1306:
	v_and_b32_e32 v3, 0xffff, v1
	s_delay_alu instid0(VALU_DEP_1) | instskip(SKIP_1) | instid1(VALU_DEP_2)
	v_dual_lshlrev_b32 v1, 24, v1 :: v_dual_bitop2_b32 v6, 7, v3 bitop3:0x40
	v_bfe_u32 v9, v3, 3, 4
	v_and_b32_e32 v1, 0x80000000, v1
	s_delay_alu instid0(VALU_DEP_3) | instskip(NEXT) | instid1(VALU_DEP_3)
	v_clz_i32_u32_e32 v7, v6
	v_cmp_eq_u32_e32 vcc_lo, 0, v9
	s_delay_alu instid0(VALU_DEP_2) | instskip(NEXT) | instid1(VALU_DEP_1)
	v_min_u32_e32 v7, 32, v7
	v_subrev_nc_u32_e32 v8, 28, v7
	v_sub_nc_u32_e32 v7, 29, v7
	s_delay_alu instid0(VALU_DEP_2) | instskip(NEXT) | instid1(VALU_DEP_2)
	v_lshlrev_b32_e32 v3, v8, v3
	v_cndmask_b32_e32 v7, v9, v7, vcc_lo
	s_delay_alu instid0(VALU_DEP_2) | instskip(NEXT) | instid1(VALU_DEP_1)
	v_and_b32_e32 v3, 7, v3
	v_cndmask_b32_e32 v3, v6, v3, vcc_lo
	s_delay_alu instid0(VALU_DEP_3) | instskip(NEXT) | instid1(VALU_DEP_2)
	v_lshl_add_u32 v6, v7, 23, 0x3b800000
	v_lshlrev_b32_e32 v3, 20, v3
	s_delay_alu instid0(VALU_DEP_1) | instskip(NEXT) | instid1(VALU_DEP_1)
	v_or3_b32 v1, v1, v6, v3
	v_trunc_f32_e32 v1, v1
	s_delay_alu instid0(VALU_DEP_1) | instskip(NEXT) | instid1(VALU_DEP_1)
	v_mul_f32_e64 v3, 0x2f800000, |v1|
	v_floor_f32_e32 v3, v3
	s_delay_alu instid0(VALU_DEP_1) | instskip(SKIP_1) | instid1(VALU_DEP_2)
	v_fma_f32 v3, 0xcf800000, v3, |v1|
	v_ashrrev_i32_e32 v1, 31, v1
	v_cvt_u32_f32_e32 v3, v3
	s_delay_alu instid0(VALU_DEP_1) | instskip(NEXT) | instid1(VALU_DEP_1)
	v_xor_b32_e32 v3, v3, v1
	v_sub_nc_u32_e32 v6, v3, v1
.LBB102_1307:
	s_or_b32 exec_lo, exec_lo, s35
.LBB102_1308:
	s_mov_b32 s35, -1
.LBB102_1309:
	s_mov_b32 s36, 0
.LBB102_1310:
	s_delay_alu instid0(SALU_CYCLE_1)
	s_and_b32 vcc_lo, exec_lo, s36
	s_cbranch_vccz .LBB102_1343
; %bb.1311:
	s_cmp_gt_i32 s0, 22
	s_cbranch_scc0 .LBB102_1319
; %bb.1312:
	s_cmp_lt_i32 s0, 24
	s_cbranch_scc1 .LBB102_1322
; %bb.1313:
	s_cmp_gt_i32 s0, 24
	s_cbranch_scc0 .LBB102_1323
; %bb.1314:
	s_wait_loadcnt 0x0
	global_load_u8 v1, v[4:5], off
	s_mov_b32 s36, 0
	s_mov_b32 s35, exec_lo
	s_wait_loadcnt 0x0
	v_cmpx_lt_i16_e32 0x7f, v1
	s_xor_b32 s35, exec_lo, s35
	s_cbranch_execz .LBB102_1335
; %bb.1315:
	v_cmp_ne_u16_e32 vcc_lo, 0x80, v1
	s_and_b32 s36, vcc_lo, exec_lo
	s_and_not1_saveexec_b32 s35, s35
	s_cbranch_execnz .LBB102_1336
.LBB102_1316:
	s_or_b32 exec_lo, exec_lo, s35
	v_mov_b32_e32 v6, 0
	s_and_saveexec_b32 s35, s36
	s_cbranch_execz .LBB102_1318
.LBB102_1317:
	v_and_b32_e32 v3, 0xffff, v1
	s_delay_alu instid0(VALU_DEP_1) | instskip(SKIP_1) | instid1(VALU_DEP_2)
	v_dual_lshlrev_b32 v1, 24, v1 :: v_dual_bitop2_b32 v6, 3, v3 bitop3:0x40
	v_bfe_u32 v9, v3, 2, 5
	v_and_b32_e32 v1, 0x80000000, v1
	s_delay_alu instid0(VALU_DEP_3) | instskip(NEXT) | instid1(VALU_DEP_3)
	v_clz_i32_u32_e32 v7, v6
	v_cmp_eq_u32_e32 vcc_lo, 0, v9
	s_delay_alu instid0(VALU_DEP_2) | instskip(NEXT) | instid1(VALU_DEP_1)
	v_min_u32_e32 v7, 32, v7
	v_subrev_nc_u32_e32 v8, 29, v7
	v_sub_nc_u32_e32 v7, 30, v7
	s_delay_alu instid0(VALU_DEP_2) | instskip(NEXT) | instid1(VALU_DEP_2)
	v_lshlrev_b32_e32 v3, v8, v3
	v_cndmask_b32_e32 v7, v9, v7, vcc_lo
	s_delay_alu instid0(VALU_DEP_2) | instskip(NEXT) | instid1(VALU_DEP_1)
	v_and_b32_e32 v3, 3, v3
	v_cndmask_b32_e32 v3, v6, v3, vcc_lo
	s_delay_alu instid0(VALU_DEP_3) | instskip(NEXT) | instid1(VALU_DEP_2)
	v_lshl_add_u32 v6, v7, 23, 0x37800000
	v_lshlrev_b32_e32 v3, 21, v3
	s_delay_alu instid0(VALU_DEP_1) | instskip(NEXT) | instid1(VALU_DEP_1)
	v_or3_b32 v1, v1, v6, v3
	v_trunc_f32_e32 v1, v1
	s_delay_alu instid0(VALU_DEP_1) | instskip(NEXT) | instid1(VALU_DEP_1)
	v_mul_f32_e64 v3, 0x2f800000, |v1|
	v_floor_f32_e32 v3, v3
	s_delay_alu instid0(VALU_DEP_1) | instskip(SKIP_1) | instid1(VALU_DEP_2)
	v_fma_f32 v3, 0xcf800000, v3, |v1|
	v_ashrrev_i32_e32 v1, 31, v1
	v_cvt_u32_f32_e32 v3, v3
	s_delay_alu instid0(VALU_DEP_1) | instskip(NEXT) | instid1(VALU_DEP_1)
	v_xor_b32_e32 v3, v3, v1
	v_sub_nc_u32_e32 v6, v3, v1
.LBB102_1318:
	s_or_b32 exec_lo, exec_lo, s35
	s_mov_b32 s35, 0
	s_branch .LBB102_1324
.LBB102_1319:
	s_mov_b32 s36, -1
                                        ; implicit-def: $vgpr6
	s_branch .LBB102_1330
.LBB102_1320:
	s_and_not1_saveexec_b32 s35, s35
	s_cbranch_execz .LBB102_1305
.LBB102_1321:
	v_cmp_ne_u16_e32 vcc_lo, 0, v1
	s_and_not1_b32 s36, s36, exec_lo
	s_and_b32 s37, vcc_lo, exec_lo
	s_delay_alu instid0(SALU_CYCLE_1)
	s_or_b32 s36, s36, s37
	s_or_b32 exec_lo, exec_lo, s35
	v_mov_b32_e32 v6, 0
	s_and_saveexec_b32 s35, s36
	s_cbranch_execnz .LBB102_1306
	s_branch .LBB102_1307
.LBB102_1322:
	s_mov_b32 s35, -1
                                        ; implicit-def: $vgpr6
	s_branch .LBB102_1327
.LBB102_1323:
	s_mov_b32 s35, -1
                                        ; implicit-def: $vgpr6
.LBB102_1324:
	s_delay_alu instid0(SALU_CYCLE_1)
	s_and_b32 vcc_lo, exec_lo, s35
	s_cbranch_vccz .LBB102_1326
; %bb.1325:
	s_wait_loadcnt 0x0
	global_load_u8 v1, v[4:5], off
	s_wait_loadcnt 0x0
	v_lshlrev_b32_e32 v1, 24, v1
	s_delay_alu instid0(VALU_DEP_1) | instskip(NEXT) | instid1(VALU_DEP_1)
	v_and_b32_e32 v3, 0x7f000000, v1
	v_clz_i32_u32_e32 v6, v3
	v_cmp_ne_u32_e32 vcc_lo, 0, v3
	v_add_nc_u32_e32 v8, 0x1000000, v3
	s_delay_alu instid0(VALU_DEP_3) | instskip(NEXT) | instid1(VALU_DEP_1)
	v_min_u32_e32 v6, 32, v6
	v_sub_nc_u32_e64 v6, v6, 4 clamp
	s_delay_alu instid0(VALU_DEP_1) | instskip(NEXT) | instid1(VALU_DEP_1)
	v_dual_lshlrev_b32 v7, v6, v3 :: v_dual_lshlrev_b32 v6, 23, v6
	v_lshrrev_b32_e32 v7, 4, v7
	s_delay_alu instid0(VALU_DEP_1) | instskip(NEXT) | instid1(VALU_DEP_1)
	v_dual_sub_nc_u32 v6, v7, v6 :: v_dual_ashrrev_i32 v7, 8, v8
	v_add_nc_u32_e32 v6, 0x3c000000, v6
	s_delay_alu instid0(VALU_DEP_1) | instskip(NEXT) | instid1(VALU_DEP_1)
	v_and_or_b32 v6, 0x7f800000, v7, v6
	v_cndmask_b32_e32 v3, 0, v6, vcc_lo
	s_delay_alu instid0(VALU_DEP_1) | instskip(NEXT) | instid1(VALU_DEP_1)
	v_and_or_b32 v1, 0x80000000, v1, v3
	v_trunc_f32_e32 v1, v1
	s_delay_alu instid0(VALU_DEP_1) | instskip(NEXT) | instid1(VALU_DEP_1)
	v_mul_f32_e64 v3, 0x2f800000, |v1|
	v_floor_f32_e32 v3, v3
	s_delay_alu instid0(VALU_DEP_1) | instskip(SKIP_1) | instid1(VALU_DEP_2)
	v_fma_f32 v3, 0xcf800000, v3, |v1|
	v_ashrrev_i32_e32 v1, 31, v1
	v_cvt_u32_f32_e32 v3, v3
	s_delay_alu instid0(VALU_DEP_1) | instskip(NEXT) | instid1(VALU_DEP_1)
	v_xor_b32_e32 v3, v3, v1
	v_sub_nc_u32_e32 v6, v3, v1
.LBB102_1326:
	s_mov_b32 s35, 0
.LBB102_1327:
	s_delay_alu instid0(SALU_CYCLE_1)
	s_and_not1_b32 vcc_lo, exec_lo, s35
	s_cbranch_vccnz .LBB102_1329
; %bb.1328:
	s_wait_loadcnt 0x0
	global_load_u8 v1, v[4:5], off
	s_wait_loadcnt 0x0
	v_lshlrev_b32_e32 v3, 25, v1
	v_lshlrev_b16 v1, 8, v1
	s_delay_alu instid0(VALU_DEP_1) | instskip(SKIP_1) | instid1(VALU_DEP_2)
	v_and_or_b32 v7, 0x7f00, v1, 0.5
	v_bfe_i32 v1, v1, 0, 16
	v_add_f32_e32 v7, -0.5, v7
	v_lshrrev_b32_e32 v6, 4, v3
	v_cmp_gt_u32_e32 vcc_lo, 0x8000000, v3
	s_delay_alu instid0(VALU_DEP_2) | instskip(NEXT) | instid1(VALU_DEP_1)
	v_or_b32_e32 v6, 0x70000000, v6
	v_mul_f32_e32 v6, 0x7800000, v6
	s_delay_alu instid0(VALU_DEP_1) | instskip(NEXT) | instid1(VALU_DEP_1)
	v_cndmask_b32_e32 v3, v6, v7, vcc_lo
	v_and_or_b32 v1, 0x80000000, v1, v3
	s_delay_alu instid0(VALU_DEP_1) | instskip(NEXT) | instid1(VALU_DEP_1)
	v_trunc_f32_e32 v1, v1
	v_mul_f32_e64 v3, 0x2f800000, |v1|
	s_delay_alu instid0(VALU_DEP_1) | instskip(NEXT) | instid1(VALU_DEP_1)
	v_floor_f32_e32 v3, v3
	v_fma_f32 v3, 0xcf800000, v3, |v1|
	v_ashrrev_i32_e32 v1, 31, v1
	s_delay_alu instid0(VALU_DEP_2) | instskip(NEXT) | instid1(VALU_DEP_1)
	v_cvt_u32_f32_e32 v3, v3
	v_xor_b32_e32 v3, v3, v1
	s_delay_alu instid0(VALU_DEP_1)
	v_sub_nc_u32_e32 v6, v3, v1
.LBB102_1329:
	s_mov_b32 s36, 0
	s_mov_b32 s35, -1
.LBB102_1330:
	s_and_not1_b32 vcc_lo, exec_lo, s36
	s_cbranch_vccnz .LBB102_1343
; %bb.1331:
	s_cmp_gt_i32 s0, 14
	s_cbranch_scc0 .LBB102_1334
; %bb.1332:
	s_cmp_eq_u32 s0, 15
	s_cbranch_scc0 .LBB102_1337
; %bb.1333:
	s_wait_loadcnt 0x0
	global_load_u16 v1, v[4:5], off
	s_mov_b32 s35, -1
	s_mov_b32 s34, 0
	s_wait_loadcnt 0x0
	v_lshlrev_b32_e32 v1, 16, v1
	s_delay_alu instid0(VALU_DEP_1) | instskip(NEXT) | instid1(VALU_DEP_1)
	v_trunc_f32_e32 v1, v1
	v_mul_f32_e64 v3, 0x2f800000, |v1|
	s_delay_alu instid0(VALU_DEP_1) | instskip(NEXT) | instid1(VALU_DEP_1)
	v_floor_f32_e32 v3, v3
	v_fma_f32 v3, 0xcf800000, v3, |v1|
	v_ashrrev_i32_e32 v1, 31, v1
	s_delay_alu instid0(VALU_DEP_2) | instskip(NEXT) | instid1(VALU_DEP_1)
	v_cvt_u32_f32_e32 v3, v3
	v_xor_b32_e32 v3, v3, v1
	s_delay_alu instid0(VALU_DEP_1)
	v_sub_nc_u32_e32 v6, v3, v1
	s_branch .LBB102_1338
.LBB102_1334:
	s_mov_b32 s36, -1
                                        ; implicit-def: $vgpr6
	s_branch .LBB102_1339
.LBB102_1335:
	s_and_not1_saveexec_b32 s35, s35
	s_cbranch_execz .LBB102_1316
.LBB102_1336:
	v_cmp_ne_u16_e32 vcc_lo, 0, v1
	s_and_not1_b32 s36, s36, exec_lo
	s_and_b32 s37, vcc_lo, exec_lo
	s_delay_alu instid0(SALU_CYCLE_1)
	s_or_b32 s36, s36, s37
	s_or_b32 exec_lo, exec_lo, s35
	v_mov_b32_e32 v6, 0
	s_and_saveexec_b32 s35, s36
	s_cbranch_execnz .LBB102_1317
	s_branch .LBB102_1318
.LBB102_1337:
	s_mov_b32 s34, -1
                                        ; implicit-def: $vgpr6
.LBB102_1338:
	s_mov_b32 s36, 0
.LBB102_1339:
	s_delay_alu instid0(SALU_CYCLE_1)
	s_and_b32 vcc_lo, exec_lo, s36
	s_cbranch_vccz .LBB102_1343
; %bb.1340:
	s_cmp_eq_u32 s0, 11
	s_cbranch_scc0 .LBB102_1342
; %bb.1341:
	s_wait_loadcnt 0x0
	global_load_u8 v1, v[4:5], off
	s_mov_b32 s34, 0
	s_mov_b32 s35, -1
	s_wait_loadcnt 0x0
	v_cmp_ne_u16_e32 vcc_lo, 0, v1
	v_cndmask_b32_e64 v6, 0, 1, vcc_lo
	s_branch .LBB102_1343
.LBB102_1342:
	s_mov_b32 s34, -1
                                        ; implicit-def: $vgpr6
.LBB102_1343:
	s_mov_b32 s36, 0
.LBB102_1344:
	s_delay_alu instid0(SALU_CYCLE_1)
	s_and_b32 vcc_lo, exec_lo, s36
	s_cbranch_vccz .LBB102_1393
; %bb.1345:
	s_cmp_lt_i32 s0, 5
	s_cbranch_scc1 .LBB102_1350
; %bb.1346:
	s_cmp_lt_i32 s0, 8
	s_cbranch_scc1 .LBB102_1351
	;; [unrolled: 3-line block ×3, first 2 shown]
; %bb.1348:
	s_cmp_gt_i32 s0, 9
	s_cbranch_scc0 .LBB102_1353
; %bb.1349:
	s_wait_loadcnt 0x0
	global_load_b64 v[6:7], v[4:5], off
	s_mov_b32 s35, 0
	s_wait_loadcnt 0x0
	v_trunc_f64_e32 v[6:7], v[6:7]
	s_delay_alu instid0(VALU_DEP_1) | instskip(NEXT) | instid1(VALU_DEP_1)
	v_ldexp_f64 v[8:9], v[6:7], 0xffffffe0
	v_floor_f64_e32 v[8:9], v[8:9]
	s_delay_alu instid0(VALU_DEP_1) | instskip(NEXT) | instid1(VALU_DEP_1)
	v_fmamk_f64 v[6:7], v[8:9], 0xc1f00000, v[6:7]
	v_cvt_u32_f64_e32 v6, v[6:7]
	s_branch .LBB102_1354
.LBB102_1350:
	s_mov_b32 s35, -1
                                        ; implicit-def: $vgpr6
	s_branch .LBB102_1372
.LBB102_1351:
	s_mov_b32 s35, -1
                                        ; implicit-def: $vgpr6
	s_branch .LBB102_1360
.LBB102_1352:
	s_mov_b32 s35, -1
                                        ; implicit-def: $vgpr6
	s_branch .LBB102_1357
.LBB102_1353:
	s_mov_b32 s35, -1
                                        ; implicit-def: $vgpr6
.LBB102_1354:
	s_delay_alu instid0(SALU_CYCLE_1)
	s_and_not1_b32 vcc_lo, exec_lo, s35
	s_cbranch_vccnz .LBB102_1356
; %bb.1355:
	s_wait_loadcnt 0x0
	global_load_b32 v1, v[4:5], off
	s_wait_loadcnt 0x0
	v_trunc_f32_e32 v1, v1
	s_delay_alu instid0(VALU_DEP_1) | instskip(NEXT) | instid1(VALU_DEP_1)
	v_mul_f32_e64 v3, 0x2f800000, |v1|
	v_floor_f32_e32 v3, v3
	s_delay_alu instid0(VALU_DEP_1) | instskip(SKIP_1) | instid1(VALU_DEP_2)
	v_fma_f32 v3, 0xcf800000, v3, |v1|
	v_ashrrev_i32_e32 v1, 31, v1
	v_cvt_u32_f32_e32 v3, v3
	s_delay_alu instid0(VALU_DEP_1) | instskip(NEXT) | instid1(VALU_DEP_1)
	v_xor_b32_e32 v3, v3, v1
	v_sub_nc_u32_e32 v6, v3, v1
.LBB102_1356:
	s_mov_b32 s35, 0
.LBB102_1357:
	s_delay_alu instid0(SALU_CYCLE_1)
	s_and_not1_b32 vcc_lo, exec_lo, s35
	s_cbranch_vccnz .LBB102_1359
; %bb.1358:
	s_wait_loadcnt 0x0
	global_load_b32 v1, v[4:5], off
	s_wait_loadcnt 0x0
	v_cvt_f32_f16_e32 v1, v1
	s_delay_alu instid0(VALU_DEP_1)
	v_cvt_i32_f32_e32 v6, v1
.LBB102_1359:
	s_mov_b32 s35, 0
.LBB102_1360:
	s_delay_alu instid0(SALU_CYCLE_1)
	s_and_not1_b32 vcc_lo, exec_lo, s35
	s_cbranch_vccnz .LBB102_1371
; %bb.1361:
	s_cmp_lt_i32 s0, 6
	s_cbranch_scc1 .LBB102_1364
; %bb.1362:
	s_cmp_gt_i32 s0, 6
	s_cbranch_scc0 .LBB102_1365
; %bb.1363:
	s_wait_loadcnt 0x0
	global_load_b64 v[6:7], v[4:5], off
	s_mov_b32 s35, 0
	s_wait_loadcnt 0x0
	v_trunc_f64_e32 v[6:7], v[6:7]
	s_delay_alu instid0(VALU_DEP_1) | instskip(NEXT) | instid1(VALU_DEP_1)
	v_ldexp_f64 v[8:9], v[6:7], 0xffffffe0
	v_floor_f64_e32 v[8:9], v[8:9]
	s_delay_alu instid0(VALU_DEP_1) | instskip(NEXT) | instid1(VALU_DEP_1)
	v_fmamk_f64 v[6:7], v[8:9], 0xc1f00000, v[6:7]
	v_cvt_u32_f64_e32 v6, v[6:7]
	s_branch .LBB102_1366
.LBB102_1364:
	s_mov_b32 s35, -1
                                        ; implicit-def: $vgpr6
	s_branch .LBB102_1369
.LBB102_1365:
	s_mov_b32 s35, -1
                                        ; implicit-def: $vgpr6
.LBB102_1366:
	s_delay_alu instid0(SALU_CYCLE_1)
	s_and_not1_b32 vcc_lo, exec_lo, s35
	s_cbranch_vccnz .LBB102_1368
; %bb.1367:
	s_wait_loadcnt 0x0
	global_load_b32 v1, v[4:5], off
	s_wait_loadcnt 0x0
	v_trunc_f32_e32 v1, v1
	s_delay_alu instid0(VALU_DEP_1) | instskip(NEXT) | instid1(VALU_DEP_1)
	v_mul_f32_e64 v3, 0x2f800000, |v1|
	v_floor_f32_e32 v3, v3
	s_delay_alu instid0(VALU_DEP_1) | instskip(SKIP_1) | instid1(VALU_DEP_2)
	v_fma_f32 v3, 0xcf800000, v3, |v1|
	v_ashrrev_i32_e32 v1, 31, v1
	v_cvt_u32_f32_e32 v3, v3
	s_delay_alu instid0(VALU_DEP_1) | instskip(NEXT) | instid1(VALU_DEP_1)
	v_xor_b32_e32 v3, v3, v1
	v_sub_nc_u32_e32 v6, v3, v1
.LBB102_1368:
	s_mov_b32 s35, 0
.LBB102_1369:
	s_delay_alu instid0(SALU_CYCLE_1)
	s_and_not1_b32 vcc_lo, exec_lo, s35
	s_cbranch_vccnz .LBB102_1371
; %bb.1370:
	s_wait_loadcnt 0x0
	global_load_u16 v1, v[4:5], off
	s_wait_loadcnt 0x0
	v_cvt_f32_f16_e32 v1, v1
	s_delay_alu instid0(VALU_DEP_1)
	v_cvt_i32_f32_e32 v6, v1
.LBB102_1371:
	s_mov_b32 s35, 0
.LBB102_1372:
	s_delay_alu instid0(SALU_CYCLE_1)
	s_and_not1_b32 vcc_lo, exec_lo, s35
	s_cbranch_vccnz .LBB102_1392
; %bb.1373:
	s_cmp_lt_i32 s0, 2
	s_cbranch_scc1 .LBB102_1377
; %bb.1374:
	s_cmp_lt_i32 s0, 3
	s_cbranch_scc1 .LBB102_1378
; %bb.1375:
	s_cmp_gt_i32 s0, 3
	s_cbranch_scc0 .LBB102_1379
; %bb.1376:
	s_wait_loadcnt 0x0
	global_load_b64 v[6:7], v[4:5], off
	s_mov_b32 s35, 0
	s_branch .LBB102_1380
.LBB102_1377:
	s_mov_b32 s35, -1
                                        ; implicit-def: $vgpr6
	s_branch .LBB102_1386
.LBB102_1378:
	s_mov_b32 s35, -1
                                        ; implicit-def: $vgpr6
	s_branch .LBB102_1383
.LBB102_1379:
	s_mov_b32 s35, -1
                                        ; implicit-def: $vgpr6
.LBB102_1380:
	s_delay_alu instid0(SALU_CYCLE_1)
	s_and_not1_b32 vcc_lo, exec_lo, s35
	s_cbranch_vccnz .LBB102_1382
; %bb.1381:
	s_wait_loadcnt 0x0
	global_load_b32 v6, v[4:5], off
.LBB102_1382:
	s_mov_b32 s35, 0
.LBB102_1383:
	s_delay_alu instid0(SALU_CYCLE_1)
	s_and_not1_b32 vcc_lo, exec_lo, s35
	s_cbranch_vccnz .LBB102_1385
; %bb.1384:
	s_wait_loadcnt 0x0
	global_load_u16 v6, v[4:5], off
.LBB102_1385:
	s_mov_b32 s35, 0
.LBB102_1386:
	s_delay_alu instid0(SALU_CYCLE_1)
	s_and_not1_b32 vcc_lo, exec_lo, s35
	s_cbranch_vccnz .LBB102_1392
; %bb.1387:
	s_cmp_gt_i32 s0, 0
	s_mov_b32 s0, 0
	s_cbranch_scc0 .LBB102_1389
; %bb.1388:
	s_wait_loadcnt 0x0
	global_load_u8 v6, v[4:5], off
	s_branch .LBB102_1390
.LBB102_1389:
	s_mov_b32 s0, -1
                                        ; implicit-def: $vgpr6
.LBB102_1390:
	s_delay_alu instid0(SALU_CYCLE_1)
	s_and_not1_b32 vcc_lo, exec_lo, s0
	s_cbranch_vccnz .LBB102_1392
; %bb.1391:
	s_wait_loadcnt 0x0
	global_load_u8 v6, v[4:5], off
.LBB102_1392:
	s_mov_b32 s35, -1
.LBB102_1393:
	s_delay_alu instid0(SALU_CYCLE_1)
	s_and_not1_b32 vcc_lo, exec_lo, s35
	s_cbranch_vccnz .LBB102_1401
; %bb.1394:
	s_wait_xcnt 0x0
	v_mul_lo_u32 v4, v26, s12
	s_wait_loadcnt 0x0
	v_and_b32_e32 v1, 0xff, v2
	v_and_b32_e32 v0, 0xff, v0
	s_delay_alu instid0(VALU_DEP_4) | instskip(SKIP_1) | instid1(SALU_CYCLE_1)
	v_and_b32_e32 v3, 0xff, v6
	s_and_b32 s35, s2, 0xff
	s_cmp_lt_i32 s35, 11
	s_delay_alu instid0(VALU_DEP_2) | instskip(SKIP_1) | instid1(VALU_DEP_1)
	v_max_u16 v2, v0, v1
	v_ashrrev_i32_e32 v5, 31, v4
	v_add_nc_u64_e32 v[0:1], s[4:5], v[4:5]
	s_delay_alu instid0(VALU_DEP_3)
	v_min_u16 v4, v2, v3
	s_cbranch_scc1 .LBB102_1402
; %bb.1395:
	s_and_b32 s36, 0xffff, s35
	s_delay_alu instid0(SALU_CYCLE_1)
	s_cmp_gt_i32 s36, 25
	s_cbranch_scc0 .LBB102_1403
; %bb.1396:
	s_cmp_gt_i32 s36, 28
	s_cbranch_scc0 .LBB102_1404
; %bb.1397:
	;; [unrolled: 3-line block ×4, first 2 shown]
	s_mov_b32 s38, 0
	s_mov_b32 s0, -1
	s_cmp_eq_u32 s36, 46
	s_mov_b32 s37, 0
	s_cbranch_scc0 .LBB102_1407
; %bb.1400:
	v_cvt_f32_ubyte0_e32 v2, v4
	s_mov_b32 s37, -1
	s_mov_b32 s0, 0
	s_delay_alu instid0(VALU_DEP_1) | instskip(NEXT) | instid1(VALU_DEP_1)
	v_bfe_u32 v3, v2, 16, 1
	v_add3_u32 v2, v2, v3, 0x7fff
	s_delay_alu instid0(VALU_DEP_1)
	v_lshrrev_b32_e32 v2, 16, v2
	global_store_b32 v[0:1], v2, off
	s_branch .LBB102_1407
.LBB102_1401:
	s_mov_b32 s36, 0
	s_mov_b32 s0, s26
	s_branch .LBB102_1518
.LBB102_1402:
	s_mov_b32 s36, -1
	s_mov_b32 s37, 0
	s_mov_b32 s0, s26
	s_branch .LBB102_1476
.LBB102_1403:
	s_mov_b32 s38, -1
	s_mov_b32 s37, 0
	s_mov_b32 s0, s26
	s_branch .LBB102_1434
.LBB102_1404:
	s_mov_b32 s38, -1
	s_mov_b32 s37, 0
	s_mov_b32 s0, s26
	s_branch .LBB102_1417
.LBB102_1405:
	s_mov_b32 s38, -1
	s_mov_b32 s37, 0
	s_mov_b32 s0, s26
	s_branch .LBB102_1413
.LBB102_1406:
	s_mov_b32 s38, -1
	s_mov_b32 s37, 0
	s_mov_b32 s0, s26
.LBB102_1407:
	s_and_b32 vcc_lo, exec_lo, s38
	s_cbranch_vccz .LBB102_1412
; %bb.1408:
	s_cmp_eq_u32 s36, 44
	s_mov_b32 s0, -1
	s_cbranch_scc0 .LBB102_1412
; %bb.1409:
	v_cvt_f32_ubyte0_e32 v5, v4
	s_mov_b32 s37, exec_lo
	s_wait_xcnt 0x0
	s_delay_alu instid0(VALU_DEP_1) | instskip(NEXT) | instid1(VALU_DEP_1)
	v_dual_mov_b32 v3, 0xff :: v_dual_lshrrev_b32 v2, 23, v5
	v_cmpx_ne_u32_e32 0xff, v2
; %bb.1410:
	v_and_b32_e32 v3, 0x400000, v5
	v_and_or_b32 v5, 0x3fffff, v5, v2
	s_delay_alu instid0(VALU_DEP_2) | instskip(NEXT) | instid1(VALU_DEP_2)
	v_cmp_ne_u32_e32 vcc_lo, 0, v3
	v_cmp_ne_u32_e64 s0, 0, v5
	s_and_b32 s0, vcc_lo, s0
	s_delay_alu instid0(SALU_CYCLE_1) | instskip(NEXT) | instid1(VALU_DEP_1)
	v_cndmask_b32_e64 v3, 0, 1, s0
	v_add_nc_u32_e32 v3, v2, v3
; %bb.1411:
	s_or_b32 exec_lo, exec_lo, s37
	s_mov_b32 s37, -1
	s_mov_b32 s0, 0
	global_store_b8 v[0:1], v3, off
.LBB102_1412:
	s_mov_b32 s38, 0
.LBB102_1413:
	s_delay_alu instid0(SALU_CYCLE_1)
	s_and_b32 vcc_lo, exec_lo, s38
	s_cbranch_vccz .LBB102_1416
; %bb.1414:
	s_cmp_eq_u32 s36, 29
	s_mov_b32 s0, -1
	s_cbranch_scc0 .LBB102_1416
; %bb.1415:
	s_mov_b32 s0, 0
	s_wait_xcnt 0x0
	v_and_b32_e32 v2, 0xffff, v4
	v_mov_b32_e32 v3, s0
	s_mov_b32 s37, -1
	s_mov_b32 s38, 0
	global_store_b64 v[0:1], v[2:3], off
	s_branch .LBB102_1417
.LBB102_1416:
	s_mov_b32 s38, 0
.LBB102_1417:
	s_delay_alu instid0(SALU_CYCLE_1)
	s_and_b32 vcc_lo, exec_lo, s38
	s_cbranch_vccz .LBB102_1433
; %bb.1418:
	s_cmp_lt_i32 s36, 27
	s_mov_b32 s37, -1
	s_cbranch_scc1 .LBB102_1424
; %bb.1419:
	s_cmp_gt_i32 s36, 27
	s_cbranch_scc0 .LBB102_1421
; %bb.1420:
	s_wait_xcnt 0x0
	v_and_b32_e32 v2, 0xffff, v4
	s_mov_b32 s37, 0
	global_store_b32 v[0:1], v2, off
.LBB102_1421:
	s_and_not1_b32 vcc_lo, exec_lo, s37
	s_cbranch_vccnz .LBB102_1423
; %bb.1422:
	global_store_b16 v[0:1], v4, off
.LBB102_1423:
	s_mov_b32 s37, 0
.LBB102_1424:
	s_delay_alu instid0(SALU_CYCLE_1)
	s_and_not1_b32 vcc_lo, exec_lo, s37
	s_cbranch_vccnz .LBB102_1432
; %bb.1425:
	s_wait_xcnt 0x0
	v_cvt_f32_ubyte0_e32 v3, v4
	v_mov_b32_e32 v5, 0x80
	s_mov_b32 s37, exec_lo
	s_delay_alu instid0(VALU_DEP_2)
	v_cmpx_gt_u32_e32 0x43800000, v3
	s_cbranch_execz .LBB102_1431
; %bb.1426:
	s_mov_b32 s38, 0
	s_mov_b32 s39, exec_lo
                                        ; implicit-def: $vgpr2
	v_cmpx_lt_u32_e32 0x3bffffff, v3
	s_xor_b32 s39, exec_lo, s39
	s_cbranch_execz .LBB102_2655
; %bb.1427:
	v_bfe_u32 v2, v3, 20, 1
	s_mov_b32 s38, exec_lo
	s_delay_alu instid0(VALU_DEP_1) | instskip(NEXT) | instid1(VALU_DEP_1)
	v_add3_u32 v2, v3, v2, 0x487ffff
                                        ; implicit-def: $vgpr3
	v_lshrrev_b32_e32 v2, 20, v2
	s_and_not1_saveexec_b32 s39, s39
	s_cbranch_execnz .LBB102_2656
.LBB102_1428:
	s_or_b32 exec_lo, exec_lo, s39
	v_mov_b32_e32 v5, 0
	s_and_saveexec_b32 s39, s38
.LBB102_1429:
	v_mov_b32_e32 v5, v2
.LBB102_1430:
	s_or_b32 exec_lo, exec_lo, s39
.LBB102_1431:
	s_delay_alu instid0(SALU_CYCLE_1)
	s_or_b32 exec_lo, exec_lo, s37
	global_store_b8 v[0:1], v5, off
.LBB102_1432:
	s_mov_b32 s37, -1
.LBB102_1433:
	s_mov_b32 s38, 0
.LBB102_1434:
	s_delay_alu instid0(SALU_CYCLE_1)
	s_and_b32 vcc_lo, exec_lo, s38
	s_cbranch_vccz .LBB102_1475
; %bb.1435:
	s_cmp_gt_i32 s36, 22
	s_mov_b32 s38, -1
	s_cbranch_scc0 .LBB102_1467
; %bb.1436:
	s_cmp_lt_i32 s36, 24
	s_mov_b32 s37, -1
	s_cbranch_scc1 .LBB102_1456
; %bb.1437:
	s_cmp_gt_i32 s36, 24
	s_cbranch_scc0 .LBB102_1445
; %bb.1438:
	s_wait_xcnt 0x0
	v_cvt_f32_ubyte0_e32 v3, v4
	v_mov_b32_e32 v5, 0x80
	s_mov_b32 s37, exec_lo
	s_delay_alu instid0(VALU_DEP_2)
	v_cmpx_gt_u32_e32 0x47800000, v3
	s_cbranch_execz .LBB102_1444
; %bb.1439:
	s_mov_b32 s38, 0
	s_mov_b32 s39, exec_lo
                                        ; implicit-def: $vgpr2
	v_cmpx_lt_u32_e32 0x37ffffff, v3
	s_xor_b32 s39, exec_lo, s39
	s_cbranch_execz .LBB102_2784
; %bb.1440:
	v_bfe_u32 v2, v3, 21, 1
	s_mov_b32 s38, exec_lo
	s_delay_alu instid0(VALU_DEP_1) | instskip(NEXT) | instid1(VALU_DEP_1)
	v_add3_u32 v2, v3, v2, 0x88fffff
                                        ; implicit-def: $vgpr3
	v_lshrrev_b32_e32 v2, 21, v2
	s_and_not1_saveexec_b32 s39, s39
	s_cbranch_execnz .LBB102_2785
.LBB102_1441:
	s_or_b32 exec_lo, exec_lo, s39
	v_mov_b32_e32 v5, 0
	s_and_saveexec_b32 s39, s38
.LBB102_1442:
	v_mov_b32_e32 v5, v2
.LBB102_1443:
	s_or_b32 exec_lo, exec_lo, s39
.LBB102_1444:
	s_delay_alu instid0(SALU_CYCLE_1)
	s_or_b32 exec_lo, exec_lo, s37
	s_mov_b32 s37, 0
	global_store_b8 v[0:1], v5, off
.LBB102_1445:
	s_and_b32 vcc_lo, exec_lo, s37
	s_cbranch_vccz .LBB102_1455
; %bb.1446:
	s_wait_xcnt 0x0
	v_cvt_f32_ubyte0_e32 v3, v4
	s_mov_b32 s37, exec_lo
                                        ; implicit-def: $vgpr2
	s_delay_alu instid0(VALU_DEP_1)
	v_cmpx_gt_u32_e32 0x43f00000, v3
	s_xor_b32 s37, exec_lo, s37
	s_cbranch_execz .LBB102_1452
; %bb.1447:
	s_mov_b32 s38, exec_lo
                                        ; implicit-def: $vgpr2
	v_cmpx_lt_u32_e32 0x3c7fffff, v3
	s_xor_b32 s38, exec_lo, s38
; %bb.1448:
	v_bfe_u32 v2, v3, 20, 1
	s_delay_alu instid0(VALU_DEP_1) | instskip(NEXT) | instid1(VALU_DEP_1)
	v_add3_u32 v2, v3, v2, 0x407ffff
	v_and_b32_e32 v3, 0xff00000, v2
	v_lshrrev_b32_e32 v2, 20, v2
	s_delay_alu instid0(VALU_DEP_2) | instskip(NEXT) | instid1(VALU_DEP_2)
	v_cmp_ne_u32_e32 vcc_lo, 0x7f00000, v3
                                        ; implicit-def: $vgpr3
	v_cndmask_b32_e32 v2, 0x7e, v2, vcc_lo
; %bb.1449:
	s_and_not1_saveexec_b32 s38, s38
; %bb.1450:
	v_add_f32_e32 v2, 0x46800000, v3
; %bb.1451:
	s_or_b32 exec_lo, exec_lo, s38
                                        ; implicit-def: $vgpr3
.LBB102_1452:
	s_and_not1_saveexec_b32 s37, s37
; %bb.1453:
	v_mov_b32_e32 v2, 0x7f
	v_cmp_lt_u32_e32 vcc_lo, 0x7f800000, v3
	s_delay_alu instid0(VALU_DEP_2)
	v_cndmask_b32_e32 v2, 0x7e, v2, vcc_lo
; %bb.1454:
	s_or_b32 exec_lo, exec_lo, s37
	global_store_b8 v[0:1], v2, off
.LBB102_1455:
	s_mov_b32 s37, 0
.LBB102_1456:
	s_delay_alu instid0(SALU_CYCLE_1)
	s_and_not1_b32 vcc_lo, exec_lo, s37
	s_cbranch_vccnz .LBB102_1466
; %bb.1457:
	s_wait_xcnt 0x0
	v_cvt_f32_ubyte0_e32 v3, v4
	s_mov_b32 s37, exec_lo
                                        ; implicit-def: $vgpr2
	s_delay_alu instid0(VALU_DEP_1)
	v_cmpx_gt_u32_e32 0x47800000, v3
	s_xor_b32 s37, exec_lo, s37
	s_cbranch_execz .LBB102_1463
; %bb.1458:
	s_mov_b32 s38, exec_lo
                                        ; implicit-def: $vgpr2
	v_cmpx_lt_u32_e32 0x387fffff, v3
	s_xor_b32 s38, exec_lo, s38
; %bb.1459:
	v_bfe_u32 v2, v3, 21, 1
	s_delay_alu instid0(VALU_DEP_1) | instskip(NEXT) | instid1(VALU_DEP_1)
	v_add3_u32 v2, v3, v2, 0x80fffff
                                        ; implicit-def: $vgpr3
	v_lshrrev_b32_e32 v2, 21, v2
; %bb.1460:
	s_and_not1_saveexec_b32 s38, s38
; %bb.1461:
	v_add_f32_e32 v2, 0x43000000, v3
; %bb.1462:
	s_or_b32 exec_lo, exec_lo, s38
                                        ; implicit-def: $vgpr3
.LBB102_1463:
	s_and_not1_saveexec_b32 s37, s37
; %bb.1464:
	v_mov_b32_e32 v2, 0x7f
	v_cmp_lt_u32_e32 vcc_lo, 0x7f800000, v3
	s_delay_alu instid0(VALU_DEP_2)
	v_cndmask_b32_e32 v2, 0x7c, v2, vcc_lo
; %bb.1465:
	s_or_b32 exec_lo, exec_lo, s37
	global_store_b8 v[0:1], v2, off
.LBB102_1466:
	s_mov_b32 s38, 0
	s_mov_b32 s37, -1
.LBB102_1467:
	s_and_not1_b32 vcc_lo, exec_lo, s38
	s_cbranch_vccnz .LBB102_1475
; %bb.1468:
	s_cmp_gt_i32 s36, 14
	s_mov_b32 s38, -1
	s_cbranch_scc0 .LBB102_1472
; %bb.1469:
	s_cmp_eq_u32 s36, 15
	s_mov_b32 s0, -1
	s_cbranch_scc0 .LBB102_1471
; %bb.1470:
	s_wait_xcnt 0x0
	v_cvt_f32_ubyte0_e32 v2, v4
	s_mov_b32 s37, -1
	s_mov_b32 s0, 0
	s_delay_alu instid0(VALU_DEP_1) | instskip(NEXT) | instid1(VALU_DEP_1)
	v_bfe_u32 v3, v2, 16, 1
	v_add3_u32 v2, v2, v3, 0x7fff
	global_store_d16_hi_b16 v[0:1], v2, off
.LBB102_1471:
	s_mov_b32 s38, 0
.LBB102_1472:
	s_delay_alu instid0(SALU_CYCLE_1)
	s_and_b32 vcc_lo, exec_lo, s38
	s_cbranch_vccz .LBB102_1475
; %bb.1473:
	s_cmp_eq_u32 s36, 11
	s_mov_b32 s0, -1
	s_cbranch_scc0 .LBB102_1475
; %bb.1474:
	v_cmp_ne_u16_e32 vcc_lo, 0, v4
	s_mov_b32 s0, 0
	s_mov_b32 s37, -1
	s_wait_xcnt 0x0
	v_cndmask_b32_e64 v2, 0, 1, vcc_lo
	global_store_b8 v[0:1], v2, off
.LBB102_1475:
	s_mov_b32 s36, 0
.LBB102_1476:
	s_delay_alu instid0(SALU_CYCLE_1)
	s_and_b32 vcc_lo, exec_lo, s36
	s_cbranch_vccz .LBB102_1515
; %bb.1477:
	s_and_b32 s35, 0xffff, s35
	s_mov_b32 s36, -1
	s_cmp_lt_i32 s35, 5
	s_cbranch_scc1 .LBB102_1498
; %bb.1478:
	s_cmp_lt_i32 s35, 8
	s_cbranch_scc1 .LBB102_1488
; %bb.1479:
	;; [unrolled: 3-line block ×3, first 2 shown]
	s_cmp_gt_i32 s35, 9
	s_cbranch_scc0 .LBB102_1482
; %bb.1481:
	s_wait_xcnt 0x0
	v_and_b32_e32 v2, 0xffff, v4
	v_mov_b32_e32 v8, 0
	s_mov_b32 s36, 0
	s_delay_alu instid0(VALU_DEP_2) | instskip(NEXT) | instid1(VALU_DEP_2)
	v_cvt_f64_u32_e32 v[6:7], v2
	v_mov_b32_e32 v9, v8
	global_store_b128 v[0:1], v[6:9], off
.LBB102_1482:
	s_and_not1_b32 vcc_lo, exec_lo, s36
	s_cbranch_vccnz .LBB102_1484
; %bb.1483:
	s_wait_xcnt 0x0
	v_cvt_f32_ubyte0_e32 v2, v4
	v_mov_b32_e32 v3, 0
	global_store_b64 v[0:1], v[2:3], off
.LBB102_1484:
	s_mov_b32 s36, 0
.LBB102_1485:
	s_delay_alu instid0(SALU_CYCLE_1)
	s_and_not1_b32 vcc_lo, exec_lo, s36
	s_cbranch_vccnz .LBB102_1487
; %bb.1486:
	s_wait_xcnt 0x0
	v_cvt_f16_u16_e32 v2, v4
	s_delay_alu instid0(VALU_DEP_1)
	v_and_b32_e32 v2, 0xffff, v2
	global_store_b32 v[0:1], v2, off
.LBB102_1487:
	s_mov_b32 s36, 0
.LBB102_1488:
	s_delay_alu instid0(SALU_CYCLE_1)
	s_and_not1_b32 vcc_lo, exec_lo, s36
	s_cbranch_vccnz .LBB102_1497
; %bb.1489:
	s_cmp_lt_i32 s35, 6
	s_mov_b32 s36, -1
	s_cbranch_scc1 .LBB102_1495
; %bb.1490:
	s_cmp_gt_i32 s35, 6
	s_cbranch_scc0 .LBB102_1492
; %bb.1491:
	s_wait_xcnt 0x0
	v_and_b32_e32 v2, 0xffff, v4
	s_mov_b32 s36, 0
	s_delay_alu instid0(VALU_DEP_1)
	v_cvt_f64_u32_e32 v[2:3], v2
	global_store_b64 v[0:1], v[2:3], off
.LBB102_1492:
	s_and_not1_b32 vcc_lo, exec_lo, s36
	s_cbranch_vccnz .LBB102_1494
; %bb.1493:
	s_wait_xcnt 0x0
	v_cvt_f32_ubyte0_e32 v2, v4
	global_store_b32 v[0:1], v2, off
.LBB102_1494:
	s_mov_b32 s36, 0
.LBB102_1495:
	s_delay_alu instid0(SALU_CYCLE_1)
	s_and_not1_b32 vcc_lo, exec_lo, s36
	s_cbranch_vccnz .LBB102_1497
; %bb.1496:
	s_wait_xcnt 0x0
	v_cvt_f16_u16_e32 v2, v4
	global_store_b16 v[0:1], v2, off
.LBB102_1497:
	s_mov_b32 s36, 0
.LBB102_1498:
	s_delay_alu instid0(SALU_CYCLE_1)
	s_and_not1_b32 vcc_lo, exec_lo, s36
	s_cbranch_vccnz .LBB102_1514
; %bb.1499:
	s_cmp_lt_i32 s35, 2
	s_mov_b32 s36, -1
	s_cbranch_scc1 .LBB102_1509
; %bb.1500:
	s_cmp_lt_i32 s35, 3
	s_cbranch_scc1 .LBB102_1506
; %bb.1501:
	s_wait_xcnt 0x0
	v_and_b32_e32 v2, 0xffff, v4
	s_cmp_gt_i32 s35, 3
	s_cbranch_scc0 .LBB102_1503
; %bb.1502:
	s_mov_b32 s36, 0
	s_delay_alu instid0(SALU_CYCLE_1)
	v_mov_b32_e32 v3, s36
	global_store_b64 v[0:1], v[2:3], off
.LBB102_1503:
	s_and_not1_b32 vcc_lo, exec_lo, s36
	s_cbranch_vccnz .LBB102_1505
; %bb.1504:
	global_store_b32 v[0:1], v2, off
.LBB102_1505:
	s_mov_b32 s36, 0
.LBB102_1506:
	s_delay_alu instid0(SALU_CYCLE_1)
	s_and_not1_b32 vcc_lo, exec_lo, s36
	s_cbranch_vccnz .LBB102_1508
; %bb.1507:
	global_store_b16 v[0:1], v4, off
.LBB102_1508:
	s_mov_b32 s36, 0
.LBB102_1509:
	s_delay_alu instid0(SALU_CYCLE_1)
	s_and_not1_b32 vcc_lo, exec_lo, s36
	s_cbranch_vccnz .LBB102_1514
; %bb.1510:
	s_cmp_gt_i32 s35, 0
	s_mov_b32 s35, -1
	s_cbranch_scc0 .LBB102_1512
; %bb.1511:
	s_mov_b32 s35, 0
	global_store_b8 v[0:1], v4, off
.LBB102_1512:
	s_and_not1_b32 vcc_lo, exec_lo, s35
	s_cbranch_vccnz .LBB102_1514
; %bb.1513:
	global_store_b8 v[0:1], v4, off
.LBB102_1514:
	s_mov_b32 s37, -1
.LBB102_1515:
	s_delay_alu instid0(SALU_CYCLE_1)
	s_and_not1_b32 vcc_lo, exec_lo, s37
	s_cbranch_vccnz .LBB102_1517
; %bb.1516:
	v_add_nc_u32_e32 v26, 0x80, v26
	s_mov_b32 s36, -1
	s_branch .LBB102_1519
.LBB102_1517:
	s_mov_b32 s36, 0
.LBB102_1518:
                                        ; implicit-def: $vgpr26
.LBB102_1519:
	s_and_not1_b32 s35, s26, exec_lo
	s_and_b32 s0, s0, exec_lo
	s_and_not1_b32 s37, s27, exec_lo
	s_and_b32 s34, s34, exec_lo
	s_or_b32 s35, s35, s0
	s_or_b32 s34, s37, s34
	s_and_not1_b32 s0, s28, exec_lo
	s_and_b32 s33, s33, exec_lo
	s_and_not1_b32 s37, s25, exec_lo
	s_and_b32 s31, s31, exec_lo
	s_or_b32 s33, s0, s33
	s_or_b32 s31, s37, s31
	s_or_not1_b32 s39, s36, exec_lo
.LBB102_1520:
	s_wait_xcnt 0x0
	s_or_b32 exec_lo, exec_lo, s30
	s_mov_b32 s36, 0
	s_mov_b32 s37, 0
	;; [unrolled: 1-line block ×3, first 2 shown]
                                        ; implicit-def: $sgpr0
                                        ; implicit-def: $vgpr2_vgpr3
                                        ; implicit-def: $vgpr0
	s_and_saveexec_b32 s30, s39
	s_cbranch_execz .LBB102_1597
; %bb.1521:
	v_cmp_gt_i32_e32 vcc_lo, s20, v26
	s_mov_b32 s40, s31
	s_mov_b32 s39, 0
	;; [unrolled: 1-line block ×3, first 2 shown]
                                        ; implicit-def: $sgpr0
                                        ; implicit-def: $vgpr2_vgpr3
                                        ; implicit-def: $vgpr0
	s_and_saveexec_b32 s20, vcc_lo
	s_cbranch_execz .LBB102_1596
; %bb.1522:
	s_wait_loadcnt 0x0
	v_mul_lo_u32 v0, v26, s13
	s_and_b32 s0, s17, 0xff
	s_delay_alu instid0(SALU_CYCLE_1) | instskip(NEXT) | instid1(VALU_DEP_1)
	s_cmp_lt_i32 s0, 11
	v_ashrrev_i32_e32 v1, 31, v0
	s_delay_alu instid0(VALU_DEP_1)
	v_add_nc_u64_e32 v[2:3], s[6:7], v[0:1]
	s_cbranch_scc1 .LBB102_1529
; %bb.1523:
	s_and_b32 s36, 0xffff, s0
	s_delay_alu instid0(SALU_CYCLE_1)
	s_cmp_gt_i32 s36, 25
	s_cbranch_scc0 .LBB102_1530
; %bb.1524:
	s_cmp_gt_i32 s36, 28
	s_cbranch_scc0 .LBB102_1531
; %bb.1525:
	;; [unrolled: 3-line block ×4, first 2 shown]
	s_cmp_eq_u32 s36, 46
	s_mov_b32 s40, 0
	s_cbranch_scc0 .LBB102_1534
; %bb.1528:
	global_load_b32 v0, v[2:3], off
	s_mov_b32 s39, -1
	s_wait_loadcnt 0x0
	v_lshlrev_b32_e32 v0, 16, v0
	s_delay_alu instid0(VALU_DEP_1) | instskip(NEXT) | instid1(VALU_DEP_1)
	v_trunc_f32_e32 v0, v0
	v_mul_f32_e64 v1, 0x2f800000, |v0|
	s_delay_alu instid0(VALU_DEP_1) | instskip(NEXT) | instid1(VALU_DEP_1)
	v_floor_f32_e32 v1, v1
	v_fma_f32 v1, 0xcf800000, v1, |v0|
	v_ashrrev_i32_e32 v0, 31, v0
	s_delay_alu instid0(VALU_DEP_2) | instskip(NEXT) | instid1(VALU_DEP_1)
	v_cvt_u32_f32_e32 v1, v1
	v_xor_b32_e32 v1, v1, v0
	s_delay_alu instid0(VALU_DEP_1)
	v_sub_nc_u32_e32 v0, v1, v0
	s_branch .LBB102_1536
.LBB102_1529:
	s_mov_b32 s36, -1
	s_mov_b32 s37, s31
                                        ; implicit-def: $vgpr0
	s_branch .LBB102_1595
.LBB102_1530:
	s_mov_b32 s40, -1
	s_mov_b32 s37, s31
                                        ; implicit-def: $vgpr0
	s_branch .LBB102_1563
.LBB102_1531:
	s_mov_b32 s40, -1
	s_mov_b32 s37, s31
                                        ; implicit-def: $vgpr0
	s_branch .LBB102_1546
.LBB102_1532:
	s_mov_b32 s40, -1
	s_mov_b32 s37, s31
                                        ; implicit-def: $vgpr0
	s_branch .LBB102_1541
.LBB102_1533:
	s_mov_b32 s40, -1
	s_mov_b32 s37, s31
	s_branch .LBB102_1535
.LBB102_1534:
	s_mov_b32 s37, -1
.LBB102_1535:
                                        ; implicit-def: $vgpr0
.LBB102_1536:
	s_and_b32 vcc_lo, exec_lo, s40
	s_cbranch_vccz .LBB102_1540
; %bb.1537:
	s_cmp_eq_u32 s36, 44
	s_cbranch_scc0 .LBB102_1539
; %bb.1538:
	global_load_u8 v0, v[2:3], off
	s_mov_b32 s37, 0
	s_mov_b32 s39, -1
	s_wait_loadcnt 0x0
	v_lshlrev_b32_e32 v1, 23, v0
	v_cmp_ne_u32_e32 vcc_lo, 0, v0
	s_delay_alu instid0(VALU_DEP_2) | instskip(NEXT) | instid1(VALU_DEP_1)
	v_trunc_f32_e32 v1, v1
	v_mul_f32_e64 v4, 0x2f800000, |v1|
	s_delay_alu instid0(VALU_DEP_1) | instskip(NEXT) | instid1(VALU_DEP_1)
	v_floor_f32_e32 v4, v4
	v_fma_f32 v4, 0xcf800000, v4, |v1|
	v_ashrrev_i32_e32 v1, 31, v1
	s_delay_alu instid0(VALU_DEP_2) | instskip(NEXT) | instid1(VALU_DEP_1)
	v_cvt_u32_f32_e32 v4, v4
	v_xor_b32_e32 v4, v4, v1
	s_delay_alu instid0(VALU_DEP_1) | instskip(NEXT) | instid1(VALU_DEP_1)
	v_sub_nc_u32_e32 v1, v4, v1
	v_cndmask_b32_e32 v0, 0, v1, vcc_lo
	s_branch .LBB102_1540
.LBB102_1539:
	s_mov_b32 s37, -1
                                        ; implicit-def: $vgpr0
.LBB102_1540:
	s_mov_b32 s40, 0
.LBB102_1541:
	s_delay_alu instid0(SALU_CYCLE_1)
	s_and_b32 vcc_lo, exec_lo, s40
	s_cbranch_vccz .LBB102_1545
; %bb.1542:
	s_cmp_eq_u32 s36, 29
	s_cbranch_scc0 .LBB102_1544
; %bb.1543:
	global_load_b64 v[0:1], v[2:3], off
	s_mov_b32 s37, 0
	s_mov_b32 s39, -1
	s_branch .LBB102_1545
.LBB102_1544:
	s_mov_b32 s37, -1
                                        ; implicit-def: $vgpr0
.LBB102_1545:
	s_mov_b32 s40, 0
.LBB102_1546:
	s_delay_alu instid0(SALU_CYCLE_1)
	s_and_b32 vcc_lo, exec_lo, s40
	s_cbranch_vccz .LBB102_1562
; %bb.1547:
	s_cmp_lt_i32 s36, 27
	s_cbranch_scc1 .LBB102_1550
; %bb.1548:
	s_cmp_gt_i32 s36, 27
	s_cbranch_scc0 .LBB102_1551
; %bb.1549:
	s_wait_loadcnt 0x0
	global_load_b32 v0, v[2:3], off
	s_mov_b32 s39, 0
	s_branch .LBB102_1552
.LBB102_1550:
	s_mov_b32 s39, -1
                                        ; implicit-def: $vgpr0
	s_branch .LBB102_1555
.LBB102_1551:
	s_mov_b32 s39, -1
                                        ; implicit-def: $vgpr0
.LBB102_1552:
	s_delay_alu instid0(SALU_CYCLE_1)
	s_and_not1_b32 vcc_lo, exec_lo, s39
	s_cbranch_vccnz .LBB102_1554
; %bb.1553:
	s_wait_loadcnt 0x0
	global_load_u16 v0, v[2:3], off
.LBB102_1554:
	s_mov_b32 s39, 0
.LBB102_1555:
	s_delay_alu instid0(SALU_CYCLE_1)
	s_and_not1_b32 vcc_lo, exec_lo, s39
	s_cbranch_vccnz .LBB102_1561
; %bb.1556:
	s_wait_loadcnt 0x0
	global_load_u8 v1, v[2:3], off
	s_mov_b32 s40, 0
	s_mov_b32 s39, exec_lo
	s_wait_loadcnt 0x0
	v_cmpx_lt_i16_e32 0x7f, v1
	s_xor_b32 s39, exec_lo, s39
	s_cbranch_execz .LBB102_1573
; %bb.1557:
	v_cmp_ne_u16_e32 vcc_lo, 0x80, v1
	s_and_b32 s40, vcc_lo, exec_lo
	s_and_not1_saveexec_b32 s39, s39
	s_cbranch_execnz .LBB102_1574
.LBB102_1558:
	s_or_b32 exec_lo, exec_lo, s39
	v_mov_b32_e32 v0, 0
	s_and_saveexec_b32 s39, s40
	s_cbranch_execz .LBB102_1560
.LBB102_1559:
	v_and_b32_e32 v0, 0xffff, v1
	s_delay_alu instid0(VALU_DEP_1) | instskip(SKIP_1) | instid1(VALU_DEP_2)
	v_and_b32_e32 v4, 7, v0
	v_bfe_u32 v7, v0, 3, 4
	v_clz_i32_u32_e32 v5, v4
	s_delay_alu instid0(VALU_DEP_2) | instskip(NEXT) | instid1(VALU_DEP_2)
	v_cmp_eq_u32_e32 vcc_lo, 0, v7
	v_min_u32_e32 v5, 32, v5
	s_delay_alu instid0(VALU_DEP_1) | instskip(NEXT) | instid1(VALU_DEP_1)
	v_subrev_nc_u32_e32 v6, 28, v5
	v_dual_lshlrev_b32 v0, v6, v0 :: v_dual_sub_nc_u32 v5, 29, v5
	s_delay_alu instid0(VALU_DEP_1) | instskip(NEXT) | instid1(VALU_DEP_1)
	v_dual_lshlrev_b32 v1, 24, v1 :: v_dual_bitop2_b32 v0, 7, v0 bitop3:0x40
	v_dual_cndmask_b32 v0, v4, v0 :: v_dual_cndmask_b32 v5, v7, v5
	s_delay_alu instid0(VALU_DEP_2) | instskip(NEXT) | instid1(VALU_DEP_2)
	v_and_b32_e32 v1, 0x80000000, v1
	v_lshlrev_b32_e32 v0, 20, v0
	s_delay_alu instid0(VALU_DEP_3) | instskip(NEXT) | instid1(VALU_DEP_1)
	v_lshl_add_u32 v4, v5, 23, 0x3b800000
	v_or3_b32 v0, v1, v4, v0
	s_delay_alu instid0(VALU_DEP_1) | instskip(NEXT) | instid1(VALU_DEP_1)
	v_trunc_f32_e32 v0, v0
	v_mul_f32_e64 v1, 0x2f800000, |v0|
	s_delay_alu instid0(VALU_DEP_1) | instskip(NEXT) | instid1(VALU_DEP_1)
	v_floor_f32_e32 v1, v1
	v_fma_f32 v1, 0xcf800000, v1, |v0|
	v_ashrrev_i32_e32 v0, 31, v0
	s_delay_alu instid0(VALU_DEP_2) | instskip(NEXT) | instid1(VALU_DEP_1)
	v_cvt_u32_f32_e32 v1, v1
	v_xor_b32_e32 v1, v1, v0
	s_delay_alu instid0(VALU_DEP_1)
	v_sub_nc_u32_e32 v0, v1, v0
.LBB102_1560:
	s_or_b32 exec_lo, exec_lo, s39
.LBB102_1561:
	s_mov_b32 s39, -1
.LBB102_1562:
	s_mov_b32 s40, 0
.LBB102_1563:
	s_delay_alu instid0(SALU_CYCLE_1)
	s_and_b32 vcc_lo, exec_lo, s40
	s_cbranch_vccz .LBB102_1594
; %bb.1564:
	s_cmp_gt_i32 s36, 22
	s_cbranch_scc0 .LBB102_1572
; %bb.1565:
	s_cmp_lt_i32 s36, 24
	s_cbranch_scc1 .LBB102_1575
; %bb.1566:
	s_cmp_gt_i32 s36, 24
	s_cbranch_scc0 .LBB102_1576
; %bb.1567:
	s_wait_loadcnt 0x0
	global_load_u8 v1, v[2:3], off
	s_mov_b32 s39, 0
	s_mov_b32 s38, exec_lo
	s_wait_loadcnt 0x0
	v_cmpx_lt_i16_e32 0x7f, v1
	s_xor_b32 s38, exec_lo, s38
	s_cbranch_execz .LBB102_1588
; %bb.1568:
	v_cmp_ne_u16_e32 vcc_lo, 0x80, v1
	s_and_b32 s39, vcc_lo, exec_lo
	s_and_not1_saveexec_b32 s38, s38
	s_cbranch_execnz .LBB102_1589
.LBB102_1569:
	s_or_b32 exec_lo, exec_lo, s38
	v_mov_b32_e32 v0, 0
	s_and_saveexec_b32 s38, s39
	s_cbranch_execz .LBB102_1571
.LBB102_1570:
	v_and_b32_e32 v0, 0xffff, v1
	s_delay_alu instid0(VALU_DEP_1) | instskip(SKIP_1) | instid1(VALU_DEP_2)
	v_and_b32_e32 v4, 3, v0
	v_bfe_u32 v7, v0, 2, 5
	v_clz_i32_u32_e32 v5, v4
	s_delay_alu instid0(VALU_DEP_2) | instskip(NEXT) | instid1(VALU_DEP_2)
	v_cmp_eq_u32_e32 vcc_lo, 0, v7
	v_min_u32_e32 v5, 32, v5
	s_delay_alu instid0(VALU_DEP_1) | instskip(NEXT) | instid1(VALU_DEP_1)
	v_subrev_nc_u32_e32 v6, 29, v5
	v_dual_lshlrev_b32 v0, v6, v0 :: v_dual_sub_nc_u32 v5, 30, v5
	s_delay_alu instid0(VALU_DEP_1) | instskip(NEXT) | instid1(VALU_DEP_1)
	v_dual_lshlrev_b32 v1, 24, v1 :: v_dual_bitop2_b32 v0, 3, v0 bitop3:0x40
	v_dual_cndmask_b32 v0, v4, v0 :: v_dual_cndmask_b32 v5, v7, v5
	s_delay_alu instid0(VALU_DEP_2) | instskip(NEXT) | instid1(VALU_DEP_2)
	v_and_b32_e32 v1, 0x80000000, v1
	v_lshlrev_b32_e32 v0, 21, v0
	s_delay_alu instid0(VALU_DEP_3) | instskip(NEXT) | instid1(VALU_DEP_1)
	v_lshl_add_u32 v4, v5, 23, 0x37800000
	v_or3_b32 v0, v1, v4, v0
	s_delay_alu instid0(VALU_DEP_1) | instskip(NEXT) | instid1(VALU_DEP_1)
	v_trunc_f32_e32 v0, v0
	v_mul_f32_e64 v1, 0x2f800000, |v0|
	s_delay_alu instid0(VALU_DEP_1) | instskip(NEXT) | instid1(VALU_DEP_1)
	v_floor_f32_e32 v1, v1
	v_fma_f32 v1, 0xcf800000, v1, |v0|
	v_ashrrev_i32_e32 v0, 31, v0
	s_delay_alu instid0(VALU_DEP_2) | instskip(NEXT) | instid1(VALU_DEP_1)
	v_cvt_u32_f32_e32 v1, v1
	v_xor_b32_e32 v1, v1, v0
	s_delay_alu instid0(VALU_DEP_1)
	v_sub_nc_u32_e32 v0, v1, v0
.LBB102_1571:
	s_or_b32 exec_lo, exec_lo, s38
	s_mov_b32 s38, 0
	s_branch .LBB102_1577
.LBB102_1572:
	s_mov_b32 s38, -1
                                        ; implicit-def: $vgpr0
	s_branch .LBB102_1583
.LBB102_1573:
	s_and_not1_saveexec_b32 s39, s39
	s_cbranch_execz .LBB102_1558
.LBB102_1574:
	v_cmp_ne_u16_e32 vcc_lo, 0, v1
	s_and_not1_b32 s40, s40, exec_lo
	s_and_b32 s41, vcc_lo, exec_lo
	s_delay_alu instid0(SALU_CYCLE_1)
	s_or_b32 s40, s40, s41
	s_or_b32 exec_lo, exec_lo, s39
	v_mov_b32_e32 v0, 0
	s_and_saveexec_b32 s39, s40
	s_cbranch_execnz .LBB102_1559
	s_branch .LBB102_1560
.LBB102_1575:
	s_mov_b32 s38, -1
                                        ; implicit-def: $vgpr0
	s_branch .LBB102_1580
.LBB102_1576:
	s_mov_b32 s38, -1
                                        ; implicit-def: $vgpr0
.LBB102_1577:
	s_delay_alu instid0(SALU_CYCLE_1)
	s_and_b32 vcc_lo, exec_lo, s38
	s_cbranch_vccz .LBB102_1579
; %bb.1578:
	s_wait_loadcnt 0x0
	global_load_u8 v0, v[2:3], off
	s_wait_loadcnt 0x0
	v_lshlrev_b32_e32 v0, 24, v0
	s_delay_alu instid0(VALU_DEP_1) | instskip(NEXT) | instid1(VALU_DEP_1)
	v_and_b32_e32 v1, 0x7f000000, v0
	v_clz_i32_u32_e32 v4, v1
	v_cmp_ne_u32_e32 vcc_lo, 0, v1
	v_add_nc_u32_e32 v6, 0x1000000, v1
	s_delay_alu instid0(VALU_DEP_3) | instskip(NEXT) | instid1(VALU_DEP_1)
	v_min_u32_e32 v4, 32, v4
	v_sub_nc_u32_e64 v4, v4, 4 clamp
	s_delay_alu instid0(VALU_DEP_1) | instskip(NEXT) | instid1(VALU_DEP_1)
	v_dual_lshlrev_b32 v5, v4, v1 :: v_dual_lshlrev_b32 v4, 23, v4
	v_lshrrev_b32_e32 v5, 4, v5
	s_delay_alu instid0(VALU_DEP_1) | instskip(NEXT) | instid1(VALU_DEP_1)
	v_dual_sub_nc_u32 v4, v5, v4 :: v_dual_ashrrev_i32 v5, 8, v6
	v_add_nc_u32_e32 v4, 0x3c000000, v4
	s_delay_alu instid0(VALU_DEP_1) | instskip(NEXT) | instid1(VALU_DEP_1)
	v_and_or_b32 v4, 0x7f800000, v5, v4
	v_cndmask_b32_e32 v1, 0, v4, vcc_lo
	s_delay_alu instid0(VALU_DEP_1) | instskip(NEXT) | instid1(VALU_DEP_1)
	v_and_or_b32 v0, 0x80000000, v0, v1
	v_trunc_f32_e32 v0, v0
	s_delay_alu instid0(VALU_DEP_1) | instskip(NEXT) | instid1(VALU_DEP_1)
	v_mul_f32_e64 v1, 0x2f800000, |v0|
	v_floor_f32_e32 v1, v1
	s_delay_alu instid0(VALU_DEP_1) | instskip(SKIP_1) | instid1(VALU_DEP_2)
	v_fma_f32 v1, 0xcf800000, v1, |v0|
	v_ashrrev_i32_e32 v0, 31, v0
	v_cvt_u32_f32_e32 v1, v1
	s_delay_alu instid0(VALU_DEP_1) | instskip(NEXT) | instid1(VALU_DEP_1)
	v_xor_b32_e32 v1, v1, v0
	v_sub_nc_u32_e32 v0, v1, v0
.LBB102_1579:
	s_mov_b32 s38, 0
.LBB102_1580:
	s_delay_alu instid0(SALU_CYCLE_1)
	s_and_not1_b32 vcc_lo, exec_lo, s38
	s_cbranch_vccnz .LBB102_1582
; %bb.1581:
	s_wait_loadcnt 0x0
	global_load_u8 v0, v[2:3], off
	s_wait_loadcnt 0x0
	v_lshlrev_b32_e32 v1, 25, v0
	v_lshlrev_b16 v0, 8, v0
	s_delay_alu instid0(VALU_DEP_1) | instskip(SKIP_1) | instid1(VALU_DEP_2)
	v_and_or_b32 v5, 0x7f00, v0, 0.5
	v_bfe_i32 v0, v0, 0, 16
	v_add_f32_e32 v5, -0.5, v5
	v_lshrrev_b32_e32 v4, 4, v1
	v_cmp_gt_u32_e32 vcc_lo, 0x8000000, v1
	s_delay_alu instid0(VALU_DEP_2) | instskip(NEXT) | instid1(VALU_DEP_1)
	v_or_b32_e32 v4, 0x70000000, v4
	v_mul_f32_e32 v4, 0x7800000, v4
	s_delay_alu instid0(VALU_DEP_1) | instskip(NEXT) | instid1(VALU_DEP_1)
	v_cndmask_b32_e32 v1, v4, v5, vcc_lo
	v_and_or_b32 v0, 0x80000000, v0, v1
	s_delay_alu instid0(VALU_DEP_1) | instskip(NEXT) | instid1(VALU_DEP_1)
	v_trunc_f32_e32 v0, v0
	v_mul_f32_e64 v1, 0x2f800000, |v0|
	s_delay_alu instid0(VALU_DEP_1) | instskip(NEXT) | instid1(VALU_DEP_1)
	v_floor_f32_e32 v1, v1
	v_fma_f32 v1, 0xcf800000, v1, |v0|
	v_ashrrev_i32_e32 v0, 31, v0
	s_delay_alu instid0(VALU_DEP_2) | instskip(NEXT) | instid1(VALU_DEP_1)
	v_cvt_u32_f32_e32 v1, v1
	v_xor_b32_e32 v1, v1, v0
	s_delay_alu instid0(VALU_DEP_1)
	v_sub_nc_u32_e32 v0, v1, v0
.LBB102_1582:
	s_mov_b32 s38, 0
	s_mov_b32 s39, -1
.LBB102_1583:
	s_and_not1_b32 vcc_lo, exec_lo, s38
	s_mov_b32 s38, 0
	s_cbranch_vccnz .LBB102_1594
; %bb.1584:
	s_cmp_gt_i32 s36, 14
	s_cbranch_scc0 .LBB102_1587
; %bb.1585:
	s_cmp_eq_u32 s36, 15
	s_cbranch_scc0 .LBB102_1590
; %bb.1586:
	s_wait_loadcnt 0x0
	global_load_u16 v0, v[2:3], off
	s_mov_b32 s37, 0
	s_mov_b32 s39, -1
	s_wait_loadcnt 0x0
	v_lshlrev_b32_e32 v0, 16, v0
	s_delay_alu instid0(VALU_DEP_1) | instskip(NEXT) | instid1(VALU_DEP_1)
	v_trunc_f32_e32 v0, v0
	v_mul_f32_e64 v1, 0x2f800000, |v0|
	s_delay_alu instid0(VALU_DEP_1) | instskip(NEXT) | instid1(VALU_DEP_1)
	v_floor_f32_e32 v1, v1
	v_fma_f32 v1, 0xcf800000, v1, |v0|
	v_ashrrev_i32_e32 v0, 31, v0
	s_delay_alu instid0(VALU_DEP_2) | instskip(NEXT) | instid1(VALU_DEP_1)
	v_cvt_u32_f32_e32 v1, v1
	v_xor_b32_e32 v1, v1, v0
	s_delay_alu instid0(VALU_DEP_1)
	v_sub_nc_u32_e32 v0, v1, v0
	s_branch .LBB102_1592
.LBB102_1587:
	s_mov_b32 s38, -1
	s_branch .LBB102_1591
.LBB102_1588:
	s_and_not1_saveexec_b32 s38, s38
	s_cbranch_execz .LBB102_1569
.LBB102_1589:
	v_cmp_ne_u16_e32 vcc_lo, 0, v1
	s_and_not1_b32 s39, s39, exec_lo
	s_and_b32 s40, vcc_lo, exec_lo
	s_delay_alu instid0(SALU_CYCLE_1)
	s_or_b32 s39, s39, s40
	s_or_b32 exec_lo, exec_lo, s38
	v_mov_b32_e32 v0, 0
	s_and_saveexec_b32 s38, s39
	s_cbranch_execnz .LBB102_1570
	s_branch .LBB102_1571
.LBB102_1590:
	s_mov_b32 s37, -1
.LBB102_1591:
                                        ; implicit-def: $vgpr0
.LBB102_1592:
	s_and_b32 vcc_lo, exec_lo, s38
	s_mov_b32 s38, 0
	s_cbranch_vccz .LBB102_1594
; %bb.1593:
	s_cmp_lg_u32 s36, 11
	s_mov_b32 s38, -1
	s_cselect_b32 s36, -1, 0
	s_and_not1_b32 s37, s37, exec_lo
	s_and_b32 s36, s36, exec_lo
	s_delay_alu instid0(SALU_CYCLE_1)
	s_or_b32 s37, s37, s36
.LBB102_1594:
	s_mov_b32 s36, 0
.LBB102_1595:
	s_and_not1_b32 s40, s31, exec_lo
	s_and_b32 s37, s37, exec_lo
	s_and_b32 s41, s39, exec_lo
	;; [unrolled: 1-line block ×4, first 2 shown]
	s_or_b32 s40, s40, s37
.LBB102_1596:
	s_wait_xcnt 0x0
	s_or_b32 exec_lo, exec_lo, s20
	s_delay_alu instid0(SALU_CYCLE_1)
	s_and_not1_b32 s20, s31, exec_lo
	s_and_b32 s31, s40, exec_lo
	s_and_b32 s38, s41, exec_lo
	;; [unrolled: 1-line block ×4, first 2 shown]
	s_or_b32 s31, s20, s31
.LBB102_1597:
	s_or_b32 exec_lo, exec_lo, s30
	s_delay_alu instid0(SALU_CYCLE_1)
	s_and_not1_b32 s20, s26, exec_lo
	s_and_b32 s26, s35, exec_lo
	s_and_not1_b32 s28, s28, exec_lo
	s_or_b32 s26, s20, s26
	s_and_not1_b32 s20, s27, exec_lo
	s_and_b32 s27, s34, exec_lo
	s_and_b32 s30, s33, exec_lo
	s_or_b32 s27, s20, s27
	s_and_not1_b32 s20, s25, exec_lo
	s_and_b32 s25, s31, exec_lo
	s_or_b32 s28, s28, s30
	s_and_b32 s34, s38, exec_lo
	s_and_b32 s33, s37, exec_lo
	s_and_b32 s30, s36, exec_lo
	s_or_b32 s25, s20, s25
.LBB102_1598:
	s_or_b32 exec_lo, exec_lo, s29
	s_delay_alu instid0(SALU_CYCLE_1)
	s_and_not1_b32 s19, s19, exec_lo
	s_and_b32 s20, s26, exec_lo
	s_and_not1_b32 s22, s22, exec_lo
	s_or_b32 s19, s19, s20
	s_and_not1_b32 s20, s21, exec_lo
	s_and_b32 s21, s27, exec_lo
	s_and_b32 s26, s28, exec_lo
	s_or_b32 s21, s20, s21
	s_and_not1_b32 s20, s23, exec_lo
	s_and_b32 s23, s25, exec_lo
	s_or_b32 s22, s22, s26
	s_and_b32 s26, s34, exec_lo
	s_and_b32 s27, s33, exec_lo
	;; [unrolled: 1-line block ×3, first 2 shown]
	s_or_b32 s23, s20, s23
	s_or_b32 exec_lo, exec_lo, s24
	s_mov_b32 s20, 0
	s_and_saveexec_b32 s24, s23
	s_cbranch_execz .LBB102_510
.LBB102_1599:
	s_mov_b32 s20, exec_lo
	s_and_not1_b32 s25, s25, exec_lo
	s_trap 2
	s_or_b32 exec_lo, exec_lo, s24
	s_and_saveexec_b32 s23, s25
	s_delay_alu instid0(SALU_CYCLE_1)
	s_xor_b32 s23, exec_lo, s23
	s_cbranch_execnz .LBB102_511
.LBB102_1600:
	s_or_b32 exec_lo, exec_lo, s23
	s_and_saveexec_b32 s23, s27
	s_cbranch_execz .LBB102_1646
.LBB102_1601:
	s_sext_i32_i16 s24, s0
	s_delay_alu instid0(SALU_CYCLE_1)
	s_cmp_lt_i32 s24, 5
	s_cbranch_scc1 .LBB102_1606
; %bb.1602:
	s_cmp_lt_i32 s24, 8
	s_cbranch_scc1 .LBB102_1607
; %bb.1603:
	;; [unrolled: 3-line block ×3, first 2 shown]
	s_cmp_gt_i32 s24, 9
	s_cbranch_scc0 .LBB102_1609
; %bb.1605:
	s_wait_loadcnt 0x0
	global_load_b64 v[0:1], v[2:3], off
	s_mov_b32 s24, 0
	s_wait_loadcnt 0x0
	v_trunc_f64_e32 v[0:1], v[0:1]
	s_delay_alu instid0(VALU_DEP_1) | instskip(NEXT) | instid1(VALU_DEP_1)
	v_ldexp_f64 v[4:5], v[0:1], 0xffffffe0
	v_floor_f64_e32 v[4:5], v[4:5]
	s_delay_alu instid0(VALU_DEP_1) | instskip(NEXT) | instid1(VALU_DEP_1)
	v_fmamk_f64 v[0:1], v[4:5], 0xc1f00000, v[0:1]
	v_cvt_u32_f64_e32 v0, v[0:1]
	s_branch .LBB102_1610
.LBB102_1606:
                                        ; implicit-def: $vgpr0
	s_branch .LBB102_1627
.LBB102_1607:
                                        ; implicit-def: $vgpr0
	s_branch .LBB102_1616
.LBB102_1608:
	s_mov_b32 s24, -1
                                        ; implicit-def: $vgpr0
	s_branch .LBB102_1613
.LBB102_1609:
	s_mov_b32 s24, -1
                                        ; implicit-def: $vgpr0
.LBB102_1610:
	s_delay_alu instid0(SALU_CYCLE_1)
	s_and_not1_b32 vcc_lo, exec_lo, s24
	s_cbranch_vccnz .LBB102_1612
; %bb.1611:
	s_wait_loadcnt 0x0
	global_load_b32 v0, v[2:3], off
	s_wait_loadcnt 0x0
	v_trunc_f32_e32 v0, v0
	s_delay_alu instid0(VALU_DEP_1) | instskip(NEXT) | instid1(VALU_DEP_1)
	v_mul_f32_e64 v1, 0x2f800000, |v0|
	v_floor_f32_e32 v1, v1
	s_delay_alu instid0(VALU_DEP_1) | instskip(SKIP_1) | instid1(VALU_DEP_2)
	v_fma_f32 v1, 0xcf800000, v1, |v0|
	v_ashrrev_i32_e32 v0, 31, v0
	v_cvt_u32_f32_e32 v1, v1
	s_delay_alu instid0(VALU_DEP_1) | instskip(NEXT) | instid1(VALU_DEP_1)
	v_xor_b32_e32 v1, v1, v0
	v_sub_nc_u32_e32 v0, v1, v0
.LBB102_1612:
	s_mov_b32 s24, 0
.LBB102_1613:
	s_delay_alu instid0(SALU_CYCLE_1)
	s_and_not1_b32 vcc_lo, exec_lo, s24
	s_cbranch_vccnz .LBB102_1615
; %bb.1614:
	s_wait_loadcnt 0x0
	global_load_b32 v0, v[2:3], off
	s_wait_loadcnt 0x0
	v_cvt_f32_f16_e32 v0, v0
	s_delay_alu instid0(VALU_DEP_1)
	v_cvt_i32_f32_e32 v0, v0
.LBB102_1615:
	s_cbranch_execnz .LBB102_1626
.LBB102_1616:
	s_sext_i32_i16 s24, s0
	s_delay_alu instid0(SALU_CYCLE_1)
	s_cmp_lt_i32 s24, 6
	s_cbranch_scc1 .LBB102_1619
; %bb.1617:
	s_cmp_gt_i32 s24, 6
	s_cbranch_scc0 .LBB102_1620
; %bb.1618:
	s_wait_loadcnt 0x0
	global_load_b64 v[0:1], v[2:3], off
	s_mov_b32 s24, 0
	s_wait_loadcnt 0x0
	v_trunc_f64_e32 v[0:1], v[0:1]
	s_delay_alu instid0(VALU_DEP_1) | instskip(NEXT) | instid1(VALU_DEP_1)
	v_ldexp_f64 v[4:5], v[0:1], 0xffffffe0
	v_floor_f64_e32 v[4:5], v[4:5]
	s_delay_alu instid0(VALU_DEP_1) | instskip(NEXT) | instid1(VALU_DEP_1)
	v_fmamk_f64 v[0:1], v[4:5], 0xc1f00000, v[0:1]
	v_cvt_u32_f64_e32 v0, v[0:1]
	s_branch .LBB102_1621
.LBB102_1619:
	s_mov_b32 s24, -1
                                        ; implicit-def: $vgpr0
	s_branch .LBB102_1624
.LBB102_1620:
	s_mov_b32 s24, -1
                                        ; implicit-def: $vgpr0
.LBB102_1621:
	s_delay_alu instid0(SALU_CYCLE_1)
	s_and_not1_b32 vcc_lo, exec_lo, s24
	s_cbranch_vccnz .LBB102_1623
; %bb.1622:
	s_wait_loadcnt 0x0
	global_load_b32 v0, v[2:3], off
	s_wait_loadcnt 0x0
	v_trunc_f32_e32 v0, v0
	s_delay_alu instid0(VALU_DEP_1) | instskip(NEXT) | instid1(VALU_DEP_1)
	v_mul_f32_e64 v1, 0x2f800000, |v0|
	v_floor_f32_e32 v1, v1
	s_delay_alu instid0(VALU_DEP_1) | instskip(SKIP_1) | instid1(VALU_DEP_2)
	v_fma_f32 v1, 0xcf800000, v1, |v0|
	v_ashrrev_i32_e32 v0, 31, v0
	v_cvt_u32_f32_e32 v1, v1
	s_delay_alu instid0(VALU_DEP_1) | instskip(NEXT) | instid1(VALU_DEP_1)
	v_xor_b32_e32 v1, v1, v0
	v_sub_nc_u32_e32 v0, v1, v0
.LBB102_1623:
	s_mov_b32 s24, 0
.LBB102_1624:
	s_delay_alu instid0(SALU_CYCLE_1)
	s_and_not1_b32 vcc_lo, exec_lo, s24
	s_cbranch_vccnz .LBB102_1626
; %bb.1625:
	s_wait_loadcnt 0x0
	global_load_u16 v0, v[2:3], off
	s_wait_loadcnt 0x0
	v_cvt_f32_f16_e32 v0, v0
	s_delay_alu instid0(VALU_DEP_1)
	v_cvt_i32_f32_e32 v0, v0
.LBB102_1626:
	s_cbranch_execnz .LBB102_1645
.LBB102_1627:
	s_sext_i32_i16 s24, s0
	s_delay_alu instid0(SALU_CYCLE_1)
	s_cmp_lt_i32 s24, 2
	s_cbranch_scc1 .LBB102_1631
; %bb.1628:
	s_cmp_lt_i32 s24, 3
	s_cbranch_scc1 .LBB102_1632
; %bb.1629:
	s_cmp_gt_i32 s24, 3
	s_cbranch_scc0 .LBB102_1633
; %bb.1630:
	s_wait_loadcnt 0x0
	global_load_b64 v[0:1], v[2:3], off
	s_mov_b32 s24, 0
	s_branch .LBB102_1634
.LBB102_1631:
                                        ; implicit-def: $vgpr0
	s_branch .LBB102_1640
.LBB102_1632:
	s_mov_b32 s24, -1
                                        ; implicit-def: $vgpr0
	s_branch .LBB102_1637
.LBB102_1633:
	s_mov_b32 s24, -1
                                        ; implicit-def: $vgpr0
.LBB102_1634:
	s_delay_alu instid0(SALU_CYCLE_1)
	s_and_not1_b32 vcc_lo, exec_lo, s24
	s_cbranch_vccnz .LBB102_1636
; %bb.1635:
	s_wait_loadcnt 0x0
	global_load_b32 v0, v[2:3], off
.LBB102_1636:
	s_mov_b32 s24, 0
.LBB102_1637:
	s_delay_alu instid0(SALU_CYCLE_1)
	s_and_not1_b32 vcc_lo, exec_lo, s24
	s_cbranch_vccnz .LBB102_1639
; %bb.1638:
	s_wait_loadcnt 0x0
	global_load_u16 v0, v[2:3], off
.LBB102_1639:
	s_cbranch_execnz .LBB102_1645
.LBB102_1640:
	s_sext_i32_i16 s0, s0
	s_delay_alu instid0(SALU_CYCLE_1)
	s_cmp_gt_i32 s0, 0
	s_mov_b32 s0, 0
	s_cbranch_scc0 .LBB102_1642
; %bb.1641:
	s_wait_loadcnt 0x0
	global_load_u8 v0, v[2:3], off
	s_branch .LBB102_1643
.LBB102_1642:
	s_mov_b32 s0, -1
                                        ; implicit-def: $vgpr0
.LBB102_1643:
	s_delay_alu instid0(SALU_CYCLE_1)
	s_and_not1_b32 vcc_lo, exec_lo, s0
	s_cbranch_vccnz .LBB102_1645
; %bb.1644:
	s_wait_loadcnt 0x0
	global_load_u8 v0, v[2:3], off
.LBB102_1645:
	s_or_b32 s26, s26, exec_lo
.LBB102_1646:
	s_wait_xcnt 0x0
	s_or_b32 exec_lo, exec_lo, s23
	s_mov_b32 s25, 0
	s_mov_b32 s27, 0
	;; [unrolled: 1-line block ×3, first 2 shown]
                                        ; implicit-def: $sgpr0
                                        ; implicit-def: $vgpr4_vgpr5
                                        ; implicit-def: $vgpr2
	s_and_saveexec_b32 s23, s26
	s_cbranch_execz .LBB102_1654
; %bb.1647:
	s_wait_loadcnt 0x0
	v_mul_lo_u32 v2, v26, s14
	s_and_b32 s0, s3, 0xff
	s_delay_alu instid0(SALU_CYCLE_1) | instskip(NEXT) | instid1(VALU_DEP_1)
	s_cmp_lt_i32 s0, 11
	v_ashrrev_i32_e32 v3, 31, v2
	s_delay_alu instid0(VALU_DEP_1)
	v_add_nc_u64_e32 v[4:5], s[8:9], v[2:3]
	s_cbranch_scc1 .LBB102_1657
; %bb.1648:
	s_and_b32 s24, 0xffff, s0
	s_mov_b32 s26, 0
	s_cmp_gt_i32 s24, 25
	s_cbranch_scc0 .LBB102_1658
; %bb.1649:
	s_cmp_gt_i32 s24, 28
	s_cbranch_scc0 .LBB102_1659
; %bb.1650:
	s_cmp_gt_i32 s24, 43
	s_cbranch_scc0 .LBB102_1660
; %bb.1651:
	s_cmp_gt_i32 s24, 45
	s_cbranch_scc0 .LBB102_1661
; %bb.1652:
	s_cmp_eq_u32 s24, 46
	s_mov_b32 s28, 0
	s_cbranch_scc0 .LBB102_1662
; %bb.1653:
	global_load_b32 v1, v[4:5], off
	s_mov_b32 s27, -1
	s_wait_loadcnt 0x0
	v_lshlrev_b32_e32 v1, 16, v1
	s_delay_alu instid0(VALU_DEP_1) | instskip(NEXT) | instid1(VALU_DEP_1)
	v_trunc_f32_e32 v1, v1
	v_mul_f32_e64 v2, 0x2f800000, |v1|
	s_delay_alu instid0(VALU_DEP_1) | instskip(NEXT) | instid1(VALU_DEP_1)
	v_floor_f32_e32 v2, v2
	v_fma_f32 v2, 0xcf800000, v2, |v1|
	v_ashrrev_i32_e32 v1, 31, v1
	s_delay_alu instid0(VALU_DEP_2) | instskip(NEXT) | instid1(VALU_DEP_1)
	v_cvt_u32_f32_e32 v2, v2
	v_xor_b32_e32 v2, v2, v1
	s_delay_alu instid0(VALU_DEP_1)
	v_sub_nc_u32_e32 v2, v2, v1
	s_branch .LBB102_1664
.LBB102_1654:
	s_or_b32 exec_lo, exec_lo, s23
	s_and_saveexec_b32 s23, s22
	s_cbranch_execnz .LBB102_1723
.LBB102_1655:
	s_or_b32 exec_lo, exec_lo, s23
	s_and_saveexec_b32 s22, s25
	s_delay_alu instid0(SALU_CYCLE_1)
	s_xor_b32 s22, exec_lo, s22
	s_cbranch_execz .LBB102_1724
.LBB102_1656:
	s_wait_loadcnt 0x0
	global_load_u8 v1, v[4:5], off
	s_or_b32 s24, s24, exec_lo
	s_wait_loadcnt 0x0
	v_cmp_ne_u16_e32 vcc_lo, 0, v1
	v_cndmask_b32_e64 v2, 0, 1, vcc_lo
	s_wait_xcnt 0x0
	s_or_b32 exec_lo, exec_lo, s22
	s_and_saveexec_b32 s22, s27
	s_cbranch_execz .LBB102_1770
	s_branch .LBB102_1725
.LBB102_1657:
	s_mov_b32 s28, -1
	s_mov_b32 s26, 0
	s_mov_b32 s25, s22
                                        ; implicit-def: $vgpr2
	s_branch .LBB102_1722
.LBB102_1658:
	s_mov_b32 s25, s22
                                        ; implicit-def: $vgpr2
	s_cbranch_execnz .LBB102_1691
	s_branch .LBB102_1721
.LBB102_1659:
	s_mov_b32 s28, -1
	s_mov_b32 s25, s22
                                        ; implicit-def: $vgpr2
	s_branch .LBB102_1674
.LBB102_1660:
	s_mov_b32 s28, -1
	s_mov_b32 s25, s22
                                        ; implicit-def: $vgpr2
	s_branch .LBB102_1669
.LBB102_1661:
	s_mov_b32 s28, -1
	s_mov_b32 s25, s22
	s_branch .LBB102_1663
.LBB102_1662:
	s_mov_b32 s25, -1
.LBB102_1663:
                                        ; implicit-def: $vgpr2
.LBB102_1664:
	s_and_b32 vcc_lo, exec_lo, s28
	s_cbranch_vccz .LBB102_1668
; %bb.1665:
	s_cmp_eq_u32 s24, 44
	s_cbranch_scc0 .LBB102_1667
; %bb.1666:
	global_load_u8 v1, v[4:5], off
	s_mov_b32 s25, 0
	s_mov_b32 s27, -1
	s_wait_loadcnt 0x0
	v_lshlrev_b32_e32 v2, 23, v1
	v_cmp_ne_u32_e32 vcc_lo, 0, v1
	s_delay_alu instid0(VALU_DEP_2) | instskip(NEXT) | instid1(VALU_DEP_1)
	v_trunc_f32_e32 v2, v2
	v_mul_f32_e64 v3, 0x2f800000, |v2|
	s_delay_alu instid0(VALU_DEP_1) | instskip(NEXT) | instid1(VALU_DEP_1)
	v_floor_f32_e32 v3, v3
	v_fma_f32 v3, 0xcf800000, v3, |v2|
	v_ashrrev_i32_e32 v2, 31, v2
	s_delay_alu instid0(VALU_DEP_2) | instskip(NEXT) | instid1(VALU_DEP_1)
	v_cvt_u32_f32_e32 v3, v3
	v_xor_b32_e32 v3, v3, v2
	s_delay_alu instid0(VALU_DEP_1) | instskip(NEXT) | instid1(VALU_DEP_1)
	v_sub_nc_u32_e32 v2, v3, v2
	v_cndmask_b32_e32 v2, 0, v2, vcc_lo
	s_branch .LBB102_1668
.LBB102_1667:
	s_mov_b32 s25, -1
                                        ; implicit-def: $vgpr2
.LBB102_1668:
	s_mov_b32 s28, 0
.LBB102_1669:
	s_delay_alu instid0(SALU_CYCLE_1)
	s_and_b32 vcc_lo, exec_lo, s28
	s_cbranch_vccz .LBB102_1673
; %bb.1670:
	s_cmp_eq_u32 s24, 29
	s_cbranch_scc0 .LBB102_1672
; %bb.1671:
	global_load_b64 v[2:3], v[4:5], off
	s_mov_b32 s25, 0
	s_mov_b32 s27, -1
	s_branch .LBB102_1673
.LBB102_1672:
	s_mov_b32 s25, -1
                                        ; implicit-def: $vgpr2
.LBB102_1673:
	s_mov_b32 s28, 0
.LBB102_1674:
	s_delay_alu instid0(SALU_CYCLE_1)
	s_and_b32 vcc_lo, exec_lo, s28
	s_cbranch_vccz .LBB102_1690
; %bb.1675:
	s_cmp_lt_i32 s24, 27
	s_cbranch_scc1 .LBB102_1678
; %bb.1676:
	s_cmp_gt_i32 s24, 27
	s_cbranch_scc0 .LBB102_1679
; %bb.1677:
	s_wait_loadcnt 0x0
	global_load_b32 v2, v[4:5], off
	s_mov_b32 s27, 0
	s_branch .LBB102_1680
.LBB102_1678:
	s_mov_b32 s27, -1
                                        ; implicit-def: $vgpr2
	s_branch .LBB102_1683
.LBB102_1679:
	s_mov_b32 s27, -1
                                        ; implicit-def: $vgpr2
.LBB102_1680:
	s_delay_alu instid0(SALU_CYCLE_1)
	s_and_not1_b32 vcc_lo, exec_lo, s27
	s_cbranch_vccnz .LBB102_1682
; %bb.1681:
	s_wait_loadcnt 0x0
	global_load_u16 v2, v[4:5], off
.LBB102_1682:
	s_mov_b32 s27, 0
.LBB102_1683:
	s_delay_alu instid0(SALU_CYCLE_1)
	s_and_not1_b32 vcc_lo, exec_lo, s27
	s_cbranch_vccnz .LBB102_1689
; %bb.1684:
	global_load_u8 v1, v[4:5], off
	s_mov_b32 s28, 0
	s_mov_b32 s27, exec_lo
	s_wait_loadcnt 0x0
	v_cmpx_lt_i16_e32 0x7f, v1
	s_xor_b32 s27, exec_lo, s27
	s_cbranch_execz .LBB102_1700
; %bb.1685:
	v_cmp_ne_u16_e32 vcc_lo, 0x80, v1
	s_and_b32 s28, vcc_lo, exec_lo
	s_and_not1_saveexec_b32 s27, s27
	s_cbranch_execnz .LBB102_1701
.LBB102_1686:
	s_or_b32 exec_lo, exec_lo, s27
	v_mov_b32_e32 v2, 0
	s_and_saveexec_b32 s27, s28
	s_cbranch_execz .LBB102_1688
.LBB102_1687:
	v_and_b32_e32 v2, 0xffff, v1
	s_delay_alu instid0(VALU_DEP_1) | instskip(SKIP_1) | instid1(VALU_DEP_2)
	v_dual_lshlrev_b32 v1, 24, v1 :: v_dual_bitop2_b32 v3, 7, v2 bitop3:0x40
	v_bfe_u32 v8, v2, 3, 4
	v_and_b32_e32 v1, 0x80000000, v1
	s_delay_alu instid0(VALU_DEP_3) | instskip(NEXT) | instid1(VALU_DEP_3)
	v_clz_i32_u32_e32 v6, v3
	v_cmp_eq_u32_e32 vcc_lo, 0, v8
	s_delay_alu instid0(VALU_DEP_2) | instskip(NEXT) | instid1(VALU_DEP_1)
	v_min_u32_e32 v6, 32, v6
	v_subrev_nc_u32_e32 v7, 28, v6
	v_sub_nc_u32_e32 v6, 29, v6
	s_delay_alu instid0(VALU_DEP_2) | instskip(NEXT) | instid1(VALU_DEP_2)
	v_lshlrev_b32_e32 v2, v7, v2
	v_cndmask_b32_e32 v6, v8, v6, vcc_lo
	s_delay_alu instid0(VALU_DEP_2) | instskip(NEXT) | instid1(VALU_DEP_1)
	v_and_b32_e32 v2, 7, v2
	v_cndmask_b32_e32 v2, v3, v2, vcc_lo
	s_delay_alu instid0(VALU_DEP_3) | instskip(NEXT) | instid1(VALU_DEP_2)
	v_lshl_add_u32 v3, v6, 23, 0x3b800000
	v_lshlrev_b32_e32 v2, 20, v2
	s_delay_alu instid0(VALU_DEP_1) | instskip(NEXT) | instid1(VALU_DEP_1)
	v_or3_b32 v1, v1, v3, v2
	v_trunc_f32_e32 v1, v1
	s_delay_alu instid0(VALU_DEP_1) | instskip(NEXT) | instid1(VALU_DEP_1)
	v_mul_f32_e64 v2, 0x2f800000, |v1|
	v_floor_f32_e32 v2, v2
	s_delay_alu instid0(VALU_DEP_1) | instskip(SKIP_1) | instid1(VALU_DEP_2)
	v_fma_f32 v2, 0xcf800000, v2, |v1|
	v_ashrrev_i32_e32 v1, 31, v1
	v_cvt_u32_f32_e32 v2, v2
	s_delay_alu instid0(VALU_DEP_1) | instskip(NEXT) | instid1(VALU_DEP_1)
	v_xor_b32_e32 v2, v2, v1
	v_sub_nc_u32_e32 v2, v2, v1
.LBB102_1688:
	s_or_b32 exec_lo, exec_lo, s27
.LBB102_1689:
	s_mov_b32 s27, -1
.LBB102_1690:
	s_branch .LBB102_1721
.LBB102_1691:
	s_cmp_gt_i32 s24, 22
	s_cbranch_scc0 .LBB102_1699
; %bb.1692:
	s_cmp_lt_i32 s24, 24
	s_cbranch_scc1 .LBB102_1702
; %bb.1693:
	s_cmp_gt_i32 s24, 24
	s_cbranch_scc0 .LBB102_1703
; %bb.1694:
	global_load_u8 v1, v[4:5], off
	s_mov_b32 s27, 0
	s_mov_b32 s26, exec_lo
	s_wait_loadcnt 0x0
	v_cmpx_lt_i16_e32 0x7f, v1
	s_xor_b32 s26, exec_lo, s26
	s_cbranch_execz .LBB102_1715
; %bb.1695:
	v_cmp_ne_u16_e32 vcc_lo, 0x80, v1
	s_and_b32 s27, vcc_lo, exec_lo
	s_and_not1_saveexec_b32 s26, s26
	s_cbranch_execnz .LBB102_1716
.LBB102_1696:
	s_or_b32 exec_lo, exec_lo, s26
	v_mov_b32_e32 v2, 0
	s_and_saveexec_b32 s26, s27
	s_cbranch_execz .LBB102_1698
.LBB102_1697:
	v_and_b32_e32 v2, 0xffff, v1
	s_delay_alu instid0(VALU_DEP_1) | instskip(SKIP_1) | instid1(VALU_DEP_2)
	v_dual_lshlrev_b32 v1, 24, v1 :: v_dual_bitop2_b32 v3, 3, v2 bitop3:0x40
	v_bfe_u32 v8, v2, 2, 5
	v_and_b32_e32 v1, 0x80000000, v1
	s_delay_alu instid0(VALU_DEP_3) | instskip(NEXT) | instid1(VALU_DEP_3)
	v_clz_i32_u32_e32 v6, v3
	v_cmp_eq_u32_e32 vcc_lo, 0, v8
	s_delay_alu instid0(VALU_DEP_2) | instskip(NEXT) | instid1(VALU_DEP_1)
	v_min_u32_e32 v6, 32, v6
	v_subrev_nc_u32_e32 v7, 29, v6
	v_sub_nc_u32_e32 v6, 30, v6
	s_delay_alu instid0(VALU_DEP_2) | instskip(NEXT) | instid1(VALU_DEP_2)
	v_lshlrev_b32_e32 v2, v7, v2
	v_cndmask_b32_e32 v6, v8, v6, vcc_lo
	s_delay_alu instid0(VALU_DEP_2) | instskip(NEXT) | instid1(VALU_DEP_1)
	v_and_b32_e32 v2, 3, v2
	v_cndmask_b32_e32 v2, v3, v2, vcc_lo
	s_delay_alu instid0(VALU_DEP_3) | instskip(NEXT) | instid1(VALU_DEP_2)
	v_lshl_add_u32 v3, v6, 23, 0x37800000
	v_lshlrev_b32_e32 v2, 21, v2
	s_delay_alu instid0(VALU_DEP_1) | instskip(NEXT) | instid1(VALU_DEP_1)
	v_or3_b32 v1, v1, v3, v2
	v_trunc_f32_e32 v1, v1
	s_delay_alu instid0(VALU_DEP_1) | instskip(NEXT) | instid1(VALU_DEP_1)
	v_mul_f32_e64 v2, 0x2f800000, |v1|
	v_floor_f32_e32 v2, v2
	s_delay_alu instid0(VALU_DEP_1) | instskip(SKIP_1) | instid1(VALU_DEP_2)
	v_fma_f32 v2, 0xcf800000, v2, |v1|
	v_ashrrev_i32_e32 v1, 31, v1
	v_cvt_u32_f32_e32 v2, v2
	s_delay_alu instid0(VALU_DEP_1) | instskip(NEXT) | instid1(VALU_DEP_1)
	v_xor_b32_e32 v2, v2, v1
	v_sub_nc_u32_e32 v2, v2, v1
.LBB102_1698:
	s_or_b32 exec_lo, exec_lo, s26
	s_mov_b32 s26, 0
	s_branch .LBB102_1704
.LBB102_1699:
	s_mov_b32 s26, -1
                                        ; implicit-def: $vgpr2
	s_branch .LBB102_1710
.LBB102_1700:
	s_and_not1_saveexec_b32 s27, s27
	s_cbranch_execz .LBB102_1686
.LBB102_1701:
	v_cmp_ne_u16_e32 vcc_lo, 0, v1
	s_and_not1_b32 s28, s28, exec_lo
	s_and_b32 s29, vcc_lo, exec_lo
	s_delay_alu instid0(SALU_CYCLE_1)
	s_or_b32 s28, s28, s29
	s_or_b32 exec_lo, exec_lo, s27
	v_mov_b32_e32 v2, 0
	s_and_saveexec_b32 s27, s28
	s_cbranch_execnz .LBB102_1687
	s_branch .LBB102_1688
.LBB102_1702:
	s_mov_b32 s26, -1
                                        ; implicit-def: $vgpr2
	s_branch .LBB102_1707
.LBB102_1703:
	s_mov_b32 s26, -1
                                        ; implicit-def: $vgpr2
.LBB102_1704:
	s_delay_alu instid0(SALU_CYCLE_1)
	s_and_b32 vcc_lo, exec_lo, s26
	s_cbranch_vccz .LBB102_1706
; %bb.1705:
	global_load_u8 v1, v[4:5], off
	s_wait_loadcnt 0x0
	v_lshlrev_b32_e32 v1, 24, v1
	s_delay_alu instid0(VALU_DEP_1) | instskip(NEXT) | instid1(VALU_DEP_1)
	v_and_b32_e32 v2, 0x7f000000, v1
	v_clz_i32_u32_e32 v3, v2
	v_cmp_ne_u32_e32 vcc_lo, 0, v2
	v_add_nc_u32_e32 v7, 0x1000000, v2
	s_delay_alu instid0(VALU_DEP_3) | instskip(NEXT) | instid1(VALU_DEP_1)
	v_min_u32_e32 v3, 32, v3
	v_sub_nc_u32_e64 v3, v3, 4 clamp
	s_delay_alu instid0(VALU_DEP_1) | instskip(NEXT) | instid1(VALU_DEP_1)
	v_dual_lshlrev_b32 v6, v3, v2 :: v_dual_lshlrev_b32 v3, 23, v3
	v_lshrrev_b32_e32 v6, 4, v6
	s_delay_alu instid0(VALU_DEP_1) | instskip(SKIP_1) | instid1(VALU_DEP_2)
	v_sub_nc_u32_e32 v3, v6, v3
	v_ashrrev_i32_e32 v6, 8, v7
	v_add_nc_u32_e32 v3, 0x3c000000, v3
	s_delay_alu instid0(VALU_DEP_1) | instskip(NEXT) | instid1(VALU_DEP_1)
	v_and_or_b32 v3, 0x7f800000, v6, v3
	v_cndmask_b32_e32 v2, 0, v3, vcc_lo
	s_delay_alu instid0(VALU_DEP_1) | instskip(NEXT) | instid1(VALU_DEP_1)
	v_and_or_b32 v1, 0x80000000, v1, v2
	v_trunc_f32_e32 v1, v1
	s_delay_alu instid0(VALU_DEP_1) | instskip(NEXT) | instid1(VALU_DEP_1)
	v_mul_f32_e64 v2, 0x2f800000, |v1|
	v_floor_f32_e32 v2, v2
	s_delay_alu instid0(VALU_DEP_1) | instskip(SKIP_1) | instid1(VALU_DEP_2)
	v_fma_f32 v2, 0xcf800000, v2, |v1|
	v_ashrrev_i32_e32 v1, 31, v1
	v_cvt_u32_f32_e32 v2, v2
	s_delay_alu instid0(VALU_DEP_1) | instskip(NEXT) | instid1(VALU_DEP_1)
	v_xor_b32_e32 v2, v2, v1
	v_sub_nc_u32_e32 v2, v2, v1
.LBB102_1706:
	s_mov_b32 s26, 0
.LBB102_1707:
	s_delay_alu instid0(SALU_CYCLE_1)
	s_and_not1_b32 vcc_lo, exec_lo, s26
	s_cbranch_vccnz .LBB102_1709
; %bb.1708:
	global_load_u8 v1, v[4:5], off
	s_wait_loadcnt 0x0
	v_lshlrev_b32_e32 v2, 25, v1
	v_lshlrev_b16 v1, 8, v1
	s_delay_alu instid0(VALU_DEP_1) | instskip(SKIP_1) | instid1(VALU_DEP_2)
	v_and_or_b32 v6, 0x7f00, v1, 0.5
	v_bfe_i32 v1, v1, 0, 16
	v_add_f32_e32 v6, -0.5, v6
	v_lshrrev_b32_e32 v3, 4, v2
	v_cmp_gt_u32_e32 vcc_lo, 0x8000000, v2
	s_delay_alu instid0(VALU_DEP_2) | instskip(NEXT) | instid1(VALU_DEP_1)
	v_or_b32_e32 v3, 0x70000000, v3
	v_mul_f32_e32 v3, 0x7800000, v3
	s_delay_alu instid0(VALU_DEP_1) | instskip(NEXT) | instid1(VALU_DEP_1)
	v_cndmask_b32_e32 v2, v3, v6, vcc_lo
	v_and_or_b32 v1, 0x80000000, v1, v2
	s_delay_alu instid0(VALU_DEP_1) | instskip(NEXT) | instid1(VALU_DEP_1)
	v_trunc_f32_e32 v1, v1
	v_mul_f32_e64 v2, 0x2f800000, |v1|
	s_delay_alu instid0(VALU_DEP_1) | instskip(NEXT) | instid1(VALU_DEP_1)
	v_floor_f32_e32 v2, v2
	v_fma_f32 v2, 0xcf800000, v2, |v1|
	v_ashrrev_i32_e32 v1, 31, v1
	s_delay_alu instid0(VALU_DEP_2) | instskip(NEXT) | instid1(VALU_DEP_1)
	v_cvt_u32_f32_e32 v2, v2
	v_xor_b32_e32 v2, v2, v1
	s_delay_alu instid0(VALU_DEP_1)
	v_sub_nc_u32_e32 v2, v2, v1
.LBB102_1709:
	s_mov_b32 s26, 0
	s_mov_b32 s27, -1
.LBB102_1710:
	s_and_not1_b32 vcc_lo, exec_lo, s26
	s_mov_b32 s26, 0
	s_cbranch_vccnz .LBB102_1721
; %bb.1711:
	s_cmp_gt_i32 s24, 14
	s_cbranch_scc0 .LBB102_1714
; %bb.1712:
	s_cmp_eq_u32 s24, 15
	s_cbranch_scc0 .LBB102_1717
; %bb.1713:
	global_load_u16 v1, v[4:5], off
	s_mov_b32 s25, 0
	s_mov_b32 s27, -1
	s_wait_loadcnt 0x0
	v_lshlrev_b32_e32 v1, 16, v1
	s_delay_alu instid0(VALU_DEP_1) | instskip(NEXT) | instid1(VALU_DEP_1)
	v_trunc_f32_e32 v1, v1
	v_mul_f32_e64 v2, 0x2f800000, |v1|
	s_delay_alu instid0(VALU_DEP_1) | instskip(NEXT) | instid1(VALU_DEP_1)
	v_floor_f32_e32 v2, v2
	v_fma_f32 v2, 0xcf800000, v2, |v1|
	v_ashrrev_i32_e32 v1, 31, v1
	s_delay_alu instid0(VALU_DEP_2) | instskip(NEXT) | instid1(VALU_DEP_1)
	v_cvt_u32_f32_e32 v2, v2
	v_xor_b32_e32 v2, v2, v1
	s_delay_alu instid0(VALU_DEP_1)
	v_sub_nc_u32_e32 v2, v2, v1
	s_branch .LBB102_1719
.LBB102_1714:
	s_mov_b32 s26, -1
	s_branch .LBB102_1718
.LBB102_1715:
	s_and_not1_saveexec_b32 s26, s26
	s_cbranch_execz .LBB102_1696
.LBB102_1716:
	v_cmp_ne_u16_e32 vcc_lo, 0, v1
	s_and_not1_b32 s27, s27, exec_lo
	s_and_b32 s28, vcc_lo, exec_lo
	s_delay_alu instid0(SALU_CYCLE_1)
	s_or_b32 s27, s27, s28
	s_or_b32 exec_lo, exec_lo, s26
	v_mov_b32_e32 v2, 0
	s_and_saveexec_b32 s26, s27
	s_cbranch_execnz .LBB102_1697
	s_branch .LBB102_1698
.LBB102_1717:
	s_mov_b32 s25, -1
.LBB102_1718:
                                        ; implicit-def: $vgpr2
.LBB102_1719:
	s_and_b32 vcc_lo, exec_lo, s26
	s_mov_b32 s26, 0
	s_cbranch_vccz .LBB102_1721
; %bb.1720:
	s_cmp_lg_u32 s24, 11
	s_mov_b32 s26, -1
	s_cselect_b32 s24, -1, 0
	s_and_not1_b32 s25, s25, exec_lo
	s_and_b32 s24, s24, exec_lo
	s_delay_alu instid0(SALU_CYCLE_1)
	s_or_b32 s25, s25, s24
.LBB102_1721:
	s_mov_b32 s28, 0
.LBB102_1722:
	s_and_b32 s24, s27, exec_lo
	s_and_b32 s27, s28, exec_lo
	s_and_not1_b32 s22, s22, exec_lo
	s_and_b32 s28, s25, exec_lo
	s_and_b32 s25, s26, exec_lo
	s_or_b32 s22, s22, s28
	s_wait_xcnt 0x0
	s_or_b32 exec_lo, exec_lo, s23
	s_and_saveexec_b32 s23, s22
	s_cbranch_execz .LBB102_1655
.LBB102_1723:
	s_or_b32 s20, s20, exec_lo
	s_and_not1_b32 s25, s25, exec_lo
	s_trap 2
	s_or_b32 exec_lo, exec_lo, s23
	s_and_saveexec_b32 s22, s25
	s_delay_alu instid0(SALU_CYCLE_1)
	s_xor_b32 s22, exec_lo, s22
	s_cbranch_execnz .LBB102_1656
.LBB102_1724:
	s_or_b32 exec_lo, exec_lo, s22
	s_and_saveexec_b32 s22, s27
	s_cbranch_execz .LBB102_1770
.LBB102_1725:
	s_sext_i32_i16 s23, s0
	s_delay_alu instid0(SALU_CYCLE_1)
	s_cmp_lt_i32 s23, 5
	s_cbranch_scc1 .LBB102_1730
; %bb.1726:
	s_cmp_lt_i32 s23, 8
	s_cbranch_scc1 .LBB102_1731
; %bb.1727:
	;; [unrolled: 3-line block ×3, first 2 shown]
	s_cmp_gt_i32 s23, 9
	s_cbranch_scc0 .LBB102_1733
; %bb.1729:
	s_wait_loadcnt 0x0
	global_load_b64 v[2:3], v[4:5], off
	s_mov_b32 s23, 0
	s_wait_loadcnt 0x0
	v_trunc_f64_e32 v[2:3], v[2:3]
	s_delay_alu instid0(VALU_DEP_1) | instskip(NEXT) | instid1(VALU_DEP_1)
	v_ldexp_f64 v[6:7], v[2:3], 0xffffffe0
	v_floor_f64_e32 v[6:7], v[6:7]
	s_delay_alu instid0(VALU_DEP_1) | instskip(NEXT) | instid1(VALU_DEP_1)
	v_fmamk_f64 v[2:3], v[6:7], 0xc1f00000, v[2:3]
	v_cvt_u32_f64_e32 v2, v[2:3]
	s_branch .LBB102_1734
.LBB102_1730:
                                        ; implicit-def: $vgpr2
	s_branch .LBB102_1751
.LBB102_1731:
                                        ; implicit-def: $vgpr2
	s_branch .LBB102_1740
.LBB102_1732:
	s_mov_b32 s23, -1
                                        ; implicit-def: $vgpr2
	s_branch .LBB102_1737
.LBB102_1733:
	s_mov_b32 s23, -1
                                        ; implicit-def: $vgpr2
.LBB102_1734:
	s_delay_alu instid0(SALU_CYCLE_1)
	s_and_not1_b32 vcc_lo, exec_lo, s23
	s_cbranch_vccnz .LBB102_1736
; %bb.1735:
	s_wait_loadcnt 0x0
	global_load_b32 v1, v[4:5], off
	s_wait_loadcnt 0x0
	v_trunc_f32_e32 v1, v1
	s_delay_alu instid0(VALU_DEP_1) | instskip(NEXT) | instid1(VALU_DEP_1)
	v_mul_f32_e64 v2, 0x2f800000, |v1|
	v_floor_f32_e32 v2, v2
	s_delay_alu instid0(VALU_DEP_1) | instskip(SKIP_1) | instid1(VALU_DEP_2)
	v_fma_f32 v2, 0xcf800000, v2, |v1|
	v_ashrrev_i32_e32 v1, 31, v1
	v_cvt_u32_f32_e32 v2, v2
	s_delay_alu instid0(VALU_DEP_1) | instskip(NEXT) | instid1(VALU_DEP_1)
	v_xor_b32_e32 v2, v2, v1
	v_sub_nc_u32_e32 v2, v2, v1
.LBB102_1736:
	s_mov_b32 s23, 0
.LBB102_1737:
	s_delay_alu instid0(SALU_CYCLE_1)
	s_and_not1_b32 vcc_lo, exec_lo, s23
	s_cbranch_vccnz .LBB102_1739
; %bb.1738:
	s_wait_loadcnt 0x0
	global_load_b32 v1, v[4:5], off
	s_wait_loadcnt 0x0
	v_cvt_f32_f16_e32 v1, v1
	s_delay_alu instid0(VALU_DEP_1)
	v_cvt_i32_f32_e32 v2, v1
.LBB102_1739:
	s_cbranch_execnz .LBB102_1750
.LBB102_1740:
	s_sext_i32_i16 s23, s0
	s_delay_alu instid0(SALU_CYCLE_1)
	s_cmp_lt_i32 s23, 6
	s_cbranch_scc1 .LBB102_1743
; %bb.1741:
	s_cmp_gt_i32 s23, 6
	s_cbranch_scc0 .LBB102_1744
; %bb.1742:
	s_wait_loadcnt 0x0
	global_load_b64 v[2:3], v[4:5], off
	s_mov_b32 s23, 0
	s_wait_loadcnt 0x0
	v_trunc_f64_e32 v[2:3], v[2:3]
	s_delay_alu instid0(VALU_DEP_1) | instskip(NEXT) | instid1(VALU_DEP_1)
	v_ldexp_f64 v[6:7], v[2:3], 0xffffffe0
	v_floor_f64_e32 v[6:7], v[6:7]
	s_delay_alu instid0(VALU_DEP_1) | instskip(NEXT) | instid1(VALU_DEP_1)
	v_fmamk_f64 v[2:3], v[6:7], 0xc1f00000, v[2:3]
	v_cvt_u32_f64_e32 v2, v[2:3]
	s_branch .LBB102_1745
.LBB102_1743:
	s_mov_b32 s23, -1
                                        ; implicit-def: $vgpr2
	s_branch .LBB102_1748
.LBB102_1744:
	s_mov_b32 s23, -1
                                        ; implicit-def: $vgpr2
.LBB102_1745:
	s_delay_alu instid0(SALU_CYCLE_1)
	s_and_not1_b32 vcc_lo, exec_lo, s23
	s_cbranch_vccnz .LBB102_1747
; %bb.1746:
	s_wait_loadcnt 0x0
	global_load_b32 v1, v[4:5], off
	s_wait_loadcnt 0x0
	v_trunc_f32_e32 v1, v1
	s_delay_alu instid0(VALU_DEP_1) | instskip(NEXT) | instid1(VALU_DEP_1)
	v_mul_f32_e64 v2, 0x2f800000, |v1|
	v_floor_f32_e32 v2, v2
	s_delay_alu instid0(VALU_DEP_1) | instskip(SKIP_1) | instid1(VALU_DEP_2)
	v_fma_f32 v2, 0xcf800000, v2, |v1|
	v_ashrrev_i32_e32 v1, 31, v1
	v_cvt_u32_f32_e32 v2, v2
	s_delay_alu instid0(VALU_DEP_1) | instskip(NEXT) | instid1(VALU_DEP_1)
	v_xor_b32_e32 v2, v2, v1
	v_sub_nc_u32_e32 v2, v2, v1
.LBB102_1747:
	s_mov_b32 s23, 0
.LBB102_1748:
	s_delay_alu instid0(SALU_CYCLE_1)
	s_and_not1_b32 vcc_lo, exec_lo, s23
	s_cbranch_vccnz .LBB102_1750
; %bb.1749:
	s_wait_loadcnt 0x0
	global_load_u16 v1, v[4:5], off
	s_wait_loadcnt 0x0
	v_cvt_f32_f16_e32 v1, v1
	s_delay_alu instid0(VALU_DEP_1)
	v_cvt_i32_f32_e32 v2, v1
.LBB102_1750:
	s_cbranch_execnz .LBB102_1769
.LBB102_1751:
	s_sext_i32_i16 s23, s0
	s_delay_alu instid0(SALU_CYCLE_1)
	s_cmp_lt_i32 s23, 2
	s_cbranch_scc1 .LBB102_1755
; %bb.1752:
	s_cmp_lt_i32 s23, 3
	s_cbranch_scc1 .LBB102_1756
; %bb.1753:
	s_cmp_gt_i32 s23, 3
	s_cbranch_scc0 .LBB102_1757
; %bb.1754:
	s_wait_loadcnt 0x0
	global_load_b64 v[2:3], v[4:5], off
	s_mov_b32 s23, 0
	s_branch .LBB102_1758
.LBB102_1755:
                                        ; implicit-def: $vgpr2
	s_branch .LBB102_1764
.LBB102_1756:
	s_mov_b32 s23, -1
                                        ; implicit-def: $vgpr2
	s_branch .LBB102_1761
.LBB102_1757:
	s_mov_b32 s23, -1
                                        ; implicit-def: $vgpr2
.LBB102_1758:
	s_delay_alu instid0(SALU_CYCLE_1)
	s_and_not1_b32 vcc_lo, exec_lo, s23
	s_cbranch_vccnz .LBB102_1760
; %bb.1759:
	s_wait_loadcnt 0x0
	global_load_b32 v2, v[4:5], off
.LBB102_1760:
	s_mov_b32 s23, 0
.LBB102_1761:
	s_delay_alu instid0(SALU_CYCLE_1)
	s_and_not1_b32 vcc_lo, exec_lo, s23
	s_cbranch_vccnz .LBB102_1763
; %bb.1762:
	s_wait_loadcnt 0x0
	global_load_u16 v2, v[4:5], off
.LBB102_1763:
	s_cbranch_execnz .LBB102_1769
.LBB102_1764:
	s_sext_i32_i16 s0, s0
	s_delay_alu instid0(SALU_CYCLE_1)
	s_cmp_gt_i32 s0, 0
	s_mov_b32 s0, 0
	s_cbranch_scc0 .LBB102_1766
; %bb.1765:
	s_wait_loadcnt 0x0
	global_load_u8 v2, v[4:5], off
	s_branch .LBB102_1767
.LBB102_1766:
	s_mov_b32 s0, -1
                                        ; implicit-def: $vgpr2
.LBB102_1767:
	s_delay_alu instid0(SALU_CYCLE_1)
	s_and_not1_b32 vcc_lo, exec_lo, s0
	s_cbranch_vccnz .LBB102_1769
; %bb.1768:
	s_wait_loadcnt 0x0
	global_load_u8 v2, v[4:5], off
.LBB102_1769:
	s_or_b32 s24, s24, exec_lo
.LBB102_1770:
	s_wait_xcnt 0x0
	s_or_b32 exec_lo, exec_lo, s22
	s_mov_b32 s23, 0
	s_mov_b32 s22, 0
	s_mov_b32 s25, 0
                                        ; implicit-def: $vgpr4_vgpr5
                                        ; implicit-def: $vgpr6
	s_and_saveexec_b32 s0, s24
	s_cbranch_execz .LBB102_1778
; %bb.1771:
	v_mul_lo_u32 v4, v26, s15
	s_and_b32 s22, 0xffff, s1
	s_delay_alu instid0(SALU_CYCLE_1) | instskip(NEXT) | instid1(VALU_DEP_1)
	s_cmp_lt_i32 s22, 11
	v_ashrrev_i32_e32 v5, 31, v4
	s_delay_alu instid0(VALU_DEP_1)
	v_add_nc_u64_e32 v[4:5], s[10:11], v[4:5]
	s_cbranch_scc1 .LBB102_1781
; %bb.1772:
	s_cmp_gt_i32 s22, 25
	s_mov_b32 s24, 0
	s_cbranch_scc0 .LBB102_1782
; %bb.1773:
	s_cmp_gt_i32 s22, 28
	s_cbranch_scc0 .LBB102_1783
; %bb.1774:
	s_cmp_gt_i32 s22, 43
	;; [unrolled: 3-line block ×3, first 2 shown]
	s_cbranch_scc0 .LBB102_1785
; %bb.1776:
	s_cmp_eq_u32 s22, 46
	s_mov_b32 s26, 0
	s_cbranch_scc0 .LBB102_1786
; %bb.1777:
	s_wait_loadcnt 0x0
	global_load_b32 v1, v[4:5], off
	s_mov_b32 s25, -1
	s_wait_loadcnt 0x0
	v_lshlrev_b32_e32 v1, 16, v1
	s_delay_alu instid0(VALU_DEP_1) | instskip(NEXT) | instid1(VALU_DEP_1)
	v_trunc_f32_e32 v1, v1
	v_mul_f32_e64 v3, 0x2f800000, |v1|
	s_delay_alu instid0(VALU_DEP_1) | instskip(NEXT) | instid1(VALU_DEP_1)
	v_floor_f32_e32 v3, v3
	v_fma_f32 v3, 0xcf800000, v3, |v1|
	v_ashrrev_i32_e32 v1, 31, v1
	s_delay_alu instid0(VALU_DEP_2) | instskip(NEXT) | instid1(VALU_DEP_1)
	v_cvt_u32_f32_e32 v3, v3
	v_xor_b32_e32 v3, v3, v1
	s_delay_alu instid0(VALU_DEP_1)
	v_sub_nc_u32_e32 v6, v3, v1
	s_branch .LBB102_1788
.LBB102_1778:
	s_or_b32 exec_lo, exec_lo, s0
	s_and_saveexec_b32 s0, s21
	s_cbranch_execnz .LBB102_1847
.LBB102_1779:
	s_or_b32 exec_lo, exec_lo, s0
	s_and_saveexec_b32 s0, s23
	s_delay_alu instid0(SALU_CYCLE_1)
	s_xor_b32 s0, exec_lo, s0
	s_cbranch_execz .LBB102_1848
.LBB102_1780:
	s_wait_loadcnt 0x0
	global_load_u8 v1, v[4:5], off
	s_or_b32 s25, s25, exec_lo
	s_wait_loadcnt 0x0
	v_cmp_ne_u16_e32 vcc_lo, 0, v1
	v_cndmask_b32_e64 v6, 0, 1, vcc_lo
	s_wait_xcnt 0x0
	s_or_b32 exec_lo, exec_lo, s0
	s_and_saveexec_b32 s0, s22
	s_cbranch_execz .LBB102_1894
	s_branch .LBB102_1849
.LBB102_1781:
	s_mov_b32 s22, -1
	s_mov_b32 s24, 0
	s_mov_b32 s23, s21
                                        ; implicit-def: $vgpr6
	s_branch .LBB102_1846
.LBB102_1782:
	s_mov_b32 s23, s21
                                        ; implicit-def: $vgpr6
	s_cbranch_execnz .LBB102_1815
	s_branch .LBB102_1845
.LBB102_1783:
	s_mov_b32 s26, -1
	s_mov_b32 s23, s21
                                        ; implicit-def: $vgpr6
	s_branch .LBB102_1798
.LBB102_1784:
	s_mov_b32 s26, -1
	s_mov_b32 s23, s21
                                        ; implicit-def: $vgpr6
	s_branch .LBB102_1793
.LBB102_1785:
	s_mov_b32 s26, -1
	s_mov_b32 s23, s21
	s_branch .LBB102_1787
.LBB102_1786:
	s_mov_b32 s23, -1
.LBB102_1787:
                                        ; implicit-def: $vgpr6
.LBB102_1788:
	s_and_b32 vcc_lo, exec_lo, s26
	s_cbranch_vccz .LBB102_1792
; %bb.1789:
	s_cmp_eq_u32 s22, 44
	s_cbranch_scc0 .LBB102_1791
; %bb.1790:
	s_wait_loadcnt 0x0
	global_load_u8 v1, v[4:5], off
	s_mov_b32 s23, 0
	s_mov_b32 s25, -1
	s_wait_loadcnt 0x0
	v_lshlrev_b32_e32 v3, 23, v1
	v_cmp_ne_u32_e32 vcc_lo, 0, v1
	s_delay_alu instid0(VALU_DEP_2) | instskip(NEXT) | instid1(VALU_DEP_1)
	v_trunc_f32_e32 v3, v3
	v_mul_f32_e64 v6, 0x2f800000, |v3|
	s_delay_alu instid0(VALU_DEP_1) | instskip(NEXT) | instid1(VALU_DEP_1)
	v_floor_f32_e32 v6, v6
	v_fma_f32 v6, 0xcf800000, v6, |v3|
	v_ashrrev_i32_e32 v3, 31, v3
	s_delay_alu instid0(VALU_DEP_2) | instskip(NEXT) | instid1(VALU_DEP_1)
	v_cvt_u32_f32_e32 v6, v6
	v_xor_b32_e32 v6, v6, v3
	s_delay_alu instid0(VALU_DEP_1) | instskip(NEXT) | instid1(VALU_DEP_1)
	v_sub_nc_u32_e32 v3, v6, v3
	v_cndmask_b32_e32 v6, 0, v3, vcc_lo
	s_branch .LBB102_1792
.LBB102_1791:
	s_mov_b32 s23, -1
                                        ; implicit-def: $vgpr6
.LBB102_1792:
	s_mov_b32 s26, 0
.LBB102_1793:
	s_delay_alu instid0(SALU_CYCLE_1)
	s_and_b32 vcc_lo, exec_lo, s26
	s_cbranch_vccz .LBB102_1797
; %bb.1794:
	s_cmp_eq_u32 s22, 29
	s_cbranch_scc0 .LBB102_1796
; %bb.1795:
	s_wait_loadcnt 0x0
	global_load_b64 v[6:7], v[4:5], off
	s_mov_b32 s23, 0
	s_mov_b32 s25, -1
	s_branch .LBB102_1797
.LBB102_1796:
	s_mov_b32 s23, -1
                                        ; implicit-def: $vgpr6
.LBB102_1797:
	s_mov_b32 s26, 0
.LBB102_1798:
	s_delay_alu instid0(SALU_CYCLE_1)
	s_and_b32 vcc_lo, exec_lo, s26
	s_cbranch_vccz .LBB102_1814
; %bb.1799:
	s_cmp_lt_i32 s22, 27
	s_cbranch_scc1 .LBB102_1802
; %bb.1800:
	s_cmp_gt_i32 s22, 27
	s_cbranch_scc0 .LBB102_1803
; %bb.1801:
	s_wait_loadcnt 0x0
	global_load_b32 v6, v[4:5], off
	s_mov_b32 s25, 0
	s_branch .LBB102_1804
.LBB102_1802:
	s_mov_b32 s25, -1
                                        ; implicit-def: $vgpr6
	s_branch .LBB102_1807
.LBB102_1803:
	s_mov_b32 s25, -1
                                        ; implicit-def: $vgpr6
.LBB102_1804:
	s_delay_alu instid0(SALU_CYCLE_1)
	s_and_not1_b32 vcc_lo, exec_lo, s25
	s_cbranch_vccnz .LBB102_1806
; %bb.1805:
	s_wait_loadcnt 0x0
	global_load_u16 v6, v[4:5], off
.LBB102_1806:
	s_mov_b32 s25, 0
.LBB102_1807:
	s_delay_alu instid0(SALU_CYCLE_1)
	s_and_not1_b32 vcc_lo, exec_lo, s25
	s_cbranch_vccnz .LBB102_1813
; %bb.1808:
	s_wait_loadcnt 0x0
	global_load_u8 v1, v[4:5], off
	s_mov_b32 s26, 0
	s_mov_b32 s25, exec_lo
	s_wait_loadcnt 0x0
	v_cmpx_lt_i16_e32 0x7f, v1
	s_xor_b32 s25, exec_lo, s25
	s_cbranch_execz .LBB102_1824
; %bb.1809:
	v_cmp_ne_u16_e32 vcc_lo, 0x80, v1
	s_and_b32 s26, vcc_lo, exec_lo
	s_and_not1_saveexec_b32 s25, s25
	s_cbranch_execnz .LBB102_1825
.LBB102_1810:
	s_or_b32 exec_lo, exec_lo, s25
	v_mov_b32_e32 v6, 0
	s_and_saveexec_b32 s25, s26
	s_cbranch_execz .LBB102_1812
.LBB102_1811:
	v_and_b32_e32 v3, 0xffff, v1
	s_delay_alu instid0(VALU_DEP_1) | instskip(SKIP_1) | instid1(VALU_DEP_2)
	v_dual_lshlrev_b32 v1, 24, v1 :: v_dual_bitop2_b32 v6, 7, v3 bitop3:0x40
	v_bfe_u32 v9, v3, 3, 4
	v_and_b32_e32 v1, 0x80000000, v1
	s_delay_alu instid0(VALU_DEP_3) | instskip(NEXT) | instid1(VALU_DEP_3)
	v_clz_i32_u32_e32 v7, v6
	v_cmp_eq_u32_e32 vcc_lo, 0, v9
	s_delay_alu instid0(VALU_DEP_2) | instskip(NEXT) | instid1(VALU_DEP_1)
	v_min_u32_e32 v7, 32, v7
	v_subrev_nc_u32_e32 v8, 28, v7
	v_sub_nc_u32_e32 v7, 29, v7
	s_delay_alu instid0(VALU_DEP_2) | instskip(NEXT) | instid1(VALU_DEP_2)
	v_lshlrev_b32_e32 v3, v8, v3
	v_cndmask_b32_e32 v7, v9, v7, vcc_lo
	s_delay_alu instid0(VALU_DEP_2) | instskip(NEXT) | instid1(VALU_DEP_1)
	v_and_b32_e32 v3, 7, v3
	v_cndmask_b32_e32 v3, v6, v3, vcc_lo
	s_delay_alu instid0(VALU_DEP_3) | instskip(NEXT) | instid1(VALU_DEP_2)
	v_lshl_add_u32 v6, v7, 23, 0x3b800000
	v_lshlrev_b32_e32 v3, 20, v3
	s_delay_alu instid0(VALU_DEP_1) | instskip(NEXT) | instid1(VALU_DEP_1)
	v_or3_b32 v1, v1, v6, v3
	v_trunc_f32_e32 v1, v1
	s_delay_alu instid0(VALU_DEP_1) | instskip(NEXT) | instid1(VALU_DEP_1)
	v_mul_f32_e64 v3, 0x2f800000, |v1|
	v_floor_f32_e32 v3, v3
	s_delay_alu instid0(VALU_DEP_1) | instskip(SKIP_1) | instid1(VALU_DEP_2)
	v_fma_f32 v3, 0xcf800000, v3, |v1|
	v_ashrrev_i32_e32 v1, 31, v1
	v_cvt_u32_f32_e32 v3, v3
	s_delay_alu instid0(VALU_DEP_1) | instskip(NEXT) | instid1(VALU_DEP_1)
	v_xor_b32_e32 v3, v3, v1
	v_sub_nc_u32_e32 v6, v3, v1
.LBB102_1812:
	s_or_b32 exec_lo, exec_lo, s25
.LBB102_1813:
	s_mov_b32 s25, -1
.LBB102_1814:
	s_branch .LBB102_1845
.LBB102_1815:
	s_cmp_gt_i32 s22, 22
	s_cbranch_scc0 .LBB102_1823
; %bb.1816:
	s_cmp_lt_i32 s22, 24
	s_cbranch_scc1 .LBB102_1826
; %bb.1817:
	s_cmp_gt_i32 s22, 24
	s_cbranch_scc0 .LBB102_1827
; %bb.1818:
	s_wait_loadcnt 0x0
	global_load_u8 v1, v[4:5], off
	s_mov_b32 s25, 0
	s_mov_b32 s24, exec_lo
	s_wait_loadcnt 0x0
	v_cmpx_lt_i16_e32 0x7f, v1
	s_xor_b32 s24, exec_lo, s24
	s_cbranch_execz .LBB102_1839
; %bb.1819:
	v_cmp_ne_u16_e32 vcc_lo, 0x80, v1
	s_and_b32 s25, vcc_lo, exec_lo
	s_and_not1_saveexec_b32 s24, s24
	s_cbranch_execnz .LBB102_1840
.LBB102_1820:
	s_or_b32 exec_lo, exec_lo, s24
	v_mov_b32_e32 v6, 0
	s_and_saveexec_b32 s24, s25
	s_cbranch_execz .LBB102_1822
.LBB102_1821:
	v_and_b32_e32 v3, 0xffff, v1
	s_delay_alu instid0(VALU_DEP_1) | instskip(SKIP_1) | instid1(VALU_DEP_2)
	v_dual_lshlrev_b32 v1, 24, v1 :: v_dual_bitop2_b32 v6, 3, v3 bitop3:0x40
	v_bfe_u32 v9, v3, 2, 5
	v_and_b32_e32 v1, 0x80000000, v1
	s_delay_alu instid0(VALU_DEP_3) | instskip(NEXT) | instid1(VALU_DEP_3)
	v_clz_i32_u32_e32 v7, v6
	v_cmp_eq_u32_e32 vcc_lo, 0, v9
	s_delay_alu instid0(VALU_DEP_2) | instskip(NEXT) | instid1(VALU_DEP_1)
	v_min_u32_e32 v7, 32, v7
	v_subrev_nc_u32_e32 v8, 29, v7
	v_sub_nc_u32_e32 v7, 30, v7
	s_delay_alu instid0(VALU_DEP_2) | instskip(NEXT) | instid1(VALU_DEP_2)
	v_lshlrev_b32_e32 v3, v8, v3
	v_cndmask_b32_e32 v7, v9, v7, vcc_lo
	s_delay_alu instid0(VALU_DEP_2) | instskip(NEXT) | instid1(VALU_DEP_1)
	v_and_b32_e32 v3, 3, v3
	v_cndmask_b32_e32 v3, v6, v3, vcc_lo
	s_delay_alu instid0(VALU_DEP_3) | instskip(NEXT) | instid1(VALU_DEP_2)
	v_lshl_add_u32 v6, v7, 23, 0x37800000
	v_lshlrev_b32_e32 v3, 21, v3
	s_delay_alu instid0(VALU_DEP_1) | instskip(NEXT) | instid1(VALU_DEP_1)
	v_or3_b32 v1, v1, v6, v3
	v_trunc_f32_e32 v1, v1
	s_delay_alu instid0(VALU_DEP_1) | instskip(NEXT) | instid1(VALU_DEP_1)
	v_mul_f32_e64 v3, 0x2f800000, |v1|
	v_floor_f32_e32 v3, v3
	s_delay_alu instid0(VALU_DEP_1) | instskip(SKIP_1) | instid1(VALU_DEP_2)
	v_fma_f32 v3, 0xcf800000, v3, |v1|
	v_ashrrev_i32_e32 v1, 31, v1
	v_cvt_u32_f32_e32 v3, v3
	s_delay_alu instid0(VALU_DEP_1) | instskip(NEXT) | instid1(VALU_DEP_1)
	v_xor_b32_e32 v3, v3, v1
	v_sub_nc_u32_e32 v6, v3, v1
.LBB102_1822:
	s_or_b32 exec_lo, exec_lo, s24
	s_mov_b32 s24, 0
	s_branch .LBB102_1828
.LBB102_1823:
	s_mov_b32 s24, -1
                                        ; implicit-def: $vgpr6
	s_branch .LBB102_1834
.LBB102_1824:
	s_and_not1_saveexec_b32 s25, s25
	s_cbranch_execz .LBB102_1810
.LBB102_1825:
	v_cmp_ne_u16_e32 vcc_lo, 0, v1
	s_and_not1_b32 s26, s26, exec_lo
	s_and_b32 s27, vcc_lo, exec_lo
	s_delay_alu instid0(SALU_CYCLE_1)
	s_or_b32 s26, s26, s27
	s_or_b32 exec_lo, exec_lo, s25
	v_mov_b32_e32 v6, 0
	s_and_saveexec_b32 s25, s26
	s_cbranch_execnz .LBB102_1811
	s_branch .LBB102_1812
.LBB102_1826:
	s_mov_b32 s24, -1
                                        ; implicit-def: $vgpr6
	s_branch .LBB102_1831
.LBB102_1827:
	s_mov_b32 s24, -1
                                        ; implicit-def: $vgpr6
.LBB102_1828:
	s_delay_alu instid0(SALU_CYCLE_1)
	s_and_b32 vcc_lo, exec_lo, s24
	s_cbranch_vccz .LBB102_1830
; %bb.1829:
	s_wait_loadcnt 0x0
	global_load_u8 v1, v[4:5], off
	s_wait_loadcnt 0x0
	v_lshlrev_b32_e32 v1, 24, v1
	s_delay_alu instid0(VALU_DEP_1) | instskip(NEXT) | instid1(VALU_DEP_1)
	v_and_b32_e32 v3, 0x7f000000, v1
	v_clz_i32_u32_e32 v6, v3
	v_cmp_ne_u32_e32 vcc_lo, 0, v3
	v_add_nc_u32_e32 v8, 0x1000000, v3
	s_delay_alu instid0(VALU_DEP_3) | instskip(NEXT) | instid1(VALU_DEP_1)
	v_min_u32_e32 v6, 32, v6
	v_sub_nc_u32_e64 v6, v6, 4 clamp
	s_delay_alu instid0(VALU_DEP_1) | instskip(NEXT) | instid1(VALU_DEP_1)
	v_dual_lshlrev_b32 v7, v6, v3 :: v_dual_lshlrev_b32 v6, 23, v6
	v_lshrrev_b32_e32 v7, 4, v7
	s_delay_alu instid0(VALU_DEP_1) | instskip(NEXT) | instid1(VALU_DEP_1)
	v_dual_sub_nc_u32 v6, v7, v6 :: v_dual_ashrrev_i32 v7, 8, v8
	v_add_nc_u32_e32 v6, 0x3c000000, v6
	s_delay_alu instid0(VALU_DEP_1) | instskip(NEXT) | instid1(VALU_DEP_1)
	v_and_or_b32 v6, 0x7f800000, v7, v6
	v_cndmask_b32_e32 v3, 0, v6, vcc_lo
	s_delay_alu instid0(VALU_DEP_1) | instskip(NEXT) | instid1(VALU_DEP_1)
	v_and_or_b32 v1, 0x80000000, v1, v3
	v_trunc_f32_e32 v1, v1
	s_delay_alu instid0(VALU_DEP_1) | instskip(NEXT) | instid1(VALU_DEP_1)
	v_mul_f32_e64 v3, 0x2f800000, |v1|
	v_floor_f32_e32 v3, v3
	s_delay_alu instid0(VALU_DEP_1) | instskip(SKIP_1) | instid1(VALU_DEP_2)
	v_fma_f32 v3, 0xcf800000, v3, |v1|
	v_ashrrev_i32_e32 v1, 31, v1
	v_cvt_u32_f32_e32 v3, v3
	s_delay_alu instid0(VALU_DEP_1) | instskip(NEXT) | instid1(VALU_DEP_1)
	v_xor_b32_e32 v3, v3, v1
	v_sub_nc_u32_e32 v6, v3, v1
.LBB102_1830:
	s_mov_b32 s24, 0
.LBB102_1831:
	s_delay_alu instid0(SALU_CYCLE_1)
	s_and_not1_b32 vcc_lo, exec_lo, s24
	s_cbranch_vccnz .LBB102_1833
; %bb.1832:
	s_wait_loadcnt 0x0
	global_load_u8 v1, v[4:5], off
	s_wait_loadcnt 0x0
	v_lshlrev_b32_e32 v3, 25, v1
	v_lshlrev_b16 v1, 8, v1
	s_delay_alu instid0(VALU_DEP_1) | instskip(SKIP_1) | instid1(VALU_DEP_2)
	v_and_or_b32 v7, 0x7f00, v1, 0.5
	v_bfe_i32 v1, v1, 0, 16
	v_add_f32_e32 v7, -0.5, v7
	v_lshrrev_b32_e32 v6, 4, v3
	v_cmp_gt_u32_e32 vcc_lo, 0x8000000, v3
	s_delay_alu instid0(VALU_DEP_2) | instskip(NEXT) | instid1(VALU_DEP_1)
	v_or_b32_e32 v6, 0x70000000, v6
	v_mul_f32_e32 v6, 0x7800000, v6
	s_delay_alu instid0(VALU_DEP_1) | instskip(NEXT) | instid1(VALU_DEP_1)
	v_cndmask_b32_e32 v3, v6, v7, vcc_lo
	v_and_or_b32 v1, 0x80000000, v1, v3
	s_delay_alu instid0(VALU_DEP_1) | instskip(NEXT) | instid1(VALU_DEP_1)
	v_trunc_f32_e32 v1, v1
	v_mul_f32_e64 v3, 0x2f800000, |v1|
	s_delay_alu instid0(VALU_DEP_1) | instskip(NEXT) | instid1(VALU_DEP_1)
	v_floor_f32_e32 v3, v3
	v_fma_f32 v3, 0xcf800000, v3, |v1|
	v_ashrrev_i32_e32 v1, 31, v1
	s_delay_alu instid0(VALU_DEP_2) | instskip(NEXT) | instid1(VALU_DEP_1)
	v_cvt_u32_f32_e32 v3, v3
	v_xor_b32_e32 v3, v3, v1
	s_delay_alu instid0(VALU_DEP_1)
	v_sub_nc_u32_e32 v6, v3, v1
.LBB102_1833:
	s_mov_b32 s24, 0
	s_mov_b32 s25, -1
.LBB102_1834:
	s_and_not1_b32 vcc_lo, exec_lo, s24
	s_mov_b32 s24, 0
	s_cbranch_vccnz .LBB102_1845
; %bb.1835:
	s_cmp_gt_i32 s22, 14
	s_cbranch_scc0 .LBB102_1838
; %bb.1836:
	s_cmp_eq_u32 s22, 15
	s_cbranch_scc0 .LBB102_1841
; %bb.1837:
	s_wait_loadcnt 0x0
	global_load_u16 v1, v[4:5], off
	s_mov_b32 s23, 0
	s_mov_b32 s25, -1
	s_wait_loadcnt 0x0
	v_lshlrev_b32_e32 v1, 16, v1
	s_delay_alu instid0(VALU_DEP_1) | instskip(NEXT) | instid1(VALU_DEP_1)
	v_trunc_f32_e32 v1, v1
	v_mul_f32_e64 v3, 0x2f800000, |v1|
	s_delay_alu instid0(VALU_DEP_1) | instskip(NEXT) | instid1(VALU_DEP_1)
	v_floor_f32_e32 v3, v3
	v_fma_f32 v3, 0xcf800000, v3, |v1|
	v_ashrrev_i32_e32 v1, 31, v1
	s_delay_alu instid0(VALU_DEP_2) | instskip(NEXT) | instid1(VALU_DEP_1)
	v_cvt_u32_f32_e32 v3, v3
	v_xor_b32_e32 v3, v3, v1
	s_delay_alu instid0(VALU_DEP_1)
	v_sub_nc_u32_e32 v6, v3, v1
	s_branch .LBB102_1843
.LBB102_1838:
	s_mov_b32 s24, -1
	s_branch .LBB102_1842
.LBB102_1839:
	s_and_not1_saveexec_b32 s24, s24
	s_cbranch_execz .LBB102_1820
.LBB102_1840:
	v_cmp_ne_u16_e32 vcc_lo, 0, v1
	s_and_not1_b32 s25, s25, exec_lo
	s_and_b32 s26, vcc_lo, exec_lo
	s_delay_alu instid0(SALU_CYCLE_1)
	s_or_b32 s25, s25, s26
	s_or_b32 exec_lo, exec_lo, s24
	v_mov_b32_e32 v6, 0
	s_and_saveexec_b32 s24, s25
	s_cbranch_execnz .LBB102_1821
	s_branch .LBB102_1822
.LBB102_1841:
	s_mov_b32 s23, -1
.LBB102_1842:
                                        ; implicit-def: $vgpr6
.LBB102_1843:
	s_and_b32 vcc_lo, exec_lo, s24
	s_mov_b32 s24, 0
	s_cbranch_vccz .LBB102_1845
; %bb.1844:
	s_cmp_lg_u32 s22, 11
	s_mov_b32 s24, -1
	s_cselect_b32 s22, -1, 0
	s_and_not1_b32 s23, s23, exec_lo
	s_and_b32 s22, s22, exec_lo
	s_delay_alu instid0(SALU_CYCLE_1)
	s_or_b32 s23, s23, s22
.LBB102_1845:
	s_mov_b32 s22, 0
.LBB102_1846:
	s_and_not1_b32 s21, s21, exec_lo
	s_and_b32 s26, s23, exec_lo
	s_and_b32 s25, s25, exec_lo
	;; [unrolled: 1-line block ×4, first 2 shown]
	s_or_b32 s21, s21, s26
	s_wait_xcnt 0x0
	s_or_b32 exec_lo, exec_lo, s0
	s_and_saveexec_b32 s0, s21
	s_cbranch_execz .LBB102_1779
.LBB102_1847:
	s_or_b32 s20, s20, exec_lo
	s_and_not1_b32 s23, s23, exec_lo
	s_trap 2
	s_or_b32 exec_lo, exec_lo, s0
	s_and_saveexec_b32 s0, s23
	s_delay_alu instid0(SALU_CYCLE_1)
	s_xor_b32 s0, exec_lo, s0
	s_cbranch_execnz .LBB102_1780
.LBB102_1848:
	s_or_b32 exec_lo, exec_lo, s0
	s_and_saveexec_b32 s0, s22
	s_cbranch_execz .LBB102_1894
.LBB102_1849:
	s_sext_i32_i16 s21, s1
	s_delay_alu instid0(SALU_CYCLE_1)
	s_cmp_lt_i32 s21, 5
	s_cbranch_scc1 .LBB102_1854
; %bb.1850:
	s_cmp_lt_i32 s21, 8
	s_cbranch_scc1 .LBB102_1855
; %bb.1851:
	;; [unrolled: 3-line block ×3, first 2 shown]
	s_cmp_gt_i32 s21, 9
	s_cbranch_scc0 .LBB102_1857
; %bb.1853:
	s_wait_loadcnt 0x0
	global_load_b64 v[6:7], v[4:5], off
	s_mov_b32 s21, 0
	s_wait_loadcnt 0x0
	v_trunc_f64_e32 v[6:7], v[6:7]
	s_delay_alu instid0(VALU_DEP_1) | instskip(NEXT) | instid1(VALU_DEP_1)
	v_ldexp_f64 v[8:9], v[6:7], 0xffffffe0
	v_floor_f64_e32 v[8:9], v[8:9]
	s_delay_alu instid0(VALU_DEP_1) | instskip(NEXT) | instid1(VALU_DEP_1)
	v_fmamk_f64 v[6:7], v[8:9], 0xc1f00000, v[6:7]
	v_cvt_u32_f64_e32 v6, v[6:7]
	s_branch .LBB102_1858
.LBB102_1854:
                                        ; implicit-def: $vgpr6
	s_branch .LBB102_1875
.LBB102_1855:
                                        ; implicit-def: $vgpr6
	s_branch .LBB102_1864
.LBB102_1856:
	s_mov_b32 s21, -1
                                        ; implicit-def: $vgpr6
	s_branch .LBB102_1861
.LBB102_1857:
	s_mov_b32 s21, -1
                                        ; implicit-def: $vgpr6
.LBB102_1858:
	s_delay_alu instid0(SALU_CYCLE_1)
	s_and_not1_b32 vcc_lo, exec_lo, s21
	s_cbranch_vccnz .LBB102_1860
; %bb.1859:
	s_wait_loadcnt 0x0
	global_load_b32 v1, v[4:5], off
	s_wait_loadcnt 0x0
	v_trunc_f32_e32 v1, v1
	s_delay_alu instid0(VALU_DEP_1) | instskip(NEXT) | instid1(VALU_DEP_1)
	v_mul_f32_e64 v3, 0x2f800000, |v1|
	v_floor_f32_e32 v3, v3
	s_delay_alu instid0(VALU_DEP_1) | instskip(SKIP_1) | instid1(VALU_DEP_2)
	v_fma_f32 v3, 0xcf800000, v3, |v1|
	v_ashrrev_i32_e32 v1, 31, v1
	v_cvt_u32_f32_e32 v3, v3
	s_delay_alu instid0(VALU_DEP_1) | instskip(NEXT) | instid1(VALU_DEP_1)
	v_xor_b32_e32 v3, v3, v1
	v_sub_nc_u32_e32 v6, v3, v1
.LBB102_1860:
	s_mov_b32 s21, 0
.LBB102_1861:
	s_delay_alu instid0(SALU_CYCLE_1)
	s_and_not1_b32 vcc_lo, exec_lo, s21
	s_cbranch_vccnz .LBB102_1863
; %bb.1862:
	s_wait_loadcnt 0x0
	global_load_b32 v1, v[4:5], off
	s_wait_loadcnt 0x0
	v_cvt_f32_f16_e32 v1, v1
	s_delay_alu instid0(VALU_DEP_1)
	v_cvt_i32_f32_e32 v6, v1
.LBB102_1863:
	s_cbranch_execnz .LBB102_1874
.LBB102_1864:
	s_sext_i32_i16 s21, s1
	s_delay_alu instid0(SALU_CYCLE_1)
	s_cmp_lt_i32 s21, 6
	s_cbranch_scc1 .LBB102_1867
; %bb.1865:
	s_cmp_gt_i32 s21, 6
	s_cbranch_scc0 .LBB102_1868
; %bb.1866:
	s_wait_loadcnt 0x0
	global_load_b64 v[6:7], v[4:5], off
	s_mov_b32 s21, 0
	s_wait_loadcnt 0x0
	v_trunc_f64_e32 v[6:7], v[6:7]
	s_delay_alu instid0(VALU_DEP_1) | instskip(NEXT) | instid1(VALU_DEP_1)
	v_ldexp_f64 v[8:9], v[6:7], 0xffffffe0
	v_floor_f64_e32 v[8:9], v[8:9]
	s_delay_alu instid0(VALU_DEP_1) | instskip(NEXT) | instid1(VALU_DEP_1)
	v_fmamk_f64 v[6:7], v[8:9], 0xc1f00000, v[6:7]
	v_cvt_u32_f64_e32 v6, v[6:7]
	s_branch .LBB102_1869
.LBB102_1867:
	s_mov_b32 s21, -1
                                        ; implicit-def: $vgpr6
	s_branch .LBB102_1872
.LBB102_1868:
	s_mov_b32 s21, -1
                                        ; implicit-def: $vgpr6
.LBB102_1869:
	s_delay_alu instid0(SALU_CYCLE_1)
	s_and_not1_b32 vcc_lo, exec_lo, s21
	s_cbranch_vccnz .LBB102_1871
; %bb.1870:
	s_wait_loadcnt 0x0
	global_load_b32 v1, v[4:5], off
	s_wait_loadcnt 0x0
	v_trunc_f32_e32 v1, v1
	s_delay_alu instid0(VALU_DEP_1) | instskip(NEXT) | instid1(VALU_DEP_1)
	v_mul_f32_e64 v3, 0x2f800000, |v1|
	v_floor_f32_e32 v3, v3
	s_delay_alu instid0(VALU_DEP_1) | instskip(SKIP_1) | instid1(VALU_DEP_2)
	v_fma_f32 v3, 0xcf800000, v3, |v1|
	v_ashrrev_i32_e32 v1, 31, v1
	v_cvt_u32_f32_e32 v3, v3
	s_delay_alu instid0(VALU_DEP_1) | instskip(NEXT) | instid1(VALU_DEP_1)
	v_xor_b32_e32 v3, v3, v1
	v_sub_nc_u32_e32 v6, v3, v1
.LBB102_1871:
	s_mov_b32 s21, 0
.LBB102_1872:
	s_delay_alu instid0(SALU_CYCLE_1)
	s_and_not1_b32 vcc_lo, exec_lo, s21
	s_cbranch_vccnz .LBB102_1874
; %bb.1873:
	s_wait_loadcnt 0x0
	global_load_u16 v1, v[4:5], off
	s_wait_loadcnt 0x0
	v_cvt_f32_f16_e32 v1, v1
	s_delay_alu instid0(VALU_DEP_1)
	v_cvt_i32_f32_e32 v6, v1
.LBB102_1874:
	s_cbranch_execnz .LBB102_1893
.LBB102_1875:
	s_sext_i32_i16 s21, s1
	s_delay_alu instid0(SALU_CYCLE_1)
	s_cmp_lt_i32 s21, 2
	s_cbranch_scc1 .LBB102_1879
; %bb.1876:
	s_cmp_lt_i32 s21, 3
	s_cbranch_scc1 .LBB102_1880
; %bb.1877:
	s_cmp_gt_i32 s21, 3
	s_cbranch_scc0 .LBB102_1881
; %bb.1878:
	s_wait_loadcnt 0x0
	global_load_b64 v[6:7], v[4:5], off
	s_mov_b32 s21, 0
	s_branch .LBB102_1882
.LBB102_1879:
                                        ; implicit-def: $vgpr6
	s_branch .LBB102_1888
.LBB102_1880:
	s_mov_b32 s21, -1
                                        ; implicit-def: $vgpr6
	s_branch .LBB102_1885
.LBB102_1881:
	s_mov_b32 s21, -1
                                        ; implicit-def: $vgpr6
.LBB102_1882:
	s_delay_alu instid0(SALU_CYCLE_1)
	s_and_not1_b32 vcc_lo, exec_lo, s21
	s_cbranch_vccnz .LBB102_1884
; %bb.1883:
	s_wait_loadcnt 0x0
	global_load_b32 v6, v[4:5], off
.LBB102_1884:
	s_mov_b32 s21, 0
.LBB102_1885:
	s_delay_alu instid0(SALU_CYCLE_1)
	s_and_not1_b32 vcc_lo, exec_lo, s21
	s_cbranch_vccnz .LBB102_1887
; %bb.1886:
	s_wait_loadcnt 0x0
	global_load_u16 v6, v[4:5], off
.LBB102_1887:
	s_cbranch_execnz .LBB102_1893
.LBB102_1888:
	s_sext_i32_i16 s21, s1
	s_delay_alu instid0(SALU_CYCLE_1)
	s_cmp_gt_i32 s21, 0
	s_mov_b32 s21, 0
	s_cbranch_scc0 .LBB102_1890
; %bb.1889:
	s_wait_loadcnt 0x0
	global_load_u8 v6, v[4:5], off
	s_branch .LBB102_1891
.LBB102_1890:
	s_mov_b32 s21, -1
                                        ; implicit-def: $vgpr6
.LBB102_1891:
	s_delay_alu instid0(SALU_CYCLE_1)
	s_and_not1_b32 vcc_lo, exec_lo, s21
	s_cbranch_vccnz .LBB102_1893
; %bb.1892:
	s_wait_loadcnt 0x0
	global_load_u8 v6, v[4:5], off
.LBB102_1893:
	s_or_b32 s25, s25, exec_lo
.LBB102_1894:
	s_wait_xcnt 0x0
	s_or_b32 exec_lo, exec_lo, s0
	s_mov_b32 s0, 0
	s_mov_b32 s23, 0
                                        ; implicit-def: $sgpr21
                                        ; implicit-def: $vgpr4_vgpr5
                                        ; implicit-def: $vgpr1
	s_and_saveexec_b32 s22, s25
	s_cbranch_execz .LBB102_1902
; %bb.1895:
	v_mul_lo_u32 v4, v26, s12
	s_wait_loadcnt 0x0
	v_and_b32_e32 v1, 0xff, v2
	v_and_b32_e32 v0, 0xff, v0
	s_and_b32 s21, s2, 0xff
	s_delay_alu instid0(SALU_CYCLE_1) | instskip(NEXT) | instid1(VALU_DEP_1)
	s_cmp_lt_i32 s21, 11
	v_max_u16 v0, v0, v1
	v_and_b32_e32 v1, 0xff, v6
	v_ashrrev_i32_e32 v5, 31, v4
	s_delay_alu instid0(VALU_DEP_2) | instskip(NEXT) | instid1(VALU_DEP_2)
	v_min_u16 v1, v0, v1
	v_add_nc_u64_e32 v[4:5], s[4:5], v[4:5]
	s_cbranch_scc1 .LBB102_1905
; %bb.1896:
	s_and_b32 s23, 0xffff, s21
	s_mov_b32 s24, -1
	s_cmp_gt_i32 s23, 25
	s_mov_b32 s0, s19
	s_cbranch_scc0 .LBB102_1933
; %bb.1897:
	s_cmp_gt_i32 s23, 28
	s_mov_b32 s0, s19
	s_cbranch_scc0 .LBB102_1917
; %bb.1898:
	;; [unrolled: 4-line block ×4, first 2 shown]
	s_cmp_eq_u32 s23, 46
	s_mov_b32 s0, -1
	s_cbranch_scc0 .LBB102_1906
; %bb.1901:
	v_cvt_f32_ubyte0_e32 v0, v1
	s_mov_b32 s0, 0
	s_mov_b32 s24, 0
	s_delay_alu instid0(VALU_DEP_1) | instskip(NEXT) | instid1(VALU_DEP_1)
	v_bfe_u32 v2, v0, 16, 1
	v_add3_u32 v0, v0, v2, 0x7fff
	s_delay_alu instid0(VALU_DEP_1)
	v_lshrrev_b32_e32 v0, 16, v0
	global_store_b32 v[4:5], v0, off
	s_branch .LBB102_1907
.LBB102_1902:
	s_or_b32 exec_lo, exec_lo, s22
	s_and_saveexec_b32 s22, s19
	s_cbranch_execnz .LBB102_1975
.LBB102_1903:
	s_or_b32 exec_lo, exec_lo, s22
	s_and_saveexec_b32 s19, s0
	s_delay_alu instid0(SALU_CYCLE_1)
	s_xor_b32 s0, exec_lo, s19
	s_cbranch_execz .LBB102_1976
.LBB102_1904:
	s_wait_loadcnt 0x0
	v_and_b32_e32 v0, 0xff, v1
	s_delay_alu instid0(VALU_DEP_1)
	v_cmp_ne_u16_e32 vcc_lo, 0, v0
	v_cndmask_b32_e64 v0, 0, 1, vcc_lo
	global_store_b8 v[4:5], v0, off
	s_wait_xcnt 0x0
	s_or_b32 exec_lo, exec_lo, s0
	s_and_saveexec_b32 s0, s23
	s_delay_alu instid0(SALU_CYCLE_1)
	s_xor_b32 s0, exec_lo, s0
	s_cbranch_execz .LBB102_2014
	s_branch .LBB102_1977
.LBB102_1905:
	s_mov_b32 s25, 0
	s_mov_b32 s24, -1
	s_mov_b32 s0, s19
	s_branch .LBB102_1974
.LBB102_1906:
	s_mov_b32 s24, 0
.LBB102_1907:
	s_delay_alu instid0(SALU_CYCLE_1)
	s_and_b32 vcc_lo, exec_lo, s24
	s_cbranch_vccz .LBB102_1912
; %bb.1908:
	s_cmp_eq_u32 s23, 44
	s_mov_b32 s0, -1
	s_cbranch_scc0 .LBB102_1912
; %bb.1909:
	v_cvt_f32_ubyte0_e32 v3, v1
	v_mov_b32_e32 v2, 0xff
	s_mov_b32 s24, exec_lo
	s_wait_xcnt 0x0
	s_delay_alu instid0(VALU_DEP_2) | instskip(NEXT) | instid1(VALU_DEP_1)
	v_lshrrev_b32_e32 v0, 23, v3
	v_cmpx_ne_u32_e32 0xff, v0
; %bb.1910:
	v_and_b32_e32 v2, 0x400000, v3
	v_and_or_b32 v3, 0x3fffff, v3, v0
	s_delay_alu instid0(VALU_DEP_2) | instskip(NEXT) | instid1(VALU_DEP_2)
	v_cmp_ne_u32_e32 vcc_lo, 0, v2
	v_cmp_ne_u32_e64 s0, 0, v3
	s_and_b32 s0, vcc_lo, s0
	s_delay_alu instid0(SALU_CYCLE_1) | instskip(NEXT) | instid1(VALU_DEP_1)
	v_cndmask_b32_e64 v2, 0, 1, s0
	v_add_nc_u32_e32 v2, v0, v2
; %bb.1911:
	s_or_b32 exec_lo, exec_lo, s24
	s_mov_b32 s0, 0
	global_store_b8 v[4:5], v2, off
.LBB102_1912:
	s_mov_b32 s24, 0
.LBB102_1913:
	s_delay_alu instid0(SALU_CYCLE_1)
	s_and_b32 vcc_lo, exec_lo, s24
	s_cbranch_vccz .LBB102_1916
; %bb.1914:
	s_cmp_eq_u32 s23, 29
	s_mov_b32 s0, -1
	s_cbranch_scc0 .LBB102_1916
; %bb.1915:
	s_mov_b32 s0, 0
	s_wait_xcnt 0x0
	v_and_b32_e32 v2, 0xffff, v1
	v_mov_b32_e32 v3, s0
	s_mov_b32 s24, 0
	global_store_b64 v[4:5], v[2:3], off
	s_branch .LBB102_1917
.LBB102_1916:
	s_mov_b32 s24, 0
.LBB102_1917:
	s_delay_alu instid0(SALU_CYCLE_1)
	s_and_b32 vcc_lo, exec_lo, s24
	s_cbranch_vccz .LBB102_1932
; %bb.1918:
	s_cmp_lt_i32 s23, 27
	s_mov_b32 s24, -1
	s_cbranch_scc1 .LBB102_1924
; %bb.1919:
	s_cmp_gt_i32 s23, 27
	s_cbranch_scc0 .LBB102_1921
; %bb.1920:
	s_wait_xcnt 0x0
	v_and_b32_e32 v0, 0xffff, v1
	s_mov_b32 s24, 0
	global_store_b32 v[4:5], v0, off
.LBB102_1921:
	s_and_not1_b32 vcc_lo, exec_lo, s24
	s_cbranch_vccnz .LBB102_1923
; %bb.1922:
	global_store_b16 v[4:5], v1, off
.LBB102_1923:
	s_mov_b32 s24, 0
.LBB102_1924:
	s_delay_alu instid0(SALU_CYCLE_1)
	s_and_not1_b32 vcc_lo, exec_lo, s24
	s_cbranch_vccnz .LBB102_1932
; %bb.1925:
	s_wait_xcnt 0x0
	v_cvt_f32_ubyte0_e32 v2, v1
	v_mov_b32_e32 v3, 0x80
	s_mov_b32 s24, exec_lo
	s_delay_alu instid0(VALU_DEP_2)
	v_cmpx_gt_u32_e32 0x43800000, v2
	s_cbranch_execz .LBB102_1931
; %bb.1926:
	s_mov_b32 s25, 0
	s_mov_b32 s26, exec_lo
                                        ; implicit-def: $vgpr0
	v_cmpx_lt_u32_e32 0x3bffffff, v2
	s_xor_b32 s26, exec_lo, s26
	s_cbranch_execz .LBB102_2029
; %bb.1927:
	v_bfe_u32 v0, v2, 20, 1
	s_mov_b32 s25, exec_lo
	s_delay_alu instid0(VALU_DEP_1) | instskip(NEXT) | instid1(VALU_DEP_1)
	v_add3_u32 v0, v2, v0, 0x487ffff
                                        ; implicit-def: $vgpr2
	v_lshrrev_b32_e32 v0, 20, v0
	s_and_not1_saveexec_b32 s26, s26
	s_cbranch_execnz .LBB102_2030
.LBB102_1928:
	s_or_b32 exec_lo, exec_lo, s26
	v_mov_b32_e32 v3, 0
	s_and_saveexec_b32 s26, s25
.LBB102_1929:
	v_mov_b32_e32 v3, v0
.LBB102_1930:
	s_or_b32 exec_lo, exec_lo, s26
.LBB102_1931:
	s_delay_alu instid0(SALU_CYCLE_1)
	s_or_b32 exec_lo, exec_lo, s24
	global_store_b8 v[4:5], v3, off
.LBB102_1932:
	s_mov_b32 s24, 0
.LBB102_1933:
	s_delay_alu instid0(SALU_CYCLE_1)
	s_and_b32 vcc_lo, exec_lo, s24
	s_mov_b32 s24, 0
	s_cbranch_vccz .LBB102_1973
; %bb.1934:
	s_cmp_gt_i32 s23, 22
	s_mov_b32 s25, -1
	s_cbranch_scc0 .LBB102_1966
; %bb.1935:
	s_cmp_lt_i32 s23, 24
	s_cbranch_scc1 .LBB102_1955
; %bb.1936:
	s_cmp_gt_i32 s23, 24
	s_cbranch_scc0 .LBB102_1944
; %bb.1937:
	s_wait_xcnt 0x0
	v_cvt_f32_ubyte0_e32 v2, v1
	v_mov_b32_e32 v3, 0x80
	s_mov_b32 s25, exec_lo
	s_delay_alu instid0(VALU_DEP_2)
	v_cmpx_gt_u32_e32 0x47800000, v2
	s_cbranch_execz .LBB102_1943
; %bb.1938:
	s_mov_b32 s26, 0
	s_mov_b32 s27, exec_lo
                                        ; implicit-def: $vgpr0
	v_cmpx_lt_u32_e32 0x37ffffff, v2
	s_xor_b32 s27, exec_lo, s27
	s_cbranch_execz .LBB102_2150
; %bb.1939:
	v_bfe_u32 v0, v2, 21, 1
	s_mov_b32 s26, exec_lo
	s_delay_alu instid0(VALU_DEP_1) | instskip(NEXT) | instid1(VALU_DEP_1)
	v_add3_u32 v0, v2, v0, 0x88fffff
                                        ; implicit-def: $vgpr2
	v_lshrrev_b32_e32 v0, 21, v0
	s_and_not1_saveexec_b32 s27, s27
	s_cbranch_execnz .LBB102_2151
.LBB102_1940:
	s_or_b32 exec_lo, exec_lo, s27
	v_mov_b32_e32 v3, 0
	s_and_saveexec_b32 s27, s26
.LBB102_1941:
	v_mov_b32_e32 v3, v0
.LBB102_1942:
	s_or_b32 exec_lo, exec_lo, s27
.LBB102_1943:
	s_delay_alu instid0(SALU_CYCLE_1)
	s_or_b32 exec_lo, exec_lo, s25
	s_mov_b32 s25, 0
	global_store_b8 v[4:5], v3, off
.LBB102_1944:
	s_and_b32 vcc_lo, exec_lo, s25
	s_cbranch_vccz .LBB102_1954
; %bb.1945:
	s_wait_xcnt 0x0
	v_cvt_f32_ubyte0_e32 v2, v1
	s_mov_b32 s25, exec_lo
                                        ; implicit-def: $vgpr0
	s_delay_alu instid0(VALU_DEP_1)
	v_cmpx_gt_u32_e32 0x43f00000, v2
	s_xor_b32 s25, exec_lo, s25
	s_cbranch_execz .LBB102_1951
; %bb.1946:
	s_mov_b32 s26, exec_lo
                                        ; implicit-def: $vgpr0
	v_cmpx_lt_u32_e32 0x3c7fffff, v2
	s_xor_b32 s26, exec_lo, s26
; %bb.1947:
	v_bfe_u32 v0, v2, 20, 1
	s_delay_alu instid0(VALU_DEP_1) | instskip(NEXT) | instid1(VALU_DEP_1)
	v_add3_u32 v0, v2, v0, 0x407ffff
	v_and_b32_e32 v2, 0xff00000, v0
	v_lshrrev_b32_e32 v0, 20, v0
	s_delay_alu instid0(VALU_DEP_2) | instskip(NEXT) | instid1(VALU_DEP_2)
	v_cmp_ne_u32_e32 vcc_lo, 0x7f00000, v2
                                        ; implicit-def: $vgpr2
	v_cndmask_b32_e32 v0, 0x7e, v0, vcc_lo
; %bb.1948:
	s_and_not1_saveexec_b32 s26, s26
; %bb.1949:
	v_add_f32_e32 v0, 0x46800000, v2
; %bb.1950:
	s_or_b32 exec_lo, exec_lo, s26
                                        ; implicit-def: $vgpr2
.LBB102_1951:
	s_and_not1_saveexec_b32 s25, s25
; %bb.1952:
	v_mov_b32_e32 v0, 0x7f
	v_cmp_lt_u32_e32 vcc_lo, 0x7f800000, v2
	s_delay_alu instid0(VALU_DEP_2)
	v_cndmask_b32_e32 v0, 0x7e, v0, vcc_lo
; %bb.1953:
	s_or_b32 exec_lo, exec_lo, s25
	global_store_b8 v[4:5], v0, off
.LBB102_1954:
	s_mov_b32 s25, 0
.LBB102_1955:
	s_delay_alu instid0(SALU_CYCLE_1)
	s_and_not1_b32 vcc_lo, exec_lo, s25
	s_cbranch_vccnz .LBB102_1965
; %bb.1956:
	s_wait_xcnt 0x0
	v_cvt_f32_ubyte0_e32 v2, v1
	s_mov_b32 s25, exec_lo
                                        ; implicit-def: $vgpr0
	s_delay_alu instid0(VALU_DEP_1)
	v_cmpx_gt_u32_e32 0x47800000, v2
	s_xor_b32 s25, exec_lo, s25
	s_cbranch_execz .LBB102_1962
; %bb.1957:
	s_mov_b32 s26, exec_lo
                                        ; implicit-def: $vgpr0
	v_cmpx_lt_u32_e32 0x387fffff, v2
	s_xor_b32 s26, exec_lo, s26
; %bb.1958:
	v_bfe_u32 v0, v2, 21, 1
	s_delay_alu instid0(VALU_DEP_1) | instskip(NEXT) | instid1(VALU_DEP_1)
	v_add3_u32 v0, v2, v0, 0x80fffff
                                        ; implicit-def: $vgpr2
	v_lshrrev_b32_e32 v0, 21, v0
; %bb.1959:
	s_and_not1_saveexec_b32 s26, s26
; %bb.1960:
	v_add_f32_e32 v0, 0x43000000, v2
; %bb.1961:
	s_or_b32 exec_lo, exec_lo, s26
                                        ; implicit-def: $vgpr2
.LBB102_1962:
	s_and_not1_saveexec_b32 s25, s25
; %bb.1963:
	v_mov_b32_e32 v0, 0x7f
	v_cmp_lt_u32_e32 vcc_lo, 0x7f800000, v2
	s_delay_alu instid0(VALU_DEP_2)
	v_cndmask_b32_e32 v0, 0x7c, v0, vcc_lo
; %bb.1964:
	s_or_b32 exec_lo, exec_lo, s25
	global_store_b8 v[4:5], v0, off
.LBB102_1965:
	s_mov_b32 s25, 0
.LBB102_1966:
	s_delay_alu instid0(SALU_CYCLE_1)
	s_and_not1_b32 vcc_lo, exec_lo, s25
	s_mov_b32 s25, 0
	s_cbranch_vccnz .LBB102_1974
; %bb.1967:
	s_cmp_gt_i32 s23, 14
	s_mov_b32 s25, -1
	s_cbranch_scc0 .LBB102_1971
; %bb.1968:
	s_cmp_eq_u32 s23, 15
	s_mov_b32 s0, -1
	s_cbranch_scc0 .LBB102_1970
; %bb.1969:
	s_wait_xcnt 0x0
	v_cvt_f32_ubyte0_e32 v0, v1
	s_mov_b32 s0, 0
	s_delay_alu instid0(VALU_DEP_1) | instskip(NEXT) | instid1(VALU_DEP_1)
	v_bfe_u32 v2, v0, 16, 1
	v_add3_u32 v0, v0, v2, 0x7fff
	global_store_d16_hi_b16 v[4:5], v0, off
.LBB102_1970:
	s_mov_b32 s25, 0
.LBB102_1971:
	s_delay_alu instid0(SALU_CYCLE_1)
	s_and_b32 vcc_lo, exec_lo, s25
	s_mov_b32 s25, 0
	s_cbranch_vccz .LBB102_1974
; %bb.1972:
	s_cmp_lg_u32 s23, 11
	s_mov_b32 s25, -1
	s_cselect_b32 s23, -1, 0
	s_and_not1_b32 s0, s0, exec_lo
	s_and_b32 s23, s23, exec_lo
	s_delay_alu instid0(SALU_CYCLE_1)
	s_or_b32 s0, s0, s23
	s_branch .LBB102_1974
.LBB102_1973:
	s_mov_b32 s25, 0
.LBB102_1974:
	s_and_b32 s23, s24, exec_lo
	s_and_not1_b32 s19, s19, exec_lo
	s_and_b32 s24, s0, exec_lo
	s_and_b32 s0, s25, exec_lo
	s_or_b32 s19, s19, s24
	s_wait_xcnt 0x0
	s_or_b32 exec_lo, exec_lo, s22
	s_and_saveexec_b32 s22, s19
	s_cbranch_execz .LBB102_1903
.LBB102_1975:
	s_or_b32 s20, s20, exec_lo
	s_and_not1_b32 s0, s0, exec_lo
	s_trap 2
	s_or_b32 exec_lo, exec_lo, s22
	s_and_saveexec_b32 s19, s0
	s_delay_alu instid0(SALU_CYCLE_1)
	s_xor_b32 s0, exec_lo, s19
	s_cbranch_execnz .LBB102_1904
.LBB102_1976:
	s_or_b32 exec_lo, exec_lo, s0
	s_and_saveexec_b32 s0, s23
	s_delay_alu instid0(SALU_CYCLE_1)
	s_xor_b32 s0, exec_lo, s0
	s_cbranch_execz .LBB102_2014
.LBB102_1977:
	s_sext_i32_i16 s22, s21
	s_mov_b32 s19, -1
	s_cmp_lt_i32 s22, 5
	s_cbranch_scc1 .LBB102_1998
; %bb.1978:
	s_cmp_lt_i32 s22, 8
	s_cbranch_scc1 .LBB102_1988
; %bb.1979:
	;; [unrolled: 3-line block ×3, first 2 shown]
	s_cmp_gt_i32 s22, 9
	s_cbranch_scc0 .LBB102_1982
; %bb.1981:
	s_wait_loadcnt 0x0
	v_and_b32_e32 v0, 0xff, v1
	v_mov_b32_e32 v8, 0
	s_mov_b32 s19, 0
	s_delay_alu instid0(VALU_DEP_2) | instskip(NEXT) | instid1(VALU_DEP_2)
	v_and_b32_e32 v0, 0xffff, v0
	v_mov_b32_e32 v9, v8
	s_delay_alu instid0(VALU_DEP_2)
	v_cvt_f64_u32_e32 v[6:7], v0
	global_store_b128 v[4:5], v[6:9], off
.LBB102_1982:
	s_and_not1_b32 vcc_lo, exec_lo, s19
	s_cbranch_vccnz .LBB102_1984
; %bb.1983:
	s_wait_loadcnt 0x0
	v_cvt_f32_ubyte0_e32 v2, v1
	v_mov_b32_e32 v3, 0
	global_store_b64 v[4:5], v[2:3], off
.LBB102_1984:
	s_mov_b32 s19, 0
.LBB102_1985:
	s_delay_alu instid0(SALU_CYCLE_1)
	s_and_not1_b32 vcc_lo, exec_lo, s19
	s_cbranch_vccnz .LBB102_1987
; %bb.1986:
	s_wait_loadcnt 0x0
	v_and_b32_e32 v0, 0xff, v1
	s_delay_alu instid0(VALU_DEP_1) | instskip(NEXT) | instid1(VALU_DEP_1)
	v_cvt_f16_u16_e32 v0, v0
	v_and_b32_e32 v0, 0xffff, v0
	global_store_b32 v[4:5], v0, off
.LBB102_1987:
	s_mov_b32 s19, 0
.LBB102_1988:
	s_delay_alu instid0(SALU_CYCLE_1)
	s_and_not1_b32 vcc_lo, exec_lo, s19
	s_cbranch_vccnz .LBB102_1997
; %bb.1989:
	s_sext_i32_i16 s22, s21
	s_mov_b32 s19, -1
	s_cmp_lt_i32 s22, 6
	s_cbranch_scc1 .LBB102_1995
; %bb.1990:
	s_cmp_gt_i32 s22, 6
	s_cbranch_scc0 .LBB102_1992
; %bb.1991:
	s_wait_loadcnt 0x0
	v_and_b32_e32 v0, 0xff, v1
	s_mov_b32 s19, 0
	s_delay_alu instid0(VALU_DEP_1) | instskip(NEXT) | instid1(VALU_DEP_1)
	v_and_b32_e32 v0, 0xffff, v0
	v_cvt_f64_u32_e32 v[2:3], v0
	global_store_b64 v[4:5], v[2:3], off
.LBB102_1992:
	s_and_not1_b32 vcc_lo, exec_lo, s19
	s_cbranch_vccnz .LBB102_1994
; %bb.1993:
	s_wait_loadcnt 0x0
	v_cvt_f32_ubyte0_e32 v0, v1
	global_store_b32 v[4:5], v0, off
.LBB102_1994:
	s_mov_b32 s19, 0
.LBB102_1995:
	s_delay_alu instid0(SALU_CYCLE_1)
	s_and_not1_b32 vcc_lo, exec_lo, s19
	s_cbranch_vccnz .LBB102_1997
; %bb.1996:
	s_wait_loadcnt 0x0
	v_and_b32_e32 v0, 0xff, v1
	s_delay_alu instid0(VALU_DEP_1)
	v_cvt_f16_u16_e32 v0, v0
	global_store_b16 v[4:5], v0, off
.LBB102_1997:
	s_mov_b32 s19, 0
.LBB102_1998:
	s_delay_alu instid0(SALU_CYCLE_1)
	s_and_not1_b32 vcc_lo, exec_lo, s19
	s_cbranch_vccnz .LBB102_2014
; %bb.1999:
	s_sext_i32_i16 s22, s21
	s_mov_b32 s19, -1
	s_cmp_lt_i32 s22, 2
	s_cbranch_scc1 .LBB102_2009
; %bb.2000:
	s_cmp_lt_i32 s22, 3
	s_cbranch_scc1 .LBB102_2006
; %bb.2001:
	s_cmp_gt_i32 s22, 3
	s_cbranch_scc0 .LBB102_2003
; %bb.2002:
	s_wait_loadcnt 0x0
	v_and_b32_e32 v2, 0xff, v1
	v_mov_b32_e32 v3, 0
	s_mov_b32 s19, 0
	global_store_b64 v[4:5], v[2:3], off
.LBB102_2003:
	s_and_not1_b32 vcc_lo, exec_lo, s19
	s_cbranch_vccnz .LBB102_2005
; %bb.2004:
	s_wait_loadcnt 0x0
	v_and_b32_e32 v0, 0xff, v1
	global_store_b32 v[4:5], v0, off
.LBB102_2005:
	s_mov_b32 s19, 0
.LBB102_2006:
	s_delay_alu instid0(SALU_CYCLE_1)
	s_and_not1_b32 vcc_lo, exec_lo, s19
	s_cbranch_vccnz .LBB102_2008
; %bb.2007:
	s_wait_loadcnt 0x0
	v_and_b32_e32 v0, 0xff, v1
	global_store_b16 v[4:5], v0, off
.LBB102_2008:
	s_mov_b32 s19, 0
.LBB102_2009:
	s_delay_alu instid0(SALU_CYCLE_1)
	s_and_not1_b32 vcc_lo, exec_lo, s19
	s_cbranch_vccnz .LBB102_2014
; %bb.2010:
	s_sext_i32_i16 s19, s21
	s_delay_alu instid0(SALU_CYCLE_1)
	s_cmp_gt_i32 s19, 0
	s_mov_b32 s19, -1
	s_cbranch_scc0 .LBB102_2012
; %bb.2011:
	s_mov_b32 s19, 0
	s_wait_loadcnt 0x0
	global_store_b8 v[4:5], v1, off
.LBB102_2012:
	s_and_not1_b32 vcc_lo, exec_lo, s19
	s_cbranch_vccnz .LBB102_2014
; %bb.2013:
	s_wait_loadcnt 0x0
	global_store_b8 v[4:5], v1, off
.LBB102_2014:
	s_wait_xcnt 0x0
	s_or_b32 exec_lo, exec_lo, s0
	s_delay_alu instid0(SALU_CYCLE_1)
	s_and_b32 s19, s20, exec_lo
                                        ; implicit-def: $vgpr26
.LBB102_2015:
	s_or_saveexec_b32 s18, s18
	s_mov_b32 s0, 0
                                        ; implicit-def: $sgpr20
                                        ; implicit-def: $vgpr0_vgpr1
                                        ; implicit-def: $vgpr4
	s_xor_b32 exec_lo, exec_lo, s18
	s_cbranch_execz .LBB102_3970
; %bb.2016:
	s_wait_loadcnt 0x0
	v_mul_lo_u32 v6, s13, v26
	s_and_b32 s17, s17, 0xff
	s_delay_alu instid0(SALU_CYCLE_1) | instskip(NEXT) | instid1(VALU_DEP_1)
	s_cmp_lt_i32 s17, 11
	v_ashrrev_i32_e32 v7, 31, v6
	s_delay_alu instid0(VALU_DEP_1)
	v_add_nc_u64_e32 v[2:3], s[6:7], v[6:7]
	s_cbranch_scc1 .LBB102_2023
; %bb.2017:
	s_and_b32 s0, 0xffff, s17
	s_mov_b32 s20, 0
	s_cmp_gt_i32 s0, 25
	s_cbranch_scc0 .LBB102_2025
; %bb.2018:
	s_cmp_gt_i32 s0, 28
	s_cbranch_scc0 .LBB102_2026
; %bb.2019:
	;; [unrolled: 3-line block ×4, first 2 shown]
	s_cmp_eq_u32 s0, 46
	s_mov_b32 s22, 0
	s_cbranch_scc0 .LBB102_2031
; %bb.2022:
	global_load_b32 v0, v[2:3], off
	s_mov_b32 s21, -1
	s_wait_loadcnt 0x0
	v_lshlrev_b32_e32 v0, 16, v0
	s_delay_alu instid0(VALU_DEP_1) | instskip(NEXT) | instid1(VALU_DEP_1)
	v_trunc_f32_e32 v0, v0
	v_mul_f32_e64 v1, 0x2f800000, |v0|
	s_delay_alu instid0(VALU_DEP_1) | instskip(NEXT) | instid1(VALU_DEP_1)
	v_floor_f32_e32 v1, v1
	v_fma_f32 v1, 0xcf800000, v1, |v0|
	v_ashrrev_i32_e32 v0, 31, v0
	s_delay_alu instid0(VALU_DEP_2) | instskip(NEXT) | instid1(VALU_DEP_1)
	v_cvt_u32_f32_e32 v1, v1
	v_xor_b32_e32 v1, v1, v0
	s_delay_alu instid0(VALU_DEP_1)
	v_sub_nc_u32_e32 v0, v1, v0
	s_branch .LBB102_2033
.LBB102_2023:
	s_mov_b32 s21, 0
	s_mov_b32 s16, s19
                                        ; implicit-def: $vgpr0
	s_cbranch_execnz .LBB102_2091
.LBB102_2024:
	s_and_not1_b32 vcc_lo, exec_lo, s21
	s_cbranch_vccz .LBB102_2136
	s_branch .LBB102_3968
.LBB102_2025:
	s_mov_b32 s21, 0
                                        ; implicit-def: $vgpr0
	s_cbranch_execnz .LBB102_2058
	s_branch .LBB102_2087
.LBB102_2026:
	s_mov_b32 s21, 0
                                        ; implicit-def: $vgpr0
	s_cbranch_execz .LBB102_2057
	s_branch .LBB102_2042
.LBB102_2027:
	s_mov_b32 s21, 0
                                        ; implicit-def: $vgpr0
	s_cbranch_execnz .LBB102_2038
	s_branch .LBB102_2041
.LBB102_2028:
	s_mov_b32 s22, -1
	s_branch .LBB102_2032
.LBB102_2029:
	s_and_not1_saveexec_b32 s26, s26
	s_cbranch_execz .LBB102_1928
.LBB102_2030:
	v_add_f32_e32 v0, 0x46000000, v2
	s_and_not1_b32 s25, s25, exec_lo
	s_delay_alu instid0(VALU_DEP_1) | instskip(NEXT) | instid1(VALU_DEP_1)
	v_and_b32_e32 v0, 0xff, v0
	v_cmp_ne_u32_e32 vcc_lo, 0, v0
	s_and_b32 s27, vcc_lo, exec_lo
	s_delay_alu instid0(SALU_CYCLE_1)
	s_or_b32 s25, s25, s27
	s_or_b32 exec_lo, exec_lo, s26
	v_mov_b32_e32 v3, 0
	s_and_saveexec_b32 s26, s25
	s_cbranch_execnz .LBB102_1929
	s_branch .LBB102_1930
.LBB102_2031:
	s_mov_b32 s16, -1
.LBB102_2032:
	s_mov_b32 s21, 0
                                        ; implicit-def: $vgpr0
.LBB102_2033:
	s_and_b32 vcc_lo, exec_lo, s22
	s_cbranch_vccz .LBB102_2036
; %bb.2034:
	s_cmp_eq_u32 s0, 44
	s_cbranch_scc0 .LBB102_2037
; %bb.2035:
	global_load_u8 v0, v[2:3], off
	s_mov_b32 s16, 0
	s_mov_b32 s21, -1
	s_wait_loadcnt 0x0
	v_lshlrev_b32_e32 v1, 23, v0
	v_cmp_ne_u32_e32 vcc_lo, 0, v0
	s_delay_alu instid0(VALU_DEP_2) | instskip(NEXT) | instid1(VALU_DEP_1)
	v_trunc_f32_e32 v1, v1
	v_mul_f32_e64 v4, 0x2f800000, |v1|
	s_delay_alu instid0(VALU_DEP_1) | instskip(NEXT) | instid1(VALU_DEP_1)
	v_floor_f32_e32 v4, v4
	v_fma_f32 v4, 0xcf800000, v4, |v1|
	v_ashrrev_i32_e32 v1, 31, v1
	s_delay_alu instid0(VALU_DEP_2) | instskip(NEXT) | instid1(VALU_DEP_1)
	v_cvt_u32_f32_e32 v4, v4
	v_xor_b32_e32 v4, v4, v1
	s_delay_alu instid0(VALU_DEP_1) | instskip(NEXT) | instid1(VALU_DEP_1)
	v_sub_nc_u32_e32 v1, v4, v1
	v_cndmask_b32_e32 v0, 0, v1, vcc_lo
.LBB102_2036:
	s_branch .LBB102_2041
.LBB102_2037:
	s_mov_b32 s16, -1
                                        ; implicit-def: $vgpr0
	s_branch .LBB102_2041
.LBB102_2038:
	s_cmp_eq_u32 s0, 29
	s_cbranch_scc0 .LBB102_2040
; %bb.2039:
	global_load_b64 v[0:1], v[2:3], off
	s_mov_b32 s16, 0
	s_mov_b32 s21, -1
	s_branch .LBB102_2041
.LBB102_2040:
	s_mov_b32 s16, -1
                                        ; implicit-def: $vgpr0
.LBB102_2041:
	s_branch .LBB102_2057
.LBB102_2042:
	s_cmp_lt_i32 s0, 27
	s_cbranch_scc1 .LBB102_2045
; %bb.2043:
	s_cmp_gt_i32 s0, 27
	s_cbranch_scc0 .LBB102_2046
; %bb.2044:
	s_wait_loadcnt 0x0
	global_load_b32 v0, v[2:3], off
	s_mov_b32 s21, 0
	s_branch .LBB102_2047
.LBB102_2045:
	s_mov_b32 s21, -1
                                        ; implicit-def: $vgpr0
	s_branch .LBB102_2050
.LBB102_2046:
	s_mov_b32 s21, -1
                                        ; implicit-def: $vgpr0
.LBB102_2047:
	s_delay_alu instid0(SALU_CYCLE_1)
	s_and_not1_b32 vcc_lo, exec_lo, s21
	s_cbranch_vccnz .LBB102_2049
; %bb.2048:
	s_wait_loadcnt 0x0
	global_load_u16 v0, v[2:3], off
.LBB102_2049:
	s_mov_b32 s21, 0
.LBB102_2050:
	s_delay_alu instid0(SALU_CYCLE_1)
	s_and_not1_b32 vcc_lo, exec_lo, s21
	s_cbranch_vccnz .LBB102_2056
; %bb.2051:
	s_wait_loadcnt 0x0
	global_load_u8 v1, v[2:3], off
	s_mov_b32 s22, 0
	s_mov_b32 s21, exec_lo
	s_wait_loadcnt 0x0
	v_cmpx_lt_i16_e32 0x7f, v1
	s_xor_b32 s21, exec_lo, s21
	s_cbranch_execz .LBB102_2067
; %bb.2052:
	v_cmp_ne_u16_e32 vcc_lo, 0x80, v1
	s_and_b32 s22, vcc_lo, exec_lo
	s_and_not1_saveexec_b32 s21, s21
	s_cbranch_execnz .LBB102_2068
.LBB102_2053:
	s_or_b32 exec_lo, exec_lo, s21
	v_mov_b32_e32 v0, 0
	s_and_saveexec_b32 s21, s22
	s_cbranch_execz .LBB102_2055
.LBB102_2054:
	v_and_b32_e32 v0, 0xffff, v1
	s_delay_alu instid0(VALU_DEP_1) | instskip(SKIP_1) | instid1(VALU_DEP_2)
	v_and_b32_e32 v4, 7, v0
	v_bfe_u32 v8, v0, 3, 4
	v_clz_i32_u32_e32 v5, v4
	s_delay_alu instid0(VALU_DEP_2) | instskip(NEXT) | instid1(VALU_DEP_2)
	v_cmp_eq_u32_e32 vcc_lo, 0, v8
	v_min_u32_e32 v5, 32, v5
	s_delay_alu instid0(VALU_DEP_1) | instskip(NEXT) | instid1(VALU_DEP_1)
	v_subrev_nc_u32_e32 v7, 28, v5
	v_dual_lshlrev_b32 v0, v7, v0 :: v_dual_sub_nc_u32 v5, 29, v5
	s_delay_alu instid0(VALU_DEP_1) | instskip(NEXT) | instid1(VALU_DEP_1)
	v_dual_lshlrev_b32 v1, 24, v1 :: v_dual_bitop2_b32 v0, 7, v0 bitop3:0x40
	v_cndmask_b32_e32 v0, v4, v0, vcc_lo
	s_delay_alu instid0(VALU_DEP_3) | instskip(NEXT) | instid1(VALU_DEP_3)
	v_cndmask_b32_e32 v5, v8, v5, vcc_lo
	v_and_b32_e32 v1, 0x80000000, v1
	s_delay_alu instid0(VALU_DEP_3) | instskip(NEXT) | instid1(VALU_DEP_3)
	v_lshlrev_b32_e32 v0, 20, v0
	v_lshl_add_u32 v4, v5, 23, 0x3b800000
	s_delay_alu instid0(VALU_DEP_1) | instskip(NEXT) | instid1(VALU_DEP_1)
	v_or3_b32 v0, v1, v4, v0
	v_trunc_f32_e32 v0, v0
	s_delay_alu instid0(VALU_DEP_1) | instskip(NEXT) | instid1(VALU_DEP_1)
	v_mul_f32_e64 v1, 0x2f800000, |v0|
	v_floor_f32_e32 v1, v1
	s_delay_alu instid0(VALU_DEP_1) | instskip(SKIP_1) | instid1(VALU_DEP_2)
	v_fma_f32 v1, 0xcf800000, v1, |v0|
	v_ashrrev_i32_e32 v0, 31, v0
	v_cvt_u32_f32_e32 v1, v1
	s_delay_alu instid0(VALU_DEP_1) | instskip(NEXT) | instid1(VALU_DEP_1)
	v_xor_b32_e32 v1, v1, v0
	v_sub_nc_u32_e32 v0, v1, v0
.LBB102_2055:
	s_or_b32 exec_lo, exec_lo, s21
.LBB102_2056:
	s_mov_b32 s21, -1
.LBB102_2057:
	s_branch .LBB102_2087
.LBB102_2058:
	s_cmp_gt_i32 s0, 22
	s_cbranch_scc0 .LBB102_2066
; %bb.2059:
	s_cmp_lt_i32 s0, 24
	s_cbranch_scc1 .LBB102_2069
; %bb.2060:
	s_cmp_gt_i32 s0, 24
	s_cbranch_scc0 .LBB102_2070
; %bb.2061:
	s_wait_loadcnt 0x0
	global_load_u8 v1, v[2:3], off
	s_mov_b32 s21, 0
	s_mov_b32 s20, exec_lo
	s_wait_loadcnt 0x0
	v_cmpx_lt_i16_e32 0x7f, v1
	s_xor_b32 s20, exec_lo, s20
	s_cbranch_execz .LBB102_2081
; %bb.2062:
	v_cmp_ne_u16_e32 vcc_lo, 0x80, v1
	s_and_b32 s21, vcc_lo, exec_lo
	s_and_not1_saveexec_b32 s20, s20
	s_cbranch_execnz .LBB102_2082
.LBB102_2063:
	s_or_b32 exec_lo, exec_lo, s20
	v_mov_b32_e32 v0, 0
	s_and_saveexec_b32 s20, s21
	s_cbranch_execz .LBB102_2065
.LBB102_2064:
	v_and_b32_e32 v0, 0xffff, v1
	s_delay_alu instid0(VALU_DEP_1) | instskip(SKIP_1) | instid1(VALU_DEP_2)
	v_and_b32_e32 v4, 3, v0
	v_bfe_u32 v8, v0, 2, 5
	v_clz_i32_u32_e32 v5, v4
	s_delay_alu instid0(VALU_DEP_2) | instskip(NEXT) | instid1(VALU_DEP_2)
	v_cmp_eq_u32_e32 vcc_lo, 0, v8
	v_min_u32_e32 v5, 32, v5
	s_delay_alu instid0(VALU_DEP_1) | instskip(NEXT) | instid1(VALU_DEP_1)
	v_subrev_nc_u32_e32 v7, 29, v5
	v_dual_lshlrev_b32 v0, v7, v0 :: v_dual_sub_nc_u32 v5, 30, v5
	s_delay_alu instid0(VALU_DEP_1) | instskip(NEXT) | instid1(VALU_DEP_1)
	v_dual_lshlrev_b32 v1, 24, v1 :: v_dual_bitop2_b32 v0, 3, v0 bitop3:0x40
	v_cndmask_b32_e32 v0, v4, v0, vcc_lo
	s_delay_alu instid0(VALU_DEP_3) | instskip(NEXT) | instid1(VALU_DEP_3)
	v_cndmask_b32_e32 v5, v8, v5, vcc_lo
	v_and_b32_e32 v1, 0x80000000, v1
	s_delay_alu instid0(VALU_DEP_3) | instskip(NEXT) | instid1(VALU_DEP_3)
	v_lshlrev_b32_e32 v0, 21, v0
	v_lshl_add_u32 v4, v5, 23, 0x37800000
	s_delay_alu instid0(VALU_DEP_1) | instskip(NEXT) | instid1(VALU_DEP_1)
	v_or3_b32 v0, v1, v4, v0
	v_trunc_f32_e32 v0, v0
	s_delay_alu instid0(VALU_DEP_1) | instskip(NEXT) | instid1(VALU_DEP_1)
	v_mul_f32_e64 v1, 0x2f800000, |v0|
	v_floor_f32_e32 v1, v1
	s_delay_alu instid0(VALU_DEP_1) | instskip(SKIP_1) | instid1(VALU_DEP_2)
	v_fma_f32 v1, 0xcf800000, v1, |v0|
	v_ashrrev_i32_e32 v0, 31, v0
	v_cvt_u32_f32_e32 v1, v1
	s_delay_alu instid0(VALU_DEP_1) | instskip(NEXT) | instid1(VALU_DEP_1)
	v_xor_b32_e32 v1, v1, v0
	v_sub_nc_u32_e32 v0, v1, v0
.LBB102_2065:
	s_or_b32 exec_lo, exec_lo, s20
	s_mov_b32 s20, 0
	s_branch .LBB102_2071
.LBB102_2066:
                                        ; implicit-def: $vgpr0
	s_mov_b32 s20, 0
	s_branch .LBB102_2077
.LBB102_2067:
	s_and_not1_saveexec_b32 s21, s21
	s_cbranch_execz .LBB102_2053
.LBB102_2068:
	v_cmp_ne_u16_e32 vcc_lo, 0, v1
	s_and_not1_b32 s22, s22, exec_lo
	s_and_b32 s23, vcc_lo, exec_lo
	s_delay_alu instid0(SALU_CYCLE_1)
	s_or_b32 s22, s22, s23
	s_or_b32 exec_lo, exec_lo, s21
	v_mov_b32_e32 v0, 0
	s_and_saveexec_b32 s21, s22
	s_cbranch_execnz .LBB102_2054
	s_branch .LBB102_2055
.LBB102_2069:
	s_mov_b32 s20, -1
                                        ; implicit-def: $vgpr0
	s_branch .LBB102_2074
.LBB102_2070:
	s_mov_b32 s20, -1
                                        ; implicit-def: $vgpr0
.LBB102_2071:
	s_delay_alu instid0(SALU_CYCLE_1)
	s_and_b32 vcc_lo, exec_lo, s20
	s_cbranch_vccz .LBB102_2073
; %bb.2072:
	s_wait_loadcnt 0x0
	global_load_u8 v0, v[2:3], off
	s_wait_loadcnt 0x0
	v_lshlrev_b32_e32 v0, 24, v0
	s_delay_alu instid0(VALU_DEP_1) | instskip(NEXT) | instid1(VALU_DEP_1)
	v_and_b32_e32 v1, 0x7f000000, v0
	v_clz_i32_u32_e32 v4, v1
	v_add_nc_u32_e32 v7, 0x1000000, v1
	v_cmp_ne_u32_e32 vcc_lo, 0, v1
	s_delay_alu instid0(VALU_DEP_3) | instskip(NEXT) | instid1(VALU_DEP_1)
	v_min_u32_e32 v4, 32, v4
	v_sub_nc_u32_e64 v4, v4, 4 clamp
	s_delay_alu instid0(VALU_DEP_1) | instskip(NEXT) | instid1(VALU_DEP_1)
	v_dual_lshlrev_b32 v5, v4, v1 :: v_dual_lshlrev_b32 v4, 23, v4
	v_lshrrev_b32_e32 v5, 4, v5
	s_delay_alu instid0(VALU_DEP_1) | instskip(NEXT) | instid1(VALU_DEP_1)
	v_dual_sub_nc_u32 v4, v5, v4 :: v_dual_ashrrev_i32 v5, 8, v7
	v_add_nc_u32_e32 v4, 0x3c000000, v4
	s_delay_alu instid0(VALU_DEP_1) | instskip(NEXT) | instid1(VALU_DEP_1)
	v_and_or_b32 v4, 0x7f800000, v5, v4
	v_cndmask_b32_e32 v1, 0, v4, vcc_lo
	s_delay_alu instid0(VALU_DEP_1) | instskip(NEXT) | instid1(VALU_DEP_1)
	v_and_or_b32 v0, 0x80000000, v0, v1
	v_trunc_f32_e32 v0, v0
	s_delay_alu instid0(VALU_DEP_1) | instskip(NEXT) | instid1(VALU_DEP_1)
	v_mul_f32_e64 v1, 0x2f800000, |v0|
	v_floor_f32_e32 v1, v1
	s_delay_alu instid0(VALU_DEP_1) | instskip(SKIP_1) | instid1(VALU_DEP_2)
	v_fma_f32 v1, 0xcf800000, v1, |v0|
	v_ashrrev_i32_e32 v0, 31, v0
	v_cvt_u32_f32_e32 v1, v1
	s_delay_alu instid0(VALU_DEP_1) | instskip(NEXT) | instid1(VALU_DEP_1)
	v_xor_b32_e32 v1, v1, v0
	v_sub_nc_u32_e32 v0, v1, v0
.LBB102_2073:
	s_mov_b32 s20, 0
.LBB102_2074:
	s_delay_alu instid0(SALU_CYCLE_1)
	s_and_not1_b32 vcc_lo, exec_lo, s20
	s_cbranch_vccnz .LBB102_2076
; %bb.2075:
	s_wait_loadcnt 0x0
	global_load_u8 v0, v[2:3], off
	s_wait_loadcnt 0x0
	v_lshlrev_b32_e32 v1, 25, v0
	v_lshlrev_b16 v0, 8, v0
	s_delay_alu instid0(VALU_DEP_1) | instskip(SKIP_1) | instid1(VALU_DEP_2)
	v_and_or_b32 v5, 0x7f00, v0, 0.5
	v_bfe_i32 v0, v0, 0, 16
	v_add_f32_e32 v5, -0.5, v5
	v_lshrrev_b32_e32 v4, 4, v1
	v_cmp_gt_u32_e32 vcc_lo, 0x8000000, v1
	s_delay_alu instid0(VALU_DEP_2) | instskip(NEXT) | instid1(VALU_DEP_1)
	v_or_b32_e32 v4, 0x70000000, v4
	v_mul_f32_e32 v4, 0x7800000, v4
	s_delay_alu instid0(VALU_DEP_1) | instskip(NEXT) | instid1(VALU_DEP_1)
	v_cndmask_b32_e32 v1, v4, v5, vcc_lo
	v_and_or_b32 v0, 0x80000000, v0, v1
	s_delay_alu instid0(VALU_DEP_1) | instskip(NEXT) | instid1(VALU_DEP_1)
	v_trunc_f32_e32 v0, v0
	v_mul_f32_e64 v1, 0x2f800000, |v0|
	s_delay_alu instid0(VALU_DEP_1) | instskip(NEXT) | instid1(VALU_DEP_1)
	v_floor_f32_e32 v1, v1
	v_fma_f32 v1, 0xcf800000, v1, |v0|
	v_ashrrev_i32_e32 v0, 31, v0
	s_delay_alu instid0(VALU_DEP_2) | instskip(NEXT) | instid1(VALU_DEP_1)
	v_cvt_u32_f32_e32 v1, v1
	v_xor_b32_e32 v1, v1, v0
	s_delay_alu instid0(VALU_DEP_1)
	v_sub_nc_u32_e32 v0, v1, v0
.LBB102_2076:
	s_mov_b32 s21, -1
	s_mov_b32 s20, 0
	s_cbranch_execnz .LBB102_2087
.LBB102_2077:
	s_cmp_gt_i32 s0, 14
	s_cbranch_scc0 .LBB102_2080
; %bb.2078:
	s_cmp_eq_u32 s0, 15
	s_cbranch_scc0 .LBB102_2083
; %bb.2079:
	s_wait_loadcnt 0x0
	global_load_u16 v0, v[2:3], off
	s_mov_b32 s16, 0
	s_mov_b32 s21, -1
	s_wait_loadcnt 0x0
	v_lshlrev_b32_e32 v0, 16, v0
	s_delay_alu instid0(VALU_DEP_1) | instskip(NEXT) | instid1(VALU_DEP_1)
	v_trunc_f32_e32 v0, v0
	v_mul_f32_e64 v1, 0x2f800000, |v0|
	s_delay_alu instid0(VALU_DEP_1) | instskip(NEXT) | instid1(VALU_DEP_1)
	v_floor_f32_e32 v1, v1
	v_fma_f32 v1, 0xcf800000, v1, |v0|
	v_ashrrev_i32_e32 v0, 31, v0
	s_delay_alu instid0(VALU_DEP_2) | instskip(NEXT) | instid1(VALU_DEP_1)
	v_cvt_u32_f32_e32 v1, v1
	v_xor_b32_e32 v1, v1, v0
	s_delay_alu instid0(VALU_DEP_1)
	v_sub_nc_u32_e32 v0, v1, v0
	s_branch .LBB102_2085
.LBB102_2080:
	s_mov_b32 s20, -1
	s_branch .LBB102_2084
.LBB102_2081:
	s_and_not1_saveexec_b32 s20, s20
	s_cbranch_execz .LBB102_2063
.LBB102_2082:
	v_cmp_ne_u16_e32 vcc_lo, 0, v1
	s_and_not1_b32 s21, s21, exec_lo
	s_and_b32 s22, vcc_lo, exec_lo
	s_delay_alu instid0(SALU_CYCLE_1)
	s_or_b32 s21, s21, s22
	s_or_b32 exec_lo, exec_lo, s20
	v_mov_b32_e32 v0, 0
	s_and_saveexec_b32 s20, s21
	s_cbranch_execnz .LBB102_2064
	s_branch .LBB102_2065
.LBB102_2083:
	s_mov_b32 s16, -1
.LBB102_2084:
                                        ; implicit-def: $vgpr0
.LBB102_2085:
	s_and_b32 vcc_lo, exec_lo, s20
	s_mov_b32 s20, 0
	s_cbranch_vccz .LBB102_2087
; %bb.2086:
	s_cmp_lg_u32 s0, 11
	s_mov_b32 s20, -1
	s_cselect_b32 s16, -1, 0
.LBB102_2087:
	s_delay_alu instid0(SALU_CYCLE_1)
	s_and_b32 vcc_lo, exec_lo, s16
	s_mov_b32 s16, s19
	s_cbranch_vccnz .LBB102_2148
; %bb.2088:
	s_and_not1_b32 vcc_lo, exec_lo, s20
	s_cbranch_vccnz .LBB102_2090
.LBB102_2089:
	s_wait_loadcnt 0x0
	global_load_u8 v0, v[2:3], off
	s_mov_b32 s21, -1
	s_wait_loadcnt 0x0
	v_cmp_ne_u16_e32 vcc_lo, 0, v0
	v_cndmask_b32_e64 v0, 0, 1, vcc_lo
.LBB102_2090:
	s_branch .LBB102_2024
.LBB102_2091:
	s_and_b32 s0, 0xffff, s17
	s_delay_alu instid0(SALU_CYCLE_1)
	s_cmp_lt_i32 s0, 5
	s_cbranch_scc1 .LBB102_2096
; %bb.2092:
	s_cmp_lt_i32 s0, 8
	s_cbranch_scc1 .LBB102_2097
; %bb.2093:
	;; [unrolled: 3-line block ×3, first 2 shown]
	s_cmp_gt_i32 s0, 9
	s_cbranch_scc0 .LBB102_2099
; %bb.2095:
	s_wait_loadcnt 0x0
	global_load_b64 v[0:1], v[2:3], off
	s_mov_b32 s20, 0
	s_wait_loadcnt 0x0
	v_trunc_f64_e32 v[0:1], v[0:1]
	s_delay_alu instid0(VALU_DEP_1) | instskip(NEXT) | instid1(VALU_DEP_1)
	v_ldexp_f64 v[4:5], v[0:1], 0xffffffe0
	v_floor_f64_e32 v[4:5], v[4:5]
	s_delay_alu instid0(VALU_DEP_1) | instskip(NEXT) | instid1(VALU_DEP_1)
	v_fmamk_f64 v[0:1], v[4:5], 0xc1f00000, v[0:1]
	v_cvt_u32_f64_e32 v0, v[0:1]
	s_branch .LBB102_2100
.LBB102_2096:
                                        ; implicit-def: $vgpr0
	s_branch .LBB102_2117
.LBB102_2097:
                                        ; implicit-def: $vgpr0
	s_branch .LBB102_2106
.LBB102_2098:
	s_mov_b32 s20, -1
                                        ; implicit-def: $vgpr0
	s_branch .LBB102_2103
.LBB102_2099:
	s_mov_b32 s20, -1
                                        ; implicit-def: $vgpr0
.LBB102_2100:
	s_delay_alu instid0(SALU_CYCLE_1)
	s_and_not1_b32 vcc_lo, exec_lo, s20
	s_cbranch_vccnz .LBB102_2102
; %bb.2101:
	s_wait_loadcnt 0x0
	global_load_b32 v0, v[2:3], off
	s_wait_loadcnt 0x0
	v_trunc_f32_e32 v0, v0
	s_delay_alu instid0(VALU_DEP_1) | instskip(NEXT) | instid1(VALU_DEP_1)
	v_mul_f32_e64 v1, 0x2f800000, |v0|
	v_floor_f32_e32 v1, v1
	s_delay_alu instid0(VALU_DEP_1) | instskip(SKIP_1) | instid1(VALU_DEP_2)
	v_fma_f32 v1, 0xcf800000, v1, |v0|
	v_ashrrev_i32_e32 v0, 31, v0
	v_cvt_u32_f32_e32 v1, v1
	s_delay_alu instid0(VALU_DEP_1) | instskip(NEXT) | instid1(VALU_DEP_1)
	v_xor_b32_e32 v1, v1, v0
	v_sub_nc_u32_e32 v0, v1, v0
.LBB102_2102:
	s_mov_b32 s20, 0
.LBB102_2103:
	s_delay_alu instid0(SALU_CYCLE_1)
	s_and_not1_b32 vcc_lo, exec_lo, s20
	s_cbranch_vccnz .LBB102_2105
; %bb.2104:
	s_wait_loadcnt 0x0
	global_load_b32 v0, v[2:3], off
	s_wait_loadcnt 0x0
	v_cvt_f32_f16_e32 v0, v0
	s_delay_alu instid0(VALU_DEP_1)
	v_cvt_i32_f32_e32 v0, v0
.LBB102_2105:
	s_cbranch_execnz .LBB102_2116
.LBB102_2106:
	s_cmp_lt_i32 s0, 6
	s_cbranch_scc1 .LBB102_2109
; %bb.2107:
	s_cmp_gt_i32 s0, 6
	s_cbranch_scc0 .LBB102_2110
; %bb.2108:
	s_wait_loadcnt 0x0
	global_load_b64 v[0:1], v[2:3], off
	s_mov_b32 s20, 0
	s_wait_loadcnt 0x0
	v_trunc_f64_e32 v[0:1], v[0:1]
	s_delay_alu instid0(VALU_DEP_1) | instskip(NEXT) | instid1(VALU_DEP_1)
	v_ldexp_f64 v[4:5], v[0:1], 0xffffffe0
	v_floor_f64_e32 v[4:5], v[4:5]
	s_delay_alu instid0(VALU_DEP_1) | instskip(NEXT) | instid1(VALU_DEP_1)
	v_fmamk_f64 v[0:1], v[4:5], 0xc1f00000, v[0:1]
	v_cvt_u32_f64_e32 v0, v[0:1]
	s_branch .LBB102_2111
.LBB102_2109:
	s_mov_b32 s20, -1
                                        ; implicit-def: $vgpr0
	s_branch .LBB102_2114
.LBB102_2110:
	s_mov_b32 s20, -1
                                        ; implicit-def: $vgpr0
.LBB102_2111:
	s_delay_alu instid0(SALU_CYCLE_1)
	s_and_not1_b32 vcc_lo, exec_lo, s20
	s_cbranch_vccnz .LBB102_2113
; %bb.2112:
	s_wait_loadcnt 0x0
	global_load_b32 v0, v[2:3], off
	s_wait_loadcnt 0x0
	v_trunc_f32_e32 v0, v0
	s_delay_alu instid0(VALU_DEP_1) | instskip(NEXT) | instid1(VALU_DEP_1)
	v_mul_f32_e64 v1, 0x2f800000, |v0|
	v_floor_f32_e32 v1, v1
	s_delay_alu instid0(VALU_DEP_1) | instskip(SKIP_1) | instid1(VALU_DEP_2)
	v_fma_f32 v1, 0xcf800000, v1, |v0|
	v_ashrrev_i32_e32 v0, 31, v0
	v_cvt_u32_f32_e32 v1, v1
	s_delay_alu instid0(VALU_DEP_1) | instskip(NEXT) | instid1(VALU_DEP_1)
	v_xor_b32_e32 v1, v1, v0
	v_sub_nc_u32_e32 v0, v1, v0
.LBB102_2113:
	s_mov_b32 s20, 0
.LBB102_2114:
	s_delay_alu instid0(SALU_CYCLE_1)
	s_and_not1_b32 vcc_lo, exec_lo, s20
	s_cbranch_vccnz .LBB102_2116
; %bb.2115:
	s_wait_loadcnt 0x0
	global_load_u16 v0, v[2:3], off
	s_wait_loadcnt 0x0
	v_cvt_f32_f16_e32 v0, v0
	s_delay_alu instid0(VALU_DEP_1)
	v_cvt_i32_f32_e32 v0, v0
.LBB102_2116:
	s_cbranch_execnz .LBB102_2135
.LBB102_2117:
	s_cmp_lt_i32 s0, 2
	s_cbranch_scc1 .LBB102_2121
; %bb.2118:
	s_cmp_lt_i32 s0, 3
	s_cbranch_scc1 .LBB102_2122
; %bb.2119:
	s_cmp_gt_i32 s0, 3
	s_cbranch_scc0 .LBB102_2123
; %bb.2120:
	s_wait_loadcnt 0x0
	global_load_b64 v[0:1], v[2:3], off
	s_mov_b32 s20, 0
	s_branch .LBB102_2124
.LBB102_2121:
                                        ; implicit-def: $vgpr0
	s_branch .LBB102_2130
.LBB102_2122:
	s_mov_b32 s20, -1
                                        ; implicit-def: $vgpr0
	s_branch .LBB102_2127
.LBB102_2123:
	s_mov_b32 s20, -1
                                        ; implicit-def: $vgpr0
.LBB102_2124:
	s_delay_alu instid0(SALU_CYCLE_1)
	s_and_not1_b32 vcc_lo, exec_lo, s20
	s_cbranch_vccnz .LBB102_2126
; %bb.2125:
	s_wait_loadcnt 0x0
	global_load_b32 v0, v[2:3], off
.LBB102_2126:
	s_mov_b32 s20, 0
.LBB102_2127:
	s_delay_alu instid0(SALU_CYCLE_1)
	s_and_not1_b32 vcc_lo, exec_lo, s20
	s_cbranch_vccnz .LBB102_2129
; %bb.2128:
	s_wait_loadcnt 0x0
	global_load_u16 v0, v[2:3], off
.LBB102_2129:
	s_cbranch_execnz .LBB102_2135
.LBB102_2130:
	s_cmp_gt_i32 s0, 0
	s_mov_b32 s0, 0
	s_cbranch_scc0 .LBB102_2132
; %bb.2131:
	s_wait_loadcnt 0x0
	global_load_u8 v0, v[2:3], off
	s_branch .LBB102_2133
.LBB102_2132:
	s_mov_b32 s0, -1
                                        ; implicit-def: $vgpr0
.LBB102_2133:
	s_delay_alu instid0(SALU_CYCLE_1)
	s_and_not1_b32 vcc_lo, exec_lo, s0
	s_cbranch_vccnz .LBB102_2135
; %bb.2134:
	s_wait_loadcnt 0x0
	global_load_u8 v0, v[2:3], off
.LBB102_2135:
.LBB102_2136:
	v_mul_lo_u32 v8, s14, v26
	s_and_b32 s3, s3, 0xff
	s_delay_alu instid0(SALU_CYCLE_1) | instskip(NEXT) | instid1(VALU_DEP_1)
	s_cmp_lt_i32 s3, 11
	v_ashrrev_i32_e32 v9, 31, v8
	s_delay_alu instid0(VALU_DEP_1)
	v_add_nc_u64_e32 v[4:5], s[8:9], v[8:9]
	s_cbranch_scc1 .LBB102_2143
; %bb.2137:
	s_and_b32 s0, 0xffff, s3
	s_mov_b32 s21, 0
	s_cmp_gt_i32 s0, 25
	s_cbranch_scc0 .LBB102_2145
; %bb.2138:
	s_cmp_gt_i32 s0, 28
	s_cbranch_scc0 .LBB102_2146
; %bb.2139:
	;; [unrolled: 3-line block ×4, first 2 shown]
	s_cmp_eq_u32 s0, 46
	s_mov_b32 s23, 0
	s_cbranch_scc0 .LBB102_2152
; %bb.2142:
	s_wait_loadcnt 0x0
	global_load_b32 v1, v[4:5], off
	s_mov_b32 s20, 0
	s_mov_b32 s22, -1
	s_wait_loadcnt 0x0
	v_lshlrev_b32_e32 v1, 16, v1
	s_delay_alu instid0(VALU_DEP_1) | instskip(SKIP_1) | instid1(VALU_DEP_1)
	v_trunc_f32_e32 v1, v1
	s_wait_xcnt 0x1
	v_mul_f32_e64 v2, 0x2f800000, |v1|
	s_delay_alu instid0(VALU_DEP_1) | instskip(NEXT) | instid1(VALU_DEP_1)
	v_floor_f32_e32 v2, v2
	v_fma_f32 v2, 0xcf800000, v2, |v1|
	v_ashrrev_i32_e32 v1, 31, v1
	s_delay_alu instid0(VALU_DEP_2) | instskip(NEXT) | instid1(VALU_DEP_1)
	v_cvt_u32_f32_e32 v2, v2
	v_xor_b32_e32 v2, v2, v1
	s_delay_alu instid0(VALU_DEP_1)
	v_sub_nc_u32_e32 v2, v2, v1
	s_branch .LBB102_2154
.LBB102_2143:
	s_mov_b32 s22, 0
                                        ; implicit-def: $vgpr2
	s_cbranch_execnz .LBB102_2215
.LBB102_2144:
	s_and_not1_b32 vcc_lo, exec_lo, s22
	s_cbranch_vccnz .LBB102_3968
	s_branch .LBB102_2262
.LBB102_2145:
	s_mov_b32 s22, 0
	s_mov_b32 s20, 0
                                        ; implicit-def: $vgpr2
	s_cbranch_execnz .LBB102_2181
	s_branch .LBB102_2211
.LBB102_2146:
	s_mov_b32 s23, -1
	s_mov_b32 s22, 0
	s_mov_b32 s20, 0
                                        ; implicit-def: $vgpr2
	s_branch .LBB102_2164
.LBB102_2147:
	s_mov_b32 s23, -1
	s_mov_b32 s22, 0
	s_mov_b32 s20, 0
                                        ; implicit-def: $vgpr2
	s_branch .LBB102_2159
.LBB102_2148:
	s_or_b32 s16, s19, exec_lo
	s_trap 2
	s_cbranch_execz .LBB102_2089
	s_branch .LBB102_2090
.LBB102_2149:
	s_mov_b32 s23, -1
	s_mov_b32 s22, 0
	s_mov_b32 s20, 0
	s_branch .LBB102_2153
.LBB102_2150:
	s_and_not1_saveexec_b32 s27, s27
	s_cbranch_execz .LBB102_1940
.LBB102_2151:
	v_add_f32_e32 v0, 0x42800000, v2
	s_and_not1_b32 s26, s26, exec_lo
	s_delay_alu instid0(VALU_DEP_1) | instskip(NEXT) | instid1(VALU_DEP_1)
	v_and_b32_e32 v0, 0xff, v0
	v_cmp_ne_u32_e32 vcc_lo, 0, v0
	s_and_b32 s28, vcc_lo, exec_lo
	s_delay_alu instid0(SALU_CYCLE_1)
	s_or_b32 s26, s26, s28
	s_or_b32 exec_lo, exec_lo, s27
	v_mov_b32_e32 v3, 0
	s_and_saveexec_b32 s27, s26
	s_cbranch_execnz .LBB102_1941
	s_branch .LBB102_1942
.LBB102_2152:
	s_mov_b32 s20, -1
	s_mov_b32 s22, 0
.LBB102_2153:
                                        ; implicit-def: $vgpr2
.LBB102_2154:
	s_and_b32 vcc_lo, exec_lo, s23
	s_cbranch_vccz .LBB102_2158
; %bb.2155:
	s_cmp_eq_u32 s0, 44
	s_cbranch_scc0 .LBB102_2157
; %bb.2156:
	s_wait_loadcnt 0x0
	global_load_u8 v1, v[4:5], off
	s_mov_b32 s20, 0
	s_mov_b32 s22, -1
	s_wait_loadcnt 0x0
	s_wait_xcnt 0x1
	v_lshlrev_b32_e32 v2, 23, v1
	v_cmp_ne_u32_e32 vcc_lo, 0, v1
	s_delay_alu instid0(VALU_DEP_2) | instskip(NEXT) | instid1(VALU_DEP_1)
	v_trunc_f32_e32 v2, v2
	v_mul_f32_e64 v3, 0x2f800000, |v2|
	s_delay_alu instid0(VALU_DEP_1) | instskip(NEXT) | instid1(VALU_DEP_1)
	v_floor_f32_e32 v3, v3
	v_fma_f32 v3, 0xcf800000, v3, |v2|
	v_ashrrev_i32_e32 v2, 31, v2
	s_delay_alu instid0(VALU_DEP_2) | instskip(NEXT) | instid1(VALU_DEP_1)
	v_cvt_u32_f32_e32 v3, v3
	v_xor_b32_e32 v3, v3, v2
	s_delay_alu instid0(VALU_DEP_1) | instskip(NEXT) | instid1(VALU_DEP_1)
	v_sub_nc_u32_e32 v2, v3, v2
	v_cndmask_b32_e32 v2, 0, v2, vcc_lo
	s_branch .LBB102_2158
.LBB102_2157:
	s_mov_b32 s20, -1
                                        ; implicit-def: $vgpr2
.LBB102_2158:
	s_mov_b32 s23, 0
.LBB102_2159:
	s_delay_alu instid0(SALU_CYCLE_1)
	s_and_b32 vcc_lo, exec_lo, s23
	s_cbranch_vccz .LBB102_2163
; %bb.2160:
	s_cmp_eq_u32 s0, 29
	s_cbranch_scc0 .LBB102_2162
; %bb.2161:
	global_load_b64 v[2:3], v[4:5], off
	s_mov_b32 s20, 0
	s_mov_b32 s22, -1
	s_branch .LBB102_2163
.LBB102_2162:
	s_mov_b32 s20, -1
                                        ; implicit-def: $vgpr2
.LBB102_2163:
	s_mov_b32 s23, 0
.LBB102_2164:
	s_delay_alu instid0(SALU_CYCLE_1)
	s_and_b32 vcc_lo, exec_lo, s23
	s_cbranch_vccz .LBB102_2180
; %bb.2165:
	s_cmp_lt_i32 s0, 27
	s_cbranch_scc1 .LBB102_2168
; %bb.2166:
	s_cmp_gt_i32 s0, 27
	s_cbranch_scc0 .LBB102_2169
; %bb.2167:
	s_wait_loadcnt 0x0
	global_load_b32 v2, v[4:5], off
	s_mov_b32 s22, 0
	s_branch .LBB102_2170
.LBB102_2168:
	s_mov_b32 s22, -1
                                        ; implicit-def: $vgpr2
	s_branch .LBB102_2173
.LBB102_2169:
	s_mov_b32 s22, -1
                                        ; implicit-def: $vgpr2
.LBB102_2170:
	s_delay_alu instid0(SALU_CYCLE_1)
	s_and_not1_b32 vcc_lo, exec_lo, s22
	s_cbranch_vccnz .LBB102_2172
; %bb.2171:
	s_wait_loadcnt 0x0
	global_load_u16 v2, v[4:5], off
.LBB102_2172:
	s_mov_b32 s22, 0
.LBB102_2173:
	s_delay_alu instid0(SALU_CYCLE_1)
	s_and_not1_b32 vcc_lo, exec_lo, s22
	s_cbranch_vccnz .LBB102_2179
; %bb.2174:
	s_wait_loadcnt 0x0
	global_load_u8 v1, v[4:5], off
	s_mov_b32 s23, 0
	s_mov_b32 s22, exec_lo
	s_wait_loadcnt 0x0
	v_cmpx_lt_i16_e32 0x7f, v1
	s_xor_b32 s22, exec_lo, s22
	s_cbranch_execz .LBB102_2190
; %bb.2175:
	v_cmp_ne_u16_e32 vcc_lo, 0x80, v1
	s_and_b32 s23, vcc_lo, exec_lo
	s_and_not1_saveexec_b32 s22, s22
	s_cbranch_execnz .LBB102_2191
.LBB102_2176:
	s_or_b32 exec_lo, exec_lo, s22
	v_mov_b32_e32 v2, 0
	s_and_saveexec_b32 s22, s23
	s_cbranch_execz .LBB102_2178
.LBB102_2177:
	v_and_b32_e32 v2, 0xffff, v1
	s_delay_alu instid0(VALU_DEP_1) | instskip(SKIP_1) | instid1(VALU_DEP_2)
	v_and_b32_e32 v3, 7, v2
	v_bfe_u32 v10, v2, 3, 4
	v_clz_i32_u32_e32 v7, v3
	s_delay_alu instid0(VALU_DEP_2) | instskip(NEXT) | instid1(VALU_DEP_2)
	v_cmp_eq_u32_e32 vcc_lo, 0, v10
	v_min_u32_e32 v7, 32, v7
	s_delay_alu instid0(VALU_DEP_1) | instskip(NEXT) | instid1(VALU_DEP_1)
	v_subrev_nc_u32_e32 v9, 28, v7
	v_dual_lshlrev_b32 v2, v9, v2 :: v_dual_sub_nc_u32 v7, 29, v7
	s_delay_alu instid0(VALU_DEP_1) | instskip(NEXT) | instid1(VALU_DEP_1)
	v_dual_lshlrev_b32 v1, 24, v1 :: v_dual_bitop2_b32 v2, 7, v2 bitop3:0x40
	v_dual_cndmask_b32 v7, v10, v7 :: v_dual_cndmask_b32 v2, v3, v2
	s_delay_alu instid0(VALU_DEP_2) | instskip(NEXT) | instid1(VALU_DEP_2)
	v_and_b32_e32 v1, 0x80000000, v1
	v_lshl_add_u32 v3, v7, 23, 0x3b800000
	s_delay_alu instid0(VALU_DEP_3) | instskip(NEXT) | instid1(VALU_DEP_1)
	v_lshlrev_b32_e32 v2, 20, v2
	v_or3_b32 v1, v1, v3, v2
	s_delay_alu instid0(VALU_DEP_1) | instskip(NEXT) | instid1(VALU_DEP_1)
	v_trunc_f32_e32 v1, v1
	v_mul_f32_e64 v2, 0x2f800000, |v1|
	s_delay_alu instid0(VALU_DEP_1) | instskip(NEXT) | instid1(VALU_DEP_1)
	v_floor_f32_e32 v2, v2
	v_fma_f32 v2, 0xcf800000, v2, |v1|
	v_ashrrev_i32_e32 v1, 31, v1
	s_delay_alu instid0(VALU_DEP_2) | instskip(NEXT) | instid1(VALU_DEP_1)
	v_cvt_u32_f32_e32 v2, v2
	v_xor_b32_e32 v2, v2, v1
	s_delay_alu instid0(VALU_DEP_1)
	v_sub_nc_u32_e32 v2, v2, v1
.LBB102_2178:
	s_or_b32 exec_lo, exec_lo, s22
.LBB102_2179:
	s_mov_b32 s22, -1
.LBB102_2180:
	s_branch .LBB102_2211
.LBB102_2181:
	s_cmp_gt_i32 s0, 22
	s_cbranch_scc0 .LBB102_2189
; %bb.2182:
	s_cmp_lt_i32 s0, 24
	s_cbranch_scc1 .LBB102_2192
; %bb.2183:
	s_cmp_gt_i32 s0, 24
	s_cbranch_scc0 .LBB102_2193
; %bb.2184:
	s_wait_loadcnt 0x0
	global_load_u8 v1, v[4:5], off
	s_mov_b32 s22, 0
	s_mov_b32 s21, exec_lo
	s_wait_loadcnt 0x0
	v_cmpx_lt_i16_e32 0x7f, v1
	s_xor_b32 s21, exec_lo, s21
	s_cbranch_execz .LBB102_2205
; %bb.2185:
	v_cmp_ne_u16_e32 vcc_lo, 0x80, v1
	s_and_b32 s22, vcc_lo, exec_lo
	s_and_not1_saveexec_b32 s21, s21
	s_cbranch_execnz .LBB102_2206
.LBB102_2186:
	s_or_b32 exec_lo, exec_lo, s21
	v_mov_b32_e32 v2, 0
	s_and_saveexec_b32 s21, s22
	s_cbranch_execz .LBB102_2188
.LBB102_2187:
	v_and_b32_e32 v2, 0xffff, v1
	s_delay_alu instid0(VALU_DEP_1) | instskip(SKIP_1) | instid1(VALU_DEP_2)
	v_and_b32_e32 v3, 3, v2
	v_bfe_u32 v10, v2, 2, 5
	v_clz_i32_u32_e32 v7, v3
	s_delay_alu instid0(VALU_DEP_2) | instskip(NEXT) | instid1(VALU_DEP_2)
	v_cmp_eq_u32_e32 vcc_lo, 0, v10
	v_min_u32_e32 v7, 32, v7
	s_delay_alu instid0(VALU_DEP_1) | instskip(NEXT) | instid1(VALU_DEP_1)
	v_subrev_nc_u32_e32 v9, 29, v7
	v_dual_lshlrev_b32 v2, v9, v2 :: v_dual_sub_nc_u32 v7, 30, v7
	s_delay_alu instid0(VALU_DEP_1) | instskip(NEXT) | instid1(VALU_DEP_1)
	v_dual_lshlrev_b32 v1, 24, v1 :: v_dual_bitop2_b32 v2, 3, v2 bitop3:0x40
	v_dual_cndmask_b32 v7, v10, v7 :: v_dual_cndmask_b32 v2, v3, v2
	s_delay_alu instid0(VALU_DEP_2) | instskip(NEXT) | instid1(VALU_DEP_2)
	v_and_b32_e32 v1, 0x80000000, v1
	v_lshl_add_u32 v3, v7, 23, 0x37800000
	s_delay_alu instid0(VALU_DEP_3) | instskip(NEXT) | instid1(VALU_DEP_1)
	v_lshlrev_b32_e32 v2, 21, v2
	v_or3_b32 v1, v1, v3, v2
	s_delay_alu instid0(VALU_DEP_1) | instskip(NEXT) | instid1(VALU_DEP_1)
	v_trunc_f32_e32 v1, v1
	v_mul_f32_e64 v2, 0x2f800000, |v1|
	s_delay_alu instid0(VALU_DEP_1) | instskip(NEXT) | instid1(VALU_DEP_1)
	v_floor_f32_e32 v2, v2
	v_fma_f32 v2, 0xcf800000, v2, |v1|
	v_ashrrev_i32_e32 v1, 31, v1
	s_delay_alu instid0(VALU_DEP_2) | instskip(NEXT) | instid1(VALU_DEP_1)
	v_cvt_u32_f32_e32 v2, v2
	v_xor_b32_e32 v2, v2, v1
	s_delay_alu instid0(VALU_DEP_1)
	v_sub_nc_u32_e32 v2, v2, v1
.LBB102_2188:
	s_or_b32 exec_lo, exec_lo, s21
	s_mov_b32 s21, 0
	s_branch .LBB102_2194
.LBB102_2189:
	s_mov_b32 s21, -1
                                        ; implicit-def: $vgpr2
	s_branch .LBB102_2200
.LBB102_2190:
	s_and_not1_saveexec_b32 s22, s22
	s_cbranch_execz .LBB102_2176
.LBB102_2191:
	v_cmp_ne_u16_e32 vcc_lo, 0, v1
	s_and_not1_b32 s23, s23, exec_lo
	s_and_b32 s24, vcc_lo, exec_lo
	s_delay_alu instid0(SALU_CYCLE_1)
	s_or_b32 s23, s23, s24
	s_or_b32 exec_lo, exec_lo, s22
	v_mov_b32_e32 v2, 0
	s_and_saveexec_b32 s22, s23
	s_cbranch_execnz .LBB102_2177
	s_branch .LBB102_2178
.LBB102_2192:
	s_mov_b32 s21, -1
                                        ; implicit-def: $vgpr2
	s_branch .LBB102_2197
.LBB102_2193:
	s_mov_b32 s21, -1
                                        ; implicit-def: $vgpr2
.LBB102_2194:
	s_delay_alu instid0(SALU_CYCLE_1)
	s_and_b32 vcc_lo, exec_lo, s21
	s_cbranch_vccz .LBB102_2196
; %bb.2195:
	s_wait_loadcnt 0x0
	global_load_u8 v1, v[4:5], off
	s_wait_loadcnt 0x0
	v_lshlrev_b32_e32 v1, 24, v1
	s_wait_xcnt 0x1
	s_delay_alu instid0(VALU_DEP_1) | instskip(NEXT) | instid1(VALU_DEP_1)
	v_and_b32_e32 v2, 0x7f000000, v1
	v_clz_i32_u32_e32 v3, v2
	v_cmp_ne_u32_e32 vcc_lo, 0, v2
	v_add_nc_u32_e32 v9, 0x1000000, v2
	s_delay_alu instid0(VALU_DEP_3) | instskip(NEXT) | instid1(VALU_DEP_1)
	v_min_u32_e32 v3, 32, v3
	v_sub_nc_u32_e64 v3, v3, 4 clamp
	s_delay_alu instid0(VALU_DEP_1) | instskip(NEXT) | instid1(VALU_DEP_1)
	v_dual_lshlrev_b32 v7, v3, v2 :: v_dual_lshlrev_b32 v3, 23, v3
	v_lshrrev_b32_e32 v7, 4, v7
	s_delay_alu instid0(VALU_DEP_1) | instskip(NEXT) | instid1(VALU_DEP_1)
	v_dual_sub_nc_u32 v3, v7, v3 :: v_dual_ashrrev_i32 v7, 8, v9
	v_add_nc_u32_e32 v3, 0x3c000000, v3
	s_delay_alu instid0(VALU_DEP_1) | instskip(NEXT) | instid1(VALU_DEP_1)
	v_and_or_b32 v3, 0x7f800000, v7, v3
	v_cndmask_b32_e32 v2, 0, v3, vcc_lo
	s_delay_alu instid0(VALU_DEP_1) | instskip(NEXT) | instid1(VALU_DEP_1)
	v_and_or_b32 v1, 0x80000000, v1, v2
	v_trunc_f32_e32 v1, v1
	s_delay_alu instid0(VALU_DEP_1) | instskip(NEXT) | instid1(VALU_DEP_1)
	v_mul_f32_e64 v2, 0x2f800000, |v1|
	v_floor_f32_e32 v2, v2
	s_delay_alu instid0(VALU_DEP_1) | instskip(SKIP_1) | instid1(VALU_DEP_2)
	v_fma_f32 v2, 0xcf800000, v2, |v1|
	v_ashrrev_i32_e32 v1, 31, v1
	v_cvt_u32_f32_e32 v2, v2
	s_delay_alu instid0(VALU_DEP_1) | instskip(NEXT) | instid1(VALU_DEP_1)
	v_xor_b32_e32 v2, v2, v1
	v_sub_nc_u32_e32 v2, v2, v1
.LBB102_2196:
	s_mov_b32 s21, 0
.LBB102_2197:
	s_delay_alu instid0(SALU_CYCLE_1)
	s_and_not1_b32 vcc_lo, exec_lo, s21
	s_cbranch_vccnz .LBB102_2199
; %bb.2198:
	s_wait_loadcnt 0x0
	global_load_u8 v1, v[4:5], off
	s_wait_loadcnt 0x0
	s_wait_xcnt 0x1
	v_lshlrev_b32_e32 v2, 25, v1
	v_lshlrev_b16 v1, 8, v1
	s_delay_alu instid0(VALU_DEP_1) | instskip(SKIP_1) | instid1(VALU_DEP_2)
	v_and_or_b32 v7, 0x7f00, v1, 0.5
	v_bfe_i32 v1, v1, 0, 16
	v_dual_add_f32 v7, -0.5, v7 :: v_dual_lshrrev_b32 v3, 4, v2
	v_cmp_gt_u32_e32 vcc_lo, 0x8000000, v2
	s_delay_alu instid0(VALU_DEP_2) | instskip(NEXT) | instid1(VALU_DEP_1)
	v_or_b32_e32 v3, 0x70000000, v3
	v_mul_f32_e32 v3, 0x7800000, v3
	s_delay_alu instid0(VALU_DEP_1) | instskip(NEXT) | instid1(VALU_DEP_1)
	v_cndmask_b32_e32 v2, v3, v7, vcc_lo
	v_and_or_b32 v1, 0x80000000, v1, v2
	s_delay_alu instid0(VALU_DEP_1) | instskip(NEXT) | instid1(VALU_DEP_1)
	v_trunc_f32_e32 v1, v1
	v_mul_f32_e64 v2, 0x2f800000, |v1|
	s_delay_alu instid0(VALU_DEP_1) | instskip(NEXT) | instid1(VALU_DEP_1)
	v_floor_f32_e32 v2, v2
	v_fma_f32 v2, 0xcf800000, v2, |v1|
	v_ashrrev_i32_e32 v1, 31, v1
	s_delay_alu instid0(VALU_DEP_2) | instskip(NEXT) | instid1(VALU_DEP_1)
	v_cvt_u32_f32_e32 v2, v2
	v_xor_b32_e32 v2, v2, v1
	s_delay_alu instid0(VALU_DEP_1)
	v_sub_nc_u32_e32 v2, v2, v1
.LBB102_2199:
	s_mov_b32 s21, 0
	s_mov_b32 s22, -1
.LBB102_2200:
	s_and_not1_b32 vcc_lo, exec_lo, s21
	s_mov_b32 s21, 0
	s_cbranch_vccnz .LBB102_2211
; %bb.2201:
	s_cmp_gt_i32 s0, 14
	s_cbranch_scc0 .LBB102_2204
; %bb.2202:
	s_cmp_eq_u32 s0, 15
	s_cbranch_scc0 .LBB102_2207
; %bb.2203:
	s_wait_loadcnt 0x0
	global_load_u16 v1, v[4:5], off
	s_mov_b32 s20, 0
	s_mov_b32 s22, -1
	s_wait_loadcnt 0x0
	v_lshlrev_b32_e32 v1, 16, v1
	s_delay_alu instid0(VALU_DEP_1) | instskip(SKIP_1) | instid1(VALU_DEP_1)
	v_trunc_f32_e32 v1, v1
	s_wait_xcnt 0x1
	v_mul_f32_e64 v2, 0x2f800000, |v1|
	s_delay_alu instid0(VALU_DEP_1) | instskip(NEXT) | instid1(VALU_DEP_1)
	v_floor_f32_e32 v2, v2
	v_fma_f32 v2, 0xcf800000, v2, |v1|
	v_ashrrev_i32_e32 v1, 31, v1
	s_delay_alu instid0(VALU_DEP_2) | instskip(NEXT) | instid1(VALU_DEP_1)
	v_cvt_u32_f32_e32 v2, v2
	v_xor_b32_e32 v2, v2, v1
	s_delay_alu instid0(VALU_DEP_1)
	v_sub_nc_u32_e32 v2, v2, v1
	s_branch .LBB102_2209
.LBB102_2204:
	s_mov_b32 s21, -1
	s_branch .LBB102_2208
.LBB102_2205:
	s_and_not1_saveexec_b32 s21, s21
	s_cbranch_execz .LBB102_2186
.LBB102_2206:
	v_cmp_ne_u16_e32 vcc_lo, 0, v1
	s_and_not1_b32 s22, s22, exec_lo
	s_and_b32 s23, vcc_lo, exec_lo
	s_delay_alu instid0(SALU_CYCLE_1)
	s_or_b32 s22, s22, s23
	s_or_b32 exec_lo, exec_lo, s21
	v_mov_b32_e32 v2, 0
	s_and_saveexec_b32 s21, s22
	s_cbranch_execnz .LBB102_2187
	s_branch .LBB102_2188
.LBB102_2207:
	s_mov_b32 s20, -1
.LBB102_2208:
                                        ; implicit-def: $vgpr2
.LBB102_2209:
	s_and_b32 vcc_lo, exec_lo, s21
	s_mov_b32 s21, 0
	s_cbranch_vccz .LBB102_2211
; %bb.2210:
	s_cmp_lg_u32 s0, 11
	s_mov_b32 s21, -1
	s_cselect_b32 s20, -1, 0
.LBB102_2211:
	s_delay_alu instid0(SALU_CYCLE_1)
	s_and_b32 vcc_lo, exec_lo, s20
	s_cbranch_vccnz .LBB102_2274
; %bb.2212:
	s_and_not1_b32 vcc_lo, exec_lo, s21
	s_cbranch_vccnz .LBB102_2214
.LBB102_2213:
	s_wait_loadcnt 0x0
	global_load_u8 v1, v[4:5], off
	s_mov_b32 s22, -1
	s_wait_loadcnt 0x0
	v_cmp_ne_u16_e32 vcc_lo, 0, v1
	s_wait_xcnt 0x1
	v_cndmask_b32_e64 v2, 0, 1, vcc_lo
.LBB102_2214:
	s_branch .LBB102_2144
.LBB102_2215:
	s_and_b32 s0, 0xffff, s3
	s_delay_alu instid0(SALU_CYCLE_1)
	s_cmp_lt_i32 s0, 5
	s_cbranch_scc1 .LBB102_2220
; %bb.2216:
	s_cmp_lt_i32 s0, 8
	s_cbranch_scc1 .LBB102_2221
; %bb.2217:
	;; [unrolled: 3-line block ×3, first 2 shown]
	s_cmp_gt_i32 s0, 9
	s_cbranch_scc0 .LBB102_2223
; %bb.2219:
	s_wait_loadcnt 0x0
	global_load_b64 v[2:3], v[4:5], off
	s_mov_b32 s20, 0
	s_wait_loadcnt 0x0
	v_trunc_f64_e32 v[2:3], v[2:3]
	s_delay_alu instid0(VALU_DEP_1) | instskip(NEXT) | instid1(VALU_DEP_1)
	v_ldexp_f64 v[10:11], v[2:3], 0xffffffe0
	v_floor_f64_e32 v[10:11], v[10:11]
	s_delay_alu instid0(VALU_DEP_1) | instskip(NEXT) | instid1(VALU_DEP_1)
	v_fmamk_f64 v[2:3], v[10:11], 0xc1f00000, v[2:3]
	v_cvt_u32_f64_e32 v2, v[2:3]
	s_branch .LBB102_2224
.LBB102_2220:
                                        ; implicit-def: $vgpr2
	s_branch .LBB102_2242
.LBB102_2221:
	s_mov_b32 s20, -1
                                        ; implicit-def: $vgpr2
	s_branch .LBB102_2230
.LBB102_2222:
	s_mov_b32 s20, -1
                                        ; implicit-def: $vgpr2
	s_branch .LBB102_2227
.LBB102_2223:
	s_mov_b32 s20, -1
                                        ; implicit-def: $vgpr2
.LBB102_2224:
	s_delay_alu instid0(SALU_CYCLE_1)
	s_and_not1_b32 vcc_lo, exec_lo, s20
	s_cbranch_vccnz .LBB102_2226
; %bb.2225:
	s_wait_loadcnt 0x0
	global_load_b32 v1, v[4:5], off
	s_wait_loadcnt 0x0
	v_trunc_f32_e32 v1, v1
	s_wait_xcnt 0x1
	s_delay_alu instid0(VALU_DEP_1) | instskip(NEXT) | instid1(VALU_DEP_1)
	v_mul_f32_e64 v2, 0x2f800000, |v1|
	v_floor_f32_e32 v2, v2
	s_delay_alu instid0(VALU_DEP_1) | instskip(SKIP_1) | instid1(VALU_DEP_2)
	v_fma_f32 v2, 0xcf800000, v2, |v1|
	v_ashrrev_i32_e32 v1, 31, v1
	v_cvt_u32_f32_e32 v2, v2
	s_delay_alu instid0(VALU_DEP_1) | instskip(NEXT) | instid1(VALU_DEP_1)
	v_xor_b32_e32 v2, v2, v1
	v_sub_nc_u32_e32 v2, v2, v1
.LBB102_2226:
	s_mov_b32 s20, 0
.LBB102_2227:
	s_delay_alu instid0(SALU_CYCLE_1)
	s_and_not1_b32 vcc_lo, exec_lo, s20
	s_cbranch_vccnz .LBB102_2229
; %bb.2228:
	s_wait_loadcnt 0x0
	global_load_b32 v1, v[4:5], off
	s_wait_loadcnt 0x0
	v_cvt_f32_f16_e32 v1, v1
	s_wait_xcnt 0x1
	s_delay_alu instid0(VALU_DEP_1)
	v_cvt_i32_f32_e32 v2, v1
.LBB102_2229:
	s_mov_b32 s20, 0
.LBB102_2230:
	s_delay_alu instid0(SALU_CYCLE_1)
	s_and_not1_b32 vcc_lo, exec_lo, s20
	s_cbranch_vccnz .LBB102_2241
; %bb.2231:
	s_cmp_lt_i32 s0, 6
	s_cbranch_scc1 .LBB102_2234
; %bb.2232:
	s_cmp_gt_i32 s0, 6
	s_cbranch_scc0 .LBB102_2235
; %bb.2233:
	s_wait_loadcnt 0x0
	global_load_b64 v[2:3], v[4:5], off
	s_mov_b32 s20, 0
	s_wait_loadcnt 0x0
	v_trunc_f64_e32 v[2:3], v[2:3]
	s_delay_alu instid0(VALU_DEP_1) | instskip(NEXT) | instid1(VALU_DEP_1)
	v_ldexp_f64 v[10:11], v[2:3], 0xffffffe0
	v_floor_f64_e32 v[10:11], v[10:11]
	s_delay_alu instid0(VALU_DEP_1) | instskip(NEXT) | instid1(VALU_DEP_1)
	v_fmamk_f64 v[2:3], v[10:11], 0xc1f00000, v[2:3]
	v_cvt_u32_f64_e32 v2, v[2:3]
	s_branch .LBB102_2236
.LBB102_2234:
	s_mov_b32 s20, -1
                                        ; implicit-def: $vgpr2
	s_branch .LBB102_2239
.LBB102_2235:
	s_mov_b32 s20, -1
                                        ; implicit-def: $vgpr2
.LBB102_2236:
	s_delay_alu instid0(SALU_CYCLE_1)
	s_and_not1_b32 vcc_lo, exec_lo, s20
	s_cbranch_vccnz .LBB102_2238
; %bb.2237:
	s_wait_loadcnt 0x0
	global_load_b32 v1, v[4:5], off
	s_wait_loadcnt 0x0
	v_trunc_f32_e32 v1, v1
	s_wait_xcnt 0x1
	s_delay_alu instid0(VALU_DEP_1) | instskip(NEXT) | instid1(VALU_DEP_1)
	v_mul_f32_e64 v2, 0x2f800000, |v1|
	v_floor_f32_e32 v2, v2
	s_delay_alu instid0(VALU_DEP_1) | instskip(SKIP_1) | instid1(VALU_DEP_2)
	v_fma_f32 v2, 0xcf800000, v2, |v1|
	v_ashrrev_i32_e32 v1, 31, v1
	v_cvt_u32_f32_e32 v2, v2
	s_delay_alu instid0(VALU_DEP_1) | instskip(NEXT) | instid1(VALU_DEP_1)
	v_xor_b32_e32 v2, v2, v1
	v_sub_nc_u32_e32 v2, v2, v1
.LBB102_2238:
	s_mov_b32 s20, 0
.LBB102_2239:
	s_delay_alu instid0(SALU_CYCLE_1)
	s_and_not1_b32 vcc_lo, exec_lo, s20
	s_cbranch_vccnz .LBB102_2241
; %bb.2240:
	s_wait_loadcnt 0x0
	global_load_u16 v1, v[4:5], off
	s_wait_loadcnt 0x0
	v_cvt_f32_f16_e32 v1, v1
	s_wait_xcnt 0x1
	s_delay_alu instid0(VALU_DEP_1)
	v_cvt_i32_f32_e32 v2, v1
.LBB102_2241:
	s_cbranch_execnz .LBB102_2261
.LBB102_2242:
	s_cmp_lt_i32 s0, 2
	s_cbranch_scc1 .LBB102_2246
; %bb.2243:
	s_cmp_lt_i32 s0, 3
	s_cbranch_scc1 .LBB102_2247
; %bb.2244:
	s_cmp_gt_i32 s0, 3
	s_cbranch_scc0 .LBB102_2248
; %bb.2245:
	s_wait_loadcnt 0x0
	global_load_b64 v[2:3], v[4:5], off
	s_mov_b32 s20, 0
	s_branch .LBB102_2249
.LBB102_2246:
	s_mov_b32 s20, -1
                                        ; implicit-def: $vgpr2
	s_branch .LBB102_2255
.LBB102_2247:
	s_mov_b32 s20, -1
                                        ; implicit-def: $vgpr2
	s_branch .LBB102_2252
.LBB102_2248:
	s_mov_b32 s20, -1
                                        ; implicit-def: $vgpr2
.LBB102_2249:
	s_delay_alu instid0(SALU_CYCLE_1)
	s_and_not1_b32 vcc_lo, exec_lo, s20
	s_cbranch_vccnz .LBB102_2251
; %bb.2250:
	s_wait_loadcnt 0x0
	global_load_b32 v2, v[4:5], off
.LBB102_2251:
	s_mov_b32 s20, 0
.LBB102_2252:
	s_delay_alu instid0(SALU_CYCLE_1)
	s_and_not1_b32 vcc_lo, exec_lo, s20
	s_cbranch_vccnz .LBB102_2254
; %bb.2253:
	s_wait_loadcnt 0x0
	global_load_u16 v2, v[4:5], off
.LBB102_2254:
	s_mov_b32 s20, 0
.LBB102_2255:
	s_delay_alu instid0(SALU_CYCLE_1)
	s_and_not1_b32 vcc_lo, exec_lo, s20
	s_cbranch_vccnz .LBB102_2261
; %bb.2256:
	s_cmp_gt_i32 s0, 0
	s_mov_b32 s0, 0
	s_cbranch_scc0 .LBB102_2258
; %bb.2257:
	s_wait_loadcnt 0x0
	global_load_u8 v2, v[4:5], off
	s_branch .LBB102_2259
.LBB102_2258:
	s_mov_b32 s0, -1
                                        ; implicit-def: $vgpr2
.LBB102_2259:
	s_delay_alu instid0(SALU_CYCLE_1)
	s_and_not1_b32 vcc_lo, exec_lo, s0
	s_cbranch_vccnz .LBB102_2261
; %bb.2260:
	s_wait_loadcnt 0x0
	global_load_u8 v2, v[4:5], off
.LBB102_2261:
.LBB102_2262:
	v_mul_lo_u32 v10, s15, v26
	s_and_b32 s0, 0xffff, s1
	s_delay_alu instid0(SALU_CYCLE_1) | instskip(NEXT) | instid1(VALU_DEP_1)
	s_cmp_lt_i32 s0, 11
	v_ashrrev_i32_e32 v11, 31, v10
	s_delay_alu instid0(VALU_DEP_1)
	v_add_nc_u64_e32 v[12:13], s[10:11], v[10:11]
	s_cbranch_scc1 .LBB102_2269
; %bb.2263:
	s_cmp_gt_i32 s0, 25
	s_mov_b32 s20, 0
	s_cbranch_scc0 .LBB102_2271
; %bb.2264:
	s_cmp_gt_i32 s0, 28
	s_cbranch_scc0 .LBB102_2272
; %bb.2265:
	s_cmp_gt_i32 s0, 43
	;; [unrolled: 3-line block ×3, first 2 shown]
	s_cbranch_scc0 .LBB102_2275
; %bb.2267:
	s_cmp_eq_u32 s0, 46
	s_mov_b32 s22, 0
	s_cbranch_scc0 .LBB102_2276
; %bb.2268:
	s_wait_loadcnt 0x0
	global_load_b32 v1, v[12:13], off
	s_mov_b32 s1, 0
	s_mov_b32 s21, -1
	s_wait_loadcnt 0x0
	v_lshlrev_b32_e32 v1, 16, v1
	s_delay_alu instid0(VALU_DEP_1) | instskip(SKIP_1) | instid1(VALU_DEP_1)
	v_trunc_f32_e32 v1, v1
	s_wait_xcnt 0x1
	v_mul_f32_e64 v3, 0x2f800000, |v1|
	s_delay_alu instid0(VALU_DEP_1) | instskip(NEXT) | instid1(VALU_DEP_1)
	v_floor_f32_e32 v3, v3
	v_fma_f32 v3, 0xcf800000, v3, |v1|
	v_ashrrev_i32_e32 v1, 31, v1
	s_delay_alu instid0(VALU_DEP_2) | instskip(NEXT) | instid1(VALU_DEP_1)
	v_cvt_u32_f32_e32 v3, v3
	v_xor_b32_e32 v3, v3, v1
	s_delay_alu instid0(VALU_DEP_1)
	v_sub_nc_u32_e32 v4, v3, v1
	s_branch .LBB102_2278
.LBB102_2269:
	s_mov_b32 s21, 0
                                        ; implicit-def: $vgpr4
	s_cbranch_execnz .LBB102_2340
.LBB102_2270:
	s_and_not1_b32 vcc_lo, exec_lo, s21
	s_cbranch_vccnz .LBB102_3968
	s_branch .LBB102_2388
.LBB102_2271:
	s_mov_b32 s22, -1
	s_mov_b32 s21, 0
	s_mov_b32 s1, 0
                                        ; implicit-def: $vgpr4
	s_branch .LBB102_2305
.LBB102_2272:
	s_mov_b32 s22, -1
	s_mov_b32 s21, 0
	s_mov_b32 s1, 0
                                        ; implicit-def: $vgpr4
	s_branch .LBB102_2288
.LBB102_2273:
	s_mov_b32 s22, -1
	s_mov_b32 s21, 0
	s_mov_b32 s1, 0
                                        ; implicit-def: $vgpr4
	s_branch .LBB102_2283
.LBB102_2274:
	s_or_b32 s16, s16, exec_lo
	s_trap 2
	s_cbranch_execz .LBB102_2213
	s_branch .LBB102_2214
.LBB102_2275:
	s_mov_b32 s22, -1
	s_mov_b32 s21, 0
	s_mov_b32 s1, 0
	s_branch .LBB102_2277
.LBB102_2276:
	s_mov_b32 s1, -1
	s_mov_b32 s21, 0
.LBB102_2277:
                                        ; implicit-def: $vgpr4
.LBB102_2278:
	s_and_b32 vcc_lo, exec_lo, s22
	s_cbranch_vccz .LBB102_2282
; %bb.2279:
	s_cmp_eq_u32 s0, 44
	s_cbranch_scc0 .LBB102_2281
; %bb.2280:
	s_wait_loadcnt 0x0
	global_load_u8 v1, v[12:13], off
	s_mov_b32 s1, 0
	s_mov_b32 s21, -1
	s_wait_loadcnt 0x0
	s_wait_xcnt 0x1
	v_lshlrev_b32_e32 v3, 23, v1
	v_cmp_ne_u32_e32 vcc_lo, 0, v1
	s_delay_alu instid0(VALU_DEP_2) | instskip(NEXT) | instid1(VALU_DEP_1)
	v_trunc_f32_e32 v3, v3
	v_mul_f32_e64 v4, 0x2f800000, |v3|
	s_delay_alu instid0(VALU_DEP_1) | instskip(NEXT) | instid1(VALU_DEP_1)
	v_floor_f32_e32 v4, v4
	v_fma_f32 v4, 0xcf800000, v4, |v3|
	v_ashrrev_i32_e32 v3, 31, v3
	s_delay_alu instid0(VALU_DEP_2) | instskip(NEXT) | instid1(VALU_DEP_1)
	v_cvt_u32_f32_e32 v4, v4
	v_xor_b32_e32 v4, v4, v3
	s_delay_alu instid0(VALU_DEP_1) | instskip(NEXT) | instid1(VALU_DEP_1)
	v_sub_nc_u32_e32 v3, v4, v3
	v_cndmask_b32_e32 v4, 0, v3, vcc_lo
	s_branch .LBB102_2282
.LBB102_2281:
	s_mov_b32 s1, -1
                                        ; implicit-def: $vgpr4
.LBB102_2282:
	s_mov_b32 s22, 0
.LBB102_2283:
	s_delay_alu instid0(SALU_CYCLE_1)
	s_and_b32 vcc_lo, exec_lo, s22
	s_cbranch_vccz .LBB102_2287
; %bb.2284:
	s_cmp_eq_u32 s0, 29
	s_cbranch_scc0 .LBB102_2286
; %bb.2285:
	global_load_b64 v[4:5], v[12:13], off
	s_mov_b32 s1, 0
	s_mov_b32 s21, -1
	s_branch .LBB102_2287
.LBB102_2286:
	s_mov_b32 s1, -1
                                        ; implicit-def: $vgpr4
.LBB102_2287:
	s_mov_b32 s22, 0
.LBB102_2288:
	s_delay_alu instid0(SALU_CYCLE_1)
	s_and_b32 vcc_lo, exec_lo, s22
	s_cbranch_vccz .LBB102_2304
; %bb.2289:
	s_cmp_lt_i32 s0, 27
	s_cbranch_scc1 .LBB102_2292
; %bb.2290:
	s_cmp_gt_i32 s0, 27
	s_cbranch_scc0 .LBB102_2293
; %bb.2291:
	s_wait_loadcnt 0x0
	global_load_b32 v4, v[12:13], off
	s_mov_b32 s21, 0
	s_branch .LBB102_2294
.LBB102_2292:
	s_mov_b32 s21, -1
                                        ; implicit-def: $vgpr4
	s_branch .LBB102_2297
.LBB102_2293:
	s_mov_b32 s21, -1
                                        ; implicit-def: $vgpr4
.LBB102_2294:
	s_delay_alu instid0(SALU_CYCLE_1)
	s_and_not1_b32 vcc_lo, exec_lo, s21
	s_cbranch_vccnz .LBB102_2296
; %bb.2295:
	s_wait_loadcnt 0x0
	global_load_u16 v4, v[12:13], off
.LBB102_2296:
	s_mov_b32 s21, 0
.LBB102_2297:
	s_delay_alu instid0(SALU_CYCLE_1)
	s_and_not1_b32 vcc_lo, exec_lo, s21
	s_cbranch_vccnz .LBB102_2303
; %bb.2298:
	s_wait_loadcnt 0x0
	global_load_u8 v1, v[12:13], off
	s_mov_b32 s22, 0
	s_mov_b32 s21, exec_lo
	s_wait_loadcnt 0x0
	v_cmpx_lt_i16_e32 0x7f, v1
	s_xor_b32 s21, exec_lo, s21
	s_cbranch_execz .LBB102_2315
; %bb.2299:
	v_cmp_ne_u16_e32 vcc_lo, 0x80, v1
	s_and_b32 s22, vcc_lo, exec_lo
	s_and_not1_saveexec_b32 s21, s21
	s_cbranch_execnz .LBB102_2316
.LBB102_2300:
	s_or_b32 exec_lo, exec_lo, s21
	v_mov_b32_e32 v4, 0
	s_and_saveexec_b32 s21, s22
	s_cbranch_execz .LBB102_2302
.LBB102_2301:
	v_and_b32_e32 v3, 0xffff, v1
	s_delay_alu instid0(VALU_DEP_1) | instskip(SKIP_1) | instid1(VALU_DEP_2)
	v_and_b32_e32 v4, 7, v3
	v_bfe_u32 v9, v3, 3, 4
	v_clz_i32_u32_e32 v5, v4
	s_delay_alu instid0(VALU_DEP_2) | instskip(NEXT) | instid1(VALU_DEP_2)
	v_cmp_eq_u32_e32 vcc_lo, 0, v9
	v_min_u32_e32 v5, 32, v5
	s_delay_alu instid0(VALU_DEP_1) | instskip(NEXT) | instid1(VALU_DEP_1)
	v_subrev_nc_u32_e32 v7, 28, v5
	v_dual_lshlrev_b32 v3, v7, v3 :: v_dual_sub_nc_u32 v5, 29, v5
	s_delay_alu instid0(VALU_DEP_1) | instskip(NEXT) | instid1(VALU_DEP_1)
	v_dual_lshlrev_b32 v1, 24, v1 :: v_dual_bitop2_b32 v3, 7, v3 bitop3:0x40
	v_dual_cndmask_b32 v3, v4, v3, vcc_lo :: v_dual_cndmask_b32 v5, v9, v5, vcc_lo
	s_delay_alu instid0(VALU_DEP_2) | instskip(NEXT) | instid1(VALU_DEP_2)
	v_and_b32_e32 v1, 0x80000000, v1
	v_lshlrev_b32_e32 v3, 20, v3
	s_delay_alu instid0(VALU_DEP_3) | instskip(NEXT) | instid1(VALU_DEP_1)
	v_lshl_add_u32 v4, v5, 23, 0x3b800000
	v_or3_b32 v1, v1, v4, v3
	s_delay_alu instid0(VALU_DEP_1) | instskip(NEXT) | instid1(VALU_DEP_1)
	v_trunc_f32_e32 v1, v1
	v_mul_f32_e64 v3, 0x2f800000, |v1|
	s_delay_alu instid0(VALU_DEP_1) | instskip(NEXT) | instid1(VALU_DEP_1)
	v_floor_f32_e32 v3, v3
	v_fma_f32 v3, 0xcf800000, v3, |v1|
	v_ashrrev_i32_e32 v1, 31, v1
	s_delay_alu instid0(VALU_DEP_2) | instskip(NEXT) | instid1(VALU_DEP_1)
	v_cvt_u32_f32_e32 v3, v3
	v_xor_b32_e32 v3, v3, v1
	s_delay_alu instid0(VALU_DEP_1)
	v_sub_nc_u32_e32 v4, v3, v1
.LBB102_2302:
	s_or_b32 exec_lo, exec_lo, s21
.LBB102_2303:
	s_mov_b32 s21, -1
.LBB102_2304:
	s_mov_b32 s22, 0
.LBB102_2305:
	s_delay_alu instid0(SALU_CYCLE_1)
	s_and_b32 vcc_lo, exec_lo, s22
	s_cbranch_vccz .LBB102_2336
; %bb.2306:
	s_cmp_gt_i32 s0, 22
	s_cbranch_scc0 .LBB102_2314
; %bb.2307:
	s_cmp_lt_i32 s0, 24
	s_cbranch_scc1 .LBB102_2317
; %bb.2308:
	s_cmp_gt_i32 s0, 24
	s_cbranch_scc0 .LBB102_2318
; %bb.2309:
	s_wait_loadcnt 0x0
	global_load_u8 v1, v[12:13], off
	s_mov_b32 s21, 0
	s_mov_b32 s20, exec_lo
	s_wait_loadcnt 0x0
	v_cmpx_lt_i16_e32 0x7f, v1
	s_xor_b32 s20, exec_lo, s20
	s_cbranch_execz .LBB102_2330
; %bb.2310:
	v_cmp_ne_u16_e32 vcc_lo, 0x80, v1
	s_and_b32 s21, vcc_lo, exec_lo
	s_and_not1_saveexec_b32 s20, s20
	s_cbranch_execnz .LBB102_2331
.LBB102_2311:
	s_or_b32 exec_lo, exec_lo, s20
	v_mov_b32_e32 v4, 0
	s_and_saveexec_b32 s20, s21
	s_cbranch_execz .LBB102_2313
.LBB102_2312:
	v_and_b32_e32 v3, 0xffff, v1
	s_delay_alu instid0(VALU_DEP_1) | instskip(SKIP_1) | instid1(VALU_DEP_2)
	v_and_b32_e32 v4, 3, v3
	v_bfe_u32 v9, v3, 2, 5
	v_clz_i32_u32_e32 v5, v4
	s_delay_alu instid0(VALU_DEP_2) | instskip(NEXT) | instid1(VALU_DEP_2)
	v_cmp_eq_u32_e32 vcc_lo, 0, v9
	v_min_u32_e32 v5, 32, v5
	s_delay_alu instid0(VALU_DEP_1) | instskip(NEXT) | instid1(VALU_DEP_1)
	v_subrev_nc_u32_e32 v7, 29, v5
	v_dual_lshlrev_b32 v3, v7, v3 :: v_dual_sub_nc_u32 v5, 30, v5
	s_delay_alu instid0(VALU_DEP_1) | instskip(NEXT) | instid1(VALU_DEP_1)
	v_dual_lshlrev_b32 v1, 24, v1 :: v_dual_bitop2_b32 v3, 3, v3 bitop3:0x40
	v_dual_cndmask_b32 v3, v4, v3, vcc_lo :: v_dual_cndmask_b32 v5, v9, v5, vcc_lo
	s_delay_alu instid0(VALU_DEP_2) | instskip(NEXT) | instid1(VALU_DEP_2)
	v_and_b32_e32 v1, 0x80000000, v1
	v_lshlrev_b32_e32 v3, 21, v3
	s_delay_alu instid0(VALU_DEP_3) | instskip(NEXT) | instid1(VALU_DEP_1)
	v_lshl_add_u32 v4, v5, 23, 0x37800000
	v_or3_b32 v1, v1, v4, v3
	s_delay_alu instid0(VALU_DEP_1) | instskip(NEXT) | instid1(VALU_DEP_1)
	v_trunc_f32_e32 v1, v1
	v_mul_f32_e64 v3, 0x2f800000, |v1|
	s_delay_alu instid0(VALU_DEP_1) | instskip(NEXT) | instid1(VALU_DEP_1)
	v_floor_f32_e32 v3, v3
	v_fma_f32 v3, 0xcf800000, v3, |v1|
	v_ashrrev_i32_e32 v1, 31, v1
	s_delay_alu instid0(VALU_DEP_2) | instskip(NEXT) | instid1(VALU_DEP_1)
	v_cvt_u32_f32_e32 v3, v3
	v_xor_b32_e32 v3, v3, v1
	s_delay_alu instid0(VALU_DEP_1)
	v_sub_nc_u32_e32 v4, v3, v1
.LBB102_2313:
	s_or_b32 exec_lo, exec_lo, s20
	s_mov_b32 s20, 0
	s_branch .LBB102_2319
.LBB102_2314:
	s_mov_b32 s20, -1
                                        ; implicit-def: $vgpr4
	s_branch .LBB102_2325
.LBB102_2315:
	s_and_not1_saveexec_b32 s21, s21
	s_cbranch_execz .LBB102_2300
.LBB102_2316:
	v_cmp_ne_u16_e32 vcc_lo, 0, v1
	s_and_not1_b32 s22, s22, exec_lo
	s_and_b32 s23, vcc_lo, exec_lo
	s_delay_alu instid0(SALU_CYCLE_1)
	s_or_b32 s22, s22, s23
	s_or_b32 exec_lo, exec_lo, s21
	v_mov_b32_e32 v4, 0
	s_and_saveexec_b32 s21, s22
	s_cbranch_execnz .LBB102_2301
	s_branch .LBB102_2302
.LBB102_2317:
	s_mov_b32 s20, -1
                                        ; implicit-def: $vgpr4
	s_branch .LBB102_2322
.LBB102_2318:
	s_mov_b32 s20, -1
                                        ; implicit-def: $vgpr4
.LBB102_2319:
	s_delay_alu instid0(SALU_CYCLE_1)
	s_and_b32 vcc_lo, exec_lo, s20
	s_cbranch_vccz .LBB102_2321
; %bb.2320:
	s_wait_loadcnt 0x0
	global_load_u8 v1, v[12:13], off
	s_wait_loadcnt 0x0
	v_lshlrev_b32_e32 v1, 24, v1
	s_wait_xcnt 0x1
	s_delay_alu instid0(VALU_DEP_1) | instskip(NEXT) | instid1(VALU_DEP_1)
	v_and_b32_e32 v3, 0x7f000000, v1
	v_clz_i32_u32_e32 v4, v3
	v_add_nc_u32_e32 v7, 0x1000000, v3
	v_cmp_ne_u32_e32 vcc_lo, 0, v3
	s_delay_alu instid0(VALU_DEP_3) | instskip(NEXT) | instid1(VALU_DEP_1)
	v_min_u32_e32 v4, 32, v4
	v_sub_nc_u32_e64 v4, v4, 4 clamp
	s_delay_alu instid0(VALU_DEP_1) | instskip(NEXT) | instid1(VALU_DEP_1)
	v_dual_lshlrev_b32 v5, v4, v3 :: v_dual_lshlrev_b32 v4, 23, v4
	v_lshrrev_b32_e32 v5, 4, v5
	s_delay_alu instid0(VALU_DEP_1) | instskip(NEXT) | instid1(VALU_DEP_1)
	v_dual_sub_nc_u32 v4, v5, v4 :: v_dual_ashrrev_i32 v5, 8, v7
	v_add_nc_u32_e32 v4, 0x3c000000, v4
	s_delay_alu instid0(VALU_DEP_1) | instskip(NEXT) | instid1(VALU_DEP_1)
	v_and_or_b32 v4, 0x7f800000, v5, v4
	v_cndmask_b32_e32 v3, 0, v4, vcc_lo
	s_delay_alu instid0(VALU_DEP_1) | instskip(NEXT) | instid1(VALU_DEP_1)
	v_and_or_b32 v1, 0x80000000, v1, v3
	v_trunc_f32_e32 v1, v1
	s_delay_alu instid0(VALU_DEP_1) | instskip(NEXT) | instid1(VALU_DEP_1)
	v_mul_f32_e64 v3, 0x2f800000, |v1|
	v_floor_f32_e32 v3, v3
	s_delay_alu instid0(VALU_DEP_1) | instskip(SKIP_1) | instid1(VALU_DEP_2)
	v_fma_f32 v3, 0xcf800000, v3, |v1|
	v_ashrrev_i32_e32 v1, 31, v1
	v_cvt_u32_f32_e32 v3, v3
	s_delay_alu instid0(VALU_DEP_1) | instskip(NEXT) | instid1(VALU_DEP_1)
	v_xor_b32_e32 v3, v3, v1
	v_sub_nc_u32_e32 v4, v3, v1
.LBB102_2321:
	s_mov_b32 s20, 0
.LBB102_2322:
	s_delay_alu instid0(SALU_CYCLE_1)
	s_and_not1_b32 vcc_lo, exec_lo, s20
	s_cbranch_vccnz .LBB102_2324
; %bb.2323:
	s_wait_loadcnt 0x0
	global_load_u8 v1, v[12:13], off
	s_wait_loadcnt 0x0
	s_wait_xcnt 0x1
	v_lshlrev_b32_e32 v3, 25, v1
	v_lshlrev_b16 v1, 8, v1
	s_delay_alu instid0(VALU_DEP_1) | instskip(NEXT) | instid1(VALU_DEP_3)
	v_and_or_b32 v5, 0x7f00, v1, 0.5
	v_lshrrev_b32_e32 v4, 4, v3
	v_bfe_i32 v1, v1, 0, 16
	s_delay_alu instid0(VALU_DEP_3) | instskip(NEXT) | instid1(VALU_DEP_3)
	v_add_f32_e32 v5, -0.5, v5
	v_or_b32_e32 v4, 0x70000000, v4
	s_delay_alu instid0(VALU_DEP_1) | instskip(SKIP_1) | instid1(VALU_DEP_2)
	v_mul_f32_e32 v4, 0x7800000, v4
	v_cmp_gt_u32_e32 vcc_lo, 0x8000000, v3
	v_cndmask_b32_e32 v3, v4, v5, vcc_lo
	s_delay_alu instid0(VALU_DEP_1) | instskip(NEXT) | instid1(VALU_DEP_1)
	v_and_or_b32 v1, 0x80000000, v1, v3
	v_trunc_f32_e32 v1, v1
	s_delay_alu instid0(VALU_DEP_1) | instskip(NEXT) | instid1(VALU_DEP_1)
	v_mul_f32_e64 v3, 0x2f800000, |v1|
	v_floor_f32_e32 v3, v3
	s_delay_alu instid0(VALU_DEP_1) | instskip(SKIP_1) | instid1(VALU_DEP_2)
	v_fma_f32 v3, 0xcf800000, v3, |v1|
	v_ashrrev_i32_e32 v1, 31, v1
	v_cvt_u32_f32_e32 v3, v3
	s_delay_alu instid0(VALU_DEP_1) | instskip(NEXT) | instid1(VALU_DEP_1)
	v_xor_b32_e32 v3, v3, v1
	v_sub_nc_u32_e32 v4, v3, v1
.LBB102_2324:
	s_mov_b32 s20, 0
	s_mov_b32 s21, -1
.LBB102_2325:
	s_and_not1_b32 vcc_lo, exec_lo, s20
	s_mov_b32 s20, 0
	s_cbranch_vccnz .LBB102_2336
; %bb.2326:
	s_cmp_gt_i32 s0, 14
	s_cbranch_scc0 .LBB102_2329
; %bb.2327:
	s_cmp_eq_u32 s0, 15
	s_cbranch_scc0 .LBB102_2332
; %bb.2328:
	s_wait_loadcnt 0x0
	global_load_u16 v1, v[12:13], off
	s_mov_b32 s1, 0
	s_mov_b32 s21, -1
	s_wait_loadcnt 0x0
	v_lshlrev_b32_e32 v1, 16, v1
	s_delay_alu instid0(VALU_DEP_1) | instskip(SKIP_1) | instid1(VALU_DEP_1)
	v_trunc_f32_e32 v1, v1
	s_wait_xcnt 0x1
	v_mul_f32_e64 v3, 0x2f800000, |v1|
	s_delay_alu instid0(VALU_DEP_1) | instskip(NEXT) | instid1(VALU_DEP_1)
	v_floor_f32_e32 v3, v3
	v_fma_f32 v3, 0xcf800000, v3, |v1|
	v_ashrrev_i32_e32 v1, 31, v1
	s_delay_alu instid0(VALU_DEP_2) | instskip(NEXT) | instid1(VALU_DEP_1)
	v_cvt_u32_f32_e32 v3, v3
	v_xor_b32_e32 v3, v3, v1
	s_delay_alu instid0(VALU_DEP_1)
	v_sub_nc_u32_e32 v4, v3, v1
	s_branch .LBB102_2334
.LBB102_2329:
	s_mov_b32 s20, -1
	s_branch .LBB102_2333
.LBB102_2330:
	s_and_not1_saveexec_b32 s20, s20
	s_cbranch_execz .LBB102_2311
.LBB102_2331:
	v_cmp_ne_u16_e32 vcc_lo, 0, v1
	s_and_not1_b32 s21, s21, exec_lo
	s_and_b32 s22, vcc_lo, exec_lo
	s_delay_alu instid0(SALU_CYCLE_1)
	s_or_b32 s21, s21, s22
	s_or_b32 exec_lo, exec_lo, s20
	v_mov_b32_e32 v4, 0
	s_and_saveexec_b32 s20, s21
	s_cbranch_execnz .LBB102_2312
	s_branch .LBB102_2313
.LBB102_2332:
	s_mov_b32 s1, -1
.LBB102_2333:
                                        ; implicit-def: $vgpr4
.LBB102_2334:
	s_and_b32 vcc_lo, exec_lo, s20
	s_mov_b32 s20, 0
	s_cbranch_vccz .LBB102_2336
; %bb.2335:
	s_cmp_lg_u32 s0, 11
	s_mov_b32 s20, -1
	s_cselect_b32 s1, -1, 0
.LBB102_2336:
	s_delay_alu instid0(SALU_CYCLE_1)
	s_and_b32 vcc_lo, exec_lo, s1
	s_cbranch_vccnz .LBB102_2399
; %bb.2337:
	s_and_not1_b32 vcc_lo, exec_lo, s20
	s_cbranch_vccnz .LBB102_2339
.LBB102_2338:
	s_wait_loadcnt 0x0
	global_load_u8 v1, v[12:13], off
	s_mov_b32 s21, -1
	s_wait_loadcnt 0x0
	v_cmp_ne_u16_e32 vcc_lo, 0, v1
	s_wait_xcnt 0x1
	v_cndmask_b32_e64 v4, 0, 1, vcc_lo
.LBB102_2339:
	s_branch .LBB102_2270
.LBB102_2340:
	s_cmp_lt_i32 s0, 5
	s_cbranch_scc1 .LBB102_2345
; %bb.2341:
	s_cmp_lt_i32 s0, 8
	s_cbranch_scc1 .LBB102_2346
; %bb.2342:
	;; [unrolled: 3-line block ×3, first 2 shown]
	s_cmp_gt_i32 s0, 9
	s_cbranch_scc0 .LBB102_2348
; %bb.2344:
	s_wait_loadcnt 0x0
	global_load_b64 v[4:5], v[12:13], off
	s_mov_b32 s1, 0
	s_wait_loadcnt 0x0
	v_trunc_f64_e32 v[4:5], v[4:5]
	s_delay_alu instid0(VALU_DEP_1) | instskip(NEXT) | instid1(VALU_DEP_1)
	v_ldexp_f64 v[14:15], v[4:5], 0xffffffe0
	v_floor_f64_e32 v[14:15], v[14:15]
	s_delay_alu instid0(VALU_DEP_1) | instskip(NEXT) | instid1(VALU_DEP_1)
	v_fmamk_f64 v[4:5], v[14:15], 0xc1f00000, v[4:5]
	v_cvt_u32_f64_e32 v4, v[4:5]
	s_branch .LBB102_2349
.LBB102_2345:
	s_mov_b32 s1, -1
                                        ; implicit-def: $vgpr4
	s_branch .LBB102_2367
.LBB102_2346:
	s_mov_b32 s1, -1
                                        ; implicit-def: $vgpr4
	s_branch .LBB102_2355
.LBB102_2347:
	s_mov_b32 s1, -1
                                        ; implicit-def: $vgpr4
	s_branch .LBB102_2352
.LBB102_2348:
	s_mov_b32 s1, -1
                                        ; implicit-def: $vgpr4
.LBB102_2349:
	s_delay_alu instid0(SALU_CYCLE_1)
	s_and_not1_b32 vcc_lo, exec_lo, s1
	s_cbranch_vccnz .LBB102_2351
; %bb.2350:
	s_wait_loadcnt 0x0
	global_load_b32 v1, v[12:13], off
	s_wait_loadcnt 0x0
	v_trunc_f32_e32 v1, v1
	s_wait_xcnt 0x1
	s_delay_alu instid0(VALU_DEP_1) | instskip(NEXT) | instid1(VALU_DEP_1)
	v_mul_f32_e64 v3, 0x2f800000, |v1|
	v_floor_f32_e32 v3, v3
	s_delay_alu instid0(VALU_DEP_1) | instskip(SKIP_1) | instid1(VALU_DEP_2)
	v_fma_f32 v3, 0xcf800000, v3, |v1|
	v_ashrrev_i32_e32 v1, 31, v1
	v_cvt_u32_f32_e32 v3, v3
	s_delay_alu instid0(VALU_DEP_1) | instskip(NEXT) | instid1(VALU_DEP_1)
	v_xor_b32_e32 v3, v3, v1
	v_sub_nc_u32_e32 v4, v3, v1
.LBB102_2351:
	s_mov_b32 s1, 0
.LBB102_2352:
	s_delay_alu instid0(SALU_CYCLE_1)
	s_and_not1_b32 vcc_lo, exec_lo, s1
	s_cbranch_vccnz .LBB102_2354
; %bb.2353:
	s_wait_loadcnt 0x0
	global_load_b32 v1, v[12:13], off
	s_wait_loadcnt 0x0
	v_cvt_f32_f16_e32 v1, v1
	s_wait_xcnt 0x1
	s_delay_alu instid0(VALU_DEP_1)
	v_cvt_i32_f32_e32 v4, v1
.LBB102_2354:
	s_mov_b32 s1, 0
.LBB102_2355:
	s_delay_alu instid0(SALU_CYCLE_1)
	s_and_not1_b32 vcc_lo, exec_lo, s1
	s_cbranch_vccnz .LBB102_2366
; %bb.2356:
	s_cmp_lt_i32 s0, 6
	s_cbranch_scc1 .LBB102_2359
; %bb.2357:
	s_cmp_gt_i32 s0, 6
	s_cbranch_scc0 .LBB102_2360
; %bb.2358:
	s_wait_loadcnt 0x0
	global_load_b64 v[4:5], v[12:13], off
	s_mov_b32 s1, 0
	s_wait_loadcnt 0x0
	v_trunc_f64_e32 v[4:5], v[4:5]
	s_delay_alu instid0(VALU_DEP_1) | instskip(NEXT) | instid1(VALU_DEP_1)
	v_ldexp_f64 v[14:15], v[4:5], 0xffffffe0
	v_floor_f64_e32 v[14:15], v[14:15]
	s_delay_alu instid0(VALU_DEP_1) | instskip(NEXT) | instid1(VALU_DEP_1)
	v_fmamk_f64 v[4:5], v[14:15], 0xc1f00000, v[4:5]
	v_cvt_u32_f64_e32 v4, v[4:5]
	s_branch .LBB102_2361
.LBB102_2359:
	s_mov_b32 s1, -1
                                        ; implicit-def: $vgpr4
	s_branch .LBB102_2364
.LBB102_2360:
	s_mov_b32 s1, -1
                                        ; implicit-def: $vgpr4
.LBB102_2361:
	s_delay_alu instid0(SALU_CYCLE_1)
	s_and_not1_b32 vcc_lo, exec_lo, s1
	s_cbranch_vccnz .LBB102_2363
; %bb.2362:
	s_wait_loadcnt 0x0
	global_load_b32 v1, v[12:13], off
	s_wait_loadcnt 0x0
	v_trunc_f32_e32 v1, v1
	s_wait_xcnt 0x1
	s_delay_alu instid0(VALU_DEP_1) | instskip(NEXT) | instid1(VALU_DEP_1)
	v_mul_f32_e64 v3, 0x2f800000, |v1|
	v_floor_f32_e32 v3, v3
	s_delay_alu instid0(VALU_DEP_1) | instskip(SKIP_1) | instid1(VALU_DEP_2)
	v_fma_f32 v3, 0xcf800000, v3, |v1|
	v_ashrrev_i32_e32 v1, 31, v1
	v_cvt_u32_f32_e32 v3, v3
	s_delay_alu instid0(VALU_DEP_1) | instskip(NEXT) | instid1(VALU_DEP_1)
	v_xor_b32_e32 v3, v3, v1
	v_sub_nc_u32_e32 v4, v3, v1
.LBB102_2363:
	s_mov_b32 s1, 0
.LBB102_2364:
	s_delay_alu instid0(SALU_CYCLE_1)
	s_and_not1_b32 vcc_lo, exec_lo, s1
	s_cbranch_vccnz .LBB102_2366
; %bb.2365:
	s_wait_loadcnt 0x0
	global_load_u16 v1, v[12:13], off
	s_wait_loadcnt 0x0
	v_cvt_f32_f16_e32 v1, v1
	s_wait_xcnt 0x1
	s_delay_alu instid0(VALU_DEP_1)
	v_cvt_i32_f32_e32 v4, v1
.LBB102_2366:
	s_mov_b32 s1, 0
.LBB102_2367:
	s_delay_alu instid0(SALU_CYCLE_1)
	s_and_not1_b32 vcc_lo, exec_lo, s1
	s_cbranch_vccnz .LBB102_2387
; %bb.2368:
	s_cmp_lt_i32 s0, 2
	s_cbranch_scc1 .LBB102_2372
; %bb.2369:
	s_cmp_lt_i32 s0, 3
	s_cbranch_scc1 .LBB102_2373
; %bb.2370:
	s_cmp_gt_i32 s0, 3
	s_cbranch_scc0 .LBB102_2374
; %bb.2371:
	s_wait_loadcnt 0x0
	global_load_b64 v[4:5], v[12:13], off
	s_mov_b32 s1, 0
	s_branch .LBB102_2375
.LBB102_2372:
	s_mov_b32 s1, -1
                                        ; implicit-def: $vgpr4
	s_branch .LBB102_2381
.LBB102_2373:
	s_mov_b32 s1, -1
                                        ; implicit-def: $vgpr4
	s_branch .LBB102_2378
.LBB102_2374:
	s_mov_b32 s1, -1
                                        ; implicit-def: $vgpr4
.LBB102_2375:
	s_delay_alu instid0(SALU_CYCLE_1)
	s_and_not1_b32 vcc_lo, exec_lo, s1
	s_cbranch_vccnz .LBB102_2377
; %bb.2376:
	s_wait_loadcnt 0x0
	global_load_b32 v4, v[12:13], off
.LBB102_2377:
	s_mov_b32 s1, 0
.LBB102_2378:
	s_delay_alu instid0(SALU_CYCLE_1)
	s_and_not1_b32 vcc_lo, exec_lo, s1
	s_cbranch_vccnz .LBB102_2380
; %bb.2379:
	s_wait_loadcnt 0x0
	global_load_u16 v4, v[12:13], off
.LBB102_2380:
	s_mov_b32 s1, 0
.LBB102_2381:
	s_delay_alu instid0(SALU_CYCLE_1)
	s_and_not1_b32 vcc_lo, exec_lo, s1
	s_cbranch_vccnz .LBB102_2387
; %bb.2382:
	s_cmp_gt_i32 s0, 0
	s_mov_b32 s1, 0
	s_cbranch_scc0 .LBB102_2384
; %bb.2383:
	s_wait_loadcnt 0x0
	global_load_u8 v4, v[12:13], off
	s_branch .LBB102_2385
.LBB102_2384:
	s_mov_b32 s1, -1
                                        ; implicit-def: $vgpr4
.LBB102_2385:
	s_delay_alu instid0(SALU_CYCLE_1)
	s_and_not1_b32 vcc_lo, exec_lo, s1
	s_cbranch_vccnz .LBB102_2387
; %bb.2386:
	s_wait_loadcnt 0x0
	global_load_u8 v4, v[12:13], off
.LBB102_2387:
.LBB102_2388:
	s_lshl_b32 s1, s13, 7
	s_cmp_lt_i32 s17, 11
	s_wait_xcnt 0x0
	v_add_nc_u32_e32 v12, s1, v6
	s_delay_alu instid0(VALU_DEP_1) | instskip(NEXT) | instid1(VALU_DEP_1)
	v_ashrrev_i32_e32 v13, 31, v12
	v_add_nc_u64_e32 v[14:15], s[6:7], v[12:13]
	s_cbranch_scc1 .LBB102_2395
; %bb.2389:
	s_and_b32 s13, 0xffff, s17
	s_mov_b32 s21, 0
	s_cmp_gt_i32 s13, 25
	s_cbranch_scc0 .LBB102_2396
; %bb.2390:
	s_cmp_gt_i32 s13, 28
	s_cbranch_scc0 .LBB102_2397
; %bb.2391:
	;; [unrolled: 3-line block ×4, first 2 shown]
	s_cmp_eq_u32 s13, 46
	s_mov_b32 s23, 0
	s_cbranch_scc0 .LBB102_2401
; %bb.2394:
	s_wait_loadcnt 0x0
	global_load_b32 v1, v[14:15], off
	s_mov_b32 s20, 0
	s_mov_b32 s22, -1
	s_wait_loadcnt 0x0
	v_lshlrev_b32_e32 v1, 16, v1
	s_delay_alu instid0(VALU_DEP_1) | instskip(NEXT) | instid1(VALU_DEP_1)
	v_trunc_f32_e32 v1, v1
	v_mul_f32_e64 v3, 0x2f800000, |v1|
	s_delay_alu instid0(VALU_DEP_1) | instskip(NEXT) | instid1(VALU_DEP_1)
	v_floor_f32_e32 v3, v3
	v_fma_f32 v3, 0xcf800000, v3, |v1|
	v_ashrrev_i32_e32 v1, 31, v1
	s_delay_alu instid0(VALU_DEP_2) | instskip(NEXT) | instid1(VALU_DEP_1)
	v_cvt_u32_f32_e32 v3, v3
	v_xor_b32_e32 v3, v3, v1
	s_delay_alu instid0(VALU_DEP_1)
	v_sub_nc_u32_e32 v6, v3, v1
	s_branch .LBB102_2403
.LBB102_2395:
	s_mov_b32 s13, -1
	s_mov_b32 s22, 0
                                        ; implicit-def: $vgpr6
	s_branch .LBB102_2465
.LBB102_2396:
	s_mov_b32 s23, -1
	s_mov_b32 s22, 0
	s_mov_b32 s20, 0
                                        ; implicit-def: $vgpr6
	s_branch .LBB102_2430
.LBB102_2397:
	s_mov_b32 s23, -1
	s_mov_b32 s22, 0
	s_mov_b32 s20, 0
                                        ; implicit-def: $vgpr6
	s_branch .LBB102_2413
.LBB102_2398:
	s_mov_b32 s23, -1
	s_mov_b32 s22, 0
	s_mov_b32 s20, 0
                                        ; implicit-def: $vgpr6
	s_branch .LBB102_2408
.LBB102_2399:
	s_or_b32 s16, s16, exec_lo
	s_trap 2
	s_cbranch_execz .LBB102_2338
	s_branch .LBB102_2339
.LBB102_2400:
	s_mov_b32 s23, -1
	s_mov_b32 s22, 0
	s_mov_b32 s20, 0
	s_branch .LBB102_2402
.LBB102_2401:
	s_mov_b32 s20, -1
	s_mov_b32 s22, 0
.LBB102_2402:
                                        ; implicit-def: $vgpr6
.LBB102_2403:
	s_and_b32 vcc_lo, exec_lo, s23
	s_cbranch_vccz .LBB102_2407
; %bb.2404:
	s_cmp_eq_u32 s13, 44
	s_cbranch_scc0 .LBB102_2406
; %bb.2405:
	s_wait_loadcnt 0x0
	global_load_u8 v1, v[14:15], off
	s_mov_b32 s20, 0
	s_mov_b32 s22, -1
	s_wait_loadcnt 0x0
	v_lshlrev_b32_e32 v3, 23, v1
	v_cmp_ne_u32_e32 vcc_lo, 0, v1
	s_delay_alu instid0(VALU_DEP_2) | instskip(NEXT) | instid1(VALU_DEP_1)
	v_trunc_f32_e32 v3, v3
	v_mul_f32_e64 v5, 0x2f800000, |v3|
	s_delay_alu instid0(VALU_DEP_1) | instskip(NEXT) | instid1(VALU_DEP_1)
	v_floor_f32_e32 v5, v5
	v_fma_f32 v5, 0xcf800000, v5, |v3|
	v_ashrrev_i32_e32 v3, 31, v3
	s_delay_alu instid0(VALU_DEP_2) | instskip(NEXT) | instid1(VALU_DEP_1)
	v_cvt_u32_f32_e32 v5, v5
	v_xor_b32_e32 v5, v5, v3
	s_delay_alu instid0(VALU_DEP_1) | instskip(NEXT) | instid1(VALU_DEP_1)
	v_sub_nc_u32_e32 v3, v5, v3
	v_cndmask_b32_e32 v6, 0, v3, vcc_lo
	s_branch .LBB102_2407
.LBB102_2406:
	s_mov_b32 s20, -1
                                        ; implicit-def: $vgpr6
.LBB102_2407:
	s_mov_b32 s23, 0
.LBB102_2408:
	s_delay_alu instid0(SALU_CYCLE_1)
	s_and_b32 vcc_lo, exec_lo, s23
	s_cbranch_vccz .LBB102_2412
; %bb.2409:
	s_cmp_eq_u32 s13, 29
	s_cbranch_scc0 .LBB102_2411
; %bb.2410:
	global_load_b64 v[6:7], v[14:15], off
	s_mov_b32 s20, 0
	s_mov_b32 s22, -1
	s_branch .LBB102_2412
.LBB102_2411:
	s_mov_b32 s20, -1
                                        ; implicit-def: $vgpr6
.LBB102_2412:
	s_mov_b32 s23, 0
.LBB102_2413:
	s_delay_alu instid0(SALU_CYCLE_1)
	s_and_b32 vcc_lo, exec_lo, s23
	s_cbranch_vccz .LBB102_2429
; %bb.2414:
	s_cmp_lt_i32 s13, 27
	s_cbranch_scc1 .LBB102_2417
; %bb.2415:
	s_cmp_gt_i32 s13, 27
	s_cbranch_scc0 .LBB102_2418
; %bb.2416:
	s_wait_loadcnt 0x0
	global_load_b32 v6, v[14:15], off
	s_mov_b32 s22, 0
	s_branch .LBB102_2419
.LBB102_2417:
	s_mov_b32 s22, -1
                                        ; implicit-def: $vgpr6
	s_branch .LBB102_2422
.LBB102_2418:
	s_mov_b32 s22, -1
                                        ; implicit-def: $vgpr6
.LBB102_2419:
	s_delay_alu instid0(SALU_CYCLE_1)
	s_and_not1_b32 vcc_lo, exec_lo, s22
	s_cbranch_vccnz .LBB102_2421
; %bb.2420:
	s_wait_loadcnt 0x0
	global_load_u16 v6, v[14:15], off
.LBB102_2421:
	s_mov_b32 s22, 0
.LBB102_2422:
	s_delay_alu instid0(SALU_CYCLE_1)
	s_and_not1_b32 vcc_lo, exec_lo, s22
	s_cbranch_vccnz .LBB102_2428
; %bb.2423:
	s_wait_loadcnt 0x0
	global_load_u8 v1, v[14:15], off
	s_mov_b32 s23, 0
	s_mov_b32 s22, exec_lo
	s_wait_loadcnt 0x0
	v_cmpx_lt_i16_e32 0x7f, v1
	s_xor_b32 s22, exec_lo, s22
	s_cbranch_execz .LBB102_2440
; %bb.2424:
	v_cmp_ne_u16_e32 vcc_lo, 0x80, v1
	s_and_b32 s23, vcc_lo, exec_lo
	s_and_not1_saveexec_b32 s22, s22
	s_cbranch_execnz .LBB102_2441
.LBB102_2425:
	s_or_b32 exec_lo, exec_lo, s22
	v_mov_b32_e32 v6, 0
	s_and_saveexec_b32 s22, s23
	s_cbranch_execz .LBB102_2427
.LBB102_2426:
	v_and_b32_e32 v3, 0xffff, v1
	s_delay_alu instid0(VALU_DEP_1) | instskip(SKIP_1) | instid1(VALU_DEP_2)
	v_and_b32_e32 v5, 7, v3
	v_bfe_u32 v9, v3, 3, 4
	v_clz_i32_u32_e32 v6, v5
	s_delay_alu instid0(VALU_DEP_2) | instskip(NEXT) | instid1(VALU_DEP_2)
	v_cmp_eq_u32_e32 vcc_lo, 0, v9
	v_min_u32_e32 v6, 32, v6
	s_delay_alu instid0(VALU_DEP_1) | instskip(NEXT) | instid1(VALU_DEP_1)
	v_subrev_nc_u32_e32 v7, 28, v6
	v_dual_lshlrev_b32 v3, v7, v3 :: v_dual_sub_nc_u32 v6, 29, v6
	s_delay_alu instid0(VALU_DEP_1) | instskip(NEXT) | instid1(VALU_DEP_2)
	v_dual_lshlrev_b32 v1, 24, v1 :: v_dual_bitop2_b32 v3, 7, v3 bitop3:0x40
	v_cndmask_b32_e32 v6, v9, v6, vcc_lo
	s_delay_alu instid0(VALU_DEP_2) | instskip(NEXT) | instid1(VALU_DEP_3)
	v_cndmask_b32_e32 v3, v5, v3, vcc_lo
	v_and_b32_e32 v1, 0x80000000, v1
	s_delay_alu instid0(VALU_DEP_3) | instskip(NEXT) | instid1(VALU_DEP_3)
	v_lshl_add_u32 v5, v6, 23, 0x3b800000
	v_lshlrev_b32_e32 v3, 20, v3
	s_delay_alu instid0(VALU_DEP_1) | instskip(NEXT) | instid1(VALU_DEP_1)
	v_or3_b32 v1, v1, v5, v3
	v_trunc_f32_e32 v1, v1
	s_delay_alu instid0(VALU_DEP_1) | instskip(NEXT) | instid1(VALU_DEP_1)
	v_mul_f32_e64 v3, 0x2f800000, |v1|
	v_floor_f32_e32 v3, v3
	s_delay_alu instid0(VALU_DEP_1) | instskip(SKIP_1) | instid1(VALU_DEP_2)
	v_fma_f32 v3, 0xcf800000, v3, |v1|
	v_ashrrev_i32_e32 v1, 31, v1
	v_cvt_u32_f32_e32 v3, v3
	s_delay_alu instid0(VALU_DEP_1) | instskip(NEXT) | instid1(VALU_DEP_1)
	v_xor_b32_e32 v3, v3, v1
	v_sub_nc_u32_e32 v6, v3, v1
.LBB102_2427:
	s_or_b32 exec_lo, exec_lo, s22
.LBB102_2428:
	s_mov_b32 s22, -1
.LBB102_2429:
	s_mov_b32 s23, 0
.LBB102_2430:
	s_delay_alu instid0(SALU_CYCLE_1)
	s_and_b32 vcc_lo, exec_lo, s23
	s_cbranch_vccz .LBB102_2461
; %bb.2431:
	s_cmp_gt_i32 s13, 22
	s_cbranch_scc0 .LBB102_2439
; %bb.2432:
	s_cmp_lt_i32 s13, 24
	s_cbranch_scc1 .LBB102_2442
; %bb.2433:
	s_cmp_gt_i32 s13, 24
	s_cbranch_scc0 .LBB102_2443
; %bb.2434:
	s_wait_loadcnt 0x0
	global_load_u8 v1, v[14:15], off
	s_mov_b32 s22, 0
	s_mov_b32 s21, exec_lo
	s_wait_loadcnt 0x0
	v_cmpx_lt_i16_e32 0x7f, v1
	s_xor_b32 s21, exec_lo, s21
	s_cbranch_execz .LBB102_2455
; %bb.2435:
	v_cmp_ne_u16_e32 vcc_lo, 0x80, v1
	s_and_b32 s22, vcc_lo, exec_lo
	s_and_not1_saveexec_b32 s21, s21
	s_cbranch_execnz .LBB102_2456
.LBB102_2436:
	s_or_b32 exec_lo, exec_lo, s21
	v_mov_b32_e32 v6, 0
	s_and_saveexec_b32 s21, s22
	s_cbranch_execz .LBB102_2438
.LBB102_2437:
	v_and_b32_e32 v3, 0xffff, v1
	s_delay_alu instid0(VALU_DEP_1) | instskip(SKIP_1) | instid1(VALU_DEP_2)
	v_and_b32_e32 v5, 3, v3
	v_bfe_u32 v9, v3, 2, 5
	v_clz_i32_u32_e32 v6, v5
	s_delay_alu instid0(VALU_DEP_2) | instskip(NEXT) | instid1(VALU_DEP_2)
	v_cmp_eq_u32_e32 vcc_lo, 0, v9
	v_min_u32_e32 v6, 32, v6
	s_delay_alu instid0(VALU_DEP_1) | instskip(NEXT) | instid1(VALU_DEP_1)
	v_subrev_nc_u32_e32 v7, 29, v6
	v_dual_lshlrev_b32 v3, v7, v3 :: v_dual_sub_nc_u32 v6, 30, v6
	s_delay_alu instid0(VALU_DEP_1) | instskip(NEXT) | instid1(VALU_DEP_2)
	v_dual_lshlrev_b32 v1, 24, v1 :: v_dual_bitop2_b32 v3, 3, v3 bitop3:0x40
	v_cndmask_b32_e32 v6, v9, v6, vcc_lo
	s_delay_alu instid0(VALU_DEP_2) | instskip(NEXT) | instid1(VALU_DEP_3)
	v_cndmask_b32_e32 v3, v5, v3, vcc_lo
	v_and_b32_e32 v1, 0x80000000, v1
	s_delay_alu instid0(VALU_DEP_3) | instskip(NEXT) | instid1(VALU_DEP_3)
	v_lshl_add_u32 v5, v6, 23, 0x37800000
	v_lshlrev_b32_e32 v3, 21, v3
	s_delay_alu instid0(VALU_DEP_1) | instskip(NEXT) | instid1(VALU_DEP_1)
	v_or3_b32 v1, v1, v5, v3
	v_trunc_f32_e32 v1, v1
	s_delay_alu instid0(VALU_DEP_1) | instskip(NEXT) | instid1(VALU_DEP_1)
	v_mul_f32_e64 v3, 0x2f800000, |v1|
	v_floor_f32_e32 v3, v3
	s_delay_alu instid0(VALU_DEP_1) | instskip(SKIP_1) | instid1(VALU_DEP_2)
	v_fma_f32 v3, 0xcf800000, v3, |v1|
	v_ashrrev_i32_e32 v1, 31, v1
	v_cvt_u32_f32_e32 v3, v3
	s_delay_alu instid0(VALU_DEP_1) | instskip(NEXT) | instid1(VALU_DEP_1)
	v_xor_b32_e32 v3, v3, v1
	v_sub_nc_u32_e32 v6, v3, v1
.LBB102_2438:
	s_or_b32 exec_lo, exec_lo, s21
	s_mov_b32 s21, 0
	s_branch .LBB102_2444
.LBB102_2439:
	s_mov_b32 s21, -1
                                        ; implicit-def: $vgpr6
	s_branch .LBB102_2450
.LBB102_2440:
	s_and_not1_saveexec_b32 s22, s22
	s_cbranch_execz .LBB102_2425
.LBB102_2441:
	v_cmp_ne_u16_e32 vcc_lo, 0, v1
	s_and_not1_b32 s23, s23, exec_lo
	s_and_b32 s24, vcc_lo, exec_lo
	s_delay_alu instid0(SALU_CYCLE_1)
	s_or_b32 s23, s23, s24
	s_or_b32 exec_lo, exec_lo, s22
	v_mov_b32_e32 v6, 0
	s_and_saveexec_b32 s22, s23
	s_cbranch_execnz .LBB102_2426
	s_branch .LBB102_2427
.LBB102_2442:
	s_mov_b32 s21, -1
                                        ; implicit-def: $vgpr6
	s_branch .LBB102_2447
.LBB102_2443:
	s_mov_b32 s21, -1
                                        ; implicit-def: $vgpr6
.LBB102_2444:
	s_delay_alu instid0(SALU_CYCLE_1)
	s_and_b32 vcc_lo, exec_lo, s21
	s_cbranch_vccz .LBB102_2446
; %bb.2445:
	s_wait_loadcnt 0x0
	global_load_u8 v1, v[14:15], off
	s_wait_loadcnt 0x0
	v_lshlrev_b32_e32 v1, 24, v1
	s_delay_alu instid0(VALU_DEP_1) | instskip(NEXT) | instid1(VALU_DEP_1)
	v_and_b32_e32 v3, 0x7f000000, v1
	v_clz_i32_u32_e32 v5, v3
	v_add_nc_u32_e32 v7, 0x1000000, v3
	v_cmp_ne_u32_e32 vcc_lo, 0, v3
	s_delay_alu instid0(VALU_DEP_3) | instskip(NEXT) | instid1(VALU_DEP_1)
	v_min_u32_e32 v5, 32, v5
	v_sub_nc_u32_e64 v5, v5, 4 clamp
	s_delay_alu instid0(VALU_DEP_1) | instskip(NEXT) | instid1(VALU_DEP_1)
	v_dual_lshlrev_b32 v6, v5, v3 :: v_dual_lshlrev_b32 v5, 23, v5
	v_lshrrev_b32_e32 v6, 4, v6
	s_delay_alu instid0(VALU_DEP_1) | instskip(NEXT) | instid1(VALU_DEP_1)
	v_dual_sub_nc_u32 v5, v6, v5 :: v_dual_ashrrev_i32 v6, 8, v7
	v_add_nc_u32_e32 v5, 0x3c000000, v5
	s_delay_alu instid0(VALU_DEP_1) | instskip(NEXT) | instid1(VALU_DEP_1)
	v_and_or_b32 v5, 0x7f800000, v6, v5
	v_cndmask_b32_e32 v3, 0, v5, vcc_lo
	s_delay_alu instid0(VALU_DEP_1) | instskip(NEXT) | instid1(VALU_DEP_1)
	v_and_or_b32 v1, 0x80000000, v1, v3
	v_trunc_f32_e32 v1, v1
	s_delay_alu instid0(VALU_DEP_1) | instskip(NEXT) | instid1(VALU_DEP_1)
	v_mul_f32_e64 v3, 0x2f800000, |v1|
	v_floor_f32_e32 v3, v3
	s_delay_alu instid0(VALU_DEP_1) | instskip(SKIP_1) | instid1(VALU_DEP_2)
	v_fma_f32 v3, 0xcf800000, v3, |v1|
	v_ashrrev_i32_e32 v1, 31, v1
	v_cvt_u32_f32_e32 v3, v3
	s_delay_alu instid0(VALU_DEP_1) | instskip(NEXT) | instid1(VALU_DEP_1)
	v_xor_b32_e32 v3, v3, v1
	v_sub_nc_u32_e32 v6, v3, v1
.LBB102_2446:
	s_mov_b32 s21, 0
.LBB102_2447:
	s_delay_alu instid0(SALU_CYCLE_1)
	s_and_not1_b32 vcc_lo, exec_lo, s21
	s_cbranch_vccnz .LBB102_2449
; %bb.2448:
	s_wait_loadcnt 0x0
	global_load_u8 v1, v[14:15], off
	s_wait_loadcnt 0x0
	v_lshlrev_b32_e32 v3, 25, v1
	v_lshlrev_b16 v1, 8, v1
	s_delay_alu instid0(VALU_DEP_1) | instskip(SKIP_1) | instid1(VALU_DEP_2)
	v_and_or_b32 v6, 0x7f00, v1, 0.5
	v_bfe_i32 v1, v1, 0, 16
	v_dual_add_f32 v6, -0.5, v6 :: v_dual_lshrrev_b32 v5, 4, v3
	v_cmp_gt_u32_e32 vcc_lo, 0x8000000, v3
	s_delay_alu instid0(VALU_DEP_2) | instskip(NEXT) | instid1(VALU_DEP_1)
	v_or_b32_e32 v5, 0x70000000, v5
	v_mul_f32_e32 v5, 0x7800000, v5
	s_delay_alu instid0(VALU_DEP_1) | instskip(NEXT) | instid1(VALU_DEP_1)
	v_cndmask_b32_e32 v3, v5, v6, vcc_lo
	v_and_or_b32 v1, 0x80000000, v1, v3
	s_delay_alu instid0(VALU_DEP_1) | instskip(NEXT) | instid1(VALU_DEP_1)
	v_trunc_f32_e32 v1, v1
	v_mul_f32_e64 v3, 0x2f800000, |v1|
	s_delay_alu instid0(VALU_DEP_1) | instskip(NEXT) | instid1(VALU_DEP_1)
	v_floor_f32_e32 v3, v3
	v_fma_f32 v3, 0xcf800000, v3, |v1|
	v_ashrrev_i32_e32 v1, 31, v1
	s_delay_alu instid0(VALU_DEP_2) | instskip(NEXT) | instid1(VALU_DEP_1)
	v_cvt_u32_f32_e32 v3, v3
	v_xor_b32_e32 v3, v3, v1
	s_delay_alu instid0(VALU_DEP_1)
	v_sub_nc_u32_e32 v6, v3, v1
.LBB102_2449:
	s_mov_b32 s21, 0
	s_mov_b32 s22, -1
.LBB102_2450:
	s_and_not1_b32 vcc_lo, exec_lo, s21
	s_mov_b32 s21, 0
	s_cbranch_vccnz .LBB102_2461
; %bb.2451:
	s_cmp_gt_i32 s13, 14
	s_cbranch_scc0 .LBB102_2454
; %bb.2452:
	s_cmp_eq_u32 s13, 15
	s_cbranch_scc0 .LBB102_2457
; %bb.2453:
	s_wait_loadcnt 0x0
	global_load_u16 v1, v[14:15], off
	s_mov_b32 s20, 0
	s_mov_b32 s22, -1
	s_wait_loadcnt 0x0
	v_lshlrev_b32_e32 v1, 16, v1
	s_delay_alu instid0(VALU_DEP_1) | instskip(NEXT) | instid1(VALU_DEP_1)
	v_trunc_f32_e32 v1, v1
	v_mul_f32_e64 v3, 0x2f800000, |v1|
	s_delay_alu instid0(VALU_DEP_1) | instskip(NEXT) | instid1(VALU_DEP_1)
	v_floor_f32_e32 v3, v3
	v_fma_f32 v3, 0xcf800000, v3, |v1|
	v_ashrrev_i32_e32 v1, 31, v1
	s_delay_alu instid0(VALU_DEP_2) | instskip(NEXT) | instid1(VALU_DEP_1)
	v_cvt_u32_f32_e32 v3, v3
	v_xor_b32_e32 v3, v3, v1
	s_delay_alu instid0(VALU_DEP_1)
	v_sub_nc_u32_e32 v6, v3, v1
	s_branch .LBB102_2459
.LBB102_2454:
	s_mov_b32 s21, -1
	s_branch .LBB102_2458
.LBB102_2455:
	s_and_not1_saveexec_b32 s21, s21
	s_cbranch_execz .LBB102_2436
.LBB102_2456:
	v_cmp_ne_u16_e32 vcc_lo, 0, v1
	s_and_not1_b32 s22, s22, exec_lo
	s_and_b32 s23, vcc_lo, exec_lo
	s_delay_alu instid0(SALU_CYCLE_1)
	s_or_b32 s22, s22, s23
	s_or_b32 exec_lo, exec_lo, s21
	v_mov_b32_e32 v6, 0
	s_and_saveexec_b32 s21, s22
	s_cbranch_execnz .LBB102_2437
	s_branch .LBB102_2438
.LBB102_2457:
	s_mov_b32 s20, -1
.LBB102_2458:
                                        ; implicit-def: $vgpr6
.LBB102_2459:
	s_and_b32 vcc_lo, exec_lo, s21
	s_mov_b32 s21, 0
	s_cbranch_vccz .LBB102_2461
; %bb.2460:
	s_cmp_lg_u32 s13, 11
	s_mov_b32 s21, -1
	s_cselect_b32 s20, -1, 0
.LBB102_2461:
	s_delay_alu instid0(SALU_CYCLE_1)
	s_and_b32 vcc_lo, exec_lo, s20
	s_cbranch_vccnz .LBB102_2526
; %bb.2462:
	s_and_not1_b32 vcc_lo, exec_lo, s21
	s_cbranch_vccnz .LBB102_2464
.LBB102_2463:
	s_wait_loadcnt 0x0
	global_load_u8 v1, v[14:15], off
	s_mov_b32 s22, -1
	s_wait_loadcnt 0x0
	v_cmp_ne_u16_e32 vcc_lo, 0, v1
	v_cndmask_b32_e64 v6, 0, 1, vcc_lo
.LBB102_2464:
	s_mov_b32 s13, 0
.LBB102_2465:
	s_delay_alu instid0(SALU_CYCLE_1)
	s_and_b32 vcc_lo, exec_lo, s13
	s_cbranch_vccz .LBB102_2514
; %bb.2466:
	s_and_b32 s13, 0xffff, s17
	s_delay_alu instid0(SALU_CYCLE_1)
	s_cmp_lt_i32 s13, 5
	s_cbranch_scc1 .LBB102_2471
; %bb.2467:
	s_cmp_lt_i32 s13, 8
	s_cbranch_scc1 .LBB102_2472
; %bb.2468:
	;; [unrolled: 3-line block ×3, first 2 shown]
	s_cmp_gt_i32 s13, 9
	s_cbranch_scc0 .LBB102_2474
; %bb.2470:
	s_wait_loadcnt 0x0
	global_load_b64 v[6:7], v[14:15], off
	s_mov_b32 s20, 0
	s_wait_loadcnt 0x0
	v_trunc_f64_e32 v[6:7], v[6:7]
	s_delay_alu instid0(VALU_DEP_1) | instskip(NEXT) | instid1(VALU_DEP_1)
	v_ldexp_f64 v[16:17], v[6:7], 0xffffffe0
	v_floor_f64_e32 v[16:17], v[16:17]
	s_delay_alu instid0(VALU_DEP_1) | instskip(NEXT) | instid1(VALU_DEP_1)
	v_fmamk_f64 v[6:7], v[16:17], 0xc1f00000, v[6:7]
	v_cvt_u32_f64_e32 v6, v[6:7]
	s_branch .LBB102_2475
.LBB102_2471:
	s_mov_b32 s20, -1
                                        ; implicit-def: $vgpr6
	s_branch .LBB102_2493
.LBB102_2472:
	s_mov_b32 s20, -1
                                        ; implicit-def: $vgpr6
	s_branch .LBB102_2481
.LBB102_2473:
	s_mov_b32 s20, -1
                                        ; implicit-def: $vgpr6
	s_branch .LBB102_2478
.LBB102_2474:
	s_mov_b32 s20, -1
                                        ; implicit-def: $vgpr6
.LBB102_2475:
	s_delay_alu instid0(SALU_CYCLE_1)
	s_and_not1_b32 vcc_lo, exec_lo, s20
	s_cbranch_vccnz .LBB102_2477
; %bb.2476:
	s_wait_loadcnt 0x0
	global_load_b32 v1, v[14:15], off
	s_wait_loadcnt 0x0
	v_trunc_f32_e32 v1, v1
	s_delay_alu instid0(VALU_DEP_1) | instskip(NEXT) | instid1(VALU_DEP_1)
	v_mul_f32_e64 v3, 0x2f800000, |v1|
	v_floor_f32_e32 v3, v3
	s_delay_alu instid0(VALU_DEP_1) | instskip(SKIP_1) | instid1(VALU_DEP_2)
	v_fma_f32 v3, 0xcf800000, v3, |v1|
	v_ashrrev_i32_e32 v1, 31, v1
	v_cvt_u32_f32_e32 v3, v3
	s_delay_alu instid0(VALU_DEP_1) | instskip(NEXT) | instid1(VALU_DEP_1)
	v_xor_b32_e32 v3, v3, v1
	v_sub_nc_u32_e32 v6, v3, v1
.LBB102_2477:
	s_mov_b32 s20, 0
.LBB102_2478:
	s_delay_alu instid0(SALU_CYCLE_1)
	s_and_not1_b32 vcc_lo, exec_lo, s20
	s_cbranch_vccnz .LBB102_2480
; %bb.2479:
	s_wait_loadcnt 0x0
	global_load_b32 v1, v[14:15], off
	s_wait_loadcnt 0x0
	v_cvt_f32_f16_e32 v1, v1
	s_delay_alu instid0(VALU_DEP_1)
	v_cvt_i32_f32_e32 v6, v1
.LBB102_2480:
	s_mov_b32 s20, 0
.LBB102_2481:
	s_delay_alu instid0(SALU_CYCLE_1)
	s_and_not1_b32 vcc_lo, exec_lo, s20
	s_cbranch_vccnz .LBB102_2492
; %bb.2482:
	s_cmp_lt_i32 s13, 6
	s_cbranch_scc1 .LBB102_2485
; %bb.2483:
	s_cmp_gt_i32 s13, 6
	s_cbranch_scc0 .LBB102_2486
; %bb.2484:
	s_wait_loadcnt 0x0
	global_load_b64 v[6:7], v[14:15], off
	s_mov_b32 s20, 0
	s_wait_loadcnt 0x0
	v_trunc_f64_e32 v[6:7], v[6:7]
	s_delay_alu instid0(VALU_DEP_1) | instskip(NEXT) | instid1(VALU_DEP_1)
	v_ldexp_f64 v[16:17], v[6:7], 0xffffffe0
	v_floor_f64_e32 v[16:17], v[16:17]
	s_delay_alu instid0(VALU_DEP_1) | instskip(NEXT) | instid1(VALU_DEP_1)
	v_fmamk_f64 v[6:7], v[16:17], 0xc1f00000, v[6:7]
	v_cvt_u32_f64_e32 v6, v[6:7]
	s_branch .LBB102_2487
.LBB102_2485:
	s_mov_b32 s20, -1
                                        ; implicit-def: $vgpr6
	s_branch .LBB102_2490
.LBB102_2486:
	s_mov_b32 s20, -1
                                        ; implicit-def: $vgpr6
.LBB102_2487:
	s_delay_alu instid0(SALU_CYCLE_1)
	s_and_not1_b32 vcc_lo, exec_lo, s20
	s_cbranch_vccnz .LBB102_2489
; %bb.2488:
	s_wait_loadcnt 0x0
	global_load_b32 v1, v[14:15], off
	s_wait_loadcnt 0x0
	v_trunc_f32_e32 v1, v1
	s_delay_alu instid0(VALU_DEP_1) | instskip(NEXT) | instid1(VALU_DEP_1)
	v_mul_f32_e64 v3, 0x2f800000, |v1|
	v_floor_f32_e32 v3, v3
	s_delay_alu instid0(VALU_DEP_1) | instskip(SKIP_1) | instid1(VALU_DEP_2)
	v_fma_f32 v3, 0xcf800000, v3, |v1|
	v_ashrrev_i32_e32 v1, 31, v1
	v_cvt_u32_f32_e32 v3, v3
	s_delay_alu instid0(VALU_DEP_1) | instskip(NEXT) | instid1(VALU_DEP_1)
	v_xor_b32_e32 v3, v3, v1
	v_sub_nc_u32_e32 v6, v3, v1
.LBB102_2489:
	s_mov_b32 s20, 0
.LBB102_2490:
	s_delay_alu instid0(SALU_CYCLE_1)
	s_and_not1_b32 vcc_lo, exec_lo, s20
	s_cbranch_vccnz .LBB102_2492
; %bb.2491:
	s_wait_loadcnt 0x0
	global_load_u16 v1, v[14:15], off
	s_wait_loadcnt 0x0
	v_cvt_f32_f16_e32 v1, v1
	s_delay_alu instid0(VALU_DEP_1)
	v_cvt_i32_f32_e32 v6, v1
.LBB102_2492:
	s_mov_b32 s20, 0
.LBB102_2493:
	s_delay_alu instid0(SALU_CYCLE_1)
	s_and_not1_b32 vcc_lo, exec_lo, s20
	s_cbranch_vccnz .LBB102_2513
; %bb.2494:
	s_cmp_lt_i32 s13, 2
	s_cbranch_scc1 .LBB102_2498
; %bb.2495:
	s_cmp_lt_i32 s13, 3
	s_cbranch_scc1 .LBB102_2499
; %bb.2496:
	s_cmp_gt_i32 s13, 3
	s_cbranch_scc0 .LBB102_2500
; %bb.2497:
	s_wait_loadcnt 0x0
	global_load_b64 v[6:7], v[14:15], off
	s_mov_b32 s20, 0
	s_branch .LBB102_2501
.LBB102_2498:
	s_mov_b32 s20, -1
                                        ; implicit-def: $vgpr6
	s_branch .LBB102_2507
.LBB102_2499:
	s_mov_b32 s20, -1
                                        ; implicit-def: $vgpr6
	s_branch .LBB102_2504
.LBB102_2500:
	s_mov_b32 s20, -1
                                        ; implicit-def: $vgpr6
.LBB102_2501:
	s_delay_alu instid0(SALU_CYCLE_1)
	s_and_not1_b32 vcc_lo, exec_lo, s20
	s_cbranch_vccnz .LBB102_2503
; %bb.2502:
	s_wait_loadcnt 0x0
	global_load_b32 v6, v[14:15], off
.LBB102_2503:
	s_mov_b32 s20, 0
.LBB102_2504:
	s_delay_alu instid0(SALU_CYCLE_1)
	s_and_not1_b32 vcc_lo, exec_lo, s20
	s_cbranch_vccnz .LBB102_2506
; %bb.2505:
	s_wait_loadcnt 0x0
	global_load_u16 v6, v[14:15], off
.LBB102_2506:
	s_mov_b32 s20, 0
.LBB102_2507:
	s_delay_alu instid0(SALU_CYCLE_1)
	s_and_not1_b32 vcc_lo, exec_lo, s20
	s_cbranch_vccnz .LBB102_2513
; %bb.2508:
	s_cmp_gt_i32 s13, 0
	s_mov_b32 s13, 0
	s_cbranch_scc0 .LBB102_2510
; %bb.2509:
	s_wait_loadcnt 0x0
	global_load_u8 v6, v[14:15], off
	s_branch .LBB102_2511
.LBB102_2510:
	s_mov_b32 s13, -1
                                        ; implicit-def: $vgpr6
.LBB102_2511:
	s_delay_alu instid0(SALU_CYCLE_1)
	s_and_not1_b32 vcc_lo, exec_lo, s13
	s_cbranch_vccnz .LBB102_2513
; %bb.2512:
	s_wait_loadcnt 0x0
	global_load_u8 v6, v[14:15], off
.LBB102_2513:
	s_mov_b32 s22, -1
.LBB102_2514:
	s_delay_alu instid0(SALU_CYCLE_1)
	s_and_not1_b32 vcc_lo, exec_lo, s22
	s_cbranch_vccnz .LBB102_3968
; %bb.2515:
	s_lshl_b32 s13, s14, 7
	s_cmp_lt_i32 s3, 11
	s_wait_xcnt 0x0
	v_add_nc_u32_e32 v14, s13, v8
	s_delay_alu instid0(VALU_DEP_1) | instskip(NEXT) | instid1(VALU_DEP_1)
	v_ashrrev_i32_e32 v15, 31, v14
	v_add_nc_u64_e32 v[16:17], s[8:9], v[14:15]
	s_cbranch_scc1 .LBB102_2522
; %bb.2516:
	s_and_b32 s14, 0xffff, s3
	s_mov_b32 s21, 0
	s_cmp_gt_i32 s14, 25
	s_cbranch_scc0 .LBB102_2523
; %bb.2517:
	s_cmp_gt_i32 s14, 28
	s_cbranch_scc0 .LBB102_2524
; %bb.2518:
	s_cmp_gt_i32 s14, 43
	s_cbranch_scc0 .LBB102_2525
; %bb.2519:
	s_cmp_gt_i32 s14, 45
	s_cbranch_scc0 .LBB102_2527
; %bb.2520:
	s_cmp_eq_u32 s14, 46
	s_mov_b32 s23, 0
	s_cbranch_scc0 .LBB102_2528
; %bb.2521:
	s_wait_loadcnt 0x0
	global_load_b32 v1, v[16:17], off
	s_mov_b32 s20, 0
	s_mov_b32 s22, -1
	s_wait_loadcnt 0x0
	v_lshlrev_b32_e32 v1, 16, v1
	s_delay_alu instid0(VALU_DEP_1) | instskip(NEXT) | instid1(VALU_DEP_1)
	v_trunc_f32_e32 v1, v1
	v_mul_f32_e64 v3, 0x2f800000, |v1|
	s_delay_alu instid0(VALU_DEP_1) | instskip(NEXT) | instid1(VALU_DEP_1)
	v_floor_f32_e32 v3, v3
	v_fma_f32 v3, 0xcf800000, v3, |v1|
	v_ashrrev_i32_e32 v1, 31, v1
	s_delay_alu instid0(VALU_DEP_2) | instskip(NEXT) | instid1(VALU_DEP_1)
	v_cvt_u32_f32_e32 v3, v3
	v_xor_b32_e32 v3, v3, v1
	s_delay_alu instid0(VALU_DEP_1)
	v_sub_nc_u32_e32 v8, v3, v1
	s_branch .LBB102_2530
.LBB102_2522:
	s_mov_b32 s14, -1
	s_mov_b32 s22, 0
                                        ; implicit-def: $vgpr8
	s_branch .LBB102_2592
.LBB102_2523:
	s_mov_b32 s23, -1
	s_mov_b32 s22, 0
	s_mov_b32 s20, 0
                                        ; implicit-def: $vgpr8
	s_branch .LBB102_2557
.LBB102_2524:
	s_mov_b32 s23, -1
	s_mov_b32 s22, 0
	s_mov_b32 s20, 0
                                        ; implicit-def: $vgpr8
	s_branch .LBB102_2540
.LBB102_2525:
	s_mov_b32 s23, -1
	s_mov_b32 s22, 0
	s_mov_b32 s20, 0
                                        ; implicit-def: $vgpr8
	s_branch .LBB102_2535
.LBB102_2526:
	s_or_b32 s16, s16, exec_lo
	s_trap 2
	s_cbranch_execz .LBB102_2463
	s_branch .LBB102_2464
.LBB102_2527:
	s_mov_b32 s23, -1
	s_mov_b32 s22, 0
	s_mov_b32 s20, 0
	s_branch .LBB102_2529
.LBB102_2528:
	s_mov_b32 s20, -1
	s_mov_b32 s22, 0
.LBB102_2529:
                                        ; implicit-def: $vgpr8
.LBB102_2530:
	s_and_b32 vcc_lo, exec_lo, s23
	s_cbranch_vccz .LBB102_2534
; %bb.2531:
	s_cmp_eq_u32 s14, 44
	s_cbranch_scc0 .LBB102_2533
; %bb.2532:
	s_wait_loadcnt 0x0
	global_load_u8 v1, v[16:17], off
	s_mov_b32 s20, 0
	s_mov_b32 s22, -1
	s_wait_loadcnt 0x0
	v_lshlrev_b32_e32 v3, 23, v1
	v_cmp_ne_u32_e32 vcc_lo, 0, v1
	s_delay_alu instid0(VALU_DEP_2) | instskip(NEXT) | instid1(VALU_DEP_1)
	v_trunc_f32_e32 v3, v3
	v_mul_f32_e64 v5, 0x2f800000, |v3|
	s_delay_alu instid0(VALU_DEP_1) | instskip(NEXT) | instid1(VALU_DEP_1)
	v_floor_f32_e32 v5, v5
	v_fma_f32 v5, 0xcf800000, v5, |v3|
	v_ashrrev_i32_e32 v3, 31, v3
	s_delay_alu instid0(VALU_DEP_2) | instskip(NEXT) | instid1(VALU_DEP_1)
	v_cvt_u32_f32_e32 v5, v5
	v_xor_b32_e32 v5, v5, v3
	s_delay_alu instid0(VALU_DEP_1) | instskip(NEXT) | instid1(VALU_DEP_1)
	v_sub_nc_u32_e32 v3, v5, v3
	v_cndmask_b32_e32 v8, 0, v3, vcc_lo
	s_branch .LBB102_2534
.LBB102_2533:
	s_mov_b32 s20, -1
                                        ; implicit-def: $vgpr8
.LBB102_2534:
	s_mov_b32 s23, 0
.LBB102_2535:
	s_delay_alu instid0(SALU_CYCLE_1)
	s_and_b32 vcc_lo, exec_lo, s23
	s_cbranch_vccz .LBB102_2539
; %bb.2536:
	s_cmp_eq_u32 s14, 29
	s_cbranch_scc0 .LBB102_2538
; %bb.2537:
	global_load_b64 v[8:9], v[16:17], off
	s_mov_b32 s20, 0
	s_mov_b32 s22, -1
	s_branch .LBB102_2539
.LBB102_2538:
	s_mov_b32 s20, -1
                                        ; implicit-def: $vgpr8
.LBB102_2539:
	s_mov_b32 s23, 0
.LBB102_2540:
	s_delay_alu instid0(SALU_CYCLE_1)
	s_and_b32 vcc_lo, exec_lo, s23
	s_cbranch_vccz .LBB102_2556
; %bb.2541:
	s_cmp_lt_i32 s14, 27
	s_cbranch_scc1 .LBB102_2544
; %bb.2542:
	s_cmp_gt_i32 s14, 27
	s_cbranch_scc0 .LBB102_2545
; %bb.2543:
	s_wait_loadcnt 0x0
	global_load_b32 v8, v[16:17], off
	s_mov_b32 s22, 0
	s_branch .LBB102_2546
.LBB102_2544:
	s_mov_b32 s22, -1
                                        ; implicit-def: $vgpr8
	s_branch .LBB102_2549
.LBB102_2545:
	s_mov_b32 s22, -1
                                        ; implicit-def: $vgpr8
.LBB102_2546:
	s_delay_alu instid0(SALU_CYCLE_1)
	s_and_not1_b32 vcc_lo, exec_lo, s22
	s_cbranch_vccnz .LBB102_2548
; %bb.2547:
	s_wait_loadcnt 0x0
	global_load_u16 v8, v[16:17], off
.LBB102_2548:
	s_mov_b32 s22, 0
.LBB102_2549:
	s_delay_alu instid0(SALU_CYCLE_1)
	s_and_not1_b32 vcc_lo, exec_lo, s22
	s_cbranch_vccnz .LBB102_2555
; %bb.2550:
	s_wait_loadcnt 0x0
	global_load_u8 v1, v[16:17], off
	s_mov_b32 s23, 0
	s_mov_b32 s22, exec_lo
	s_wait_loadcnt 0x0
	v_cmpx_lt_i16_e32 0x7f, v1
	s_xor_b32 s22, exec_lo, s22
	s_cbranch_execz .LBB102_2567
; %bb.2551:
	v_cmp_ne_u16_e32 vcc_lo, 0x80, v1
	s_and_b32 s23, vcc_lo, exec_lo
	s_and_not1_saveexec_b32 s22, s22
	s_cbranch_execnz .LBB102_2568
.LBB102_2552:
	s_or_b32 exec_lo, exec_lo, s22
	v_mov_b32_e32 v8, 0
	s_and_saveexec_b32 s22, s23
	s_cbranch_execz .LBB102_2554
.LBB102_2553:
	v_and_b32_e32 v3, 0xffff, v1
	s_delay_alu instid0(VALU_DEP_1) | instskip(SKIP_1) | instid1(VALU_DEP_2)
	v_dual_lshlrev_b32 v1, 24, v1 :: v_dual_bitop2_b32 v5, 7, v3 bitop3:0x40
	v_bfe_u32 v9, v3, 3, 4
	v_and_b32_e32 v1, 0x80000000, v1
	s_delay_alu instid0(VALU_DEP_3) | instskip(NEXT) | instid1(VALU_DEP_3)
	v_clz_i32_u32_e32 v7, v5
	v_cmp_eq_u32_e32 vcc_lo, 0, v9
	s_delay_alu instid0(VALU_DEP_2) | instskip(NEXT) | instid1(VALU_DEP_1)
	v_min_u32_e32 v7, 32, v7
	v_subrev_nc_u32_e32 v8, 28, v7
	v_sub_nc_u32_e32 v7, 29, v7
	s_delay_alu instid0(VALU_DEP_2) | instskip(NEXT) | instid1(VALU_DEP_2)
	v_lshlrev_b32_e32 v3, v8, v3
	v_cndmask_b32_e32 v7, v9, v7, vcc_lo
	s_delay_alu instid0(VALU_DEP_2) | instskip(NEXT) | instid1(VALU_DEP_1)
	v_and_b32_e32 v3, 7, v3
	v_cndmask_b32_e32 v3, v5, v3, vcc_lo
	s_delay_alu instid0(VALU_DEP_3) | instskip(NEXT) | instid1(VALU_DEP_2)
	v_lshl_add_u32 v5, v7, 23, 0x3b800000
	v_lshlrev_b32_e32 v3, 20, v3
	s_delay_alu instid0(VALU_DEP_1) | instskip(NEXT) | instid1(VALU_DEP_1)
	v_or3_b32 v1, v1, v5, v3
	v_trunc_f32_e32 v1, v1
	s_delay_alu instid0(VALU_DEP_1) | instskip(NEXT) | instid1(VALU_DEP_1)
	v_mul_f32_e64 v3, 0x2f800000, |v1|
	v_floor_f32_e32 v3, v3
	s_delay_alu instid0(VALU_DEP_1) | instskip(SKIP_1) | instid1(VALU_DEP_2)
	v_fma_f32 v3, 0xcf800000, v3, |v1|
	v_ashrrev_i32_e32 v1, 31, v1
	v_cvt_u32_f32_e32 v3, v3
	s_delay_alu instid0(VALU_DEP_1) | instskip(NEXT) | instid1(VALU_DEP_1)
	v_xor_b32_e32 v3, v3, v1
	v_sub_nc_u32_e32 v8, v3, v1
.LBB102_2554:
	s_or_b32 exec_lo, exec_lo, s22
.LBB102_2555:
	s_mov_b32 s22, -1
.LBB102_2556:
	s_mov_b32 s23, 0
.LBB102_2557:
	s_delay_alu instid0(SALU_CYCLE_1)
	s_and_b32 vcc_lo, exec_lo, s23
	s_cbranch_vccz .LBB102_2588
; %bb.2558:
	s_cmp_gt_i32 s14, 22
	s_cbranch_scc0 .LBB102_2566
; %bb.2559:
	s_cmp_lt_i32 s14, 24
	s_cbranch_scc1 .LBB102_2569
; %bb.2560:
	s_cmp_gt_i32 s14, 24
	s_cbranch_scc0 .LBB102_2570
; %bb.2561:
	s_wait_loadcnt 0x0
	global_load_u8 v1, v[16:17], off
	s_mov_b32 s22, 0
	s_mov_b32 s21, exec_lo
	s_wait_loadcnt 0x0
	v_cmpx_lt_i16_e32 0x7f, v1
	s_xor_b32 s21, exec_lo, s21
	s_cbranch_execz .LBB102_2582
; %bb.2562:
	v_cmp_ne_u16_e32 vcc_lo, 0x80, v1
	s_and_b32 s22, vcc_lo, exec_lo
	s_and_not1_saveexec_b32 s21, s21
	s_cbranch_execnz .LBB102_2583
.LBB102_2563:
	s_or_b32 exec_lo, exec_lo, s21
	v_mov_b32_e32 v8, 0
	s_and_saveexec_b32 s21, s22
	s_cbranch_execz .LBB102_2565
.LBB102_2564:
	v_and_b32_e32 v3, 0xffff, v1
	s_delay_alu instid0(VALU_DEP_1) | instskip(SKIP_1) | instid1(VALU_DEP_2)
	v_dual_lshlrev_b32 v1, 24, v1 :: v_dual_bitop2_b32 v5, 3, v3 bitop3:0x40
	v_bfe_u32 v9, v3, 2, 5
	v_and_b32_e32 v1, 0x80000000, v1
	s_delay_alu instid0(VALU_DEP_3) | instskip(NEXT) | instid1(VALU_DEP_3)
	v_clz_i32_u32_e32 v7, v5
	v_cmp_eq_u32_e32 vcc_lo, 0, v9
	s_delay_alu instid0(VALU_DEP_2) | instskip(NEXT) | instid1(VALU_DEP_1)
	v_min_u32_e32 v7, 32, v7
	v_subrev_nc_u32_e32 v8, 29, v7
	v_sub_nc_u32_e32 v7, 30, v7
	s_delay_alu instid0(VALU_DEP_2) | instskip(NEXT) | instid1(VALU_DEP_2)
	v_lshlrev_b32_e32 v3, v8, v3
	v_cndmask_b32_e32 v7, v9, v7, vcc_lo
	s_delay_alu instid0(VALU_DEP_2) | instskip(NEXT) | instid1(VALU_DEP_1)
	v_and_b32_e32 v3, 3, v3
	v_cndmask_b32_e32 v3, v5, v3, vcc_lo
	s_delay_alu instid0(VALU_DEP_3) | instskip(NEXT) | instid1(VALU_DEP_2)
	v_lshl_add_u32 v5, v7, 23, 0x37800000
	v_lshlrev_b32_e32 v3, 21, v3
	s_delay_alu instid0(VALU_DEP_1) | instskip(NEXT) | instid1(VALU_DEP_1)
	v_or3_b32 v1, v1, v5, v3
	v_trunc_f32_e32 v1, v1
	s_delay_alu instid0(VALU_DEP_1) | instskip(NEXT) | instid1(VALU_DEP_1)
	v_mul_f32_e64 v3, 0x2f800000, |v1|
	v_floor_f32_e32 v3, v3
	s_delay_alu instid0(VALU_DEP_1) | instskip(SKIP_1) | instid1(VALU_DEP_2)
	v_fma_f32 v3, 0xcf800000, v3, |v1|
	v_ashrrev_i32_e32 v1, 31, v1
	v_cvt_u32_f32_e32 v3, v3
	s_delay_alu instid0(VALU_DEP_1) | instskip(NEXT) | instid1(VALU_DEP_1)
	v_xor_b32_e32 v3, v3, v1
	v_sub_nc_u32_e32 v8, v3, v1
.LBB102_2565:
	s_or_b32 exec_lo, exec_lo, s21
	s_mov_b32 s21, 0
	s_branch .LBB102_2571
.LBB102_2566:
	s_mov_b32 s21, -1
                                        ; implicit-def: $vgpr8
	s_branch .LBB102_2577
.LBB102_2567:
	s_and_not1_saveexec_b32 s22, s22
	s_cbranch_execz .LBB102_2552
.LBB102_2568:
	v_cmp_ne_u16_e32 vcc_lo, 0, v1
	s_and_not1_b32 s23, s23, exec_lo
	s_and_b32 s24, vcc_lo, exec_lo
	s_delay_alu instid0(SALU_CYCLE_1)
	s_or_b32 s23, s23, s24
	s_or_b32 exec_lo, exec_lo, s22
	v_mov_b32_e32 v8, 0
	s_and_saveexec_b32 s22, s23
	s_cbranch_execnz .LBB102_2553
	s_branch .LBB102_2554
.LBB102_2569:
	s_mov_b32 s21, -1
                                        ; implicit-def: $vgpr8
	s_branch .LBB102_2574
.LBB102_2570:
	s_mov_b32 s21, -1
                                        ; implicit-def: $vgpr8
.LBB102_2571:
	s_delay_alu instid0(SALU_CYCLE_1)
	s_and_b32 vcc_lo, exec_lo, s21
	s_cbranch_vccz .LBB102_2573
; %bb.2572:
	s_wait_loadcnt 0x0
	global_load_u8 v1, v[16:17], off
	s_wait_loadcnt 0x0
	v_lshlrev_b32_e32 v1, 24, v1
	s_delay_alu instid0(VALU_DEP_1) | instskip(NEXT) | instid1(VALU_DEP_1)
	v_and_b32_e32 v3, 0x7f000000, v1
	v_clz_i32_u32_e32 v5, v3
	v_cmp_ne_u32_e32 vcc_lo, 0, v3
	v_add_nc_u32_e32 v8, 0x1000000, v3
	s_delay_alu instid0(VALU_DEP_3) | instskip(NEXT) | instid1(VALU_DEP_1)
	v_min_u32_e32 v5, 32, v5
	v_sub_nc_u32_e64 v5, v5, 4 clamp
	s_delay_alu instid0(VALU_DEP_1) | instskip(NEXT) | instid1(VALU_DEP_1)
	v_dual_lshlrev_b32 v7, v5, v3 :: v_dual_lshlrev_b32 v5, 23, v5
	v_lshrrev_b32_e32 v7, 4, v7
	s_delay_alu instid0(VALU_DEP_1) | instskip(NEXT) | instid1(VALU_DEP_1)
	v_dual_sub_nc_u32 v5, v7, v5 :: v_dual_ashrrev_i32 v7, 8, v8
	v_add_nc_u32_e32 v5, 0x3c000000, v5
	s_delay_alu instid0(VALU_DEP_1) | instskip(NEXT) | instid1(VALU_DEP_1)
	v_and_or_b32 v5, 0x7f800000, v7, v5
	v_cndmask_b32_e32 v3, 0, v5, vcc_lo
	s_delay_alu instid0(VALU_DEP_1) | instskip(NEXT) | instid1(VALU_DEP_1)
	v_and_or_b32 v1, 0x80000000, v1, v3
	v_trunc_f32_e32 v1, v1
	s_delay_alu instid0(VALU_DEP_1) | instskip(NEXT) | instid1(VALU_DEP_1)
	v_mul_f32_e64 v3, 0x2f800000, |v1|
	v_floor_f32_e32 v3, v3
	s_delay_alu instid0(VALU_DEP_1) | instskip(SKIP_1) | instid1(VALU_DEP_2)
	v_fma_f32 v3, 0xcf800000, v3, |v1|
	v_ashrrev_i32_e32 v1, 31, v1
	v_cvt_u32_f32_e32 v3, v3
	s_delay_alu instid0(VALU_DEP_1) | instskip(NEXT) | instid1(VALU_DEP_1)
	v_xor_b32_e32 v3, v3, v1
	v_sub_nc_u32_e32 v8, v3, v1
.LBB102_2573:
	s_mov_b32 s21, 0
.LBB102_2574:
	s_delay_alu instid0(SALU_CYCLE_1)
	s_and_not1_b32 vcc_lo, exec_lo, s21
	s_cbranch_vccnz .LBB102_2576
; %bb.2575:
	s_wait_loadcnt 0x0
	global_load_u8 v1, v[16:17], off
	s_wait_loadcnt 0x0
	v_lshlrev_b32_e32 v3, 25, v1
	v_lshlrev_b16 v1, 8, v1
	s_delay_alu instid0(VALU_DEP_1) | instskip(SKIP_1) | instid1(VALU_DEP_2)
	v_and_or_b32 v7, 0x7f00, v1, 0.5
	v_bfe_i32 v1, v1, 0, 16
	v_add_f32_e32 v7, -0.5, v7
	v_lshrrev_b32_e32 v5, 4, v3
	v_cmp_gt_u32_e32 vcc_lo, 0x8000000, v3
	s_delay_alu instid0(VALU_DEP_2) | instskip(NEXT) | instid1(VALU_DEP_1)
	v_or_b32_e32 v5, 0x70000000, v5
	v_mul_f32_e32 v5, 0x7800000, v5
	s_delay_alu instid0(VALU_DEP_1) | instskip(NEXT) | instid1(VALU_DEP_1)
	v_cndmask_b32_e32 v3, v5, v7, vcc_lo
	v_and_or_b32 v1, 0x80000000, v1, v3
	s_delay_alu instid0(VALU_DEP_1) | instskip(NEXT) | instid1(VALU_DEP_1)
	v_trunc_f32_e32 v1, v1
	v_mul_f32_e64 v3, 0x2f800000, |v1|
	s_delay_alu instid0(VALU_DEP_1) | instskip(NEXT) | instid1(VALU_DEP_1)
	v_floor_f32_e32 v3, v3
	v_fma_f32 v3, 0xcf800000, v3, |v1|
	v_ashrrev_i32_e32 v1, 31, v1
	s_delay_alu instid0(VALU_DEP_2) | instskip(NEXT) | instid1(VALU_DEP_1)
	v_cvt_u32_f32_e32 v3, v3
	v_xor_b32_e32 v3, v3, v1
	s_delay_alu instid0(VALU_DEP_1)
	v_sub_nc_u32_e32 v8, v3, v1
.LBB102_2576:
	s_mov_b32 s21, 0
	s_mov_b32 s22, -1
.LBB102_2577:
	s_and_not1_b32 vcc_lo, exec_lo, s21
	s_mov_b32 s21, 0
	s_cbranch_vccnz .LBB102_2588
; %bb.2578:
	s_cmp_gt_i32 s14, 14
	s_cbranch_scc0 .LBB102_2581
; %bb.2579:
	s_cmp_eq_u32 s14, 15
	s_cbranch_scc0 .LBB102_2584
; %bb.2580:
	s_wait_loadcnt 0x0
	global_load_u16 v1, v[16:17], off
	s_mov_b32 s20, 0
	s_mov_b32 s22, -1
	s_wait_loadcnt 0x0
	v_lshlrev_b32_e32 v1, 16, v1
	s_delay_alu instid0(VALU_DEP_1) | instskip(NEXT) | instid1(VALU_DEP_1)
	v_trunc_f32_e32 v1, v1
	v_mul_f32_e64 v3, 0x2f800000, |v1|
	s_delay_alu instid0(VALU_DEP_1) | instskip(NEXT) | instid1(VALU_DEP_1)
	v_floor_f32_e32 v3, v3
	v_fma_f32 v3, 0xcf800000, v3, |v1|
	v_ashrrev_i32_e32 v1, 31, v1
	s_delay_alu instid0(VALU_DEP_2) | instskip(NEXT) | instid1(VALU_DEP_1)
	v_cvt_u32_f32_e32 v3, v3
	v_xor_b32_e32 v3, v3, v1
	s_delay_alu instid0(VALU_DEP_1)
	v_sub_nc_u32_e32 v8, v3, v1
	s_branch .LBB102_2586
.LBB102_2581:
	s_mov_b32 s21, -1
	s_branch .LBB102_2585
.LBB102_2582:
	s_and_not1_saveexec_b32 s21, s21
	s_cbranch_execz .LBB102_2563
.LBB102_2583:
	v_cmp_ne_u16_e32 vcc_lo, 0, v1
	s_and_not1_b32 s22, s22, exec_lo
	s_and_b32 s23, vcc_lo, exec_lo
	s_delay_alu instid0(SALU_CYCLE_1)
	s_or_b32 s22, s22, s23
	s_or_b32 exec_lo, exec_lo, s21
	v_mov_b32_e32 v8, 0
	s_and_saveexec_b32 s21, s22
	s_cbranch_execnz .LBB102_2564
	s_branch .LBB102_2565
.LBB102_2584:
	s_mov_b32 s20, -1
.LBB102_2585:
                                        ; implicit-def: $vgpr8
.LBB102_2586:
	s_and_b32 vcc_lo, exec_lo, s21
	s_mov_b32 s21, 0
	s_cbranch_vccz .LBB102_2588
; %bb.2587:
	s_cmp_lg_u32 s14, 11
	s_mov_b32 s21, -1
	s_cselect_b32 s20, -1, 0
.LBB102_2588:
	s_delay_alu instid0(SALU_CYCLE_1)
	s_and_b32 vcc_lo, exec_lo, s20
	s_cbranch_vccnz .LBB102_2653
; %bb.2589:
	s_and_not1_b32 vcc_lo, exec_lo, s21
	s_cbranch_vccnz .LBB102_2591
.LBB102_2590:
	s_wait_loadcnt 0x0
	global_load_u8 v1, v[16:17], off
	s_mov_b32 s22, -1
	s_wait_loadcnt 0x0
	v_cmp_ne_u16_e32 vcc_lo, 0, v1
	v_cndmask_b32_e64 v8, 0, 1, vcc_lo
.LBB102_2591:
	s_mov_b32 s14, 0
.LBB102_2592:
	s_delay_alu instid0(SALU_CYCLE_1)
	s_and_b32 vcc_lo, exec_lo, s14
	s_cbranch_vccz .LBB102_2641
; %bb.2593:
	s_and_b32 s14, 0xffff, s3
	s_delay_alu instid0(SALU_CYCLE_1)
	s_cmp_lt_i32 s14, 5
	s_cbranch_scc1 .LBB102_2598
; %bb.2594:
	s_cmp_lt_i32 s14, 8
	s_cbranch_scc1 .LBB102_2599
; %bb.2595:
	;; [unrolled: 3-line block ×3, first 2 shown]
	s_cmp_gt_i32 s14, 9
	s_cbranch_scc0 .LBB102_2601
; %bb.2597:
	s_wait_loadcnt 0x0
	global_load_b64 v[8:9], v[16:17], off
	s_mov_b32 s20, 0
	s_wait_loadcnt 0x0
	v_trunc_f64_e32 v[8:9], v[8:9]
	s_delay_alu instid0(VALU_DEP_1) | instskip(NEXT) | instid1(VALU_DEP_1)
	v_ldexp_f64 v[18:19], v[8:9], 0xffffffe0
	v_floor_f64_e32 v[18:19], v[18:19]
	s_delay_alu instid0(VALU_DEP_1) | instskip(NEXT) | instid1(VALU_DEP_1)
	v_fmamk_f64 v[8:9], v[18:19], 0xc1f00000, v[8:9]
	v_cvt_u32_f64_e32 v8, v[8:9]
	s_branch .LBB102_2602
.LBB102_2598:
	s_mov_b32 s20, -1
                                        ; implicit-def: $vgpr8
	s_branch .LBB102_2620
.LBB102_2599:
	s_mov_b32 s20, -1
                                        ; implicit-def: $vgpr8
	s_branch .LBB102_2608
.LBB102_2600:
	s_mov_b32 s20, -1
                                        ; implicit-def: $vgpr8
	s_branch .LBB102_2605
.LBB102_2601:
	s_mov_b32 s20, -1
                                        ; implicit-def: $vgpr8
.LBB102_2602:
	s_delay_alu instid0(SALU_CYCLE_1)
	s_and_not1_b32 vcc_lo, exec_lo, s20
	s_cbranch_vccnz .LBB102_2604
; %bb.2603:
	s_wait_loadcnt 0x0
	global_load_b32 v1, v[16:17], off
	s_wait_loadcnt 0x0
	v_trunc_f32_e32 v1, v1
	s_delay_alu instid0(VALU_DEP_1) | instskip(NEXT) | instid1(VALU_DEP_1)
	v_mul_f32_e64 v3, 0x2f800000, |v1|
	v_floor_f32_e32 v3, v3
	s_delay_alu instid0(VALU_DEP_1) | instskip(SKIP_1) | instid1(VALU_DEP_2)
	v_fma_f32 v3, 0xcf800000, v3, |v1|
	v_ashrrev_i32_e32 v1, 31, v1
	v_cvt_u32_f32_e32 v3, v3
	s_delay_alu instid0(VALU_DEP_1) | instskip(NEXT) | instid1(VALU_DEP_1)
	v_xor_b32_e32 v3, v3, v1
	v_sub_nc_u32_e32 v8, v3, v1
.LBB102_2604:
	s_mov_b32 s20, 0
.LBB102_2605:
	s_delay_alu instid0(SALU_CYCLE_1)
	s_and_not1_b32 vcc_lo, exec_lo, s20
	s_cbranch_vccnz .LBB102_2607
; %bb.2606:
	s_wait_loadcnt 0x0
	global_load_b32 v1, v[16:17], off
	s_wait_loadcnt 0x0
	v_cvt_f32_f16_e32 v1, v1
	s_delay_alu instid0(VALU_DEP_1)
	v_cvt_i32_f32_e32 v8, v1
.LBB102_2607:
	s_mov_b32 s20, 0
.LBB102_2608:
	s_delay_alu instid0(SALU_CYCLE_1)
	s_and_not1_b32 vcc_lo, exec_lo, s20
	s_cbranch_vccnz .LBB102_2619
; %bb.2609:
	s_cmp_lt_i32 s14, 6
	s_cbranch_scc1 .LBB102_2612
; %bb.2610:
	s_cmp_gt_i32 s14, 6
	s_cbranch_scc0 .LBB102_2613
; %bb.2611:
	s_wait_loadcnt 0x0
	global_load_b64 v[8:9], v[16:17], off
	s_mov_b32 s20, 0
	s_wait_loadcnt 0x0
	v_trunc_f64_e32 v[8:9], v[8:9]
	s_delay_alu instid0(VALU_DEP_1) | instskip(NEXT) | instid1(VALU_DEP_1)
	v_ldexp_f64 v[18:19], v[8:9], 0xffffffe0
	v_floor_f64_e32 v[18:19], v[18:19]
	s_delay_alu instid0(VALU_DEP_1) | instskip(NEXT) | instid1(VALU_DEP_1)
	v_fmamk_f64 v[8:9], v[18:19], 0xc1f00000, v[8:9]
	v_cvt_u32_f64_e32 v8, v[8:9]
	s_branch .LBB102_2614
.LBB102_2612:
	s_mov_b32 s20, -1
                                        ; implicit-def: $vgpr8
	s_branch .LBB102_2617
.LBB102_2613:
	s_mov_b32 s20, -1
                                        ; implicit-def: $vgpr8
.LBB102_2614:
	s_delay_alu instid0(SALU_CYCLE_1)
	s_and_not1_b32 vcc_lo, exec_lo, s20
	s_cbranch_vccnz .LBB102_2616
; %bb.2615:
	s_wait_loadcnt 0x0
	global_load_b32 v1, v[16:17], off
	s_wait_loadcnt 0x0
	v_trunc_f32_e32 v1, v1
	s_delay_alu instid0(VALU_DEP_1) | instskip(NEXT) | instid1(VALU_DEP_1)
	v_mul_f32_e64 v3, 0x2f800000, |v1|
	v_floor_f32_e32 v3, v3
	s_delay_alu instid0(VALU_DEP_1) | instskip(SKIP_1) | instid1(VALU_DEP_2)
	v_fma_f32 v3, 0xcf800000, v3, |v1|
	v_ashrrev_i32_e32 v1, 31, v1
	v_cvt_u32_f32_e32 v3, v3
	s_delay_alu instid0(VALU_DEP_1) | instskip(NEXT) | instid1(VALU_DEP_1)
	v_xor_b32_e32 v3, v3, v1
	v_sub_nc_u32_e32 v8, v3, v1
.LBB102_2616:
	s_mov_b32 s20, 0
.LBB102_2617:
	s_delay_alu instid0(SALU_CYCLE_1)
	s_and_not1_b32 vcc_lo, exec_lo, s20
	s_cbranch_vccnz .LBB102_2619
; %bb.2618:
	s_wait_loadcnt 0x0
	global_load_u16 v1, v[16:17], off
	s_wait_loadcnt 0x0
	v_cvt_f32_f16_e32 v1, v1
	s_delay_alu instid0(VALU_DEP_1)
	v_cvt_i32_f32_e32 v8, v1
.LBB102_2619:
	s_mov_b32 s20, 0
.LBB102_2620:
	s_delay_alu instid0(SALU_CYCLE_1)
	s_and_not1_b32 vcc_lo, exec_lo, s20
	s_cbranch_vccnz .LBB102_2640
; %bb.2621:
	s_cmp_lt_i32 s14, 2
	s_cbranch_scc1 .LBB102_2625
; %bb.2622:
	s_cmp_lt_i32 s14, 3
	s_cbranch_scc1 .LBB102_2626
; %bb.2623:
	s_cmp_gt_i32 s14, 3
	s_cbranch_scc0 .LBB102_2627
; %bb.2624:
	s_wait_loadcnt 0x0
	global_load_b64 v[8:9], v[16:17], off
	s_mov_b32 s20, 0
	s_branch .LBB102_2628
.LBB102_2625:
	s_mov_b32 s20, -1
                                        ; implicit-def: $vgpr8
	s_branch .LBB102_2634
.LBB102_2626:
	s_mov_b32 s20, -1
                                        ; implicit-def: $vgpr8
	s_branch .LBB102_2631
.LBB102_2627:
	s_mov_b32 s20, -1
                                        ; implicit-def: $vgpr8
.LBB102_2628:
	s_delay_alu instid0(SALU_CYCLE_1)
	s_and_not1_b32 vcc_lo, exec_lo, s20
	s_cbranch_vccnz .LBB102_2630
; %bb.2629:
	s_wait_loadcnt 0x0
	global_load_b32 v8, v[16:17], off
.LBB102_2630:
	s_mov_b32 s20, 0
.LBB102_2631:
	s_delay_alu instid0(SALU_CYCLE_1)
	s_and_not1_b32 vcc_lo, exec_lo, s20
	s_cbranch_vccnz .LBB102_2633
; %bb.2632:
	s_wait_loadcnt 0x0
	global_load_u16 v8, v[16:17], off
.LBB102_2633:
	s_mov_b32 s20, 0
.LBB102_2634:
	s_delay_alu instid0(SALU_CYCLE_1)
	s_and_not1_b32 vcc_lo, exec_lo, s20
	s_cbranch_vccnz .LBB102_2640
; %bb.2635:
	s_cmp_gt_i32 s14, 0
	s_mov_b32 s14, 0
	s_cbranch_scc0 .LBB102_2637
; %bb.2636:
	s_wait_loadcnt 0x0
	global_load_u8 v8, v[16:17], off
	s_branch .LBB102_2638
.LBB102_2637:
	s_mov_b32 s14, -1
                                        ; implicit-def: $vgpr8
.LBB102_2638:
	s_delay_alu instid0(SALU_CYCLE_1)
	s_and_not1_b32 vcc_lo, exec_lo, s14
	s_cbranch_vccnz .LBB102_2640
; %bb.2639:
	s_wait_loadcnt 0x0
	global_load_u8 v8, v[16:17], off
.LBB102_2640:
	s_mov_b32 s22, -1
.LBB102_2641:
	s_delay_alu instid0(SALU_CYCLE_1)
	s_and_not1_b32 vcc_lo, exec_lo, s22
	s_cbranch_vccnz .LBB102_3968
; %bb.2642:
	s_lshl_b32 s14, s15, 7
	s_cmp_lt_i32 s0, 11
	s_wait_xcnt 0x0
	v_add_nc_u32_e32 v16, s14, v10
	s_delay_alu instid0(VALU_DEP_1) | instskip(NEXT) | instid1(VALU_DEP_1)
	v_ashrrev_i32_e32 v17, 31, v16
	v_add_nc_u64_e32 v[18:19], s[10:11], v[16:17]
	s_cbranch_scc1 .LBB102_2649
; %bb.2643:
	s_cmp_gt_i32 s0, 25
	s_mov_b32 s20, 0
	s_cbranch_scc0 .LBB102_2650
; %bb.2644:
	s_cmp_gt_i32 s0, 28
	s_cbranch_scc0 .LBB102_2651
; %bb.2645:
	s_cmp_gt_i32 s0, 43
	;; [unrolled: 3-line block ×3, first 2 shown]
	s_cbranch_scc0 .LBB102_2654
; %bb.2647:
	s_cmp_eq_u32 s0, 46
	s_mov_b32 s22, 0
	s_cbranch_scc0 .LBB102_2657
; %bb.2648:
	s_wait_loadcnt 0x0
	global_load_b32 v1, v[18:19], off
	s_mov_b32 s15, 0
	s_mov_b32 s21, -1
	s_wait_loadcnt 0x0
	v_lshlrev_b32_e32 v1, 16, v1
	s_delay_alu instid0(VALU_DEP_1) | instskip(NEXT) | instid1(VALU_DEP_1)
	v_trunc_f32_e32 v1, v1
	v_mul_f32_e64 v3, 0x2f800000, |v1|
	s_delay_alu instid0(VALU_DEP_1) | instskip(NEXT) | instid1(VALU_DEP_1)
	v_floor_f32_e32 v3, v3
	v_fma_f32 v3, 0xcf800000, v3, |v1|
	v_ashrrev_i32_e32 v1, 31, v1
	s_delay_alu instid0(VALU_DEP_2) | instskip(NEXT) | instid1(VALU_DEP_1)
	v_cvt_u32_f32_e32 v3, v3
	v_xor_b32_e32 v3, v3, v1
	s_delay_alu instid0(VALU_DEP_1)
	v_sub_nc_u32_e32 v10, v3, v1
	s_branch .LBB102_2659
.LBB102_2649:
	s_mov_b32 s15, -1
	s_mov_b32 s21, 0
                                        ; implicit-def: $vgpr10
	s_branch .LBB102_2721
.LBB102_2650:
	s_mov_b32 s22, -1
	s_mov_b32 s21, 0
	s_mov_b32 s15, 0
                                        ; implicit-def: $vgpr10
	s_branch .LBB102_2686
.LBB102_2651:
	s_mov_b32 s22, -1
	s_mov_b32 s21, 0
	s_mov_b32 s15, 0
                                        ; implicit-def: $vgpr10
	s_branch .LBB102_2669
.LBB102_2652:
	s_mov_b32 s22, -1
	s_mov_b32 s21, 0
	s_mov_b32 s15, 0
                                        ; implicit-def: $vgpr10
	s_branch .LBB102_2664
.LBB102_2653:
	s_or_b32 s16, s16, exec_lo
	s_trap 2
	s_cbranch_execz .LBB102_2590
	s_branch .LBB102_2591
.LBB102_2654:
	s_mov_b32 s22, -1
	s_mov_b32 s21, 0
	s_mov_b32 s15, 0
	s_branch .LBB102_2658
.LBB102_2655:
	s_and_not1_saveexec_b32 s39, s39
	s_cbranch_execz .LBB102_1428
.LBB102_2656:
	v_add_f32_e32 v2, 0x46000000, v3
	s_and_not1_b32 s38, s38, exec_lo
	s_delay_alu instid0(VALU_DEP_1) | instskip(NEXT) | instid1(VALU_DEP_1)
	v_and_b32_e32 v2, 0xff, v2
	v_cmp_ne_u32_e32 vcc_lo, 0, v2
	s_and_b32 s40, vcc_lo, exec_lo
	s_delay_alu instid0(SALU_CYCLE_1)
	s_or_b32 s38, s38, s40
	s_or_b32 exec_lo, exec_lo, s39
	v_mov_b32_e32 v5, 0
	s_and_saveexec_b32 s39, s38
	s_cbranch_execnz .LBB102_1429
	s_branch .LBB102_1430
.LBB102_2657:
	s_mov_b32 s15, -1
	s_mov_b32 s21, 0
.LBB102_2658:
                                        ; implicit-def: $vgpr10
.LBB102_2659:
	s_and_b32 vcc_lo, exec_lo, s22
	s_cbranch_vccz .LBB102_2663
; %bb.2660:
	s_cmp_eq_u32 s0, 44
	s_cbranch_scc0 .LBB102_2662
; %bb.2661:
	s_wait_loadcnt 0x0
	global_load_u8 v1, v[18:19], off
	s_mov_b32 s15, 0
	s_mov_b32 s21, -1
	s_wait_loadcnt 0x0
	v_lshlrev_b32_e32 v3, 23, v1
	v_cmp_ne_u32_e32 vcc_lo, 0, v1
	s_delay_alu instid0(VALU_DEP_2) | instskip(NEXT) | instid1(VALU_DEP_1)
	v_trunc_f32_e32 v3, v3
	v_mul_f32_e64 v5, 0x2f800000, |v3|
	s_delay_alu instid0(VALU_DEP_1) | instskip(NEXT) | instid1(VALU_DEP_1)
	v_floor_f32_e32 v5, v5
	v_fma_f32 v5, 0xcf800000, v5, |v3|
	v_ashrrev_i32_e32 v3, 31, v3
	s_delay_alu instid0(VALU_DEP_2) | instskip(NEXT) | instid1(VALU_DEP_1)
	v_cvt_u32_f32_e32 v5, v5
	v_xor_b32_e32 v5, v5, v3
	s_delay_alu instid0(VALU_DEP_1) | instskip(NEXT) | instid1(VALU_DEP_1)
	v_sub_nc_u32_e32 v3, v5, v3
	v_cndmask_b32_e32 v10, 0, v3, vcc_lo
	s_branch .LBB102_2663
.LBB102_2662:
	s_mov_b32 s15, -1
                                        ; implicit-def: $vgpr10
.LBB102_2663:
	s_mov_b32 s22, 0
.LBB102_2664:
	s_delay_alu instid0(SALU_CYCLE_1)
	s_and_b32 vcc_lo, exec_lo, s22
	s_cbranch_vccz .LBB102_2668
; %bb.2665:
	s_cmp_eq_u32 s0, 29
	s_cbranch_scc0 .LBB102_2667
; %bb.2666:
	global_load_b64 v[10:11], v[18:19], off
	s_mov_b32 s15, 0
	s_mov_b32 s21, -1
	s_branch .LBB102_2668
.LBB102_2667:
	s_mov_b32 s15, -1
                                        ; implicit-def: $vgpr10
.LBB102_2668:
	s_mov_b32 s22, 0
.LBB102_2669:
	s_delay_alu instid0(SALU_CYCLE_1)
	s_and_b32 vcc_lo, exec_lo, s22
	s_cbranch_vccz .LBB102_2685
; %bb.2670:
	s_cmp_lt_i32 s0, 27
	s_cbranch_scc1 .LBB102_2673
; %bb.2671:
	s_cmp_gt_i32 s0, 27
	s_cbranch_scc0 .LBB102_2674
; %bb.2672:
	s_wait_loadcnt 0x0
	global_load_b32 v10, v[18:19], off
	s_mov_b32 s21, 0
	s_branch .LBB102_2675
.LBB102_2673:
	s_mov_b32 s21, -1
                                        ; implicit-def: $vgpr10
	s_branch .LBB102_2678
.LBB102_2674:
	s_mov_b32 s21, -1
                                        ; implicit-def: $vgpr10
.LBB102_2675:
	s_delay_alu instid0(SALU_CYCLE_1)
	s_and_not1_b32 vcc_lo, exec_lo, s21
	s_cbranch_vccnz .LBB102_2677
; %bb.2676:
	s_wait_loadcnt 0x0
	global_load_u16 v10, v[18:19], off
.LBB102_2677:
	s_mov_b32 s21, 0
.LBB102_2678:
	s_delay_alu instid0(SALU_CYCLE_1)
	s_and_not1_b32 vcc_lo, exec_lo, s21
	s_cbranch_vccnz .LBB102_2684
; %bb.2679:
	s_wait_loadcnt 0x0
	global_load_u8 v1, v[18:19], off
	s_mov_b32 s22, 0
	s_mov_b32 s21, exec_lo
	s_wait_loadcnt 0x0
	v_cmpx_lt_i16_e32 0x7f, v1
	s_xor_b32 s21, exec_lo, s21
	s_cbranch_execz .LBB102_2696
; %bb.2680:
	v_cmp_ne_u16_e32 vcc_lo, 0x80, v1
	s_and_b32 s22, vcc_lo, exec_lo
	s_and_not1_saveexec_b32 s21, s21
	s_cbranch_execnz .LBB102_2697
.LBB102_2681:
	s_or_b32 exec_lo, exec_lo, s21
	v_mov_b32_e32 v10, 0
	s_and_saveexec_b32 s21, s22
	s_cbranch_execz .LBB102_2683
.LBB102_2682:
	v_and_b32_e32 v3, 0xffff, v1
	s_delay_alu instid0(VALU_DEP_1) | instskip(SKIP_1) | instid1(VALU_DEP_2)
	v_dual_lshlrev_b32 v1, 24, v1 :: v_dual_bitop2_b32 v5, 7, v3 bitop3:0x40
	v_bfe_u32 v10, v3, 3, 4
	v_and_b32_e32 v1, 0x80000000, v1
	s_delay_alu instid0(VALU_DEP_3) | instskip(NEXT) | instid1(VALU_DEP_3)
	v_clz_i32_u32_e32 v7, v5
	v_cmp_eq_u32_e32 vcc_lo, 0, v10
	s_delay_alu instid0(VALU_DEP_2) | instskip(NEXT) | instid1(VALU_DEP_1)
	v_min_u32_e32 v7, 32, v7
	v_subrev_nc_u32_e32 v9, 28, v7
	v_sub_nc_u32_e32 v7, 29, v7
	s_delay_alu instid0(VALU_DEP_2) | instskip(NEXT) | instid1(VALU_DEP_2)
	v_lshlrev_b32_e32 v3, v9, v3
	v_cndmask_b32_e32 v7, v10, v7, vcc_lo
	s_delay_alu instid0(VALU_DEP_2) | instskip(NEXT) | instid1(VALU_DEP_1)
	v_and_b32_e32 v3, 7, v3
	v_cndmask_b32_e32 v3, v5, v3, vcc_lo
	s_delay_alu instid0(VALU_DEP_3) | instskip(NEXT) | instid1(VALU_DEP_2)
	v_lshl_add_u32 v5, v7, 23, 0x3b800000
	v_lshlrev_b32_e32 v3, 20, v3
	s_delay_alu instid0(VALU_DEP_1) | instskip(NEXT) | instid1(VALU_DEP_1)
	v_or3_b32 v1, v1, v5, v3
	v_trunc_f32_e32 v1, v1
	s_delay_alu instid0(VALU_DEP_1) | instskip(NEXT) | instid1(VALU_DEP_1)
	v_mul_f32_e64 v3, 0x2f800000, |v1|
	v_floor_f32_e32 v3, v3
	s_delay_alu instid0(VALU_DEP_1) | instskip(SKIP_1) | instid1(VALU_DEP_2)
	v_fma_f32 v3, 0xcf800000, v3, |v1|
	v_ashrrev_i32_e32 v1, 31, v1
	v_cvt_u32_f32_e32 v3, v3
	s_delay_alu instid0(VALU_DEP_1) | instskip(NEXT) | instid1(VALU_DEP_1)
	v_xor_b32_e32 v3, v3, v1
	v_sub_nc_u32_e32 v10, v3, v1
.LBB102_2683:
	s_or_b32 exec_lo, exec_lo, s21
.LBB102_2684:
	s_mov_b32 s21, -1
.LBB102_2685:
	s_mov_b32 s22, 0
.LBB102_2686:
	s_delay_alu instid0(SALU_CYCLE_1)
	s_and_b32 vcc_lo, exec_lo, s22
	s_cbranch_vccz .LBB102_2717
; %bb.2687:
	s_cmp_gt_i32 s0, 22
	s_cbranch_scc0 .LBB102_2695
; %bb.2688:
	s_cmp_lt_i32 s0, 24
	s_cbranch_scc1 .LBB102_2698
; %bb.2689:
	s_cmp_gt_i32 s0, 24
	s_cbranch_scc0 .LBB102_2699
; %bb.2690:
	s_wait_loadcnt 0x0
	global_load_u8 v1, v[18:19], off
	s_mov_b32 s21, 0
	s_mov_b32 s20, exec_lo
	s_wait_loadcnt 0x0
	v_cmpx_lt_i16_e32 0x7f, v1
	s_xor_b32 s20, exec_lo, s20
	s_cbranch_execz .LBB102_2711
; %bb.2691:
	v_cmp_ne_u16_e32 vcc_lo, 0x80, v1
	s_and_b32 s21, vcc_lo, exec_lo
	s_and_not1_saveexec_b32 s20, s20
	s_cbranch_execnz .LBB102_2712
.LBB102_2692:
	s_or_b32 exec_lo, exec_lo, s20
	v_mov_b32_e32 v10, 0
	s_and_saveexec_b32 s20, s21
	s_cbranch_execz .LBB102_2694
.LBB102_2693:
	v_and_b32_e32 v3, 0xffff, v1
	s_delay_alu instid0(VALU_DEP_1) | instskip(SKIP_1) | instid1(VALU_DEP_2)
	v_dual_lshlrev_b32 v1, 24, v1 :: v_dual_bitop2_b32 v5, 3, v3 bitop3:0x40
	v_bfe_u32 v10, v3, 2, 5
	v_and_b32_e32 v1, 0x80000000, v1
	s_delay_alu instid0(VALU_DEP_3) | instskip(NEXT) | instid1(VALU_DEP_3)
	v_clz_i32_u32_e32 v7, v5
	v_cmp_eq_u32_e32 vcc_lo, 0, v10
	s_delay_alu instid0(VALU_DEP_2) | instskip(NEXT) | instid1(VALU_DEP_1)
	v_min_u32_e32 v7, 32, v7
	v_subrev_nc_u32_e32 v9, 29, v7
	v_sub_nc_u32_e32 v7, 30, v7
	s_delay_alu instid0(VALU_DEP_2) | instskip(NEXT) | instid1(VALU_DEP_2)
	v_lshlrev_b32_e32 v3, v9, v3
	v_cndmask_b32_e32 v7, v10, v7, vcc_lo
	s_delay_alu instid0(VALU_DEP_2) | instskip(NEXT) | instid1(VALU_DEP_1)
	v_and_b32_e32 v3, 3, v3
	v_cndmask_b32_e32 v3, v5, v3, vcc_lo
	s_delay_alu instid0(VALU_DEP_3) | instskip(NEXT) | instid1(VALU_DEP_2)
	v_lshl_add_u32 v5, v7, 23, 0x37800000
	v_lshlrev_b32_e32 v3, 21, v3
	s_delay_alu instid0(VALU_DEP_1) | instskip(NEXT) | instid1(VALU_DEP_1)
	v_or3_b32 v1, v1, v5, v3
	v_trunc_f32_e32 v1, v1
	s_delay_alu instid0(VALU_DEP_1) | instskip(NEXT) | instid1(VALU_DEP_1)
	v_mul_f32_e64 v3, 0x2f800000, |v1|
	v_floor_f32_e32 v3, v3
	s_delay_alu instid0(VALU_DEP_1) | instskip(SKIP_1) | instid1(VALU_DEP_2)
	v_fma_f32 v3, 0xcf800000, v3, |v1|
	v_ashrrev_i32_e32 v1, 31, v1
	v_cvt_u32_f32_e32 v3, v3
	s_delay_alu instid0(VALU_DEP_1) | instskip(NEXT) | instid1(VALU_DEP_1)
	v_xor_b32_e32 v3, v3, v1
	v_sub_nc_u32_e32 v10, v3, v1
.LBB102_2694:
	s_or_b32 exec_lo, exec_lo, s20
	s_mov_b32 s20, 0
	s_branch .LBB102_2700
.LBB102_2695:
	s_mov_b32 s20, -1
                                        ; implicit-def: $vgpr10
	s_branch .LBB102_2706
.LBB102_2696:
	s_and_not1_saveexec_b32 s21, s21
	s_cbranch_execz .LBB102_2681
.LBB102_2697:
	v_cmp_ne_u16_e32 vcc_lo, 0, v1
	s_and_not1_b32 s22, s22, exec_lo
	s_and_b32 s23, vcc_lo, exec_lo
	s_delay_alu instid0(SALU_CYCLE_1)
	s_or_b32 s22, s22, s23
	s_or_b32 exec_lo, exec_lo, s21
	v_mov_b32_e32 v10, 0
	s_and_saveexec_b32 s21, s22
	s_cbranch_execnz .LBB102_2682
	s_branch .LBB102_2683
.LBB102_2698:
	s_mov_b32 s20, -1
                                        ; implicit-def: $vgpr10
	s_branch .LBB102_2703
.LBB102_2699:
	s_mov_b32 s20, -1
                                        ; implicit-def: $vgpr10
.LBB102_2700:
	s_delay_alu instid0(SALU_CYCLE_1)
	s_and_b32 vcc_lo, exec_lo, s20
	s_cbranch_vccz .LBB102_2702
; %bb.2701:
	s_wait_loadcnt 0x0
	global_load_u8 v1, v[18:19], off
	s_wait_loadcnt 0x0
	v_lshlrev_b32_e32 v1, 24, v1
	s_delay_alu instid0(VALU_DEP_1) | instskip(NEXT) | instid1(VALU_DEP_1)
	v_and_b32_e32 v3, 0x7f000000, v1
	v_clz_i32_u32_e32 v5, v3
	v_add_nc_u32_e32 v9, 0x1000000, v3
	v_cmp_ne_u32_e32 vcc_lo, 0, v3
	s_delay_alu instid0(VALU_DEP_3) | instskip(NEXT) | instid1(VALU_DEP_1)
	v_min_u32_e32 v5, 32, v5
	v_sub_nc_u32_e64 v5, v5, 4 clamp
	s_delay_alu instid0(VALU_DEP_1) | instskip(NEXT) | instid1(VALU_DEP_1)
	v_dual_lshlrev_b32 v7, v5, v3 :: v_dual_lshlrev_b32 v5, 23, v5
	v_lshrrev_b32_e32 v7, 4, v7
	s_delay_alu instid0(VALU_DEP_1) | instskip(SKIP_1) | instid1(VALU_DEP_2)
	v_sub_nc_u32_e32 v5, v7, v5
	v_ashrrev_i32_e32 v7, 8, v9
	v_add_nc_u32_e32 v5, 0x3c000000, v5
	s_delay_alu instid0(VALU_DEP_1) | instskip(NEXT) | instid1(VALU_DEP_1)
	v_and_or_b32 v5, 0x7f800000, v7, v5
	v_cndmask_b32_e32 v3, 0, v5, vcc_lo
	s_delay_alu instid0(VALU_DEP_1) | instskip(NEXT) | instid1(VALU_DEP_1)
	v_and_or_b32 v1, 0x80000000, v1, v3
	v_trunc_f32_e32 v1, v1
	s_delay_alu instid0(VALU_DEP_1) | instskip(NEXT) | instid1(VALU_DEP_1)
	v_mul_f32_e64 v3, 0x2f800000, |v1|
	v_floor_f32_e32 v3, v3
	s_delay_alu instid0(VALU_DEP_1) | instskip(SKIP_1) | instid1(VALU_DEP_2)
	v_fma_f32 v3, 0xcf800000, v3, |v1|
	v_ashrrev_i32_e32 v1, 31, v1
	v_cvt_u32_f32_e32 v3, v3
	s_delay_alu instid0(VALU_DEP_1) | instskip(NEXT) | instid1(VALU_DEP_1)
	v_xor_b32_e32 v3, v3, v1
	v_sub_nc_u32_e32 v10, v3, v1
.LBB102_2702:
	s_mov_b32 s20, 0
.LBB102_2703:
	s_delay_alu instid0(SALU_CYCLE_1)
	s_and_not1_b32 vcc_lo, exec_lo, s20
	s_cbranch_vccnz .LBB102_2705
; %bb.2704:
	s_wait_loadcnt 0x0
	global_load_u8 v1, v[18:19], off
	s_wait_loadcnt 0x0
	v_lshlrev_b32_e32 v3, 25, v1
	v_lshlrev_b16 v1, 8, v1
	s_delay_alu instid0(VALU_DEP_1) | instskip(SKIP_1) | instid1(VALU_DEP_2)
	v_and_or_b32 v7, 0x7f00, v1, 0.5
	v_bfe_i32 v1, v1, 0, 16
	v_add_f32_e32 v7, -0.5, v7
	v_lshrrev_b32_e32 v5, 4, v3
	v_cmp_gt_u32_e32 vcc_lo, 0x8000000, v3
	s_delay_alu instid0(VALU_DEP_2) | instskip(NEXT) | instid1(VALU_DEP_1)
	v_or_b32_e32 v5, 0x70000000, v5
	v_mul_f32_e32 v5, 0x7800000, v5
	s_delay_alu instid0(VALU_DEP_1) | instskip(NEXT) | instid1(VALU_DEP_1)
	v_cndmask_b32_e32 v3, v5, v7, vcc_lo
	v_and_or_b32 v1, 0x80000000, v1, v3
	s_delay_alu instid0(VALU_DEP_1) | instskip(NEXT) | instid1(VALU_DEP_1)
	v_trunc_f32_e32 v1, v1
	v_mul_f32_e64 v3, 0x2f800000, |v1|
	s_delay_alu instid0(VALU_DEP_1) | instskip(NEXT) | instid1(VALU_DEP_1)
	v_floor_f32_e32 v3, v3
	v_fma_f32 v3, 0xcf800000, v3, |v1|
	v_ashrrev_i32_e32 v1, 31, v1
	s_delay_alu instid0(VALU_DEP_2) | instskip(NEXT) | instid1(VALU_DEP_1)
	v_cvt_u32_f32_e32 v3, v3
	v_xor_b32_e32 v3, v3, v1
	s_delay_alu instid0(VALU_DEP_1)
	v_sub_nc_u32_e32 v10, v3, v1
.LBB102_2705:
	s_mov_b32 s20, 0
	s_mov_b32 s21, -1
.LBB102_2706:
	s_and_not1_b32 vcc_lo, exec_lo, s20
	s_mov_b32 s20, 0
	s_cbranch_vccnz .LBB102_2717
; %bb.2707:
	s_cmp_gt_i32 s0, 14
	s_cbranch_scc0 .LBB102_2710
; %bb.2708:
	s_cmp_eq_u32 s0, 15
	s_cbranch_scc0 .LBB102_2713
; %bb.2709:
	s_wait_loadcnt 0x0
	global_load_u16 v1, v[18:19], off
	s_mov_b32 s15, 0
	s_mov_b32 s21, -1
	s_wait_loadcnt 0x0
	v_lshlrev_b32_e32 v1, 16, v1
	s_delay_alu instid0(VALU_DEP_1) | instskip(NEXT) | instid1(VALU_DEP_1)
	v_trunc_f32_e32 v1, v1
	v_mul_f32_e64 v3, 0x2f800000, |v1|
	s_delay_alu instid0(VALU_DEP_1) | instskip(NEXT) | instid1(VALU_DEP_1)
	v_floor_f32_e32 v3, v3
	v_fma_f32 v3, 0xcf800000, v3, |v1|
	v_ashrrev_i32_e32 v1, 31, v1
	s_delay_alu instid0(VALU_DEP_2) | instskip(NEXT) | instid1(VALU_DEP_1)
	v_cvt_u32_f32_e32 v3, v3
	v_xor_b32_e32 v3, v3, v1
	s_delay_alu instid0(VALU_DEP_1)
	v_sub_nc_u32_e32 v10, v3, v1
	s_branch .LBB102_2715
.LBB102_2710:
	s_mov_b32 s20, -1
	s_branch .LBB102_2714
.LBB102_2711:
	s_and_not1_saveexec_b32 s20, s20
	s_cbranch_execz .LBB102_2692
.LBB102_2712:
	v_cmp_ne_u16_e32 vcc_lo, 0, v1
	s_and_not1_b32 s21, s21, exec_lo
	s_and_b32 s22, vcc_lo, exec_lo
	s_delay_alu instid0(SALU_CYCLE_1)
	s_or_b32 s21, s21, s22
	s_or_b32 exec_lo, exec_lo, s20
	v_mov_b32_e32 v10, 0
	s_and_saveexec_b32 s20, s21
	s_cbranch_execnz .LBB102_2693
	s_branch .LBB102_2694
.LBB102_2713:
	s_mov_b32 s15, -1
.LBB102_2714:
                                        ; implicit-def: $vgpr10
.LBB102_2715:
	s_and_b32 vcc_lo, exec_lo, s20
	s_mov_b32 s20, 0
	s_cbranch_vccz .LBB102_2717
; %bb.2716:
	s_cmp_lg_u32 s0, 11
	s_mov_b32 s20, -1
	s_cselect_b32 s15, -1, 0
.LBB102_2717:
	s_delay_alu instid0(SALU_CYCLE_1)
	s_and_b32 vcc_lo, exec_lo, s15
	s_cbranch_vccnz .LBB102_2782
; %bb.2718:
	s_and_not1_b32 vcc_lo, exec_lo, s20
	s_cbranch_vccnz .LBB102_2720
.LBB102_2719:
	s_wait_loadcnt 0x0
	global_load_u8 v1, v[18:19], off
	s_mov_b32 s21, -1
	s_wait_loadcnt 0x0
	v_cmp_ne_u16_e32 vcc_lo, 0, v1
	v_cndmask_b32_e64 v10, 0, 1, vcc_lo
.LBB102_2720:
	s_mov_b32 s15, 0
.LBB102_2721:
	s_delay_alu instid0(SALU_CYCLE_1)
	s_and_b32 vcc_lo, exec_lo, s15
	s_cbranch_vccz .LBB102_2770
; %bb.2722:
	s_cmp_lt_i32 s0, 5
	s_cbranch_scc1 .LBB102_2727
; %bb.2723:
	s_cmp_lt_i32 s0, 8
	s_cbranch_scc1 .LBB102_2728
	;; [unrolled: 3-line block ×3, first 2 shown]
; %bb.2725:
	s_cmp_gt_i32 s0, 9
	s_cbranch_scc0 .LBB102_2730
; %bb.2726:
	s_wait_loadcnt 0x0
	global_load_b64 v[10:11], v[18:19], off
	s_mov_b32 s15, 0
	s_wait_loadcnt 0x0
	v_trunc_f64_e32 v[10:11], v[10:11]
	s_delay_alu instid0(VALU_DEP_1) | instskip(NEXT) | instid1(VALU_DEP_1)
	v_ldexp_f64 v[20:21], v[10:11], 0xffffffe0
	v_floor_f64_e32 v[20:21], v[20:21]
	s_delay_alu instid0(VALU_DEP_1) | instskip(NEXT) | instid1(VALU_DEP_1)
	v_fmamk_f64 v[10:11], v[20:21], 0xc1f00000, v[10:11]
	v_cvt_u32_f64_e32 v10, v[10:11]
	s_branch .LBB102_2731
.LBB102_2727:
	s_mov_b32 s15, -1
                                        ; implicit-def: $vgpr10
	s_branch .LBB102_2749
.LBB102_2728:
	s_mov_b32 s15, -1
                                        ; implicit-def: $vgpr10
	s_branch .LBB102_2737
.LBB102_2729:
	s_mov_b32 s15, -1
                                        ; implicit-def: $vgpr10
	s_branch .LBB102_2734
.LBB102_2730:
	s_mov_b32 s15, -1
                                        ; implicit-def: $vgpr10
.LBB102_2731:
	s_delay_alu instid0(SALU_CYCLE_1)
	s_and_not1_b32 vcc_lo, exec_lo, s15
	s_cbranch_vccnz .LBB102_2733
; %bb.2732:
	s_wait_loadcnt 0x0
	global_load_b32 v1, v[18:19], off
	s_wait_loadcnt 0x0
	v_trunc_f32_e32 v1, v1
	s_delay_alu instid0(VALU_DEP_1) | instskip(NEXT) | instid1(VALU_DEP_1)
	v_mul_f32_e64 v3, 0x2f800000, |v1|
	v_floor_f32_e32 v3, v3
	s_delay_alu instid0(VALU_DEP_1) | instskip(SKIP_1) | instid1(VALU_DEP_2)
	v_fma_f32 v3, 0xcf800000, v3, |v1|
	v_ashrrev_i32_e32 v1, 31, v1
	v_cvt_u32_f32_e32 v3, v3
	s_delay_alu instid0(VALU_DEP_1) | instskip(NEXT) | instid1(VALU_DEP_1)
	v_xor_b32_e32 v3, v3, v1
	v_sub_nc_u32_e32 v10, v3, v1
.LBB102_2733:
	s_mov_b32 s15, 0
.LBB102_2734:
	s_delay_alu instid0(SALU_CYCLE_1)
	s_and_not1_b32 vcc_lo, exec_lo, s15
	s_cbranch_vccnz .LBB102_2736
; %bb.2735:
	s_wait_loadcnt 0x0
	global_load_b32 v1, v[18:19], off
	s_wait_loadcnt 0x0
	v_cvt_f32_f16_e32 v1, v1
	s_delay_alu instid0(VALU_DEP_1)
	v_cvt_i32_f32_e32 v10, v1
.LBB102_2736:
	s_mov_b32 s15, 0
.LBB102_2737:
	s_delay_alu instid0(SALU_CYCLE_1)
	s_and_not1_b32 vcc_lo, exec_lo, s15
	s_cbranch_vccnz .LBB102_2748
; %bb.2738:
	s_cmp_lt_i32 s0, 6
	s_cbranch_scc1 .LBB102_2741
; %bb.2739:
	s_cmp_gt_i32 s0, 6
	s_cbranch_scc0 .LBB102_2742
; %bb.2740:
	s_wait_loadcnt 0x0
	global_load_b64 v[10:11], v[18:19], off
	s_mov_b32 s15, 0
	s_wait_loadcnt 0x0
	v_trunc_f64_e32 v[10:11], v[10:11]
	s_delay_alu instid0(VALU_DEP_1) | instskip(NEXT) | instid1(VALU_DEP_1)
	v_ldexp_f64 v[20:21], v[10:11], 0xffffffe0
	v_floor_f64_e32 v[20:21], v[20:21]
	s_delay_alu instid0(VALU_DEP_1) | instskip(NEXT) | instid1(VALU_DEP_1)
	v_fmamk_f64 v[10:11], v[20:21], 0xc1f00000, v[10:11]
	v_cvt_u32_f64_e32 v10, v[10:11]
	s_branch .LBB102_2743
.LBB102_2741:
	s_mov_b32 s15, -1
                                        ; implicit-def: $vgpr10
	s_branch .LBB102_2746
.LBB102_2742:
	s_mov_b32 s15, -1
                                        ; implicit-def: $vgpr10
.LBB102_2743:
	s_delay_alu instid0(SALU_CYCLE_1)
	s_and_not1_b32 vcc_lo, exec_lo, s15
	s_cbranch_vccnz .LBB102_2745
; %bb.2744:
	s_wait_loadcnt 0x0
	global_load_b32 v1, v[18:19], off
	s_wait_loadcnt 0x0
	v_trunc_f32_e32 v1, v1
	s_delay_alu instid0(VALU_DEP_1) | instskip(NEXT) | instid1(VALU_DEP_1)
	v_mul_f32_e64 v3, 0x2f800000, |v1|
	v_floor_f32_e32 v3, v3
	s_delay_alu instid0(VALU_DEP_1) | instskip(SKIP_1) | instid1(VALU_DEP_2)
	v_fma_f32 v3, 0xcf800000, v3, |v1|
	v_ashrrev_i32_e32 v1, 31, v1
	v_cvt_u32_f32_e32 v3, v3
	s_delay_alu instid0(VALU_DEP_1) | instskip(NEXT) | instid1(VALU_DEP_1)
	v_xor_b32_e32 v3, v3, v1
	v_sub_nc_u32_e32 v10, v3, v1
.LBB102_2745:
	s_mov_b32 s15, 0
.LBB102_2746:
	s_delay_alu instid0(SALU_CYCLE_1)
	s_and_not1_b32 vcc_lo, exec_lo, s15
	s_cbranch_vccnz .LBB102_2748
; %bb.2747:
	s_wait_loadcnt 0x0
	global_load_u16 v1, v[18:19], off
	s_wait_loadcnt 0x0
	v_cvt_f32_f16_e32 v1, v1
	s_delay_alu instid0(VALU_DEP_1)
	v_cvt_i32_f32_e32 v10, v1
.LBB102_2748:
	s_mov_b32 s15, 0
.LBB102_2749:
	s_delay_alu instid0(SALU_CYCLE_1)
	s_and_not1_b32 vcc_lo, exec_lo, s15
	s_cbranch_vccnz .LBB102_2769
; %bb.2750:
	s_cmp_lt_i32 s0, 2
	s_cbranch_scc1 .LBB102_2754
; %bb.2751:
	s_cmp_lt_i32 s0, 3
	s_cbranch_scc1 .LBB102_2755
; %bb.2752:
	s_cmp_gt_i32 s0, 3
	s_cbranch_scc0 .LBB102_2756
; %bb.2753:
	s_wait_loadcnt 0x0
	global_load_b64 v[10:11], v[18:19], off
	s_mov_b32 s15, 0
	s_branch .LBB102_2757
.LBB102_2754:
	s_mov_b32 s15, -1
                                        ; implicit-def: $vgpr10
	s_branch .LBB102_2763
.LBB102_2755:
	s_mov_b32 s15, -1
                                        ; implicit-def: $vgpr10
	s_branch .LBB102_2760
.LBB102_2756:
	s_mov_b32 s15, -1
                                        ; implicit-def: $vgpr10
.LBB102_2757:
	s_delay_alu instid0(SALU_CYCLE_1)
	s_and_not1_b32 vcc_lo, exec_lo, s15
	s_cbranch_vccnz .LBB102_2759
; %bb.2758:
	s_wait_loadcnt 0x0
	global_load_b32 v10, v[18:19], off
.LBB102_2759:
	s_mov_b32 s15, 0
.LBB102_2760:
	s_delay_alu instid0(SALU_CYCLE_1)
	s_and_not1_b32 vcc_lo, exec_lo, s15
	s_cbranch_vccnz .LBB102_2762
; %bb.2761:
	s_wait_loadcnt 0x0
	global_load_u16 v10, v[18:19], off
.LBB102_2762:
	s_mov_b32 s15, 0
.LBB102_2763:
	s_delay_alu instid0(SALU_CYCLE_1)
	s_and_not1_b32 vcc_lo, exec_lo, s15
	s_cbranch_vccnz .LBB102_2769
; %bb.2764:
	s_cmp_gt_i32 s0, 0
	s_mov_b32 s15, 0
	s_cbranch_scc0 .LBB102_2766
; %bb.2765:
	s_wait_loadcnt 0x0
	global_load_u8 v10, v[18:19], off
	s_branch .LBB102_2767
.LBB102_2766:
	s_mov_b32 s15, -1
                                        ; implicit-def: $vgpr10
.LBB102_2767:
	s_delay_alu instid0(SALU_CYCLE_1)
	s_and_not1_b32 vcc_lo, exec_lo, s15
	s_cbranch_vccnz .LBB102_2769
; %bb.2768:
	s_wait_loadcnt 0x0
	global_load_u8 v10, v[18:19], off
.LBB102_2769:
	s_mov_b32 s21, -1
.LBB102_2770:
	s_delay_alu instid0(SALU_CYCLE_1)
	s_and_not1_b32 vcc_lo, exec_lo, s21
	s_cbranch_vccnz .LBB102_3968
; %bb.2771:
	s_wait_xcnt 0x0
	v_add_nc_u32_e32 v18, s1, v12
	s_cmp_lt_i32 s17, 11
	s_delay_alu instid0(VALU_DEP_1) | instskip(NEXT) | instid1(VALU_DEP_1)
	v_ashrrev_i32_e32 v19, 31, v18
	v_add_nc_u64_e32 v[20:21], s[6:7], v[18:19]
	s_cbranch_scc1 .LBB102_2778
; %bb.2772:
	s_and_b32 s15, 0xffff, s17
	s_mov_b32 s21, 0
	s_cmp_gt_i32 s15, 25
	s_cbranch_scc0 .LBB102_2779
; %bb.2773:
	s_cmp_gt_i32 s15, 28
	s_cbranch_scc0 .LBB102_2780
; %bb.2774:
	;; [unrolled: 3-line block ×4, first 2 shown]
	s_cmp_eq_u32 s15, 46
	s_mov_b32 s23, 0
	s_cbranch_scc0 .LBB102_2786
; %bb.2777:
	s_wait_loadcnt 0x0
	global_load_b32 v1, v[20:21], off
	s_mov_b32 s20, 0
	s_mov_b32 s22, -1
	s_wait_loadcnt 0x0
	v_lshlrev_b32_e32 v1, 16, v1
	s_delay_alu instid0(VALU_DEP_1) | instskip(NEXT) | instid1(VALU_DEP_1)
	v_trunc_f32_e32 v1, v1
	v_mul_f32_e64 v3, 0x2f800000, |v1|
	s_delay_alu instid0(VALU_DEP_1) | instskip(NEXT) | instid1(VALU_DEP_1)
	v_floor_f32_e32 v3, v3
	v_fma_f32 v3, 0xcf800000, v3, |v1|
	v_ashrrev_i32_e32 v1, 31, v1
	s_delay_alu instid0(VALU_DEP_2) | instskip(NEXT) | instid1(VALU_DEP_1)
	v_cvt_u32_f32_e32 v3, v3
	v_xor_b32_e32 v3, v3, v1
	s_delay_alu instid0(VALU_DEP_1)
	v_sub_nc_u32_e32 v12, v3, v1
	s_branch .LBB102_2788
.LBB102_2778:
	s_mov_b32 s15, -1
	s_mov_b32 s22, 0
                                        ; implicit-def: $vgpr12
	s_branch .LBB102_2850
.LBB102_2779:
	s_mov_b32 s23, -1
	s_mov_b32 s22, 0
	s_mov_b32 s20, 0
                                        ; implicit-def: $vgpr12
	s_branch .LBB102_2815
.LBB102_2780:
	s_mov_b32 s23, -1
	s_mov_b32 s22, 0
	s_mov_b32 s20, 0
                                        ; implicit-def: $vgpr12
	s_branch .LBB102_2798
.LBB102_2781:
	s_mov_b32 s23, -1
	s_mov_b32 s22, 0
	s_mov_b32 s20, 0
                                        ; implicit-def: $vgpr12
	s_branch .LBB102_2793
.LBB102_2782:
	s_or_b32 s16, s16, exec_lo
	s_trap 2
	s_cbranch_execz .LBB102_2719
	s_branch .LBB102_2720
.LBB102_2783:
	s_mov_b32 s23, -1
	s_mov_b32 s22, 0
	s_mov_b32 s20, 0
	s_branch .LBB102_2787
.LBB102_2784:
	s_and_not1_saveexec_b32 s39, s39
	s_cbranch_execz .LBB102_1441
.LBB102_2785:
	v_add_f32_e32 v2, 0x42800000, v3
	s_and_not1_b32 s38, s38, exec_lo
	s_delay_alu instid0(VALU_DEP_1) | instskip(NEXT) | instid1(VALU_DEP_1)
	v_and_b32_e32 v2, 0xff, v2
	v_cmp_ne_u32_e32 vcc_lo, 0, v2
	s_and_b32 s40, vcc_lo, exec_lo
	s_delay_alu instid0(SALU_CYCLE_1)
	s_or_b32 s38, s38, s40
	s_or_b32 exec_lo, exec_lo, s39
	v_mov_b32_e32 v5, 0
	s_and_saveexec_b32 s39, s38
	s_cbranch_execnz .LBB102_1442
	s_branch .LBB102_1443
.LBB102_2786:
	s_mov_b32 s20, -1
	s_mov_b32 s22, 0
.LBB102_2787:
                                        ; implicit-def: $vgpr12
.LBB102_2788:
	s_and_b32 vcc_lo, exec_lo, s23
	s_cbranch_vccz .LBB102_2792
; %bb.2789:
	s_cmp_eq_u32 s15, 44
	s_cbranch_scc0 .LBB102_2791
; %bb.2790:
	s_wait_loadcnt 0x0
	global_load_u8 v1, v[20:21], off
	s_mov_b32 s20, 0
	s_mov_b32 s22, -1
	s_wait_loadcnt 0x0
	v_lshlrev_b32_e32 v3, 23, v1
	v_cmp_ne_u32_e32 vcc_lo, 0, v1
	s_delay_alu instid0(VALU_DEP_2) | instskip(NEXT) | instid1(VALU_DEP_1)
	v_trunc_f32_e32 v3, v3
	v_mul_f32_e64 v5, 0x2f800000, |v3|
	s_delay_alu instid0(VALU_DEP_1) | instskip(NEXT) | instid1(VALU_DEP_1)
	v_floor_f32_e32 v5, v5
	v_fma_f32 v5, 0xcf800000, v5, |v3|
	v_ashrrev_i32_e32 v3, 31, v3
	s_delay_alu instid0(VALU_DEP_2) | instskip(NEXT) | instid1(VALU_DEP_1)
	v_cvt_u32_f32_e32 v5, v5
	v_xor_b32_e32 v5, v5, v3
	s_delay_alu instid0(VALU_DEP_1) | instskip(NEXT) | instid1(VALU_DEP_1)
	v_sub_nc_u32_e32 v3, v5, v3
	v_cndmask_b32_e32 v12, 0, v3, vcc_lo
	s_branch .LBB102_2792
.LBB102_2791:
	s_mov_b32 s20, -1
                                        ; implicit-def: $vgpr12
.LBB102_2792:
	s_mov_b32 s23, 0
.LBB102_2793:
	s_delay_alu instid0(SALU_CYCLE_1)
	s_and_b32 vcc_lo, exec_lo, s23
	s_cbranch_vccz .LBB102_2797
; %bb.2794:
	s_cmp_eq_u32 s15, 29
	s_cbranch_scc0 .LBB102_2796
; %bb.2795:
	global_load_b64 v[12:13], v[20:21], off
	s_mov_b32 s20, 0
	s_mov_b32 s22, -1
	s_branch .LBB102_2797
.LBB102_2796:
	s_mov_b32 s20, -1
                                        ; implicit-def: $vgpr12
.LBB102_2797:
	s_mov_b32 s23, 0
.LBB102_2798:
	s_delay_alu instid0(SALU_CYCLE_1)
	s_and_b32 vcc_lo, exec_lo, s23
	s_cbranch_vccz .LBB102_2814
; %bb.2799:
	s_cmp_lt_i32 s15, 27
	s_cbranch_scc1 .LBB102_2802
; %bb.2800:
	s_cmp_gt_i32 s15, 27
	s_cbranch_scc0 .LBB102_2803
; %bb.2801:
	s_wait_loadcnt 0x0
	global_load_b32 v12, v[20:21], off
	s_mov_b32 s22, 0
	s_branch .LBB102_2804
.LBB102_2802:
	s_mov_b32 s22, -1
                                        ; implicit-def: $vgpr12
	s_branch .LBB102_2807
.LBB102_2803:
	s_mov_b32 s22, -1
                                        ; implicit-def: $vgpr12
.LBB102_2804:
	s_delay_alu instid0(SALU_CYCLE_1)
	s_and_not1_b32 vcc_lo, exec_lo, s22
	s_cbranch_vccnz .LBB102_2806
; %bb.2805:
	s_wait_loadcnt 0x0
	global_load_u16 v12, v[20:21], off
.LBB102_2806:
	s_mov_b32 s22, 0
.LBB102_2807:
	s_delay_alu instid0(SALU_CYCLE_1)
	s_and_not1_b32 vcc_lo, exec_lo, s22
	s_cbranch_vccnz .LBB102_2813
; %bb.2808:
	s_wait_loadcnt 0x0
	global_load_u8 v1, v[20:21], off
	s_mov_b32 s23, 0
	s_mov_b32 s22, exec_lo
	s_wait_loadcnt 0x0
	v_cmpx_lt_i16_e32 0x7f, v1
	s_xor_b32 s22, exec_lo, s22
	s_cbranch_execz .LBB102_2825
; %bb.2809:
	v_cmp_ne_u16_e32 vcc_lo, 0x80, v1
	s_and_b32 s23, vcc_lo, exec_lo
	s_and_not1_saveexec_b32 s22, s22
	s_cbranch_execnz .LBB102_2826
.LBB102_2810:
	s_or_b32 exec_lo, exec_lo, s22
	v_mov_b32_e32 v12, 0
	s_and_saveexec_b32 s22, s23
	s_cbranch_execz .LBB102_2812
.LBB102_2811:
	v_and_b32_e32 v3, 0xffff, v1
	s_delay_alu instid0(VALU_DEP_1) | instskip(SKIP_1) | instid1(VALU_DEP_2)
	v_dual_lshlrev_b32 v1, 24, v1 :: v_dual_bitop2_b32 v5, 7, v3 bitop3:0x40
	v_bfe_u32 v11, v3, 3, 4
	v_and_b32_e32 v1, 0x80000000, v1
	s_delay_alu instid0(VALU_DEP_3) | instskip(NEXT) | instid1(VALU_DEP_3)
	v_clz_i32_u32_e32 v7, v5
	v_cmp_eq_u32_e32 vcc_lo, 0, v11
	s_delay_alu instid0(VALU_DEP_2) | instskip(NEXT) | instid1(VALU_DEP_1)
	v_min_u32_e32 v7, 32, v7
	v_subrev_nc_u32_e32 v9, 28, v7
	v_sub_nc_u32_e32 v7, 29, v7
	s_delay_alu instid0(VALU_DEP_2) | instskip(NEXT) | instid1(VALU_DEP_2)
	v_lshlrev_b32_e32 v3, v9, v3
	v_cndmask_b32_e32 v7, v11, v7, vcc_lo
	s_delay_alu instid0(VALU_DEP_2) | instskip(NEXT) | instid1(VALU_DEP_1)
	v_and_b32_e32 v3, 7, v3
	v_cndmask_b32_e32 v3, v5, v3, vcc_lo
	s_delay_alu instid0(VALU_DEP_3) | instskip(NEXT) | instid1(VALU_DEP_2)
	v_lshl_add_u32 v5, v7, 23, 0x3b800000
	v_lshlrev_b32_e32 v3, 20, v3
	s_delay_alu instid0(VALU_DEP_1) | instskip(NEXT) | instid1(VALU_DEP_1)
	v_or3_b32 v1, v1, v5, v3
	v_trunc_f32_e32 v1, v1
	s_delay_alu instid0(VALU_DEP_1) | instskip(NEXT) | instid1(VALU_DEP_1)
	v_mul_f32_e64 v3, 0x2f800000, |v1|
	v_floor_f32_e32 v3, v3
	s_delay_alu instid0(VALU_DEP_1) | instskip(SKIP_1) | instid1(VALU_DEP_2)
	v_fma_f32 v3, 0xcf800000, v3, |v1|
	v_ashrrev_i32_e32 v1, 31, v1
	v_cvt_u32_f32_e32 v3, v3
	s_delay_alu instid0(VALU_DEP_1) | instskip(NEXT) | instid1(VALU_DEP_1)
	v_xor_b32_e32 v3, v3, v1
	v_sub_nc_u32_e32 v12, v3, v1
.LBB102_2812:
	s_or_b32 exec_lo, exec_lo, s22
.LBB102_2813:
	s_mov_b32 s22, -1
.LBB102_2814:
	s_mov_b32 s23, 0
.LBB102_2815:
	s_delay_alu instid0(SALU_CYCLE_1)
	s_and_b32 vcc_lo, exec_lo, s23
	s_cbranch_vccz .LBB102_2846
; %bb.2816:
	s_cmp_gt_i32 s15, 22
	s_cbranch_scc0 .LBB102_2824
; %bb.2817:
	s_cmp_lt_i32 s15, 24
	s_cbranch_scc1 .LBB102_2827
; %bb.2818:
	s_cmp_gt_i32 s15, 24
	s_cbranch_scc0 .LBB102_2828
; %bb.2819:
	s_wait_loadcnt 0x0
	global_load_u8 v1, v[20:21], off
	s_mov_b32 s22, 0
	s_mov_b32 s21, exec_lo
	s_wait_loadcnt 0x0
	v_cmpx_lt_i16_e32 0x7f, v1
	s_xor_b32 s21, exec_lo, s21
	s_cbranch_execz .LBB102_2840
; %bb.2820:
	v_cmp_ne_u16_e32 vcc_lo, 0x80, v1
	s_and_b32 s22, vcc_lo, exec_lo
	s_and_not1_saveexec_b32 s21, s21
	s_cbranch_execnz .LBB102_2841
.LBB102_2821:
	s_or_b32 exec_lo, exec_lo, s21
	v_mov_b32_e32 v12, 0
	s_and_saveexec_b32 s21, s22
	s_cbranch_execz .LBB102_2823
.LBB102_2822:
	v_and_b32_e32 v3, 0xffff, v1
	s_delay_alu instid0(VALU_DEP_1) | instskip(SKIP_1) | instid1(VALU_DEP_2)
	v_dual_lshlrev_b32 v1, 24, v1 :: v_dual_bitop2_b32 v5, 3, v3 bitop3:0x40
	v_bfe_u32 v11, v3, 2, 5
	v_and_b32_e32 v1, 0x80000000, v1
	s_delay_alu instid0(VALU_DEP_3) | instskip(NEXT) | instid1(VALU_DEP_3)
	v_clz_i32_u32_e32 v7, v5
	v_cmp_eq_u32_e32 vcc_lo, 0, v11
	s_delay_alu instid0(VALU_DEP_2) | instskip(NEXT) | instid1(VALU_DEP_1)
	v_min_u32_e32 v7, 32, v7
	v_subrev_nc_u32_e32 v9, 29, v7
	v_sub_nc_u32_e32 v7, 30, v7
	s_delay_alu instid0(VALU_DEP_2) | instskip(NEXT) | instid1(VALU_DEP_2)
	v_lshlrev_b32_e32 v3, v9, v3
	v_cndmask_b32_e32 v7, v11, v7, vcc_lo
	s_delay_alu instid0(VALU_DEP_2) | instskip(NEXT) | instid1(VALU_DEP_1)
	v_and_b32_e32 v3, 3, v3
	v_cndmask_b32_e32 v3, v5, v3, vcc_lo
	s_delay_alu instid0(VALU_DEP_3) | instskip(NEXT) | instid1(VALU_DEP_2)
	v_lshl_add_u32 v5, v7, 23, 0x37800000
	v_lshlrev_b32_e32 v3, 21, v3
	s_delay_alu instid0(VALU_DEP_1) | instskip(NEXT) | instid1(VALU_DEP_1)
	v_or3_b32 v1, v1, v5, v3
	v_trunc_f32_e32 v1, v1
	s_delay_alu instid0(VALU_DEP_1) | instskip(NEXT) | instid1(VALU_DEP_1)
	v_mul_f32_e64 v3, 0x2f800000, |v1|
	v_floor_f32_e32 v3, v3
	s_delay_alu instid0(VALU_DEP_1) | instskip(SKIP_1) | instid1(VALU_DEP_2)
	v_fma_f32 v3, 0xcf800000, v3, |v1|
	v_ashrrev_i32_e32 v1, 31, v1
	v_cvt_u32_f32_e32 v3, v3
	s_delay_alu instid0(VALU_DEP_1) | instskip(NEXT) | instid1(VALU_DEP_1)
	v_xor_b32_e32 v3, v3, v1
	v_sub_nc_u32_e32 v12, v3, v1
.LBB102_2823:
	s_or_b32 exec_lo, exec_lo, s21
	s_mov_b32 s21, 0
	s_branch .LBB102_2829
.LBB102_2824:
	s_mov_b32 s21, -1
                                        ; implicit-def: $vgpr12
	s_branch .LBB102_2835
.LBB102_2825:
	s_and_not1_saveexec_b32 s22, s22
	s_cbranch_execz .LBB102_2810
.LBB102_2826:
	v_cmp_ne_u16_e32 vcc_lo, 0, v1
	s_and_not1_b32 s23, s23, exec_lo
	s_and_b32 s24, vcc_lo, exec_lo
	s_delay_alu instid0(SALU_CYCLE_1)
	s_or_b32 s23, s23, s24
	s_or_b32 exec_lo, exec_lo, s22
	v_mov_b32_e32 v12, 0
	s_and_saveexec_b32 s22, s23
	s_cbranch_execnz .LBB102_2811
	s_branch .LBB102_2812
.LBB102_2827:
	s_mov_b32 s21, -1
                                        ; implicit-def: $vgpr12
	s_branch .LBB102_2832
.LBB102_2828:
	s_mov_b32 s21, -1
                                        ; implicit-def: $vgpr12
.LBB102_2829:
	s_delay_alu instid0(SALU_CYCLE_1)
	s_and_b32 vcc_lo, exec_lo, s21
	s_cbranch_vccz .LBB102_2831
; %bb.2830:
	s_wait_loadcnt 0x0
	global_load_u8 v1, v[20:21], off
	s_wait_loadcnt 0x0
	v_lshlrev_b32_e32 v1, 24, v1
	s_delay_alu instid0(VALU_DEP_1) | instskip(NEXT) | instid1(VALU_DEP_1)
	v_and_b32_e32 v3, 0x7f000000, v1
	v_clz_i32_u32_e32 v5, v3
	v_add_nc_u32_e32 v9, 0x1000000, v3
	v_cmp_ne_u32_e32 vcc_lo, 0, v3
	s_delay_alu instid0(VALU_DEP_3) | instskip(NEXT) | instid1(VALU_DEP_1)
	v_min_u32_e32 v5, 32, v5
	v_sub_nc_u32_e64 v5, v5, 4 clamp
	s_delay_alu instid0(VALU_DEP_1) | instskip(NEXT) | instid1(VALU_DEP_1)
	v_dual_lshlrev_b32 v7, v5, v3 :: v_dual_lshlrev_b32 v5, 23, v5
	v_lshrrev_b32_e32 v7, 4, v7
	s_delay_alu instid0(VALU_DEP_1) | instskip(SKIP_1) | instid1(VALU_DEP_2)
	v_sub_nc_u32_e32 v5, v7, v5
	v_ashrrev_i32_e32 v7, 8, v9
	v_add_nc_u32_e32 v5, 0x3c000000, v5
	s_delay_alu instid0(VALU_DEP_1) | instskip(NEXT) | instid1(VALU_DEP_1)
	v_and_or_b32 v5, 0x7f800000, v7, v5
	v_cndmask_b32_e32 v3, 0, v5, vcc_lo
	s_delay_alu instid0(VALU_DEP_1) | instskip(NEXT) | instid1(VALU_DEP_1)
	v_and_or_b32 v1, 0x80000000, v1, v3
	v_trunc_f32_e32 v1, v1
	s_delay_alu instid0(VALU_DEP_1) | instskip(NEXT) | instid1(VALU_DEP_1)
	v_mul_f32_e64 v3, 0x2f800000, |v1|
	v_floor_f32_e32 v3, v3
	s_delay_alu instid0(VALU_DEP_1) | instskip(SKIP_1) | instid1(VALU_DEP_2)
	v_fma_f32 v3, 0xcf800000, v3, |v1|
	v_ashrrev_i32_e32 v1, 31, v1
	v_cvt_u32_f32_e32 v3, v3
	s_delay_alu instid0(VALU_DEP_1) | instskip(NEXT) | instid1(VALU_DEP_1)
	v_xor_b32_e32 v3, v3, v1
	v_sub_nc_u32_e32 v12, v3, v1
.LBB102_2831:
	s_mov_b32 s21, 0
.LBB102_2832:
	s_delay_alu instid0(SALU_CYCLE_1)
	s_and_not1_b32 vcc_lo, exec_lo, s21
	s_cbranch_vccnz .LBB102_2834
; %bb.2833:
	s_wait_loadcnt 0x0
	global_load_u8 v1, v[20:21], off
	s_wait_loadcnt 0x0
	v_lshlrev_b32_e32 v3, 25, v1
	v_lshlrev_b16 v1, 8, v1
	s_delay_alu instid0(VALU_DEP_1) | instskip(SKIP_1) | instid1(VALU_DEP_2)
	v_and_or_b32 v7, 0x7f00, v1, 0.5
	v_bfe_i32 v1, v1, 0, 16
	v_add_f32_e32 v7, -0.5, v7
	v_lshrrev_b32_e32 v5, 4, v3
	v_cmp_gt_u32_e32 vcc_lo, 0x8000000, v3
	s_delay_alu instid0(VALU_DEP_2) | instskip(NEXT) | instid1(VALU_DEP_1)
	v_or_b32_e32 v5, 0x70000000, v5
	v_mul_f32_e32 v5, 0x7800000, v5
	s_delay_alu instid0(VALU_DEP_1) | instskip(NEXT) | instid1(VALU_DEP_1)
	v_cndmask_b32_e32 v3, v5, v7, vcc_lo
	v_and_or_b32 v1, 0x80000000, v1, v3
	s_delay_alu instid0(VALU_DEP_1) | instskip(NEXT) | instid1(VALU_DEP_1)
	v_trunc_f32_e32 v1, v1
	v_mul_f32_e64 v3, 0x2f800000, |v1|
	s_delay_alu instid0(VALU_DEP_1) | instskip(NEXT) | instid1(VALU_DEP_1)
	v_floor_f32_e32 v3, v3
	v_fma_f32 v3, 0xcf800000, v3, |v1|
	v_ashrrev_i32_e32 v1, 31, v1
	s_delay_alu instid0(VALU_DEP_2) | instskip(NEXT) | instid1(VALU_DEP_1)
	v_cvt_u32_f32_e32 v3, v3
	v_xor_b32_e32 v3, v3, v1
	s_delay_alu instid0(VALU_DEP_1)
	v_sub_nc_u32_e32 v12, v3, v1
.LBB102_2834:
	s_mov_b32 s21, 0
	s_mov_b32 s22, -1
.LBB102_2835:
	s_and_not1_b32 vcc_lo, exec_lo, s21
	s_mov_b32 s21, 0
	s_cbranch_vccnz .LBB102_2846
; %bb.2836:
	s_cmp_gt_i32 s15, 14
	s_cbranch_scc0 .LBB102_2839
; %bb.2837:
	s_cmp_eq_u32 s15, 15
	s_cbranch_scc0 .LBB102_2842
; %bb.2838:
	s_wait_loadcnt 0x0
	global_load_u16 v1, v[20:21], off
	s_mov_b32 s20, 0
	s_mov_b32 s22, -1
	s_wait_loadcnt 0x0
	v_lshlrev_b32_e32 v1, 16, v1
	s_delay_alu instid0(VALU_DEP_1) | instskip(NEXT) | instid1(VALU_DEP_1)
	v_trunc_f32_e32 v1, v1
	v_mul_f32_e64 v3, 0x2f800000, |v1|
	s_delay_alu instid0(VALU_DEP_1) | instskip(NEXT) | instid1(VALU_DEP_1)
	v_floor_f32_e32 v3, v3
	v_fma_f32 v3, 0xcf800000, v3, |v1|
	v_ashrrev_i32_e32 v1, 31, v1
	s_delay_alu instid0(VALU_DEP_2) | instskip(NEXT) | instid1(VALU_DEP_1)
	v_cvt_u32_f32_e32 v3, v3
	v_xor_b32_e32 v3, v3, v1
	s_delay_alu instid0(VALU_DEP_1)
	v_sub_nc_u32_e32 v12, v3, v1
	s_branch .LBB102_2844
.LBB102_2839:
	s_mov_b32 s21, -1
	s_branch .LBB102_2843
.LBB102_2840:
	s_and_not1_saveexec_b32 s21, s21
	s_cbranch_execz .LBB102_2821
.LBB102_2841:
	v_cmp_ne_u16_e32 vcc_lo, 0, v1
	s_and_not1_b32 s22, s22, exec_lo
	s_and_b32 s23, vcc_lo, exec_lo
	s_delay_alu instid0(SALU_CYCLE_1)
	s_or_b32 s22, s22, s23
	s_or_b32 exec_lo, exec_lo, s21
	v_mov_b32_e32 v12, 0
	s_and_saveexec_b32 s21, s22
	s_cbranch_execnz .LBB102_2822
	s_branch .LBB102_2823
.LBB102_2842:
	s_mov_b32 s20, -1
.LBB102_2843:
                                        ; implicit-def: $vgpr12
.LBB102_2844:
	s_and_b32 vcc_lo, exec_lo, s21
	s_mov_b32 s21, 0
	s_cbranch_vccz .LBB102_2846
; %bb.2845:
	s_cmp_lg_u32 s15, 11
	s_mov_b32 s21, -1
	s_cselect_b32 s20, -1, 0
.LBB102_2846:
	s_delay_alu instid0(SALU_CYCLE_1)
	s_and_b32 vcc_lo, exec_lo, s20
	s_cbranch_vccnz .LBB102_2911
; %bb.2847:
	s_and_not1_b32 vcc_lo, exec_lo, s21
	s_cbranch_vccnz .LBB102_2849
.LBB102_2848:
	s_wait_loadcnt 0x0
	global_load_u8 v1, v[20:21], off
	s_mov_b32 s22, -1
	s_wait_loadcnt 0x0
	v_cmp_ne_u16_e32 vcc_lo, 0, v1
	v_cndmask_b32_e64 v12, 0, 1, vcc_lo
.LBB102_2849:
	s_mov_b32 s15, 0
.LBB102_2850:
	s_delay_alu instid0(SALU_CYCLE_1)
	s_and_b32 vcc_lo, exec_lo, s15
	s_cbranch_vccz .LBB102_2899
; %bb.2851:
	s_and_b32 s15, 0xffff, s17
	s_delay_alu instid0(SALU_CYCLE_1)
	s_cmp_lt_i32 s15, 5
	s_cbranch_scc1 .LBB102_2856
; %bb.2852:
	s_cmp_lt_i32 s15, 8
	s_cbranch_scc1 .LBB102_2857
; %bb.2853:
	;; [unrolled: 3-line block ×3, first 2 shown]
	s_cmp_gt_i32 s15, 9
	s_cbranch_scc0 .LBB102_2859
; %bb.2855:
	s_wait_loadcnt 0x0
	global_load_b64 v[12:13], v[20:21], off
	s_mov_b32 s20, 0
	s_wait_loadcnt 0x0
	v_trunc_f64_e32 v[12:13], v[12:13]
	s_delay_alu instid0(VALU_DEP_1) | instskip(NEXT) | instid1(VALU_DEP_1)
	v_ldexp_f64 v[22:23], v[12:13], 0xffffffe0
	v_floor_f64_e32 v[22:23], v[22:23]
	s_delay_alu instid0(VALU_DEP_1) | instskip(NEXT) | instid1(VALU_DEP_1)
	v_fmamk_f64 v[12:13], v[22:23], 0xc1f00000, v[12:13]
	v_cvt_u32_f64_e32 v12, v[12:13]
	s_branch .LBB102_2860
.LBB102_2856:
	s_mov_b32 s20, -1
                                        ; implicit-def: $vgpr12
	s_branch .LBB102_2878
.LBB102_2857:
	s_mov_b32 s20, -1
                                        ; implicit-def: $vgpr12
	s_branch .LBB102_2866
.LBB102_2858:
	s_mov_b32 s20, -1
                                        ; implicit-def: $vgpr12
	s_branch .LBB102_2863
.LBB102_2859:
	s_mov_b32 s20, -1
                                        ; implicit-def: $vgpr12
.LBB102_2860:
	s_delay_alu instid0(SALU_CYCLE_1)
	s_and_not1_b32 vcc_lo, exec_lo, s20
	s_cbranch_vccnz .LBB102_2862
; %bb.2861:
	s_wait_loadcnt 0x0
	global_load_b32 v1, v[20:21], off
	s_wait_loadcnt 0x0
	v_trunc_f32_e32 v1, v1
	s_delay_alu instid0(VALU_DEP_1) | instskip(NEXT) | instid1(VALU_DEP_1)
	v_mul_f32_e64 v3, 0x2f800000, |v1|
	v_floor_f32_e32 v3, v3
	s_delay_alu instid0(VALU_DEP_1) | instskip(SKIP_1) | instid1(VALU_DEP_2)
	v_fma_f32 v3, 0xcf800000, v3, |v1|
	v_ashrrev_i32_e32 v1, 31, v1
	v_cvt_u32_f32_e32 v3, v3
	s_delay_alu instid0(VALU_DEP_1) | instskip(NEXT) | instid1(VALU_DEP_1)
	v_xor_b32_e32 v3, v3, v1
	v_sub_nc_u32_e32 v12, v3, v1
.LBB102_2862:
	s_mov_b32 s20, 0
.LBB102_2863:
	s_delay_alu instid0(SALU_CYCLE_1)
	s_and_not1_b32 vcc_lo, exec_lo, s20
	s_cbranch_vccnz .LBB102_2865
; %bb.2864:
	s_wait_loadcnt 0x0
	global_load_b32 v1, v[20:21], off
	s_wait_loadcnt 0x0
	v_cvt_f32_f16_e32 v1, v1
	s_delay_alu instid0(VALU_DEP_1)
	v_cvt_i32_f32_e32 v12, v1
.LBB102_2865:
	s_mov_b32 s20, 0
.LBB102_2866:
	s_delay_alu instid0(SALU_CYCLE_1)
	s_and_not1_b32 vcc_lo, exec_lo, s20
	s_cbranch_vccnz .LBB102_2877
; %bb.2867:
	s_cmp_lt_i32 s15, 6
	s_cbranch_scc1 .LBB102_2870
; %bb.2868:
	s_cmp_gt_i32 s15, 6
	s_cbranch_scc0 .LBB102_2871
; %bb.2869:
	s_wait_loadcnt 0x0
	global_load_b64 v[12:13], v[20:21], off
	s_mov_b32 s20, 0
	s_wait_loadcnt 0x0
	v_trunc_f64_e32 v[12:13], v[12:13]
	s_delay_alu instid0(VALU_DEP_1) | instskip(NEXT) | instid1(VALU_DEP_1)
	v_ldexp_f64 v[22:23], v[12:13], 0xffffffe0
	v_floor_f64_e32 v[22:23], v[22:23]
	s_delay_alu instid0(VALU_DEP_1) | instskip(NEXT) | instid1(VALU_DEP_1)
	v_fmamk_f64 v[12:13], v[22:23], 0xc1f00000, v[12:13]
	v_cvt_u32_f64_e32 v12, v[12:13]
	s_branch .LBB102_2872
.LBB102_2870:
	s_mov_b32 s20, -1
                                        ; implicit-def: $vgpr12
	s_branch .LBB102_2875
.LBB102_2871:
	s_mov_b32 s20, -1
                                        ; implicit-def: $vgpr12
.LBB102_2872:
	s_delay_alu instid0(SALU_CYCLE_1)
	s_and_not1_b32 vcc_lo, exec_lo, s20
	s_cbranch_vccnz .LBB102_2874
; %bb.2873:
	s_wait_loadcnt 0x0
	global_load_b32 v1, v[20:21], off
	s_wait_loadcnt 0x0
	v_trunc_f32_e32 v1, v1
	s_delay_alu instid0(VALU_DEP_1) | instskip(NEXT) | instid1(VALU_DEP_1)
	v_mul_f32_e64 v3, 0x2f800000, |v1|
	v_floor_f32_e32 v3, v3
	s_delay_alu instid0(VALU_DEP_1) | instskip(SKIP_1) | instid1(VALU_DEP_2)
	v_fma_f32 v3, 0xcf800000, v3, |v1|
	v_ashrrev_i32_e32 v1, 31, v1
	v_cvt_u32_f32_e32 v3, v3
	s_delay_alu instid0(VALU_DEP_1) | instskip(NEXT) | instid1(VALU_DEP_1)
	v_xor_b32_e32 v3, v3, v1
	v_sub_nc_u32_e32 v12, v3, v1
.LBB102_2874:
	s_mov_b32 s20, 0
.LBB102_2875:
	s_delay_alu instid0(SALU_CYCLE_1)
	s_and_not1_b32 vcc_lo, exec_lo, s20
	s_cbranch_vccnz .LBB102_2877
; %bb.2876:
	s_wait_loadcnt 0x0
	global_load_u16 v1, v[20:21], off
	s_wait_loadcnt 0x0
	v_cvt_f32_f16_e32 v1, v1
	s_delay_alu instid0(VALU_DEP_1)
	v_cvt_i32_f32_e32 v12, v1
.LBB102_2877:
	s_mov_b32 s20, 0
.LBB102_2878:
	s_delay_alu instid0(SALU_CYCLE_1)
	s_and_not1_b32 vcc_lo, exec_lo, s20
	s_cbranch_vccnz .LBB102_2898
; %bb.2879:
	s_cmp_lt_i32 s15, 2
	s_cbranch_scc1 .LBB102_2883
; %bb.2880:
	s_cmp_lt_i32 s15, 3
	s_cbranch_scc1 .LBB102_2884
; %bb.2881:
	s_cmp_gt_i32 s15, 3
	s_cbranch_scc0 .LBB102_2885
; %bb.2882:
	s_wait_loadcnt 0x0
	global_load_b64 v[12:13], v[20:21], off
	s_mov_b32 s20, 0
	s_branch .LBB102_2886
.LBB102_2883:
	s_mov_b32 s20, -1
                                        ; implicit-def: $vgpr12
	s_branch .LBB102_2892
.LBB102_2884:
	s_mov_b32 s20, -1
                                        ; implicit-def: $vgpr12
	s_branch .LBB102_2889
.LBB102_2885:
	s_mov_b32 s20, -1
                                        ; implicit-def: $vgpr12
.LBB102_2886:
	s_delay_alu instid0(SALU_CYCLE_1)
	s_and_not1_b32 vcc_lo, exec_lo, s20
	s_cbranch_vccnz .LBB102_2888
; %bb.2887:
	s_wait_loadcnt 0x0
	global_load_b32 v12, v[20:21], off
.LBB102_2888:
	s_mov_b32 s20, 0
.LBB102_2889:
	s_delay_alu instid0(SALU_CYCLE_1)
	s_and_not1_b32 vcc_lo, exec_lo, s20
	s_cbranch_vccnz .LBB102_2891
; %bb.2890:
	s_wait_loadcnt 0x0
	global_load_u16 v12, v[20:21], off
.LBB102_2891:
	s_mov_b32 s20, 0
.LBB102_2892:
	s_delay_alu instid0(SALU_CYCLE_1)
	s_and_not1_b32 vcc_lo, exec_lo, s20
	s_cbranch_vccnz .LBB102_2898
; %bb.2893:
	s_cmp_gt_i32 s15, 0
	s_mov_b32 s15, 0
	s_cbranch_scc0 .LBB102_2895
; %bb.2894:
	s_wait_loadcnt 0x0
	global_load_u8 v12, v[20:21], off
	s_branch .LBB102_2896
.LBB102_2895:
	s_mov_b32 s15, -1
                                        ; implicit-def: $vgpr12
.LBB102_2896:
	s_delay_alu instid0(SALU_CYCLE_1)
	s_and_not1_b32 vcc_lo, exec_lo, s15
	s_cbranch_vccnz .LBB102_2898
; %bb.2897:
	s_wait_loadcnt 0x0
	global_load_u8 v12, v[20:21], off
.LBB102_2898:
	s_mov_b32 s22, -1
.LBB102_2899:
	s_delay_alu instid0(SALU_CYCLE_1)
	s_and_not1_b32 vcc_lo, exec_lo, s22
	s_cbranch_vccnz .LBB102_3968
; %bb.2900:
	s_wait_xcnt 0x0
	v_add_nc_u32_e32 v20, s13, v14
	s_cmp_lt_i32 s3, 11
	s_delay_alu instid0(VALU_DEP_1) | instskip(NEXT) | instid1(VALU_DEP_1)
	v_ashrrev_i32_e32 v21, 31, v20
	v_add_nc_u64_e32 v[22:23], s[8:9], v[20:21]
	s_cbranch_scc1 .LBB102_2907
; %bb.2901:
	s_and_b32 s15, 0xffff, s3
	s_mov_b32 s21, 0
	s_cmp_gt_i32 s15, 25
	s_cbranch_scc0 .LBB102_2908
; %bb.2902:
	s_cmp_gt_i32 s15, 28
	s_cbranch_scc0 .LBB102_2909
; %bb.2903:
	s_cmp_gt_i32 s15, 43
	s_cbranch_scc0 .LBB102_2910
; %bb.2904:
	s_cmp_gt_i32 s15, 45
	s_cbranch_scc0 .LBB102_2912
; %bb.2905:
	s_cmp_eq_u32 s15, 46
	s_mov_b32 s23, 0
	s_cbranch_scc0 .LBB102_2913
; %bb.2906:
	s_wait_loadcnt 0x0
	global_load_b32 v1, v[22:23], off
	s_mov_b32 s20, 0
	s_mov_b32 s22, -1
	s_wait_loadcnt 0x0
	v_lshlrev_b32_e32 v1, 16, v1
	s_delay_alu instid0(VALU_DEP_1) | instskip(NEXT) | instid1(VALU_DEP_1)
	v_trunc_f32_e32 v1, v1
	v_mul_f32_e64 v3, 0x2f800000, |v1|
	s_delay_alu instid0(VALU_DEP_1) | instskip(NEXT) | instid1(VALU_DEP_1)
	v_floor_f32_e32 v3, v3
	v_fma_f32 v3, 0xcf800000, v3, |v1|
	v_ashrrev_i32_e32 v1, 31, v1
	s_delay_alu instid0(VALU_DEP_2) | instskip(NEXT) | instid1(VALU_DEP_1)
	v_cvt_u32_f32_e32 v3, v3
	v_xor_b32_e32 v3, v3, v1
	s_delay_alu instid0(VALU_DEP_1)
	v_sub_nc_u32_e32 v14, v3, v1
	s_branch .LBB102_2915
.LBB102_2907:
	s_mov_b32 s15, -1
	s_mov_b32 s22, 0
                                        ; implicit-def: $vgpr14
	s_branch .LBB102_2977
.LBB102_2908:
	s_mov_b32 s23, -1
	s_mov_b32 s22, 0
	s_mov_b32 s20, 0
                                        ; implicit-def: $vgpr14
	s_branch .LBB102_2942
.LBB102_2909:
	s_mov_b32 s23, -1
	s_mov_b32 s22, 0
	s_mov_b32 s20, 0
                                        ; implicit-def: $vgpr14
	s_branch .LBB102_2925
.LBB102_2910:
	s_mov_b32 s23, -1
	s_mov_b32 s22, 0
	s_mov_b32 s20, 0
                                        ; implicit-def: $vgpr14
	s_branch .LBB102_2920
.LBB102_2911:
	s_or_b32 s16, s16, exec_lo
	s_trap 2
	s_cbranch_execz .LBB102_2848
	s_branch .LBB102_2849
.LBB102_2912:
	s_mov_b32 s23, -1
	s_mov_b32 s22, 0
	s_mov_b32 s20, 0
	s_branch .LBB102_2914
.LBB102_2913:
	s_mov_b32 s20, -1
	s_mov_b32 s22, 0
.LBB102_2914:
                                        ; implicit-def: $vgpr14
.LBB102_2915:
	s_and_b32 vcc_lo, exec_lo, s23
	s_cbranch_vccz .LBB102_2919
; %bb.2916:
	s_cmp_eq_u32 s15, 44
	s_cbranch_scc0 .LBB102_2918
; %bb.2917:
	s_wait_loadcnt 0x0
	global_load_u8 v1, v[22:23], off
	s_mov_b32 s20, 0
	s_mov_b32 s22, -1
	s_wait_loadcnt 0x0
	v_lshlrev_b32_e32 v3, 23, v1
	v_cmp_ne_u32_e32 vcc_lo, 0, v1
	s_delay_alu instid0(VALU_DEP_2) | instskip(NEXT) | instid1(VALU_DEP_1)
	v_trunc_f32_e32 v3, v3
	v_mul_f32_e64 v5, 0x2f800000, |v3|
	s_delay_alu instid0(VALU_DEP_1) | instskip(NEXT) | instid1(VALU_DEP_1)
	v_floor_f32_e32 v5, v5
	v_fma_f32 v5, 0xcf800000, v5, |v3|
	v_ashrrev_i32_e32 v3, 31, v3
	s_delay_alu instid0(VALU_DEP_2) | instskip(NEXT) | instid1(VALU_DEP_1)
	v_cvt_u32_f32_e32 v5, v5
	v_xor_b32_e32 v5, v5, v3
	s_delay_alu instid0(VALU_DEP_1) | instskip(NEXT) | instid1(VALU_DEP_1)
	v_sub_nc_u32_e32 v3, v5, v3
	v_cndmask_b32_e32 v14, 0, v3, vcc_lo
	s_branch .LBB102_2919
.LBB102_2918:
	s_mov_b32 s20, -1
                                        ; implicit-def: $vgpr14
.LBB102_2919:
	s_mov_b32 s23, 0
.LBB102_2920:
	s_delay_alu instid0(SALU_CYCLE_1)
	s_and_b32 vcc_lo, exec_lo, s23
	s_cbranch_vccz .LBB102_2924
; %bb.2921:
	s_cmp_eq_u32 s15, 29
	s_cbranch_scc0 .LBB102_2923
; %bb.2922:
	global_load_b64 v[14:15], v[22:23], off
	s_mov_b32 s20, 0
	s_mov_b32 s22, -1
	s_branch .LBB102_2924
.LBB102_2923:
	s_mov_b32 s20, -1
                                        ; implicit-def: $vgpr14
.LBB102_2924:
	s_mov_b32 s23, 0
.LBB102_2925:
	s_delay_alu instid0(SALU_CYCLE_1)
	s_and_b32 vcc_lo, exec_lo, s23
	s_cbranch_vccz .LBB102_2941
; %bb.2926:
	s_cmp_lt_i32 s15, 27
	s_cbranch_scc1 .LBB102_2929
; %bb.2927:
	s_cmp_gt_i32 s15, 27
	s_cbranch_scc0 .LBB102_2930
; %bb.2928:
	s_wait_loadcnt 0x0
	global_load_b32 v14, v[22:23], off
	s_mov_b32 s22, 0
	s_branch .LBB102_2931
.LBB102_2929:
	s_mov_b32 s22, -1
                                        ; implicit-def: $vgpr14
	s_branch .LBB102_2934
.LBB102_2930:
	s_mov_b32 s22, -1
                                        ; implicit-def: $vgpr14
.LBB102_2931:
	s_delay_alu instid0(SALU_CYCLE_1)
	s_and_not1_b32 vcc_lo, exec_lo, s22
	s_cbranch_vccnz .LBB102_2933
; %bb.2932:
	s_wait_loadcnt 0x0
	global_load_u16 v14, v[22:23], off
.LBB102_2933:
	s_mov_b32 s22, 0
.LBB102_2934:
	s_delay_alu instid0(SALU_CYCLE_1)
	s_and_not1_b32 vcc_lo, exec_lo, s22
	s_cbranch_vccnz .LBB102_2940
; %bb.2935:
	s_wait_loadcnt 0x0
	global_load_u8 v1, v[22:23], off
	s_mov_b32 s23, 0
	s_mov_b32 s22, exec_lo
	s_wait_loadcnt 0x0
	v_cmpx_lt_i16_e32 0x7f, v1
	s_xor_b32 s22, exec_lo, s22
	s_cbranch_execz .LBB102_2952
; %bb.2936:
	v_cmp_ne_u16_e32 vcc_lo, 0x80, v1
	s_and_b32 s23, vcc_lo, exec_lo
	s_and_not1_saveexec_b32 s22, s22
	s_cbranch_execnz .LBB102_2953
.LBB102_2937:
	s_or_b32 exec_lo, exec_lo, s22
	v_mov_b32_e32 v14, 0
	s_and_saveexec_b32 s22, s23
	s_cbranch_execz .LBB102_2939
.LBB102_2938:
	v_and_b32_e32 v3, 0xffff, v1
	s_delay_alu instid0(VALU_DEP_1) | instskip(SKIP_1) | instid1(VALU_DEP_2)
	v_dual_lshlrev_b32 v1, 24, v1 :: v_dual_bitop2_b32 v5, 7, v3 bitop3:0x40
	v_bfe_u32 v11, v3, 3, 4
	v_and_b32_e32 v1, 0x80000000, v1
	s_delay_alu instid0(VALU_DEP_3) | instskip(NEXT) | instid1(VALU_DEP_3)
	v_clz_i32_u32_e32 v7, v5
	v_cmp_eq_u32_e32 vcc_lo, 0, v11
	s_delay_alu instid0(VALU_DEP_2) | instskip(NEXT) | instid1(VALU_DEP_1)
	v_min_u32_e32 v7, 32, v7
	v_subrev_nc_u32_e32 v9, 28, v7
	v_sub_nc_u32_e32 v7, 29, v7
	s_delay_alu instid0(VALU_DEP_2) | instskip(NEXT) | instid1(VALU_DEP_2)
	v_lshlrev_b32_e32 v3, v9, v3
	v_cndmask_b32_e32 v7, v11, v7, vcc_lo
	s_delay_alu instid0(VALU_DEP_2) | instskip(NEXT) | instid1(VALU_DEP_1)
	v_and_b32_e32 v3, 7, v3
	v_cndmask_b32_e32 v3, v5, v3, vcc_lo
	s_delay_alu instid0(VALU_DEP_3) | instskip(NEXT) | instid1(VALU_DEP_2)
	v_lshl_add_u32 v5, v7, 23, 0x3b800000
	v_lshlrev_b32_e32 v3, 20, v3
	s_delay_alu instid0(VALU_DEP_1) | instskip(NEXT) | instid1(VALU_DEP_1)
	v_or3_b32 v1, v1, v5, v3
	v_trunc_f32_e32 v1, v1
	s_delay_alu instid0(VALU_DEP_1) | instskip(NEXT) | instid1(VALU_DEP_1)
	v_mul_f32_e64 v3, 0x2f800000, |v1|
	v_floor_f32_e32 v3, v3
	s_delay_alu instid0(VALU_DEP_1) | instskip(SKIP_1) | instid1(VALU_DEP_2)
	v_fma_f32 v3, 0xcf800000, v3, |v1|
	v_ashrrev_i32_e32 v1, 31, v1
	v_cvt_u32_f32_e32 v3, v3
	s_delay_alu instid0(VALU_DEP_1) | instskip(NEXT) | instid1(VALU_DEP_1)
	v_xor_b32_e32 v3, v3, v1
	v_sub_nc_u32_e32 v14, v3, v1
.LBB102_2939:
	s_or_b32 exec_lo, exec_lo, s22
.LBB102_2940:
	s_mov_b32 s22, -1
.LBB102_2941:
	s_mov_b32 s23, 0
.LBB102_2942:
	s_delay_alu instid0(SALU_CYCLE_1)
	s_and_b32 vcc_lo, exec_lo, s23
	s_cbranch_vccz .LBB102_2973
; %bb.2943:
	s_cmp_gt_i32 s15, 22
	s_cbranch_scc0 .LBB102_2951
; %bb.2944:
	s_cmp_lt_i32 s15, 24
	s_cbranch_scc1 .LBB102_2954
; %bb.2945:
	s_cmp_gt_i32 s15, 24
	s_cbranch_scc0 .LBB102_2955
; %bb.2946:
	s_wait_loadcnt 0x0
	global_load_u8 v1, v[22:23], off
	s_mov_b32 s22, 0
	s_mov_b32 s21, exec_lo
	s_wait_loadcnt 0x0
	v_cmpx_lt_i16_e32 0x7f, v1
	s_xor_b32 s21, exec_lo, s21
	s_cbranch_execz .LBB102_2967
; %bb.2947:
	v_cmp_ne_u16_e32 vcc_lo, 0x80, v1
	s_and_b32 s22, vcc_lo, exec_lo
	s_and_not1_saveexec_b32 s21, s21
	s_cbranch_execnz .LBB102_2968
.LBB102_2948:
	s_or_b32 exec_lo, exec_lo, s21
	v_mov_b32_e32 v14, 0
	s_and_saveexec_b32 s21, s22
	s_cbranch_execz .LBB102_2950
.LBB102_2949:
	v_and_b32_e32 v3, 0xffff, v1
	s_delay_alu instid0(VALU_DEP_1) | instskip(SKIP_1) | instid1(VALU_DEP_2)
	v_dual_lshlrev_b32 v1, 24, v1 :: v_dual_bitop2_b32 v5, 3, v3 bitop3:0x40
	v_bfe_u32 v11, v3, 2, 5
	v_and_b32_e32 v1, 0x80000000, v1
	s_delay_alu instid0(VALU_DEP_3) | instskip(NEXT) | instid1(VALU_DEP_3)
	v_clz_i32_u32_e32 v7, v5
	v_cmp_eq_u32_e32 vcc_lo, 0, v11
	s_delay_alu instid0(VALU_DEP_2) | instskip(NEXT) | instid1(VALU_DEP_1)
	v_min_u32_e32 v7, 32, v7
	v_subrev_nc_u32_e32 v9, 29, v7
	v_sub_nc_u32_e32 v7, 30, v7
	s_delay_alu instid0(VALU_DEP_2) | instskip(NEXT) | instid1(VALU_DEP_2)
	v_lshlrev_b32_e32 v3, v9, v3
	v_cndmask_b32_e32 v7, v11, v7, vcc_lo
	s_delay_alu instid0(VALU_DEP_2) | instskip(NEXT) | instid1(VALU_DEP_1)
	v_and_b32_e32 v3, 3, v3
	v_cndmask_b32_e32 v3, v5, v3, vcc_lo
	s_delay_alu instid0(VALU_DEP_3) | instskip(NEXT) | instid1(VALU_DEP_2)
	v_lshl_add_u32 v5, v7, 23, 0x37800000
	v_lshlrev_b32_e32 v3, 21, v3
	s_delay_alu instid0(VALU_DEP_1) | instskip(NEXT) | instid1(VALU_DEP_1)
	v_or3_b32 v1, v1, v5, v3
	v_trunc_f32_e32 v1, v1
	s_delay_alu instid0(VALU_DEP_1) | instskip(NEXT) | instid1(VALU_DEP_1)
	v_mul_f32_e64 v3, 0x2f800000, |v1|
	v_floor_f32_e32 v3, v3
	s_delay_alu instid0(VALU_DEP_1) | instskip(SKIP_1) | instid1(VALU_DEP_2)
	v_fma_f32 v3, 0xcf800000, v3, |v1|
	v_ashrrev_i32_e32 v1, 31, v1
	v_cvt_u32_f32_e32 v3, v3
	s_delay_alu instid0(VALU_DEP_1) | instskip(NEXT) | instid1(VALU_DEP_1)
	v_xor_b32_e32 v3, v3, v1
	v_sub_nc_u32_e32 v14, v3, v1
.LBB102_2950:
	s_or_b32 exec_lo, exec_lo, s21
	s_mov_b32 s21, 0
	s_branch .LBB102_2956
.LBB102_2951:
	s_mov_b32 s21, -1
                                        ; implicit-def: $vgpr14
	s_branch .LBB102_2962
.LBB102_2952:
	s_and_not1_saveexec_b32 s22, s22
	s_cbranch_execz .LBB102_2937
.LBB102_2953:
	v_cmp_ne_u16_e32 vcc_lo, 0, v1
	s_and_not1_b32 s23, s23, exec_lo
	s_and_b32 s24, vcc_lo, exec_lo
	s_delay_alu instid0(SALU_CYCLE_1)
	s_or_b32 s23, s23, s24
	s_or_b32 exec_lo, exec_lo, s22
	v_mov_b32_e32 v14, 0
	s_and_saveexec_b32 s22, s23
	s_cbranch_execnz .LBB102_2938
	s_branch .LBB102_2939
.LBB102_2954:
	s_mov_b32 s21, -1
                                        ; implicit-def: $vgpr14
	s_branch .LBB102_2959
.LBB102_2955:
	s_mov_b32 s21, -1
                                        ; implicit-def: $vgpr14
.LBB102_2956:
	s_delay_alu instid0(SALU_CYCLE_1)
	s_and_b32 vcc_lo, exec_lo, s21
	s_cbranch_vccz .LBB102_2958
; %bb.2957:
	s_wait_loadcnt 0x0
	global_load_u8 v1, v[22:23], off
	s_wait_loadcnt 0x0
	v_lshlrev_b32_e32 v1, 24, v1
	s_delay_alu instid0(VALU_DEP_1) | instskip(NEXT) | instid1(VALU_DEP_1)
	v_and_b32_e32 v3, 0x7f000000, v1
	v_clz_i32_u32_e32 v5, v3
	v_add_nc_u32_e32 v9, 0x1000000, v3
	v_cmp_ne_u32_e32 vcc_lo, 0, v3
	s_delay_alu instid0(VALU_DEP_3) | instskip(NEXT) | instid1(VALU_DEP_1)
	v_min_u32_e32 v5, 32, v5
	v_sub_nc_u32_e64 v5, v5, 4 clamp
	s_delay_alu instid0(VALU_DEP_1) | instskip(NEXT) | instid1(VALU_DEP_1)
	v_dual_lshlrev_b32 v7, v5, v3 :: v_dual_lshlrev_b32 v5, 23, v5
	v_lshrrev_b32_e32 v7, 4, v7
	s_delay_alu instid0(VALU_DEP_1) | instskip(SKIP_1) | instid1(VALU_DEP_2)
	v_sub_nc_u32_e32 v5, v7, v5
	v_ashrrev_i32_e32 v7, 8, v9
	v_add_nc_u32_e32 v5, 0x3c000000, v5
	s_delay_alu instid0(VALU_DEP_1) | instskip(NEXT) | instid1(VALU_DEP_1)
	v_and_or_b32 v5, 0x7f800000, v7, v5
	v_cndmask_b32_e32 v3, 0, v5, vcc_lo
	s_delay_alu instid0(VALU_DEP_1) | instskip(NEXT) | instid1(VALU_DEP_1)
	v_and_or_b32 v1, 0x80000000, v1, v3
	v_trunc_f32_e32 v1, v1
	s_delay_alu instid0(VALU_DEP_1) | instskip(NEXT) | instid1(VALU_DEP_1)
	v_mul_f32_e64 v3, 0x2f800000, |v1|
	v_floor_f32_e32 v3, v3
	s_delay_alu instid0(VALU_DEP_1) | instskip(SKIP_1) | instid1(VALU_DEP_2)
	v_fma_f32 v3, 0xcf800000, v3, |v1|
	v_ashrrev_i32_e32 v1, 31, v1
	v_cvt_u32_f32_e32 v3, v3
	s_delay_alu instid0(VALU_DEP_1) | instskip(NEXT) | instid1(VALU_DEP_1)
	v_xor_b32_e32 v3, v3, v1
	v_sub_nc_u32_e32 v14, v3, v1
.LBB102_2958:
	s_mov_b32 s21, 0
.LBB102_2959:
	s_delay_alu instid0(SALU_CYCLE_1)
	s_and_not1_b32 vcc_lo, exec_lo, s21
	s_cbranch_vccnz .LBB102_2961
; %bb.2960:
	s_wait_loadcnt 0x0
	global_load_u8 v1, v[22:23], off
	s_wait_loadcnt 0x0
	v_lshlrev_b32_e32 v3, 25, v1
	v_lshlrev_b16 v1, 8, v1
	s_delay_alu instid0(VALU_DEP_1) | instskip(SKIP_1) | instid1(VALU_DEP_2)
	v_and_or_b32 v7, 0x7f00, v1, 0.5
	v_bfe_i32 v1, v1, 0, 16
	v_add_f32_e32 v7, -0.5, v7
	v_lshrrev_b32_e32 v5, 4, v3
	v_cmp_gt_u32_e32 vcc_lo, 0x8000000, v3
	s_delay_alu instid0(VALU_DEP_2) | instskip(NEXT) | instid1(VALU_DEP_1)
	v_or_b32_e32 v5, 0x70000000, v5
	v_mul_f32_e32 v5, 0x7800000, v5
	s_delay_alu instid0(VALU_DEP_1) | instskip(NEXT) | instid1(VALU_DEP_1)
	v_cndmask_b32_e32 v3, v5, v7, vcc_lo
	v_and_or_b32 v1, 0x80000000, v1, v3
	s_delay_alu instid0(VALU_DEP_1) | instskip(NEXT) | instid1(VALU_DEP_1)
	v_trunc_f32_e32 v1, v1
	v_mul_f32_e64 v3, 0x2f800000, |v1|
	s_delay_alu instid0(VALU_DEP_1) | instskip(NEXT) | instid1(VALU_DEP_1)
	v_floor_f32_e32 v3, v3
	v_fma_f32 v3, 0xcf800000, v3, |v1|
	v_ashrrev_i32_e32 v1, 31, v1
	s_delay_alu instid0(VALU_DEP_2) | instskip(NEXT) | instid1(VALU_DEP_1)
	v_cvt_u32_f32_e32 v3, v3
	v_xor_b32_e32 v3, v3, v1
	s_delay_alu instid0(VALU_DEP_1)
	v_sub_nc_u32_e32 v14, v3, v1
.LBB102_2961:
	s_mov_b32 s21, 0
	s_mov_b32 s22, -1
.LBB102_2962:
	s_and_not1_b32 vcc_lo, exec_lo, s21
	s_mov_b32 s21, 0
	s_cbranch_vccnz .LBB102_2973
; %bb.2963:
	s_cmp_gt_i32 s15, 14
	s_cbranch_scc0 .LBB102_2966
; %bb.2964:
	s_cmp_eq_u32 s15, 15
	s_cbranch_scc0 .LBB102_2969
; %bb.2965:
	s_wait_loadcnt 0x0
	global_load_u16 v1, v[22:23], off
	s_mov_b32 s20, 0
	s_mov_b32 s22, -1
	s_wait_loadcnt 0x0
	v_lshlrev_b32_e32 v1, 16, v1
	s_delay_alu instid0(VALU_DEP_1) | instskip(NEXT) | instid1(VALU_DEP_1)
	v_trunc_f32_e32 v1, v1
	v_mul_f32_e64 v3, 0x2f800000, |v1|
	s_delay_alu instid0(VALU_DEP_1) | instskip(NEXT) | instid1(VALU_DEP_1)
	v_floor_f32_e32 v3, v3
	v_fma_f32 v3, 0xcf800000, v3, |v1|
	v_ashrrev_i32_e32 v1, 31, v1
	s_delay_alu instid0(VALU_DEP_2) | instskip(NEXT) | instid1(VALU_DEP_1)
	v_cvt_u32_f32_e32 v3, v3
	v_xor_b32_e32 v3, v3, v1
	s_delay_alu instid0(VALU_DEP_1)
	v_sub_nc_u32_e32 v14, v3, v1
	s_branch .LBB102_2971
.LBB102_2966:
	s_mov_b32 s21, -1
	s_branch .LBB102_2970
.LBB102_2967:
	s_and_not1_saveexec_b32 s21, s21
	s_cbranch_execz .LBB102_2948
.LBB102_2968:
	v_cmp_ne_u16_e32 vcc_lo, 0, v1
	s_and_not1_b32 s22, s22, exec_lo
	s_and_b32 s23, vcc_lo, exec_lo
	s_delay_alu instid0(SALU_CYCLE_1)
	s_or_b32 s22, s22, s23
	s_or_b32 exec_lo, exec_lo, s21
	v_mov_b32_e32 v14, 0
	s_and_saveexec_b32 s21, s22
	s_cbranch_execnz .LBB102_2949
	s_branch .LBB102_2950
.LBB102_2969:
	s_mov_b32 s20, -1
.LBB102_2970:
                                        ; implicit-def: $vgpr14
.LBB102_2971:
	s_and_b32 vcc_lo, exec_lo, s21
	s_mov_b32 s21, 0
	s_cbranch_vccz .LBB102_2973
; %bb.2972:
	s_cmp_lg_u32 s15, 11
	s_mov_b32 s21, -1
	s_cselect_b32 s20, -1, 0
.LBB102_2973:
	s_delay_alu instid0(SALU_CYCLE_1)
	s_and_b32 vcc_lo, exec_lo, s20
	s_cbranch_vccnz .LBB102_3038
; %bb.2974:
	s_and_not1_b32 vcc_lo, exec_lo, s21
	s_cbranch_vccnz .LBB102_2976
.LBB102_2975:
	s_wait_loadcnt 0x0
	global_load_u8 v1, v[22:23], off
	s_mov_b32 s22, -1
	s_wait_loadcnt 0x0
	v_cmp_ne_u16_e32 vcc_lo, 0, v1
	v_cndmask_b32_e64 v14, 0, 1, vcc_lo
.LBB102_2976:
	s_mov_b32 s15, 0
.LBB102_2977:
	s_delay_alu instid0(SALU_CYCLE_1)
	s_and_b32 vcc_lo, exec_lo, s15
	s_cbranch_vccz .LBB102_3026
; %bb.2978:
	s_and_b32 s15, 0xffff, s3
	s_delay_alu instid0(SALU_CYCLE_1)
	s_cmp_lt_i32 s15, 5
	s_cbranch_scc1 .LBB102_2983
; %bb.2979:
	s_cmp_lt_i32 s15, 8
	s_cbranch_scc1 .LBB102_2984
; %bb.2980:
	;; [unrolled: 3-line block ×3, first 2 shown]
	s_cmp_gt_i32 s15, 9
	s_cbranch_scc0 .LBB102_2986
; %bb.2982:
	s_wait_loadcnt 0x0
	global_load_b64 v[14:15], v[22:23], off
	s_mov_b32 s20, 0
	s_wait_loadcnt 0x0
	v_trunc_f64_e32 v[14:15], v[14:15]
	s_delay_alu instid0(VALU_DEP_1) | instskip(NEXT) | instid1(VALU_DEP_1)
	v_ldexp_f64 v[24:25], v[14:15], 0xffffffe0
	v_floor_f64_e32 v[24:25], v[24:25]
	s_delay_alu instid0(VALU_DEP_1) | instskip(NEXT) | instid1(VALU_DEP_1)
	v_fmamk_f64 v[14:15], v[24:25], 0xc1f00000, v[14:15]
	v_cvt_u32_f64_e32 v14, v[14:15]
	s_branch .LBB102_2987
.LBB102_2983:
	s_mov_b32 s20, -1
                                        ; implicit-def: $vgpr14
	s_branch .LBB102_3005
.LBB102_2984:
	s_mov_b32 s20, -1
                                        ; implicit-def: $vgpr14
	s_branch .LBB102_2993
.LBB102_2985:
	s_mov_b32 s20, -1
                                        ; implicit-def: $vgpr14
	s_branch .LBB102_2990
.LBB102_2986:
	s_mov_b32 s20, -1
                                        ; implicit-def: $vgpr14
.LBB102_2987:
	s_delay_alu instid0(SALU_CYCLE_1)
	s_and_not1_b32 vcc_lo, exec_lo, s20
	s_cbranch_vccnz .LBB102_2989
; %bb.2988:
	s_wait_loadcnt 0x0
	global_load_b32 v1, v[22:23], off
	s_wait_loadcnt 0x0
	v_trunc_f32_e32 v1, v1
	s_delay_alu instid0(VALU_DEP_1) | instskip(NEXT) | instid1(VALU_DEP_1)
	v_mul_f32_e64 v3, 0x2f800000, |v1|
	v_floor_f32_e32 v3, v3
	s_delay_alu instid0(VALU_DEP_1) | instskip(SKIP_1) | instid1(VALU_DEP_2)
	v_fma_f32 v3, 0xcf800000, v3, |v1|
	v_ashrrev_i32_e32 v1, 31, v1
	v_cvt_u32_f32_e32 v3, v3
	s_delay_alu instid0(VALU_DEP_1) | instskip(NEXT) | instid1(VALU_DEP_1)
	v_xor_b32_e32 v3, v3, v1
	v_sub_nc_u32_e32 v14, v3, v1
.LBB102_2989:
	s_mov_b32 s20, 0
.LBB102_2990:
	s_delay_alu instid0(SALU_CYCLE_1)
	s_and_not1_b32 vcc_lo, exec_lo, s20
	s_cbranch_vccnz .LBB102_2992
; %bb.2991:
	s_wait_loadcnt 0x0
	global_load_b32 v1, v[22:23], off
	s_wait_loadcnt 0x0
	v_cvt_f32_f16_e32 v1, v1
	s_delay_alu instid0(VALU_DEP_1)
	v_cvt_i32_f32_e32 v14, v1
.LBB102_2992:
	s_mov_b32 s20, 0
.LBB102_2993:
	s_delay_alu instid0(SALU_CYCLE_1)
	s_and_not1_b32 vcc_lo, exec_lo, s20
	s_cbranch_vccnz .LBB102_3004
; %bb.2994:
	s_cmp_lt_i32 s15, 6
	s_cbranch_scc1 .LBB102_2997
; %bb.2995:
	s_cmp_gt_i32 s15, 6
	s_cbranch_scc0 .LBB102_2998
; %bb.2996:
	s_wait_loadcnt 0x0
	global_load_b64 v[14:15], v[22:23], off
	s_mov_b32 s20, 0
	s_wait_loadcnt 0x0
	v_trunc_f64_e32 v[14:15], v[14:15]
	s_delay_alu instid0(VALU_DEP_1) | instskip(NEXT) | instid1(VALU_DEP_1)
	v_ldexp_f64 v[24:25], v[14:15], 0xffffffe0
	v_floor_f64_e32 v[24:25], v[24:25]
	s_delay_alu instid0(VALU_DEP_1) | instskip(NEXT) | instid1(VALU_DEP_1)
	v_fmamk_f64 v[14:15], v[24:25], 0xc1f00000, v[14:15]
	v_cvt_u32_f64_e32 v14, v[14:15]
	s_branch .LBB102_2999
.LBB102_2997:
	s_mov_b32 s20, -1
                                        ; implicit-def: $vgpr14
	s_branch .LBB102_3002
.LBB102_2998:
	s_mov_b32 s20, -1
                                        ; implicit-def: $vgpr14
.LBB102_2999:
	s_delay_alu instid0(SALU_CYCLE_1)
	s_and_not1_b32 vcc_lo, exec_lo, s20
	s_cbranch_vccnz .LBB102_3001
; %bb.3000:
	s_wait_loadcnt 0x0
	global_load_b32 v1, v[22:23], off
	s_wait_loadcnt 0x0
	v_trunc_f32_e32 v1, v1
	s_delay_alu instid0(VALU_DEP_1) | instskip(NEXT) | instid1(VALU_DEP_1)
	v_mul_f32_e64 v3, 0x2f800000, |v1|
	v_floor_f32_e32 v3, v3
	s_delay_alu instid0(VALU_DEP_1) | instskip(SKIP_1) | instid1(VALU_DEP_2)
	v_fma_f32 v3, 0xcf800000, v3, |v1|
	v_ashrrev_i32_e32 v1, 31, v1
	v_cvt_u32_f32_e32 v3, v3
	s_delay_alu instid0(VALU_DEP_1) | instskip(NEXT) | instid1(VALU_DEP_1)
	v_xor_b32_e32 v3, v3, v1
	v_sub_nc_u32_e32 v14, v3, v1
.LBB102_3001:
	s_mov_b32 s20, 0
.LBB102_3002:
	s_delay_alu instid0(SALU_CYCLE_1)
	s_and_not1_b32 vcc_lo, exec_lo, s20
	s_cbranch_vccnz .LBB102_3004
; %bb.3003:
	s_wait_loadcnt 0x0
	global_load_u16 v1, v[22:23], off
	s_wait_loadcnt 0x0
	v_cvt_f32_f16_e32 v1, v1
	s_delay_alu instid0(VALU_DEP_1)
	v_cvt_i32_f32_e32 v14, v1
.LBB102_3004:
	s_mov_b32 s20, 0
.LBB102_3005:
	s_delay_alu instid0(SALU_CYCLE_1)
	s_and_not1_b32 vcc_lo, exec_lo, s20
	s_cbranch_vccnz .LBB102_3025
; %bb.3006:
	s_cmp_lt_i32 s15, 2
	s_cbranch_scc1 .LBB102_3010
; %bb.3007:
	s_cmp_lt_i32 s15, 3
	s_cbranch_scc1 .LBB102_3011
; %bb.3008:
	s_cmp_gt_i32 s15, 3
	s_cbranch_scc0 .LBB102_3012
; %bb.3009:
	s_wait_loadcnt 0x0
	global_load_b64 v[14:15], v[22:23], off
	s_mov_b32 s20, 0
	s_branch .LBB102_3013
.LBB102_3010:
	s_mov_b32 s20, -1
                                        ; implicit-def: $vgpr14
	s_branch .LBB102_3019
.LBB102_3011:
	s_mov_b32 s20, -1
                                        ; implicit-def: $vgpr14
	s_branch .LBB102_3016
.LBB102_3012:
	s_mov_b32 s20, -1
                                        ; implicit-def: $vgpr14
.LBB102_3013:
	s_delay_alu instid0(SALU_CYCLE_1)
	s_and_not1_b32 vcc_lo, exec_lo, s20
	s_cbranch_vccnz .LBB102_3015
; %bb.3014:
	s_wait_loadcnt 0x0
	global_load_b32 v14, v[22:23], off
.LBB102_3015:
	s_mov_b32 s20, 0
.LBB102_3016:
	s_delay_alu instid0(SALU_CYCLE_1)
	s_and_not1_b32 vcc_lo, exec_lo, s20
	s_cbranch_vccnz .LBB102_3018
; %bb.3017:
	s_wait_loadcnt 0x0
	global_load_u16 v14, v[22:23], off
.LBB102_3018:
	s_mov_b32 s20, 0
.LBB102_3019:
	s_delay_alu instid0(SALU_CYCLE_1)
	s_and_not1_b32 vcc_lo, exec_lo, s20
	s_cbranch_vccnz .LBB102_3025
; %bb.3020:
	s_cmp_gt_i32 s15, 0
	s_mov_b32 s15, 0
	s_cbranch_scc0 .LBB102_3022
; %bb.3021:
	s_wait_loadcnt 0x0
	global_load_u8 v14, v[22:23], off
	s_branch .LBB102_3023
.LBB102_3022:
	s_mov_b32 s15, -1
                                        ; implicit-def: $vgpr14
.LBB102_3023:
	s_delay_alu instid0(SALU_CYCLE_1)
	s_and_not1_b32 vcc_lo, exec_lo, s15
	s_cbranch_vccnz .LBB102_3025
; %bb.3024:
	s_wait_loadcnt 0x0
	global_load_u8 v14, v[22:23], off
.LBB102_3025:
	s_mov_b32 s22, -1
.LBB102_3026:
	s_delay_alu instid0(SALU_CYCLE_1)
	s_and_not1_b32 vcc_lo, exec_lo, s22
	s_cbranch_vccnz .LBB102_3968
; %bb.3027:
	s_wait_xcnt 0x0
	v_add_nc_u32_e32 v22, s14, v16
	s_cmp_lt_i32 s0, 11
	s_delay_alu instid0(VALU_DEP_1) | instskip(NEXT) | instid1(VALU_DEP_1)
	v_ashrrev_i32_e32 v23, 31, v22
	v_add_nc_u64_e32 v[24:25], s[10:11], v[22:23]
	s_cbranch_scc1 .LBB102_3034
; %bb.3028:
	s_cmp_gt_i32 s0, 25
	s_mov_b32 s20, 0
	s_cbranch_scc0 .LBB102_3035
; %bb.3029:
	s_cmp_gt_i32 s0, 28
	s_cbranch_scc0 .LBB102_3036
; %bb.3030:
	s_cmp_gt_i32 s0, 43
	;; [unrolled: 3-line block ×3, first 2 shown]
	s_cbranch_scc0 .LBB102_3039
; %bb.3032:
	s_cmp_eq_u32 s0, 46
	s_mov_b32 s22, 0
	s_cbranch_scc0 .LBB102_3040
; %bb.3033:
	s_wait_loadcnt 0x0
	global_load_b32 v1, v[24:25], off
	s_mov_b32 s15, 0
	s_mov_b32 s21, -1
	s_wait_loadcnt 0x0
	v_lshlrev_b32_e32 v1, 16, v1
	s_delay_alu instid0(VALU_DEP_1) | instskip(NEXT) | instid1(VALU_DEP_1)
	v_trunc_f32_e32 v1, v1
	v_mul_f32_e64 v3, 0x2f800000, |v1|
	s_delay_alu instid0(VALU_DEP_1) | instskip(NEXT) | instid1(VALU_DEP_1)
	v_floor_f32_e32 v3, v3
	v_fma_f32 v3, 0xcf800000, v3, |v1|
	v_ashrrev_i32_e32 v1, 31, v1
	s_delay_alu instid0(VALU_DEP_2) | instskip(NEXT) | instid1(VALU_DEP_1)
	v_cvt_u32_f32_e32 v3, v3
	v_xor_b32_e32 v3, v3, v1
	s_delay_alu instid0(VALU_DEP_1)
	v_sub_nc_u32_e32 v16, v3, v1
	s_branch .LBB102_3042
.LBB102_3034:
	s_mov_b32 s15, -1
	s_mov_b32 s21, 0
                                        ; implicit-def: $vgpr16
	s_branch .LBB102_3104
.LBB102_3035:
	s_mov_b32 s22, -1
	s_mov_b32 s21, 0
	s_mov_b32 s15, 0
                                        ; implicit-def: $vgpr16
	s_branch .LBB102_3069
.LBB102_3036:
	s_mov_b32 s22, -1
	s_mov_b32 s21, 0
	s_mov_b32 s15, 0
                                        ; implicit-def: $vgpr16
	s_branch .LBB102_3052
.LBB102_3037:
	s_mov_b32 s22, -1
	s_mov_b32 s21, 0
	s_mov_b32 s15, 0
                                        ; implicit-def: $vgpr16
	s_branch .LBB102_3047
.LBB102_3038:
	s_or_b32 s16, s16, exec_lo
	s_trap 2
	s_cbranch_execz .LBB102_2975
	s_branch .LBB102_2976
.LBB102_3039:
	s_mov_b32 s22, -1
	s_mov_b32 s21, 0
	s_mov_b32 s15, 0
	s_branch .LBB102_3041
.LBB102_3040:
	s_mov_b32 s15, -1
	s_mov_b32 s21, 0
.LBB102_3041:
                                        ; implicit-def: $vgpr16
.LBB102_3042:
	s_and_b32 vcc_lo, exec_lo, s22
	s_cbranch_vccz .LBB102_3046
; %bb.3043:
	s_cmp_eq_u32 s0, 44
	s_cbranch_scc0 .LBB102_3045
; %bb.3044:
	s_wait_loadcnt 0x0
	global_load_u8 v1, v[24:25], off
	s_mov_b32 s15, 0
	s_mov_b32 s21, -1
	s_wait_loadcnt 0x0
	v_lshlrev_b32_e32 v3, 23, v1
	v_cmp_ne_u32_e32 vcc_lo, 0, v1
	s_delay_alu instid0(VALU_DEP_2) | instskip(NEXT) | instid1(VALU_DEP_1)
	v_trunc_f32_e32 v3, v3
	v_mul_f32_e64 v5, 0x2f800000, |v3|
	s_delay_alu instid0(VALU_DEP_1) | instskip(NEXT) | instid1(VALU_DEP_1)
	v_floor_f32_e32 v5, v5
	v_fma_f32 v5, 0xcf800000, v5, |v3|
	v_ashrrev_i32_e32 v3, 31, v3
	s_delay_alu instid0(VALU_DEP_2) | instskip(NEXT) | instid1(VALU_DEP_1)
	v_cvt_u32_f32_e32 v5, v5
	v_xor_b32_e32 v5, v5, v3
	s_delay_alu instid0(VALU_DEP_1) | instskip(NEXT) | instid1(VALU_DEP_1)
	v_sub_nc_u32_e32 v3, v5, v3
	v_cndmask_b32_e32 v16, 0, v3, vcc_lo
	s_branch .LBB102_3046
.LBB102_3045:
	s_mov_b32 s15, -1
                                        ; implicit-def: $vgpr16
.LBB102_3046:
	s_mov_b32 s22, 0
.LBB102_3047:
	s_delay_alu instid0(SALU_CYCLE_1)
	s_and_b32 vcc_lo, exec_lo, s22
	s_cbranch_vccz .LBB102_3051
; %bb.3048:
	s_cmp_eq_u32 s0, 29
	s_cbranch_scc0 .LBB102_3050
; %bb.3049:
	global_load_b64 v[16:17], v[24:25], off
	s_mov_b32 s15, 0
	s_mov_b32 s21, -1
	s_branch .LBB102_3051
.LBB102_3050:
	s_mov_b32 s15, -1
                                        ; implicit-def: $vgpr16
.LBB102_3051:
	s_mov_b32 s22, 0
.LBB102_3052:
	s_delay_alu instid0(SALU_CYCLE_1)
	s_and_b32 vcc_lo, exec_lo, s22
	s_cbranch_vccz .LBB102_3068
; %bb.3053:
	s_cmp_lt_i32 s0, 27
	s_cbranch_scc1 .LBB102_3056
; %bb.3054:
	s_cmp_gt_i32 s0, 27
	s_cbranch_scc0 .LBB102_3057
; %bb.3055:
	s_wait_loadcnt 0x0
	global_load_b32 v16, v[24:25], off
	s_mov_b32 s21, 0
	s_branch .LBB102_3058
.LBB102_3056:
	s_mov_b32 s21, -1
                                        ; implicit-def: $vgpr16
	s_branch .LBB102_3061
.LBB102_3057:
	s_mov_b32 s21, -1
                                        ; implicit-def: $vgpr16
.LBB102_3058:
	s_delay_alu instid0(SALU_CYCLE_1)
	s_and_not1_b32 vcc_lo, exec_lo, s21
	s_cbranch_vccnz .LBB102_3060
; %bb.3059:
	s_wait_loadcnt 0x0
	global_load_u16 v16, v[24:25], off
.LBB102_3060:
	s_mov_b32 s21, 0
.LBB102_3061:
	s_delay_alu instid0(SALU_CYCLE_1)
	s_and_not1_b32 vcc_lo, exec_lo, s21
	s_cbranch_vccnz .LBB102_3067
; %bb.3062:
	s_wait_loadcnt 0x0
	global_load_u8 v1, v[24:25], off
	s_mov_b32 s22, 0
	s_mov_b32 s21, exec_lo
	s_wait_loadcnt 0x0
	v_cmpx_lt_i16_e32 0x7f, v1
	s_xor_b32 s21, exec_lo, s21
	s_cbranch_execz .LBB102_3079
; %bb.3063:
	v_cmp_ne_u16_e32 vcc_lo, 0x80, v1
	s_and_b32 s22, vcc_lo, exec_lo
	s_and_not1_saveexec_b32 s21, s21
	s_cbranch_execnz .LBB102_3080
.LBB102_3064:
	s_or_b32 exec_lo, exec_lo, s21
	v_mov_b32_e32 v16, 0
	s_and_saveexec_b32 s21, s22
	s_cbranch_execz .LBB102_3066
.LBB102_3065:
	v_and_b32_e32 v3, 0xffff, v1
	s_delay_alu instid0(VALU_DEP_1) | instskip(SKIP_1) | instid1(VALU_DEP_2)
	v_dual_lshlrev_b32 v1, 24, v1 :: v_dual_bitop2_b32 v5, 7, v3 bitop3:0x40
	v_bfe_u32 v11, v3, 3, 4
	v_and_b32_e32 v1, 0x80000000, v1
	s_delay_alu instid0(VALU_DEP_3) | instskip(NEXT) | instid1(VALU_DEP_3)
	v_clz_i32_u32_e32 v7, v5
	v_cmp_eq_u32_e32 vcc_lo, 0, v11
	s_delay_alu instid0(VALU_DEP_2) | instskip(NEXT) | instid1(VALU_DEP_1)
	v_min_u32_e32 v7, 32, v7
	v_subrev_nc_u32_e32 v9, 28, v7
	v_sub_nc_u32_e32 v7, 29, v7
	s_delay_alu instid0(VALU_DEP_2) | instskip(NEXT) | instid1(VALU_DEP_2)
	v_lshlrev_b32_e32 v3, v9, v3
	v_cndmask_b32_e32 v7, v11, v7, vcc_lo
	s_delay_alu instid0(VALU_DEP_2) | instskip(NEXT) | instid1(VALU_DEP_1)
	v_and_b32_e32 v3, 7, v3
	v_cndmask_b32_e32 v3, v5, v3, vcc_lo
	s_delay_alu instid0(VALU_DEP_3) | instskip(NEXT) | instid1(VALU_DEP_2)
	v_lshl_add_u32 v5, v7, 23, 0x3b800000
	v_lshlrev_b32_e32 v3, 20, v3
	s_delay_alu instid0(VALU_DEP_1) | instskip(NEXT) | instid1(VALU_DEP_1)
	v_or3_b32 v1, v1, v5, v3
	v_trunc_f32_e32 v1, v1
	s_delay_alu instid0(VALU_DEP_1) | instskip(NEXT) | instid1(VALU_DEP_1)
	v_mul_f32_e64 v3, 0x2f800000, |v1|
	v_floor_f32_e32 v3, v3
	s_delay_alu instid0(VALU_DEP_1) | instskip(SKIP_1) | instid1(VALU_DEP_2)
	v_fma_f32 v3, 0xcf800000, v3, |v1|
	v_ashrrev_i32_e32 v1, 31, v1
	v_cvt_u32_f32_e32 v3, v3
	s_delay_alu instid0(VALU_DEP_1) | instskip(NEXT) | instid1(VALU_DEP_1)
	v_xor_b32_e32 v3, v3, v1
	v_sub_nc_u32_e32 v16, v3, v1
.LBB102_3066:
	s_or_b32 exec_lo, exec_lo, s21
.LBB102_3067:
	s_mov_b32 s21, -1
.LBB102_3068:
	s_mov_b32 s22, 0
.LBB102_3069:
	s_delay_alu instid0(SALU_CYCLE_1)
	s_and_b32 vcc_lo, exec_lo, s22
	s_cbranch_vccz .LBB102_3100
; %bb.3070:
	s_cmp_gt_i32 s0, 22
	s_cbranch_scc0 .LBB102_3078
; %bb.3071:
	s_cmp_lt_i32 s0, 24
	s_cbranch_scc1 .LBB102_3081
; %bb.3072:
	s_cmp_gt_i32 s0, 24
	s_cbranch_scc0 .LBB102_3082
; %bb.3073:
	s_wait_loadcnt 0x0
	global_load_u8 v1, v[24:25], off
	s_mov_b32 s21, 0
	s_mov_b32 s20, exec_lo
	s_wait_loadcnt 0x0
	v_cmpx_lt_i16_e32 0x7f, v1
	s_xor_b32 s20, exec_lo, s20
	s_cbranch_execz .LBB102_3094
; %bb.3074:
	v_cmp_ne_u16_e32 vcc_lo, 0x80, v1
	s_and_b32 s21, vcc_lo, exec_lo
	s_and_not1_saveexec_b32 s20, s20
	s_cbranch_execnz .LBB102_3095
.LBB102_3075:
	s_or_b32 exec_lo, exec_lo, s20
	v_mov_b32_e32 v16, 0
	s_and_saveexec_b32 s20, s21
	s_cbranch_execz .LBB102_3077
.LBB102_3076:
	v_and_b32_e32 v3, 0xffff, v1
	s_delay_alu instid0(VALU_DEP_1) | instskip(SKIP_1) | instid1(VALU_DEP_2)
	v_dual_lshlrev_b32 v1, 24, v1 :: v_dual_bitop2_b32 v5, 3, v3 bitop3:0x40
	v_bfe_u32 v11, v3, 2, 5
	v_and_b32_e32 v1, 0x80000000, v1
	s_delay_alu instid0(VALU_DEP_3) | instskip(NEXT) | instid1(VALU_DEP_3)
	v_clz_i32_u32_e32 v7, v5
	v_cmp_eq_u32_e32 vcc_lo, 0, v11
	s_delay_alu instid0(VALU_DEP_2) | instskip(NEXT) | instid1(VALU_DEP_1)
	v_min_u32_e32 v7, 32, v7
	v_subrev_nc_u32_e32 v9, 29, v7
	v_sub_nc_u32_e32 v7, 30, v7
	s_delay_alu instid0(VALU_DEP_2) | instskip(NEXT) | instid1(VALU_DEP_2)
	v_lshlrev_b32_e32 v3, v9, v3
	v_cndmask_b32_e32 v7, v11, v7, vcc_lo
	s_delay_alu instid0(VALU_DEP_2) | instskip(NEXT) | instid1(VALU_DEP_1)
	v_and_b32_e32 v3, 3, v3
	v_cndmask_b32_e32 v3, v5, v3, vcc_lo
	s_delay_alu instid0(VALU_DEP_3) | instskip(NEXT) | instid1(VALU_DEP_2)
	v_lshl_add_u32 v5, v7, 23, 0x37800000
	v_lshlrev_b32_e32 v3, 21, v3
	s_delay_alu instid0(VALU_DEP_1) | instskip(NEXT) | instid1(VALU_DEP_1)
	v_or3_b32 v1, v1, v5, v3
	v_trunc_f32_e32 v1, v1
	s_delay_alu instid0(VALU_DEP_1) | instskip(NEXT) | instid1(VALU_DEP_1)
	v_mul_f32_e64 v3, 0x2f800000, |v1|
	v_floor_f32_e32 v3, v3
	s_delay_alu instid0(VALU_DEP_1) | instskip(SKIP_1) | instid1(VALU_DEP_2)
	v_fma_f32 v3, 0xcf800000, v3, |v1|
	v_ashrrev_i32_e32 v1, 31, v1
	v_cvt_u32_f32_e32 v3, v3
	s_delay_alu instid0(VALU_DEP_1) | instskip(NEXT) | instid1(VALU_DEP_1)
	v_xor_b32_e32 v3, v3, v1
	v_sub_nc_u32_e32 v16, v3, v1
.LBB102_3077:
	s_or_b32 exec_lo, exec_lo, s20
	s_mov_b32 s20, 0
	s_branch .LBB102_3083
.LBB102_3078:
	s_mov_b32 s20, -1
                                        ; implicit-def: $vgpr16
	s_branch .LBB102_3089
.LBB102_3079:
	s_and_not1_saveexec_b32 s21, s21
	s_cbranch_execz .LBB102_3064
.LBB102_3080:
	v_cmp_ne_u16_e32 vcc_lo, 0, v1
	s_and_not1_b32 s22, s22, exec_lo
	s_and_b32 s23, vcc_lo, exec_lo
	s_delay_alu instid0(SALU_CYCLE_1)
	s_or_b32 s22, s22, s23
	s_or_b32 exec_lo, exec_lo, s21
	v_mov_b32_e32 v16, 0
	s_and_saveexec_b32 s21, s22
	s_cbranch_execnz .LBB102_3065
	s_branch .LBB102_3066
.LBB102_3081:
	s_mov_b32 s20, -1
                                        ; implicit-def: $vgpr16
	s_branch .LBB102_3086
.LBB102_3082:
	s_mov_b32 s20, -1
                                        ; implicit-def: $vgpr16
.LBB102_3083:
	s_delay_alu instid0(SALU_CYCLE_1)
	s_and_b32 vcc_lo, exec_lo, s20
	s_cbranch_vccz .LBB102_3085
; %bb.3084:
	s_wait_loadcnt 0x0
	global_load_u8 v1, v[24:25], off
	s_wait_loadcnt 0x0
	v_lshlrev_b32_e32 v1, 24, v1
	s_delay_alu instid0(VALU_DEP_1) | instskip(NEXT) | instid1(VALU_DEP_1)
	v_and_b32_e32 v3, 0x7f000000, v1
	v_clz_i32_u32_e32 v5, v3
	v_add_nc_u32_e32 v9, 0x1000000, v3
	v_cmp_ne_u32_e32 vcc_lo, 0, v3
	s_delay_alu instid0(VALU_DEP_3) | instskip(NEXT) | instid1(VALU_DEP_1)
	v_min_u32_e32 v5, 32, v5
	v_sub_nc_u32_e64 v5, v5, 4 clamp
	s_delay_alu instid0(VALU_DEP_1) | instskip(NEXT) | instid1(VALU_DEP_1)
	v_dual_lshlrev_b32 v7, v5, v3 :: v_dual_lshlrev_b32 v5, 23, v5
	v_lshrrev_b32_e32 v7, 4, v7
	s_delay_alu instid0(VALU_DEP_1) | instskip(SKIP_1) | instid1(VALU_DEP_2)
	v_sub_nc_u32_e32 v5, v7, v5
	v_ashrrev_i32_e32 v7, 8, v9
	v_add_nc_u32_e32 v5, 0x3c000000, v5
	s_delay_alu instid0(VALU_DEP_1) | instskip(NEXT) | instid1(VALU_DEP_1)
	v_and_or_b32 v5, 0x7f800000, v7, v5
	v_cndmask_b32_e32 v3, 0, v5, vcc_lo
	s_delay_alu instid0(VALU_DEP_1) | instskip(NEXT) | instid1(VALU_DEP_1)
	v_and_or_b32 v1, 0x80000000, v1, v3
	v_trunc_f32_e32 v1, v1
	s_delay_alu instid0(VALU_DEP_1) | instskip(NEXT) | instid1(VALU_DEP_1)
	v_mul_f32_e64 v3, 0x2f800000, |v1|
	v_floor_f32_e32 v3, v3
	s_delay_alu instid0(VALU_DEP_1) | instskip(SKIP_1) | instid1(VALU_DEP_2)
	v_fma_f32 v3, 0xcf800000, v3, |v1|
	v_ashrrev_i32_e32 v1, 31, v1
	v_cvt_u32_f32_e32 v3, v3
	s_delay_alu instid0(VALU_DEP_1) | instskip(NEXT) | instid1(VALU_DEP_1)
	v_xor_b32_e32 v3, v3, v1
	v_sub_nc_u32_e32 v16, v3, v1
.LBB102_3085:
	s_mov_b32 s20, 0
.LBB102_3086:
	s_delay_alu instid0(SALU_CYCLE_1)
	s_and_not1_b32 vcc_lo, exec_lo, s20
	s_cbranch_vccnz .LBB102_3088
; %bb.3087:
	s_wait_loadcnt 0x0
	global_load_u8 v1, v[24:25], off
	s_wait_loadcnt 0x0
	v_lshlrev_b32_e32 v3, 25, v1
	v_lshlrev_b16 v1, 8, v1
	s_delay_alu instid0(VALU_DEP_1) | instskip(SKIP_1) | instid1(VALU_DEP_2)
	v_and_or_b32 v7, 0x7f00, v1, 0.5
	v_bfe_i32 v1, v1, 0, 16
	v_add_f32_e32 v7, -0.5, v7
	v_lshrrev_b32_e32 v5, 4, v3
	v_cmp_gt_u32_e32 vcc_lo, 0x8000000, v3
	s_delay_alu instid0(VALU_DEP_2) | instskip(NEXT) | instid1(VALU_DEP_1)
	v_or_b32_e32 v5, 0x70000000, v5
	v_mul_f32_e32 v5, 0x7800000, v5
	s_delay_alu instid0(VALU_DEP_1) | instskip(NEXT) | instid1(VALU_DEP_1)
	v_cndmask_b32_e32 v3, v5, v7, vcc_lo
	v_and_or_b32 v1, 0x80000000, v1, v3
	s_delay_alu instid0(VALU_DEP_1) | instskip(NEXT) | instid1(VALU_DEP_1)
	v_trunc_f32_e32 v1, v1
	v_mul_f32_e64 v3, 0x2f800000, |v1|
	s_delay_alu instid0(VALU_DEP_1) | instskip(NEXT) | instid1(VALU_DEP_1)
	v_floor_f32_e32 v3, v3
	v_fma_f32 v3, 0xcf800000, v3, |v1|
	v_ashrrev_i32_e32 v1, 31, v1
	s_delay_alu instid0(VALU_DEP_2) | instskip(NEXT) | instid1(VALU_DEP_1)
	v_cvt_u32_f32_e32 v3, v3
	v_xor_b32_e32 v3, v3, v1
	s_delay_alu instid0(VALU_DEP_1)
	v_sub_nc_u32_e32 v16, v3, v1
.LBB102_3088:
	s_mov_b32 s20, 0
	s_mov_b32 s21, -1
.LBB102_3089:
	s_and_not1_b32 vcc_lo, exec_lo, s20
	s_mov_b32 s20, 0
	s_cbranch_vccnz .LBB102_3100
; %bb.3090:
	s_cmp_gt_i32 s0, 14
	s_cbranch_scc0 .LBB102_3093
; %bb.3091:
	s_cmp_eq_u32 s0, 15
	s_cbranch_scc0 .LBB102_3096
; %bb.3092:
	s_wait_loadcnt 0x0
	global_load_u16 v1, v[24:25], off
	s_mov_b32 s15, 0
	s_mov_b32 s21, -1
	s_wait_loadcnt 0x0
	v_lshlrev_b32_e32 v1, 16, v1
	s_delay_alu instid0(VALU_DEP_1) | instskip(NEXT) | instid1(VALU_DEP_1)
	v_trunc_f32_e32 v1, v1
	v_mul_f32_e64 v3, 0x2f800000, |v1|
	s_delay_alu instid0(VALU_DEP_1) | instskip(NEXT) | instid1(VALU_DEP_1)
	v_floor_f32_e32 v3, v3
	v_fma_f32 v3, 0xcf800000, v3, |v1|
	v_ashrrev_i32_e32 v1, 31, v1
	s_delay_alu instid0(VALU_DEP_2) | instskip(NEXT) | instid1(VALU_DEP_1)
	v_cvt_u32_f32_e32 v3, v3
	v_xor_b32_e32 v3, v3, v1
	s_delay_alu instid0(VALU_DEP_1)
	v_sub_nc_u32_e32 v16, v3, v1
	s_branch .LBB102_3098
.LBB102_3093:
	s_mov_b32 s20, -1
	s_branch .LBB102_3097
.LBB102_3094:
	s_and_not1_saveexec_b32 s20, s20
	s_cbranch_execz .LBB102_3075
.LBB102_3095:
	v_cmp_ne_u16_e32 vcc_lo, 0, v1
	s_and_not1_b32 s21, s21, exec_lo
	s_and_b32 s22, vcc_lo, exec_lo
	s_delay_alu instid0(SALU_CYCLE_1)
	s_or_b32 s21, s21, s22
	s_or_b32 exec_lo, exec_lo, s20
	v_mov_b32_e32 v16, 0
	s_and_saveexec_b32 s20, s21
	s_cbranch_execnz .LBB102_3076
	s_branch .LBB102_3077
.LBB102_3096:
	s_mov_b32 s15, -1
.LBB102_3097:
                                        ; implicit-def: $vgpr16
.LBB102_3098:
	s_and_b32 vcc_lo, exec_lo, s20
	s_mov_b32 s20, 0
	s_cbranch_vccz .LBB102_3100
; %bb.3099:
	s_cmp_lg_u32 s0, 11
	s_mov_b32 s20, -1
	s_cselect_b32 s15, -1, 0
.LBB102_3100:
	s_delay_alu instid0(SALU_CYCLE_1)
	s_and_b32 vcc_lo, exec_lo, s15
	s_cbranch_vccnz .LBB102_3165
; %bb.3101:
	s_and_not1_b32 vcc_lo, exec_lo, s20
	s_cbranch_vccnz .LBB102_3103
.LBB102_3102:
	s_wait_loadcnt 0x0
	global_load_u8 v1, v[24:25], off
	s_mov_b32 s21, -1
	s_wait_loadcnt 0x0
	v_cmp_ne_u16_e32 vcc_lo, 0, v1
	v_cndmask_b32_e64 v16, 0, 1, vcc_lo
.LBB102_3103:
	s_mov_b32 s15, 0
.LBB102_3104:
	s_delay_alu instid0(SALU_CYCLE_1)
	s_and_b32 vcc_lo, exec_lo, s15
	s_cbranch_vccz .LBB102_3153
; %bb.3105:
	s_cmp_lt_i32 s0, 5
	s_cbranch_scc1 .LBB102_3110
; %bb.3106:
	s_cmp_lt_i32 s0, 8
	s_cbranch_scc1 .LBB102_3111
	;; [unrolled: 3-line block ×3, first 2 shown]
; %bb.3108:
	s_cmp_gt_i32 s0, 9
	s_cbranch_scc0 .LBB102_3113
; %bb.3109:
	s_wait_loadcnt 0x0
	global_load_b64 v[16:17], v[24:25], off
	s_mov_b32 s15, 0
	s_wait_loadcnt 0x0
	v_trunc_f64_e32 v[16:17], v[16:17]
	s_delay_alu instid0(VALU_DEP_1) | instskip(NEXT) | instid1(VALU_DEP_1)
	v_ldexp_f64 v[28:29], v[16:17], 0xffffffe0
	v_floor_f64_e32 v[28:29], v[28:29]
	s_delay_alu instid0(VALU_DEP_1) | instskip(NEXT) | instid1(VALU_DEP_1)
	v_fmamk_f64 v[16:17], v[28:29], 0xc1f00000, v[16:17]
	v_cvt_u32_f64_e32 v16, v[16:17]
	s_branch .LBB102_3114
.LBB102_3110:
	s_mov_b32 s15, -1
                                        ; implicit-def: $vgpr16
	s_branch .LBB102_3132
.LBB102_3111:
	s_mov_b32 s15, -1
                                        ; implicit-def: $vgpr16
	s_branch .LBB102_3120
.LBB102_3112:
	s_mov_b32 s15, -1
                                        ; implicit-def: $vgpr16
	s_branch .LBB102_3117
.LBB102_3113:
	s_mov_b32 s15, -1
                                        ; implicit-def: $vgpr16
.LBB102_3114:
	s_delay_alu instid0(SALU_CYCLE_1)
	s_and_not1_b32 vcc_lo, exec_lo, s15
	s_cbranch_vccnz .LBB102_3116
; %bb.3115:
	s_wait_loadcnt 0x0
	global_load_b32 v1, v[24:25], off
	s_wait_loadcnt 0x0
	v_trunc_f32_e32 v1, v1
	s_delay_alu instid0(VALU_DEP_1) | instskip(NEXT) | instid1(VALU_DEP_1)
	v_mul_f32_e64 v3, 0x2f800000, |v1|
	v_floor_f32_e32 v3, v3
	s_delay_alu instid0(VALU_DEP_1) | instskip(SKIP_1) | instid1(VALU_DEP_2)
	v_fma_f32 v3, 0xcf800000, v3, |v1|
	v_ashrrev_i32_e32 v1, 31, v1
	v_cvt_u32_f32_e32 v3, v3
	s_delay_alu instid0(VALU_DEP_1) | instskip(NEXT) | instid1(VALU_DEP_1)
	v_xor_b32_e32 v3, v3, v1
	v_sub_nc_u32_e32 v16, v3, v1
.LBB102_3116:
	s_mov_b32 s15, 0
.LBB102_3117:
	s_delay_alu instid0(SALU_CYCLE_1)
	s_and_not1_b32 vcc_lo, exec_lo, s15
	s_cbranch_vccnz .LBB102_3119
; %bb.3118:
	s_wait_loadcnt 0x0
	global_load_b32 v1, v[24:25], off
	s_wait_loadcnt 0x0
	v_cvt_f32_f16_e32 v1, v1
	s_delay_alu instid0(VALU_DEP_1)
	v_cvt_i32_f32_e32 v16, v1
.LBB102_3119:
	s_mov_b32 s15, 0
.LBB102_3120:
	s_delay_alu instid0(SALU_CYCLE_1)
	s_and_not1_b32 vcc_lo, exec_lo, s15
	s_cbranch_vccnz .LBB102_3131
; %bb.3121:
	s_cmp_lt_i32 s0, 6
	s_cbranch_scc1 .LBB102_3124
; %bb.3122:
	s_cmp_gt_i32 s0, 6
	s_cbranch_scc0 .LBB102_3125
; %bb.3123:
	s_wait_loadcnt 0x0
	global_load_b64 v[16:17], v[24:25], off
	s_mov_b32 s15, 0
	s_wait_loadcnt 0x0
	v_trunc_f64_e32 v[16:17], v[16:17]
	s_delay_alu instid0(VALU_DEP_1) | instskip(NEXT) | instid1(VALU_DEP_1)
	v_ldexp_f64 v[28:29], v[16:17], 0xffffffe0
	v_floor_f64_e32 v[28:29], v[28:29]
	s_delay_alu instid0(VALU_DEP_1) | instskip(NEXT) | instid1(VALU_DEP_1)
	v_fmamk_f64 v[16:17], v[28:29], 0xc1f00000, v[16:17]
	v_cvt_u32_f64_e32 v16, v[16:17]
	s_branch .LBB102_3126
.LBB102_3124:
	s_mov_b32 s15, -1
                                        ; implicit-def: $vgpr16
	s_branch .LBB102_3129
.LBB102_3125:
	s_mov_b32 s15, -1
                                        ; implicit-def: $vgpr16
.LBB102_3126:
	s_delay_alu instid0(SALU_CYCLE_1)
	s_and_not1_b32 vcc_lo, exec_lo, s15
	s_cbranch_vccnz .LBB102_3128
; %bb.3127:
	s_wait_loadcnt 0x0
	global_load_b32 v1, v[24:25], off
	s_wait_loadcnt 0x0
	v_trunc_f32_e32 v1, v1
	s_delay_alu instid0(VALU_DEP_1) | instskip(NEXT) | instid1(VALU_DEP_1)
	v_mul_f32_e64 v3, 0x2f800000, |v1|
	v_floor_f32_e32 v3, v3
	s_delay_alu instid0(VALU_DEP_1) | instskip(SKIP_1) | instid1(VALU_DEP_2)
	v_fma_f32 v3, 0xcf800000, v3, |v1|
	v_ashrrev_i32_e32 v1, 31, v1
	v_cvt_u32_f32_e32 v3, v3
	s_delay_alu instid0(VALU_DEP_1) | instskip(NEXT) | instid1(VALU_DEP_1)
	v_xor_b32_e32 v3, v3, v1
	v_sub_nc_u32_e32 v16, v3, v1
.LBB102_3128:
	s_mov_b32 s15, 0
.LBB102_3129:
	s_delay_alu instid0(SALU_CYCLE_1)
	s_and_not1_b32 vcc_lo, exec_lo, s15
	s_cbranch_vccnz .LBB102_3131
; %bb.3130:
	s_wait_loadcnt 0x0
	global_load_u16 v1, v[24:25], off
	s_wait_loadcnt 0x0
	v_cvt_f32_f16_e32 v1, v1
	s_delay_alu instid0(VALU_DEP_1)
	v_cvt_i32_f32_e32 v16, v1
.LBB102_3131:
	s_mov_b32 s15, 0
.LBB102_3132:
	s_delay_alu instid0(SALU_CYCLE_1)
	s_and_not1_b32 vcc_lo, exec_lo, s15
	s_cbranch_vccnz .LBB102_3152
; %bb.3133:
	s_cmp_lt_i32 s0, 2
	s_cbranch_scc1 .LBB102_3137
; %bb.3134:
	s_cmp_lt_i32 s0, 3
	s_cbranch_scc1 .LBB102_3138
; %bb.3135:
	s_cmp_gt_i32 s0, 3
	s_cbranch_scc0 .LBB102_3139
; %bb.3136:
	s_wait_loadcnt 0x0
	global_load_b64 v[16:17], v[24:25], off
	s_mov_b32 s15, 0
	s_branch .LBB102_3140
.LBB102_3137:
	s_mov_b32 s15, -1
                                        ; implicit-def: $vgpr16
	s_branch .LBB102_3146
.LBB102_3138:
	s_mov_b32 s15, -1
                                        ; implicit-def: $vgpr16
	s_branch .LBB102_3143
.LBB102_3139:
	s_mov_b32 s15, -1
                                        ; implicit-def: $vgpr16
.LBB102_3140:
	s_delay_alu instid0(SALU_CYCLE_1)
	s_and_not1_b32 vcc_lo, exec_lo, s15
	s_cbranch_vccnz .LBB102_3142
; %bb.3141:
	s_wait_loadcnt 0x0
	global_load_b32 v16, v[24:25], off
.LBB102_3142:
	s_mov_b32 s15, 0
.LBB102_3143:
	s_delay_alu instid0(SALU_CYCLE_1)
	s_and_not1_b32 vcc_lo, exec_lo, s15
	s_cbranch_vccnz .LBB102_3145
; %bb.3144:
	s_wait_loadcnt 0x0
	global_load_u16 v16, v[24:25], off
.LBB102_3145:
	s_mov_b32 s15, 0
.LBB102_3146:
	s_delay_alu instid0(SALU_CYCLE_1)
	s_and_not1_b32 vcc_lo, exec_lo, s15
	s_cbranch_vccnz .LBB102_3152
; %bb.3147:
	s_cmp_gt_i32 s0, 0
	s_mov_b32 s15, 0
	s_cbranch_scc0 .LBB102_3149
; %bb.3148:
	s_wait_loadcnt 0x0
	global_load_u8 v16, v[24:25], off
	s_branch .LBB102_3150
.LBB102_3149:
	s_mov_b32 s15, -1
                                        ; implicit-def: $vgpr16
.LBB102_3150:
	s_delay_alu instid0(SALU_CYCLE_1)
	s_and_not1_b32 vcc_lo, exec_lo, s15
	s_cbranch_vccnz .LBB102_3152
; %bb.3151:
	s_wait_loadcnt 0x0
	global_load_u8 v16, v[24:25], off
.LBB102_3152:
	s_mov_b32 s21, -1
.LBB102_3153:
	s_delay_alu instid0(SALU_CYCLE_1)
	s_and_not1_b32 vcc_lo, exec_lo, s21
	s_cbranch_vccnz .LBB102_3968
; %bb.3154:
	v_add_nc_u32_e32 v18, s1, v18
	s_cmp_lt_i32 s17, 11
	s_delay_alu instid0(VALU_DEP_1) | instskip(SKIP_1) | instid1(VALU_DEP_1)
	v_ashrrev_i32_e32 v19, 31, v18
	s_wait_xcnt 0x0
	v_add_nc_u64_e32 v[24:25], s[6:7], v[18:19]
	s_cbranch_scc1 .LBB102_3161
; %bb.3155:
	s_and_b32 s1, 0xffff, s17
	s_mov_b32 s7, 0
	s_cmp_gt_i32 s1, 25
	s_cbranch_scc0 .LBB102_3162
; %bb.3156:
	s_cmp_gt_i32 s1, 28
	s_cbranch_scc0 .LBB102_3163
; %bb.3157:
	s_cmp_gt_i32 s1, 43
	s_cbranch_scc0 .LBB102_3164
; %bb.3158:
	s_cmp_gt_i32 s1, 45
	s_cbranch_scc0 .LBB102_3166
; %bb.3159:
	s_cmp_eq_u32 s1, 46
	s_mov_b32 s20, 0
	s_cbranch_scc0 .LBB102_3167
; %bb.3160:
	s_wait_loadcnt 0x0
	global_load_b32 v1, v[24:25], off
	s_mov_b32 s6, 0
	s_mov_b32 s15, -1
	s_wait_loadcnt 0x0
	v_lshlrev_b32_e32 v1, 16, v1
	s_delay_alu instid0(VALU_DEP_1) | instskip(NEXT) | instid1(VALU_DEP_1)
	v_trunc_f32_e32 v1, v1
	v_mul_f32_e64 v3, 0x2f800000, |v1|
	s_delay_alu instid0(VALU_DEP_1) | instskip(NEXT) | instid1(VALU_DEP_1)
	v_floor_f32_e32 v3, v3
	v_fma_f32 v3, 0xcf800000, v3, |v1|
	v_ashrrev_i32_e32 v1, 31, v1
	s_delay_alu instid0(VALU_DEP_2) | instskip(NEXT) | instid1(VALU_DEP_1)
	v_cvt_u32_f32_e32 v3, v3
	v_xor_b32_e32 v3, v3, v1
	s_delay_alu instid0(VALU_DEP_1)
	v_sub_nc_u32_e32 v18, v3, v1
	s_branch .LBB102_3169
.LBB102_3161:
	s_mov_b32 s1, -1
	s_mov_b32 s15, 0
                                        ; implicit-def: $vgpr18
	s_branch .LBB102_3231
.LBB102_3162:
	s_mov_b32 s20, -1
	s_mov_b32 s15, 0
	s_mov_b32 s6, 0
                                        ; implicit-def: $vgpr18
	s_branch .LBB102_3196
.LBB102_3163:
	s_mov_b32 s20, -1
	s_mov_b32 s15, 0
	s_mov_b32 s6, 0
                                        ; implicit-def: $vgpr18
	s_branch .LBB102_3179
.LBB102_3164:
	s_mov_b32 s20, -1
	s_mov_b32 s15, 0
	s_mov_b32 s6, 0
                                        ; implicit-def: $vgpr18
	s_branch .LBB102_3174
.LBB102_3165:
	s_or_b32 s16, s16, exec_lo
	s_trap 2
	s_cbranch_execz .LBB102_3102
	s_branch .LBB102_3103
.LBB102_3166:
	s_mov_b32 s20, -1
	s_mov_b32 s15, 0
	s_mov_b32 s6, 0
	s_branch .LBB102_3168
.LBB102_3167:
	s_mov_b32 s6, -1
	s_mov_b32 s15, 0
.LBB102_3168:
                                        ; implicit-def: $vgpr18
.LBB102_3169:
	s_and_b32 vcc_lo, exec_lo, s20
	s_cbranch_vccz .LBB102_3173
; %bb.3170:
	s_cmp_eq_u32 s1, 44
	s_cbranch_scc0 .LBB102_3172
; %bb.3171:
	s_wait_loadcnt 0x0
	global_load_u8 v1, v[24:25], off
	s_mov_b32 s6, 0
	s_mov_b32 s15, -1
	s_wait_loadcnt 0x0
	v_lshlrev_b32_e32 v3, 23, v1
	v_cmp_ne_u32_e32 vcc_lo, 0, v1
	s_delay_alu instid0(VALU_DEP_2) | instskip(NEXT) | instid1(VALU_DEP_1)
	v_trunc_f32_e32 v3, v3
	v_mul_f32_e64 v5, 0x2f800000, |v3|
	s_delay_alu instid0(VALU_DEP_1) | instskip(NEXT) | instid1(VALU_DEP_1)
	v_floor_f32_e32 v5, v5
	v_fma_f32 v5, 0xcf800000, v5, |v3|
	v_ashrrev_i32_e32 v3, 31, v3
	s_delay_alu instid0(VALU_DEP_2) | instskip(NEXT) | instid1(VALU_DEP_1)
	v_cvt_u32_f32_e32 v5, v5
	v_xor_b32_e32 v5, v5, v3
	s_delay_alu instid0(VALU_DEP_1) | instskip(NEXT) | instid1(VALU_DEP_1)
	v_sub_nc_u32_e32 v3, v5, v3
	v_cndmask_b32_e32 v18, 0, v3, vcc_lo
	s_branch .LBB102_3173
.LBB102_3172:
	s_mov_b32 s6, -1
                                        ; implicit-def: $vgpr18
.LBB102_3173:
	s_mov_b32 s20, 0
.LBB102_3174:
	s_delay_alu instid0(SALU_CYCLE_1)
	s_and_b32 vcc_lo, exec_lo, s20
	s_cbranch_vccz .LBB102_3178
; %bb.3175:
	s_cmp_eq_u32 s1, 29
	s_cbranch_scc0 .LBB102_3177
; %bb.3176:
	global_load_b64 v[18:19], v[24:25], off
	s_mov_b32 s6, 0
	s_mov_b32 s15, -1
	s_branch .LBB102_3178
.LBB102_3177:
	s_mov_b32 s6, -1
                                        ; implicit-def: $vgpr18
.LBB102_3178:
	s_mov_b32 s20, 0
.LBB102_3179:
	s_delay_alu instid0(SALU_CYCLE_1)
	s_and_b32 vcc_lo, exec_lo, s20
	s_cbranch_vccz .LBB102_3195
; %bb.3180:
	s_cmp_lt_i32 s1, 27
	s_cbranch_scc1 .LBB102_3183
; %bb.3181:
	s_cmp_gt_i32 s1, 27
	s_cbranch_scc0 .LBB102_3184
; %bb.3182:
	s_wait_loadcnt 0x0
	global_load_b32 v18, v[24:25], off
	s_mov_b32 s15, 0
	s_branch .LBB102_3185
.LBB102_3183:
	s_mov_b32 s15, -1
                                        ; implicit-def: $vgpr18
	s_branch .LBB102_3188
.LBB102_3184:
	s_mov_b32 s15, -1
                                        ; implicit-def: $vgpr18
.LBB102_3185:
	s_delay_alu instid0(SALU_CYCLE_1)
	s_and_not1_b32 vcc_lo, exec_lo, s15
	s_cbranch_vccnz .LBB102_3187
; %bb.3186:
	s_wait_loadcnt 0x0
	global_load_u16 v18, v[24:25], off
.LBB102_3187:
	s_mov_b32 s15, 0
.LBB102_3188:
	s_delay_alu instid0(SALU_CYCLE_1)
	s_and_not1_b32 vcc_lo, exec_lo, s15
	s_cbranch_vccnz .LBB102_3194
; %bb.3189:
	s_wait_loadcnt 0x0
	global_load_u8 v1, v[24:25], off
	s_mov_b32 s20, 0
	s_mov_b32 s15, exec_lo
	s_wait_loadcnt 0x0
	v_cmpx_lt_i16_e32 0x7f, v1
	s_xor_b32 s15, exec_lo, s15
	s_cbranch_execz .LBB102_3206
; %bb.3190:
	v_cmp_ne_u16_e32 vcc_lo, 0x80, v1
	s_and_b32 s20, vcc_lo, exec_lo
	s_and_not1_saveexec_b32 s15, s15
	s_cbranch_execnz .LBB102_3207
.LBB102_3191:
	s_or_b32 exec_lo, exec_lo, s15
	v_mov_b32_e32 v18, 0
	s_and_saveexec_b32 s15, s20
	s_cbranch_execz .LBB102_3193
.LBB102_3192:
	v_and_b32_e32 v3, 0xffff, v1
	s_delay_alu instid0(VALU_DEP_1) | instskip(SKIP_1) | instid1(VALU_DEP_2)
	v_dual_lshlrev_b32 v1, 24, v1 :: v_dual_bitop2_b32 v5, 7, v3 bitop3:0x40
	v_bfe_u32 v11, v3, 3, 4
	v_and_b32_e32 v1, 0x80000000, v1
	s_delay_alu instid0(VALU_DEP_3) | instskip(NEXT) | instid1(VALU_DEP_3)
	v_clz_i32_u32_e32 v7, v5
	v_cmp_eq_u32_e32 vcc_lo, 0, v11
	s_delay_alu instid0(VALU_DEP_2) | instskip(NEXT) | instid1(VALU_DEP_1)
	v_min_u32_e32 v7, 32, v7
	v_subrev_nc_u32_e32 v9, 28, v7
	v_sub_nc_u32_e32 v7, 29, v7
	s_delay_alu instid0(VALU_DEP_2) | instskip(NEXT) | instid1(VALU_DEP_2)
	v_lshlrev_b32_e32 v3, v9, v3
	v_cndmask_b32_e32 v7, v11, v7, vcc_lo
	s_delay_alu instid0(VALU_DEP_2) | instskip(NEXT) | instid1(VALU_DEP_1)
	v_and_b32_e32 v3, 7, v3
	v_cndmask_b32_e32 v3, v5, v3, vcc_lo
	s_delay_alu instid0(VALU_DEP_3) | instskip(NEXT) | instid1(VALU_DEP_2)
	v_lshl_add_u32 v5, v7, 23, 0x3b800000
	v_lshlrev_b32_e32 v3, 20, v3
	s_delay_alu instid0(VALU_DEP_1) | instskip(NEXT) | instid1(VALU_DEP_1)
	v_or3_b32 v1, v1, v5, v3
	v_trunc_f32_e32 v1, v1
	s_delay_alu instid0(VALU_DEP_1) | instskip(NEXT) | instid1(VALU_DEP_1)
	v_mul_f32_e64 v3, 0x2f800000, |v1|
	v_floor_f32_e32 v3, v3
	s_delay_alu instid0(VALU_DEP_1) | instskip(SKIP_1) | instid1(VALU_DEP_2)
	v_fma_f32 v3, 0xcf800000, v3, |v1|
	v_ashrrev_i32_e32 v1, 31, v1
	v_cvt_u32_f32_e32 v3, v3
	s_delay_alu instid0(VALU_DEP_1) | instskip(NEXT) | instid1(VALU_DEP_1)
	v_xor_b32_e32 v3, v3, v1
	v_sub_nc_u32_e32 v18, v3, v1
.LBB102_3193:
	s_or_b32 exec_lo, exec_lo, s15
.LBB102_3194:
	s_mov_b32 s15, -1
.LBB102_3195:
	s_mov_b32 s20, 0
.LBB102_3196:
	s_delay_alu instid0(SALU_CYCLE_1)
	s_and_b32 vcc_lo, exec_lo, s20
	s_cbranch_vccz .LBB102_3227
; %bb.3197:
	s_cmp_gt_i32 s1, 22
	s_cbranch_scc0 .LBB102_3205
; %bb.3198:
	s_cmp_lt_i32 s1, 24
	s_cbranch_scc1 .LBB102_3208
; %bb.3199:
	s_cmp_gt_i32 s1, 24
	s_cbranch_scc0 .LBB102_3209
; %bb.3200:
	s_wait_loadcnt 0x0
	global_load_u8 v1, v[24:25], off
	s_mov_b32 s15, 0
	s_mov_b32 s7, exec_lo
	s_wait_loadcnt 0x0
	v_cmpx_lt_i16_e32 0x7f, v1
	s_xor_b32 s7, exec_lo, s7
	s_cbranch_execz .LBB102_3221
; %bb.3201:
	v_cmp_ne_u16_e32 vcc_lo, 0x80, v1
	s_and_b32 s15, vcc_lo, exec_lo
	s_and_not1_saveexec_b32 s7, s7
	s_cbranch_execnz .LBB102_3222
.LBB102_3202:
	s_or_b32 exec_lo, exec_lo, s7
	v_mov_b32_e32 v18, 0
	s_and_saveexec_b32 s7, s15
	s_cbranch_execz .LBB102_3204
.LBB102_3203:
	v_and_b32_e32 v3, 0xffff, v1
	s_delay_alu instid0(VALU_DEP_1) | instskip(SKIP_1) | instid1(VALU_DEP_2)
	v_dual_lshlrev_b32 v1, 24, v1 :: v_dual_bitop2_b32 v5, 3, v3 bitop3:0x40
	v_bfe_u32 v11, v3, 2, 5
	v_and_b32_e32 v1, 0x80000000, v1
	s_delay_alu instid0(VALU_DEP_3) | instskip(NEXT) | instid1(VALU_DEP_3)
	v_clz_i32_u32_e32 v7, v5
	v_cmp_eq_u32_e32 vcc_lo, 0, v11
	s_delay_alu instid0(VALU_DEP_2) | instskip(NEXT) | instid1(VALU_DEP_1)
	v_min_u32_e32 v7, 32, v7
	v_subrev_nc_u32_e32 v9, 29, v7
	v_sub_nc_u32_e32 v7, 30, v7
	s_delay_alu instid0(VALU_DEP_2) | instskip(NEXT) | instid1(VALU_DEP_2)
	v_lshlrev_b32_e32 v3, v9, v3
	v_cndmask_b32_e32 v7, v11, v7, vcc_lo
	s_delay_alu instid0(VALU_DEP_2) | instskip(NEXT) | instid1(VALU_DEP_1)
	v_and_b32_e32 v3, 3, v3
	v_cndmask_b32_e32 v3, v5, v3, vcc_lo
	s_delay_alu instid0(VALU_DEP_3) | instskip(NEXT) | instid1(VALU_DEP_2)
	v_lshl_add_u32 v5, v7, 23, 0x37800000
	v_lshlrev_b32_e32 v3, 21, v3
	s_delay_alu instid0(VALU_DEP_1) | instskip(NEXT) | instid1(VALU_DEP_1)
	v_or3_b32 v1, v1, v5, v3
	v_trunc_f32_e32 v1, v1
	s_delay_alu instid0(VALU_DEP_1) | instskip(NEXT) | instid1(VALU_DEP_1)
	v_mul_f32_e64 v3, 0x2f800000, |v1|
	v_floor_f32_e32 v3, v3
	s_delay_alu instid0(VALU_DEP_1) | instskip(SKIP_1) | instid1(VALU_DEP_2)
	v_fma_f32 v3, 0xcf800000, v3, |v1|
	v_ashrrev_i32_e32 v1, 31, v1
	v_cvt_u32_f32_e32 v3, v3
	s_delay_alu instid0(VALU_DEP_1) | instskip(NEXT) | instid1(VALU_DEP_1)
	v_xor_b32_e32 v3, v3, v1
	v_sub_nc_u32_e32 v18, v3, v1
.LBB102_3204:
	s_or_b32 exec_lo, exec_lo, s7
	s_mov_b32 s7, 0
	s_branch .LBB102_3210
.LBB102_3205:
	s_mov_b32 s7, -1
                                        ; implicit-def: $vgpr18
	s_branch .LBB102_3216
.LBB102_3206:
	s_and_not1_saveexec_b32 s15, s15
	s_cbranch_execz .LBB102_3191
.LBB102_3207:
	v_cmp_ne_u16_e32 vcc_lo, 0, v1
	s_and_not1_b32 s20, s20, exec_lo
	s_and_b32 s21, vcc_lo, exec_lo
	s_delay_alu instid0(SALU_CYCLE_1)
	s_or_b32 s20, s20, s21
	s_or_b32 exec_lo, exec_lo, s15
	v_mov_b32_e32 v18, 0
	s_and_saveexec_b32 s15, s20
	s_cbranch_execnz .LBB102_3192
	s_branch .LBB102_3193
.LBB102_3208:
	s_mov_b32 s7, -1
                                        ; implicit-def: $vgpr18
	s_branch .LBB102_3213
.LBB102_3209:
	s_mov_b32 s7, -1
                                        ; implicit-def: $vgpr18
.LBB102_3210:
	s_delay_alu instid0(SALU_CYCLE_1)
	s_and_b32 vcc_lo, exec_lo, s7
	s_cbranch_vccz .LBB102_3212
; %bb.3211:
	s_wait_loadcnt 0x0
	global_load_u8 v1, v[24:25], off
	s_wait_loadcnt 0x0
	v_lshlrev_b32_e32 v1, 24, v1
	s_delay_alu instid0(VALU_DEP_1) | instskip(NEXT) | instid1(VALU_DEP_1)
	v_and_b32_e32 v3, 0x7f000000, v1
	v_clz_i32_u32_e32 v5, v3
	v_add_nc_u32_e32 v9, 0x1000000, v3
	v_cmp_ne_u32_e32 vcc_lo, 0, v3
	s_delay_alu instid0(VALU_DEP_3) | instskip(NEXT) | instid1(VALU_DEP_1)
	v_min_u32_e32 v5, 32, v5
	v_sub_nc_u32_e64 v5, v5, 4 clamp
	s_delay_alu instid0(VALU_DEP_1) | instskip(NEXT) | instid1(VALU_DEP_1)
	v_dual_lshlrev_b32 v7, v5, v3 :: v_dual_lshlrev_b32 v5, 23, v5
	v_lshrrev_b32_e32 v7, 4, v7
	s_delay_alu instid0(VALU_DEP_1) | instskip(SKIP_1) | instid1(VALU_DEP_2)
	v_sub_nc_u32_e32 v5, v7, v5
	v_ashrrev_i32_e32 v7, 8, v9
	v_add_nc_u32_e32 v5, 0x3c000000, v5
	s_delay_alu instid0(VALU_DEP_1) | instskip(NEXT) | instid1(VALU_DEP_1)
	v_and_or_b32 v5, 0x7f800000, v7, v5
	v_cndmask_b32_e32 v3, 0, v5, vcc_lo
	s_delay_alu instid0(VALU_DEP_1) | instskip(NEXT) | instid1(VALU_DEP_1)
	v_and_or_b32 v1, 0x80000000, v1, v3
	v_trunc_f32_e32 v1, v1
	s_delay_alu instid0(VALU_DEP_1) | instskip(NEXT) | instid1(VALU_DEP_1)
	v_mul_f32_e64 v3, 0x2f800000, |v1|
	v_floor_f32_e32 v3, v3
	s_delay_alu instid0(VALU_DEP_1) | instskip(SKIP_1) | instid1(VALU_DEP_2)
	v_fma_f32 v3, 0xcf800000, v3, |v1|
	v_ashrrev_i32_e32 v1, 31, v1
	v_cvt_u32_f32_e32 v3, v3
	s_delay_alu instid0(VALU_DEP_1) | instskip(NEXT) | instid1(VALU_DEP_1)
	v_xor_b32_e32 v3, v3, v1
	v_sub_nc_u32_e32 v18, v3, v1
.LBB102_3212:
	s_mov_b32 s7, 0
.LBB102_3213:
	s_delay_alu instid0(SALU_CYCLE_1)
	s_and_not1_b32 vcc_lo, exec_lo, s7
	s_cbranch_vccnz .LBB102_3215
; %bb.3214:
	s_wait_loadcnt 0x0
	global_load_u8 v1, v[24:25], off
	s_wait_loadcnt 0x0
	v_lshlrev_b32_e32 v3, 25, v1
	v_lshlrev_b16 v1, 8, v1
	s_delay_alu instid0(VALU_DEP_1) | instskip(SKIP_1) | instid1(VALU_DEP_2)
	v_and_or_b32 v7, 0x7f00, v1, 0.5
	v_bfe_i32 v1, v1, 0, 16
	v_add_f32_e32 v7, -0.5, v7
	v_lshrrev_b32_e32 v5, 4, v3
	v_cmp_gt_u32_e32 vcc_lo, 0x8000000, v3
	s_delay_alu instid0(VALU_DEP_2) | instskip(NEXT) | instid1(VALU_DEP_1)
	v_or_b32_e32 v5, 0x70000000, v5
	v_mul_f32_e32 v5, 0x7800000, v5
	s_delay_alu instid0(VALU_DEP_1) | instskip(NEXT) | instid1(VALU_DEP_1)
	v_cndmask_b32_e32 v3, v5, v7, vcc_lo
	v_and_or_b32 v1, 0x80000000, v1, v3
	s_delay_alu instid0(VALU_DEP_1) | instskip(NEXT) | instid1(VALU_DEP_1)
	v_trunc_f32_e32 v1, v1
	v_mul_f32_e64 v3, 0x2f800000, |v1|
	s_delay_alu instid0(VALU_DEP_1) | instskip(NEXT) | instid1(VALU_DEP_1)
	v_floor_f32_e32 v3, v3
	v_fma_f32 v3, 0xcf800000, v3, |v1|
	v_ashrrev_i32_e32 v1, 31, v1
	s_delay_alu instid0(VALU_DEP_2) | instskip(NEXT) | instid1(VALU_DEP_1)
	v_cvt_u32_f32_e32 v3, v3
	v_xor_b32_e32 v3, v3, v1
	s_delay_alu instid0(VALU_DEP_1)
	v_sub_nc_u32_e32 v18, v3, v1
.LBB102_3215:
	s_mov_b32 s7, 0
	s_mov_b32 s15, -1
.LBB102_3216:
	s_and_not1_b32 vcc_lo, exec_lo, s7
	s_mov_b32 s7, 0
	s_cbranch_vccnz .LBB102_3227
; %bb.3217:
	s_cmp_gt_i32 s1, 14
	s_cbranch_scc0 .LBB102_3220
; %bb.3218:
	s_cmp_eq_u32 s1, 15
	s_cbranch_scc0 .LBB102_3223
; %bb.3219:
	s_wait_loadcnt 0x0
	global_load_u16 v1, v[24:25], off
	s_mov_b32 s6, 0
	s_mov_b32 s15, -1
	s_wait_loadcnt 0x0
	v_lshlrev_b32_e32 v1, 16, v1
	s_delay_alu instid0(VALU_DEP_1) | instskip(NEXT) | instid1(VALU_DEP_1)
	v_trunc_f32_e32 v1, v1
	v_mul_f32_e64 v3, 0x2f800000, |v1|
	s_delay_alu instid0(VALU_DEP_1) | instskip(NEXT) | instid1(VALU_DEP_1)
	v_floor_f32_e32 v3, v3
	v_fma_f32 v3, 0xcf800000, v3, |v1|
	v_ashrrev_i32_e32 v1, 31, v1
	s_delay_alu instid0(VALU_DEP_2) | instskip(NEXT) | instid1(VALU_DEP_1)
	v_cvt_u32_f32_e32 v3, v3
	v_xor_b32_e32 v3, v3, v1
	s_delay_alu instid0(VALU_DEP_1)
	v_sub_nc_u32_e32 v18, v3, v1
	s_branch .LBB102_3225
.LBB102_3220:
	s_mov_b32 s7, -1
	s_branch .LBB102_3224
.LBB102_3221:
	s_and_not1_saveexec_b32 s7, s7
	s_cbranch_execz .LBB102_3202
.LBB102_3222:
	v_cmp_ne_u16_e32 vcc_lo, 0, v1
	s_and_not1_b32 s15, s15, exec_lo
	s_and_b32 s20, vcc_lo, exec_lo
	s_delay_alu instid0(SALU_CYCLE_1)
	s_or_b32 s15, s15, s20
	s_or_b32 exec_lo, exec_lo, s7
	v_mov_b32_e32 v18, 0
	s_and_saveexec_b32 s7, s15
	s_cbranch_execnz .LBB102_3203
	s_branch .LBB102_3204
.LBB102_3223:
	s_mov_b32 s6, -1
.LBB102_3224:
                                        ; implicit-def: $vgpr18
.LBB102_3225:
	s_and_b32 vcc_lo, exec_lo, s7
	s_mov_b32 s7, 0
	s_cbranch_vccz .LBB102_3227
; %bb.3226:
	s_cmp_lg_u32 s1, 11
	s_mov_b32 s7, -1
	s_cselect_b32 s6, -1, 0
.LBB102_3227:
	s_delay_alu instid0(SALU_CYCLE_1)
	s_and_b32 vcc_lo, exec_lo, s6
	s_cbranch_vccnz .LBB102_3292
; %bb.3228:
	s_and_not1_b32 vcc_lo, exec_lo, s7
	s_cbranch_vccnz .LBB102_3230
.LBB102_3229:
	s_wait_loadcnt 0x0
	global_load_u8 v1, v[24:25], off
	s_mov_b32 s15, -1
	s_wait_loadcnt 0x0
	v_cmp_ne_u16_e32 vcc_lo, 0, v1
	v_cndmask_b32_e64 v18, 0, 1, vcc_lo
.LBB102_3230:
	s_mov_b32 s1, 0
.LBB102_3231:
	s_delay_alu instid0(SALU_CYCLE_1)
	s_and_b32 vcc_lo, exec_lo, s1
	s_cbranch_vccz .LBB102_3280
; %bb.3232:
	s_and_b32 s1, 0xffff, s17
	s_delay_alu instid0(SALU_CYCLE_1)
	s_cmp_lt_i32 s1, 5
	s_cbranch_scc1 .LBB102_3237
; %bb.3233:
	s_cmp_lt_i32 s1, 8
	s_cbranch_scc1 .LBB102_3238
; %bb.3234:
	s_cmp_lt_i32 s1, 9
	s_cbranch_scc1 .LBB102_3239
; %bb.3235:
	s_cmp_gt_i32 s1, 9
	s_cbranch_scc0 .LBB102_3240
; %bb.3236:
	s_wait_loadcnt 0x0
	global_load_b64 v[18:19], v[24:25], off
	s_mov_b32 s6, 0
	s_wait_loadcnt 0x0
	v_trunc_f64_e32 v[18:19], v[18:19]
	s_delay_alu instid0(VALU_DEP_1) | instskip(NEXT) | instid1(VALU_DEP_1)
	v_ldexp_f64 v[28:29], v[18:19], 0xffffffe0
	v_floor_f64_e32 v[28:29], v[28:29]
	s_delay_alu instid0(VALU_DEP_1) | instskip(NEXT) | instid1(VALU_DEP_1)
	v_fmamk_f64 v[18:19], v[28:29], 0xc1f00000, v[18:19]
	v_cvt_u32_f64_e32 v18, v[18:19]
	s_branch .LBB102_3241
.LBB102_3237:
	s_mov_b32 s6, -1
                                        ; implicit-def: $vgpr18
	s_branch .LBB102_3259
.LBB102_3238:
	s_mov_b32 s6, -1
                                        ; implicit-def: $vgpr18
	s_branch .LBB102_3247
.LBB102_3239:
	s_mov_b32 s6, -1
                                        ; implicit-def: $vgpr18
	s_branch .LBB102_3244
.LBB102_3240:
	s_mov_b32 s6, -1
                                        ; implicit-def: $vgpr18
.LBB102_3241:
	s_delay_alu instid0(SALU_CYCLE_1)
	s_and_not1_b32 vcc_lo, exec_lo, s6
	s_cbranch_vccnz .LBB102_3243
; %bb.3242:
	s_wait_loadcnt 0x0
	global_load_b32 v1, v[24:25], off
	s_wait_loadcnt 0x0
	v_trunc_f32_e32 v1, v1
	s_delay_alu instid0(VALU_DEP_1) | instskip(NEXT) | instid1(VALU_DEP_1)
	v_mul_f32_e64 v3, 0x2f800000, |v1|
	v_floor_f32_e32 v3, v3
	s_delay_alu instid0(VALU_DEP_1) | instskip(SKIP_1) | instid1(VALU_DEP_2)
	v_fma_f32 v3, 0xcf800000, v3, |v1|
	v_ashrrev_i32_e32 v1, 31, v1
	v_cvt_u32_f32_e32 v3, v3
	s_delay_alu instid0(VALU_DEP_1) | instskip(NEXT) | instid1(VALU_DEP_1)
	v_xor_b32_e32 v3, v3, v1
	v_sub_nc_u32_e32 v18, v3, v1
.LBB102_3243:
	s_mov_b32 s6, 0
.LBB102_3244:
	s_delay_alu instid0(SALU_CYCLE_1)
	s_and_not1_b32 vcc_lo, exec_lo, s6
	s_cbranch_vccnz .LBB102_3246
; %bb.3245:
	s_wait_loadcnt 0x0
	global_load_b32 v1, v[24:25], off
	s_wait_loadcnt 0x0
	v_cvt_f32_f16_e32 v1, v1
	s_delay_alu instid0(VALU_DEP_1)
	v_cvt_i32_f32_e32 v18, v1
.LBB102_3246:
	s_mov_b32 s6, 0
.LBB102_3247:
	s_delay_alu instid0(SALU_CYCLE_1)
	s_and_not1_b32 vcc_lo, exec_lo, s6
	s_cbranch_vccnz .LBB102_3258
; %bb.3248:
	s_cmp_lt_i32 s1, 6
	s_cbranch_scc1 .LBB102_3251
; %bb.3249:
	s_cmp_gt_i32 s1, 6
	s_cbranch_scc0 .LBB102_3252
; %bb.3250:
	s_wait_loadcnt 0x0
	global_load_b64 v[18:19], v[24:25], off
	s_mov_b32 s6, 0
	s_wait_loadcnt 0x0
	v_trunc_f64_e32 v[18:19], v[18:19]
	s_delay_alu instid0(VALU_DEP_1) | instskip(NEXT) | instid1(VALU_DEP_1)
	v_ldexp_f64 v[28:29], v[18:19], 0xffffffe0
	v_floor_f64_e32 v[28:29], v[28:29]
	s_delay_alu instid0(VALU_DEP_1) | instskip(NEXT) | instid1(VALU_DEP_1)
	v_fmamk_f64 v[18:19], v[28:29], 0xc1f00000, v[18:19]
	v_cvt_u32_f64_e32 v18, v[18:19]
	s_branch .LBB102_3253
.LBB102_3251:
	s_mov_b32 s6, -1
                                        ; implicit-def: $vgpr18
	s_branch .LBB102_3256
.LBB102_3252:
	s_mov_b32 s6, -1
                                        ; implicit-def: $vgpr18
.LBB102_3253:
	s_delay_alu instid0(SALU_CYCLE_1)
	s_and_not1_b32 vcc_lo, exec_lo, s6
	s_cbranch_vccnz .LBB102_3255
; %bb.3254:
	s_wait_loadcnt 0x0
	global_load_b32 v1, v[24:25], off
	s_wait_loadcnt 0x0
	v_trunc_f32_e32 v1, v1
	s_delay_alu instid0(VALU_DEP_1) | instskip(NEXT) | instid1(VALU_DEP_1)
	v_mul_f32_e64 v3, 0x2f800000, |v1|
	v_floor_f32_e32 v3, v3
	s_delay_alu instid0(VALU_DEP_1) | instskip(SKIP_1) | instid1(VALU_DEP_2)
	v_fma_f32 v3, 0xcf800000, v3, |v1|
	v_ashrrev_i32_e32 v1, 31, v1
	v_cvt_u32_f32_e32 v3, v3
	s_delay_alu instid0(VALU_DEP_1) | instskip(NEXT) | instid1(VALU_DEP_1)
	v_xor_b32_e32 v3, v3, v1
	v_sub_nc_u32_e32 v18, v3, v1
.LBB102_3255:
	s_mov_b32 s6, 0
.LBB102_3256:
	s_delay_alu instid0(SALU_CYCLE_1)
	s_and_not1_b32 vcc_lo, exec_lo, s6
	s_cbranch_vccnz .LBB102_3258
; %bb.3257:
	s_wait_loadcnt 0x0
	global_load_u16 v1, v[24:25], off
	s_wait_loadcnt 0x0
	v_cvt_f32_f16_e32 v1, v1
	s_delay_alu instid0(VALU_DEP_1)
	v_cvt_i32_f32_e32 v18, v1
.LBB102_3258:
	s_mov_b32 s6, 0
.LBB102_3259:
	s_delay_alu instid0(SALU_CYCLE_1)
	s_and_not1_b32 vcc_lo, exec_lo, s6
	s_cbranch_vccnz .LBB102_3279
; %bb.3260:
	s_cmp_lt_i32 s1, 2
	s_cbranch_scc1 .LBB102_3264
; %bb.3261:
	s_cmp_lt_i32 s1, 3
	s_cbranch_scc1 .LBB102_3265
; %bb.3262:
	s_cmp_gt_i32 s1, 3
	s_cbranch_scc0 .LBB102_3266
; %bb.3263:
	s_wait_loadcnt 0x0
	global_load_b64 v[18:19], v[24:25], off
	s_mov_b32 s6, 0
	s_branch .LBB102_3267
.LBB102_3264:
	s_mov_b32 s6, -1
                                        ; implicit-def: $vgpr18
	s_branch .LBB102_3273
.LBB102_3265:
	s_mov_b32 s6, -1
                                        ; implicit-def: $vgpr18
	s_branch .LBB102_3270
.LBB102_3266:
	s_mov_b32 s6, -1
                                        ; implicit-def: $vgpr18
.LBB102_3267:
	s_delay_alu instid0(SALU_CYCLE_1)
	s_and_not1_b32 vcc_lo, exec_lo, s6
	s_cbranch_vccnz .LBB102_3269
; %bb.3268:
	s_wait_loadcnt 0x0
	global_load_b32 v18, v[24:25], off
.LBB102_3269:
	s_mov_b32 s6, 0
.LBB102_3270:
	s_delay_alu instid0(SALU_CYCLE_1)
	s_and_not1_b32 vcc_lo, exec_lo, s6
	s_cbranch_vccnz .LBB102_3272
; %bb.3271:
	s_wait_loadcnt 0x0
	global_load_u16 v18, v[24:25], off
.LBB102_3272:
	s_mov_b32 s6, 0
.LBB102_3273:
	s_delay_alu instid0(SALU_CYCLE_1)
	s_and_not1_b32 vcc_lo, exec_lo, s6
	s_cbranch_vccnz .LBB102_3279
; %bb.3274:
	s_cmp_gt_i32 s1, 0
	s_mov_b32 s1, 0
	s_cbranch_scc0 .LBB102_3276
; %bb.3275:
	s_wait_loadcnt 0x0
	global_load_u8 v18, v[24:25], off
	s_branch .LBB102_3277
.LBB102_3276:
	s_mov_b32 s1, -1
                                        ; implicit-def: $vgpr18
.LBB102_3277:
	s_delay_alu instid0(SALU_CYCLE_1)
	s_and_not1_b32 vcc_lo, exec_lo, s1
	s_cbranch_vccnz .LBB102_3279
; %bb.3278:
	s_wait_loadcnt 0x0
	global_load_u8 v18, v[24:25], off
.LBB102_3279:
	s_mov_b32 s15, -1
.LBB102_3280:
	s_delay_alu instid0(SALU_CYCLE_1)
	s_and_not1_b32 vcc_lo, exec_lo, s15
	s_cbranch_vccnz .LBB102_3968
; %bb.3281:
	v_add_nc_u32_e32 v20, s13, v20
	s_cmp_lt_i32 s3, 11
	s_delay_alu instid0(VALU_DEP_1) | instskip(SKIP_1) | instid1(VALU_DEP_1)
	v_ashrrev_i32_e32 v21, 31, v20
	s_wait_xcnt 0x0
	v_add_nc_u64_e32 v[24:25], s[8:9], v[20:21]
	s_cbranch_scc1 .LBB102_3288
; %bb.3282:
	s_and_b32 s1, 0xffff, s3
	s_mov_b32 s7, 0
	s_cmp_gt_i32 s1, 25
	s_cbranch_scc0 .LBB102_3289
; %bb.3283:
	s_cmp_gt_i32 s1, 28
	s_cbranch_scc0 .LBB102_3290
; %bb.3284:
	;; [unrolled: 3-line block ×4, first 2 shown]
	s_cmp_eq_u32 s1, 46
	s_mov_b32 s9, 0
	s_cbranch_scc0 .LBB102_3294
; %bb.3287:
	s_wait_loadcnt 0x0
	global_load_b32 v1, v[24:25], off
	s_mov_b32 s6, 0
	s_mov_b32 s8, -1
	s_wait_loadcnt 0x0
	v_lshlrev_b32_e32 v1, 16, v1
	s_delay_alu instid0(VALU_DEP_1) | instskip(NEXT) | instid1(VALU_DEP_1)
	v_trunc_f32_e32 v1, v1
	v_mul_f32_e64 v3, 0x2f800000, |v1|
	s_delay_alu instid0(VALU_DEP_1) | instskip(NEXT) | instid1(VALU_DEP_1)
	v_floor_f32_e32 v3, v3
	v_fma_f32 v3, 0xcf800000, v3, |v1|
	v_ashrrev_i32_e32 v1, 31, v1
	s_delay_alu instid0(VALU_DEP_2) | instskip(NEXT) | instid1(VALU_DEP_1)
	v_cvt_u32_f32_e32 v3, v3
	v_xor_b32_e32 v3, v3, v1
	s_delay_alu instid0(VALU_DEP_1)
	v_sub_nc_u32_e32 v20, v3, v1
	s_branch .LBB102_3296
.LBB102_3288:
	s_mov_b32 s1, -1
	s_mov_b32 s8, 0
                                        ; implicit-def: $vgpr20
	s_branch .LBB102_3358
.LBB102_3289:
	s_mov_b32 s9, -1
	s_mov_b32 s8, 0
	s_mov_b32 s6, 0
                                        ; implicit-def: $vgpr20
	s_branch .LBB102_3323
.LBB102_3290:
	s_mov_b32 s9, -1
	s_mov_b32 s8, 0
	s_mov_b32 s6, 0
                                        ; implicit-def: $vgpr20
	s_branch .LBB102_3306
.LBB102_3291:
	s_mov_b32 s9, -1
	s_mov_b32 s8, 0
	s_mov_b32 s6, 0
                                        ; implicit-def: $vgpr20
	s_branch .LBB102_3301
.LBB102_3292:
	s_or_b32 s16, s16, exec_lo
	s_trap 2
	s_cbranch_execz .LBB102_3229
	s_branch .LBB102_3230
.LBB102_3293:
	s_mov_b32 s9, -1
	s_mov_b32 s8, 0
	s_mov_b32 s6, 0
	s_branch .LBB102_3295
.LBB102_3294:
	s_mov_b32 s6, -1
	s_mov_b32 s8, 0
.LBB102_3295:
                                        ; implicit-def: $vgpr20
.LBB102_3296:
	s_and_b32 vcc_lo, exec_lo, s9
	s_cbranch_vccz .LBB102_3300
; %bb.3297:
	s_cmp_eq_u32 s1, 44
	s_cbranch_scc0 .LBB102_3299
; %bb.3298:
	s_wait_loadcnt 0x0
	global_load_u8 v1, v[24:25], off
	s_mov_b32 s6, 0
	s_mov_b32 s8, -1
	s_wait_loadcnt 0x0
	v_lshlrev_b32_e32 v3, 23, v1
	v_cmp_ne_u32_e32 vcc_lo, 0, v1
	s_delay_alu instid0(VALU_DEP_2) | instskip(NEXT) | instid1(VALU_DEP_1)
	v_trunc_f32_e32 v3, v3
	v_mul_f32_e64 v5, 0x2f800000, |v3|
	s_delay_alu instid0(VALU_DEP_1) | instskip(NEXT) | instid1(VALU_DEP_1)
	v_floor_f32_e32 v5, v5
	v_fma_f32 v5, 0xcf800000, v5, |v3|
	v_ashrrev_i32_e32 v3, 31, v3
	s_delay_alu instid0(VALU_DEP_2) | instskip(NEXT) | instid1(VALU_DEP_1)
	v_cvt_u32_f32_e32 v5, v5
	v_xor_b32_e32 v5, v5, v3
	s_delay_alu instid0(VALU_DEP_1) | instskip(NEXT) | instid1(VALU_DEP_1)
	v_sub_nc_u32_e32 v3, v5, v3
	v_cndmask_b32_e32 v20, 0, v3, vcc_lo
	s_branch .LBB102_3300
.LBB102_3299:
	s_mov_b32 s6, -1
                                        ; implicit-def: $vgpr20
.LBB102_3300:
	s_mov_b32 s9, 0
.LBB102_3301:
	s_delay_alu instid0(SALU_CYCLE_1)
	s_and_b32 vcc_lo, exec_lo, s9
	s_cbranch_vccz .LBB102_3305
; %bb.3302:
	s_cmp_eq_u32 s1, 29
	s_cbranch_scc0 .LBB102_3304
; %bb.3303:
	global_load_b64 v[20:21], v[24:25], off
	s_mov_b32 s6, 0
	s_mov_b32 s8, -1
	s_branch .LBB102_3305
.LBB102_3304:
	s_mov_b32 s6, -1
                                        ; implicit-def: $vgpr20
.LBB102_3305:
	s_mov_b32 s9, 0
.LBB102_3306:
	s_delay_alu instid0(SALU_CYCLE_1)
	s_and_b32 vcc_lo, exec_lo, s9
	s_cbranch_vccz .LBB102_3322
; %bb.3307:
	s_cmp_lt_i32 s1, 27
	s_cbranch_scc1 .LBB102_3310
; %bb.3308:
	s_cmp_gt_i32 s1, 27
	s_cbranch_scc0 .LBB102_3311
; %bb.3309:
	s_wait_loadcnt 0x0
	global_load_b32 v20, v[24:25], off
	s_mov_b32 s8, 0
	s_branch .LBB102_3312
.LBB102_3310:
	s_mov_b32 s8, -1
                                        ; implicit-def: $vgpr20
	s_branch .LBB102_3315
.LBB102_3311:
	s_mov_b32 s8, -1
                                        ; implicit-def: $vgpr20
.LBB102_3312:
	s_delay_alu instid0(SALU_CYCLE_1)
	s_and_not1_b32 vcc_lo, exec_lo, s8
	s_cbranch_vccnz .LBB102_3314
; %bb.3313:
	s_wait_loadcnt 0x0
	global_load_u16 v20, v[24:25], off
.LBB102_3314:
	s_mov_b32 s8, 0
.LBB102_3315:
	s_delay_alu instid0(SALU_CYCLE_1)
	s_and_not1_b32 vcc_lo, exec_lo, s8
	s_cbranch_vccnz .LBB102_3321
; %bb.3316:
	s_wait_loadcnt 0x0
	global_load_u8 v1, v[24:25], off
	s_mov_b32 s9, 0
	s_mov_b32 s8, exec_lo
	s_wait_loadcnt 0x0
	v_cmpx_lt_i16_e32 0x7f, v1
	s_xor_b32 s8, exec_lo, s8
	s_cbranch_execz .LBB102_3333
; %bb.3317:
	v_cmp_ne_u16_e32 vcc_lo, 0x80, v1
	s_and_b32 s9, vcc_lo, exec_lo
	s_and_not1_saveexec_b32 s8, s8
	s_cbranch_execnz .LBB102_3334
.LBB102_3318:
	s_or_b32 exec_lo, exec_lo, s8
	v_mov_b32_e32 v20, 0
	s_and_saveexec_b32 s8, s9
	s_cbranch_execz .LBB102_3320
.LBB102_3319:
	v_and_b32_e32 v3, 0xffff, v1
	s_delay_alu instid0(VALU_DEP_1) | instskip(SKIP_1) | instid1(VALU_DEP_2)
	v_dual_lshlrev_b32 v1, 24, v1 :: v_dual_bitop2_b32 v5, 7, v3 bitop3:0x40
	v_bfe_u32 v11, v3, 3, 4
	v_and_b32_e32 v1, 0x80000000, v1
	s_delay_alu instid0(VALU_DEP_3) | instskip(NEXT) | instid1(VALU_DEP_3)
	v_clz_i32_u32_e32 v7, v5
	v_cmp_eq_u32_e32 vcc_lo, 0, v11
	s_delay_alu instid0(VALU_DEP_2) | instskip(NEXT) | instid1(VALU_DEP_1)
	v_min_u32_e32 v7, 32, v7
	v_subrev_nc_u32_e32 v9, 28, v7
	v_sub_nc_u32_e32 v7, 29, v7
	s_delay_alu instid0(VALU_DEP_2) | instskip(NEXT) | instid1(VALU_DEP_2)
	v_lshlrev_b32_e32 v3, v9, v3
	v_cndmask_b32_e32 v7, v11, v7, vcc_lo
	s_delay_alu instid0(VALU_DEP_2) | instskip(NEXT) | instid1(VALU_DEP_1)
	v_and_b32_e32 v3, 7, v3
	v_cndmask_b32_e32 v3, v5, v3, vcc_lo
	s_delay_alu instid0(VALU_DEP_3) | instskip(NEXT) | instid1(VALU_DEP_2)
	v_lshl_add_u32 v5, v7, 23, 0x3b800000
	v_lshlrev_b32_e32 v3, 20, v3
	s_delay_alu instid0(VALU_DEP_1) | instskip(NEXT) | instid1(VALU_DEP_1)
	v_or3_b32 v1, v1, v5, v3
	v_trunc_f32_e32 v1, v1
	s_delay_alu instid0(VALU_DEP_1) | instskip(NEXT) | instid1(VALU_DEP_1)
	v_mul_f32_e64 v3, 0x2f800000, |v1|
	v_floor_f32_e32 v3, v3
	s_delay_alu instid0(VALU_DEP_1) | instskip(SKIP_1) | instid1(VALU_DEP_2)
	v_fma_f32 v3, 0xcf800000, v3, |v1|
	v_ashrrev_i32_e32 v1, 31, v1
	v_cvt_u32_f32_e32 v3, v3
	s_delay_alu instid0(VALU_DEP_1) | instskip(NEXT) | instid1(VALU_DEP_1)
	v_xor_b32_e32 v3, v3, v1
	v_sub_nc_u32_e32 v20, v3, v1
.LBB102_3320:
	s_or_b32 exec_lo, exec_lo, s8
.LBB102_3321:
	s_mov_b32 s8, -1
.LBB102_3322:
	s_mov_b32 s9, 0
.LBB102_3323:
	s_delay_alu instid0(SALU_CYCLE_1)
	s_and_b32 vcc_lo, exec_lo, s9
	s_cbranch_vccz .LBB102_3354
; %bb.3324:
	s_cmp_gt_i32 s1, 22
	s_cbranch_scc0 .LBB102_3332
; %bb.3325:
	s_cmp_lt_i32 s1, 24
	s_cbranch_scc1 .LBB102_3335
; %bb.3326:
	s_cmp_gt_i32 s1, 24
	s_cbranch_scc0 .LBB102_3336
; %bb.3327:
	s_wait_loadcnt 0x0
	global_load_u8 v1, v[24:25], off
	s_mov_b32 s8, 0
	s_mov_b32 s7, exec_lo
	s_wait_loadcnt 0x0
	v_cmpx_lt_i16_e32 0x7f, v1
	s_xor_b32 s7, exec_lo, s7
	s_cbranch_execz .LBB102_3348
; %bb.3328:
	v_cmp_ne_u16_e32 vcc_lo, 0x80, v1
	s_and_b32 s8, vcc_lo, exec_lo
	s_and_not1_saveexec_b32 s7, s7
	s_cbranch_execnz .LBB102_3349
.LBB102_3329:
	s_or_b32 exec_lo, exec_lo, s7
	v_mov_b32_e32 v20, 0
	s_and_saveexec_b32 s7, s8
	s_cbranch_execz .LBB102_3331
.LBB102_3330:
	v_and_b32_e32 v3, 0xffff, v1
	s_delay_alu instid0(VALU_DEP_1) | instskip(SKIP_1) | instid1(VALU_DEP_2)
	v_dual_lshlrev_b32 v1, 24, v1 :: v_dual_bitop2_b32 v5, 3, v3 bitop3:0x40
	v_bfe_u32 v11, v3, 2, 5
	v_and_b32_e32 v1, 0x80000000, v1
	s_delay_alu instid0(VALU_DEP_3) | instskip(NEXT) | instid1(VALU_DEP_3)
	v_clz_i32_u32_e32 v7, v5
	v_cmp_eq_u32_e32 vcc_lo, 0, v11
	s_delay_alu instid0(VALU_DEP_2) | instskip(NEXT) | instid1(VALU_DEP_1)
	v_min_u32_e32 v7, 32, v7
	v_subrev_nc_u32_e32 v9, 29, v7
	v_sub_nc_u32_e32 v7, 30, v7
	s_delay_alu instid0(VALU_DEP_2) | instskip(NEXT) | instid1(VALU_DEP_2)
	v_lshlrev_b32_e32 v3, v9, v3
	v_cndmask_b32_e32 v7, v11, v7, vcc_lo
	s_delay_alu instid0(VALU_DEP_2) | instskip(NEXT) | instid1(VALU_DEP_1)
	v_and_b32_e32 v3, 3, v3
	v_cndmask_b32_e32 v3, v5, v3, vcc_lo
	s_delay_alu instid0(VALU_DEP_3) | instskip(NEXT) | instid1(VALU_DEP_2)
	v_lshl_add_u32 v5, v7, 23, 0x37800000
	v_lshlrev_b32_e32 v3, 21, v3
	s_delay_alu instid0(VALU_DEP_1) | instskip(NEXT) | instid1(VALU_DEP_1)
	v_or3_b32 v1, v1, v5, v3
	v_trunc_f32_e32 v1, v1
	s_delay_alu instid0(VALU_DEP_1) | instskip(NEXT) | instid1(VALU_DEP_1)
	v_mul_f32_e64 v3, 0x2f800000, |v1|
	v_floor_f32_e32 v3, v3
	s_delay_alu instid0(VALU_DEP_1) | instskip(SKIP_1) | instid1(VALU_DEP_2)
	v_fma_f32 v3, 0xcf800000, v3, |v1|
	v_ashrrev_i32_e32 v1, 31, v1
	v_cvt_u32_f32_e32 v3, v3
	s_delay_alu instid0(VALU_DEP_1) | instskip(NEXT) | instid1(VALU_DEP_1)
	v_xor_b32_e32 v3, v3, v1
	v_sub_nc_u32_e32 v20, v3, v1
.LBB102_3331:
	s_or_b32 exec_lo, exec_lo, s7
	s_mov_b32 s7, 0
	s_branch .LBB102_3337
.LBB102_3332:
	s_mov_b32 s7, -1
                                        ; implicit-def: $vgpr20
	s_branch .LBB102_3343
.LBB102_3333:
	s_and_not1_saveexec_b32 s8, s8
	s_cbranch_execz .LBB102_3318
.LBB102_3334:
	v_cmp_ne_u16_e32 vcc_lo, 0, v1
	s_and_not1_b32 s9, s9, exec_lo
	s_and_b32 s13, vcc_lo, exec_lo
	s_delay_alu instid0(SALU_CYCLE_1)
	s_or_b32 s9, s9, s13
	s_or_b32 exec_lo, exec_lo, s8
	v_mov_b32_e32 v20, 0
	s_and_saveexec_b32 s8, s9
	s_cbranch_execnz .LBB102_3319
	s_branch .LBB102_3320
.LBB102_3335:
	s_mov_b32 s7, -1
                                        ; implicit-def: $vgpr20
	s_branch .LBB102_3340
.LBB102_3336:
	s_mov_b32 s7, -1
                                        ; implicit-def: $vgpr20
.LBB102_3337:
	s_delay_alu instid0(SALU_CYCLE_1)
	s_and_b32 vcc_lo, exec_lo, s7
	s_cbranch_vccz .LBB102_3339
; %bb.3338:
	s_wait_loadcnt 0x0
	global_load_u8 v1, v[24:25], off
	s_wait_loadcnt 0x0
	v_lshlrev_b32_e32 v1, 24, v1
	s_delay_alu instid0(VALU_DEP_1) | instskip(NEXT) | instid1(VALU_DEP_1)
	v_and_b32_e32 v3, 0x7f000000, v1
	v_clz_i32_u32_e32 v5, v3
	v_add_nc_u32_e32 v9, 0x1000000, v3
	v_cmp_ne_u32_e32 vcc_lo, 0, v3
	s_delay_alu instid0(VALU_DEP_3) | instskip(NEXT) | instid1(VALU_DEP_1)
	v_min_u32_e32 v5, 32, v5
	v_sub_nc_u32_e64 v5, v5, 4 clamp
	s_delay_alu instid0(VALU_DEP_1) | instskip(NEXT) | instid1(VALU_DEP_1)
	v_dual_lshlrev_b32 v7, v5, v3 :: v_dual_lshlrev_b32 v5, 23, v5
	v_lshrrev_b32_e32 v7, 4, v7
	s_delay_alu instid0(VALU_DEP_1) | instskip(SKIP_1) | instid1(VALU_DEP_2)
	v_sub_nc_u32_e32 v5, v7, v5
	v_ashrrev_i32_e32 v7, 8, v9
	v_add_nc_u32_e32 v5, 0x3c000000, v5
	s_delay_alu instid0(VALU_DEP_1) | instskip(NEXT) | instid1(VALU_DEP_1)
	v_and_or_b32 v5, 0x7f800000, v7, v5
	v_cndmask_b32_e32 v3, 0, v5, vcc_lo
	s_delay_alu instid0(VALU_DEP_1) | instskip(NEXT) | instid1(VALU_DEP_1)
	v_and_or_b32 v1, 0x80000000, v1, v3
	v_trunc_f32_e32 v1, v1
	s_delay_alu instid0(VALU_DEP_1) | instskip(NEXT) | instid1(VALU_DEP_1)
	v_mul_f32_e64 v3, 0x2f800000, |v1|
	v_floor_f32_e32 v3, v3
	s_delay_alu instid0(VALU_DEP_1) | instskip(SKIP_1) | instid1(VALU_DEP_2)
	v_fma_f32 v3, 0xcf800000, v3, |v1|
	v_ashrrev_i32_e32 v1, 31, v1
	v_cvt_u32_f32_e32 v3, v3
	s_delay_alu instid0(VALU_DEP_1) | instskip(NEXT) | instid1(VALU_DEP_1)
	v_xor_b32_e32 v3, v3, v1
	v_sub_nc_u32_e32 v20, v3, v1
.LBB102_3339:
	s_mov_b32 s7, 0
.LBB102_3340:
	s_delay_alu instid0(SALU_CYCLE_1)
	s_and_not1_b32 vcc_lo, exec_lo, s7
	s_cbranch_vccnz .LBB102_3342
; %bb.3341:
	s_wait_loadcnt 0x0
	global_load_u8 v1, v[24:25], off
	s_wait_loadcnt 0x0
	v_lshlrev_b32_e32 v3, 25, v1
	v_lshlrev_b16 v1, 8, v1
	s_delay_alu instid0(VALU_DEP_1) | instskip(SKIP_1) | instid1(VALU_DEP_2)
	v_and_or_b32 v7, 0x7f00, v1, 0.5
	v_bfe_i32 v1, v1, 0, 16
	v_add_f32_e32 v7, -0.5, v7
	v_lshrrev_b32_e32 v5, 4, v3
	v_cmp_gt_u32_e32 vcc_lo, 0x8000000, v3
	s_delay_alu instid0(VALU_DEP_2) | instskip(NEXT) | instid1(VALU_DEP_1)
	v_or_b32_e32 v5, 0x70000000, v5
	v_mul_f32_e32 v5, 0x7800000, v5
	s_delay_alu instid0(VALU_DEP_1) | instskip(NEXT) | instid1(VALU_DEP_1)
	v_cndmask_b32_e32 v3, v5, v7, vcc_lo
	v_and_or_b32 v1, 0x80000000, v1, v3
	s_delay_alu instid0(VALU_DEP_1) | instskip(NEXT) | instid1(VALU_DEP_1)
	v_trunc_f32_e32 v1, v1
	v_mul_f32_e64 v3, 0x2f800000, |v1|
	s_delay_alu instid0(VALU_DEP_1) | instskip(NEXT) | instid1(VALU_DEP_1)
	v_floor_f32_e32 v3, v3
	v_fma_f32 v3, 0xcf800000, v3, |v1|
	v_ashrrev_i32_e32 v1, 31, v1
	s_delay_alu instid0(VALU_DEP_2) | instskip(NEXT) | instid1(VALU_DEP_1)
	v_cvt_u32_f32_e32 v3, v3
	v_xor_b32_e32 v3, v3, v1
	s_delay_alu instid0(VALU_DEP_1)
	v_sub_nc_u32_e32 v20, v3, v1
.LBB102_3342:
	s_mov_b32 s7, 0
	s_mov_b32 s8, -1
.LBB102_3343:
	s_and_not1_b32 vcc_lo, exec_lo, s7
	s_mov_b32 s7, 0
	s_cbranch_vccnz .LBB102_3354
; %bb.3344:
	s_cmp_gt_i32 s1, 14
	s_cbranch_scc0 .LBB102_3347
; %bb.3345:
	s_cmp_eq_u32 s1, 15
	s_cbranch_scc0 .LBB102_3350
; %bb.3346:
	s_wait_loadcnt 0x0
	global_load_u16 v1, v[24:25], off
	s_mov_b32 s6, 0
	s_mov_b32 s8, -1
	s_wait_loadcnt 0x0
	v_lshlrev_b32_e32 v1, 16, v1
	s_delay_alu instid0(VALU_DEP_1) | instskip(NEXT) | instid1(VALU_DEP_1)
	v_trunc_f32_e32 v1, v1
	v_mul_f32_e64 v3, 0x2f800000, |v1|
	s_delay_alu instid0(VALU_DEP_1) | instskip(NEXT) | instid1(VALU_DEP_1)
	v_floor_f32_e32 v3, v3
	v_fma_f32 v3, 0xcf800000, v3, |v1|
	v_ashrrev_i32_e32 v1, 31, v1
	s_delay_alu instid0(VALU_DEP_2) | instskip(NEXT) | instid1(VALU_DEP_1)
	v_cvt_u32_f32_e32 v3, v3
	v_xor_b32_e32 v3, v3, v1
	s_delay_alu instid0(VALU_DEP_1)
	v_sub_nc_u32_e32 v20, v3, v1
	s_branch .LBB102_3352
.LBB102_3347:
	s_mov_b32 s7, -1
	s_branch .LBB102_3351
.LBB102_3348:
	s_and_not1_saveexec_b32 s7, s7
	s_cbranch_execz .LBB102_3329
.LBB102_3349:
	v_cmp_ne_u16_e32 vcc_lo, 0, v1
	s_and_not1_b32 s8, s8, exec_lo
	s_and_b32 s9, vcc_lo, exec_lo
	s_delay_alu instid0(SALU_CYCLE_1)
	s_or_b32 s8, s8, s9
	s_or_b32 exec_lo, exec_lo, s7
	v_mov_b32_e32 v20, 0
	s_and_saveexec_b32 s7, s8
	s_cbranch_execnz .LBB102_3330
	s_branch .LBB102_3331
.LBB102_3350:
	s_mov_b32 s6, -1
.LBB102_3351:
                                        ; implicit-def: $vgpr20
.LBB102_3352:
	s_and_b32 vcc_lo, exec_lo, s7
	s_mov_b32 s7, 0
	s_cbranch_vccz .LBB102_3354
; %bb.3353:
	s_cmp_lg_u32 s1, 11
	s_mov_b32 s7, -1
	s_cselect_b32 s6, -1, 0
.LBB102_3354:
	s_delay_alu instid0(SALU_CYCLE_1)
	s_and_b32 vcc_lo, exec_lo, s6
	s_cbranch_vccnz .LBB102_3419
; %bb.3355:
	s_and_not1_b32 vcc_lo, exec_lo, s7
	s_cbranch_vccnz .LBB102_3357
.LBB102_3356:
	s_wait_loadcnt 0x0
	global_load_u8 v1, v[24:25], off
	s_mov_b32 s8, -1
	s_wait_loadcnt 0x0
	v_cmp_ne_u16_e32 vcc_lo, 0, v1
	v_cndmask_b32_e64 v20, 0, 1, vcc_lo
.LBB102_3357:
	s_mov_b32 s1, 0
.LBB102_3358:
	s_delay_alu instid0(SALU_CYCLE_1)
	s_and_b32 vcc_lo, exec_lo, s1
	s_cbranch_vccz .LBB102_3407
; %bb.3359:
	s_and_b32 s1, 0xffff, s3
	s_delay_alu instid0(SALU_CYCLE_1)
	s_cmp_lt_i32 s1, 5
	s_cbranch_scc1 .LBB102_3364
; %bb.3360:
	s_cmp_lt_i32 s1, 8
	s_cbranch_scc1 .LBB102_3365
; %bb.3361:
	;; [unrolled: 3-line block ×3, first 2 shown]
	s_cmp_gt_i32 s1, 9
	s_cbranch_scc0 .LBB102_3367
; %bb.3363:
	s_wait_loadcnt 0x0
	global_load_b64 v[20:21], v[24:25], off
	s_mov_b32 s3, 0
	s_wait_loadcnt 0x0
	v_trunc_f64_e32 v[20:21], v[20:21]
	s_delay_alu instid0(VALU_DEP_1) | instskip(NEXT) | instid1(VALU_DEP_1)
	v_ldexp_f64 v[28:29], v[20:21], 0xffffffe0
	v_floor_f64_e32 v[28:29], v[28:29]
	s_delay_alu instid0(VALU_DEP_1) | instskip(NEXT) | instid1(VALU_DEP_1)
	v_fmamk_f64 v[20:21], v[28:29], 0xc1f00000, v[20:21]
	v_cvt_u32_f64_e32 v20, v[20:21]
	s_branch .LBB102_3368
.LBB102_3364:
	s_mov_b32 s3, -1
                                        ; implicit-def: $vgpr20
	s_branch .LBB102_3386
.LBB102_3365:
	s_mov_b32 s3, -1
                                        ; implicit-def: $vgpr20
	s_branch .LBB102_3374
.LBB102_3366:
	s_mov_b32 s3, -1
                                        ; implicit-def: $vgpr20
	s_branch .LBB102_3371
.LBB102_3367:
	s_mov_b32 s3, -1
                                        ; implicit-def: $vgpr20
.LBB102_3368:
	s_delay_alu instid0(SALU_CYCLE_1)
	s_and_not1_b32 vcc_lo, exec_lo, s3
	s_cbranch_vccnz .LBB102_3370
; %bb.3369:
	s_wait_loadcnt 0x0
	global_load_b32 v1, v[24:25], off
	s_wait_loadcnt 0x0
	v_trunc_f32_e32 v1, v1
	s_delay_alu instid0(VALU_DEP_1) | instskip(NEXT) | instid1(VALU_DEP_1)
	v_mul_f32_e64 v3, 0x2f800000, |v1|
	v_floor_f32_e32 v3, v3
	s_delay_alu instid0(VALU_DEP_1) | instskip(SKIP_1) | instid1(VALU_DEP_2)
	v_fma_f32 v3, 0xcf800000, v3, |v1|
	v_ashrrev_i32_e32 v1, 31, v1
	v_cvt_u32_f32_e32 v3, v3
	s_delay_alu instid0(VALU_DEP_1) | instskip(NEXT) | instid1(VALU_DEP_1)
	v_xor_b32_e32 v3, v3, v1
	v_sub_nc_u32_e32 v20, v3, v1
.LBB102_3370:
	s_mov_b32 s3, 0
.LBB102_3371:
	s_delay_alu instid0(SALU_CYCLE_1)
	s_and_not1_b32 vcc_lo, exec_lo, s3
	s_cbranch_vccnz .LBB102_3373
; %bb.3372:
	s_wait_loadcnt 0x0
	global_load_b32 v1, v[24:25], off
	s_wait_loadcnt 0x0
	v_cvt_f32_f16_e32 v1, v1
	s_delay_alu instid0(VALU_DEP_1)
	v_cvt_i32_f32_e32 v20, v1
.LBB102_3373:
	s_mov_b32 s3, 0
.LBB102_3374:
	s_delay_alu instid0(SALU_CYCLE_1)
	s_and_not1_b32 vcc_lo, exec_lo, s3
	s_cbranch_vccnz .LBB102_3385
; %bb.3375:
	s_cmp_lt_i32 s1, 6
	s_cbranch_scc1 .LBB102_3378
; %bb.3376:
	s_cmp_gt_i32 s1, 6
	s_cbranch_scc0 .LBB102_3379
; %bb.3377:
	s_wait_loadcnt 0x0
	global_load_b64 v[20:21], v[24:25], off
	s_mov_b32 s3, 0
	s_wait_loadcnt 0x0
	v_trunc_f64_e32 v[20:21], v[20:21]
	s_delay_alu instid0(VALU_DEP_1) | instskip(NEXT) | instid1(VALU_DEP_1)
	v_ldexp_f64 v[28:29], v[20:21], 0xffffffe0
	v_floor_f64_e32 v[28:29], v[28:29]
	s_delay_alu instid0(VALU_DEP_1) | instskip(NEXT) | instid1(VALU_DEP_1)
	v_fmamk_f64 v[20:21], v[28:29], 0xc1f00000, v[20:21]
	v_cvt_u32_f64_e32 v20, v[20:21]
	s_branch .LBB102_3380
.LBB102_3378:
	s_mov_b32 s3, -1
                                        ; implicit-def: $vgpr20
	s_branch .LBB102_3383
.LBB102_3379:
	s_mov_b32 s3, -1
                                        ; implicit-def: $vgpr20
.LBB102_3380:
	s_delay_alu instid0(SALU_CYCLE_1)
	s_and_not1_b32 vcc_lo, exec_lo, s3
	s_cbranch_vccnz .LBB102_3382
; %bb.3381:
	s_wait_loadcnt 0x0
	global_load_b32 v1, v[24:25], off
	s_wait_loadcnt 0x0
	v_trunc_f32_e32 v1, v1
	s_delay_alu instid0(VALU_DEP_1) | instskip(NEXT) | instid1(VALU_DEP_1)
	v_mul_f32_e64 v3, 0x2f800000, |v1|
	v_floor_f32_e32 v3, v3
	s_delay_alu instid0(VALU_DEP_1) | instskip(SKIP_1) | instid1(VALU_DEP_2)
	v_fma_f32 v3, 0xcf800000, v3, |v1|
	v_ashrrev_i32_e32 v1, 31, v1
	v_cvt_u32_f32_e32 v3, v3
	s_delay_alu instid0(VALU_DEP_1) | instskip(NEXT) | instid1(VALU_DEP_1)
	v_xor_b32_e32 v3, v3, v1
	v_sub_nc_u32_e32 v20, v3, v1
.LBB102_3382:
	s_mov_b32 s3, 0
.LBB102_3383:
	s_delay_alu instid0(SALU_CYCLE_1)
	s_and_not1_b32 vcc_lo, exec_lo, s3
	s_cbranch_vccnz .LBB102_3385
; %bb.3384:
	s_wait_loadcnt 0x0
	global_load_u16 v1, v[24:25], off
	s_wait_loadcnt 0x0
	v_cvt_f32_f16_e32 v1, v1
	s_delay_alu instid0(VALU_DEP_1)
	v_cvt_i32_f32_e32 v20, v1
.LBB102_3385:
	s_mov_b32 s3, 0
.LBB102_3386:
	s_delay_alu instid0(SALU_CYCLE_1)
	s_and_not1_b32 vcc_lo, exec_lo, s3
	s_cbranch_vccnz .LBB102_3406
; %bb.3387:
	s_cmp_lt_i32 s1, 2
	s_cbranch_scc1 .LBB102_3391
; %bb.3388:
	s_cmp_lt_i32 s1, 3
	s_cbranch_scc1 .LBB102_3392
; %bb.3389:
	s_cmp_gt_i32 s1, 3
	s_cbranch_scc0 .LBB102_3393
; %bb.3390:
	s_wait_loadcnt 0x0
	global_load_b64 v[20:21], v[24:25], off
	s_mov_b32 s3, 0
	s_branch .LBB102_3394
.LBB102_3391:
	s_mov_b32 s3, -1
                                        ; implicit-def: $vgpr20
	s_branch .LBB102_3400
.LBB102_3392:
	s_mov_b32 s3, -1
                                        ; implicit-def: $vgpr20
	s_branch .LBB102_3397
.LBB102_3393:
	s_mov_b32 s3, -1
                                        ; implicit-def: $vgpr20
.LBB102_3394:
	s_delay_alu instid0(SALU_CYCLE_1)
	s_and_not1_b32 vcc_lo, exec_lo, s3
	s_cbranch_vccnz .LBB102_3396
; %bb.3395:
	s_wait_loadcnt 0x0
	global_load_b32 v20, v[24:25], off
.LBB102_3396:
	s_mov_b32 s3, 0
.LBB102_3397:
	s_delay_alu instid0(SALU_CYCLE_1)
	s_and_not1_b32 vcc_lo, exec_lo, s3
	s_cbranch_vccnz .LBB102_3399
; %bb.3398:
	s_wait_loadcnt 0x0
	global_load_u16 v20, v[24:25], off
.LBB102_3399:
	s_mov_b32 s3, 0
.LBB102_3400:
	s_delay_alu instid0(SALU_CYCLE_1)
	s_and_not1_b32 vcc_lo, exec_lo, s3
	s_cbranch_vccnz .LBB102_3406
; %bb.3401:
	s_cmp_gt_i32 s1, 0
	s_mov_b32 s1, 0
	s_cbranch_scc0 .LBB102_3403
; %bb.3402:
	s_wait_loadcnt 0x0
	global_load_u8 v20, v[24:25], off
	s_branch .LBB102_3404
.LBB102_3403:
	s_mov_b32 s1, -1
                                        ; implicit-def: $vgpr20
.LBB102_3404:
	s_delay_alu instid0(SALU_CYCLE_1)
	s_and_not1_b32 vcc_lo, exec_lo, s1
	s_cbranch_vccnz .LBB102_3406
; %bb.3405:
	s_wait_loadcnt 0x0
	global_load_u8 v20, v[24:25], off
.LBB102_3406:
	s_mov_b32 s8, -1
.LBB102_3407:
	s_delay_alu instid0(SALU_CYCLE_1)
	s_and_not1_b32 vcc_lo, exec_lo, s8
	s_cbranch_vccnz .LBB102_3968
; %bb.3408:
	v_add_nc_u32_e32 v22, s14, v22
	s_cmp_lt_i32 s0, 11
	s_delay_alu instid0(VALU_DEP_1) | instskip(SKIP_1) | instid1(VALU_DEP_1)
	v_ashrrev_i32_e32 v23, 31, v22
	s_wait_xcnt 0x0
	v_add_nc_u64_e32 v[24:25], s[10:11], v[22:23]
	s_cbranch_scc1 .LBB102_3415
; %bb.3409:
	s_cmp_gt_i32 s0, 25
	s_mov_b32 s3, 0
	s_cbranch_scc0 .LBB102_3416
; %bb.3410:
	s_cmp_gt_i32 s0, 28
	s_cbranch_scc0 .LBB102_3417
; %bb.3411:
	s_cmp_gt_i32 s0, 43
	;; [unrolled: 3-line block ×3, first 2 shown]
	s_cbranch_scc0 .LBB102_3420
; %bb.3413:
	s_cmp_eq_u32 s0, 46
	s_mov_b32 s7, 0
	s_cbranch_scc0 .LBB102_3421
; %bb.3414:
	s_wait_loadcnt 0x0
	global_load_b32 v1, v[24:25], off
	s_mov_b32 s1, 0
	s_mov_b32 s6, -1
	s_wait_loadcnt 0x0
	v_lshlrev_b32_e32 v1, 16, v1
	s_delay_alu instid0(VALU_DEP_1) | instskip(NEXT) | instid1(VALU_DEP_1)
	v_trunc_f32_e32 v1, v1
	v_mul_f32_e64 v3, 0x2f800000, |v1|
	s_delay_alu instid0(VALU_DEP_1) | instskip(NEXT) | instid1(VALU_DEP_1)
	v_floor_f32_e32 v3, v3
	v_fma_f32 v3, 0xcf800000, v3, |v1|
	v_ashrrev_i32_e32 v1, 31, v1
	s_delay_alu instid0(VALU_DEP_2) | instskip(NEXT) | instid1(VALU_DEP_1)
	v_cvt_u32_f32_e32 v3, v3
	v_xor_b32_e32 v3, v3, v1
	s_delay_alu instid0(VALU_DEP_1)
	v_sub_nc_u32_e32 v22, v3, v1
	s_branch .LBB102_3423
.LBB102_3415:
	s_mov_b32 s1, -1
	s_mov_b32 s6, 0
                                        ; implicit-def: $vgpr22
	s_branch .LBB102_3485
.LBB102_3416:
	s_mov_b32 s7, -1
	s_mov_b32 s6, 0
	s_mov_b32 s1, 0
                                        ; implicit-def: $vgpr22
	s_branch .LBB102_3450
.LBB102_3417:
	s_mov_b32 s7, -1
	s_mov_b32 s6, 0
	s_mov_b32 s1, 0
                                        ; implicit-def: $vgpr22
	s_branch .LBB102_3433
.LBB102_3418:
	s_mov_b32 s7, -1
	s_mov_b32 s6, 0
	s_mov_b32 s1, 0
                                        ; implicit-def: $vgpr22
	s_branch .LBB102_3428
.LBB102_3419:
	s_or_b32 s16, s16, exec_lo
	s_trap 2
	s_cbranch_execz .LBB102_3356
	s_branch .LBB102_3357
.LBB102_3420:
	s_mov_b32 s7, -1
	s_mov_b32 s6, 0
	s_mov_b32 s1, 0
	s_branch .LBB102_3422
.LBB102_3421:
	s_mov_b32 s1, -1
	s_mov_b32 s6, 0
.LBB102_3422:
                                        ; implicit-def: $vgpr22
.LBB102_3423:
	s_and_b32 vcc_lo, exec_lo, s7
	s_cbranch_vccz .LBB102_3427
; %bb.3424:
	s_cmp_eq_u32 s0, 44
	s_cbranch_scc0 .LBB102_3426
; %bb.3425:
	s_wait_loadcnt 0x0
	global_load_u8 v1, v[24:25], off
	s_mov_b32 s1, 0
	s_mov_b32 s6, -1
	s_wait_loadcnt 0x0
	v_lshlrev_b32_e32 v3, 23, v1
	v_cmp_ne_u32_e32 vcc_lo, 0, v1
	s_delay_alu instid0(VALU_DEP_2) | instskip(NEXT) | instid1(VALU_DEP_1)
	v_trunc_f32_e32 v3, v3
	v_mul_f32_e64 v5, 0x2f800000, |v3|
	s_delay_alu instid0(VALU_DEP_1) | instskip(NEXT) | instid1(VALU_DEP_1)
	v_floor_f32_e32 v5, v5
	v_fma_f32 v5, 0xcf800000, v5, |v3|
	v_ashrrev_i32_e32 v3, 31, v3
	s_delay_alu instid0(VALU_DEP_2) | instskip(NEXT) | instid1(VALU_DEP_1)
	v_cvt_u32_f32_e32 v5, v5
	v_xor_b32_e32 v5, v5, v3
	s_delay_alu instid0(VALU_DEP_1) | instskip(NEXT) | instid1(VALU_DEP_1)
	v_sub_nc_u32_e32 v3, v5, v3
	v_cndmask_b32_e32 v22, 0, v3, vcc_lo
	s_branch .LBB102_3427
.LBB102_3426:
	s_mov_b32 s1, -1
                                        ; implicit-def: $vgpr22
.LBB102_3427:
	s_mov_b32 s7, 0
.LBB102_3428:
	s_delay_alu instid0(SALU_CYCLE_1)
	s_and_b32 vcc_lo, exec_lo, s7
	s_cbranch_vccz .LBB102_3432
; %bb.3429:
	s_cmp_eq_u32 s0, 29
	s_cbranch_scc0 .LBB102_3431
; %bb.3430:
	global_load_b64 v[22:23], v[24:25], off
	s_mov_b32 s1, 0
	s_mov_b32 s6, -1
	s_branch .LBB102_3432
.LBB102_3431:
	s_mov_b32 s1, -1
                                        ; implicit-def: $vgpr22
.LBB102_3432:
	s_mov_b32 s7, 0
.LBB102_3433:
	s_delay_alu instid0(SALU_CYCLE_1)
	s_and_b32 vcc_lo, exec_lo, s7
	s_cbranch_vccz .LBB102_3449
; %bb.3434:
	s_cmp_lt_i32 s0, 27
	s_cbranch_scc1 .LBB102_3437
; %bb.3435:
	s_cmp_gt_i32 s0, 27
	s_cbranch_scc0 .LBB102_3438
; %bb.3436:
	s_wait_loadcnt 0x0
	global_load_b32 v22, v[24:25], off
	s_mov_b32 s6, 0
	s_branch .LBB102_3439
.LBB102_3437:
	s_mov_b32 s6, -1
                                        ; implicit-def: $vgpr22
	s_branch .LBB102_3442
.LBB102_3438:
	s_mov_b32 s6, -1
                                        ; implicit-def: $vgpr22
.LBB102_3439:
	s_delay_alu instid0(SALU_CYCLE_1)
	s_and_not1_b32 vcc_lo, exec_lo, s6
	s_cbranch_vccnz .LBB102_3441
; %bb.3440:
	s_wait_loadcnt 0x0
	global_load_u16 v22, v[24:25], off
.LBB102_3441:
	s_mov_b32 s6, 0
.LBB102_3442:
	s_delay_alu instid0(SALU_CYCLE_1)
	s_and_not1_b32 vcc_lo, exec_lo, s6
	s_cbranch_vccnz .LBB102_3448
; %bb.3443:
	s_wait_loadcnt 0x0
	global_load_u8 v1, v[24:25], off
	s_mov_b32 s7, 0
	s_mov_b32 s6, exec_lo
	s_wait_loadcnt 0x0
	v_cmpx_lt_i16_e32 0x7f, v1
	s_xor_b32 s6, exec_lo, s6
	s_cbranch_execz .LBB102_3460
; %bb.3444:
	v_cmp_ne_u16_e32 vcc_lo, 0x80, v1
	s_and_b32 s7, vcc_lo, exec_lo
	s_and_not1_saveexec_b32 s6, s6
	s_cbranch_execnz .LBB102_3461
.LBB102_3445:
	s_or_b32 exec_lo, exec_lo, s6
	v_mov_b32_e32 v22, 0
	s_and_saveexec_b32 s6, s7
	s_cbranch_execz .LBB102_3447
.LBB102_3446:
	v_and_b32_e32 v3, 0xffff, v1
	s_delay_alu instid0(VALU_DEP_1) | instskip(SKIP_1) | instid1(VALU_DEP_2)
	v_dual_lshlrev_b32 v1, 24, v1 :: v_dual_bitop2_b32 v5, 7, v3 bitop3:0x40
	v_bfe_u32 v11, v3, 3, 4
	v_and_b32_e32 v1, 0x80000000, v1
	s_delay_alu instid0(VALU_DEP_3) | instskip(NEXT) | instid1(VALU_DEP_3)
	v_clz_i32_u32_e32 v7, v5
	v_cmp_eq_u32_e32 vcc_lo, 0, v11
	s_delay_alu instid0(VALU_DEP_2) | instskip(NEXT) | instid1(VALU_DEP_1)
	v_min_u32_e32 v7, 32, v7
	v_subrev_nc_u32_e32 v9, 28, v7
	v_sub_nc_u32_e32 v7, 29, v7
	s_delay_alu instid0(VALU_DEP_2) | instskip(NEXT) | instid1(VALU_DEP_2)
	v_lshlrev_b32_e32 v3, v9, v3
	v_cndmask_b32_e32 v7, v11, v7, vcc_lo
	s_delay_alu instid0(VALU_DEP_2) | instskip(NEXT) | instid1(VALU_DEP_1)
	v_and_b32_e32 v3, 7, v3
	v_cndmask_b32_e32 v3, v5, v3, vcc_lo
	s_delay_alu instid0(VALU_DEP_3) | instskip(NEXT) | instid1(VALU_DEP_2)
	v_lshl_add_u32 v5, v7, 23, 0x3b800000
	v_lshlrev_b32_e32 v3, 20, v3
	s_delay_alu instid0(VALU_DEP_1) | instskip(NEXT) | instid1(VALU_DEP_1)
	v_or3_b32 v1, v1, v5, v3
	v_trunc_f32_e32 v1, v1
	s_delay_alu instid0(VALU_DEP_1) | instskip(NEXT) | instid1(VALU_DEP_1)
	v_mul_f32_e64 v3, 0x2f800000, |v1|
	v_floor_f32_e32 v3, v3
	s_delay_alu instid0(VALU_DEP_1) | instskip(SKIP_1) | instid1(VALU_DEP_2)
	v_fma_f32 v3, 0xcf800000, v3, |v1|
	v_ashrrev_i32_e32 v1, 31, v1
	v_cvt_u32_f32_e32 v3, v3
	s_delay_alu instid0(VALU_DEP_1) | instskip(NEXT) | instid1(VALU_DEP_1)
	v_xor_b32_e32 v3, v3, v1
	v_sub_nc_u32_e32 v22, v3, v1
.LBB102_3447:
	s_or_b32 exec_lo, exec_lo, s6
.LBB102_3448:
	s_mov_b32 s6, -1
.LBB102_3449:
	s_mov_b32 s7, 0
.LBB102_3450:
	s_delay_alu instid0(SALU_CYCLE_1)
	s_and_b32 vcc_lo, exec_lo, s7
	s_cbranch_vccz .LBB102_3481
; %bb.3451:
	s_cmp_gt_i32 s0, 22
	s_cbranch_scc0 .LBB102_3459
; %bb.3452:
	s_cmp_lt_i32 s0, 24
	s_cbranch_scc1 .LBB102_3462
; %bb.3453:
	s_cmp_gt_i32 s0, 24
	s_cbranch_scc0 .LBB102_3463
; %bb.3454:
	s_wait_loadcnt 0x0
	global_load_u8 v1, v[24:25], off
	s_mov_b32 s6, 0
	s_mov_b32 s3, exec_lo
	s_wait_loadcnt 0x0
	v_cmpx_lt_i16_e32 0x7f, v1
	s_xor_b32 s3, exec_lo, s3
	s_cbranch_execz .LBB102_3475
; %bb.3455:
	v_cmp_ne_u16_e32 vcc_lo, 0x80, v1
	s_and_b32 s6, vcc_lo, exec_lo
	s_and_not1_saveexec_b32 s3, s3
	s_cbranch_execnz .LBB102_3476
.LBB102_3456:
	s_or_b32 exec_lo, exec_lo, s3
	v_mov_b32_e32 v22, 0
	s_and_saveexec_b32 s3, s6
	s_cbranch_execz .LBB102_3458
.LBB102_3457:
	v_and_b32_e32 v3, 0xffff, v1
	s_delay_alu instid0(VALU_DEP_1) | instskip(SKIP_1) | instid1(VALU_DEP_2)
	v_dual_lshlrev_b32 v1, 24, v1 :: v_dual_bitop2_b32 v5, 3, v3 bitop3:0x40
	v_bfe_u32 v11, v3, 2, 5
	v_and_b32_e32 v1, 0x80000000, v1
	s_delay_alu instid0(VALU_DEP_3) | instskip(NEXT) | instid1(VALU_DEP_3)
	v_clz_i32_u32_e32 v7, v5
	v_cmp_eq_u32_e32 vcc_lo, 0, v11
	s_delay_alu instid0(VALU_DEP_2) | instskip(NEXT) | instid1(VALU_DEP_1)
	v_min_u32_e32 v7, 32, v7
	v_subrev_nc_u32_e32 v9, 29, v7
	v_sub_nc_u32_e32 v7, 30, v7
	s_delay_alu instid0(VALU_DEP_2) | instskip(NEXT) | instid1(VALU_DEP_2)
	v_lshlrev_b32_e32 v3, v9, v3
	v_cndmask_b32_e32 v7, v11, v7, vcc_lo
	s_delay_alu instid0(VALU_DEP_2) | instskip(NEXT) | instid1(VALU_DEP_1)
	v_and_b32_e32 v3, 3, v3
	v_cndmask_b32_e32 v3, v5, v3, vcc_lo
	s_delay_alu instid0(VALU_DEP_3) | instskip(NEXT) | instid1(VALU_DEP_2)
	v_lshl_add_u32 v5, v7, 23, 0x37800000
	v_lshlrev_b32_e32 v3, 21, v3
	s_delay_alu instid0(VALU_DEP_1) | instskip(NEXT) | instid1(VALU_DEP_1)
	v_or3_b32 v1, v1, v5, v3
	v_trunc_f32_e32 v1, v1
	s_delay_alu instid0(VALU_DEP_1) | instskip(NEXT) | instid1(VALU_DEP_1)
	v_mul_f32_e64 v3, 0x2f800000, |v1|
	v_floor_f32_e32 v3, v3
	s_delay_alu instid0(VALU_DEP_1) | instskip(SKIP_1) | instid1(VALU_DEP_2)
	v_fma_f32 v3, 0xcf800000, v3, |v1|
	v_ashrrev_i32_e32 v1, 31, v1
	v_cvt_u32_f32_e32 v3, v3
	s_delay_alu instid0(VALU_DEP_1) | instskip(NEXT) | instid1(VALU_DEP_1)
	v_xor_b32_e32 v3, v3, v1
	v_sub_nc_u32_e32 v22, v3, v1
.LBB102_3458:
	s_or_b32 exec_lo, exec_lo, s3
	s_mov_b32 s3, 0
	s_branch .LBB102_3464
.LBB102_3459:
	s_mov_b32 s3, -1
                                        ; implicit-def: $vgpr22
	s_branch .LBB102_3470
.LBB102_3460:
	s_and_not1_saveexec_b32 s6, s6
	s_cbranch_execz .LBB102_3445
.LBB102_3461:
	v_cmp_ne_u16_e32 vcc_lo, 0, v1
	s_and_not1_b32 s7, s7, exec_lo
	s_and_b32 s8, vcc_lo, exec_lo
	s_delay_alu instid0(SALU_CYCLE_1)
	s_or_b32 s7, s7, s8
	s_or_b32 exec_lo, exec_lo, s6
	v_mov_b32_e32 v22, 0
	s_and_saveexec_b32 s6, s7
	s_cbranch_execnz .LBB102_3446
	s_branch .LBB102_3447
.LBB102_3462:
	s_mov_b32 s3, -1
                                        ; implicit-def: $vgpr22
	s_branch .LBB102_3467
.LBB102_3463:
	s_mov_b32 s3, -1
                                        ; implicit-def: $vgpr22
.LBB102_3464:
	s_delay_alu instid0(SALU_CYCLE_1)
	s_and_b32 vcc_lo, exec_lo, s3
	s_cbranch_vccz .LBB102_3466
; %bb.3465:
	s_wait_loadcnt 0x0
	global_load_u8 v1, v[24:25], off
	s_wait_loadcnt 0x0
	v_lshlrev_b32_e32 v1, 24, v1
	s_delay_alu instid0(VALU_DEP_1) | instskip(NEXT) | instid1(VALU_DEP_1)
	v_and_b32_e32 v3, 0x7f000000, v1
	v_clz_i32_u32_e32 v5, v3
	v_add_nc_u32_e32 v9, 0x1000000, v3
	v_cmp_ne_u32_e32 vcc_lo, 0, v3
	s_delay_alu instid0(VALU_DEP_3) | instskip(NEXT) | instid1(VALU_DEP_1)
	v_min_u32_e32 v5, 32, v5
	v_sub_nc_u32_e64 v5, v5, 4 clamp
	s_delay_alu instid0(VALU_DEP_1) | instskip(NEXT) | instid1(VALU_DEP_1)
	v_dual_lshlrev_b32 v7, v5, v3 :: v_dual_lshlrev_b32 v5, 23, v5
	v_lshrrev_b32_e32 v7, 4, v7
	s_delay_alu instid0(VALU_DEP_1) | instskip(SKIP_1) | instid1(VALU_DEP_2)
	v_sub_nc_u32_e32 v5, v7, v5
	v_ashrrev_i32_e32 v7, 8, v9
	v_add_nc_u32_e32 v5, 0x3c000000, v5
	s_delay_alu instid0(VALU_DEP_1) | instskip(NEXT) | instid1(VALU_DEP_1)
	v_and_or_b32 v5, 0x7f800000, v7, v5
	v_cndmask_b32_e32 v3, 0, v5, vcc_lo
	s_delay_alu instid0(VALU_DEP_1) | instskip(NEXT) | instid1(VALU_DEP_1)
	v_and_or_b32 v1, 0x80000000, v1, v3
	v_trunc_f32_e32 v1, v1
	s_delay_alu instid0(VALU_DEP_1) | instskip(NEXT) | instid1(VALU_DEP_1)
	v_mul_f32_e64 v3, 0x2f800000, |v1|
	v_floor_f32_e32 v3, v3
	s_delay_alu instid0(VALU_DEP_1) | instskip(SKIP_1) | instid1(VALU_DEP_2)
	v_fma_f32 v3, 0xcf800000, v3, |v1|
	v_ashrrev_i32_e32 v1, 31, v1
	v_cvt_u32_f32_e32 v3, v3
	s_delay_alu instid0(VALU_DEP_1) | instskip(NEXT) | instid1(VALU_DEP_1)
	v_xor_b32_e32 v3, v3, v1
	v_sub_nc_u32_e32 v22, v3, v1
.LBB102_3466:
	s_mov_b32 s3, 0
.LBB102_3467:
	s_delay_alu instid0(SALU_CYCLE_1)
	s_and_not1_b32 vcc_lo, exec_lo, s3
	s_cbranch_vccnz .LBB102_3469
; %bb.3468:
	s_wait_loadcnt 0x0
	global_load_u8 v1, v[24:25], off
	s_wait_loadcnt 0x0
	v_lshlrev_b32_e32 v3, 25, v1
	v_lshlrev_b16 v1, 8, v1
	s_delay_alu instid0(VALU_DEP_1) | instskip(SKIP_1) | instid1(VALU_DEP_2)
	v_and_or_b32 v7, 0x7f00, v1, 0.5
	v_bfe_i32 v1, v1, 0, 16
	v_add_f32_e32 v7, -0.5, v7
	v_lshrrev_b32_e32 v5, 4, v3
	v_cmp_gt_u32_e32 vcc_lo, 0x8000000, v3
	s_delay_alu instid0(VALU_DEP_2) | instskip(NEXT) | instid1(VALU_DEP_1)
	v_or_b32_e32 v5, 0x70000000, v5
	v_mul_f32_e32 v5, 0x7800000, v5
	s_delay_alu instid0(VALU_DEP_1) | instskip(NEXT) | instid1(VALU_DEP_1)
	v_cndmask_b32_e32 v3, v5, v7, vcc_lo
	v_and_or_b32 v1, 0x80000000, v1, v3
	s_delay_alu instid0(VALU_DEP_1) | instskip(NEXT) | instid1(VALU_DEP_1)
	v_trunc_f32_e32 v1, v1
	v_mul_f32_e64 v3, 0x2f800000, |v1|
	s_delay_alu instid0(VALU_DEP_1) | instskip(NEXT) | instid1(VALU_DEP_1)
	v_floor_f32_e32 v3, v3
	v_fma_f32 v3, 0xcf800000, v3, |v1|
	v_ashrrev_i32_e32 v1, 31, v1
	s_delay_alu instid0(VALU_DEP_2) | instskip(NEXT) | instid1(VALU_DEP_1)
	v_cvt_u32_f32_e32 v3, v3
	v_xor_b32_e32 v3, v3, v1
	s_delay_alu instid0(VALU_DEP_1)
	v_sub_nc_u32_e32 v22, v3, v1
.LBB102_3469:
	s_mov_b32 s3, 0
	s_mov_b32 s6, -1
.LBB102_3470:
	s_and_not1_b32 vcc_lo, exec_lo, s3
	s_mov_b32 s3, 0
	s_cbranch_vccnz .LBB102_3481
; %bb.3471:
	s_cmp_gt_i32 s0, 14
	s_cbranch_scc0 .LBB102_3474
; %bb.3472:
	s_cmp_eq_u32 s0, 15
	s_cbranch_scc0 .LBB102_3477
; %bb.3473:
	s_wait_loadcnt 0x0
	global_load_u16 v1, v[24:25], off
	s_mov_b32 s1, 0
	s_mov_b32 s6, -1
	s_wait_loadcnt 0x0
	v_lshlrev_b32_e32 v1, 16, v1
	s_delay_alu instid0(VALU_DEP_1) | instskip(NEXT) | instid1(VALU_DEP_1)
	v_trunc_f32_e32 v1, v1
	v_mul_f32_e64 v3, 0x2f800000, |v1|
	s_delay_alu instid0(VALU_DEP_1) | instskip(NEXT) | instid1(VALU_DEP_1)
	v_floor_f32_e32 v3, v3
	v_fma_f32 v3, 0xcf800000, v3, |v1|
	v_ashrrev_i32_e32 v1, 31, v1
	s_delay_alu instid0(VALU_DEP_2) | instskip(NEXT) | instid1(VALU_DEP_1)
	v_cvt_u32_f32_e32 v3, v3
	v_xor_b32_e32 v3, v3, v1
	s_delay_alu instid0(VALU_DEP_1)
	v_sub_nc_u32_e32 v22, v3, v1
	s_branch .LBB102_3479
.LBB102_3474:
	s_mov_b32 s3, -1
	s_branch .LBB102_3478
.LBB102_3475:
	s_and_not1_saveexec_b32 s3, s3
	s_cbranch_execz .LBB102_3456
.LBB102_3476:
	v_cmp_ne_u16_e32 vcc_lo, 0, v1
	s_and_not1_b32 s6, s6, exec_lo
	s_and_b32 s7, vcc_lo, exec_lo
	s_delay_alu instid0(SALU_CYCLE_1)
	s_or_b32 s6, s6, s7
	s_or_b32 exec_lo, exec_lo, s3
	v_mov_b32_e32 v22, 0
	s_and_saveexec_b32 s3, s6
	s_cbranch_execnz .LBB102_3457
	s_branch .LBB102_3458
.LBB102_3477:
	s_mov_b32 s1, -1
.LBB102_3478:
                                        ; implicit-def: $vgpr22
.LBB102_3479:
	s_and_b32 vcc_lo, exec_lo, s3
	s_mov_b32 s3, 0
	s_cbranch_vccz .LBB102_3481
; %bb.3480:
	s_cmp_lg_u32 s0, 11
	s_mov_b32 s3, -1
	s_cselect_b32 s1, -1, 0
.LBB102_3481:
	s_delay_alu instid0(SALU_CYCLE_1)
	s_and_b32 vcc_lo, exec_lo, s1
	s_cbranch_vccnz .LBB102_4014
; %bb.3482:
	s_and_not1_b32 vcc_lo, exec_lo, s3
	s_cbranch_vccnz .LBB102_3484
.LBB102_3483:
	s_wait_loadcnt 0x0
	global_load_u8 v1, v[24:25], off
	s_mov_b32 s6, -1
	s_wait_loadcnt 0x0
	v_cmp_ne_u16_e32 vcc_lo, 0, v1
	v_cndmask_b32_e64 v22, 0, 1, vcc_lo
.LBB102_3484:
	s_mov_b32 s1, 0
.LBB102_3485:
	s_delay_alu instid0(SALU_CYCLE_1)
	s_and_b32 vcc_lo, exec_lo, s1
	s_cbranch_vccz .LBB102_3534
; %bb.3486:
	s_cmp_lt_i32 s0, 5
	s_cbranch_scc1 .LBB102_3491
; %bb.3487:
	s_cmp_lt_i32 s0, 8
	s_cbranch_scc1 .LBB102_3492
	;; [unrolled: 3-line block ×3, first 2 shown]
; %bb.3489:
	s_cmp_gt_i32 s0, 9
	s_cbranch_scc0 .LBB102_3494
; %bb.3490:
	s_wait_loadcnt 0x0
	global_load_b64 v[22:23], v[24:25], off
	s_mov_b32 s1, 0
	s_wait_loadcnt 0x0
	v_trunc_f64_e32 v[22:23], v[22:23]
	s_delay_alu instid0(VALU_DEP_1) | instskip(NEXT) | instid1(VALU_DEP_1)
	v_ldexp_f64 v[28:29], v[22:23], 0xffffffe0
	v_floor_f64_e32 v[28:29], v[28:29]
	s_delay_alu instid0(VALU_DEP_1) | instskip(NEXT) | instid1(VALU_DEP_1)
	v_fmamk_f64 v[22:23], v[28:29], 0xc1f00000, v[22:23]
	v_cvt_u32_f64_e32 v22, v[22:23]
	s_branch .LBB102_3495
.LBB102_3491:
	s_mov_b32 s1, -1
                                        ; implicit-def: $vgpr22
	s_branch .LBB102_3513
.LBB102_3492:
	s_mov_b32 s1, -1
                                        ; implicit-def: $vgpr22
	s_branch .LBB102_3501
.LBB102_3493:
	s_mov_b32 s1, -1
                                        ; implicit-def: $vgpr22
	s_branch .LBB102_3498
.LBB102_3494:
	s_mov_b32 s1, -1
                                        ; implicit-def: $vgpr22
.LBB102_3495:
	s_delay_alu instid0(SALU_CYCLE_1)
	s_and_not1_b32 vcc_lo, exec_lo, s1
	s_cbranch_vccnz .LBB102_3497
; %bb.3496:
	s_wait_loadcnt 0x0
	global_load_b32 v1, v[24:25], off
	s_wait_loadcnt 0x0
	v_trunc_f32_e32 v1, v1
	s_delay_alu instid0(VALU_DEP_1) | instskip(NEXT) | instid1(VALU_DEP_1)
	v_mul_f32_e64 v3, 0x2f800000, |v1|
	v_floor_f32_e32 v3, v3
	s_delay_alu instid0(VALU_DEP_1) | instskip(SKIP_1) | instid1(VALU_DEP_2)
	v_fma_f32 v3, 0xcf800000, v3, |v1|
	v_ashrrev_i32_e32 v1, 31, v1
	v_cvt_u32_f32_e32 v3, v3
	s_delay_alu instid0(VALU_DEP_1) | instskip(NEXT) | instid1(VALU_DEP_1)
	v_xor_b32_e32 v3, v3, v1
	v_sub_nc_u32_e32 v22, v3, v1
.LBB102_3497:
	s_mov_b32 s1, 0
.LBB102_3498:
	s_delay_alu instid0(SALU_CYCLE_1)
	s_and_not1_b32 vcc_lo, exec_lo, s1
	s_cbranch_vccnz .LBB102_3500
; %bb.3499:
	s_wait_loadcnt 0x0
	global_load_b32 v1, v[24:25], off
	s_wait_loadcnt 0x0
	v_cvt_f32_f16_e32 v1, v1
	s_delay_alu instid0(VALU_DEP_1)
	v_cvt_i32_f32_e32 v22, v1
.LBB102_3500:
	s_mov_b32 s1, 0
.LBB102_3501:
	s_delay_alu instid0(SALU_CYCLE_1)
	s_and_not1_b32 vcc_lo, exec_lo, s1
	s_cbranch_vccnz .LBB102_3512
; %bb.3502:
	s_cmp_lt_i32 s0, 6
	s_cbranch_scc1 .LBB102_3505
; %bb.3503:
	s_cmp_gt_i32 s0, 6
	s_cbranch_scc0 .LBB102_3506
; %bb.3504:
	s_wait_loadcnt 0x0
	global_load_b64 v[22:23], v[24:25], off
	s_mov_b32 s1, 0
	s_wait_loadcnt 0x0
	v_trunc_f64_e32 v[22:23], v[22:23]
	s_delay_alu instid0(VALU_DEP_1) | instskip(NEXT) | instid1(VALU_DEP_1)
	v_ldexp_f64 v[28:29], v[22:23], 0xffffffe0
	v_floor_f64_e32 v[28:29], v[28:29]
	s_delay_alu instid0(VALU_DEP_1) | instskip(NEXT) | instid1(VALU_DEP_1)
	v_fmamk_f64 v[22:23], v[28:29], 0xc1f00000, v[22:23]
	v_cvt_u32_f64_e32 v22, v[22:23]
	s_branch .LBB102_3507
.LBB102_3505:
	s_mov_b32 s1, -1
                                        ; implicit-def: $vgpr22
	s_branch .LBB102_3510
.LBB102_3506:
	s_mov_b32 s1, -1
                                        ; implicit-def: $vgpr22
.LBB102_3507:
	s_delay_alu instid0(SALU_CYCLE_1)
	s_and_not1_b32 vcc_lo, exec_lo, s1
	s_cbranch_vccnz .LBB102_3509
; %bb.3508:
	s_wait_loadcnt 0x0
	global_load_b32 v1, v[24:25], off
	s_wait_loadcnt 0x0
	v_trunc_f32_e32 v1, v1
	s_delay_alu instid0(VALU_DEP_1) | instskip(NEXT) | instid1(VALU_DEP_1)
	v_mul_f32_e64 v3, 0x2f800000, |v1|
	v_floor_f32_e32 v3, v3
	s_delay_alu instid0(VALU_DEP_1) | instskip(SKIP_1) | instid1(VALU_DEP_2)
	v_fma_f32 v3, 0xcf800000, v3, |v1|
	v_ashrrev_i32_e32 v1, 31, v1
	v_cvt_u32_f32_e32 v3, v3
	s_delay_alu instid0(VALU_DEP_1) | instskip(NEXT) | instid1(VALU_DEP_1)
	v_xor_b32_e32 v3, v3, v1
	v_sub_nc_u32_e32 v22, v3, v1
.LBB102_3509:
	s_mov_b32 s1, 0
.LBB102_3510:
	s_delay_alu instid0(SALU_CYCLE_1)
	s_and_not1_b32 vcc_lo, exec_lo, s1
	s_cbranch_vccnz .LBB102_3512
; %bb.3511:
	s_wait_loadcnt 0x0
	global_load_u16 v1, v[24:25], off
	s_wait_loadcnt 0x0
	v_cvt_f32_f16_e32 v1, v1
	s_delay_alu instid0(VALU_DEP_1)
	v_cvt_i32_f32_e32 v22, v1
.LBB102_3512:
	s_mov_b32 s1, 0
.LBB102_3513:
	s_delay_alu instid0(SALU_CYCLE_1)
	s_and_not1_b32 vcc_lo, exec_lo, s1
	s_cbranch_vccnz .LBB102_3533
; %bb.3514:
	s_cmp_lt_i32 s0, 2
	s_cbranch_scc1 .LBB102_3518
; %bb.3515:
	s_cmp_lt_i32 s0, 3
	s_cbranch_scc1 .LBB102_3519
; %bb.3516:
	s_cmp_gt_i32 s0, 3
	s_cbranch_scc0 .LBB102_3520
; %bb.3517:
	s_wait_loadcnt 0x0
	global_load_b64 v[22:23], v[24:25], off
	s_mov_b32 s1, 0
	s_branch .LBB102_3521
.LBB102_3518:
	s_mov_b32 s1, -1
                                        ; implicit-def: $vgpr22
	s_branch .LBB102_3527
.LBB102_3519:
	s_mov_b32 s1, -1
                                        ; implicit-def: $vgpr22
	s_branch .LBB102_3524
.LBB102_3520:
	s_mov_b32 s1, -1
                                        ; implicit-def: $vgpr22
.LBB102_3521:
	s_delay_alu instid0(SALU_CYCLE_1)
	s_and_not1_b32 vcc_lo, exec_lo, s1
	s_cbranch_vccnz .LBB102_3523
; %bb.3522:
	s_wait_loadcnt 0x0
	global_load_b32 v22, v[24:25], off
.LBB102_3523:
	s_mov_b32 s1, 0
.LBB102_3524:
	s_delay_alu instid0(SALU_CYCLE_1)
	s_and_not1_b32 vcc_lo, exec_lo, s1
	s_cbranch_vccnz .LBB102_3526
; %bb.3525:
	s_wait_loadcnt 0x0
	global_load_u16 v22, v[24:25], off
.LBB102_3526:
	s_mov_b32 s1, 0
.LBB102_3527:
	s_delay_alu instid0(SALU_CYCLE_1)
	s_and_not1_b32 vcc_lo, exec_lo, s1
	s_cbranch_vccnz .LBB102_3533
; %bb.3528:
	s_cmp_gt_i32 s0, 0
	s_mov_b32 s0, 0
	s_cbranch_scc0 .LBB102_3530
; %bb.3529:
	s_wait_loadcnt 0x0
	global_load_u8 v22, v[24:25], off
	s_branch .LBB102_3531
.LBB102_3530:
	s_mov_b32 s0, -1
                                        ; implicit-def: $vgpr22
.LBB102_3531:
	s_delay_alu instid0(SALU_CYCLE_1)
	s_and_not1_b32 vcc_lo, exec_lo, s0
	s_cbranch_vccnz .LBB102_3533
; %bb.3532:
	s_wait_loadcnt 0x0
	global_load_u8 v22, v[24:25], off
.LBB102_3533:
	s_mov_b32 s6, -1
.LBB102_3534:
	s_delay_alu instid0(SALU_CYCLE_1)
	s_and_not1_b32 vcc_lo, exec_lo, s6
	s_cbranch_vccnz .LBB102_3968
; %bb.3535:
	s_wait_xcnt 0x0
	v_mul_lo_u32 v24, s12, v26
	s_wait_loadcnt 0x0
	v_and_b32_e32 v1, 0xff, v2
	v_and_b32_e32 v0, 0xff, v0
	;; [unrolled: 1-line block ×3, first 2 shown]
	s_and_b32 s20, s2, 0xff
	s_delay_alu instid0(SALU_CYCLE_1) | instskip(NEXT) | instid1(VALU_DEP_2)
	s_cmp_lt_i32 s20, 11
	v_max_u16 v2, v0, v1
	v_ashrrev_i32_e32 v25, 31, v24
	s_delay_alu instid0(VALU_DEP_2) | instskip(NEXT) | instid1(VALU_DEP_2)
	v_min_u16 v4, v2, v3
	v_add_nc_u64_e32 v[0:1], s[4:5], v[24:25]
	s_cbranch_scc1 .LBB102_3613
; %bb.3536:
	s_and_b32 s1, 0xffff, s20
	s_mov_b32 s6, -1
	s_mov_b32 s2, 0
	s_cmp_gt_i32 s1, 25
	s_mov_b32 s3, 0
	s_mov_b32 s0, 0
	s_cbranch_scc0 .LBB102_3569
; %bb.3537:
	s_cmp_gt_i32 s1, 28
	s_cbranch_scc0 .LBB102_3552
; %bb.3538:
	s_cmp_gt_i32 s1, 43
	;; [unrolled: 3-line block ×3, first 2 shown]
	s_cbranch_scc0 .LBB102_3542
; %bb.3540:
	s_mov_b32 s0, -1
	s_mov_b32 s6, 0
	s_cmp_eq_u32 s1, 46
	s_cbranch_scc0 .LBB102_3542
; %bb.3541:
	v_cvt_f32_ubyte0_e32 v2, v4
	s_mov_b32 s0, 0
	s_mov_b32 s3, -1
	s_delay_alu instid0(VALU_DEP_1) | instskip(NEXT) | instid1(VALU_DEP_1)
	v_bfe_u32 v3, v2, 16, 1
	v_add3_u32 v2, v2, v3, 0x7fff
	s_delay_alu instid0(VALU_DEP_1)
	v_lshrrev_b32_e32 v2, 16, v2
	global_store_b32 v[0:1], v2, off
.LBB102_3542:
	s_and_b32 vcc_lo, exec_lo, s6
	s_cbranch_vccz .LBB102_3547
; %bb.3543:
	s_cmp_eq_u32 s1, 44
	s_mov_b32 s0, -1
	s_cbranch_scc0 .LBB102_3547
; %bb.3544:
	v_cvt_f32_ubyte0_e32 v5, v4
	s_mov_b32 s3, exec_lo
	s_wait_xcnt 0x0
	s_delay_alu instid0(VALU_DEP_1) | instskip(NEXT) | instid1(VALU_DEP_1)
	v_dual_mov_b32 v3, 0xff :: v_dual_lshrrev_b32 v2, 23, v5
	v_cmpx_ne_u32_e32 0xff, v2
; %bb.3545:
	v_and_b32_e32 v3, 0x400000, v5
	v_and_or_b32 v5, 0x3fffff, v5, v2
	s_delay_alu instid0(VALU_DEP_2) | instskip(NEXT) | instid1(VALU_DEP_2)
	v_cmp_ne_u32_e32 vcc_lo, 0, v3
	v_cmp_ne_u32_e64 s0, 0, v5
	s_and_b32 s0, vcc_lo, s0
	s_delay_alu instid0(SALU_CYCLE_1) | instskip(NEXT) | instid1(VALU_DEP_1)
	v_cndmask_b32_e64 v3, 0, 1, s0
	v_add_nc_u32_e32 v3, v2, v3
; %bb.3546:
	s_or_b32 exec_lo, exec_lo, s3
	s_mov_b32 s0, 0
	s_mov_b32 s3, -1
	global_store_b8 v[0:1], v3, off
.LBB102_3547:
	s_mov_b32 s6, 0
.LBB102_3548:
	s_delay_alu instid0(SALU_CYCLE_1)
	s_and_b32 vcc_lo, exec_lo, s6
	s_cbranch_vccz .LBB102_3551
; %bb.3549:
	s_cmp_eq_u32 s1, 29
	s_mov_b32 s0, -1
	s_cbranch_scc0 .LBB102_3551
; %bb.3550:
	s_mov_b32 s0, 0
	s_wait_xcnt 0x0
	v_and_b32_e32 v2, 0xffff, v4
	v_mov_b32_e32 v3, s0
	s_mov_b32 s3, -1
	global_store_b64 v[0:1], v[2:3], off
.LBB102_3551:
	s_mov_b32 s6, 0
.LBB102_3552:
	s_delay_alu instid0(SALU_CYCLE_1)
	s_and_b32 vcc_lo, exec_lo, s6
	s_cbranch_vccz .LBB102_3568
; %bb.3553:
	s_cmp_lt_i32 s1, 27
	s_mov_b32 s3, -1
	s_cbranch_scc1 .LBB102_3559
; %bb.3554:
	s_cmp_gt_i32 s1, 27
	s_cbranch_scc0 .LBB102_3556
; %bb.3555:
	s_wait_xcnt 0x0
	v_and_b32_e32 v2, 0xffff, v4
	s_mov_b32 s3, 0
	global_store_b32 v[0:1], v2, off
.LBB102_3556:
	s_and_not1_b32 vcc_lo, exec_lo, s3
	s_cbranch_vccnz .LBB102_3558
; %bb.3557:
	global_store_b16 v[0:1], v4, off
.LBB102_3558:
	s_mov_b32 s3, 0
.LBB102_3559:
	s_delay_alu instid0(SALU_CYCLE_1)
	s_and_not1_b32 vcc_lo, exec_lo, s3
	s_cbranch_vccnz .LBB102_3567
; %bb.3560:
	s_wait_xcnt 0x0
	v_cvt_f32_ubyte0_e32 v3, v4
	v_mov_b32_e32 v5, 0x80
	s_mov_b32 s3, exec_lo
	s_delay_alu instid0(VALU_DEP_2)
	v_cmpx_gt_u32_e32 0x43800000, v3
	s_cbranch_execz .LBB102_3566
; %bb.3561:
	s_mov_b32 s6, 0
	s_mov_b32 s7, exec_lo
                                        ; implicit-def: $vgpr2
	v_cmpx_lt_u32_e32 0x3bffffff, v3
	s_xor_b32 s7, exec_lo, s7
	s_cbranch_execz .LBB102_4015
; %bb.3562:
	v_bfe_u32 v2, v3, 20, 1
	s_mov_b32 s6, exec_lo
	s_delay_alu instid0(VALU_DEP_1) | instskip(NEXT) | instid1(VALU_DEP_1)
	v_add3_u32 v2, v3, v2, 0x487ffff
                                        ; implicit-def: $vgpr3
	v_lshrrev_b32_e32 v2, 20, v2
	s_and_not1_saveexec_b32 s7, s7
	s_cbranch_execnz .LBB102_4016
.LBB102_3563:
	s_or_b32 exec_lo, exec_lo, s7
	v_mov_b32_e32 v5, 0
	s_and_saveexec_b32 s7, s6
.LBB102_3564:
	v_mov_b32_e32 v5, v2
.LBB102_3565:
	s_or_b32 exec_lo, exec_lo, s7
.LBB102_3566:
	s_delay_alu instid0(SALU_CYCLE_1)
	s_or_b32 exec_lo, exec_lo, s3
	global_store_b8 v[0:1], v5, off
.LBB102_3567:
	s_mov_b32 s3, -1
.LBB102_3568:
	s_mov_b32 s6, 0
.LBB102_3569:
	s_delay_alu instid0(SALU_CYCLE_1)
	s_and_b32 vcc_lo, exec_lo, s6
	s_cbranch_vccz .LBB102_3609
; %bb.3570:
	s_cmp_gt_i32 s1, 22
	s_mov_b32 s2, -1
	s_cbranch_scc0 .LBB102_3602
; %bb.3571:
	s_cmp_lt_i32 s1, 24
	s_cbranch_scc1 .LBB102_3591
; %bb.3572:
	s_cmp_gt_i32 s1, 24
	s_cbranch_scc0 .LBB102_3580
; %bb.3573:
	s_wait_xcnt 0x0
	v_cvt_f32_ubyte0_e32 v3, v4
	v_mov_b32_e32 v5, 0x80
	s_mov_b32 s2, exec_lo
	s_delay_alu instid0(VALU_DEP_2)
	v_cmpx_gt_u32_e32 0x47800000, v3
	s_cbranch_execz .LBB102_3579
; %bb.3574:
	s_mov_b32 s3, 0
	s_mov_b32 s6, exec_lo
                                        ; implicit-def: $vgpr2
	v_cmpx_lt_u32_e32 0x37ffffff, v3
	s_xor_b32 s6, exec_lo, s6
	s_cbranch_execz .LBB102_4018
; %bb.3575:
	v_bfe_u32 v2, v3, 21, 1
	s_mov_b32 s3, exec_lo
	s_delay_alu instid0(VALU_DEP_1) | instskip(NEXT) | instid1(VALU_DEP_1)
	v_add3_u32 v2, v3, v2, 0x88fffff
                                        ; implicit-def: $vgpr3
	v_lshrrev_b32_e32 v2, 21, v2
	s_and_not1_saveexec_b32 s6, s6
	s_cbranch_execnz .LBB102_4019
.LBB102_3576:
	s_or_b32 exec_lo, exec_lo, s6
	v_mov_b32_e32 v5, 0
	s_and_saveexec_b32 s6, s3
.LBB102_3577:
	v_mov_b32_e32 v5, v2
.LBB102_3578:
	s_or_b32 exec_lo, exec_lo, s6
.LBB102_3579:
	s_delay_alu instid0(SALU_CYCLE_1)
	s_or_b32 exec_lo, exec_lo, s2
	s_mov_b32 s2, 0
	global_store_b8 v[0:1], v5, off
.LBB102_3580:
	s_and_b32 vcc_lo, exec_lo, s2
	s_cbranch_vccz .LBB102_3590
; %bb.3581:
	s_wait_xcnt 0x0
	v_cvt_f32_ubyte0_e32 v3, v4
	s_mov_b32 s2, exec_lo
                                        ; implicit-def: $vgpr2
	s_delay_alu instid0(VALU_DEP_1)
	v_cmpx_gt_u32_e32 0x43f00000, v3
	s_xor_b32 s2, exec_lo, s2
	s_cbranch_execz .LBB102_3587
; %bb.3582:
	s_mov_b32 s3, exec_lo
                                        ; implicit-def: $vgpr2
	v_cmpx_lt_u32_e32 0x3c7fffff, v3
	s_xor_b32 s3, exec_lo, s3
; %bb.3583:
	v_bfe_u32 v2, v3, 20, 1
	s_delay_alu instid0(VALU_DEP_1) | instskip(NEXT) | instid1(VALU_DEP_1)
	v_add3_u32 v2, v3, v2, 0x407ffff
	v_and_b32_e32 v3, 0xff00000, v2
	v_lshrrev_b32_e32 v2, 20, v2
	s_delay_alu instid0(VALU_DEP_2) | instskip(NEXT) | instid1(VALU_DEP_2)
	v_cmp_ne_u32_e32 vcc_lo, 0x7f00000, v3
                                        ; implicit-def: $vgpr3
	v_cndmask_b32_e32 v2, 0x7e, v2, vcc_lo
; %bb.3584:
	s_and_not1_saveexec_b32 s3, s3
; %bb.3585:
	v_add_f32_e32 v2, 0x46800000, v3
; %bb.3586:
	s_or_b32 exec_lo, exec_lo, s3
                                        ; implicit-def: $vgpr3
.LBB102_3587:
	s_and_not1_saveexec_b32 s2, s2
; %bb.3588:
	v_mov_b32_e32 v2, 0x7f
	v_cmp_lt_u32_e32 vcc_lo, 0x7f800000, v3
	s_delay_alu instid0(VALU_DEP_2)
	v_cndmask_b32_e32 v2, 0x7e, v2, vcc_lo
; %bb.3589:
	s_or_b32 exec_lo, exec_lo, s2
	global_store_b8 v[0:1], v2, off
.LBB102_3590:
	s_mov_b32 s2, 0
.LBB102_3591:
	s_delay_alu instid0(SALU_CYCLE_1)
	s_and_not1_b32 vcc_lo, exec_lo, s2
	s_cbranch_vccnz .LBB102_3601
; %bb.3592:
	s_wait_xcnt 0x0
	v_cvt_f32_ubyte0_e32 v3, v4
	s_mov_b32 s2, exec_lo
                                        ; implicit-def: $vgpr2
	s_delay_alu instid0(VALU_DEP_1)
	v_cmpx_gt_u32_e32 0x47800000, v3
	s_xor_b32 s2, exec_lo, s2
	s_cbranch_execz .LBB102_3598
; %bb.3593:
	s_mov_b32 s3, exec_lo
                                        ; implicit-def: $vgpr2
	v_cmpx_lt_u32_e32 0x387fffff, v3
	s_xor_b32 s3, exec_lo, s3
; %bb.3594:
	v_bfe_u32 v2, v3, 21, 1
	s_delay_alu instid0(VALU_DEP_1) | instskip(NEXT) | instid1(VALU_DEP_1)
	v_add3_u32 v2, v3, v2, 0x80fffff
                                        ; implicit-def: $vgpr3
	v_lshrrev_b32_e32 v2, 21, v2
; %bb.3595:
	s_and_not1_saveexec_b32 s3, s3
; %bb.3596:
	v_add_f32_e32 v2, 0x43000000, v3
; %bb.3597:
	s_or_b32 exec_lo, exec_lo, s3
                                        ; implicit-def: $vgpr3
.LBB102_3598:
	s_and_not1_saveexec_b32 s2, s2
; %bb.3599:
	v_mov_b32_e32 v2, 0x7f
	v_cmp_lt_u32_e32 vcc_lo, 0x7f800000, v3
	s_delay_alu instid0(VALU_DEP_2)
	v_cndmask_b32_e32 v2, 0x7c, v2, vcc_lo
; %bb.3600:
	s_or_b32 exec_lo, exec_lo, s2
	global_store_b8 v[0:1], v2, off
.LBB102_3601:
	s_mov_b32 s2, 0
	s_mov_b32 s3, -1
.LBB102_3602:
	s_and_not1_b32 vcc_lo, exec_lo, s2
	s_mov_b32 s2, 0
	s_cbranch_vccnz .LBB102_3609
; %bb.3603:
	s_cmp_gt_i32 s1, 14
	s_mov_b32 s2, -1
	s_cbranch_scc0 .LBB102_3607
; %bb.3604:
	s_cmp_eq_u32 s1, 15
	s_mov_b32 s0, -1
	s_cbranch_scc0 .LBB102_3606
; %bb.3605:
	s_wait_xcnt 0x0
	v_cvt_f32_ubyte0_e32 v2, v4
	s_mov_b32 s0, 0
	s_mov_b32 s3, -1
	s_delay_alu instid0(VALU_DEP_1) | instskip(NEXT) | instid1(VALU_DEP_1)
	v_bfe_u32 v3, v2, 16, 1
	v_add3_u32 v2, v2, v3, 0x7fff
	global_store_d16_hi_b16 v[0:1], v2, off
.LBB102_3606:
	s_mov_b32 s2, 0
.LBB102_3607:
	s_delay_alu instid0(SALU_CYCLE_1)
	s_and_b32 vcc_lo, exec_lo, s2
	s_mov_b32 s2, 0
	s_cbranch_vccz .LBB102_3609
; %bb.3608:
	s_cmp_lg_u32 s1, 11
	s_mov_b32 s2, -1
	s_cselect_b32 s0, -1, 0
.LBB102_3609:
	s_delay_alu instid0(SALU_CYCLE_1)
	s_and_b32 vcc_lo, exec_lo, s0
	s_cbranch_vccnz .LBB102_4017
; %bb.3610:
	s_and_not1_b32 vcc_lo, exec_lo, s2
	s_cbranch_vccnz .LBB102_3612
.LBB102_3611:
	v_cmp_ne_u16_e32 vcc_lo, 0, v4
	s_mov_b32 s3, -1
	s_wait_xcnt 0x0
	v_cndmask_b32_e64 v2, 0, 1, vcc_lo
	global_store_b8 v[0:1], v2, off
.LBB102_3612:
	s_mov_b32 s0, 0
	s_branch .LBB102_3614
.LBB102_3613:
	s_mov_b32 s0, -1
	s_mov_b32 s3, 0
.LBB102_3614:
	s_and_b32 vcc_lo, exec_lo, s0
	s_cbranch_vccz .LBB102_3653
; %bb.3615:
	s_and_b32 s0, 0xffff, s20
	s_mov_b32 s1, -1
	s_cmp_lt_i32 s0, 5
	s_cbranch_scc1 .LBB102_3636
; %bb.3616:
	s_cmp_lt_i32 s0, 8
	s_cbranch_scc1 .LBB102_3626
; %bb.3617:
	;; [unrolled: 3-line block ×3, first 2 shown]
	s_cmp_gt_i32 s0, 9
	s_cbranch_scc0 .LBB102_3620
; %bb.3619:
	s_wait_xcnt 0x0
	v_and_b32_e32 v2, 0xffff, v4
	v_mov_b32_e32 v28, 0
	s_mov_b32 s1, 0
	s_delay_alu instid0(VALU_DEP_2) | instskip(NEXT) | instid1(VALU_DEP_2)
	v_cvt_f64_u32_e32 v[26:27], v2
	v_mov_b32_e32 v29, v28
	global_store_b128 v[0:1], v[26:29], off
.LBB102_3620:
	s_and_not1_b32 vcc_lo, exec_lo, s1
	s_cbranch_vccnz .LBB102_3622
; %bb.3621:
	s_wait_xcnt 0x0
	v_cvt_f32_ubyte0_e32 v2, v4
	v_mov_b32_e32 v3, 0
	global_store_b64 v[0:1], v[2:3], off
.LBB102_3622:
	s_mov_b32 s1, 0
.LBB102_3623:
	s_delay_alu instid0(SALU_CYCLE_1)
	s_and_not1_b32 vcc_lo, exec_lo, s1
	s_cbranch_vccnz .LBB102_3625
; %bb.3624:
	s_wait_xcnt 0x0
	v_cvt_f16_u16_e32 v2, v4
	s_delay_alu instid0(VALU_DEP_1)
	v_and_b32_e32 v2, 0xffff, v2
	global_store_b32 v[0:1], v2, off
.LBB102_3625:
	s_mov_b32 s1, 0
.LBB102_3626:
	s_delay_alu instid0(SALU_CYCLE_1)
	s_and_not1_b32 vcc_lo, exec_lo, s1
	s_cbranch_vccnz .LBB102_3635
; %bb.3627:
	s_cmp_lt_i32 s0, 6
	s_mov_b32 s1, -1
	s_cbranch_scc1 .LBB102_3633
; %bb.3628:
	s_cmp_gt_i32 s0, 6
	s_cbranch_scc0 .LBB102_3630
; %bb.3629:
	s_wait_xcnt 0x0
	v_and_b32_e32 v2, 0xffff, v4
	s_mov_b32 s1, 0
	s_delay_alu instid0(VALU_DEP_1)
	v_cvt_f64_u32_e32 v[2:3], v2
	global_store_b64 v[0:1], v[2:3], off
.LBB102_3630:
	s_and_not1_b32 vcc_lo, exec_lo, s1
	s_cbranch_vccnz .LBB102_3632
; %bb.3631:
	s_wait_xcnt 0x0
	v_cvt_f32_ubyte0_e32 v2, v4
	global_store_b32 v[0:1], v2, off
.LBB102_3632:
	s_mov_b32 s1, 0
.LBB102_3633:
	s_delay_alu instid0(SALU_CYCLE_1)
	s_and_not1_b32 vcc_lo, exec_lo, s1
	s_cbranch_vccnz .LBB102_3635
; %bb.3634:
	s_wait_xcnt 0x0
	v_cvt_f16_u16_e32 v2, v4
	global_store_b16 v[0:1], v2, off
.LBB102_3635:
	s_mov_b32 s1, 0
.LBB102_3636:
	s_delay_alu instid0(SALU_CYCLE_1)
	s_and_not1_b32 vcc_lo, exec_lo, s1
	s_cbranch_vccnz .LBB102_3652
; %bb.3637:
	s_cmp_lt_i32 s0, 2
	s_mov_b32 s1, -1
	s_cbranch_scc1 .LBB102_3647
; %bb.3638:
	s_cmp_lt_i32 s0, 3
	s_cbranch_scc1 .LBB102_3644
; %bb.3639:
	s_wait_xcnt 0x0
	v_and_b32_e32 v2, 0xffff, v4
	s_cmp_gt_i32 s0, 3
	s_cbranch_scc0 .LBB102_3641
; %bb.3640:
	s_mov_b32 s1, 0
	s_delay_alu instid0(SALU_CYCLE_1)
	v_mov_b32_e32 v3, s1
	global_store_b64 v[0:1], v[2:3], off
.LBB102_3641:
	s_and_not1_b32 vcc_lo, exec_lo, s1
	s_cbranch_vccnz .LBB102_3643
; %bb.3642:
	global_store_b32 v[0:1], v2, off
.LBB102_3643:
	s_mov_b32 s1, 0
.LBB102_3644:
	s_delay_alu instid0(SALU_CYCLE_1)
	s_and_not1_b32 vcc_lo, exec_lo, s1
	s_cbranch_vccnz .LBB102_3646
; %bb.3645:
	global_store_b16 v[0:1], v4, off
.LBB102_3646:
	s_mov_b32 s1, 0
.LBB102_3647:
	s_delay_alu instid0(SALU_CYCLE_1)
	s_and_not1_b32 vcc_lo, exec_lo, s1
	s_cbranch_vccnz .LBB102_3652
; %bb.3648:
	s_cmp_gt_i32 s0, 0
	s_mov_b32 s0, -1
	s_cbranch_scc0 .LBB102_3650
; %bb.3649:
	s_mov_b32 s0, 0
	global_store_b8 v[0:1], v4, off
.LBB102_3650:
	s_and_not1_b32 vcc_lo, exec_lo, s0
	s_cbranch_vccnz .LBB102_3652
; %bb.3651:
	global_store_b8 v[0:1], v4, off
.LBB102_3652:
	s_mov_b32 s3, -1
.LBB102_3653:
	s_delay_alu instid0(SALU_CYCLE_1)
	s_and_not1_b32 vcc_lo, exec_lo, s3
	s_cbranch_vccnz .LBB102_3968
; %bb.3654:
	s_lshl_b32 s1, s12, 7
	s_wait_xcnt 0x0
	v_and_b32_e32 v2, 0xff, v8
	v_add_nc_u32_e32 v0, s1, v24
	v_and_b32_e32 v3, 0xff, v6
	v_and_b32_e32 v5, 0xff, v10
	s_cmp_lt_i32 s20, 11
	s_delay_alu instid0(VALU_DEP_3) | instskip(NEXT) | instid1(VALU_DEP_3)
	v_ashrrev_i32_e32 v1, 31, v0
	v_max_u16 v4, v3, v2
	s_delay_alu instid0(VALU_DEP_2) | instskip(NEXT) | instid1(VALU_DEP_2)
	v_add_nc_u64_e32 v[2:3], s[4:5], v[0:1]
	v_min_u16 v1, v4, v5
	s_cbranch_scc1 .LBB102_3732
; %bb.3655:
	s_and_b32 s2, 0xffff, s20
	s_mov_b32 s7, -1
	s_mov_b32 s3, 0
	s_cmp_gt_i32 s2, 25
	s_mov_b32 s6, 0
	s_mov_b32 s0, 0
	s_cbranch_scc0 .LBB102_3688
; %bb.3656:
	s_cmp_gt_i32 s2, 28
	s_cbranch_scc0 .LBB102_3671
; %bb.3657:
	s_cmp_gt_i32 s2, 43
	;; [unrolled: 3-line block ×3, first 2 shown]
	s_cbranch_scc0 .LBB102_3661
; %bb.3659:
	s_mov_b32 s0, -1
	s_mov_b32 s7, 0
	s_cmp_eq_u32 s2, 46
	s_cbranch_scc0 .LBB102_3661
; %bb.3660:
	v_cvt_f32_ubyte0_e32 v4, v1
	s_mov_b32 s0, 0
	s_mov_b32 s6, -1
	s_delay_alu instid0(VALU_DEP_1) | instskip(NEXT) | instid1(VALU_DEP_1)
	v_bfe_u32 v5, v4, 16, 1
	v_add3_u32 v4, v4, v5, 0x7fff
	s_delay_alu instid0(VALU_DEP_1)
	v_lshrrev_b32_e32 v4, 16, v4
	global_store_b32 v[2:3], v4, off
.LBB102_3661:
	s_and_b32 vcc_lo, exec_lo, s7
	s_cbranch_vccz .LBB102_3666
; %bb.3662:
	s_cmp_eq_u32 s2, 44
	s_mov_b32 s0, -1
	s_cbranch_scc0 .LBB102_3666
; %bb.3663:
	v_cvt_f32_ubyte0_e32 v6, v1
	s_mov_b32 s6, exec_lo
	s_wait_xcnt 0x0
	s_delay_alu instid0(VALU_DEP_1) | instskip(NEXT) | instid1(VALU_DEP_1)
	v_dual_mov_b32 v5, 0xff :: v_dual_lshrrev_b32 v4, 23, v6
	v_cmpx_ne_u32_e32 0xff, v4
; %bb.3664:
	v_and_b32_e32 v5, 0x400000, v6
	v_and_or_b32 v6, 0x3fffff, v6, v4
	s_delay_alu instid0(VALU_DEP_2) | instskip(NEXT) | instid1(VALU_DEP_2)
	v_cmp_ne_u32_e32 vcc_lo, 0, v5
	v_cmp_ne_u32_e64 s0, 0, v6
	s_and_b32 s0, vcc_lo, s0
	s_delay_alu instid0(SALU_CYCLE_1) | instskip(NEXT) | instid1(VALU_DEP_1)
	v_cndmask_b32_e64 v5, 0, 1, s0
	v_add_nc_u32_e32 v5, v4, v5
; %bb.3665:
	s_or_b32 exec_lo, exec_lo, s6
	s_mov_b32 s0, 0
	s_mov_b32 s6, -1
	global_store_b8 v[2:3], v5, off
.LBB102_3666:
	s_mov_b32 s7, 0
.LBB102_3667:
	s_delay_alu instid0(SALU_CYCLE_1)
	s_and_b32 vcc_lo, exec_lo, s7
	s_cbranch_vccz .LBB102_3670
; %bb.3668:
	s_cmp_eq_u32 s2, 29
	s_mov_b32 s0, -1
	s_cbranch_scc0 .LBB102_3670
; %bb.3669:
	s_mov_b32 s0, 0
	s_wait_xcnt 0x0
	v_and_b32_e32 v4, 0xffff, v1
	v_mov_b32_e32 v5, s0
	s_mov_b32 s6, -1
	global_store_b64 v[2:3], v[4:5], off
.LBB102_3670:
	s_mov_b32 s7, 0
.LBB102_3671:
	s_delay_alu instid0(SALU_CYCLE_1)
	s_and_b32 vcc_lo, exec_lo, s7
	s_cbranch_vccz .LBB102_3687
; %bb.3672:
	s_cmp_lt_i32 s2, 27
	s_mov_b32 s6, -1
	s_cbranch_scc1 .LBB102_3678
; %bb.3673:
	s_cmp_gt_i32 s2, 27
	s_cbranch_scc0 .LBB102_3675
; %bb.3674:
	s_wait_xcnt 0x0
	v_and_b32_e32 v4, 0xffff, v1
	s_mov_b32 s6, 0
	global_store_b32 v[2:3], v4, off
.LBB102_3675:
	s_and_not1_b32 vcc_lo, exec_lo, s6
	s_cbranch_vccnz .LBB102_3677
; %bb.3676:
	global_store_b16 v[2:3], v1, off
.LBB102_3677:
	s_mov_b32 s6, 0
.LBB102_3678:
	s_delay_alu instid0(SALU_CYCLE_1)
	s_and_not1_b32 vcc_lo, exec_lo, s6
	s_cbranch_vccnz .LBB102_3686
; %bb.3679:
	s_wait_xcnt 0x0
	v_cvt_f32_ubyte0_e32 v5, v1
	v_mov_b32_e32 v6, 0x80
	s_mov_b32 s6, exec_lo
	s_delay_alu instid0(VALU_DEP_2)
	v_cmpx_gt_u32_e32 0x43800000, v5
	s_cbranch_execz .LBB102_3685
; %bb.3680:
	s_mov_b32 s7, 0
	s_mov_b32 s8, exec_lo
                                        ; implicit-def: $vgpr4
	v_cmpx_lt_u32_e32 0x3bffffff, v5
	s_xor_b32 s8, exec_lo, s8
	s_cbranch_execz .LBB102_4020
; %bb.3681:
	v_bfe_u32 v4, v5, 20, 1
	s_mov_b32 s7, exec_lo
	s_delay_alu instid0(VALU_DEP_1) | instskip(NEXT) | instid1(VALU_DEP_1)
	v_add3_u32 v4, v5, v4, 0x487ffff
                                        ; implicit-def: $vgpr5
	v_lshrrev_b32_e32 v4, 20, v4
	s_and_not1_saveexec_b32 s8, s8
	s_cbranch_execnz .LBB102_4021
.LBB102_3682:
	s_or_b32 exec_lo, exec_lo, s8
	v_mov_b32_e32 v6, 0
	s_and_saveexec_b32 s8, s7
.LBB102_3683:
	v_mov_b32_e32 v6, v4
.LBB102_3684:
	s_or_b32 exec_lo, exec_lo, s8
.LBB102_3685:
	s_delay_alu instid0(SALU_CYCLE_1)
	s_or_b32 exec_lo, exec_lo, s6
	global_store_b8 v[2:3], v6, off
.LBB102_3686:
	s_mov_b32 s6, -1
.LBB102_3687:
	s_mov_b32 s7, 0
.LBB102_3688:
	s_delay_alu instid0(SALU_CYCLE_1)
	s_and_b32 vcc_lo, exec_lo, s7
	s_cbranch_vccz .LBB102_3728
; %bb.3689:
	s_cmp_gt_i32 s2, 22
	s_mov_b32 s3, -1
	s_cbranch_scc0 .LBB102_3721
; %bb.3690:
	s_cmp_lt_i32 s2, 24
	s_cbranch_scc1 .LBB102_3710
; %bb.3691:
	s_cmp_gt_i32 s2, 24
	s_cbranch_scc0 .LBB102_3699
; %bb.3692:
	s_wait_xcnt 0x0
	v_cvt_f32_ubyte0_e32 v5, v1
	v_mov_b32_e32 v6, 0x80
	s_mov_b32 s3, exec_lo
	s_delay_alu instid0(VALU_DEP_2)
	v_cmpx_gt_u32_e32 0x47800000, v5
	s_cbranch_execz .LBB102_3698
; %bb.3693:
	s_mov_b32 s6, 0
	s_mov_b32 s7, exec_lo
                                        ; implicit-def: $vgpr4
	v_cmpx_lt_u32_e32 0x37ffffff, v5
	s_xor_b32 s7, exec_lo, s7
	s_cbranch_execz .LBB102_4023
; %bb.3694:
	v_bfe_u32 v4, v5, 21, 1
	s_mov_b32 s6, exec_lo
	s_delay_alu instid0(VALU_DEP_1) | instskip(NEXT) | instid1(VALU_DEP_1)
	v_add3_u32 v4, v5, v4, 0x88fffff
                                        ; implicit-def: $vgpr5
	v_lshrrev_b32_e32 v4, 21, v4
	s_and_not1_saveexec_b32 s7, s7
	s_cbranch_execnz .LBB102_4024
.LBB102_3695:
	s_or_b32 exec_lo, exec_lo, s7
	v_mov_b32_e32 v6, 0
	s_and_saveexec_b32 s7, s6
.LBB102_3696:
	v_mov_b32_e32 v6, v4
.LBB102_3697:
	s_or_b32 exec_lo, exec_lo, s7
.LBB102_3698:
	s_delay_alu instid0(SALU_CYCLE_1)
	s_or_b32 exec_lo, exec_lo, s3
	s_mov_b32 s3, 0
	global_store_b8 v[2:3], v6, off
.LBB102_3699:
	s_and_b32 vcc_lo, exec_lo, s3
	s_cbranch_vccz .LBB102_3709
; %bb.3700:
	s_wait_xcnt 0x0
	v_cvt_f32_ubyte0_e32 v5, v1
	s_mov_b32 s3, exec_lo
                                        ; implicit-def: $vgpr4
	s_delay_alu instid0(VALU_DEP_1)
	v_cmpx_gt_u32_e32 0x43f00000, v5
	s_xor_b32 s3, exec_lo, s3
	s_cbranch_execz .LBB102_3706
; %bb.3701:
	s_mov_b32 s6, exec_lo
                                        ; implicit-def: $vgpr4
	v_cmpx_lt_u32_e32 0x3c7fffff, v5
	s_xor_b32 s6, exec_lo, s6
; %bb.3702:
	v_bfe_u32 v4, v5, 20, 1
	s_delay_alu instid0(VALU_DEP_1) | instskip(NEXT) | instid1(VALU_DEP_1)
	v_add3_u32 v4, v5, v4, 0x407ffff
	v_and_b32_e32 v5, 0xff00000, v4
	v_lshrrev_b32_e32 v4, 20, v4
	s_delay_alu instid0(VALU_DEP_2) | instskip(NEXT) | instid1(VALU_DEP_2)
	v_cmp_ne_u32_e32 vcc_lo, 0x7f00000, v5
                                        ; implicit-def: $vgpr5
	v_cndmask_b32_e32 v4, 0x7e, v4, vcc_lo
; %bb.3703:
	s_and_not1_saveexec_b32 s6, s6
; %bb.3704:
	v_add_f32_e32 v4, 0x46800000, v5
; %bb.3705:
	s_or_b32 exec_lo, exec_lo, s6
                                        ; implicit-def: $vgpr5
.LBB102_3706:
	s_and_not1_saveexec_b32 s3, s3
; %bb.3707:
	v_mov_b32_e32 v4, 0x7f
	v_cmp_lt_u32_e32 vcc_lo, 0x7f800000, v5
	s_delay_alu instid0(VALU_DEP_2)
	v_cndmask_b32_e32 v4, 0x7e, v4, vcc_lo
; %bb.3708:
	s_or_b32 exec_lo, exec_lo, s3
	global_store_b8 v[2:3], v4, off
.LBB102_3709:
	s_mov_b32 s3, 0
.LBB102_3710:
	s_delay_alu instid0(SALU_CYCLE_1)
	s_and_not1_b32 vcc_lo, exec_lo, s3
	s_cbranch_vccnz .LBB102_3720
; %bb.3711:
	s_wait_xcnt 0x0
	v_cvt_f32_ubyte0_e32 v5, v1
	s_mov_b32 s3, exec_lo
                                        ; implicit-def: $vgpr4
	s_delay_alu instid0(VALU_DEP_1)
	v_cmpx_gt_u32_e32 0x47800000, v5
	s_xor_b32 s3, exec_lo, s3
	s_cbranch_execz .LBB102_3717
; %bb.3712:
	s_mov_b32 s6, exec_lo
                                        ; implicit-def: $vgpr4
	v_cmpx_lt_u32_e32 0x387fffff, v5
	s_xor_b32 s6, exec_lo, s6
; %bb.3713:
	v_bfe_u32 v4, v5, 21, 1
	s_delay_alu instid0(VALU_DEP_1) | instskip(NEXT) | instid1(VALU_DEP_1)
	v_add3_u32 v4, v5, v4, 0x80fffff
                                        ; implicit-def: $vgpr5
	v_lshrrev_b32_e32 v4, 21, v4
; %bb.3714:
	s_and_not1_saveexec_b32 s6, s6
; %bb.3715:
	v_add_f32_e32 v4, 0x43000000, v5
; %bb.3716:
	s_or_b32 exec_lo, exec_lo, s6
                                        ; implicit-def: $vgpr5
.LBB102_3717:
	s_and_not1_saveexec_b32 s3, s3
; %bb.3718:
	v_mov_b32_e32 v4, 0x7f
	v_cmp_lt_u32_e32 vcc_lo, 0x7f800000, v5
	s_delay_alu instid0(VALU_DEP_2)
	v_cndmask_b32_e32 v4, 0x7c, v4, vcc_lo
; %bb.3719:
	s_or_b32 exec_lo, exec_lo, s3
	global_store_b8 v[2:3], v4, off
.LBB102_3720:
	s_mov_b32 s3, 0
	s_mov_b32 s6, -1
.LBB102_3721:
	s_and_not1_b32 vcc_lo, exec_lo, s3
	s_mov_b32 s3, 0
	s_cbranch_vccnz .LBB102_3728
; %bb.3722:
	s_cmp_gt_i32 s2, 14
	s_mov_b32 s3, -1
	s_cbranch_scc0 .LBB102_3726
; %bb.3723:
	s_cmp_eq_u32 s2, 15
	s_mov_b32 s0, -1
	s_cbranch_scc0 .LBB102_3725
; %bb.3724:
	s_wait_xcnt 0x0
	v_cvt_f32_ubyte0_e32 v4, v1
	s_mov_b32 s0, 0
	s_mov_b32 s6, -1
	s_delay_alu instid0(VALU_DEP_1) | instskip(NEXT) | instid1(VALU_DEP_1)
	v_bfe_u32 v5, v4, 16, 1
	v_add3_u32 v4, v4, v5, 0x7fff
	global_store_d16_hi_b16 v[2:3], v4, off
.LBB102_3725:
	s_mov_b32 s3, 0
.LBB102_3726:
	s_delay_alu instid0(SALU_CYCLE_1)
	s_and_b32 vcc_lo, exec_lo, s3
	s_mov_b32 s3, 0
	s_cbranch_vccz .LBB102_3728
; %bb.3727:
	s_cmp_lg_u32 s2, 11
	s_mov_b32 s3, -1
	s_cselect_b32 s0, -1, 0
.LBB102_3728:
	s_delay_alu instid0(SALU_CYCLE_1)
	s_and_b32 vcc_lo, exec_lo, s0
	s_cbranch_vccnz .LBB102_4022
; %bb.3729:
	s_and_not1_b32 vcc_lo, exec_lo, s3
	s_cbranch_vccnz .LBB102_3731
.LBB102_3730:
	v_cmp_ne_u16_e32 vcc_lo, 0, v1
	s_mov_b32 s6, -1
	s_wait_xcnt 0x0
	v_cndmask_b32_e64 v4, 0, 1, vcc_lo
	global_store_b8 v[2:3], v4, off
.LBB102_3731:
	s_mov_b32 s0, 0
	s_branch .LBB102_3733
.LBB102_3732:
	s_mov_b32 s0, -1
	s_mov_b32 s6, 0
.LBB102_3733:
	s_and_b32 vcc_lo, exec_lo, s0
	s_cbranch_vccz .LBB102_3772
; %bb.3734:
	s_and_b32 s0, 0xffff, s20
	s_mov_b32 s2, -1
	s_cmp_lt_i32 s0, 5
	s_cbranch_scc1 .LBB102_3755
; %bb.3735:
	s_cmp_lt_i32 s0, 8
	s_cbranch_scc1 .LBB102_3745
; %bb.3736:
	;; [unrolled: 3-line block ×3, first 2 shown]
	s_cmp_gt_i32 s0, 9
	s_cbranch_scc0 .LBB102_3739
; %bb.3738:
	s_wait_xcnt 0x0
	v_and_b32_e32 v4, 0xffff, v1
	v_mov_b32_e32 v6, 0
	s_mov_b32 s2, 0
	s_delay_alu instid0(VALU_DEP_2) | instskip(NEXT) | instid1(VALU_DEP_2)
	v_cvt_f64_u32_e32 v[4:5], v4
	v_mov_b32_e32 v7, v6
	global_store_b128 v[2:3], v[4:7], off
.LBB102_3739:
	s_and_not1_b32 vcc_lo, exec_lo, s2
	s_cbranch_vccnz .LBB102_3741
; %bb.3740:
	s_wait_xcnt 0x0
	v_cvt_f32_ubyte0_e32 v4, v1
	v_mov_b32_e32 v5, 0
	global_store_b64 v[2:3], v[4:5], off
.LBB102_3741:
	s_mov_b32 s2, 0
.LBB102_3742:
	s_delay_alu instid0(SALU_CYCLE_1)
	s_and_not1_b32 vcc_lo, exec_lo, s2
	s_cbranch_vccnz .LBB102_3744
; %bb.3743:
	s_wait_xcnt 0x0
	v_cvt_f16_u16_e32 v4, v1
	s_delay_alu instid0(VALU_DEP_1)
	v_and_b32_e32 v4, 0xffff, v4
	global_store_b32 v[2:3], v4, off
.LBB102_3744:
	s_mov_b32 s2, 0
.LBB102_3745:
	s_delay_alu instid0(SALU_CYCLE_1)
	s_and_not1_b32 vcc_lo, exec_lo, s2
	s_cbranch_vccnz .LBB102_3754
; %bb.3746:
	s_cmp_lt_i32 s0, 6
	s_mov_b32 s2, -1
	s_cbranch_scc1 .LBB102_3752
; %bb.3747:
	s_cmp_gt_i32 s0, 6
	s_cbranch_scc0 .LBB102_3749
; %bb.3748:
	s_wait_xcnt 0x0
	v_and_b32_e32 v4, 0xffff, v1
	s_mov_b32 s2, 0
	s_delay_alu instid0(VALU_DEP_1)
	v_cvt_f64_u32_e32 v[4:5], v4
	global_store_b64 v[2:3], v[4:5], off
.LBB102_3749:
	s_and_not1_b32 vcc_lo, exec_lo, s2
	s_cbranch_vccnz .LBB102_3751
; %bb.3750:
	s_wait_xcnt 0x0
	v_cvt_f32_ubyte0_e32 v4, v1
	global_store_b32 v[2:3], v4, off
.LBB102_3751:
	s_mov_b32 s2, 0
.LBB102_3752:
	s_delay_alu instid0(SALU_CYCLE_1)
	s_and_not1_b32 vcc_lo, exec_lo, s2
	s_cbranch_vccnz .LBB102_3754
; %bb.3753:
	s_wait_xcnt 0x0
	v_cvt_f16_u16_e32 v4, v1
	global_store_b16 v[2:3], v4, off
.LBB102_3754:
	s_mov_b32 s2, 0
.LBB102_3755:
	s_delay_alu instid0(SALU_CYCLE_1)
	s_and_not1_b32 vcc_lo, exec_lo, s2
	s_cbranch_vccnz .LBB102_3771
; %bb.3756:
	s_cmp_lt_i32 s0, 2
	s_mov_b32 s2, -1
	s_cbranch_scc1 .LBB102_3766
; %bb.3757:
	s_cmp_lt_i32 s0, 3
	s_cbranch_scc1 .LBB102_3763
; %bb.3758:
	s_wait_xcnt 0x0
	v_and_b32_e32 v4, 0xffff, v1
	s_cmp_gt_i32 s0, 3
	s_cbranch_scc0 .LBB102_3760
; %bb.3759:
	s_mov_b32 s2, 0
	s_delay_alu instid0(SALU_CYCLE_1)
	v_mov_b32_e32 v5, s2
	global_store_b64 v[2:3], v[4:5], off
.LBB102_3760:
	s_and_not1_b32 vcc_lo, exec_lo, s2
	s_cbranch_vccnz .LBB102_3762
; %bb.3761:
	global_store_b32 v[2:3], v4, off
.LBB102_3762:
	s_mov_b32 s2, 0
.LBB102_3763:
	s_delay_alu instid0(SALU_CYCLE_1)
	s_and_not1_b32 vcc_lo, exec_lo, s2
	s_cbranch_vccnz .LBB102_3765
; %bb.3764:
	global_store_b16 v[2:3], v1, off
.LBB102_3765:
	s_mov_b32 s2, 0
.LBB102_3766:
	s_delay_alu instid0(SALU_CYCLE_1)
	s_and_not1_b32 vcc_lo, exec_lo, s2
	s_cbranch_vccnz .LBB102_3771
; %bb.3767:
	s_cmp_gt_i32 s0, 0
	s_mov_b32 s0, -1
	s_cbranch_scc0 .LBB102_3769
; %bb.3768:
	s_mov_b32 s0, 0
	global_store_b8 v[2:3], v1, off
.LBB102_3769:
	s_and_not1_b32 vcc_lo, exec_lo, s0
	s_cbranch_vccnz .LBB102_3771
; %bb.3770:
	global_store_b8 v[2:3], v1, off
.LBB102_3771:
	s_mov_b32 s6, -1
.LBB102_3772:
	s_delay_alu instid0(SALU_CYCLE_1)
	s_and_not1_b32 vcc_lo, exec_lo, s6
	s_cbranch_vccnz .LBB102_3968
; %bb.3773:
	v_add_nc_u32_e32 v0, s1, v0
	s_wait_xcnt 0x0
	v_and_b32_e32 v2, 0xff, v14
	v_and_b32_e32 v3, 0xff, v12
	;; [unrolled: 1-line block ×3, first 2 shown]
	s_cmp_lt_i32 s20, 11
	v_ashrrev_i32_e32 v1, 31, v0
	s_delay_alu instid0(VALU_DEP_3) | instskip(NEXT) | instid1(VALU_DEP_2)
	v_max_u16 v4, v3, v2
	v_add_nc_u64_e32 v[2:3], s[4:5], v[0:1]
	s_delay_alu instid0(VALU_DEP_2)
	v_min_u16 v1, v4, v5
	s_cbranch_scc1 .LBB102_3851
; %bb.3774:
	s_and_b32 s2, 0xffff, s20
	s_mov_b32 s7, -1
	s_mov_b32 s3, 0
	s_cmp_gt_i32 s2, 25
	s_mov_b32 s6, 0
	s_mov_b32 s0, 0
	s_cbranch_scc0 .LBB102_3807
; %bb.3775:
	s_cmp_gt_i32 s2, 28
	s_cbranch_scc0 .LBB102_3790
; %bb.3776:
	s_cmp_gt_i32 s2, 43
	;; [unrolled: 3-line block ×3, first 2 shown]
	s_cbranch_scc0 .LBB102_3780
; %bb.3778:
	s_mov_b32 s0, -1
	s_mov_b32 s7, 0
	s_cmp_eq_u32 s2, 46
	s_cbranch_scc0 .LBB102_3780
; %bb.3779:
	v_cvt_f32_ubyte0_e32 v4, v1
	s_mov_b32 s0, 0
	s_mov_b32 s6, -1
	s_delay_alu instid0(VALU_DEP_1) | instskip(NEXT) | instid1(VALU_DEP_1)
	v_bfe_u32 v5, v4, 16, 1
	v_add3_u32 v4, v4, v5, 0x7fff
	s_delay_alu instid0(VALU_DEP_1)
	v_lshrrev_b32_e32 v4, 16, v4
	global_store_b32 v[2:3], v4, off
.LBB102_3780:
	s_and_b32 vcc_lo, exec_lo, s7
	s_cbranch_vccz .LBB102_3785
; %bb.3781:
	s_cmp_eq_u32 s2, 44
	s_mov_b32 s0, -1
	s_cbranch_scc0 .LBB102_3785
; %bb.3782:
	v_cvt_f32_ubyte0_e32 v6, v1
	s_mov_b32 s6, exec_lo
	s_wait_xcnt 0x0
	s_delay_alu instid0(VALU_DEP_1) | instskip(NEXT) | instid1(VALU_DEP_1)
	v_dual_mov_b32 v5, 0xff :: v_dual_lshrrev_b32 v4, 23, v6
	v_cmpx_ne_u32_e32 0xff, v4
; %bb.3783:
	v_and_b32_e32 v5, 0x400000, v6
	v_and_or_b32 v6, 0x3fffff, v6, v4
	s_delay_alu instid0(VALU_DEP_2) | instskip(NEXT) | instid1(VALU_DEP_2)
	v_cmp_ne_u32_e32 vcc_lo, 0, v5
	v_cmp_ne_u32_e64 s0, 0, v6
	s_and_b32 s0, vcc_lo, s0
	s_delay_alu instid0(SALU_CYCLE_1) | instskip(NEXT) | instid1(VALU_DEP_1)
	v_cndmask_b32_e64 v5, 0, 1, s0
	v_add_nc_u32_e32 v5, v4, v5
; %bb.3784:
	s_or_b32 exec_lo, exec_lo, s6
	s_mov_b32 s0, 0
	s_mov_b32 s6, -1
	global_store_b8 v[2:3], v5, off
.LBB102_3785:
	s_mov_b32 s7, 0
.LBB102_3786:
	s_delay_alu instid0(SALU_CYCLE_1)
	s_and_b32 vcc_lo, exec_lo, s7
	s_cbranch_vccz .LBB102_3789
; %bb.3787:
	s_cmp_eq_u32 s2, 29
	s_mov_b32 s0, -1
	s_cbranch_scc0 .LBB102_3789
; %bb.3788:
	s_mov_b32 s0, 0
	s_wait_xcnt 0x0
	v_and_b32_e32 v4, 0xffff, v1
	v_mov_b32_e32 v5, s0
	s_mov_b32 s6, -1
	global_store_b64 v[2:3], v[4:5], off
.LBB102_3789:
	s_mov_b32 s7, 0
.LBB102_3790:
	s_delay_alu instid0(SALU_CYCLE_1)
	s_and_b32 vcc_lo, exec_lo, s7
	s_cbranch_vccz .LBB102_3806
; %bb.3791:
	s_cmp_lt_i32 s2, 27
	s_mov_b32 s6, -1
	s_cbranch_scc1 .LBB102_3797
; %bb.3792:
	s_cmp_gt_i32 s2, 27
	s_cbranch_scc0 .LBB102_3794
; %bb.3793:
	s_wait_xcnt 0x0
	v_and_b32_e32 v4, 0xffff, v1
	s_mov_b32 s6, 0
	global_store_b32 v[2:3], v4, off
.LBB102_3794:
	s_and_not1_b32 vcc_lo, exec_lo, s6
	s_cbranch_vccnz .LBB102_3796
; %bb.3795:
	global_store_b16 v[2:3], v1, off
.LBB102_3796:
	s_mov_b32 s6, 0
.LBB102_3797:
	s_delay_alu instid0(SALU_CYCLE_1)
	s_and_not1_b32 vcc_lo, exec_lo, s6
	s_cbranch_vccnz .LBB102_3805
; %bb.3798:
	s_wait_xcnt 0x0
	v_cvt_f32_ubyte0_e32 v5, v1
	v_mov_b32_e32 v6, 0x80
	s_mov_b32 s6, exec_lo
	s_delay_alu instid0(VALU_DEP_2)
	v_cmpx_gt_u32_e32 0x43800000, v5
	s_cbranch_execz .LBB102_3804
; %bb.3799:
	s_mov_b32 s7, 0
	s_mov_b32 s8, exec_lo
                                        ; implicit-def: $vgpr4
	v_cmpx_lt_u32_e32 0x3bffffff, v5
	s_xor_b32 s8, exec_lo, s8
	s_cbranch_execz .LBB102_4025
; %bb.3800:
	v_bfe_u32 v4, v5, 20, 1
	s_mov_b32 s7, exec_lo
	s_delay_alu instid0(VALU_DEP_1) | instskip(NEXT) | instid1(VALU_DEP_1)
	v_add3_u32 v4, v5, v4, 0x487ffff
                                        ; implicit-def: $vgpr5
	v_lshrrev_b32_e32 v4, 20, v4
	s_and_not1_saveexec_b32 s8, s8
	s_cbranch_execnz .LBB102_4026
.LBB102_3801:
	s_or_b32 exec_lo, exec_lo, s8
	v_mov_b32_e32 v6, 0
	s_and_saveexec_b32 s8, s7
.LBB102_3802:
	v_mov_b32_e32 v6, v4
.LBB102_3803:
	s_or_b32 exec_lo, exec_lo, s8
.LBB102_3804:
	s_delay_alu instid0(SALU_CYCLE_1)
	s_or_b32 exec_lo, exec_lo, s6
	global_store_b8 v[2:3], v6, off
.LBB102_3805:
	s_mov_b32 s6, -1
.LBB102_3806:
	s_mov_b32 s7, 0
.LBB102_3807:
	s_delay_alu instid0(SALU_CYCLE_1)
	s_and_b32 vcc_lo, exec_lo, s7
	s_cbranch_vccz .LBB102_3847
; %bb.3808:
	s_cmp_gt_i32 s2, 22
	s_mov_b32 s3, -1
	s_cbranch_scc0 .LBB102_3840
; %bb.3809:
	s_cmp_lt_i32 s2, 24
	s_cbranch_scc1 .LBB102_3829
; %bb.3810:
	s_cmp_gt_i32 s2, 24
	s_cbranch_scc0 .LBB102_3818
; %bb.3811:
	s_wait_xcnt 0x0
	v_cvt_f32_ubyte0_e32 v5, v1
	v_mov_b32_e32 v6, 0x80
	s_mov_b32 s3, exec_lo
	s_delay_alu instid0(VALU_DEP_2)
	v_cmpx_gt_u32_e32 0x47800000, v5
	s_cbranch_execz .LBB102_3817
; %bb.3812:
	s_mov_b32 s6, 0
	s_mov_b32 s7, exec_lo
                                        ; implicit-def: $vgpr4
	v_cmpx_lt_u32_e32 0x37ffffff, v5
	s_xor_b32 s7, exec_lo, s7
	s_cbranch_execz .LBB102_4028
; %bb.3813:
	v_bfe_u32 v4, v5, 21, 1
	s_mov_b32 s6, exec_lo
	s_delay_alu instid0(VALU_DEP_1) | instskip(NEXT) | instid1(VALU_DEP_1)
	v_add3_u32 v4, v5, v4, 0x88fffff
                                        ; implicit-def: $vgpr5
	v_lshrrev_b32_e32 v4, 21, v4
	s_and_not1_saveexec_b32 s7, s7
	s_cbranch_execnz .LBB102_4029
.LBB102_3814:
	s_or_b32 exec_lo, exec_lo, s7
	v_mov_b32_e32 v6, 0
	s_and_saveexec_b32 s7, s6
.LBB102_3815:
	v_mov_b32_e32 v6, v4
.LBB102_3816:
	s_or_b32 exec_lo, exec_lo, s7
.LBB102_3817:
	s_delay_alu instid0(SALU_CYCLE_1)
	s_or_b32 exec_lo, exec_lo, s3
	s_mov_b32 s3, 0
	global_store_b8 v[2:3], v6, off
.LBB102_3818:
	s_and_b32 vcc_lo, exec_lo, s3
	s_cbranch_vccz .LBB102_3828
; %bb.3819:
	s_wait_xcnt 0x0
	v_cvt_f32_ubyte0_e32 v5, v1
	s_mov_b32 s3, exec_lo
                                        ; implicit-def: $vgpr4
	s_delay_alu instid0(VALU_DEP_1)
	v_cmpx_gt_u32_e32 0x43f00000, v5
	s_xor_b32 s3, exec_lo, s3
	s_cbranch_execz .LBB102_3825
; %bb.3820:
	s_mov_b32 s6, exec_lo
                                        ; implicit-def: $vgpr4
	v_cmpx_lt_u32_e32 0x3c7fffff, v5
	s_xor_b32 s6, exec_lo, s6
; %bb.3821:
	v_bfe_u32 v4, v5, 20, 1
	s_delay_alu instid0(VALU_DEP_1) | instskip(NEXT) | instid1(VALU_DEP_1)
	v_add3_u32 v4, v5, v4, 0x407ffff
	v_and_b32_e32 v5, 0xff00000, v4
	v_lshrrev_b32_e32 v4, 20, v4
	s_delay_alu instid0(VALU_DEP_2) | instskip(NEXT) | instid1(VALU_DEP_2)
	v_cmp_ne_u32_e32 vcc_lo, 0x7f00000, v5
                                        ; implicit-def: $vgpr5
	v_cndmask_b32_e32 v4, 0x7e, v4, vcc_lo
; %bb.3822:
	s_and_not1_saveexec_b32 s6, s6
; %bb.3823:
	v_add_f32_e32 v4, 0x46800000, v5
; %bb.3824:
	s_or_b32 exec_lo, exec_lo, s6
                                        ; implicit-def: $vgpr5
.LBB102_3825:
	s_and_not1_saveexec_b32 s3, s3
; %bb.3826:
	v_mov_b32_e32 v4, 0x7f
	v_cmp_lt_u32_e32 vcc_lo, 0x7f800000, v5
	s_delay_alu instid0(VALU_DEP_2)
	v_cndmask_b32_e32 v4, 0x7e, v4, vcc_lo
; %bb.3827:
	s_or_b32 exec_lo, exec_lo, s3
	global_store_b8 v[2:3], v4, off
.LBB102_3828:
	s_mov_b32 s3, 0
.LBB102_3829:
	s_delay_alu instid0(SALU_CYCLE_1)
	s_and_not1_b32 vcc_lo, exec_lo, s3
	s_cbranch_vccnz .LBB102_3839
; %bb.3830:
	s_wait_xcnt 0x0
	v_cvt_f32_ubyte0_e32 v5, v1
	s_mov_b32 s3, exec_lo
                                        ; implicit-def: $vgpr4
	s_delay_alu instid0(VALU_DEP_1)
	v_cmpx_gt_u32_e32 0x47800000, v5
	s_xor_b32 s3, exec_lo, s3
	s_cbranch_execz .LBB102_3836
; %bb.3831:
	s_mov_b32 s6, exec_lo
                                        ; implicit-def: $vgpr4
	v_cmpx_lt_u32_e32 0x387fffff, v5
	s_xor_b32 s6, exec_lo, s6
; %bb.3832:
	v_bfe_u32 v4, v5, 21, 1
	s_delay_alu instid0(VALU_DEP_1) | instskip(NEXT) | instid1(VALU_DEP_1)
	v_add3_u32 v4, v5, v4, 0x80fffff
                                        ; implicit-def: $vgpr5
	v_lshrrev_b32_e32 v4, 21, v4
; %bb.3833:
	s_and_not1_saveexec_b32 s6, s6
; %bb.3834:
	v_add_f32_e32 v4, 0x43000000, v5
; %bb.3835:
	s_or_b32 exec_lo, exec_lo, s6
                                        ; implicit-def: $vgpr5
.LBB102_3836:
	s_and_not1_saveexec_b32 s3, s3
; %bb.3837:
	v_mov_b32_e32 v4, 0x7f
	v_cmp_lt_u32_e32 vcc_lo, 0x7f800000, v5
	s_delay_alu instid0(VALU_DEP_2)
	v_cndmask_b32_e32 v4, 0x7c, v4, vcc_lo
; %bb.3838:
	s_or_b32 exec_lo, exec_lo, s3
	global_store_b8 v[2:3], v4, off
.LBB102_3839:
	s_mov_b32 s3, 0
	s_mov_b32 s6, -1
.LBB102_3840:
	s_and_not1_b32 vcc_lo, exec_lo, s3
	s_mov_b32 s3, 0
	s_cbranch_vccnz .LBB102_3847
; %bb.3841:
	s_cmp_gt_i32 s2, 14
	s_mov_b32 s3, -1
	s_cbranch_scc0 .LBB102_3845
; %bb.3842:
	s_cmp_eq_u32 s2, 15
	s_mov_b32 s0, -1
	s_cbranch_scc0 .LBB102_3844
; %bb.3843:
	s_wait_xcnt 0x0
	v_cvt_f32_ubyte0_e32 v4, v1
	s_mov_b32 s0, 0
	s_mov_b32 s6, -1
	s_delay_alu instid0(VALU_DEP_1) | instskip(NEXT) | instid1(VALU_DEP_1)
	v_bfe_u32 v5, v4, 16, 1
	v_add3_u32 v4, v4, v5, 0x7fff
	global_store_d16_hi_b16 v[2:3], v4, off
.LBB102_3844:
	s_mov_b32 s3, 0
.LBB102_3845:
	s_delay_alu instid0(SALU_CYCLE_1)
	s_and_b32 vcc_lo, exec_lo, s3
	s_mov_b32 s3, 0
	s_cbranch_vccz .LBB102_3847
; %bb.3846:
	s_cmp_lg_u32 s2, 11
	s_mov_b32 s3, -1
	s_cselect_b32 s0, -1, 0
.LBB102_3847:
	s_delay_alu instid0(SALU_CYCLE_1)
	s_and_b32 vcc_lo, exec_lo, s0
	s_cbranch_vccnz .LBB102_4027
; %bb.3848:
	s_and_not1_b32 vcc_lo, exec_lo, s3
	s_cbranch_vccnz .LBB102_3850
.LBB102_3849:
	v_cmp_ne_u16_e32 vcc_lo, 0, v1
	s_mov_b32 s6, -1
	s_wait_xcnt 0x0
	v_cndmask_b32_e64 v4, 0, 1, vcc_lo
	global_store_b8 v[2:3], v4, off
.LBB102_3850:
	s_mov_b32 s0, 0
	s_branch .LBB102_3852
.LBB102_3851:
	s_mov_b32 s0, -1
	s_mov_b32 s6, 0
.LBB102_3852:
	s_and_b32 vcc_lo, exec_lo, s0
	s_cbranch_vccz .LBB102_3891
; %bb.3853:
	s_and_b32 s0, 0xffff, s20
	s_mov_b32 s2, -1
	s_cmp_lt_i32 s0, 5
	s_cbranch_scc1 .LBB102_3874
; %bb.3854:
	s_cmp_lt_i32 s0, 8
	s_cbranch_scc1 .LBB102_3864
; %bb.3855:
	;; [unrolled: 3-line block ×3, first 2 shown]
	s_cmp_gt_i32 s0, 9
	s_cbranch_scc0 .LBB102_3858
; %bb.3857:
	s_wait_xcnt 0x0
	v_and_b32_e32 v4, 0xffff, v1
	v_mov_b32_e32 v6, 0
	s_mov_b32 s2, 0
	s_delay_alu instid0(VALU_DEP_2) | instskip(NEXT) | instid1(VALU_DEP_2)
	v_cvt_f64_u32_e32 v[4:5], v4
	v_mov_b32_e32 v7, v6
	global_store_b128 v[2:3], v[4:7], off
.LBB102_3858:
	s_and_not1_b32 vcc_lo, exec_lo, s2
	s_cbranch_vccnz .LBB102_3860
; %bb.3859:
	s_wait_xcnt 0x0
	v_cvt_f32_ubyte0_e32 v4, v1
	v_mov_b32_e32 v5, 0
	global_store_b64 v[2:3], v[4:5], off
.LBB102_3860:
	s_mov_b32 s2, 0
.LBB102_3861:
	s_delay_alu instid0(SALU_CYCLE_1)
	s_and_not1_b32 vcc_lo, exec_lo, s2
	s_cbranch_vccnz .LBB102_3863
; %bb.3862:
	s_wait_xcnt 0x0
	v_cvt_f16_u16_e32 v4, v1
	s_delay_alu instid0(VALU_DEP_1)
	v_and_b32_e32 v4, 0xffff, v4
	global_store_b32 v[2:3], v4, off
.LBB102_3863:
	s_mov_b32 s2, 0
.LBB102_3864:
	s_delay_alu instid0(SALU_CYCLE_1)
	s_and_not1_b32 vcc_lo, exec_lo, s2
	s_cbranch_vccnz .LBB102_3873
; %bb.3865:
	s_cmp_lt_i32 s0, 6
	s_mov_b32 s2, -1
	s_cbranch_scc1 .LBB102_3871
; %bb.3866:
	s_cmp_gt_i32 s0, 6
	s_cbranch_scc0 .LBB102_3868
; %bb.3867:
	s_wait_xcnt 0x0
	v_and_b32_e32 v4, 0xffff, v1
	s_mov_b32 s2, 0
	s_delay_alu instid0(VALU_DEP_1)
	v_cvt_f64_u32_e32 v[4:5], v4
	global_store_b64 v[2:3], v[4:5], off
.LBB102_3868:
	s_and_not1_b32 vcc_lo, exec_lo, s2
	s_cbranch_vccnz .LBB102_3870
; %bb.3869:
	s_wait_xcnt 0x0
	v_cvt_f32_ubyte0_e32 v4, v1
	global_store_b32 v[2:3], v4, off
.LBB102_3870:
	s_mov_b32 s2, 0
.LBB102_3871:
	s_delay_alu instid0(SALU_CYCLE_1)
	s_and_not1_b32 vcc_lo, exec_lo, s2
	s_cbranch_vccnz .LBB102_3873
; %bb.3872:
	s_wait_xcnt 0x0
	v_cvt_f16_u16_e32 v4, v1
	global_store_b16 v[2:3], v4, off
.LBB102_3873:
	s_mov_b32 s2, 0
.LBB102_3874:
	s_delay_alu instid0(SALU_CYCLE_1)
	s_and_not1_b32 vcc_lo, exec_lo, s2
	s_cbranch_vccnz .LBB102_3890
; %bb.3875:
	s_cmp_lt_i32 s0, 2
	s_mov_b32 s2, -1
	s_cbranch_scc1 .LBB102_3885
; %bb.3876:
	s_cmp_lt_i32 s0, 3
	s_cbranch_scc1 .LBB102_3882
; %bb.3877:
	s_wait_xcnt 0x0
	v_and_b32_e32 v4, 0xffff, v1
	s_cmp_gt_i32 s0, 3
	s_cbranch_scc0 .LBB102_3879
; %bb.3878:
	s_mov_b32 s2, 0
	s_delay_alu instid0(SALU_CYCLE_1)
	v_mov_b32_e32 v5, s2
	global_store_b64 v[2:3], v[4:5], off
.LBB102_3879:
	s_and_not1_b32 vcc_lo, exec_lo, s2
	s_cbranch_vccnz .LBB102_3881
; %bb.3880:
	global_store_b32 v[2:3], v4, off
.LBB102_3881:
	s_mov_b32 s2, 0
.LBB102_3882:
	s_delay_alu instid0(SALU_CYCLE_1)
	s_and_not1_b32 vcc_lo, exec_lo, s2
	s_cbranch_vccnz .LBB102_3884
; %bb.3883:
	global_store_b16 v[2:3], v1, off
.LBB102_3884:
	s_mov_b32 s2, 0
.LBB102_3885:
	s_delay_alu instid0(SALU_CYCLE_1)
	s_and_not1_b32 vcc_lo, exec_lo, s2
	s_cbranch_vccnz .LBB102_3890
; %bb.3886:
	s_cmp_gt_i32 s0, 0
	s_mov_b32 s0, -1
	s_cbranch_scc0 .LBB102_3888
; %bb.3887:
	s_mov_b32 s0, 0
	global_store_b8 v[2:3], v1, off
.LBB102_3888:
	s_and_not1_b32 vcc_lo, exec_lo, s0
	s_cbranch_vccnz .LBB102_3890
; %bb.3889:
	global_store_b8 v[2:3], v1, off
.LBB102_3890:
	s_mov_b32 s6, -1
.LBB102_3891:
	s_delay_alu instid0(SALU_CYCLE_1)
	s_and_not1_b32 vcc_lo, exec_lo, s6
	s_cbranch_vccnz .LBB102_3968
; %bb.3892:
	v_add_nc_u32_e32 v0, s1, v0
	s_wait_xcnt 0x0
	v_and_b32_e32 v2, 0xff, v20
	v_and_b32_e32 v3, 0xff, v18
	s_cmp_lt_i32 s20, 11
	v_ashrrev_i32_e32 v1, 31, v0
	s_delay_alu instid0(VALU_DEP_2) | instskip(SKIP_1) | instid1(VALU_DEP_3)
	v_max_u16 v2, v3, v2
	v_and_b32_e32 v3, 0xff, v22
	v_add_nc_u64_e32 v[0:1], s[4:5], v[0:1]
	s_delay_alu instid0(VALU_DEP_2)
	v_min_u16 v4, v2, v3
	s_cbranch_scc1 .LBB102_4013
; %bb.3893:
	s_and_b32 s2, 0xffff, s20
	s_mov_b32 s3, -1
	s_mov_b32 s1, 0
	s_cmp_gt_i32 s2, 25
	s_mov_b32 s0, 0
	s_cbranch_scc0 .LBB102_3926
; %bb.3894:
	s_cmp_gt_i32 s2, 28
	s_cbranch_scc0 .LBB102_3910
; %bb.3895:
	s_cmp_gt_i32 s2, 43
	;; [unrolled: 3-line block ×3, first 2 shown]
	s_cbranch_scc0 .LBB102_3900
; %bb.3897:
	s_cmp_eq_u32 s2, 46
	s_mov_b32 s0, -1
	s_cbranch_scc0 .LBB102_3899
; %bb.3898:
	v_cvt_f32_ubyte0_e32 v2, v4
	s_mov_b32 s0, 0
	s_delay_alu instid0(VALU_DEP_1) | instskip(NEXT) | instid1(VALU_DEP_1)
	v_bfe_u32 v3, v2, 16, 1
	v_add3_u32 v2, v2, v3, 0x7fff
	s_delay_alu instid0(VALU_DEP_1)
	v_lshrrev_b32_e32 v2, 16, v2
	global_store_b32 v[0:1], v2, off
.LBB102_3899:
	s_mov_b32 s3, 0
.LBB102_3900:
	s_delay_alu instid0(SALU_CYCLE_1)
	s_and_b32 vcc_lo, exec_lo, s3
	s_cbranch_vccz .LBB102_3905
; %bb.3901:
	s_cmp_eq_u32 s2, 44
	s_mov_b32 s0, -1
	s_cbranch_scc0 .LBB102_3905
; %bb.3902:
	v_cvt_f32_ubyte0_e32 v5, v4
	s_mov_b32 s3, exec_lo
	s_wait_xcnt 0x0
	s_delay_alu instid0(VALU_DEP_1) | instskip(NEXT) | instid1(VALU_DEP_1)
	v_dual_mov_b32 v3, 0xff :: v_dual_lshrrev_b32 v2, 23, v5
	v_cmpx_ne_u32_e32 0xff, v2
; %bb.3903:
	v_and_b32_e32 v3, 0x400000, v5
	v_and_or_b32 v5, 0x3fffff, v5, v2
	s_delay_alu instid0(VALU_DEP_2) | instskip(NEXT) | instid1(VALU_DEP_2)
	v_cmp_ne_u32_e32 vcc_lo, 0, v3
	v_cmp_ne_u32_e64 s0, 0, v5
	s_and_b32 s0, vcc_lo, s0
	s_delay_alu instid0(SALU_CYCLE_1) | instskip(NEXT) | instid1(VALU_DEP_1)
	v_cndmask_b32_e64 v3, 0, 1, s0
	v_add_nc_u32_e32 v3, v2, v3
; %bb.3904:
	s_or_b32 exec_lo, exec_lo, s3
	s_mov_b32 s0, 0
	global_store_b8 v[0:1], v3, off
.LBB102_3905:
	s_mov_b32 s3, 0
.LBB102_3906:
	s_delay_alu instid0(SALU_CYCLE_1)
	s_and_b32 vcc_lo, exec_lo, s3
	s_cbranch_vccz .LBB102_3909
; %bb.3907:
	s_cmp_eq_u32 s2, 29
	s_mov_b32 s0, -1
	s_cbranch_scc0 .LBB102_3909
; %bb.3908:
	s_mov_b32 s0, 0
	s_wait_xcnt 0x0
	v_and_b32_e32 v2, 0xffff, v4
	v_mov_b32_e32 v3, s0
	global_store_b64 v[0:1], v[2:3], off
.LBB102_3909:
	s_mov_b32 s3, 0
.LBB102_3910:
	s_delay_alu instid0(SALU_CYCLE_1)
	s_and_b32 vcc_lo, exec_lo, s3
	s_cbranch_vccz .LBB102_3925
; %bb.3911:
	s_cmp_lt_i32 s2, 27
	s_mov_b32 s3, -1
	s_cbranch_scc1 .LBB102_3917
; %bb.3912:
	s_cmp_gt_i32 s2, 27
	s_cbranch_scc0 .LBB102_3914
; %bb.3913:
	s_wait_xcnt 0x0
	v_and_b32_e32 v2, 0xffff, v4
	s_mov_b32 s3, 0
	global_store_b32 v[0:1], v2, off
.LBB102_3914:
	s_and_not1_b32 vcc_lo, exec_lo, s3
	s_cbranch_vccnz .LBB102_3916
; %bb.3915:
	global_store_b16 v[0:1], v4, off
.LBB102_3916:
	s_mov_b32 s3, 0
.LBB102_3917:
	s_delay_alu instid0(SALU_CYCLE_1)
	s_and_not1_b32 vcc_lo, exec_lo, s3
	s_cbranch_vccnz .LBB102_3925
; %bb.3918:
	s_wait_xcnt 0x0
	v_cvt_f32_ubyte0_e32 v3, v4
	v_mov_b32_e32 v5, 0x80
	s_mov_b32 s3, exec_lo
	s_delay_alu instid0(VALU_DEP_2)
	v_cmpx_gt_u32_e32 0x43800000, v3
	s_cbranch_execz .LBB102_3924
; %bb.3919:
	s_mov_b32 s4, 0
	s_mov_b32 s5, exec_lo
                                        ; implicit-def: $vgpr2
	v_cmpx_lt_u32_e32 0x3bffffff, v3
	s_xor_b32 s5, exec_lo, s5
	s_cbranch_execz .LBB102_4030
; %bb.3920:
	v_bfe_u32 v2, v3, 20, 1
	s_mov_b32 s4, exec_lo
	s_delay_alu instid0(VALU_DEP_1) | instskip(NEXT) | instid1(VALU_DEP_1)
	v_add3_u32 v2, v3, v2, 0x487ffff
                                        ; implicit-def: $vgpr3
	v_lshrrev_b32_e32 v2, 20, v2
	s_and_not1_saveexec_b32 s5, s5
	s_cbranch_execnz .LBB102_4031
.LBB102_3921:
	s_or_b32 exec_lo, exec_lo, s5
	v_mov_b32_e32 v5, 0
	s_and_saveexec_b32 s5, s4
.LBB102_3922:
	v_mov_b32_e32 v5, v2
.LBB102_3923:
	s_or_b32 exec_lo, exec_lo, s5
.LBB102_3924:
	s_delay_alu instid0(SALU_CYCLE_1)
	s_or_b32 exec_lo, exec_lo, s3
	global_store_b8 v[0:1], v5, off
.LBB102_3925:
	s_mov_b32 s3, 0
.LBB102_3926:
	s_delay_alu instid0(SALU_CYCLE_1)
	s_and_b32 vcc_lo, exec_lo, s3
	s_cbranch_vccz .LBB102_3966
; %bb.3927:
	s_cmp_gt_i32 s2, 22
	s_mov_b32 s1, -1
	s_cbranch_scc0 .LBB102_3959
; %bb.3928:
	s_cmp_lt_i32 s2, 24
	s_cbranch_scc1 .LBB102_3948
; %bb.3929:
	s_cmp_gt_i32 s2, 24
	s_cbranch_scc0 .LBB102_3937
; %bb.3930:
	s_wait_xcnt 0x0
	v_cvt_f32_ubyte0_e32 v3, v4
	v_mov_b32_e32 v5, 0x80
	s_mov_b32 s1, exec_lo
	s_delay_alu instid0(VALU_DEP_2)
	v_cmpx_gt_u32_e32 0x47800000, v3
	s_cbranch_execz .LBB102_3936
; %bb.3931:
	s_mov_b32 s3, 0
	s_mov_b32 s4, exec_lo
                                        ; implicit-def: $vgpr2
	v_cmpx_lt_u32_e32 0x37ffffff, v3
	s_xor_b32 s4, exec_lo, s4
	s_cbranch_execz .LBB102_4033
; %bb.3932:
	v_bfe_u32 v2, v3, 21, 1
	s_mov_b32 s3, exec_lo
	s_delay_alu instid0(VALU_DEP_1) | instskip(NEXT) | instid1(VALU_DEP_1)
	v_add3_u32 v2, v3, v2, 0x88fffff
                                        ; implicit-def: $vgpr3
	v_lshrrev_b32_e32 v2, 21, v2
	s_and_not1_saveexec_b32 s4, s4
	s_cbranch_execnz .LBB102_4034
.LBB102_3933:
	s_or_b32 exec_lo, exec_lo, s4
	v_mov_b32_e32 v5, 0
	s_and_saveexec_b32 s4, s3
.LBB102_3934:
	v_mov_b32_e32 v5, v2
.LBB102_3935:
	s_or_b32 exec_lo, exec_lo, s4
.LBB102_3936:
	s_delay_alu instid0(SALU_CYCLE_1)
	s_or_b32 exec_lo, exec_lo, s1
	s_mov_b32 s1, 0
	global_store_b8 v[0:1], v5, off
.LBB102_3937:
	s_and_b32 vcc_lo, exec_lo, s1
	s_cbranch_vccz .LBB102_3947
; %bb.3938:
	s_wait_xcnt 0x0
	v_cvt_f32_ubyte0_e32 v3, v4
	s_mov_b32 s1, exec_lo
                                        ; implicit-def: $vgpr2
	s_delay_alu instid0(VALU_DEP_1)
	v_cmpx_gt_u32_e32 0x43f00000, v3
	s_xor_b32 s1, exec_lo, s1
	s_cbranch_execz .LBB102_3944
; %bb.3939:
	s_mov_b32 s3, exec_lo
                                        ; implicit-def: $vgpr2
	v_cmpx_lt_u32_e32 0x3c7fffff, v3
	s_xor_b32 s3, exec_lo, s3
; %bb.3940:
	v_bfe_u32 v2, v3, 20, 1
	s_delay_alu instid0(VALU_DEP_1) | instskip(NEXT) | instid1(VALU_DEP_1)
	v_add3_u32 v2, v3, v2, 0x407ffff
	v_and_b32_e32 v3, 0xff00000, v2
	v_lshrrev_b32_e32 v2, 20, v2
	s_delay_alu instid0(VALU_DEP_2) | instskip(NEXT) | instid1(VALU_DEP_2)
	v_cmp_ne_u32_e32 vcc_lo, 0x7f00000, v3
                                        ; implicit-def: $vgpr3
	v_cndmask_b32_e32 v2, 0x7e, v2, vcc_lo
; %bb.3941:
	s_and_not1_saveexec_b32 s3, s3
; %bb.3942:
	v_add_f32_e32 v2, 0x46800000, v3
; %bb.3943:
	s_or_b32 exec_lo, exec_lo, s3
                                        ; implicit-def: $vgpr3
.LBB102_3944:
	s_and_not1_saveexec_b32 s1, s1
; %bb.3945:
	v_mov_b32_e32 v2, 0x7f
	v_cmp_lt_u32_e32 vcc_lo, 0x7f800000, v3
	s_delay_alu instid0(VALU_DEP_2)
	v_cndmask_b32_e32 v2, 0x7e, v2, vcc_lo
; %bb.3946:
	s_or_b32 exec_lo, exec_lo, s1
	global_store_b8 v[0:1], v2, off
.LBB102_3947:
	s_mov_b32 s1, 0
.LBB102_3948:
	s_delay_alu instid0(SALU_CYCLE_1)
	s_and_not1_b32 vcc_lo, exec_lo, s1
	s_cbranch_vccnz .LBB102_3958
; %bb.3949:
	s_wait_xcnt 0x0
	v_cvt_f32_ubyte0_e32 v3, v4
	s_mov_b32 s1, exec_lo
                                        ; implicit-def: $vgpr2
	s_delay_alu instid0(VALU_DEP_1)
	v_cmpx_gt_u32_e32 0x47800000, v3
	s_xor_b32 s1, exec_lo, s1
	s_cbranch_execz .LBB102_3955
; %bb.3950:
	s_mov_b32 s3, exec_lo
                                        ; implicit-def: $vgpr2
	v_cmpx_lt_u32_e32 0x387fffff, v3
	s_xor_b32 s3, exec_lo, s3
; %bb.3951:
	v_bfe_u32 v2, v3, 21, 1
	s_delay_alu instid0(VALU_DEP_1) | instskip(NEXT) | instid1(VALU_DEP_1)
	v_add3_u32 v2, v3, v2, 0x80fffff
                                        ; implicit-def: $vgpr3
	v_lshrrev_b32_e32 v2, 21, v2
; %bb.3952:
	s_and_not1_saveexec_b32 s3, s3
; %bb.3953:
	v_add_f32_e32 v2, 0x43000000, v3
; %bb.3954:
	s_or_b32 exec_lo, exec_lo, s3
                                        ; implicit-def: $vgpr3
.LBB102_3955:
	s_and_not1_saveexec_b32 s1, s1
; %bb.3956:
	v_mov_b32_e32 v2, 0x7f
	v_cmp_lt_u32_e32 vcc_lo, 0x7f800000, v3
	s_delay_alu instid0(VALU_DEP_2)
	v_cndmask_b32_e32 v2, 0x7c, v2, vcc_lo
; %bb.3957:
	s_or_b32 exec_lo, exec_lo, s1
	global_store_b8 v[0:1], v2, off
.LBB102_3958:
	s_mov_b32 s1, 0
.LBB102_3959:
	s_delay_alu instid0(SALU_CYCLE_1)
	s_and_not1_b32 vcc_lo, exec_lo, s1
	s_mov_b32 s1, 0
	s_cbranch_vccnz .LBB102_3966
; %bb.3960:
	s_cmp_gt_i32 s2, 14
	s_mov_b32 s1, -1
	s_cbranch_scc0 .LBB102_3964
; %bb.3961:
	s_cmp_eq_u32 s2, 15
	s_mov_b32 s0, -1
	s_cbranch_scc0 .LBB102_3963
; %bb.3962:
	s_wait_xcnt 0x0
	v_cvt_f32_ubyte0_e32 v2, v4
	s_mov_b32 s0, 0
	s_delay_alu instid0(VALU_DEP_1) | instskip(NEXT) | instid1(VALU_DEP_1)
	v_bfe_u32 v3, v2, 16, 1
	v_add3_u32 v2, v2, v3, 0x7fff
	global_store_d16_hi_b16 v[0:1], v2, off
.LBB102_3963:
	s_mov_b32 s1, 0
.LBB102_3964:
	s_delay_alu instid0(SALU_CYCLE_1)
	s_and_b32 vcc_lo, exec_lo, s1
	s_mov_b32 s1, 0
	s_cbranch_vccz .LBB102_3966
; %bb.3965:
	s_cmp_lg_u32 s2, 11
	s_mov_b32 s1, -1
	s_cselect_b32 s0, -1, 0
.LBB102_3966:
	s_delay_alu instid0(SALU_CYCLE_1)
	s_and_b32 vcc_lo, exec_lo, s0
	s_cbranch_vccnz .LBB102_4032
.LBB102_3967:
	s_mov_b32 s0, 0
	s_branch .LBB102_3969
.LBB102_3968:
	s_mov_b32 s0, 0
	s_mov_b32 s1, 0
                                        ; implicit-def: $sgpr20
                                        ; implicit-def: $vgpr0_vgpr1
                                        ; implicit-def: $vgpr4
.LBB102_3969:
	s_and_not1_b32 s2, s19, exec_lo
	s_and_b32 s3, s16, exec_lo
	s_and_b32 s0, s0, exec_lo
	;; [unrolled: 1-line block ×3, first 2 shown]
	s_or_b32 s19, s2, s3
.LBB102_3970:
	s_wait_xcnt 0x0
	s_or_b32 exec_lo, exec_lo, s18
	s_and_saveexec_b32 s1, s19
	s_cbranch_execz .LBB102_3973
; %bb.3971:
	; divergent unreachable
	s_or_b32 exec_lo, exec_lo, s1
	s_and_saveexec_b32 s1, s16
	s_delay_alu instid0(SALU_CYCLE_1)
	s_xor_b32 s1, exec_lo, s1
	s_cbranch_execnz .LBB102_3974
.LBB102_3972:
	s_or_b32 exec_lo, exec_lo, s1
	s_and_saveexec_b32 s1, s0
	s_cbranch_execnz .LBB102_3975
	s_branch .LBB102_4012
.LBB102_3973:
	s_or_b32 exec_lo, exec_lo, s1
	s_and_saveexec_b32 s1, s16
	s_delay_alu instid0(SALU_CYCLE_1)
	s_xor_b32 s1, exec_lo, s1
	s_cbranch_execz .LBB102_3972
.LBB102_3974:
	s_wait_loadcnt 0x0
	v_and_b32_e32 v2, 0xff, v4
	s_delay_alu instid0(VALU_DEP_1)
	v_cmp_ne_u16_e32 vcc_lo, 0, v2
	v_cndmask_b32_e64 v2, 0, 1, vcc_lo
	global_store_b8 v[0:1], v2, off
	s_wait_xcnt 0x0
	s_or_b32 exec_lo, exec_lo, s1
	s_and_saveexec_b32 s1, s0
	s_cbranch_execz .LBB102_4012
.LBB102_3975:
	s_sext_i32_i16 s1, s20
	s_mov_b32 s0, -1
	s_cmp_lt_i32 s1, 5
	s_cbranch_scc1 .LBB102_3996
; %bb.3976:
	s_cmp_lt_i32 s1, 8
	s_cbranch_scc1 .LBB102_3986
; %bb.3977:
	;; [unrolled: 3-line block ×3, first 2 shown]
	s_cmp_gt_i32 s1, 9
	s_cbranch_scc0 .LBB102_3980
; %bb.3979:
	s_wait_loadcnt 0x0
	v_and_b32_e32 v2, 0xff, v4
	v_mov_b32_e32 v8, 0
	s_mov_b32 s0, 0
	s_delay_alu instid0(VALU_DEP_2) | instskip(NEXT) | instid1(VALU_DEP_2)
	v_and_b32_e32 v2, 0xffff, v2
	v_mov_b32_e32 v9, v8
	s_delay_alu instid0(VALU_DEP_2)
	v_cvt_f64_u32_e32 v[6:7], v2
	global_store_b128 v[0:1], v[6:9], off
.LBB102_3980:
	s_and_not1_b32 vcc_lo, exec_lo, s0
	s_cbranch_vccnz .LBB102_3982
; %bb.3981:
	s_wait_loadcnt 0x0
	v_cvt_f32_ubyte0_e32 v2, v4
	v_mov_b32_e32 v3, 0
	global_store_b64 v[0:1], v[2:3], off
.LBB102_3982:
	s_mov_b32 s0, 0
.LBB102_3983:
	s_delay_alu instid0(SALU_CYCLE_1)
	s_and_not1_b32 vcc_lo, exec_lo, s0
	s_cbranch_vccnz .LBB102_3985
; %bb.3984:
	s_wait_loadcnt 0x0
	v_and_b32_e32 v2, 0xff, v4
	s_delay_alu instid0(VALU_DEP_1) | instskip(NEXT) | instid1(VALU_DEP_1)
	v_cvt_f16_u16_e32 v2, v2
	v_and_b32_e32 v2, 0xffff, v2
	global_store_b32 v[0:1], v2, off
.LBB102_3985:
	s_mov_b32 s0, 0
.LBB102_3986:
	s_delay_alu instid0(SALU_CYCLE_1)
	s_and_not1_b32 vcc_lo, exec_lo, s0
	s_cbranch_vccnz .LBB102_3995
; %bb.3987:
	s_sext_i32_i16 s1, s20
	s_mov_b32 s0, -1
	s_cmp_lt_i32 s1, 6
	s_cbranch_scc1 .LBB102_3993
; %bb.3988:
	s_cmp_gt_i32 s1, 6
	s_cbranch_scc0 .LBB102_3990
; %bb.3989:
	s_wait_loadcnt 0x0
	v_and_b32_e32 v2, 0xff, v4
	s_mov_b32 s0, 0
	s_delay_alu instid0(VALU_DEP_1) | instskip(NEXT) | instid1(VALU_DEP_1)
	v_and_b32_e32 v2, 0xffff, v2
	v_cvt_f64_u32_e32 v[2:3], v2
	global_store_b64 v[0:1], v[2:3], off
.LBB102_3990:
	s_and_not1_b32 vcc_lo, exec_lo, s0
	s_cbranch_vccnz .LBB102_3992
; %bb.3991:
	s_wait_loadcnt 0x0
	v_cvt_f32_ubyte0_e32 v2, v4
	global_store_b32 v[0:1], v2, off
.LBB102_3992:
	s_mov_b32 s0, 0
.LBB102_3993:
	s_delay_alu instid0(SALU_CYCLE_1)
	s_and_not1_b32 vcc_lo, exec_lo, s0
	s_cbranch_vccnz .LBB102_3995
; %bb.3994:
	s_wait_loadcnt 0x0
	v_and_b32_e32 v2, 0xff, v4
	s_delay_alu instid0(VALU_DEP_1)
	v_cvt_f16_u16_e32 v2, v2
	global_store_b16 v[0:1], v2, off
.LBB102_3995:
	s_mov_b32 s0, 0
.LBB102_3996:
	s_delay_alu instid0(SALU_CYCLE_1)
	s_and_not1_b32 vcc_lo, exec_lo, s0
	s_cbranch_vccnz .LBB102_4012
; %bb.3997:
	s_sext_i32_i16 s1, s20
	s_mov_b32 s0, -1
	s_cmp_lt_i32 s1, 2
	s_cbranch_scc1 .LBB102_4007
; %bb.3998:
	s_cmp_lt_i32 s1, 3
	s_cbranch_scc1 .LBB102_4004
; %bb.3999:
	s_wait_loadcnt 0x0
	v_and_b32_e32 v2, 0xff, v4
	s_cmp_gt_i32 s1, 3
	s_cbranch_scc0 .LBB102_4001
; %bb.4000:
	v_mov_b32_e32 v3, 0
	s_mov_b32 s0, 0
	global_store_b64 v[0:1], v[2:3], off
.LBB102_4001:
	s_and_not1_b32 vcc_lo, exec_lo, s0
	s_cbranch_vccnz .LBB102_4003
; %bb.4002:
	global_store_b32 v[0:1], v2, off
.LBB102_4003:
	s_mov_b32 s0, 0
.LBB102_4004:
	s_delay_alu instid0(SALU_CYCLE_1)
	s_and_not1_b32 vcc_lo, exec_lo, s0
	s_cbranch_vccnz .LBB102_4006
; %bb.4005:
	s_wait_loadcnt 0x0
	v_and_b32_e32 v2, 0xff, v4
	global_store_b16 v[0:1], v2, off
.LBB102_4006:
	s_mov_b32 s0, 0
.LBB102_4007:
	s_delay_alu instid0(SALU_CYCLE_1)
	s_and_not1_b32 vcc_lo, exec_lo, s0
	s_cbranch_vccnz .LBB102_4012
; %bb.4008:
	s_sext_i32_i16 s0, s20
	s_delay_alu instid0(SALU_CYCLE_1)
	s_cmp_gt_i32 s0, 0
	s_mov_b32 s0, -1
	s_cbranch_scc0 .LBB102_4010
; %bb.4009:
	s_mov_b32 s0, 0
	s_wait_loadcnt 0x0
	global_store_b8 v[0:1], v4, off
.LBB102_4010:
	s_and_not1_b32 vcc_lo, exec_lo, s0
	s_cbranch_vccnz .LBB102_4012
; %bb.4011:
	s_wait_loadcnt 0x0
	global_store_b8 v[0:1], v4, off
	s_endpgm
.LBB102_4012:
	s_endpgm
.LBB102_4013:
	s_mov_b32 s1, 0
	s_mov_b32 s0, -1
	s_branch .LBB102_3969
.LBB102_4014:
	s_or_b32 s16, s16, exec_lo
	s_trap 2
	s_cbranch_execz .LBB102_3483
	s_branch .LBB102_3484
.LBB102_4015:
	s_and_not1_saveexec_b32 s7, s7
	s_cbranch_execz .LBB102_3563
.LBB102_4016:
	v_add_f32_e32 v2, 0x46000000, v3
	s_and_not1_b32 s6, s6, exec_lo
	s_delay_alu instid0(VALU_DEP_1) | instskip(NEXT) | instid1(VALU_DEP_1)
	v_and_b32_e32 v2, 0xff, v2
	v_cmp_ne_u32_e32 vcc_lo, 0, v2
	s_and_b32 s8, vcc_lo, exec_lo
	s_delay_alu instid0(SALU_CYCLE_1)
	s_or_b32 s6, s6, s8
	s_or_b32 exec_lo, exec_lo, s7
	v_mov_b32_e32 v5, 0
	s_and_saveexec_b32 s7, s6
	s_cbranch_execnz .LBB102_3564
	s_branch .LBB102_3565
.LBB102_4017:
	s_or_b32 s16, s16, exec_lo
	s_trap 2
	s_cbranch_execz .LBB102_3611
	s_branch .LBB102_3612
.LBB102_4018:
	s_and_not1_saveexec_b32 s6, s6
	s_cbranch_execz .LBB102_3576
.LBB102_4019:
	v_add_f32_e32 v2, 0x42800000, v3
	s_and_not1_b32 s3, s3, exec_lo
	s_delay_alu instid0(VALU_DEP_1) | instskip(NEXT) | instid1(VALU_DEP_1)
	v_and_b32_e32 v2, 0xff, v2
	v_cmp_ne_u32_e32 vcc_lo, 0, v2
	s_and_b32 s7, vcc_lo, exec_lo
	s_delay_alu instid0(SALU_CYCLE_1)
	s_or_b32 s3, s3, s7
	s_or_b32 exec_lo, exec_lo, s6
	v_mov_b32_e32 v5, 0
	s_and_saveexec_b32 s6, s3
	s_cbranch_execnz .LBB102_3577
	s_branch .LBB102_3578
.LBB102_4020:
	s_and_not1_saveexec_b32 s8, s8
	s_cbranch_execz .LBB102_3682
.LBB102_4021:
	v_add_f32_e32 v4, 0x46000000, v5
	s_and_not1_b32 s7, s7, exec_lo
	s_delay_alu instid0(VALU_DEP_1) | instskip(NEXT) | instid1(VALU_DEP_1)
	v_and_b32_e32 v4, 0xff, v4
	v_cmp_ne_u32_e32 vcc_lo, 0, v4
	s_and_b32 s9, vcc_lo, exec_lo
	s_delay_alu instid0(SALU_CYCLE_1)
	s_or_b32 s7, s7, s9
	s_or_b32 exec_lo, exec_lo, s8
	v_mov_b32_e32 v6, 0
	s_and_saveexec_b32 s8, s7
	s_cbranch_execnz .LBB102_3683
	s_branch .LBB102_3684
.LBB102_4022:
	s_or_b32 s16, s16, exec_lo
	s_trap 2
	s_cbranch_execz .LBB102_3730
	s_branch .LBB102_3731
.LBB102_4023:
	s_and_not1_saveexec_b32 s7, s7
	s_cbranch_execz .LBB102_3695
.LBB102_4024:
	v_add_f32_e32 v4, 0x42800000, v5
	s_and_not1_b32 s6, s6, exec_lo
	s_delay_alu instid0(VALU_DEP_1) | instskip(NEXT) | instid1(VALU_DEP_1)
	v_and_b32_e32 v4, 0xff, v4
	v_cmp_ne_u32_e32 vcc_lo, 0, v4
	s_and_b32 s8, vcc_lo, exec_lo
	s_delay_alu instid0(SALU_CYCLE_1)
	s_or_b32 s6, s6, s8
	s_or_b32 exec_lo, exec_lo, s7
	v_mov_b32_e32 v6, 0
	s_and_saveexec_b32 s7, s6
	s_cbranch_execnz .LBB102_3696
	s_branch .LBB102_3697
.LBB102_4025:
	s_and_not1_saveexec_b32 s8, s8
	s_cbranch_execz .LBB102_3801
.LBB102_4026:
	v_add_f32_e32 v4, 0x46000000, v5
	s_and_not1_b32 s7, s7, exec_lo
	s_delay_alu instid0(VALU_DEP_1) | instskip(NEXT) | instid1(VALU_DEP_1)
	v_and_b32_e32 v4, 0xff, v4
	v_cmp_ne_u32_e32 vcc_lo, 0, v4
	s_and_b32 s9, vcc_lo, exec_lo
	s_delay_alu instid0(SALU_CYCLE_1)
	s_or_b32 s7, s7, s9
	s_or_b32 exec_lo, exec_lo, s8
	v_mov_b32_e32 v6, 0
	s_and_saveexec_b32 s8, s7
	s_cbranch_execnz .LBB102_3802
	s_branch .LBB102_3803
.LBB102_4027:
	s_or_b32 s16, s16, exec_lo
	s_trap 2
	s_cbranch_execz .LBB102_3849
	s_branch .LBB102_3850
.LBB102_4028:
	s_and_not1_saveexec_b32 s7, s7
	s_cbranch_execz .LBB102_3814
.LBB102_4029:
	v_add_f32_e32 v4, 0x42800000, v5
	s_and_not1_b32 s6, s6, exec_lo
	s_delay_alu instid0(VALU_DEP_1) | instskip(NEXT) | instid1(VALU_DEP_1)
	v_and_b32_e32 v4, 0xff, v4
	v_cmp_ne_u32_e32 vcc_lo, 0, v4
	s_and_b32 s8, vcc_lo, exec_lo
	s_delay_alu instid0(SALU_CYCLE_1)
	s_or_b32 s6, s6, s8
	s_or_b32 exec_lo, exec_lo, s7
	v_mov_b32_e32 v6, 0
	s_and_saveexec_b32 s7, s6
	s_cbranch_execnz .LBB102_3815
	s_branch .LBB102_3816
.LBB102_4030:
	s_and_not1_saveexec_b32 s5, s5
	s_cbranch_execz .LBB102_3921
.LBB102_4031:
	v_add_f32_e32 v2, 0x46000000, v3
	s_and_not1_b32 s4, s4, exec_lo
	s_delay_alu instid0(VALU_DEP_1) | instskip(NEXT) | instid1(VALU_DEP_1)
	v_and_b32_e32 v2, 0xff, v2
	v_cmp_ne_u32_e32 vcc_lo, 0, v2
	s_and_b32 s6, vcc_lo, exec_lo
	s_delay_alu instid0(SALU_CYCLE_1)
	s_or_b32 s4, s4, s6
	s_or_b32 exec_lo, exec_lo, s5
	v_mov_b32_e32 v5, 0
	s_and_saveexec_b32 s5, s4
	s_cbranch_execnz .LBB102_3922
	s_branch .LBB102_3923
.LBB102_4032:
	s_mov_b32 s1, 0
	s_or_b32 s16, s16, exec_lo
	s_trap 2
	s_branch .LBB102_3967
.LBB102_4033:
	s_and_not1_saveexec_b32 s4, s4
	s_cbranch_execz .LBB102_3933
.LBB102_4034:
	v_add_f32_e32 v2, 0x42800000, v3
	s_and_not1_b32 s3, s3, exec_lo
	s_delay_alu instid0(VALU_DEP_1) | instskip(NEXT) | instid1(VALU_DEP_1)
	v_and_b32_e32 v2, 0xff, v2
	v_cmp_ne_u32_e32 vcc_lo, 0, v2
	s_and_b32 s5, vcc_lo, exec_lo
	s_delay_alu instid0(SALU_CYCLE_1)
	s_or_b32 s3, s3, s5
	s_or_b32 exec_lo, exec_lo, s4
	v_mov_b32_e32 v5, 0
	s_and_saveexec_b32 s4, s3
	s_cbranch_execnz .LBB102_3934
	s_branch .LBB102_3935
	.section	.rodata,"a",@progbits
	.p2align	6, 0x0
	.amdhsa_kernel _ZN2at6native32elementwise_kernel_manual_unrollILi128ELi4EZNS0_15gpu_kernel_implIZZZNS0_12_GLOBAL__N_117clamp_kernel_implERNS_18TensorIteratorBaseEENKUlvE_clEvENKUlvE_clEvEUlhhhE_EEvS5_RKT_EUlibE_EEviT1_
		.amdhsa_group_segment_fixed_size 0
		.amdhsa_private_segment_fixed_size 0
		.amdhsa_kernarg_size 64
		.amdhsa_user_sgpr_count 2
		.amdhsa_user_sgpr_dispatch_ptr 0
		.amdhsa_user_sgpr_queue_ptr 0
		.amdhsa_user_sgpr_kernarg_segment_ptr 1
		.amdhsa_user_sgpr_dispatch_id 0
		.amdhsa_user_sgpr_kernarg_preload_length 0
		.amdhsa_user_sgpr_kernarg_preload_offset 0
		.amdhsa_user_sgpr_private_segment_size 0
		.amdhsa_wavefront_size32 1
		.amdhsa_uses_dynamic_stack 0
		.amdhsa_enable_private_segment 0
		.amdhsa_system_sgpr_workgroup_id_x 1
		.amdhsa_system_sgpr_workgroup_id_y 0
		.amdhsa_system_sgpr_workgroup_id_z 0
		.amdhsa_system_sgpr_workgroup_info 0
		.amdhsa_system_vgpr_workitem_id 0
		.amdhsa_next_free_vgpr 30
		.amdhsa_next_free_sgpr 42
		.amdhsa_named_barrier_count 0
		.amdhsa_reserve_vcc 1
		.amdhsa_float_round_mode_32 0
		.amdhsa_float_round_mode_16_64 0
		.amdhsa_float_denorm_mode_32 3
		.amdhsa_float_denorm_mode_16_64 3
		.amdhsa_fp16_overflow 0
		.amdhsa_memory_ordered 1
		.amdhsa_forward_progress 1
		.amdhsa_inst_pref_size 255
		.amdhsa_round_robin_scheduling 0
		.amdhsa_exception_fp_ieee_invalid_op 0
		.amdhsa_exception_fp_denorm_src 0
		.amdhsa_exception_fp_ieee_div_zero 0
		.amdhsa_exception_fp_ieee_overflow 0
		.amdhsa_exception_fp_ieee_underflow 0
		.amdhsa_exception_fp_ieee_inexact 0
		.amdhsa_exception_int_div_zero 0
	.end_amdhsa_kernel
	.section	.text._ZN2at6native32elementwise_kernel_manual_unrollILi128ELi4EZNS0_15gpu_kernel_implIZZZNS0_12_GLOBAL__N_117clamp_kernel_implERNS_18TensorIteratorBaseEENKUlvE_clEvENKUlvE_clEvEUlhhhE_EEvS5_RKT_EUlibE_EEviT1_,"axG",@progbits,_ZN2at6native32elementwise_kernel_manual_unrollILi128ELi4EZNS0_15gpu_kernel_implIZZZNS0_12_GLOBAL__N_117clamp_kernel_implERNS_18TensorIteratorBaseEENKUlvE_clEvENKUlvE_clEvEUlhhhE_EEvS5_RKT_EUlibE_EEviT1_,comdat
.Lfunc_end102:
	.size	_ZN2at6native32elementwise_kernel_manual_unrollILi128ELi4EZNS0_15gpu_kernel_implIZZZNS0_12_GLOBAL__N_117clamp_kernel_implERNS_18TensorIteratorBaseEENKUlvE_clEvENKUlvE_clEvEUlhhhE_EEvS5_RKT_EUlibE_EEviT1_, .Lfunc_end102-_ZN2at6native32elementwise_kernel_manual_unrollILi128ELi4EZNS0_15gpu_kernel_implIZZZNS0_12_GLOBAL__N_117clamp_kernel_implERNS_18TensorIteratorBaseEENKUlvE_clEvENKUlvE_clEvEUlhhhE_EEvS5_RKT_EUlibE_EEviT1_
                                        ; -- End function
	.set _ZN2at6native32elementwise_kernel_manual_unrollILi128ELi4EZNS0_15gpu_kernel_implIZZZNS0_12_GLOBAL__N_117clamp_kernel_implERNS_18TensorIteratorBaseEENKUlvE_clEvENKUlvE_clEvEUlhhhE_EEvS5_RKT_EUlibE_EEviT1_.num_vgpr, 30
	.set _ZN2at6native32elementwise_kernel_manual_unrollILi128ELi4EZNS0_15gpu_kernel_implIZZZNS0_12_GLOBAL__N_117clamp_kernel_implERNS_18TensorIteratorBaseEENKUlvE_clEvENKUlvE_clEvEUlhhhE_EEvS5_RKT_EUlibE_EEviT1_.num_agpr, 0
	.set _ZN2at6native32elementwise_kernel_manual_unrollILi128ELi4EZNS0_15gpu_kernel_implIZZZNS0_12_GLOBAL__N_117clamp_kernel_implERNS_18TensorIteratorBaseEENKUlvE_clEvENKUlvE_clEvEUlhhhE_EEvS5_RKT_EUlibE_EEviT1_.numbered_sgpr, 42
	.set _ZN2at6native32elementwise_kernel_manual_unrollILi128ELi4EZNS0_15gpu_kernel_implIZZZNS0_12_GLOBAL__N_117clamp_kernel_implERNS_18TensorIteratorBaseEENKUlvE_clEvENKUlvE_clEvEUlhhhE_EEvS5_RKT_EUlibE_EEviT1_.num_named_barrier, 0
	.set _ZN2at6native32elementwise_kernel_manual_unrollILi128ELi4EZNS0_15gpu_kernel_implIZZZNS0_12_GLOBAL__N_117clamp_kernel_implERNS_18TensorIteratorBaseEENKUlvE_clEvENKUlvE_clEvEUlhhhE_EEvS5_RKT_EUlibE_EEviT1_.private_seg_size, 0
	.set _ZN2at6native32elementwise_kernel_manual_unrollILi128ELi4EZNS0_15gpu_kernel_implIZZZNS0_12_GLOBAL__N_117clamp_kernel_implERNS_18TensorIteratorBaseEENKUlvE_clEvENKUlvE_clEvEUlhhhE_EEvS5_RKT_EUlibE_EEviT1_.uses_vcc, 1
	.set _ZN2at6native32elementwise_kernel_manual_unrollILi128ELi4EZNS0_15gpu_kernel_implIZZZNS0_12_GLOBAL__N_117clamp_kernel_implERNS_18TensorIteratorBaseEENKUlvE_clEvENKUlvE_clEvEUlhhhE_EEvS5_RKT_EUlibE_EEviT1_.uses_flat_scratch, 0
	.set _ZN2at6native32elementwise_kernel_manual_unrollILi128ELi4EZNS0_15gpu_kernel_implIZZZNS0_12_GLOBAL__N_117clamp_kernel_implERNS_18TensorIteratorBaseEENKUlvE_clEvENKUlvE_clEvEUlhhhE_EEvS5_RKT_EUlibE_EEviT1_.has_dyn_sized_stack, 0
	.set _ZN2at6native32elementwise_kernel_manual_unrollILi128ELi4EZNS0_15gpu_kernel_implIZZZNS0_12_GLOBAL__N_117clamp_kernel_implERNS_18TensorIteratorBaseEENKUlvE_clEvENKUlvE_clEvEUlhhhE_EEvS5_RKT_EUlibE_EEviT1_.has_recursion, 0
	.set _ZN2at6native32elementwise_kernel_manual_unrollILi128ELi4EZNS0_15gpu_kernel_implIZZZNS0_12_GLOBAL__N_117clamp_kernel_implERNS_18TensorIteratorBaseEENKUlvE_clEvENKUlvE_clEvEUlhhhE_EEvS5_RKT_EUlibE_EEviT1_.has_indirect_call, 0
	.section	.AMDGPU.csdata,"",@progbits
; Kernel info:
; codeLenInByte = 82624
; TotalNumSgprs: 44
; NumVgprs: 30
; ScratchSize: 0
; MemoryBound: 1
; FloatMode: 240
; IeeeMode: 1
; LDSByteSize: 0 bytes/workgroup (compile time only)
; SGPRBlocks: 0
; VGPRBlocks: 1
; NumSGPRsForWavesPerEU: 44
; NumVGPRsForWavesPerEU: 30
; NamedBarCnt: 0
; Occupancy: 16
; WaveLimiterHint : 0
; COMPUTE_PGM_RSRC2:SCRATCH_EN: 0
; COMPUTE_PGM_RSRC2:USER_SGPR: 2
; COMPUTE_PGM_RSRC2:TRAP_HANDLER: 0
; COMPUTE_PGM_RSRC2:TGID_X_EN: 1
; COMPUTE_PGM_RSRC2:TGID_Y_EN: 0
; COMPUTE_PGM_RSRC2:TGID_Z_EN: 0
; COMPUTE_PGM_RSRC2:TIDIG_COMP_CNT: 0
	.section	.text._ZN2at6native32elementwise_kernel_manual_unrollILi128ELi4EZNS0_15gpu_kernel_implIZZZNS0_12_GLOBAL__N_117clamp_kernel_implERNS_18TensorIteratorBaseEENKUlvE_clEvENKUlvE_clEvEUlhhhE_EEvS5_RKT_EUlibE0_EEviT1_,"axG",@progbits,_ZN2at6native32elementwise_kernel_manual_unrollILi128ELi4EZNS0_15gpu_kernel_implIZZZNS0_12_GLOBAL__N_117clamp_kernel_implERNS_18TensorIteratorBaseEENKUlvE_clEvENKUlvE_clEvEUlhhhE_EEvS5_RKT_EUlibE0_EEviT1_,comdat
	.globl	_ZN2at6native32elementwise_kernel_manual_unrollILi128ELi4EZNS0_15gpu_kernel_implIZZZNS0_12_GLOBAL__N_117clamp_kernel_implERNS_18TensorIteratorBaseEENKUlvE_clEvENKUlvE_clEvEUlhhhE_EEvS5_RKT_EUlibE0_EEviT1_ ; -- Begin function _ZN2at6native32elementwise_kernel_manual_unrollILi128ELi4EZNS0_15gpu_kernel_implIZZZNS0_12_GLOBAL__N_117clamp_kernel_implERNS_18TensorIteratorBaseEENKUlvE_clEvENKUlvE_clEvEUlhhhE_EEvS5_RKT_EUlibE0_EEviT1_
	.p2align	8
	.type	_ZN2at6native32elementwise_kernel_manual_unrollILi128ELi4EZNS0_15gpu_kernel_implIZZZNS0_12_GLOBAL__N_117clamp_kernel_implERNS_18TensorIteratorBaseEENKUlvE_clEvENKUlvE_clEvEUlhhhE_EEvS5_RKT_EUlibE0_EEviT1_,@function
_ZN2at6native32elementwise_kernel_manual_unrollILi128ELi4EZNS0_15gpu_kernel_implIZZZNS0_12_GLOBAL__N_117clamp_kernel_implERNS_18TensorIteratorBaseEENKUlvE_clEvENKUlvE_clEvEUlhhhE_EEvS5_RKT_EUlibE0_EEviT1_: ; @_ZN2at6native32elementwise_kernel_manual_unrollILi128ELi4EZNS0_15gpu_kernel_implIZZZNS0_12_GLOBAL__N_117clamp_kernel_implERNS_18TensorIteratorBaseEENKUlvE_clEvENKUlvE_clEvEUlhhhE_EEvS5_RKT_EUlibE0_EEviT1_
; %bb.0:
	s_clause 0x1
	s_load_b32 s33, s[0:1], 0x8
	s_load_b32 s44, s[0:1], 0x0
	s_bfe_u32 s2, ttmp6, 0x4000c
	s_and_b32 s3, ttmp6, 15
	s_add_co_i32 s2, s2, 1
	s_getreg_b32 s4, hwreg(HW_REG_IB_STS2, 6, 4)
	s_mul_i32 s2, ttmp9, s2
	s_mov_b32 s35, 0
	s_add_co_i32 s3, s3, s2
	s_cmp_eq_u32 s4, 0
	s_mov_b32 s29, -1
	s_cselect_b32 s2, ttmp9, s3
	s_mov_b32 s10, 0
	v_lshl_or_b32 v0, s2, 9, v0
	s_add_nc_u64 s[2:3], s[0:1], 8
	s_wait_xcnt 0x0
	s_mov_b32 s0, exec_lo
	s_delay_alu instid0(VALU_DEP_1) | instskip(SKIP_2) | instid1(SALU_CYCLE_1)
	v_or_b32_e32 v5, 0x180, v0
	s_wait_kmcnt 0x0
	s_add_co_i32 s34, s33, -1
	s_cmp_gt_u32 s34, 1
	s_cselect_b32 s36, -1, 0
	v_cmpx_le_i32_e64 s44, v5
	s_xor_b32 s37, exec_lo, s0
	s_cbranch_execz .LBB103_2061
; %bb.1:
	v_mov_b32_e32 v1, 0
	s_clause 0x3
	s_load_b128 s[20:23], s[2:3], 0x4
	s_load_b64 s[0:1], s[2:3], 0x14
	s_load_b256 s[12:19], s[2:3], 0xc4
	s_load_b256 s[4:11], s[2:3], 0x1c8
	s_cmp_lg_u32 s33, 0
	s_mov_b32 s25, 0
	s_cselect_b32 s45, -1, 0
	global_load_b32 v1, v1, s[2:3] offset:489
	s_min_u32 s43, s34, 15
	s_cmp_gt_u32 s33, 1
	s_mov_b32 s27, s25
	s_mov_b32 s48, s25
	;; [unrolled: 1-line block ×4, first 2 shown]
	s_cselect_b32 s41, -1, 0
	s_mov_b32 s42, s25
	s_mov_b32 s49, exec_lo
	s_wait_kmcnt 0x0
	s_mov_b32 s24, s21
	s_mov_b32 s26, s0
	s_wait_loadcnt 0x0
	v_readfirstlane_b32 s38, v1
	s_lshr_b32 s39, s38, 16
	s_lshr_b32 s40, s38, 8
	;; [unrolled: 1-line block ×3, first 2 shown]
	v_cmpx_gt_i32_e64 s44, v0
	s_cbranch_execz .LBB103_511
; %bb.2:
	s_and_not1_b32 vcc_lo, exec_lo, s36
	s_cbranch_vccnz .LBB103_8
; %bb.3:
	s_and_not1_b32 vcc_lo, exec_lo, s45
	s_cbranch_vccnz .LBB103_9
; %bb.4:
	v_dual_mov_b32 v8, 0 :: v_dual_mov_b32 v1, v0
	v_dual_mov_b32 v6, 0 :: v_dual_mov_b32 v2, 0
	v_mov_b32_e32 v4, 0
	s_add_co_i32 s0, s43, 1
	s_mov_b64 s[28:29], 0xffffffffffffffe0
	s_and_b32 s0, s0, 30
	s_add_nc_u64 s[28:29], s[2:3], s[28:29]
	s_mov_b64 s[30:31], s[2:3]
.LBB103_5:                              ; =>This Inner Loop Header: Depth=1
	s_clause 0x1
	s_load_b128 s[60:63], s[30:31], 0x4
	s_load_b64 s[46:47], s[30:31], 0x14
	s_load_b256 s[52:59], s[28:29], 0xe4
	s_add_co_i32 s0, s0, -2
	s_wait_xcnt 0x0
	s_add_nc_u64 s[30:31], s[30:31], 24
	s_cmp_lg_u32 s0, 0
	s_add_nc_u64 s[28:29], s[28:29], 32
	s_wait_kmcnt 0x0
	v_mul_hi_u32 v3, s61, v1
	s_delay_alu instid0(VALU_DEP_1) | instskip(NEXT) | instid1(VALU_DEP_1)
	v_add_nc_u32_e32 v3, v1, v3
	v_lshrrev_b32_e32 v3, s62, v3
	s_delay_alu instid0(VALU_DEP_1) | instskip(SKIP_1) | instid1(VALU_DEP_1)
	v_mul_hi_u32 v5, s46, v3
	v_mul_lo_u32 v7, v3, s60
	v_dual_add_nc_u32 v5, v3, v5 :: v_dual_sub_nc_u32 v7, v1, v7
	s_delay_alu instid0(VALU_DEP_1) | instskip(NEXT) | instid1(VALU_DEP_2)
	v_lshrrev_b32_e32 v1, s47, v5
	v_mad_u32 v4, v7, s53, v4
	v_mad_u32 v2, v7, s52, v2
	;; [unrolled: 1-line block ×4, first 2 shown]
	v_mul_lo_u32 v5, v1, s63
	s_delay_alu instid0(VALU_DEP_1) | instskip(NEXT) | instid1(VALU_DEP_1)
	v_sub_nc_u32_e32 v3, v3, v5
	v_mad_u32 v4, v3, s57, v4
	v_mad_u32 v2, v3, s56, v2
	;; [unrolled: 1-line block ×4, first 2 shown]
	s_cbranch_scc1 .LBB103_5
; %bb.6:
	s_bitcmp1_b32 s43, 0
	s_cselect_b32 s0, -1, 0
	s_delay_alu instid0(SALU_CYCLE_1)
	s_and_b32 vcc_lo, exec_lo, s0
	s_cbranch_vccnz .LBB103_10
; %bb.7:
	s_load_b96 s[56:58], s[30:31], 0x4
	s_load_b128 s[52:55], s[28:29], 0xe4
	s_wait_kmcnt 0x0
	v_mul_hi_u32 v3, s57, v1
	s_delay_alu instid0(VALU_DEP_1) | instskip(NEXT) | instid1(VALU_DEP_1)
	v_add_nc_u32_e32 v3, v1, v3
	v_lshrrev_b32_e32 v3, s58, v3
	s_delay_alu instid0(VALU_DEP_1) | instskip(NEXT) | instid1(VALU_DEP_1)
	v_mul_lo_u32 v3, v3, s56
	v_sub_nc_u32_e32 v1, v1, v3
	s_delay_alu instid0(VALU_DEP_1)
	v_mad_u32 v2, v1, s52, v2
	v_mad_u32 v4, v1, s53, v4
	;; [unrolled: 1-line block ×4, first 2 shown]
	s_cbranch_execz .LBB103_11
	s_branch .LBB103_13
.LBB103_8:
                                        ; implicit-def: $vgpr4
                                        ; implicit-def: $vgpr2
                                        ; implicit-def: $vgpr6
                                        ; implicit-def: $vgpr8
	s_branch .LBB103_11
.LBB103_9:
	v_dual_mov_b32 v4, 0 :: v_dual_mov_b32 v2, 0
	v_dual_mov_b32 v6, 0 :: v_dual_mov_b32 v8, 0
.LBB103_10:
	s_cbranch_execnz .LBB103_13
.LBB103_11:
	v_mov_b32_e32 v1, 0
	s_and_not1_b32 vcc_lo, exec_lo, s41
	s_delay_alu instid0(VALU_DEP_1) | instskip(NEXT) | instid1(VALU_DEP_1)
	v_mul_u64_e32 v[2:3], s[24:25], v[0:1]
	v_add_nc_u32_e32 v2, v0, v3
	s_delay_alu instid0(VALU_DEP_1) | instskip(NEXT) | instid1(VALU_DEP_1)
	v_lshrrev_b32_e32 v10, s22, v2
	v_mul_lo_u32 v2, v10, s20
	s_delay_alu instid0(VALU_DEP_1) | instskip(NEXT) | instid1(VALU_DEP_1)
	v_sub_nc_u32_e32 v3, v0, v2
	v_mul_lo_u32 v4, v3, s13
	v_mul_lo_u32 v2, v3, s12
	;; [unrolled: 1-line block ×4, first 2 shown]
	s_cbranch_vccnz .LBB103_13
; %bb.12:
	v_mov_b32_e32 v11, v1
	s_delay_alu instid0(VALU_DEP_1) | instskip(NEXT) | instid1(VALU_DEP_1)
	v_mul_u64_e32 v[12:13], s[26:27], v[10:11]
	v_add_nc_u32_e32 v1, v10, v13
	s_delay_alu instid0(VALU_DEP_1) | instskip(NEXT) | instid1(VALU_DEP_1)
	v_lshrrev_b32_e32 v1, s1, v1
	v_mul_lo_u32 v1, v1, s23
	s_delay_alu instid0(VALU_DEP_1) | instskip(NEXT) | instid1(VALU_DEP_1)
	v_sub_nc_u32_e32 v1, v10, v1
	v_mad_u32 v2, v1, s16, v2
	v_mad_u32 v4, v1, s17, v4
	;; [unrolled: 1-line block ×4, first 2 shown]
.LBB103_13:
	v_mov_b32_e32 v5, 0
	s_and_b32 s0, s40, 0xff
	s_delay_alu instid0(SALU_CYCLE_1) | instskip(NEXT) | instid1(VALU_DEP_1)
	s_cmp_lt_i32 s0, 11
	v_add_nc_u64_e32 v[10:11], s[6:7], v[4:5]
	s_cbranch_scc1 .LBB103_20
; %bb.14:
	s_and_b32 s29, 0xffff, s0
	s_delay_alu instid0(SALU_CYCLE_1)
	s_cmp_gt_i32 s29, 25
	s_cbranch_scc0 .LBB103_29
; %bb.15:
	s_cmp_gt_i32 s29, 28
	s_cbranch_scc0 .LBB103_39
; %bb.16:
	;; [unrolled: 3-line block ×4, first 2 shown]
	s_cmp_eq_u32 s29, 46
	s_mov_b32 s31, 0
	s_cbranch_scc0 .LBB103_48
; %bb.19:
	global_load_b32 v1, v[10:11], off
	s_mov_b32 s30, -1
	s_mov_b32 s28, 0
	s_wait_loadcnt 0x0
	v_lshlrev_b32_e32 v1, 16, v1
	s_delay_alu instid0(VALU_DEP_1) | instskip(NEXT) | instid1(VALU_DEP_1)
	v_trunc_f32_e32 v1, v1
	v_mul_f32_e64 v3, 0x2f800000, |v1|
	s_delay_alu instid0(VALU_DEP_1) | instskip(NEXT) | instid1(VALU_DEP_1)
	v_floor_f32_e32 v3, v3
	v_fma_f32 v3, 0xcf800000, v3, |v1|
	v_ashrrev_i32_e32 v1, 31, v1
	s_delay_alu instid0(VALU_DEP_2) | instskip(NEXT) | instid1(VALU_DEP_1)
	v_cvt_u32_f32_e32 v3, v3
	v_xor_b32_e32 v3, v3, v1
	s_delay_alu instid0(VALU_DEP_1)
	v_sub_nc_u32_e32 v4, v3, v1
	s_branch .LBB103_50
.LBB103_20:
	s_mov_b32 s28, 0
	s_mov_b32 s30, 0
                                        ; implicit-def: $vgpr4
	s_cbranch_execnz .LBB103_112
.LBB103_21:
	s_and_not1_b32 vcc_lo, exec_lo, s30
	s_cbranch_vccnz .LBB103_159
.LBB103_22:
	v_mov_b32_e32 v9, 0
	s_and_b32 s0, s39, 0xff
	s_delay_alu instid0(SALU_CYCLE_1) | instskip(SKIP_1) | instid1(VALU_DEP_1)
	s_cmp_lt_i32 s0, 11
	s_wait_xcnt 0x0
	v_add_nc_u64_e32 v[10:11], s[8:9], v[8:9]
	s_cbranch_scc1 .LBB103_30
; %bb.23:
	s_and_b32 s30, 0xffff, s0
	s_delay_alu instid0(SALU_CYCLE_1)
	s_cmp_gt_i32 s30, 25
	s_cbranch_scc0 .LBB103_40
; %bb.24:
	s_cmp_gt_i32 s30, 28
	s_cbranch_scc0 .LBB103_43
; %bb.25:
	;; [unrolled: 3-line block ×4, first 2 shown]
	s_cmp_eq_u32 s30, 46
	s_mov_b32 s42, 0
	s_cbranch_scc0 .LBB103_160
; %bb.28:
	global_load_b32 v1, v[10:11], off
	s_mov_b32 s31, -1
	s_mov_b32 s29, 0
	s_wait_loadcnt 0x0
	v_lshlrev_b32_e32 v1, 16, v1
	s_delay_alu instid0(VALU_DEP_1) | instskip(NEXT) | instid1(VALU_DEP_1)
	v_trunc_f32_e32 v1, v1
	v_mul_f32_e64 v3, 0x2f800000, |v1|
	s_delay_alu instid0(VALU_DEP_1) | instskip(NEXT) | instid1(VALU_DEP_1)
	v_floor_f32_e32 v3, v3
	v_fma_f32 v3, 0xcf800000, v3, |v1|
	v_ashrrev_i32_e32 v1, 31, v1
	s_delay_alu instid0(VALU_DEP_2) | instskip(NEXT) | instid1(VALU_DEP_1)
	v_cvt_u32_f32_e32 v3, v3
	v_xor_b32_e32 v3, v3, v1
	s_delay_alu instid0(VALU_DEP_1)
	v_sub_nc_u32_e32 v8, v3, v1
	s_branch .LBB103_162
.LBB103_29:
	s_mov_b32 s28, 0
	s_mov_b32 s30, 0
                                        ; implicit-def: $vgpr4
	s_cbranch_execnz .LBB103_79
	s_branch .LBB103_111
.LBB103_30:
	s_mov_b32 s29, 0
	s_mov_b32 s31, 0
                                        ; implicit-def: $vgpr8
	s_cbranch_execnz .LBB103_224
.LBB103_31:
	s_and_not1_b32 vcc_lo, exec_lo, s31
	s_cbranch_vccnz .LBB103_272
.LBB103_32:
	v_mov_b32_e32 v7, 0
	s_and_b32 s0, 0xffff, s21
	s_delay_alu instid0(SALU_CYCLE_1) | instskip(NEXT) | instid1(VALU_DEP_1)
	s_cmp_lt_i32 s0, 11
	v_add_nc_u64_e32 v[6:7], s[10:11], v[6:7]
	s_cbranch_scc1 .LBB103_41
; %bb.33:
	s_cmp_gt_i32 s0, 25
	s_cbranch_scc0 .LBB103_44
; %bb.34:
	s_cmp_gt_i32 s0, 28
	s_cbranch_scc0 .LBB103_47
	;; [unrolled: 3-line block ×4, first 2 shown]
; %bb.37:
	s_cmp_eq_u32 s0, 46
	s_mov_b32 s42, 0
	s_cbranch_scc0 .LBB103_273
; %bb.38:
	global_load_b32 v1, v[6:7], off
	s_mov_b32 s31, -1
	s_mov_b32 s30, 0
	s_wait_loadcnt 0x0
	v_lshlrev_b32_e32 v1, 16, v1
	s_delay_alu instid0(VALU_DEP_1) | instskip(NEXT) | instid1(VALU_DEP_1)
	v_trunc_f32_e32 v1, v1
	v_mul_f32_e64 v3, 0x2f800000, |v1|
	s_delay_alu instid0(VALU_DEP_1) | instskip(NEXT) | instid1(VALU_DEP_1)
	v_floor_f32_e32 v3, v3
	v_fma_f32 v3, 0xcf800000, v3, |v1|
	v_ashrrev_i32_e32 v1, 31, v1
	s_delay_alu instid0(VALU_DEP_2) | instskip(NEXT) | instid1(VALU_DEP_1)
	v_cvt_u32_f32_e32 v3, v3
	v_xor_b32_e32 v3, v3, v1
	s_delay_alu instid0(VALU_DEP_1)
	v_sub_nc_u32_e32 v10, v3, v1
	s_branch .LBB103_275
.LBB103_39:
	s_mov_b32 s31, -1
	s_mov_b32 s28, 0
	s_mov_b32 s30, 0
                                        ; implicit-def: $vgpr4
	s_branch .LBB103_62
.LBB103_40:
	s_mov_b32 s42, -1
	s_mov_b32 s29, 0
	s_mov_b32 s31, 0
                                        ; implicit-def: $vgpr8
	s_branch .LBB103_190
.LBB103_41:
	s_mov_b32 s42, -1
	s_mov_b32 s30, 0
	s_mov_b32 s31, 0
                                        ; implicit-def: $vgpr10
	s_branch .LBB103_336
.LBB103_42:
	s_mov_b32 s31, -1
	s_mov_b32 s28, 0
	s_mov_b32 s30, 0
                                        ; implicit-def: $vgpr4
	s_branch .LBB103_57
.LBB103_43:
	s_mov_b32 s42, -1
	s_mov_b32 s29, 0
	s_mov_b32 s31, 0
                                        ; implicit-def: $vgpr8
	s_branch .LBB103_173
.LBB103_44:
	s_mov_b32 s42, -1
	s_mov_b32 s30, 0
	s_mov_b32 s31, 0
                                        ; implicit-def: $vgpr10
	s_branch .LBB103_302
.LBB103_45:
	s_mov_b32 s31, -1
	s_mov_b32 s28, 0
	s_branch .LBB103_49
.LBB103_46:
	s_mov_b32 s42, -1
	s_mov_b32 s29, 0
	s_mov_b32 s31, 0
                                        ; implicit-def: $vgpr8
	s_branch .LBB103_168
.LBB103_47:
	s_mov_b32 s42, -1
	s_mov_b32 s30, 0
	s_mov_b32 s31, 0
                                        ; implicit-def: $vgpr10
	s_branch .LBB103_285
.LBB103_48:
	s_mov_b32 s28, -1
.LBB103_49:
	s_mov_b32 s30, 0
                                        ; implicit-def: $vgpr4
.LBB103_50:
	s_and_b32 vcc_lo, exec_lo, s31
	s_cbranch_vccz .LBB103_56
; %bb.51:
	s_cmp_eq_u32 s29, 44
	s_cbranch_scc0 .LBB103_55
; %bb.52:
	global_load_u8 v1, v[10:11], off
	s_mov_b32 s28, 0
	s_mov_b32 s30, -1
	s_wait_loadcnt 0x0
	v_lshlrev_b32_e32 v3, 23, v1
	v_cmp_ne_u32_e32 vcc_lo, 0, v1
	s_delay_alu instid0(VALU_DEP_2) | instskip(NEXT) | instid1(VALU_DEP_1)
	v_trunc_f32_e32 v3, v3
	v_mul_f32_e64 v4, 0x2f800000, |v3|
	s_delay_alu instid0(VALU_DEP_1) | instskip(NEXT) | instid1(VALU_DEP_1)
	v_floor_f32_e32 v4, v4
	v_fma_f32 v4, 0xcf800000, v4, |v3|
	v_ashrrev_i32_e32 v3, 31, v3
	s_delay_alu instid0(VALU_DEP_2) | instskip(NEXT) | instid1(VALU_DEP_1)
	v_cvt_u32_f32_e32 v4, v4
	v_xor_b32_e32 v4, v4, v3
	s_delay_alu instid0(VALU_DEP_1) | instskip(NEXT) | instid1(VALU_DEP_1)
	v_sub_nc_u32_e32 v3, v4, v3
	v_cndmask_b32_e32 v4, 0, v3, vcc_lo
	s_branch .LBB103_56
.LBB103_53:
	s_mov_b32 s42, -1
	s_mov_b32 s29, 0
	s_branch .LBB103_161
.LBB103_54:
	s_mov_b32 s42, -1
	s_mov_b32 s30, 0
	s_mov_b32 s31, 0
                                        ; implicit-def: $vgpr10
	s_branch .LBB103_280
.LBB103_55:
	s_mov_b32 s28, -1
                                        ; implicit-def: $vgpr4
.LBB103_56:
	s_mov_b32 s31, 0
.LBB103_57:
	s_delay_alu instid0(SALU_CYCLE_1)
	s_and_b32 vcc_lo, exec_lo, s31
	s_cbranch_vccz .LBB103_61
; %bb.58:
	s_cmp_eq_u32 s29, 29
	s_cbranch_scc0 .LBB103_60
; %bb.59:
	global_load_b64 v[4:5], v[10:11], off
	s_mov_b32 s30, -1
	s_mov_b32 s28, 0
	s_branch .LBB103_61
.LBB103_60:
	s_mov_b32 s28, -1
                                        ; implicit-def: $vgpr4
.LBB103_61:
	s_mov_b32 s31, 0
.LBB103_62:
	s_delay_alu instid0(SALU_CYCLE_1)
	s_and_b32 vcc_lo, exec_lo, s31
	s_cbranch_vccz .LBB103_78
; %bb.63:
	s_cmp_lt_i32 s29, 27
	s_cbranch_scc1 .LBB103_66
; %bb.64:
	s_cmp_gt_i32 s29, 27
	s_cbranch_scc0 .LBB103_67
; %bb.65:
	s_wait_loadcnt 0x0
	global_load_b32 v4, v[10:11], off
	s_mov_b32 s30, 0
	s_branch .LBB103_68
.LBB103_66:
	s_mov_b32 s30, -1
                                        ; implicit-def: $vgpr4
	s_branch .LBB103_71
.LBB103_67:
	s_mov_b32 s30, -1
                                        ; implicit-def: $vgpr4
.LBB103_68:
	s_delay_alu instid0(SALU_CYCLE_1)
	s_and_not1_b32 vcc_lo, exec_lo, s30
	s_cbranch_vccnz .LBB103_70
; %bb.69:
	s_wait_loadcnt 0x0
	global_load_u16 v4, v[10:11], off
.LBB103_70:
	s_mov_b32 s30, 0
.LBB103_71:
	s_delay_alu instid0(SALU_CYCLE_1)
	s_and_not1_b32 vcc_lo, exec_lo, s30
	s_cbranch_vccnz .LBB103_77
; %bb.72:
	global_load_u8 v1, v[10:11], off
	s_mov_b32 s31, 0
	s_mov_b32 s30, exec_lo
	s_wait_loadcnt 0x0
	v_cmpx_lt_i16_e32 0x7f, v1
	s_xor_b32 s30, exec_lo, s30
	s_cbranch_execz .LBB103_88
; %bb.73:
	v_cmp_ne_u16_e32 vcc_lo, 0x80, v1
	s_and_b32 s31, vcc_lo, exec_lo
	s_and_not1_saveexec_b32 s30, s30
	s_cbranch_execnz .LBB103_89
.LBB103_74:
	s_or_b32 exec_lo, exec_lo, s30
	v_mov_b32_e32 v4, 0
	s_and_saveexec_b32 s30, s31
	s_cbranch_execz .LBB103_76
.LBB103_75:
	v_and_b32_e32 v3, 0xffff, v1
	s_delay_alu instid0(VALU_DEP_1) | instskip(SKIP_1) | instid1(VALU_DEP_2)
	v_and_b32_e32 v4, 7, v3
	v_bfe_u32 v9, v3, 3, 4
	v_clz_i32_u32_e32 v5, v4
	s_delay_alu instid0(VALU_DEP_2) | instskip(NEXT) | instid1(VALU_DEP_2)
	v_cmp_eq_u32_e32 vcc_lo, 0, v9
	v_min_u32_e32 v5, 32, v5
	s_delay_alu instid0(VALU_DEP_1) | instskip(NEXT) | instid1(VALU_DEP_1)
	v_subrev_nc_u32_e32 v7, 28, v5
	v_dual_lshlrev_b32 v3, v7, v3 :: v_dual_sub_nc_u32 v5, 29, v5
	s_delay_alu instid0(VALU_DEP_1) | instskip(NEXT) | instid1(VALU_DEP_1)
	v_dual_lshlrev_b32 v1, 24, v1 :: v_dual_bitop2_b32 v3, 7, v3 bitop3:0x40
	v_dual_cndmask_b32 v3, v4, v3, vcc_lo :: v_dual_cndmask_b32 v5, v9, v5, vcc_lo
	s_delay_alu instid0(VALU_DEP_2) | instskip(NEXT) | instid1(VALU_DEP_2)
	v_and_b32_e32 v1, 0x80000000, v1
	v_lshlrev_b32_e32 v3, 20, v3
	s_delay_alu instid0(VALU_DEP_3) | instskip(NEXT) | instid1(VALU_DEP_1)
	v_lshl_add_u32 v4, v5, 23, 0x3b800000
	v_or3_b32 v1, v1, v4, v3
	s_delay_alu instid0(VALU_DEP_1) | instskip(NEXT) | instid1(VALU_DEP_1)
	v_trunc_f32_e32 v1, v1
	v_mul_f32_e64 v3, 0x2f800000, |v1|
	s_delay_alu instid0(VALU_DEP_1) | instskip(NEXT) | instid1(VALU_DEP_1)
	v_floor_f32_e32 v3, v3
	v_fma_f32 v3, 0xcf800000, v3, |v1|
	v_ashrrev_i32_e32 v1, 31, v1
	s_delay_alu instid0(VALU_DEP_2) | instskip(NEXT) | instid1(VALU_DEP_1)
	v_cvt_u32_f32_e32 v3, v3
	v_xor_b32_e32 v3, v3, v1
	s_delay_alu instid0(VALU_DEP_1)
	v_sub_nc_u32_e32 v4, v3, v1
.LBB103_76:
	s_or_b32 exec_lo, exec_lo, s30
.LBB103_77:
	s_mov_b32 s30, -1
.LBB103_78:
	s_branch .LBB103_111
.LBB103_79:
	s_cmp_gt_i32 s29, 22
	s_cbranch_scc0 .LBB103_87
; %bb.80:
	s_cmp_lt_i32 s29, 24
	s_cbranch_scc1 .LBB103_90
; %bb.81:
	s_cmp_gt_i32 s29, 24
	s_cbranch_scc0 .LBB103_91
; %bb.82:
	global_load_u8 v1, v[10:11], off
	s_mov_b32 s31, 0
	s_mov_b32 s30, exec_lo
	s_wait_loadcnt 0x0
	v_cmpx_lt_i16_e32 0x7f, v1
	s_xor_b32 s30, exec_lo, s30
	s_cbranch_execz .LBB103_103
; %bb.83:
	v_cmp_ne_u16_e32 vcc_lo, 0x80, v1
	s_and_b32 s31, vcc_lo, exec_lo
	s_and_not1_saveexec_b32 s30, s30
	s_cbranch_execnz .LBB103_104
.LBB103_84:
	s_or_b32 exec_lo, exec_lo, s30
	v_mov_b32_e32 v4, 0
	s_and_saveexec_b32 s30, s31
	s_cbranch_execz .LBB103_86
.LBB103_85:
	v_and_b32_e32 v3, 0xffff, v1
	s_delay_alu instid0(VALU_DEP_1) | instskip(SKIP_1) | instid1(VALU_DEP_2)
	v_and_b32_e32 v4, 3, v3
	v_bfe_u32 v9, v3, 2, 5
	v_clz_i32_u32_e32 v5, v4
	s_delay_alu instid0(VALU_DEP_2) | instskip(NEXT) | instid1(VALU_DEP_2)
	v_cmp_eq_u32_e32 vcc_lo, 0, v9
	v_min_u32_e32 v5, 32, v5
	s_delay_alu instid0(VALU_DEP_1) | instskip(NEXT) | instid1(VALU_DEP_1)
	v_subrev_nc_u32_e32 v7, 29, v5
	v_dual_lshlrev_b32 v3, v7, v3 :: v_dual_sub_nc_u32 v5, 30, v5
	s_delay_alu instid0(VALU_DEP_1) | instskip(NEXT) | instid1(VALU_DEP_1)
	v_dual_lshlrev_b32 v1, 24, v1 :: v_dual_bitop2_b32 v3, 3, v3 bitop3:0x40
	v_dual_cndmask_b32 v3, v4, v3, vcc_lo :: v_dual_cndmask_b32 v5, v9, v5, vcc_lo
	s_delay_alu instid0(VALU_DEP_2) | instskip(NEXT) | instid1(VALU_DEP_2)
	v_and_b32_e32 v1, 0x80000000, v1
	v_lshlrev_b32_e32 v3, 21, v3
	s_delay_alu instid0(VALU_DEP_3) | instskip(NEXT) | instid1(VALU_DEP_1)
	v_lshl_add_u32 v4, v5, 23, 0x37800000
	v_or3_b32 v1, v1, v4, v3
	s_delay_alu instid0(VALU_DEP_1) | instskip(NEXT) | instid1(VALU_DEP_1)
	v_trunc_f32_e32 v1, v1
	v_mul_f32_e64 v3, 0x2f800000, |v1|
	s_delay_alu instid0(VALU_DEP_1) | instskip(NEXT) | instid1(VALU_DEP_1)
	v_floor_f32_e32 v3, v3
	v_fma_f32 v3, 0xcf800000, v3, |v1|
	v_ashrrev_i32_e32 v1, 31, v1
	s_delay_alu instid0(VALU_DEP_2) | instskip(NEXT) | instid1(VALU_DEP_1)
	v_cvt_u32_f32_e32 v3, v3
	v_xor_b32_e32 v3, v3, v1
	s_delay_alu instid0(VALU_DEP_1)
	v_sub_nc_u32_e32 v4, v3, v1
.LBB103_86:
	s_or_b32 exec_lo, exec_lo, s30
	s_mov_b32 s30, 0
	s_branch .LBB103_92
.LBB103_87:
	s_mov_b32 s31, -1
                                        ; implicit-def: $vgpr4
	s_branch .LBB103_98
.LBB103_88:
	s_and_not1_saveexec_b32 s30, s30
	s_cbranch_execz .LBB103_74
.LBB103_89:
	v_cmp_ne_u16_e32 vcc_lo, 0, v1
	s_and_not1_b32 s31, s31, exec_lo
	s_and_b32 s42, vcc_lo, exec_lo
	s_delay_alu instid0(SALU_CYCLE_1)
	s_or_b32 s31, s31, s42
	s_or_b32 exec_lo, exec_lo, s30
	v_mov_b32_e32 v4, 0
	s_and_saveexec_b32 s30, s31
	s_cbranch_execnz .LBB103_75
	s_branch .LBB103_76
.LBB103_90:
	s_mov_b32 s30, -1
                                        ; implicit-def: $vgpr4
	s_branch .LBB103_95
.LBB103_91:
	s_mov_b32 s30, -1
                                        ; implicit-def: $vgpr4
.LBB103_92:
	s_delay_alu instid0(SALU_CYCLE_1)
	s_and_b32 vcc_lo, exec_lo, s30
	s_cbranch_vccz .LBB103_94
; %bb.93:
	global_load_u8 v1, v[10:11], off
	s_wait_loadcnt 0x0
	v_lshlrev_b32_e32 v1, 24, v1
	s_delay_alu instid0(VALU_DEP_1) | instskip(NEXT) | instid1(VALU_DEP_1)
	v_and_b32_e32 v3, 0x7f000000, v1
	v_clz_i32_u32_e32 v4, v3
	v_add_nc_u32_e32 v7, 0x1000000, v3
	v_cmp_ne_u32_e32 vcc_lo, 0, v3
	s_delay_alu instid0(VALU_DEP_3) | instskip(NEXT) | instid1(VALU_DEP_1)
	v_min_u32_e32 v4, 32, v4
	v_sub_nc_u32_e64 v4, v4, 4 clamp
	s_delay_alu instid0(VALU_DEP_1) | instskip(NEXT) | instid1(VALU_DEP_1)
	v_dual_lshlrev_b32 v5, v4, v3 :: v_dual_lshlrev_b32 v4, 23, v4
	v_lshrrev_b32_e32 v5, 4, v5
	s_delay_alu instid0(VALU_DEP_1) | instskip(NEXT) | instid1(VALU_DEP_1)
	v_dual_sub_nc_u32 v4, v5, v4 :: v_dual_ashrrev_i32 v5, 8, v7
	v_add_nc_u32_e32 v4, 0x3c000000, v4
	s_delay_alu instid0(VALU_DEP_1) | instskip(NEXT) | instid1(VALU_DEP_1)
	v_and_or_b32 v4, 0x7f800000, v5, v4
	v_cndmask_b32_e32 v3, 0, v4, vcc_lo
	s_delay_alu instid0(VALU_DEP_1) | instskip(NEXT) | instid1(VALU_DEP_1)
	v_and_or_b32 v1, 0x80000000, v1, v3
	v_trunc_f32_e32 v1, v1
	s_delay_alu instid0(VALU_DEP_1) | instskip(NEXT) | instid1(VALU_DEP_1)
	v_mul_f32_e64 v3, 0x2f800000, |v1|
	v_floor_f32_e32 v3, v3
	s_delay_alu instid0(VALU_DEP_1) | instskip(SKIP_1) | instid1(VALU_DEP_2)
	v_fma_f32 v3, 0xcf800000, v3, |v1|
	v_ashrrev_i32_e32 v1, 31, v1
	v_cvt_u32_f32_e32 v3, v3
	s_delay_alu instid0(VALU_DEP_1) | instskip(NEXT) | instid1(VALU_DEP_1)
	v_xor_b32_e32 v3, v3, v1
	v_sub_nc_u32_e32 v4, v3, v1
.LBB103_94:
	s_mov_b32 s30, 0
.LBB103_95:
	s_delay_alu instid0(SALU_CYCLE_1)
	s_and_not1_b32 vcc_lo, exec_lo, s30
	s_cbranch_vccnz .LBB103_97
; %bb.96:
	global_load_u8 v1, v[10:11], off
	s_wait_loadcnt 0x0
	v_lshlrev_b32_e32 v3, 25, v1
	v_lshlrev_b16 v1, 8, v1
	s_delay_alu instid0(VALU_DEP_1) | instskip(NEXT) | instid1(VALU_DEP_3)
	v_and_or_b32 v5, 0x7f00, v1, 0.5
	v_lshrrev_b32_e32 v4, 4, v3
	v_bfe_i32 v1, v1, 0, 16
	s_delay_alu instid0(VALU_DEP_3) | instskip(NEXT) | instid1(VALU_DEP_3)
	v_add_f32_e32 v5, -0.5, v5
	v_or_b32_e32 v4, 0x70000000, v4
	s_delay_alu instid0(VALU_DEP_1) | instskip(SKIP_1) | instid1(VALU_DEP_2)
	v_mul_f32_e32 v4, 0x7800000, v4
	v_cmp_gt_u32_e32 vcc_lo, 0x8000000, v3
	v_cndmask_b32_e32 v3, v4, v5, vcc_lo
	s_delay_alu instid0(VALU_DEP_1) | instskip(NEXT) | instid1(VALU_DEP_1)
	v_and_or_b32 v1, 0x80000000, v1, v3
	v_trunc_f32_e32 v1, v1
	s_delay_alu instid0(VALU_DEP_1) | instskip(NEXT) | instid1(VALU_DEP_1)
	v_mul_f32_e64 v3, 0x2f800000, |v1|
	v_floor_f32_e32 v3, v3
	s_delay_alu instid0(VALU_DEP_1) | instskip(SKIP_1) | instid1(VALU_DEP_2)
	v_fma_f32 v3, 0xcf800000, v3, |v1|
	v_ashrrev_i32_e32 v1, 31, v1
	v_cvt_u32_f32_e32 v3, v3
	s_delay_alu instid0(VALU_DEP_1) | instskip(NEXT) | instid1(VALU_DEP_1)
	v_xor_b32_e32 v3, v3, v1
	v_sub_nc_u32_e32 v4, v3, v1
.LBB103_97:
	s_mov_b32 s31, 0
	s_mov_b32 s30, -1
.LBB103_98:
	s_and_not1_b32 vcc_lo, exec_lo, s31
	s_cbranch_vccnz .LBB103_111
; %bb.99:
	s_cmp_gt_i32 s29, 14
	s_cbranch_scc0 .LBB103_102
; %bb.100:
	s_cmp_eq_u32 s29, 15
	s_cbranch_scc0 .LBB103_105
; %bb.101:
	global_load_u16 v1, v[10:11], off
	s_mov_b32 s30, -1
	s_mov_b32 s28, 0
	s_wait_loadcnt 0x0
	v_lshlrev_b32_e32 v1, 16, v1
	s_delay_alu instid0(VALU_DEP_1) | instskip(NEXT) | instid1(VALU_DEP_1)
	v_trunc_f32_e32 v1, v1
	v_mul_f32_e64 v3, 0x2f800000, |v1|
	s_delay_alu instid0(VALU_DEP_1) | instskip(NEXT) | instid1(VALU_DEP_1)
	v_floor_f32_e32 v3, v3
	v_fma_f32 v3, 0xcf800000, v3, |v1|
	v_ashrrev_i32_e32 v1, 31, v1
	s_delay_alu instid0(VALU_DEP_2) | instskip(NEXT) | instid1(VALU_DEP_1)
	v_cvt_u32_f32_e32 v3, v3
	v_xor_b32_e32 v3, v3, v1
	s_delay_alu instid0(VALU_DEP_1)
	v_sub_nc_u32_e32 v4, v3, v1
	s_branch .LBB103_106
.LBB103_102:
	s_mov_b32 s31, -1
                                        ; implicit-def: $vgpr4
	s_branch .LBB103_107
.LBB103_103:
	s_and_not1_saveexec_b32 s30, s30
	s_cbranch_execz .LBB103_84
.LBB103_104:
	v_cmp_ne_u16_e32 vcc_lo, 0, v1
	s_and_not1_b32 s31, s31, exec_lo
	s_and_b32 s42, vcc_lo, exec_lo
	s_delay_alu instid0(SALU_CYCLE_1)
	s_or_b32 s31, s31, s42
	s_or_b32 exec_lo, exec_lo, s30
	v_mov_b32_e32 v4, 0
	s_and_saveexec_b32 s30, s31
	s_cbranch_execnz .LBB103_85
	s_branch .LBB103_86
.LBB103_105:
	s_mov_b32 s28, -1
                                        ; implicit-def: $vgpr4
.LBB103_106:
	s_mov_b32 s31, 0
.LBB103_107:
	s_delay_alu instid0(SALU_CYCLE_1)
	s_and_b32 vcc_lo, exec_lo, s31
	s_cbranch_vccz .LBB103_111
; %bb.108:
	s_cmp_eq_u32 s29, 11
	s_cbranch_scc0 .LBB103_110
; %bb.109:
	global_load_u8 v1, v[10:11], off
	s_mov_b32 s28, 0
	s_mov_b32 s30, -1
	s_wait_loadcnt 0x0
	v_cmp_ne_u16_e32 vcc_lo, 0, v1
	v_cndmask_b32_e64 v4, 0, 1, vcc_lo
	s_branch .LBB103_111
.LBB103_110:
	s_mov_b32 s28, -1
                                        ; implicit-def: $vgpr4
.LBB103_111:
	s_branch .LBB103_21
.LBB103_112:
	s_and_b32 s0, 0xffff, s0
	s_delay_alu instid0(SALU_CYCLE_1)
	s_cmp_lt_i32 s0, 5
	s_cbranch_scc1 .LBB103_117
; %bb.113:
	s_cmp_lt_i32 s0, 8
	s_cbranch_scc1 .LBB103_118
; %bb.114:
	;; [unrolled: 3-line block ×3, first 2 shown]
	s_cmp_gt_i32 s0, 9
	s_cbranch_scc0 .LBB103_120
; %bb.116:
	s_wait_loadcnt 0x0
	global_load_b64 v[4:5], v[10:11], off
	s_mov_b32 s29, 0
	s_wait_loadcnt 0x0
	v_trunc_f64_e32 v[4:5], v[4:5]
	s_delay_alu instid0(VALU_DEP_1) | instskip(NEXT) | instid1(VALU_DEP_1)
	v_ldexp_f64 v[12:13], v[4:5], 0xffffffe0
	v_floor_f64_e32 v[12:13], v[12:13]
	s_delay_alu instid0(VALU_DEP_1) | instskip(NEXT) | instid1(VALU_DEP_1)
	v_fmamk_f64 v[4:5], v[12:13], 0xc1f00000, v[4:5]
	v_cvt_u32_f64_e32 v4, v[4:5]
	s_branch .LBB103_121
.LBB103_117:
                                        ; implicit-def: $vgpr4
	s_branch .LBB103_139
.LBB103_118:
	s_mov_b32 s29, -1
                                        ; implicit-def: $vgpr4
	s_branch .LBB103_127
.LBB103_119:
	s_mov_b32 s29, -1
                                        ; implicit-def: $vgpr4
	s_branch .LBB103_124
.LBB103_120:
	s_mov_b32 s29, -1
                                        ; implicit-def: $vgpr4
.LBB103_121:
	s_delay_alu instid0(SALU_CYCLE_1)
	s_and_not1_b32 vcc_lo, exec_lo, s29
	s_cbranch_vccnz .LBB103_123
; %bb.122:
	global_load_b32 v1, v[10:11], off
	s_wait_loadcnt 0x0
	v_trunc_f32_e32 v1, v1
	s_delay_alu instid0(VALU_DEP_1) | instskip(NEXT) | instid1(VALU_DEP_1)
	v_mul_f32_e64 v3, 0x2f800000, |v1|
	v_floor_f32_e32 v3, v3
	s_delay_alu instid0(VALU_DEP_1) | instskip(SKIP_1) | instid1(VALU_DEP_2)
	v_fma_f32 v3, 0xcf800000, v3, |v1|
	v_ashrrev_i32_e32 v1, 31, v1
	v_cvt_u32_f32_e32 v3, v3
	s_delay_alu instid0(VALU_DEP_1) | instskip(NEXT) | instid1(VALU_DEP_1)
	v_xor_b32_e32 v3, v3, v1
	v_sub_nc_u32_e32 v4, v3, v1
.LBB103_123:
	s_mov_b32 s29, 0
.LBB103_124:
	s_delay_alu instid0(SALU_CYCLE_1)
	s_and_not1_b32 vcc_lo, exec_lo, s29
	s_cbranch_vccnz .LBB103_126
; %bb.125:
	global_load_b32 v1, v[10:11], off
	s_wait_loadcnt 0x0
	v_cvt_f32_f16_e32 v1, v1
	s_delay_alu instid0(VALU_DEP_1)
	v_cvt_i32_f32_e32 v4, v1
.LBB103_126:
	s_mov_b32 s29, 0
.LBB103_127:
	s_delay_alu instid0(SALU_CYCLE_1)
	s_and_not1_b32 vcc_lo, exec_lo, s29
	s_cbranch_vccnz .LBB103_138
; %bb.128:
	s_cmp_lt_i32 s0, 6
	s_cbranch_scc1 .LBB103_131
; %bb.129:
	s_cmp_gt_i32 s0, 6
	s_cbranch_scc0 .LBB103_132
; %bb.130:
	s_wait_loadcnt 0x0
	global_load_b64 v[4:5], v[10:11], off
	s_mov_b32 s29, 0
	s_wait_loadcnt 0x0
	v_trunc_f64_e32 v[4:5], v[4:5]
	s_delay_alu instid0(VALU_DEP_1) | instskip(NEXT) | instid1(VALU_DEP_1)
	v_ldexp_f64 v[12:13], v[4:5], 0xffffffe0
	v_floor_f64_e32 v[12:13], v[12:13]
	s_delay_alu instid0(VALU_DEP_1) | instskip(NEXT) | instid1(VALU_DEP_1)
	v_fmamk_f64 v[4:5], v[12:13], 0xc1f00000, v[4:5]
	v_cvt_u32_f64_e32 v4, v[4:5]
	s_branch .LBB103_133
.LBB103_131:
	s_mov_b32 s29, -1
                                        ; implicit-def: $vgpr4
	s_branch .LBB103_136
.LBB103_132:
	s_mov_b32 s29, -1
                                        ; implicit-def: $vgpr4
.LBB103_133:
	s_delay_alu instid0(SALU_CYCLE_1)
	s_and_not1_b32 vcc_lo, exec_lo, s29
	s_cbranch_vccnz .LBB103_135
; %bb.134:
	global_load_b32 v1, v[10:11], off
	s_wait_loadcnt 0x0
	v_trunc_f32_e32 v1, v1
	s_delay_alu instid0(VALU_DEP_1) | instskip(NEXT) | instid1(VALU_DEP_1)
	v_mul_f32_e64 v3, 0x2f800000, |v1|
	v_floor_f32_e32 v3, v3
	s_delay_alu instid0(VALU_DEP_1) | instskip(SKIP_1) | instid1(VALU_DEP_2)
	v_fma_f32 v3, 0xcf800000, v3, |v1|
	v_ashrrev_i32_e32 v1, 31, v1
	v_cvt_u32_f32_e32 v3, v3
	s_delay_alu instid0(VALU_DEP_1) | instskip(NEXT) | instid1(VALU_DEP_1)
	v_xor_b32_e32 v3, v3, v1
	v_sub_nc_u32_e32 v4, v3, v1
.LBB103_135:
	s_mov_b32 s29, 0
.LBB103_136:
	s_delay_alu instid0(SALU_CYCLE_1)
	s_and_not1_b32 vcc_lo, exec_lo, s29
	s_cbranch_vccnz .LBB103_138
; %bb.137:
	global_load_u16 v1, v[10:11], off
	s_wait_loadcnt 0x0
	v_cvt_f32_f16_e32 v1, v1
	s_delay_alu instid0(VALU_DEP_1)
	v_cvt_i32_f32_e32 v4, v1
.LBB103_138:
	s_cbranch_execnz .LBB103_158
.LBB103_139:
	s_cmp_lt_i32 s0, 2
	s_cbranch_scc1 .LBB103_143
; %bb.140:
	s_cmp_lt_i32 s0, 3
	s_cbranch_scc1 .LBB103_144
; %bb.141:
	s_cmp_gt_i32 s0, 3
	s_cbranch_scc0 .LBB103_145
; %bb.142:
	s_wait_loadcnt 0x0
	global_load_b64 v[4:5], v[10:11], off
	s_mov_b32 s29, 0
	s_branch .LBB103_146
.LBB103_143:
	s_mov_b32 s29, -1
                                        ; implicit-def: $vgpr4
	s_branch .LBB103_152
.LBB103_144:
	s_mov_b32 s29, -1
                                        ; implicit-def: $vgpr4
	s_branch .LBB103_149
.LBB103_145:
	s_mov_b32 s29, -1
                                        ; implicit-def: $vgpr4
.LBB103_146:
	s_delay_alu instid0(SALU_CYCLE_1)
	s_and_not1_b32 vcc_lo, exec_lo, s29
	s_cbranch_vccnz .LBB103_148
; %bb.147:
	s_wait_loadcnt 0x0
	global_load_b32 v4, v[10:11], off
.LBB103_148:
	s_mov_b32 s29, 0
.LBB103_149:
	s_delay_alu instid0(SALU_CYCLE_1)
	s_and_not1_b32 vcc_lo, exec_lo, s29
	s_cbranch_vccnz .LBB103_151
; %bb.150:
	s_wait_loadcnt 0x0
	global_load_u16 v4, v[10:11], off
.LBB103_151:
	s_mov_b32 s29, 0
.LBB103_152:
	s_delay_alu instid0(SALU_CYCLE_1)
	s_and_not1_b32 vcc_lo, exec_lo, s29
	s_cbranch_vccnz .LBB103_158
; %bb.153:
	s_cmp_gt_i32 s0, 0
	s_mov_b32 s0, 0
	s_cbranch_scc0 .LBB103_155
; %bb.154:
	s_wait_loadcnt 0x0
	global_load_u8 v4, v[10:11], off
	s_branch .LBB103_156
.LBB103_155:
	s_mov_b32 s0, -1
                                        ; implicit-def: $vgpr4
.LBB103_156:
	s_delay_alu instid0(SALU_CYCLE_1)
	s_and_not1_b32 vcc_lo, exec_lo, s0
	s_cbranch_vccnz .LBB103_158
; %bb.157:
	s_wait_loadcnt 0x0
	global_load_u8 v4, v[10:11], off
.LBB103_158:
	s_branch .LBB103_22
.LBB103_159:
	s_mov_b32 s0, 0
	s_mov_b32 s30, 0
	s_mov_b32 s29, 0
	s_branch .LBB103_509
.LBB103_160:
	s_mov_b32 s29, -1
.LBB103_161:
	s_mov_b32 s31, 0
                                        ; implicit-def: $vgpr8
.LBB103_162:
	s_and_b32 vcc_lo, exec_lo, s42
	s_cbranch_vccz .LBB103_167
; %bb.163:
	s_cmp_eq_u32 s30, 44
	s_cbranch_scc0 .LBB103_166
; %bb.164:
	global_load_u8 v1, v[10:11], off
	s_mov_b32 s29, 0
	s_mov_b32 s31, -1
	s_wait_loadcnt 0x0
	v_lshlrev_b32_e32 v3, 23, v1
	v_cmp_ne_u32_e32 vcc_lo, 0, v1
	s_delay_alu instid0(VALU_DEP_2) | instskip(NEXT) | instid1(VALU_DEP_1)
	v_trunc_f32_e32 v3, v3
	v_mul_f32_e64 v5, 0x2f800000, |v3|
	s_delay_alu instid0(VALU_DEP_1) | instskip(NEXT) | instid1(VALU_DEP_1)
	v_floor_f32_e32 v5, v5
	v_fma_f32 v5, 0xcf800000, v5, |v3|
	v_ashrrev_i32_e32 v3, 31, v3
	s_delay_alu instid0(VALU_DEP_2) | instskip(NEXT) | instid1(VALU_DEP_1)
	v_cvt_u32_f32_e32 v5, v5
	v_xor_b32_e32 v5, v5, v3
	s_delay_alu instid0(VALU_DEP_1) | instskip(NEXT) | instid1(VALU_DEP_1)
	v_sub_nc_u32_e32 v3, v5, v3
	v_cndmask_b32_e32 v8, 0, v3, vcc_lo
	s_branch .LBB103_167
.LBB103_165:
	s_mov_b32 s42, -1
	s_mov_b32 s30, 0
	s_branch .LBB103_274
.LBB103_166:
	s_mov_b32 s29, -1
                                        ; implicit-def: $vgpr8
.LBB103_167:
	s_mov_b32 s42, 0
.LBB103_168:
	s_delay_alu instid0(SALU_CYCLE_1)
	s_and_b32 vcc_lo, exec_lo, s42
	s_cbranch_vccz .LBB103_172
; %bb.169:
	s_cmp_eq_u32 s30, 29
	s_cbranch_scc0 .LBB103_171
; %bb.170:
	global_load_b64 v[8:9], v[10:11], off
	s_mov_b32 s31, -1
	s_mov_b32 s29, 0
	s_branch .LBB103_172
.LBB103_171:
	s_mov_b32 s29, -1
                                        ; implicit-def: $vgpr8
.LBB103_172:
	s_mov_b32 s42, 0
.LBB103_173:
	s_delay_alu instid0(SALU_CYCLE_1)
	s_and_b32 vcc_lo, exec_lo, s42
	s_cbranch_vccz .LBB103_189
; %bb.174:
	s_cmp_lt_i32 s30, 27
	s_cbranch_scc1 .LBB103_177
; %bb.175:
	s_cmp_gt_i32 s30, 27
	s_cbranch_scc0 .LBB103_178
; %bb.176:
	s_wait_loadcnt 0x0
	global_load_b32 v8, v[10:11], off
	s_mov_b32 s31, 0
	s_branch .LBB103_179
.LBB103_177:
	s_mov_b32 s31, -1
                                        ; implicit-def: $vgpr8
	s_branch .LBB103_182
.LBB103_178:
	s_mov_b32 s31, -1
                                        ; implicit-def: $vgpr8
.LBB103_179:
	s_delay_alu instid0(SALU_CYCLE_1)
	s_and_not1_b32 vcc_lo, exec_lo, s31
	s_cbranch_vccnz .LBB103_181
; %bb.180:
	s_wait_loadcnt 0x0
	global_load_u16 v8, v[10:11], off
.LBB103_181:
	s_mov_b32 s31, 0
.LBB103_182:
	s_delay_alu instid0(SALU_CYCLE_1)
	s_and_not1_b32 vcc_lo, exec_lo, s31
	s_cbranch_vccnz .LBB103_188
; %bb.183:
	global_load_u8 v1, v[10:11], off
	s_mov_b32 s42, 0
	s_mov_b32 s31, exec_lo
	s_wait_loadcnt 0x0
	v_cmpx_lt_i16_e32 0x7f, v1
	s_xor_b32 s31, exec_lo, s31
	s_cbranch_execz .LBB103_200
; %bb.184:
	v_cmp_ne_u16_e32 vcc_lo, 0x80, v1
	s_and_b32 s42, vcc_lo, exec_lo
	s_and_not1_saveexec_b32 s31, s31
	s_cbranch_execnz .LBB103_201
.LBB103_185:
	s_or_b32 exec_lo, exec_lo, s31
	v_mov_b32_e32 v8, 0
	s_and_saveexec_b32 s31, s42
	s_cbranch_execz .LBB103_187
.LBB103_186:
	v_and_b32_e32 v3, 0xffff, v1
	s_delay_alu instid0(VALU_DEP_1) | instskip(SKIP_1) | instid1(VALU_DEP_2)
	v_dual_lshlrev_b32 v1, 24, v1 :: v_dual_bitop2_b32 v5, 7, v3 bitop3:0x40
	v_bfe_u32 v9, v3, 3, 4
	v_and_b32_e32 v1, 0x80000000, v1
	s_delay_alu instid0(VALU_DEP_3) | instskip(NEXT) | instid1(VALU_DEP_3)
	v_clz_i32_u32_e32 v7, v5
	v_cmp_eq_u32_e32 vcc_lo, 0, v9
	s_delay_alu instid0(VALU_DEP_2) | instskip(NEXT) | instid1(VALU_DEP_1)
	v_min_u32_e32 v7, 32, v7
	v_subrev_nc_u32_e32 v8, 28, v7
	v_sub_nc_u32_e32 v7, 29, v7
	s_delay_alu instid0(VALU_DEP_2) | instskip(NEXT) | instid1(VALU_DEP_2)
	v_lshlrev_b32_e32 v3, v8, v3
	v_cndmask_b32_e32 v7, v9, v7, vcc_lo
	s_delay_alu instid0(VALU_DEP_2) | instskip(NEXT) | instid1(VALU_DEP_1)
	v_and_b32_e32 v3, 7, v3
	v_cndmask_b32_e32 v3, v5, v3, vcc_lo
	s_delay_alu instid0(VALU_DEP_3) | instskip(NEXT) | instid1(VALU_DEP_2)
	v_lshl_add_u32 v5, v7, 23, 0x3b800000
	v_lshlrev_b32_e32 v3, 20, v3
	s_delay_alu instid0(VALU_DEP_1) | instskip(NEXT) | instid1(VALU_DEP_1)
	v_or3_b32 v1, v1, v5, v3
	v_trunc_f32_e32 v1, v1
	s_delay_alu instid0(VALU_DEP_1) | instskip(NEXT) | instid1(VALU_DEP_1)
	v_mul_f32_e64 v3, 0x2f800000, |v1|
	v_floor_f32_e32 v3, v3
	s_delay_alu instid0(VALU_DEP_1) | instskip(SKIP_1) | instid1(VALU_DEP_2)
	v_fma_f32 v3, 0xcf800000, v3, |v1|
	v_ashrrev_i32_e32 v1, 31, v1
	v_cvt_u32_f32_e32 v3, v3
	s_delay_alu instid0(VALU_DEP_1) | instskip(NEXT) | instid1(VALU_DEP_1)
	v_xor_b32_e32 v3, v3, v1
	v_sub_nc_u32_e32 v8, v3, v1
.LBB103_187:
	s_or_b32 exec_lo, exec_lo, s31
.LBB103_188:
	s_mov_b32 s31, -1
.LBB103_189:
	s_mov_b32 s42, 0
.LBB103_190:
	s_delay_alu instid0(SALU_CYCLE_1)
	s_and_b32 vcc_lo, exec_lo, s42
	s_cbranch_vccz .LBB103_223
; %bb.191:
	s_cmp_gt_i32 s30, 22
	s_cbranch_scc0 .LBB103_199
; %bb.192:
	s_cmp_lt_i32 s30, 24
	s_cbranch_scc1 .LBB103_202
; %bb.193:
	s_cmp_gt_i32 s30, 24
	s_cbranch_scc0 .LBB103_203
; %bb.194:
	global_load_u8 v1, v[10:11], off
	s_mov_b32 s42, 0
	s_mov_b32 s31, exec_lo
	s_wait_loadcnt 0x0
	v_cmpx_lt_i16_e32 0x7f, v1
	s_xor_b32 s31, exec_lo, s31
	s_cbranch_execz .LBB103_215
; %bb.195:
	v_cmp_ne_u16_e32 vcc_lo, 0x80, v1
	s_and_b32 s42, vcc_lo, exec_lo
	s_and_not1_saveexec_b32 s31, s31
	s_cbranch_execnz .LBB103_216
.LBB103_196:
	s_or_b32 exec_lo, exec_lo, s31
	v_mov_b32_e32 v8, 0
	s_and_saveexec_b32 s31, s42
	s_cbranch_execz .LBB103_198
.LBB103_197:
	v_and_b32_e32 v3, 0xffff, v1
	s_delay_alu instid0(VALU_DEP_1) | instskip(SKIP_1) | instid1(VALU_DEP_2)
	v_dual_lshlrev_b32 v1, 24, v1 :: v_dual_bitop2_b32 v5, 3, v3 bitop3:0x40
	v_bfe_u32 v9, v3, 2, 5
	v_and_b32_e32 v1, 0x80000000, v1
	s_delay_alu instid0(VALU_DEP_3) | instskip(NEXT) | instid1(VALU_DEP_3)
	v_clz_i32_u32_e32 v7, v5
	v_cmp_eq_u32_e32 vcc_lo, 0, v9
	s_delay_alu instid0(VALU_DEP_2) | instskip(NEXT) | instid1(VALU_DEP_1)
	v_min_u32_e32 v7, 32, v7
	v_subrev_nc_u32_e32 v8, 29, v7
	v_sub_nc_u32_e32 v7, 30, v7
	s_delay_alu instid0(VALU_DEP_2) | instskip(NEXT) | instid1(VALU_DEP_2)
	v_lshlrev_b32_e32 v3, v8, v3
	v_cndmask_b32_e32 v7, v9, v7, vcc_lo
	s_delay_alu instid0(VALU_DEP_2) | instskip(NEXT) | instid1(VALU_DEP_1)
	v_and_b32_e32 v3, 3, v3
	v_cndmask_b32_e32 v3, v5, v3, vcc_lo
	s_delay_alu instid0(VALU_DEP_3) | instskip(NEXT) | instid1(VALU_DEP_2)
	v_lshl_add_u32 v5, v7, 23, 0x37800000
	v_lshlrev_b32_e32 v3, 21, v3
	s_delay_alu instid0(VALU_DEP_1) | instskip(NEXT) | instid1(VALU_DEP_1)
	v_or3_b32 v1, v1, v5, v3
	v_trunc_f32_e32 v1, v1
	s_delay_alu instid0(VALU_DEP_1) | instskip(NEXT) | instid1(VALU_DEP_1)
	v_mul_f32_e64 v3, 0x2f800000, |v1|
	v_floor_f32_e32 v3, v3
	s_delay_alu instid0(VALU_DEP_1) | instskip(SKIP_1) | instid1(VALU_DEP_2)
	v_fma_f32 v3, 0xcf800000, v3, |v1|
	v_ashrrev_i32_e32 v1, 31, v1
	v_cvt_u32_f32_e32 v3, v3
	s_delay_alu instid0(VALU_DEP_1) | instskip(NEXT) | instid1(VALU_DEP_1)
	v_xor_b32_e32 v3, v3, v1
	v_sub_nc_u32_e32 v8, v3, v1
.LBB103_198:
	s_or_b32 exec_lo, exec_lo, s31
	s_mov_b32 s31, 0
	s_branch .LBB103_204
.LBB103_199:
	s_mov_b32 s42, -1
                                        ; implicit-def: $vgpr8
	s_branch .LBB103_210
.LBB103_200:
	s_and_not1_saveexec_b32 s31, s31
	s_cbranch_execz .LBB103_185
.LBB103_201:
	v_cmp_ne_u16_e32 vcc_lo, 0, v1
	s_and_not1_b32 s42, s42, exec_lo
	s_and_b32 s46, vcc_lo, exec_lo
	s_delay_alu instid0(SALU_CYCLE_1)
	s_or_b32 s42, s42, s46
	s_or_b32 exec_lo, exec_lo, s31
	v_mov_b32_e32 v8, 0
	s_and_saveexec_b32 s31, s42
	s_cbranch_execnz .LBB103_186
	s_branch .LBB103_187
.LBB103_202:
	s_mov_b32 s31, -1
                                        ; implicit-def: $vgpr8
	s_branch .LBB103_207
.LBB103_203:
	s_mov_b32 s31, -1
                                        ; implicit-def: $vgpr8
.LBB103_204:
	s_delay_alu instid0(SALU_CYCLE_1)
	s_and_b32 vcc_lo, exec_lo, s31
	s_cbranch_vccz .LBB103_206
; %bb.205:
	global_load_u8 v1, v[10:11], off
	s_wait_loadcnt 0x0
	v_lshlrev_b32_e32 v1, 24, v1
	s_delay_alu instid0(VALU_DEP_1) | instskip(NEXT) | instid1(VALU_DEP_1)
	v_and_b32_e32 v3, 0x7f000000, v1
	v_clz_i32_u32_e32 v5, v3
	v_cmp_ne_u32_e32 vcc_lo, 0, v3
	v_add_nc_u32_e32 v8, 0x1000000, v3
	s_delay_alu instid0(VALU_DEP_3) | instskip(NEXT) | instid1(VALU_DEP_1)
	v_min_u32_e32 v5, 32, v5
	v_sub_nc_u32_e64 v5, v5, 4 clamp
	s_delay_alu instid0(VALU_DEP_1) | instskip(NEXT) | instid1(VALU_DEP_1)
	v_dual_lshlrev_b32 v7, v5, v3 :: v_dual_lshlrev_b32 v5, 23, v5
	v_lshrrev_b32_e32 v7, 4, v7
	s_delay_alu instid0(VALU_DEP_1) | instskip(NEXT) | instid1(VALU_DEP_1)
	v_dual_sub_nc_u32 v5, v7, v5 :: v_dual_ashrrev_i32 v7, 8, v8
	v_add_nc_u32_e32 v5, 0x3c000000, v5
	s_delay_alu instid0(VALU_DEP_1) | instskip(NEXT) | instid1(VALU_DEP_1)
	v_and_or_b32 v5, 0x7f800000, v7, v5
	v_cndmask_b32_e32 v3, 0, v5, vcc_lo
	s_delay_alu instid0(VALU_DEP_1) | instskip(NEXT) | instid1(VALU_DEP_1)
	v_and_or_b32 v1, 0x80000000, v1, v3
	v_trunc_f32_e32 v1, v1
	s_delay_alu instid0(VALU_DEP_1) | instskip(NEXT) | instid1(VALU_DEP_1)
	v_mul_f32_e64 v3, 0x2f800000, |v1|
	v_floor_f32_e32 v3, v3
	s_delay_alu instid0(VALU_DEP_1) | instskip(SKIP_1) | instid1(VALU_DEP_2)
	v_fma_f32 v3, 0xcf800000, v3, |v1|
	v_ashrrev_i32_e32 v1, 31, v1
	v_cvt_u32_f32_e32 v3, v3
	s_delay_alu instid0(VALU_DEP_1) | instskip(NEXT) | instid1(VALU_DEP_1)
	v_xor_b32_e32 v3, v3, v1
	v_sub_nc_u32_e32 v8, v3, v1
.LBB103_206:
	s_mov_b32 s31, 0
.LBB103_207:
	s_delay_alu instid0(SALU_CYCLE_1)
	s_and_not1_b32 vcc_lo, exec_lo, s31
	s_cbranch_vccnz .LBB103_209
; %bb.208:
	global_load_u8 v1, v[10:11], off
	s_wait_loadcnt 0x0
	v_lshlrev_b32_e32 v3, 25, v1
	v_lshlrev_b16 v1, 8, v1
	s_delay_alu instid0(VALU_DEP_1) | instskip(SKIP_1) | instid1(VALU_DEP_2)
	v_and_or_b32 v7, 0x7f00, v1, 0.5
	v_bfe_i32 v1, v1, 0, 16
	v_add_f32_e32 v7, -0.5, v7
	v_lshrrev_b32_e32 v5, 4, v3
	v_cmp_gt_u32_e32 vcc_lo, 0x8000000, v3
	s_delay_alu instid0(VALU_DEP_2) | instskip(NEXT) | instid1(VALU_DEP_1)
	v_or_b32_e32 v5, 0x70000000, v5
	v_mul_f32_e32 v5, 0x7800000, v5
	s_delay_alu instid0(VALU_DEP_1) | instskip(NEXT) | instid1(VALU_DEP_1)
	v_cndmask_b32_e32 v3, v5, v7, vcc_lo
	v_and_or_b32 v1, 0x80000000, v1, v3
	s_delay_alu instid0(VALU_DEP_1) | instskip(NEXT) | instid1(VALU_DEP_1)
	v_trunc_f32_e32 v1, v1
	v_mul_f32_e64 v3, 0x2f800000, |v1|
	s_delay_alu instid0(VALU_DEP_1) | instskip(NEXT) | instid1(VALU_DEP_1)
	v_floor_f32_e32 v3, v3
	v_fma_f32 v3, 0xcf800000, v3, |v1|
	v_ashrrev_i32_e32 v1, 31, v1
	s_delay_alu instid0(VALU_DEP_2) | instskip(NEXT) | instid1(VALU_DEP_1)
	v_cvt_u32_f32_e32 v3, v3
	v_xor_b32_e32 v3, v3, v1
	s_delay_alu instid0(VALU_DEP_1)
	v_sub_nc_u32_e32 v8, v3, v1
.LBB103_209:
	s_mov_b32 s42, 0
	s_mov_b32 s31, -1
.LBB103_210:
	s_and_not1_b32 vcc_lo, exec_lo, s42
	s_cbranch_vccnz .LBB103_223
; %bb.211:
	s_cmp_gt_i32 s30, 14
	s_cbranch_scc0 .LBB103_214
; %bb.212:
	s_cmp_eq_u32 s30, 15
	s_cbranch_scc0 .LBB103_217
; %bb.213:
	global_load_u16 v1, v[10:11], off
	s_mov_b32 s31, -1
	s_mov_b32 s29, 0
	s_wait_loadcnt 0x0
	v_lshlrev_b32_e32 v1, 16, v1
	s_delay_alu instid0(VALU_DEP_1) | instskip(NEXT) | instid1(VALU_DEP_1)
	v_trunc_f32_e32 v1, v1
	v_mul_f32_e64 v3, 0x2f800000, |v1|
	s_delay_alu instid0(VALU_DEP_1) | instskip(NEXT) | instid1(VALU_DEP_1)
	v_floor_f32_e32 v3, v3
	v_fma_f32 v3, 0xcf800000, v3, |v1|
	v_ashrrev_i32_e32 v1, 31, v1
	s_delay_alu instid0(VALU_DEP_2) | instskip(NEXT) | instid1(VALU_DEP_1)
	v_cvt_u32_f32_e32 v3, v3
	v_xor_b32_e32 v3, v3, v1
	s_delay_alu instid0(VALU_DEP_1)
	v_sub_nc_u32_e32 v8, v3, v1
	s_branch .LBB103_218
.LBB103_214:
	s_mov_b32 s42, -1
                                        ; implicit-def: $vgpr8
	s_branch .LBB103_219
.LBB103_215:
	s_and_not1_saveexec_b32 s31, s31
	s_cbranch_execz .LBB103_196
.LBB103_216:
	v_cmp_ne_u16_e32 vcc_lo, 0, v1
	s_and_not1_b32 s42, s42, exec_lo
	s_and_b32 s46, vcc_lo, exec_lo
	s_delay_alu instid0(SALU_CYCLE_1)
	s_or_b32 s42, s42, s46
	s_or_b32 exec_lo, exec_lo, s31
	v_mov_b32_e32 v8, 0
	s_and_saveexec_b32 s31, s42
	s_cbranch_execnz .LBB103_197
	s_branch .LBB103_198
.LBB103_217:
	s_mov_b32 s29, -1
                                        ; implicit-def: $vgpr8
.LBB103_218:
	s_mov_b32 s42, 0
.LBB103_219:
	s_delay_alu instid0(SALU_CYCLE_1)
	s_and_b32 vcc_lo, exec_lo, s42
	s_cbranch_vccz .LBB103_223
; %bb.220:
	s_cmp_eq_u32 s30, 11
	s_cbranch_scc0 .LBB103_222
; %bb.221:
	global_load_u8 v1, v[10:11], off
	s_mov_b32 s29, 0
	s_mov_b32 s31, -1
	s_wait_loadcnt 0x0
	v_cmp_ne_u16_e32 vcc_lo, 0, v1
	v_cndmask_b32_e64 v8, 0, 1, vcc_lo
	s_branch .LBB103_223
.LBB103_222:
	s_mov_b32 s29, -1
                                        ; implicit-def: $vgpr8
.LBB103_223:
	s_branch .LBB103_31
.LBB103_224:
	s_and_b32 s0, 0xffff, s0
	s_delay_alu instid0(SALU_CYCLE_1)
	s_cmp_lt_i32 s0, 5
	s_cbranch_scc1 .LBB103_229
; %bb.225:
	s_cmp_lt_i32 s0, 8
	s_cbranch_scc1 .LBB103_230
; %bb.226:
	s_cmp_lt_i32 s0, 9
	s_cbranch_scc1 .LBB103_231
; %bb.227:
	s_cmp_gt_i32 s0, 9
	s_cbranch_scc0 .LBB103_232
; %bb.228:
	s_wait_loadcnt 0x0
	global_load_b64 v[8:9], v[10:11], off
	s_mov_b32 s30, 0
	s_wait_loadcnt 0x0
	v_trunc_f64_e32 v[8:9], v[8:9]
	s_delay_alu instid0(VALU_DEP_1) | instskip(NEXT) | instid1(VALU_DEP_1)
	v_ldexp_f64 v[12:13], v[8:9], 0xffffffe0
	v_floor_f64_e32 v[12:13], v[12:13]
	s_delay_alu instid0(VALU_DEP_1) | instskip(NEXT) | instid1(VALU_DEP_1)
	v_fmamk_f64 v[8:9], v[12:13], 0xc1f00000, v[8:9]
	v_cvt_u32_f64_e32 v8, v[8:9]
	s_branch .LBB103_233
.LBB103_229:
	s_mov_b32 s30, -1
                                        ; implicit-def: $vgpr8
	s_branch .LBB103_251
.LBB103_230:
	s_mov_b32 s30, -1
                                        ; implicit-def: $vgpr8
	s_branch .LBB103_239
.LBB103_231:
	s_mov_b32 s30, -1
                                        ; implicit-def: $vgpr8
	s_branch .LBB103_236
.LBB103_232:
	s_mov_b32 s30, -1
                                        ; implicit-def: $vgpr8
.LBB103_233:
	s_delay_alu instid0(SALU_CYCLE_1)
	s_and_not1_b32 vcc_lo, exec_lo, s30
	s_cbranch_vccnz .LBB103_235
; %bb.234:
	global_load_b32 v1, v[10:11], off
	s_wait_loadcnt 0x0
	v_trunc_f32_e32 v1, v1
	s_delay_alu instid0(VALU_DEP_1) | instskip(NEXT) | instid1(VALU_DEP_1)
	v_mul_f32_e64 v3, 0x2f800000, |v1|
	v_floor_f32_e32 v3, v3
	s_delay_alu instid0(VALU_DEP_1) | instskip(SKIP_1) | instid1(VALU_DEP_2)
	v_fma_f32 v3, 0xcf800000, v3, |v1|
	v_ashrrev_i32_e32 v1, 31, v1
	v_cvt_u32_f32_e32 v3, v3
	s_delay_alu instid0(VALU_DEP_1) | instskip(NEXT) | instid1(VALU_DEP_1)
	v_xor_b32_e32 v3, v3, v1
	v_sub_nc_u32_e32 v8, v3, v1
.LBB103_235:
	s_mov_b32 s30, 0
.LBB103_236:
	s_delay_alu instid0(SALU_CYCLE_1)
	s_and_not1_b32 vcc_lo, exec_lo, s30
	s_cbranch_vccnz .LBB103_238
; %bb.237:
	global_load_b32 v1, v[10:11], off
	s_wait_loadcnt 0x0
	v_cvt_f32_f16_e32 v1, v1
	s_delay_alu instid0(VALU_DEP_1)
	v_cvt_i32_f32_e32 v8, v1
.LBB103_238:
	s_mov_b32 s30, 0
.LBB103_239:
	s_delay_alu instid0(SALU_CYCLE_1)
	s_and_not1_b32 vcc_lo, exec_lo, s30
	s_cbranch_vccnz .LBB103_250
; %bb.240:
	s_cmp_lt_i32 s0, 6
	s_cbranch_scc1 .LBB103_243
; %bb.241:
	s_cmp_gt_i32 s0, 6
	s_cbranch_scc0 .LBB103_244
; %bb.242:
	s_wait_loadcnt 0x0
	global_load_b64 v[8:9], v[10:11], off
	s_mov_b32 s30, 0
	s_wait_loadcnt 0x0
	v_trunc_f64_e32 v[8:9], v[8:9]
	s_delay_alu instid0(VALU_DEP_1) | instskip(NEXT) | instid1(VALU_DEP_1)
	v_ldexp_f64 v[12:13], v[8:9], 0xffffffe0
	v_floor_f64_e32 v[12:13], v[12:13]
	s_delay_alu instid0(VALU_DEP_1) | instskip(NEXT) | instid1(VALU_DEP_1)
	v_fmamk_f64 v[8:9], v[12:13], 0xc1f00000, v[8:9]
	v_cvt_u32_f64_e32 v8, v[8:9]
	s_branch .LBB103_245
.LBB103_243:
	s_mov_b32 s30, -1
                                        ; implicit-def: $vgpr8
	s_branch .LBB103_248
.LBB103_244:
	s_mov_b32 s30, -1
                                        ; implicit-def: $vgpr8
.LBB103_245:
	s_delay_alu instid0(SALU_CYCLE_1)
	s_and_not1_b32 vcc_lo, exec_lo, s30
	s_cbranch_vccnz .LBB103_247
; %bb.246:
	global_load_b32 v1, v[10:11], off
	s_wait_loadcnt 0x0
	v_trunc_f32_e32 v1, v1
	s_delay_alu instid0(VALU_DEP_1) | instskip(NEXT) | instid1(VALU_DEP_1)
	v_mul_f32_e64 v3, 0x2f800000, |v1|
	v_floor_f32_e32 v3, v3
	s_delay_alu instid0(VALU_DEP_1) | instskip(SKIP_1) | instid1(VALU_DEP_2)
	v_fma_f32 v3, 0xcf800000, v3, |v1|
	v_ashrrev_i32_e32 v1, 31, v1
	v_cvt_u32_f32_e32 v3, v3
	s_delay_alu instid0(VALU_DEP_1) | instskip(NEXT) | instid1(VALU_DEP_1)
	v_xor_b32_e32 v3, v3, v1
	v_sub_nc_u32_e32 v8, v3, v1
.LBB103_247:
	s_mov_b32 s30, 0
.LBB103_248:
	s_delay_alu instid0(SALU_CYCLE_1)
	s_and_not1_b32 vcc_lo, exec_lo, s30
	s_cbranch_vccnz .LBB103_250
; %bb.249:
	global_load_u16 v1, v[10:11], off
	s_wait_loadcnt 0x0
	v_cvt_f32_f16_e32 v1, v1
	s_delay_alu instid0(VALU_DEP_1)
	v_cvt_i32_f32_e32 v8, v1
.LBB103_250:
	s_mov_b32 s30, 0
.LBB103_251:
	s_delay_alu instid0(SALU_CYCLE_1)
	s_and_not1_b32 vcc_lo, exec_lo, s30
	s_cbranch_vccnz .LBB103_271
; %bb.252:
	s_cmp_lt_i32 s0, 2
	s_cbranch_scc1 .LBB103_256
; %bb.253:
	s_cmp_lt_i32 s0, 3
	s_cbranch_scc1 .LBB103_257
; %bb.254:
	s_cmp_gt_i32 s0, 3
	s_cbranch_scc0 .LBB103_258
; %bb.255:
	s_wait_loadcnt 0x0
	global_load_b64 v[8:9], v[10:11], off
	s_mov_b32 s30, 0
	s_branch .LBB103_259
.LBB103_256:
	s_mov_b32 s30, -1
                                        ; implicit-def: $vgpr8
	s_branch .LBB103_265
.LBB103_257:
	s_mov_b32 s30, -1
                                        ; implicit-def: $vgpr8
	s_branch .LBB103_262
.LBB103_258:
	s_mov_b32 s30, -1
                                        ; implicit-def: $vgpr8
.LBB103_259:
	s_delay_alu instid0(SALU_CYCLE_1)
	s_and_not1_b32 vcc_lo, exec_lo, s30
	s_cbranch_vccnz .LBB103_261
; %bb.260:
	s_wait_loadcnt 0x0
	global_load_b32 v8, v[10:11], off
.LBB103_261:
	s_mov_b32 s30, 0
.LBB103_262:
	s_delay_alu instid0(SALU_CYCLE_1)
	s_and_not1_b32 vcc_lo, exec_lo, s30
	s_cbranch_vccnz .LBB103_264
; %bb.263:
	s_wait_loadcnt 0x0
	global_load_u16 v8, v[10:11], off
.LBB103_264:
	s_mov_b32 s30, 0
.LBB103_265:
	s_delay_alu instid0(SALU_CYCLE_1)
	s_and_not1_b32 vcc_lo, exec_lo, s30
	s_cbranch_vccnz .LBB103_271
; %bb.266:
	s_cmp_gt_i32 s0, 0
	s_mov_b32 s0, 0
	s_cbranch_scc0 .LBB103_268
; %bb.267:
	s_wait_loadcnt 0x0
	global_load_u8 v8, v[10:11], off
	s_branch .LBB103_269
.LBB103_268:
	s_mov_b32 s0, -1
                                        ; implicit-def: $vgpr8
.LBB103_269:
	s_delay_alu instid0(SALU_CYCLE_1)
	s_and_not1_b32 vcc_lo, exec_lo, s0
	s_cbranch_vccnz .LBB103_271
; %bb.270:
	s_wait_loadcnt 0x0
	global_load_u8 v8, v[10:11], off
.LBB103_271:
	s_branch .LBB103_32
.LBB103_272:
	s_mov_b32 s0, 0
	s_mov_b32 s30, 0
	s_branch .LBB103_509
.LBB103_273:
	s_mov_b32 s30, -1
.LBB103_274:
	s_mov_b32 s31, 0
                                        ; implicit-def: $vgpr10
.LBB103_275:
	s_and_b32 vcc_lo, exec_lo, s42
	s_cbranch_vccz .LBB103_279
; %bb.276:
	s_cmp_eq_u32 s0, 44
	s_cbranch_scc0 .LBB103_278
; %bb.277:
	global_load_u8 v1, v[6:7], off
	s_mov_b32 s30, 0
	s_mov_b32 s31, -1
	s_wait_loadcnt 0x0
	v_lshlrev_b32_e32 v3, 23, v1
	v_cmp_ne_u32_e32 vcc_lo, 0, v1
	s_delay_alu instid0(VALU_DEP_2) | instskip(NEXT) | instid1(VALU_DEP_1)
	v_trunc_f32_e32 v3, v3
	v_mul_f32_e64 v5, 0x2f800000, |v3|
	s_delay_alu instid0(VALU_DEP_1) | instskip(NEXT) | instid1(VALU_DEP_1)
	v_floor_f32_e32 v5, v5
	v_fma_f32 v5, 0xcf800000, v5, |v3|
	v_ashrrev_i32_e32 v3, 31, v3
	s_delay_alu instid0(VALU_DEP_2) | instskip(NEXT) | instid1(VALU_DEP_1)
	v_cvt_u32_f32_e32 v5, v5
	v_xor_b32_e32 v5, v5, v3
	s_delay_alu instid0(VALU_DEP_1) | instskip(NEXT) | instid1(VALU_DEP_1)
	v_sub_nc_u32_e32 v3, v5, v3
	v_cndmask_b32_e32 v10, 0, v3, vcc_lo
	s_branch .LBB103_279
.LBB103_278:
	s_mov_b32 s30, -1
                                        ; implicit-def: $vgpr10
.LBB103_279:
	s_mov_b32 s42, 0
.LBB103_280:
	s_delay_alu instid0(SALU_CYCLE_1)
	s_and_b32 vcc_lo, exec_lo, s42
	s_cbranch_vccz .LBB103_284
; %bb.281:
	s_cmp_eq_u32 s0, 29
	s_cbranch_scc0 .LBB103_283
; %bb.282:
	global_load_b64 v[10:11], v[6:7], off
	s_mov_b32 s31, -1
	s_mov_b32 s30, 0
	s_branch .LBB103_284
.LBB103_283:
	s_mov_b32 s30, -1
                                        ; implicit-def: $vgpr10
.LBB103_284:
	s_mov_b32 s42, 0
.LBB103_285:
	s_delay_alu instid0(SALU_CYCLE_1)
	s_and_b32 vcc_lo, exec_lo, s42
	s_cbranch_vccz .LBB103_301
; %bb.286:
	s_cmp_lt_i32 s0, 27
	s_cbranch_scc1 .LBB103_289
; %bb.287:
	s_cmp_gt_i32 s0, 27
	s_cbranch_scc0 .LBB103_290
; %bb.288:
	s_wait_loadcnt 0x0
	global_load_b32 v10, v[6:7], off
	s_mov_b32 s31, 0
	s_branch .LBB103_291
.LBB103_289:
	s_mov_b32 s31, -1
                                        ; implicit-def: $vgpr10
	s_branch .LBB103_294
.LBB103_290:
	s_mov_b32 s31, -1
                                        ; implicit-def: $vgpr10
.LBB103_291:
	s_delay_alu instid0(SALU_CYCLE_1)
	s_and_not1_b32 vcc_lo, exec_lo, s31
	s_cbranch_vccnz .LBB103_293
; %bb.292:
	s_wait_loadcnt 0x0
	global_load_u16 v10, v[6:7], off
.LBB103_293:
	s_mov_b32 s31, 0
.LBB103_294:
	s_delay_alu instid0(SALU_CYCLE_1)
	s_and_not1_b32 vcc_lo, exec_lo, s31
	s_cbranch_vccnz .LBB103_300
; %bb.295:
	global_load_u8 v1, v[6:7], off
	s_mov_b32 s42, 0
	s_mov_b32 s31, exec_lo
	s_wait_loadcnt 0x0
	v_cmpx_lt_i16_e32 0x7f, v1
	s_xor_b32 s31, exec_lo, s31
	s_cbranch_execz .LBB103_312
; %bb.296:
	v_cmp_ne_u16_e32 vcc_lo, 0x80, v1
	s_and_b32 s42, vcc_lo, exec_lo
	s_and_not1_saveexec_b32 s31, s31
	s_cbranch_execnz .LBB103_313
.LBB103_297:
	s_or_b32 exec_lo, exec_lo, s31
	v_mov_b32_e32 v10, 0
	s_and_saveexec_b32 s31, s42
	s_cbranch_execz .LBB103_299
.LBB103_298:
	v_and_b32_e32 v3, 0xffff, v1
	s_delay_alu instid0(VALU_DEP_1) | instskip(SKIP_1) | instid1(VALU_DEP_2)
	v_and_b32_e32 v5, 7, v3
	v_bfe_u32 v11, v3, 3, 4
	v_clz_i32_u32_e32 v9, v5
	s_delay_alu instid0(VALU_DEP_2) | instskip(NEXT) | instid1(VALU_DEP_2)
	v_cmp_eq_u32_e32 vcc_lo, 0, v11
	v_min_u32_e32 v9, 32, v9
	s_delay_alu instid0(VALU_DEP_1) | instskip(NEXT) | instid1(VALU_DEP_1)
	v_subrev_nc_u32_e32 v10, 28, v9
	v_dual_lshlrev_b32 v3, v10, v3 :: v_dual_sub_nc_u32 v9, 29, v9
	s_delay_alu instid0(VALU_DEP_1) | instskip(NEXT) | instid1(VALU_DEP_1)
	v_dual_lshlrev_b32 v1, 24, v1 :: v_dual_bitop2_b32 v3, 7, v3 bitop3:0x40
	v_dual_cndmask_b32 v3, v5, v3, vcc_lo :: v_dual_cndmask_b32 v9, v11, v9, vcc_lo
	s_delay_alu instid0(VALU_DEP_2) | instskip(NEXT) | instid1(VALU_DEP_2)
	v_and_b32_e32 v1, 0x80000000, v1
	v_lshlrev_b32_e32 v3, 20, v3
	s_delay_alu instid0(VALU_DEP_3) | instskip(NEXT) | instid1(VALU_DEP_1)
	v_lshl_add_u32 v5, v9, 23, 0x3b800000
	v_or3_b32 v1, v1, v5, v3
	s_delay_alu instid0(VALU_DEP_1) | instskip(NEXT) | instid1(VALU_DEP_1)
	v_trunc_f32_e32 v1, v1
	v_mul_f32_e64 v3, 0x2f800000, |v1|
	s_delay_alu instid0(VALU_DEP_1) | instskip(NEXT) | instid1(VALU_DEP_1)
	v_floor_f32_e32 v3, v3
	v_fma_f32 v3, 0xcf800000, v3, |v1|
	v_ashrrev_i32_e32 v1, 31, v1
	s_delay_alu instid0(VALU_DEP_2) | instskip(NEXT) | instid1(VALU_DEP_1)
	v_cvt_u32_f32_e32 v3, v3
	v_xor_b32_e32 v3, v3, v1
	s_delay_alu instid0(VALU_DEP_1)
	v_sub_nc_u32_e32 v10, v3, v1
.LBB103_299:
	s_or_b32 exec_lo, exec_lo, s31
.LBB103_300:
	s_mov_b32 s31, -1
.LBB103_301:
	s_mov_b32 s42, 0
.LBB103_302:
	s_delay_alu instid0(SALU_CYCLE_1)
	s_and_b32 vcc_lo, exec_lo, s42
	s_cbranch_vccz .LBB103_335
; %bb.303:
	s_cmp_gt_i32 s0, 22
	s_cbranch_scc0 .LBB103_311
; %bb.304:
	s_cmp_lt_i32 s0, 24
	s_cbranch_scc1 .LBB103_314
; %bb.305:
	s_cmp_gt_i32 s0, 24
	s_cbranch_scc0 .LBB103_315
; %bb.306:
	global_load_u8 v1, v[6:7], off
	s_mov_b32 s42, 0
	s_mov_b32 s31, exec_lo
	s_wait_loadcnt 0x0
	v_cmpx_lt_i16_e32 0x7f, v1
	s_xor_b32 s31, exec_lo, s31
	s_cbranch_execz .LBB103_327
; %bb.307:
	v_cmp_ne_u16_e32 vcc_lo, 0x80, v1
	s_and_b32 s42, vcc_lo, exec_lo
	s_and_not1_saveexec_b32 s31, s31
	s_cbranch_execnz .LBB103_328
.LBB103_308:
	s_or_b32 exec_lo, exec_lo, s31
	v_mov_b32_e32 v10, 0
	s_and_saveexec_b32 s31, s42
	s_cbranch_execz .LBB103_310
.LBB103_309:
	v_and_b32_e32 v3, 0xffff, v1
	s_delay_alu instid0(VALU_DEP_1) | instskip(SKIP_1) | instid1(VALU_DEP_2)
	v_and_b32_e32 v5, 3, v3
	v_bfe_u32 v11, v3, 2, 5
	v_clz_i32_u32_e32 v9, v5
	s_delay_alu instid0(VALU_DEP_2) | instskip(NEXT) | instid1(VALU_DEP_2)
	v_cmp_eq_u32_e32 vcc_lo, 0, v11
	v_min_u32_e32 v9, 32, v9
	s_delay_alu instid0(VALU_DEP_1) | instskip(NEXT) | instid1(VALU_DEP_1)
	v_subrev_nc_u32_e32 v10, 29, v9
	v_dual_lshlrev_b32 v3, v10, v3 :: v_dual_sub_nc_u32 v9, 30, v9
	s_delay_alu instid0(VALU_DEP_1) | instskip(NEXT) | instid1(VALU_DEP_1)
	v_dual_lshlrev_b32 v1, 24, v1 :: v_dual_bitop2_b32 v3, 3, v3 bitop3:0x40
	v_dual_cndmask_b32 v3, v5, v3, vcc_lo :: v_dual_cndmask_b32 v9, v11, v9, vcc_lo
	s_delay_alu instid0(VALU_DEP_2) | instskip(NEXT) | instid1(VALU_DEP_2)
	v_and_b32_e32 v1, 0x80000000, v1
	v_lshlrev_b32_e32 v3, 21, v3
	s_delay_alu instid0(VALU_DEP_3) | instskip(NEXT) | instid1(VALU_DEP_1)
	v_lshl_add_u32 v5, v9, 23, 0x37800000
	v_or3_b32 v1, v1, v5, v3
	s_delay_alu instid0(VALU_DEP_1) | instskip(NEXT) | instid1(VALU_DEP_1)
	v_trunc_f32_e32 v1, v1
	v_mul_f32_e64 v3, 0x2f800000, |v1|
	s_delay_alu instid0(VALU_DEP_1) | instskip(NEXT) | instid1(VALU_DEP_1)
	v_floor_f32_e32 v3, v3
	v_fma_f32 v3, 0xcf800000, v3, |v1|
	v_ashrrev_i32_e32 v1, 31, v1
	s_delay_alu instid0(VALU_DEP_2) | instskip(NEXT) | instid1(VALU_DEP_1)
	v_cvt_u32_f32_e32 v3, v3
	v_xor_b32_e32 v3, v3, v1
	s_delay_alu instid0(VALU_DEP_1)
	v_sub_nc_u32_e32 v10, v3, v1
.LBB103_310:
	s_or_b32 exec_lo, exec_lo, s31
	s_mov_b32 s31, 0
	s_branch .LBB103_316
.LBB103_311:
	s_mov_b32 s42, -1
                                        ; implicit-def: $vgpr10
	s_branch .LBB103_322
.LBB103_312:
	s_and_not1_saveexec_b32 s31, s31
	s_cbranch_execz .LBB103_297
.LBB103_313:
	v_cmp_ne_u16_e32 vcc_lo, 0, v1
	s_and_not1_b32 s42, s42, exec_lo
	s_and_b32 s46, vcc_lo, exec_lo
	s_delay_alu instid0(SALU_CYCLE_1)
	s_or_b32 s42, s42, s46
	s_or_b32 exec_lo, exec_lo, s31
	v_mov_b32_e32 v10, 0
	s_and_saveexec_b32 s31, s42
	s_cbranch_execnz .LBB103_298
	s_branch .LBB103_299
.LBB103_314:
	s_mov_b32 s31, -1
                                        ; implicit-def: $vgpr10
	s_branch .LBB103_319
.LBB103_315:
	s_mov_b32 s31, -1
                                        ; implicit-def: $vgpr10
.LBB103_316:
	s_delay_alu instid0(SALU_CYCLE_1)
	s_and_b32 vcc_lo, exec_lo, s31
	s_cbranch_vccz .LBB103_318
; %bb.317:
	global_load_u8 v1, v[6:7], off
	s_wait_loadcnt 0x0
	v_lshlrev_b32_e32 v1, 24, v1
	s_delay_alu instid0(VALU_DEP_1) | instskip(NEXT) | instid1(VALU_DEP_1)
	v_and_b32_e32 v3, 0x7f000000, v1
	v_clz_i32_u32_e32 v5, v3
	v_cmp_ne_u32_e32 vcc_lo, 0, v3
	v_add_nc_u32_e32 v10, 0x1000000, v3
	s_delay_alu instid0(VALU_DEP_3) | instskip(NEXT) | instid1(VALU_DEP_1)
	v_min_u32_e32 v5, 32, v5
	v_sub_nc_u32_e64 v5, v5, 4 clamp
	s_delay_alu instid0(VALU_DEP_1) | instskip(NEXT) | instid1(VALU_DEP_1)
	v_dual_lshlrev_b32 v9, v5, v3 :: v_dual_lshlrev_b32 v5, 23, v5
	v_lshrrev_b32_e32 v9, 4, v9
	s_delay_alu instid0(VALU_DEP_1) | instskip(NEXT) | instid1(VALU_DEP_1)
	v_dual_sub_nc_u32 v5, v9, v5 :: v_dual_ashrrev_i32 v9, 8, v10
	v_add_nc_u32_e32 v5, 0x3c000000, v5
	s_delay_alu instid0(VALU_DEP_1) | instskip(NEXT) | instid1(VALU_DEP_1)
	v_and_or_b32 v5, 0x7f800000, v9, v5
	v_cndmask_b32_e32 v3, 0, v5, vcc_lo
	s_delay_alu instid0(VALU_DEP_1) | instskip(NEXT) | instid1(VALU_DEP_1)
	v_and_or_b32 v1, 0x80000000, v1, v3
	v_trunc_f32_e32 v1, v1
	s_delay_alu instid0(VALU_DEP_1) | instskip(NEXT) | instid1(VALU_DEP_1)
	v_mul_f32_e64 v3, 0x2f800000, |v1|
	v_floor_f32_e32 v3, v3
	s_delay_alu instid0(VALU_DEP_1) | instskip(SKIP_1) | instid1(VALU_DEP_2)
	v_fma_f32 v3, 0xcf800000, v3, |v1|
	v_ashrrev_i32_e32 v1, 31, v1
	v_cvt_u32_f32_e32 v3, v3
	s_delay_alu instid0(VALU_DEP_1) | instskip(NEXT) | instid1(VALU_DEP_1)
	v_xor_b32_e32 v3, v3, v1
	v_sub_nc_u32_e32 v10, v3, v1
.LBB103_318:
	s_mov_b32 s31, 0
.LBB103_319:
	s_delay_alu instid0(SALU_CYCLE_1)
	s_and_not1_b32 vcc_lo, exec_lo, s31
	s_cbranch_vccnz .LBB103_321
; %bb.320:
	global_load_u8 v1, v[6:7], off
	s_wait_loadcnt 0x0
	v_lshlrev_b32_e32 v3, 25, v1
	v_lshlrev_b16 v1, 8, v1
	s_delay_alu instid0(VALU_DEP_2) | instskip(NEXT) | instid1(VALU_DEP_2)
	v_cmp_gt_u32_e32 vcc_lo, 0x8000000, v3
	v_and_or_b32 v9, 0x7f00, v1, 0.5
	v_lshrrev_b32_e32 v5, 4, v3
	v_bfe_i32 v1, v1, 0, 16
	s_delay_alu instid0(VALU_DEP_3) | instskip(NEXT) | instid1(VALU_DEP_3)
	v_add_f32_e32 v9, -0.5, v9
	v_or_b32_e32 v5, 0x70000000, v5
	s_delay_alu instid0(VALU_DEP_1) | instskip(NEXT) | instid1(VALU_DEP_1)
	v_mul_f32_e32 v5, 0x7800000, v5
	v_cndmask_b32_e32 v3, v5, v9, vcc_lo
	s_delay_alu instid0(VALU_DEP_1) | instskip(NEXT) | instid1(VALU_DEP_1)
	v_and_or_b32 v1, 0x80000000, v1, v3
	v_trunc_f32_e32 v1, v1
	s_delay_alu instid0(VALU_DEP_1) | instskip(NEXT) | instid1(VALU_DEP_1)
	v_mul_f32_e64 v3, 0x2f800000, |v1|
	v_floor_f32_e32 v3, v3
	s_delay_alu instid0(VALU_DEP_1) | instskip(SKIP_1) | instid1(VALU_DEP_2)
	v_fma_f32 v3, 0xcf800000, v3, |v1|
	v_ashrrev_i32_e32 v1, 31, v1
	v_cvt_u32_f32_e32 v3, v3
	s_delay_alu instid0(VALU_DEP_1) | instskip(NEXT) | instid1(VALU_DEP_1)
	v_xor_b32_e32 v3, v3, v1
	v_sub_nc_u32_e32 v10, v3, v1
.LBB103_321:
	s_mov_b32 s42, 0
	s_mov_b32 s31, -1
.LBB103_322:
	s_and_not1_b32 vcc_lo, exec_lo, s42
	s_cbranch_vccnz .LBB103_335
; %bb.323:
	s_cmp_gt_i32 s0, 14
	s_cbranch_scc0 .LBB103_326
; %bb.324:
	s_cmp_eq_u32 s0, 15
	s_cbranch_scc0 .LBB103_329
; %bb.325:
	global_load_u16 v1, v[6:7], off
	s_mov_b32 s31, -1
	s_mov_b32 s30, 0
	s_wait_loadcnt 0x0
	v_lshlrev_b32_e32 v1, 16, v1
	s_delay_alu instid0(VALU_DEP_1) | instskip(NEXT) | instid1(VALU_DEP_1)
	v_trunc_f32_e32 v1, v1
	v_mul_f32_e64 v3, 0x2f800000, |v1|
	s_delay_alu instid0(VALU_DEP_1) | instskip(NEXT) | instid1(VALU_DEP_1)
	v_floor_f32_e32 v3, v3
	v_fma_f32 v3, 0xcf800000, v3, |v1|
	v_ashrrev_i32_e32 v1, 31, v1
	s_delay_alu instid0(VALU_DEP_2) | instskip(NEXT) | instid1(VALU_DEP_1)
	v_cvt_u32_f32_e32 v3, v3
	v_xor_b32_e32 v3, v3, v1
	s_delay_alu instid0(VALU_DEP_1)
	v_sub_nc_u32_e32 v10, v3, v1
	s_branch .LBB103_330
.LBB103_326:
	s_mov_b32 s42, -1
                                        ; implicit-def: $vgpr10
	s_branch .LBB103_331
.LBB103_327:
	s_and_not1_saveexec_b32 s31, s31
	s_cbranch_execz .LBB103_308
.LBB103_328:
	v_cmp_ne_u16_e32 vcc_lo, 0, v1
	s_and_not1_b32 s42, s42, exec_lo
	s_and_b32 s46, vcc_lo, exec_lo
	s_delay_alu instid0(SALU_CYCLE_1)
	s_or_b32 s42, s42, s46
	s_or_b32 exec_lo, exec_lo, s31
	v_mov_b32_e32 v10, 0
	s_and_saveexec_b32 s31, s42
	s_cbranch_execnz .LBB103_309
	s_branch .LBB103_310
.LBB103_329:
	s_mov_b32 s30, -1
                                        ; implicit-def: $vgpr10
.LBB103_330:
	s_mov_b32 s42, 0
.LBB103_331:
	s_delay_alu instid0(SALU_CYCLE_1)
	s_and_b32 vcc_lo, exec_lo, s42
	s_cbranch_vccz .LBB103_335
; %bb.332:
	s_cmp_eq_u32 s0, 11
	s_cbranch_scc0 .LBB103_334
; %bb.333:
	global_load_u8 v1, v[6:7], off
	s_mov_b32 s30, 0
	s_mov_b32 s31, -1
	s_wait_loadcnt 0x0
	v_cmp_ne_u16_e32 vcc_lo, 0, v1
	v_cndmask_b32_e64 v10, 0, 1, vcc_lo
	s_branch .LBB103_335
.LBB103_334:
	s_mov_b32 s30, -1
                                        ; implicit-def: $vgpr10
.LBB103_335:
	s_mov_b32 s42, 0
.LBB103_336:
	s_delay_alu instid0(SALU_CYCLE_1)
	s_and_b32 vcc_lo, exec_lo, s42
	s_cbranch_vccz .LBB103_385
; %bb.337:
	s_cmp_lt_i32 s0, 5
	s_cbranch_scc1 .LBB103_342
; %bb.338:
	s_cmp_lt_i32 s0, 8
	s_cbranch_scc1 .LBB103_343
	;; [unrolled: 3-line block ×3, first 2 shown]
; %bb.340:
	s_cmp_gt_i32 s0, 9
	s_cbranch_scc0 .LBB103_345
; %bb.341:
	s_wait_loadcnt 0x0
	global_load_b64 v[10:11], v[6:7], off
	s_mov_b32 s31, 0
	s_wait_loadcnt 0x0
	v_trunc_f64_e32 v[10:11], v[10:11]
	s_delay_alu instid0(VALU_DEP_1) | instskip(NEXT) | instid1(VALU_DEP_1)
	v_ldexp_f64 v[12:13], v[10:11], 0xffffffe0
	v_floor_f64_e32 v[12:13], v[12:13]
	s_delay_alu instid0(VALU_DEP_1) | instskip(NEXT) | instid1(VALU_DEP_1)
	v_fmamk_f64 v[10:11], v[12:13], 0xc1f00000, v[10:11]
	v_cvt_u32_f64_e32 v10, v[10:11]
	s_branch .LBB103_346
.LBB103_342:
	s_mov_b32 s31, -1
                                        ; implicit-def: $vgpr10
	s_branch .LBB103_364
.LBB103_343:
	s_mov_b32 s31, -1
                                        ; implicit-def: $vgpr10
	s_branch .LBB103_352
.LBB103_344:
	s_mov_b32 s31, -1
                                        ; implicit-def: $vgpr10
	s_branch .LBB103_349
.LBB103_345:
	s_mov_b32 s31, -1
                                        ; implicit-def: $vgpr10
.LBB103_346:
	s_delay_alu instid0(SALU_CYCLE_1)
	s_and_not1_b32 vcc_lo, exec_lo, s31
	s_cbranch_vccnz .LBB103_348
; %bb.347:
	global_load_b32 v1, v[6:7], off
	s_wait_loadcnt 0x0
	v_trunc_f32_e32 v1, v1
	s_delay_alu instid0(VALU_DEP_1) | instskip(NEXT) | instid1(VALU_DEP_1)
	v_mul_f32_e64 v3, 0x2f800000, |v1|
	v_floor_f32_e32 v3, v3
	s_delay_alu instid0(VALU_DEP_1) | instskip(SKIP_1) | instid1(VALU_DEP_2)
	v_fma_f32 v3, 0xcf800000, v3, |v1|
	v_ashrrev_i32_e32 v1, 31, v1
	v_cvt_u32_f32_e32 v3, v3
	s_delay_alu instid0(VALU_DEP_1) | instskip(NEXT) | instid1(VALU_DEP_1)
	v_xor_b32_e32 v3, v3, v1
	v_sub_nc_u32_e32 v10, v3, v1
.LBB103_348:
	s_mov_b32 s31, 0
.LBB103_349:
	s_delay_alu instid0(SALU_CYCLE_1)
	s_and_not1_b32 vcc_lo, exec_lo, s31
	s_cbranch_vccnz .LBB103_351
; %bb.350:
	global_load_b32 v1, v[6:7], off
	s_wait_loadcnt 0x0
	v_cvt_f32_f16_e32 v1, v1
	s_delay_alu instid0(VALU_DEP_1)
	v_cvt_i32_f32_e32 v10, v1
.LBB103_351:
	s_mov_b32 s31, 0
.LBB103_352:
	s_delay_alu instid0(SALU_CYCLE_1)
	s_and_not1_b32 vcc_lo, exec_lo, s31
	s_cbranch_vccnz .LBB103_363
; %bb.353:
	s_cmp_lt_i32 s0, 6
	s_cbranch_scc1 .LBB103_356
; %bb.354:
	s_cmp_gt_i32 s0, 6
	s_cbranch_scc0 .LBB103_357
; %bb.355:
	s_wait_loadcnt 0x0
	global_load_b64 v[10:11], v[6:7], off
	s_mov_b32 s31, 0
	s_wait_loadcnt 0x0
	v_trunc_f64_e32 v[10:11], v[10:11]
	s_delay_alu instid0(VALU_DEP_1) | instskip(NEXT) | instid1(VALU_DEP_1)
	v_ldexp_f64 v[12:13], v[10:11], 0xffffffe0
	v_floor_f64_e32 v[12:13], v[12:13]
	s_delay_alu instid0(VALU_DEP_1) | instskip(NEXT) | instid1(VALU_DEP_1)
	v_fmamk_f64 v[10:11], v[12:13], 0xc1f00000, v[10:11]
	v_cvt_u32_f64_e32 v10, v[10:11]
	s_branch .LBB103_358
.LBB103_356:
	s_mov_b32 s31, -1
                                        ; implicit-def: $vgpr10
	s_branch .LBB103_361
.LBB103_357:
	s_mov_b32 s31, -1
                                        ; implicit-def: $vgpr10
.LBB103_358:
	s_delay_alu instid0(SALU_CYCLE_1)
	s_and_not1_b32 vcc_lo, exec_lo, s31
	s_cbranch_vccnz .LBB103_360
; %bb.359:
	global_load_b32 v1, v[6:7], off
	s_wait_loadcnt 0x0
	v_trunc_f32_e32 v1, v1
	s_delay_alu instid0(VALU_DEP_1) | instskip(NEXT) | instid1(VALU_DEP_1)
	v_mul_f32_e64 v3, 0x2f800000, |v1|
	v_floor_f32_e32 v3, v3
	s_delay_alu instid0(VALU_DEP_1) | instskip(SKIP_1) | instid1(VALU_DEP_2)
	v_fma_f32 v3, 0xcf800000, v3, |v1|
	v_ashrrev_i32_e32 v1, 31, v1
	v_cvt_u32_f32_e32 v3, v3
	s_delay_alu instid0(VALU_DEP_1) | instskip(NEXT) | instid1(VALU_DEP_1)
	v_xor_b32_e32 v3, v3, v1
	v_sub_nc_u32_e32 v10, v3, v1
.LBB103_360:
	s_mov_b32 s31, 0
.LBB103_361:
	s_delay_alu instid0(SALU_CYCLE_1)
	s_and_not1_b32 vcc_lo, exec_lo, s31
	s_cbranch_vccnz .LBB103_363
; %bb.362:
	global_load_u16 v1, v[6:7], off
	s_wait_loadcnt 0x0
	v_cvt_f32_f16_e32 v1, v1
	s_delay_alu instid0(VALU_DEP_1)
	v_cvt_i32_f32_e32 v10, v1
.LBB103_363:
	s_mov_b32 s31, 0
.LBB103_364:
	s_delay_alu instid0(SALU_CYCLE_1)
	s_and_not1_b32 vcc_lo, exec_lo, s31
	s_cbranch_vccnz .LBB103_384
; %bb.365:
	s_cmp_lt_i32 s0, 2
	s_cbranch_scc1 .LBB103_369
; %bb.366:
	s_cmp_lt_i32 s0, 3
	s_cbranch_scc1 .LBB103_370
; %bb.367:
	s_cmp_gt_i32 s0, 3
	s_cbranch_scc0 .LBB103_371
; %bb.368:
	s_wait_loadcnt 0x0
	global_load_b64 v[10:11], v[6:7], off
	s_mov_b32 s31, 0
	s_branch .LBB103_372
.LBB103_369:
	s_mov_b32 s31, -1
                                        ; implicit-def: $vgpr10
	s_branch .LBB103_378
.LBB103_370:
	s_mov_b32 s31, -1
                                        ; implicit-def: $vgpr10
	s_branch .LBB103_375
.LBB103_371:
	s_mov_b32 s31, -1
                                        ; implicit-def: $vgpr10
.LBB103_372:
	s_delay_alu instid0(SALU_CYCLE_1)
	s_and_not1_b32 vcc_lo, exec_lo, s31
	s_cbranch_vccnz .LBB103_374
; %bb.373:
	s_wait_loadcnt 0x0
	global_load_b32 v10, v[6:7], off
.LBB103_374:
	s_mov_b32 s31, 0
.LBB103_375:
	s_delay_alu instid0(SALU_CYCLE_1)
	s_and_not1_b32 vcc_lo, exec_lo, s31
	s_cbranch_vccnz .LBB103_377
; %bb.376:
	s_wait_loadcnt 0x0
	global_load_u16 v10, v[6:7], off
.LBB103_377:
	s_mov_b32 s31, 0
.LBB103_378:
	s_delay_alu instid0(SALU_CYCLE_1)
	s_and_not1_b32 vcc_lo, exec_lo, s31
	s_cbranch_vccnz .LBB103_384
; %bb.379:
	s_cmp_gt_i32 s0, 0
	s_mov_b32 s0, 0
	s_cbranch_scc0 .LBB103_381
; %bb.380:
	s_wait_loadcnt 0x0
	global_load_u8 v10, v[6:7], off
	s_branch .LBB103_382
.LBB103_381:
	s_mov_b32 s0, -1
                                        ; implicit-def: $vgpr10
.LBB103_382:
	s_delay_alu instid0(SALU_CYCLE_1)
	s_and_not1_b32 vcc_lo, exec_lo, s0
	s_cbranch_vccnz .LBB103_384
; %bb.383:
	s_wait_loadcnt 0x0
	global_load_u8 v10, v[6:7], off
.LBB103_384:
	s_mov_b32 s31, -1
.LBB103_385:
	s_delay_alu instid0(SALU_CYCLE_1)
	s_and_not1_b32 vcc_lo, exec_lo, s31
	s_cbranch_vccnz .LBB103_393
; %bb.386:
	s_wait_loadcnt 0x0
	s_delay_alu instid0(VALU_DEP_3) | instskip(SKIP_2) | instid1(VALU_DEP_4)
	v_and_b32_e32 v1, 0xff, v8
	v_and_b32_e32 v4, 0xff, v4
	v_mov_b32_e32 v3, 0
	v_and_b32_e32 v5, 0xff, v10
	s_and_b32 s31, s38, 0xff
	s_delay_alu instid0(VALU_DEP_3) | instskip(NEXT) | instid1(VALU_DEP_3)
	v_max_u16 v1, v4, v1
	v_add_nc_u64_e32 v[2:3], s[4:5], v[2:3]
	s_cmp_lt_i32 s31, 11
	s_delay_alu instid0(VALU_DEP_2)
	v_min_u16 v1, v1, v5
	s_cbranch_scc1 .LBB103_394
; %bb.387:
	s_and_b32 s42, 0xffff, s31
	s_delay_alu instid0(SALU_CYCLE_1)
	s_cmp_gt_i32 s42, 25
	s_cbranch_scc0 .LBB103_395
; %bb.388:
	s_cmp_gt_i32 s42, 28
	s_cbranch_scc0 .LBB103_396
; %bb.389:
	;; [unrolled: 3-line block ×4, first 2 shown]
	s_mov_b32 s47, 0
	s_mov_b32 s0, -1
	s_cmp_eq_u32 s42, 46
	s_mov_b32 s46, 0
	s_cbranch_scc0 .LBB103_399
; %bb.392:
	v_cvt_f32_ubyte0_e32 v4, v1
	s_mov_b32 s46, -1
	s_mov_b32 s0, 0
	s_delay_alu instid0(VALU_DEP_1) | instskip(NEXT) | instid1(VALU_DEP_1)
	v_bfe_u32 v5, v4, 16, 1
	v_add3_u32 v4, v4, v5, 0x7fff
	s_delay_alu instid0(VALU_DEP_1)
	v_lshrrev_b32_e32 v4, 16, v4
	global_store_b32 v[2:3], v4, off
	s_branch .LBB103_399
.LBB103_393:
	s_mov_b32 s0, 0
	s_branch .LBB103_509
.LBB103_394:
	s_mov_b32 s42, -1
	s_mov_b32 s0, 0
	s_mov_b32 s46, 0
	s_branch .LBB103_468
.LBB103_395:
	s_mov_b32 s47, -1
	s_mov_b32 s0, 0
	s_mov_b32 s46, 0
	s_branch .LBB103_426
.LBB103_396:
	s_mov_b32 s47, -1
	s_mov_b32 s0, 0
	s_mov_b32 s46, 0
	s_branch .LBB103_409
.LBB103_397:
	s_mov_b32 s47, -1
	s_mov_b32 s0, 0
	s_mov_b32 s46, 0
	s_branch .LBB103_405
.LBB103_398:
	s_mov_b32 s47, -1
	s_mov_b32 s0, 0
	s_mov_b32 s46, 0
.LBB103_399:
	s_and_b32 vcc_lo, exec_lo, s47
	s_cbranch_vccz .LBB103_404
; %bb.400:
	s_cmp_eq_u32 s42, 44
	s_mov_b32 s0, -1
	s_cbranch_scc0 .LBB103_404
; %bb.401:
	v_cvt_f32_ubyte0_e32 v6, v1
	s_mov_b32 s46, exec_lo
	s_wait_xcnt 0x0
	s_delay_alu instid0(VALU_DEP_1) | instskip(NEXT) | instid1(VALU_DEP_1)
	v_dual_mov_b32 v5, 0xff :: v_dual_lshrrev_b32 v4, 23, v6
	v_cmpx_ne_u32_e32 0xff, v4
; %bb.402:
	v_and_b32_e32 v5, 0x400000, v6
	v_and_or_b32 v6, 0x3fffff, v6, v4
	s_delay_alu instid0(VALU_DEP_2) | instskip(NEXT) | instid1(VALU_DEP_2)
	v_cmp_ne_u32_e32 vcc_lo, 0, v5
	v_cmp_ne_u32_e64 s0, 0, v6
	s_and_b32 s0, vcc_lo, s0
	s_delay_alu instid0(SALU_CYCLE_1) | instskip(NEXT) | instid1(VALU_DEP_1)
	v_cndmask_b32_e64 v5, 0, 1, s0
	v_add_nc_u32_e32 v5, v4, v5
; %bb.403:
	s_or_b32 exec_lo, exec_lo, s46
	s_mov_b32 s46, -1
	s_mov_b32 s0, 0
	global_store_b8 v[2:3], v5, off
.LBB103_404:
	s_mov_b32 s47, 0
.LBB103_405:
	s_delay_alu instid0(SALU_CYCLE_1)
	s_and_b32 vcc_lo, exec_lo, s47
	s_cbranch_vccz .LBB103_408
; %bb.406:
	s_cmp_eq_u32 s42, 29
	s_mov_b32 s0, -1
	s_cbranch_scc0 .LBB103_408
; %bb.407:
	s_mov_b32 s0, 0
	s_wait_xcnt 0x0
	v_and_b32_e32 v4, 0xffff, v1
	v_mov_b32_e32 v5, s0
	s_mov_b32 s46, -1
	s_mov_b32 s47, 0
	global_store_b64 v[2:3], v[4:5], off
	s_branch .LBB103_409
.LBB103_408:
	s_mov_b32 s47, 0
.LBB103_409:
	s_delay_alu instid0(SALU_CYCLE_1)
	s_and_b32 vcc_lo, exec_lo, s47
	s_cbranch_vccz .LBB103_425
; %bb.410:
	s_cmp_lt_i32 s42, 27
	s_mov_b32 s46, -1
	s_cbranch_scc1 .LBB103_416
; %bb.411:
	s_cmp_gt_i32 s42, 27
	s_cbranch_scc0 .LBB103_413
; %bb.412:
	s_wait_xcnt 0x0
	v_and_b32_e32 v4, 0xffff, v1
	s_mov_b32 s46, 0
	global_store_b32 v[2:3], v4, off
.LBB103_413:
	s_and_not1_b32 vcc_lo, exec_lo, s46
	s_cbranch_vccnz .LBB103_415
; %bb.414:
	global_store_b16 v[2:3], v1, off
.LBB103_415:
	s_mov_b32 s46, 0
.LBB103_416:
	s_delay_alu instid0(SALU_CYCLE_1)
	s_and_not1_b32 vcc_lo, exec_lo, s46
	s_cbranch_vccnz .LBB103_424
; %bb.417:
	s_wait_xcnt 0x0
	v_cvt_f32_ubyte0_e32 v5, v1
	v_mov_b32_e32 v6, 0x80
	s_mov_b32 s46, exec_lo
	s_delay_alu instid0(VALU_DEP_2)
	v_cmpx_gt_u32_e32 0x43800000, v5
	s_cbranch_execz .LBB103_423
; %bb.418:
	s_mov_b32 s47, 0
	s_mov_b32 s48, exec_lo
                                        ; implicit-def: $vgpr4
	v_cmpx_lt_u32_e32 0x3bffffff, v5
	s_xor_b32 s48, exec_lo, s48
	s_cbranch_execz .LBB103_664
; %bb.419:
	v_bfe_u32 v4, v5, 20, 1
	s_mov_b32 s47, exec_lo
	s_delay_alu instid0(VALU_DEP_1) | instskip(NEXT) | instid1(VALU_DEP_1)
	v_add3_u32 v4, v5, v4, 0x487ffff
                                        ; implicit-def: $vgpr5
	v_lshrrev_b32_e32 v4, 20, v4
	s_and_not1_saveexec_b32 s48, s48
	s_cbranch_execnz .LBB103_665
.LBB103_420:
	s_or_b32 exec_lo, exec_lo, s48
	v_mov_b32_e32 v6, 0
	s_and_saveexec_b32 s48, s47
.LBB103_421:
	v_mov_b32_e32 v6, v4
.LBB103_422:
	s_or_b32 exec_lo, exec_lo, s48
.LBB103_423:
	s_delay_alu instid0(SALU_CYCLE_1)
	s_or_b32 exec_lo, exec_lo, s46
	global_store_b8 v[2:3], v6, off
.LBB103_424:
	s_mov_b32 s46, -1
.LBB103_425:
	s_mov_b32 s47, 0
.LBB103_426:
	s_delay_alu instid0(SALU_CYCLE_1)
	s_and_b32 vcc_lo, exec_lo, s47
	s_cbranch_vccz .LBB103_467
; %bb.427:
	s_cmp_gt_i32 s42, 22
	s_mov_b32 s47, -1
	s_cbranch_scc0 .LBB103_459
; %bb.428:
	s_cmp_lt_i32 s42, 24
	s_mov_b32 s46, -1
	s_cbranch_scc1 .LBB103_448
; %bb.429:
	s_cmp_gt_i32 s42, 24
	s_cbranch_scc0 .LBB103_437
; %bb.430:
	s_wait_xcnt 0x0
	v_cvt_f32_ubyte0_e32 v5, v1
	v_mov_b32_e32 v6, 0x80
	s_mov_b32 s46, exec_lo
	s_delay_alu instid0(VALU_DEP_2)
	v_cmpx_gt_u32_e32 0x47800000, v5
	s_cbranch_execz .LBB103_436
; %bb.431:
	s_mov_b32 s47, 0
	s_mov_b32 s48, exec_lo
                                        ; implicit-def: $vgpr4
	v_cmpx_lt_u32_e32 0x37ffffff, v5
	s_xor_b32 s48, exec_lo, s48
	s_cbranch_execz .LBB103_792
; %bb.432:
	v_bfe_u32 v4, v5, 21, 1
	s_mov_b32 s47, exec_lo
	s_delay_alu instid0(VALU_DEP_1) | instskip(NEXT) | instid1(VALU_DEP_1)
	v_add3_u32 v4, v5, v4, 0x88fffff
                                        ; implicit-def: $vgpr5
	v_lshrrev_b32_e32 v4, 21, v4
	s_and_not1_saveexec_b32 s48, s48
	s_cbranch_execnz .LBB103_793
.LBB103_433:
	s_or_b32 exec_lo, exec_lo, s48
	v_mov_b32_e32 v6, 0
	s_and_saveexec_b32 s48, s47
.LBB103_434:
	v_mov_b32_e32 v6, v4
.LBB103_435:
	s_or_b32 exec_lo, exec_lo, s48
.LBB103_436:
	s_delay_alu instid0(SALU_CYCLE_1)
	s_or_b32 exec_lo, exec_lo, s46
	s_mov_b32 s46, 0
	global_store_b8 v[2:3], v6, off
.LBB103_437:
	s_and_b32 vcc_lo, exec_lo, s46
	s_cbranch_vccz .LBB103_447
; %bb.438:
	s_wait_xcnt 0x0
	v_cvt_f32_ubyte0_e32 v5, v1
	s_mov_b32 s46, exec_lo
                                        ; implicit-def: $vgpr4
	s_delay_alu instid0(VALU_DEP_1)
	v_cmpx_gt_u32_e32 0x43f00000, v5
	s_xor_b32 s46, exec_lo, s46
	s_cbranch_execz .LBB103_444
; %bb.439:
	s_mov_b32 s47, exec_lo
                                        ; implicit-def: $vgpr4
	v_cmpx_lt_u32_e32 0x3c7fffff, v5
	s_xor_b32 s47, exec_lo, s47
; %bb.440:
	v_bfe_u32 v4, v5, 20, 1
	s_delay_alu instid0(VALU_DEP_1) | instskip(NEXT) | instid1(VALU_DEP_1)
	v_add3_u32 v4, v5, v4, 0x407ffff
	v_and_b32_e32 v5, 0xff00000, v4
	v_lshrrev_b32_e32 v4, 20, v4
	s_delay_alu instid0(VALU_DEP_2) | instskip(NEXT) | instid1(VALU_DEP_2)
	v_cmp_ne_u32_e32 vcc_lo, 0x7f00000, v5
                                        ; implicit-def: $vgpr5
	v_cndmask_b32_e32 v4, 0x7e, v4, vcc_lo
; %bb.441:
	s_and_not1_saveexec_b32 s47, s47
; %bb.442:
	v_add_f32_e32 v4, 0x46800000, v5
; %bb.443:
	s_or_b32 exec_lo, exec_lo, s47
                                        ; implicit-def: $vgpr5
.LBB103_444:
	s_and_not1_saveexec_b32 s46, s46
; %bb.445:
	v_mov_b32_e32 v4, 0x7f
	v_cmp_lt_u32_e32 vcc_lo, 0x7f800000, v5
	s_delay_alu instid0(VALU_DEP_2)
	v_cndmask_b32_e32 v4, 0x7e, v4, vcc_lo
; %bb.446:
	s_or_b32 exec_lo, exec_lo, s46
	global_store_b8 v[2:3], v4, off
.LBB103_447:
	s_mov_b32 s46, 0
.LBB103_448:
	s_delay_alu instid0(SALU_CYCLE_1)
	s_and_not1_b32 vcc_lo, exec_lo, s46
	s_cbranch_vccnz .LBB103_458
; %bb.449:
	s_wait_xcnt 0x0
	v_cvt_f32_ubyte0_e32 v5, v1
	s_mov_b32 s46, exec_lo
                                        ; implicit-def: $vgpr4
	s_delay_alu instid0(VALU_DEP_1)
	v_cmpx_gt_u32_e32 0x47800000, v5
	s_xor_b32 s46, exec_lo, s46
	s_cbranch_execz .LBB103_455
; %bb.450:
	s_mov_b32 s47, exec_lo
                                        ; implicit-def: $vgpr4
	v_cmpx_lt_u32_e32 0x387fffff, v5
	s_xor_b32 s47, exec_lo, s47
; %bb.451:
	v_bfe_u32 v4, v5, 21, 1
	s_delay_alu instid0(VALU_DEP_1) | instskip(NEXT) | instid1(VALU_DEP_1)
	v_add3_u32 v4, v5, v4, 0x80fffff
                                        ; implicit-def: $vgpr5
	v_lshrrev_b32_e32 v4, 21, v4
; %bb.452:
	s_and_not1_saveexec_b32 s47, s47
; %bb.453:
	v_add_f32_e32 v4, 0x43000000, v5
; %bb.454:
	s_or_b32 exec_lo, exec_lo, s47
                                        ; implicit-def: $vgpr5
.LBB103_455:
	s_and_not1_saveexec_b32 s46, s46
; %bb.456:
	v_mov_b32_e32 v4, 0x7f
	v_cmp_lt_u32_e32 vcc_lo, 0x7f800000, v5
	s_delay_alu instid0(VALU_DEP_2)
	v_cndmask_b32_e32 v4, 0x7c, v4, vcc_lo
; %bb.457:
	s_or_b32 exec_lo, exec_lo, s46
	global_store_b8 v[2:3], v4, off
.LBB103_458:
	s_mov_b32 s47, 0
	s_mov_b32 s46, -1
.LBB103_459:
	s_and_not1_b32 vcc_lo, exec_lo, s47
	s_cbranch_vccnz .LBB103_467
; %bb.460:
	s_cmp_gt_i32 s42, 14
	s_mov_b32 s47, -1
	s_cbranch_scc0 .LBB103_464
; %bb.461:
	s_cmp_eq_u32 s42, 15
	s_mov_b32 s0, -1
	s_cbranch_scc0 .LBB103_463
; %bb.462:
	s_wait_xcnt 0x0
	v_cvt_f32_ubyte0_e32 v4, v1
	s_mov_b32 s46, -1
	s_mov_b32 s0, 0
	s_delay_alu instid0(VALU_DEP_1) | instskip(NEXT) | instid1(VALU_DEP_1)
	v_bfe_u32 v5, v4, 16, 1
	v_add3_u32 v4, v4, v5, 0x7fff
	global_store_d16_hi_b16 v[2:3], v4, off
.LBB103_463:
	s_mov_b32 s47, 0
.LBB103_464:
	s_delay_alu instid0(SALU_CYCLE_1)
	s_and_b32 vcc_lo, exec_lo, s47
	s_cbranch_vccz .LBB103_467
; %bb.465:
	s_cmp_eq_u32 s42, 11
	s_mov_b32 s0, -1
	s_cbranch_scc0 .LBB103_467
; %bb.466:
	v_cmp_ne_u16_e32 vcc_lo, 0, v1
	s_mov_b32 s0, 0
	s_mov_b32 s46, -1
	s_wait_xcnt 0x0
	v_cndmask_b32_e64 v4, 0, 1, vcc_lo
	global_store_b8 v[2:3], v4, off
.LBB103_467:
	s_mov_b32 s42, 0
.LBB103_468:
	s_delay_alu instid0(SALU_CYCLE_1)
	s_and_b32 vcc_lo, exec_lo, s42
	s_cbranch_vccz .LBB103_507
; %bb.469:
	s_and_b32 s31, 0xffff, s31
	s_mov_b32 s42, -1
	s_cmp_lt_i32 s31, 5
	s_cbranch_scc1 .LBB103_490
; %bb.470:
	s_cmp_lt_i32 s31, 8
	s_cbranch_scc1 .LBB103_480
; %bb.471:
	;; [unrolled: 3-line block ×3, first 2 shown]
	s_cmp_gt_i32 s31, 9
	s_cbranch_scc0 .LBB103_474
; %bb.473:
	s_wait_xcnt 0x0
	v_and_b32_e32 v4, 0xffff, v1
	v_mov_b32_e32 v6, 0
	s_mov_b32 s42, 0
	s_delay_alu instid0(VALU_DEP_2) | instskip(NEXT) | instid1(VALU_DEP_2)
	v_cvt_f64_u32_e32 v[4:5], v4
	v_mov_b32_e32 v7, v6
	global_store_b128 v[2:3], v[4:7], off
.LBB103_474:
	s_and_not1_b32 vcc_lo, exec_lo, s42
	s_cbranch_vccnz .LBB103_476
; %bb.475:
	s_wait_xcnt 0x0
	v_cvt_f32_ubyte0_e32 v4, v1
	v_mov_b32_e32 v5, 0
	global_store_b64 v[2:3], v[4:5], off
.LBB103_476:
	s_mov_b32 s42, 0
.LBB103_477:
	s_delay_alu instid0(SALU_CYCLE_1)
	s_and_not1_b32 vcc_lo, exec_lo, s42
	s_cbranch_vccnz .LBB103_479
; %bb.478:
	s_wait_xcnt 0x0
	v_cvt_f16_u16_e32 v4, v1
	s_delay_alu instid0(VALU_DEP_1)
	v_and_b32_e32 v4, 0xffff, v4
	global_store_b32 v[2:3], v4, off
.LBB103_479:
	s_mov_b32 s42, 0
.LBB103_480:
	s_delay_alu instid0(SALU_CYCLE_1)
	s_and_not1_b32 vcc_lo, exec_lo, s42
	s_cbranch_vccnz .LBB103_489
; %bb.481:
	s_cmp_lt_i32 s31, 6
	s_mov_b32 s42, -1
	s_cbranch_scc1 .LBB103_487
; %bb.482:
	s_cmp_gt_i32 s31, 6
	s_cbranch_scc0 .LBB103_484
; %bb.483:
	s_wait_xcnt 0x0
	v_and_b32_e32 v4, 0xffff, v1
	s_mov_b32 s42, 0
	s_delay_alu instid0(VALU_DEP_1)
	v_cvt_f64_u32_e32 v[4:5], v4
	global_store_b64 v[2:3], v[4:5], off
.LBB103_484:
	s_and_not1_b32 vcc_lo, exec_lo, s42
	s_cbranch_vccnz .LBB103_486
; %bb.485:
	s_wait_xcnt 0x0
	v_cvt_f32_ubyte0_e32 v4, v1
	global_store_b32 v[2:3], v4, off
.LBB103_486:
	s_mov_b32 s42, 0
.LBB103_487:
	s_delay_alu instid0(SALU_CYCLE_1)
	s_and_not1_b32 vcc_lo, exec_lo, s42
	s_cbranch_vccnz .LBB103_489
; %bb.488:
	s_wait_xcnt 0x0
	v_cvt_f16_u16_e32 v4, v1
	global_store_b16 v[2:3], v4, off
.LBB103_489:
	s_mov_b32 s42, 0
.LBB103_490:
	s_delay_alu instid0(SALU_CYCLE_1)
	s_and_not1_b32 vcc_lo, exec_lo, s42
	s_cbranch_vccnz .LBB103_506
; %bb.491:
	s_cmp_lt_i32 s31, 2
	s_mov_b32 s42, -1
	s_cbranch_scc1 .LBB103_501
; %bb.492:
	s_cmp_lt_i32 s31, 3
	s_cbranch_scc1 .LBB103_498
; %bb.493:
	s_wait_xcnt 0x0
	v_and_b32_e32 v4, 0xffff, v1
	s_cmp_gt_i32 s31, 3
	s_cbranch_scc0 .LBB103_495
; %bb.494:
	s_mov_b32 s42, 0
	s_delay_alu instid0(SALU_CYCLE_1)
	v_mov_b32_e32 v5, s42
	global_store_b64 v[2:3], v[4:5], off
.LBB103_495:
	s_and_not1_b32 vcc_lo, exec_lo, s42
	s_cbranch_vccnz .LBB103_497
; %bb.496:
	global_store_b32 v[2:3], v4, off
.LBB103_497:
	s_mov_b32 s42, 0
.LBB103_498:
	s_delay_alu instid0(SALU_CYCLE_1)
	s_and_not1_b32 vcc_lo, exec_lo, s42
	s_cbranch_vccnz .LBB103_500
; %bb.499:
	global_store_b16 v[2:3], v1, off
.LBB103_500:
	s_mov_b32 s42, 0
.LBB103_501:
	s_delay_alu instid0(SALU_CYCLE_1)
	s_and_not1_b32 vcc_lo, exec_lo, s42
	s_cbranch_vccnz .LBB103_506
; %bb.502:
	s_cmp_gt_i32 s31, 0
	s_mov_b32 s31, -1
	s_cbranch_scc0 .LBB103_504
; %bb.503:
	s_mov_b32 s31, 0
	global_store_b8 v[2:3], v1, off
.LBB103_504:
	s_and_not1_b32 vcc_lo, exec_lo, s31
	s_cbranch_vccnz .LBB103_506
; %bb.505:
	global_store_b8 v[2:3], v1, off
.LBB103_506:
	s_mov_b32 s46, -1
.LBB103_507:
	s_delay_alu instid0(SALU_CYCLE_1)
	s_and_not1_b32 vcc_lo, exec_lo, s46
	s_cbranch_vccnz .LBB103_509
; %bb.508:
	v_add_nc_u32_e32 v0, 0x80, v0
	s_mov_b32 s31, -1
	s_branch .LBB103_510
.LBB103_509:
	s_mov_b32 s31, 0
                                        ; implicit-def: $vgpr0
.LBB103_510:
	s_and_b32 s42, s0, exec_lo
	s_and_b32 s46, s30, exec_lo
	;; [unrolled: 1-line block ×4, first 2 shown]
	s_or_not1_b32 s29, s31, exec_lo
.LBB103_511:
	s_wait_xcnt 0x0
	s_or_b32 exec_lo, exec_lo, s49
	s_mov_b32 s30, 0
	s_mov_b32 s28, 0
                                        ; implicit-def: $sgpr0
                                        ; implicit-def: $vgpr10_vgpr11
                                        ; implicit-def: $vgpr2
                                        ; implicit-def: $vgpr6
                                        ; implicit-def: $vgpr8
                                        ; implicit-def: $vgpr4
	s_and_saveexec_b32 s49, s29
	s_cbranch_execz .LBB103_519
; %bb.512:
	s_mov_b32 s31, -1
	s_mov_b32 s50, s48
	s_mov_b32 s53, s47
	;; [unrolled: 1-line block ×4, first 2 shown]
	s_mov_b32 s54, exec_lo
	v_cmpx_gt_i32_e64 s44, v0
	s_cbranch_execz .LBB103_1033
; %bb.513:
	s_and_not1_b32 vcc_lo, exec_lo, s36
	s_cbranch_vccnz .LBB103_522
; %bb.514:
	s_and_not1_b32 vcc_lo, exec_lo, s45
	s_cbranch_vccnz .LBB103_523
; %bb.515:
	s_wait_loadcnt 0x0
	v_dual_mov_b32 v8, 0 :: v_dual_mov_b32 v1, v0
	v_dual_mov_b32 v6, 0 :: v_dual_mov_b32 v2, 0
	v_mov_b32_e32 v4, 0
	s_add_co_i32 s0, s43, 1
	s_mov_b64 s[28:29], 0xffffffffffffffe0
	s_and_b32 s0, s0, 30
	s_add_nc_u64 s[28:29], s[2:3], s[28:29]
	s_mov_b64 s[30:31], s[2:3]
.LBB103_516:                            ; =>This Inner Loop Header: Depth=1
	s_clause 0x1
	s_load_b128 s[64:67], s[30:31], 0x4
	s_load_b64 s[50:51], s[30:31], 0x14
	s_load_b256 s[56:63], s[28:29], 0xe4
	s_add_co_i32 s0, s0, -2
	s_wait_xcnt 0x0
	s_add_nc_u64 s[30:31], s[30:31], 24
	s_cmp_eq_u32 s0, 0
	s_add_nc_u64 s[28:29], s[28:29], 32
	s_wait_kmcnt 0x0
	v_mul_hi_u32 v3, s65, v1
	s_delay_alu instid0(VALU_DEP_1) | instskip(NEXT) | instid1(VALU_DEP_1)
	v_add_nc_u32_e32 v3, v1, v3
	v_lshrrev_b32_e32 v3, s66, v3
	s_delay_alu instid0(VALU_DEP_1) | instskip(SKIP_1) | instid1(VALU_DEP_1)
	v_mul_hi_u32 v5, s50, v3
	v_mul_lo_u32 v7, v3, s64
	v_dual_add_nc_u32 v5, v3, v5 :: v_dual_sub_nc_u32 v7, v1, v7
	s_delay_alu instid0(VALU_DEP_1) | instskip(NEXT) | instid1(VALU_DEP_2)
	v_lshrrev_b32_e32 v1, s51, v5
	v_mad_u32 v4, v7, s57, v4
	v_mad_u32 v2, v7, s56, v2
	;; [unrolled: 1-line block ×4, first 2 shown]
	v_mul_lo_u32 v5, v1, s67
	s_delay_alu instid0(VALU_DEP_1) | instskip(NEXT) | instid1(VALU_DEP_1)
	v_sub_nc_u32_e32 v3, v3, v5
	v_mad_u32 v4, v3, s61, v4
	v_mad_u32 v2, v3, s60, v2
	;; [unrolled: 1-line block ×4, first 2 shown]
	s_cbranch_scc0 .LBB103_516
; %bb.517:
	s_bitcmp1_b32 s43, 0
	s_cselect_b32 s0, -1, 0
	s_delay_alu instid0(SALU_CYCLE_1)
	s_and_b32 vcc_lo, exec_lo, s0
	s_cbranch_vccnz .LBB103_524
; %bb.518:
	s_load_b96 s[60:62], s[30:31], 0x4
	s_load_b128 s[56:59], s[28:29], 0xe4
	s_wait_kmcnt 0x0
	v_mul_hi_u32 v3, s61, v1
	s_delay_alu instid0(VALU_DEP_1) | instskip(NEXT) | instid1(VALU_DEP_1)
	v_add_nc_u32_e32 v3, v1, v3
	v_lshrrev_b32_e32 v3, s62, v3
	s_delay_alu instid0(VALU_DEP_1) | instskip(NEXT) | instid1(VALU_DEP_1)
	v_mul_lo_u32 v3, v3, s60
	v_sub_nc_u32_e32 v1, v1, v3
	s_delay_alu instid0(VALU_DEP_1)
	v_mad_u32 v2, v1, s56, v2
	v_mad_u32 v4, v1, s57, v4
	;; [unrolled: 1-line block ×4, first 2 shown]
	s_branch .LBB103_524
.LBB103_519:
	s_or_b32 exec_lo, exec_lo, s49
	s_mov_b32 s1, 0
	s_and_saveexec_b32 s6, s48
	s_cbranch_execnz .LBB103_1645
.LBB103_520:
	s_or_b32 exec_lo, exec_lo, s6
	s_and_saveexec_b32 s6, s25
	s_delay_alu instid0(SALU_CYCLE_1)
	s_xor_b32 s6, exec_lo, s6
	s_cbranch_execz .LBB103_1646
.LBB103_521:
	s_wait_loadcnt 0x0
	global_load_u8 v0, v[10:11], off
	s_or_b32 s28, s28, exec_lo
	s_wait_loadcnt 0x0
	v_cmp_ne_u16_e32 vcc_lo, 0, v0
	v_cndmask_b32_e64 v4, 0, 1, vcc_lo
	s_wait_xcnt 0x0
	s_or_b32 exec_lo, exec_lo, s6
	s_and_saveexec_b32 s6, s30
	s_cbranch_execz .LBB103_1692
	s_branch .LBB103_1647
.LBB103_522:
                                        ; implicit-def: $vgpr4
                                        ; implicit-def: $vgpr2
                                        ; implicit-def: $vgpr6
                                        ; implicit-def: $vgpr8
	s_branch .LBB103_525
.LBB103_523:
	s_wait_loadcnt 0x0
	v_dual_mov_b32 v4, 0 :: v_dual_mov_b32 v2, 0
	v_dual_mov_b32 v6, 0 :: v_dual_mov_b32 v8, 0
.LBB103_524:
	s_cbranch_execnz .LBB103_527
.LBB103_525:
	v_mov_b32_e32 v1, 0
	s_and_not1_b32 vcc_lo, exec_lo, s41
	s_delay_alu instid0(VALU_DEP_1) | instskip(NEXT) | instid1(VALU_DEP_1)
	v_mul_u64_e32 v[2:3], s[24:25], v[0:1]
	v_add_nc_u32_e32 v2, v0, v3
	s_wait_loadcnt 0x0
	s_delay_alu instid0(VALU_DEP_1) | instskip(NEXT) | instid1(VALU_DEP_1)
	v_lshrrev_b32_e32 v10, s22, v2
	v_mul_lo_u32 v2, v10, s20
	s_delay_alu instid0(VALU_DEP_1) | instskip(NEXT) | instid1(VALU_DEP_1)
	v_sub_nc_u32_e32 v3, v0, v2
	v_mul_lo_u32 v4, v3, s13
	v_mul_lo_u32 v2, v3, s12
	;; [unrolled: 1-line block ×4, first 2 shown]
	s_cbranch_vccnz .LBB103_527
; %bb.526:
	v_mov_b32_e32 v11, v1
	s_delay_alu instid0(VALU_DEP_1) | instskip(NEXT) | instid1(VALU_DEP_1)
	v_mul_u64_e32 v[12:13], s[26:27], v[10:11]
	v_add_nc_u32_e32 v1, v10, v13
	s_delay_alu instid0(VALU_DEP_1) | instskip(NEXT) | instid1(VALU_DEP_1)
	v_lshrrev_b32_e32 v1, s1, v1
	v_mul_lo_u32 v1, v1, s23
	s_delay_alu instid0(VALU_DEP_1) | instskip(NEXT) | instid1(VALU_DEP_1)
	v_sub_nc_u32_e32 v1, v10, v1
	v_mad_u32 v2, v1, s16, v2
	v_mad_u32 v4, v1, s17, v4
	;; [unrolled: 1-line block ×4, first 2 shown]
.LBB103_527:
	s_wait_loadcnt 0x0
	v_mov_b32_e32 v5, 0
	s_and_b32 s0, s40, 0xff
	s_delay_alu instid0(SALU_CYCLE_1) | instskip(NEXT) | instid1(VALU_DEP_1)
	s_cmp_lt_i32 s0, 11
	v_add_nc_u64_e32 v[10:11], s[6:7], v[4:5]
	s_cbranch_scc1 .LBB103_534
; %bb.528:
	s_and_b32 s29, 0xffff, s0
	s_delay_alu instid0(SALU_CYCLE_1)
	s_cmp_gt_i32 s29, 25
	s_cbranch_scc0 .LBB103_543
; %bb.529:
	s_cmp_gt_i32 s29, 28
	s_cbranch_scc0 .LBB103_545
; %bb.530:
	;; [unrolled: 3-line block ×4, first 2 shown]
	s_cmp_eq_u32 s29, 46
	s_mov_b32 s31, 0
	s_cbranch_scc0 .LBB103_551
; %bb.533:
	global_load_b32 v1, v[10:11], off
	s_mov_b32 s30, -1
	s_mov_b32 s28, 0
	s_wait_loadcnt 0x0
	v_lshlrev_b32_e32 v1, 16, v1
	s_delay_alu instid0(VALU_DEP_1) | instskip(NEXT) | instid1(VALU_DEP_1)
	v_trunc_f32_e32 v1, v1
	v_mul_f32_e64 v3, 0x2f800000, |v1|
	s_delay_alu instid0(VALU_DEP_1) | instskip(NEXT) | instid1(VALU_DEP_1)
	v_floor_f32_e32 v3, v3
	v_fma_f32 v3, 0xcf800000, v3, |v1|
	v_ashrrev_i32_e32 v1, 31, v1
	s_delay_alu instid0(VALU_DEP_2) | instskip(NEXT) | instid1(VALU_DEP_1)
	v_cvt_u32_f32_e32 v3, v3
	v_xor_b32_e32 v3, v3, v1
	s_delay_alu instid0(VALU_DEP_1)
	v_sub_nc_u32_e32 v4, v3, v1
	s_branch .LBB103_553
.LBB103_534:
	s_mov_b32 s30, 0
	s_mov_b32 s28, s48
                                        ; implicit-def: $vgpr4
	s_cbranch_execnz .LBB103_615
.LBB103_535:
	s_and_not1_b32 vcc_lo, exec_lo, s30
	s_cbranch_vccnz .LBB103_663
.LBB103_536:
	v_mov_b32_e32 v9, 0
	s_and_b32 s0, s39, 0xff
	s_delay_alu instid0(SALU_CYCLE_1) | instskip(SKIP_1) | instid1(VALU_DEP_1)
	s_cmp_lt_i32 s0, 11
	s_wait_xcnt 0x0
	v_add_nc_u64_e32 v[10:11], s[8:9], v[8:9]
	s_cbranch_scc1 .LBB103_544
; %bb.537:
	s_and_b32 s30, 0xffff, s0
	s_delay_alu instid0(SALU_CYCLE_1)
	s_cmp_gt_i32 s30, 25
	s_cbranch_scc0 .LBB103_546
; %bb.538:
	s_cmp_gt_i32 s30, 28
	s_cbranch_scc0 .LBB103_548
; %bb.539:
	;; [unrolled: 3-line block ×4, first 2 shown]
	s_cmp_eq_u32 s30, 46
	s_mov_b32 s50, 0
	s_cbranch_scc0 .LBB103_666
; %bb.542:
	global_load_b32 v1, v[10:11], off
	s_mov_b32 s31, -1
	s_mov_b32 s29, 0
	s_wait_loadcnt 0x0
	v_lshlrev_b32_e32 v1, 16, v1
	s_delay_alu instid0(VALU_DEP_1) | instskip(NEXT) | instid1(VALU_DEP_1)
	v_trunc_f32_e32 v1, v1
	v_mul_f32_e64 v3, 0x2f800000, |v1|
	s_delay_alu instid0(VALU_DEP_1) | instskip(NEXT) | instid1(VALU_DEP_1)
	v_floor_f32_e32 v3, v3
	v_fma_f32 v3, 0xcf800000, v3, |v1|
	v_ashrrev_i32_e32 v1, 31, v1
	s_delay_alu instid0(VALU_DEP_2) | instskip(NEXT) | instid1(VALU_DEP_1)
	v_cvt_u32_f32_e32 v3, v3
	v_xor_b32_e32 v3, v3, v1
	s_delay_alu instid0(VALU_DEP_1)
	v_sub_nc_u32_e32 v8, v3, v1
	s_branch .LBB103_668
.LBB103_543:
	s_mov_b32 s31, -1
	s_mov_b32 s30, 0
	s_mov_b32 s28, s48
                                        ; implicit-def: $vgpr4
	s_branch .LBB103_581
.LBB103_544:
	s_mov_b32 s30, -1
	s_mov_b32 s31, 0
	s_mov_b32 s29, s47
                                        ; implicit-def: $vgpr8
	s_branch .LBB103_729
.LBB103_545:
	s_mov_b32 s31, -1
	s_mov_b32 s30, 0
	s_mov_b32 s28, s48
                                        ; implicit-def: $vgpr4
	s_branch .LBB103_564
.LBB103_546:
	s_mov_b32 s50, -1
	s_mov_b32 s31, 0
	s_mov_b32 s29, s47
                                        ; implicit-def: $vgpr8
	s_branch .LBB103_695
.LBB103_547:
	s_mov_b32 s31, -1
	s_mov_b32 s30, 0
	s_mov_b32 s28, s48
                                        ; implicit-def: $vgpr4
	s_branch .LBB103_559
.LBB103_548:
	s_mov_b32 s50, -1
	s_mov_b32 s31, 0
	s_mov_b32 s29, s47
                                        ; implicit-def: $vgpr8
	s_branch .LBB103_678
.LBB103_549:
	s_mov_b32 s31, -1
	s_mov_b32 s30, 0
	s_mov_b32 s28, s48
	s_branch .LBB103_552
.LBB103_550:
	s_mov_b32 s50, -1
	s_mov_b32 s31, 0
	s_mov_b32 s29, s47
                                        ; implicit-def: $vgpr8
	s_branch .LBB103_673
.LBB103_551:
	s_mov_b32 s28, -1
	s_mov_b32 s30, 0
.LBB103_552:
                                        ; implicit-def: $vgpr4
.LBB103_553:
	s_and_b32 vcc_lo, exec_lo, s31
	s_cbranch_vccz .LBB103_558
; %bb.554:
	s_cmp_eq_u32 s29, 44
	s_cbranch_scc0 .LBB103_557
; %bb.555:
	global_load_u8 v1, v[10:11], off
	s_mov_b32 s28, 0
	s_mov_b32 s30, -1
	s_wait_loadcnt 0x0
	v_lshlrev_b32_e32 v3, 23, v1
	v_cmp_ne_u32_e32 vcc_lo, 0, v1
	s_delay_alu instid0(VALU_DEP_2) | instskip(NEXT) | instid1(VALU_DEP_1)
	v_trunc_f32_e32 v3, v3
	v_mul_f32_e64 v4, 0x2f800000, |v3|
	s_delay_alu instid0(VALU_DEP_1) | instskip(NEXT) | instid1(VALU_DEP_1)
	v_floor_f32_e32 v4, v4
	v_fma_f32 v4, 0xcf800000, v4, |v3|
	v_ashrrev_i32_e32 v3, 31, v3
	s_delay_alu instid0(VALU_DEP_2) | instskip(NEXT) | instid1(VALU_DEP_1)
	v_cvt_u32_f32_e32 v4, v4
	v_xor_b32_e32 v4, v4, v3
	s_delay_alu instid0(VALU_DEP_1) | instskip(NEXT) | instid1(VALU_DEP_1)
	v_sub_nc_u32_e32 v3, v4, v3
	v_cndmask_b32_e32 v4, 0, v3, vcc_lo
	s_branch .LBB103_558
.LBB103_556:
	s_mov_b32 s50, -1
	s_mov_b32 s31, 0
	s_mov_b32 s29, s47
	s_branch .LBB103_667
.LBB103_557:
	s_mov_b32 s28, -1
                                        ; implicit-def: $vgpr4
.LBB103_558:
	s_mov_b32 s31, 0
.LBB103_559:
	s_delay_alu instid0(SALU_CYCLE_1)
	s_and_b32 vcc_lo, exec_lo, s31
	s_cbranch_vccz .LBB103_563
; %bb.560:
	s_cmp_eq_u32 s29, 29
	s_cbranch_scc0 .LBB103_562
; %bb.561:
	global_load_b64 v[4:5], v[10:11], off
	s_mov_b32 s30, -1
	s_mov_b32 s28, 0
	s_branch .LBB103_563
.LBB103_562:
	s_mov_b32 s28, -1
                                        ; implicit-def: $vgpr4
.LBB103_563:
	s_mov_b32 s31, 0
.LBB103_564:
	s_delay_alu instid0(SALU_CYCLE_1)
	s_and_b32 vcc_lo, exec_lo, s31
	s_cbranch_vccz .LBB103_580
; %bb.565:
	s_cmp_lt_i32 s29, 27
	s_cbranch_scc1 .LBB103_568
; %bb.566:
	s_cmp_gt_i32 s29, 27
	s_cbranch_scc0 .LBB103_569
; %bb.567:
	s_wait_loadcnt 0x0
	global_load_b32 v4, v[10:11], off
	s_mov_b32 s30, 0
	s_branch .LBB103_570
.LBB103_568:
	s_mov_b32 s30, -1
                                        ; implicit-def: $vgpr4
	s_branch .LBB103_573
.LBB103_569:
	s_mov_b32 s30, -1
                                        ; implicit-def: $vgpr4
.LBB103_570:
	s_delay_alu instid0(SALU_CYCLE_1)
	s_and_not1_b32 vcc_lo, exec_lo, s30
	s_cbranch_vccnz .LBB103_572
; %bb.571:
	s_wait_loadcnt 0x0
	global_load_u16 v4, v[10:11], off
.LBB103_572:
	s_mov_b32 s30, 0
.LBB103_573:
	s_delay_alu instid0(SALU_CYCLE_1)
	s_and_not1_b32 vcc_lo, exec_lo, s30
	s_cbranch_vccnz .LBB103_579
; %bb.574:
	global_load_u8 v1, v[10:11], off
	s_mov_b32 s31, 0
	s_mov_b32 s30, exec_lo
	s_wait_loadcnt 0x0
	v_cmpx_lt_i16_e32 0x7f, v1
	s_xor_b32 s30, exec_lo, s30
	s_cbranch_execz .LBB103_591
; %bb.575:
	v_cmp_ne_u16_e32 vcc_lo, 0x80, v1
	s_and_b32 s31, vcc_lo, exec_lo
	s_and_not1_saveexec_b32 s30, s30
	s_cbranch_execnz .LBB103_592
.LBB103_576:
	s_or_b32 exec_lo, exec_lo, s30
	v_mov_b32_e32 v4, 0
	s_and_saveexec_b32 s30, s31
	s_cbranch_execz .LBB103_578
.LBB103_577:
	v_and_b32_e32 v3, 0xffff, v1
	s_delay_alu instid0(VALU_DEP_1) | instskip(SKIP_1) | instid1(VALU_DEP_2)
	v_and_b32_e32 v4, 7, v3
	v_bfe_u32 v9, v3, 3, 4
	v_clz_i32_u32_e32 v5, v4
	s_delay_alu instid0(VALU_DEP_2) | instskip(NEXT) | instid1(VALU_DEP_2)
	v_cmp_eq_u32_e32 vcc_lo, 0, v9
	v_min_u32_e32 v5, 32, v5
	s_delay_alu instid0(VALU_DEP_1) | instskip(NEXT) | instid1(VALU_DEP_1)
	v_subrev_nc_u32_e32 v7, 28, v5
	v_dual_lshlrev_b32 v3, v7, v3 :: v_dual_sub_nc_u32 v5, 29, v5
	s_delay_alu instid0(VALU_DEP_1) | instskip(NEXT) | instid1(VALU_DEP_1)
	v_dual_lshlrev_b32 v1, 24, v1 :: v_dual_bitop2_b32 v3, 7, v3 bitop3:0x40
	v_dual_cndmask_b32 v3, v4, v3, vcc_lo :: v_dual_cndmask_b32 v5, v9, v5, vcc_lo
	s_delay_alu instid0(VALU_DEP_2) | instskip(NEXT) | instid1(VALU_DEP_2)
	v_and_b32_e32 v1, 0x80000000, v1
	v_lshlrev_b32_e32 v3, 20, v3
	s_delay_alu instid0(VALU_DEP_3) | instskip(NEXT) | instid1(VALU_DEP_1)
	v_lshl_add_u32 v4, v5, 23, 0x3b800000
	v_or3_b32 v1, v1, v4, v3
	s_delay_alu instid0(VALU_DEP_1) | instskip(NEXT) | instid1(VALU_DEP_1)
	v_trunc_f32_e32 v1, v1
	v_mul_f32_e64 v3, 0x2f800000, |v1|
	s_delay_alu instid0(VALU_DEP_1) | instskip(NEXT) | instid1(VALU_DEP_1)
	v_floor_f32_e32 v3, v3
	v_fma_f32 v3, 0xcf800000, v3, |v1|
	v_ashrrev_i32_e32 v1, 31, v1
	s_delay_alu instid0(VALU_DEP_2) | instskip(NEXT) | instid1(VALU_DEP_1)
	v_cvt_u32_f32_e32 v3, v3
	v_xor_b32_e32 v3, v3, v1
	s_delay_alu instid0(VALU_DEP_1)
	v_sub_nc_u32_e32 v4, v3, v1
.LBB103_578:
	s_or_b32 exec_lo, exec_lo, s30
.LBB103_579:
	s_mov_b32 s30, -1
.LBB103_580:
	s_mov_b32 s31, 0
.LBB103_581:
	s_delay_alu instid0(SALU_CYCLE_1)
	s_and_b32 vcc_lo, exec_lo, s31
	s_cbranch_vccz .LBB103_614
; %bb.582:
	s_cmp_gt_i32 s29, 22
	s_cbranch_scc0 .LBB103_590
; %bb.583:
	s_cmp_lt_i32 s29, 24
	s_cbranch_scc1 .LBB103_593
; %bb.584:
	s_cmp_gt_i32 s29, 24
	s_cbranch_scc0 .LBB103_594
; %bb.585:
	global_load_u8 v1, v[10:11], off
	s_mov_b32 s31, 0
	s_mov_b32 s30, exec_lo
	s_wait_loadcnt 0x0
	v_cmpx_lt_i16_e32 0x7f, v1
	s_xor_b32 s30, exec_lo, s30
	s_cbranch_execz .LBB103_606
; %bb.586:
	v_cmp_ne_u16_e32 vcc_lo, 0x80, v1
	s_and_b32 s31, vcc_lo, exec_lo
	s_and_not1_saveexec_b32 s30, s30
	s_cbranch_execnz .LBB103_607
.LBB103_587:
	s_or_b32 exec_lo, exec_lo, s30
	v_mov_b32_e32 v4, 0
	s_and_saveexec_b32 s30, s31
	s_cbranch_execz .LBB103_589
.LBB103_588:
	v_and_b32_e32 v3, 0xffff, v1
	s_delay_alu instid0(VALU_DEP_1) | instskip(SKIP_1) | instid1(VALU_DEP_2)
	v_and_b32_e32 v4, 3, v3
	v_bfe_u32 v9, v3, 2, 5
	v_clz_i32_u32_e32 v5, v4
	s_delay_alu instid0(VALU_DEP_2) | instskip(NEXT) | instid1(VALU_DEP_2)
	v_cmp_eq_u32_e32 vcc_lo, 0, v9
	v_min_u32_e32 v5, 32, v5
	s_delay_alu instid0(VALU_DEP_1) | instskip(NEXT) | instid1(VALU_DEP_1)
	v_subrev_nc_u32_e32 v7, 29, v5
	v_dual_lshlrev_b32 v3, v7, v3 :: v_dual_sub_nc_u32 v5, 30, v5
	s_delay_alu instid0(VALU_DEP_1) | instskip(NEXT) | instid1(VALU_DEP_1)
	v_dual_lshlrev_b32 v1, 24, v1 :: v_dual_bitop2_b32 v3, 3, v3 bitop3:0x40
	v_dual_cndmask_b32 v3, v4, v3, vcc_lo :: v_dual_cndmask_b32 v5, v9, v5, vcc_lo
	s_delay_alu instid0(VALU_DEP_2) | instskip(NEXT) | instid1(VALU_DEP_2)
	v_and_b32_e32 v1, 0x80000000, v1
	v_lshlrev_b32_e32 v3, 21, v3
	s_delay_alu instid0(VALU_DEP_3) | instskip(NEXT) | instid1(VALU_DEP_1)
	v_lshl_add_u32 v4, v5, 23, 0x37800000
	v_or3_b32 v1, v1, v4, v3
	s_delay_alu instid0(VALU_DEP_1) | instskip(NEXT) | instid1(VALU_DEP_1)
	v_trunc_f32_e32 v1, v1
	v_mul_f32_e64 v3, 0x2f800000, |v1|
	s_delay_alu instid0(VALU_DEP_1) | instskip(NEXT) | instid1(VALU_DEP_1)
	v_floor_f32_e32 v3, v3
	v_fma_f32 v3, 0xcf800000, v3, |v1|
	v_ashrrev_i32_e32 v1, 31, v1
	s_delay_alu instid0(VALU_DEP_2) | instskip(NEXT) | instid1(VALU_DEP_1)
	v_cvt_u32_f32_e32 v3, v3
	v_xor_b32_e32 v3, v3, v1
	s_delay_alu instid0(VALU_DEP_1)
	v_sub_nc_u32_e32 v4, v3, v1
.LBB103_589:
	s_or_b32 exec_lo, exec_lo, s30
	s_mov_b32 s30, 0
	s_branch .LBB103_595
.LBB103_590:
	s_mov_b32 s31, -1
                                        ; implicit-def: $vgpr4
	s_branch .LBB103_601
.LBB103_591:
	s_and_not1_saveexec_b32 s30, s30
	s_cbranch_execz .LBB103_576
.LBB103_592:
	v_cmp_ne_u16_e32 vcc_lo, 0, v1
	s_and_not1_b32 s31, s31, exec_lo
	s_and_b32 s50, vcc_lo, exec_lo
	s_delay_alu instid0(SALU_CYCLE_1)
	s_or_b32 s31, s31, s50
	s_or_b32 exec_lo, exec_lo, s30
	v_mov_b32_e32 v4, 0
	s_and_saveexec_b32 s30, s31
	s_cbranch_execnz .LBB103_577
	s_branch .LBB103_578
.LBB103_593:
	s_mov_b32 s30, -1
                                        ; implicit-def: $vgpr4
	s_branch .LBB103_598
.LBB103_594:
	s_mov_b32 s30, -1
                                        ; implicit-def: $vgpr4
.LBB103_595:
	s_delay_alu instid0(SALU_CYCLE_1)
	s_and_b32 vcc_lo, exec_lo, s30
	s_cbranch_vccz .LBB103_597
; %bb.596:
	global_load_u8 v1, v[10:11], off
	s_wait_loadcnt 0x0
	v_lshlrev_b32_e32 v1, 24, v1
	s_delay_alu instid0(VALU_DEP_1) | instskip(NEXT) | instid1(VALU_DEP_1)
	v_and_b32_e32 v3, 0x7f000000, v1
	v_clz_i32_u32_e32 v4, v3
	v_add_nc_u32_e32 v7, 0x1000000, v3
	v_cmp_ne_u32_e32 vcc_lo, 0, v3
	s_delay_alu instid0(VALU_DEP_3) | instskip(NEXT) | instid1(VALU_DEP_1)
	v_min_u32_e32 v4, 32, v4
	v_sub_nc_u32_e64 v4, v4, 4 clamp
	s_delay_alu instid0(VALU_DEP_1) | instskip(NEXT) | instid1(VALU_DEP_1)
	v_dual_lshlrev_b32 v5, v4, v3 :: v_dual_lshlrev_b32 v4, 23, v4
	v_lshrrev_b32_e32 v5, 4, v5
	s_delay_alu instid0(VALU_DEP_1) | instskip(NEXT) | instid1(VALU_DEP_1)
	v_dual_sub_nc_u32 v4, v5, v4 :: v_dual_ashrrev_i32 v5, 8, v7
	v_add_nc_u32_e32 v4, 0x3c000000, v4
	s_delay_alu instid0(VALU_DEP_1) | instskip(NEXT) | instid1(VALU_DEP_1)
	v_and_or_b32 v4, 0x7f800000, v5, v4
	v_cndmask_b32_e32 v3, 0, v4, vcc_lo
	s_delay_alu instid0(VALU_DEP_1) | instskip(NEXT) | instid1(VALU_DEP_1)
	v_and_or_b32 v1, 0x80000000, v1, v3
	v_trunc_f32_e32 v1, v1
	s_delay_alu instid0(VALU_DEP_1) | instskip(NEXT) | instid1(VALU_DEP_1)
	v_mul_f32_e64 v3, 0x2f800000, |v1|
	v_floor_f32_e32 v3, v3
	s_delay_alu instid0(VALU_DEP_1) | instskip(SKIP_1) | instid1(VALU_DEP_2)
	v_fma_f32 v3, 0xcf800000, v3, |v1|
	v_ashrrev_i32_e32 v1, 31, v1
	v_cvt_u32_f32_e32 v3, v3
	s_delay_alu instid0(VALU_DEP_1) | instskip(NEXT) | instid1(VALU_DEP_1)
	v_xor_b32_e32 v3, v3, v1
	v_sub_nc_u32_e32 v4, v3, v1
.LBB103_597:
	s_mov_b32 s30, 0
.LBB103_598:
	s_delay_alu instid0(SALU_CYCLE_1)
	s_and_not1_b32 vcc_lo, exec_lo, s30
	s_cbranch_vccnz .LBB103_600
; %bb.599:
	global_load_u8 v1, v[10:11], off
	s_wait_loadcnt 0x0
	v_lshlrev_b32_e32 v3, 25, v1
	v_lshlrev_b16 v1, 8, v1
	s_delay_alu instid0(VALU_DEP_1) | instskip(NEXT) | instid1(VALU_DEP_3)
	v_and_or_b32 v5, 0x7f00, v1, 0.5
	v_lshrrev_b32_e32 v4, 4, v3
	v_bfe_i32 v1, v1, 0, 16
	s_delay_alu instid0(VALU_DEP_3) | instskip(NEXT) | instid1(VALU_DEP_3)
	v_add_f32_e32 v5, -0.5, v5
	v_or_b32_e32 v4, 0x70000000, v4
	s_delay_alu instid0(VALU_DEP_1) | instskip(SKIP_1) | instid1(VALU_DEP_2)
	v_mul_f32_e32 v4, 0x7800000, v4
	v_cmp_gt_u32_e32 vcc_lo, 0x8000000, v3
	v_cndmask_b32_e32 v3, v4, v5, vcc_lo
	s_delay_alu instid0(VALU_DEP_1) | instskip(NEXT) | instid1(VALU_DEP_1)
	v_and_or_b32 v1, 0x80000000, v1, v3
	v_trunc_f32_e32 v1, v1
	s_delay_alu instid0(VALU_DEP_1) | instskip(NEXT) | instid1(VALU_DEP_1)
	v_mul_f32_e64 v3, 0x2f800000, |v1|
	v_floor_f32_e32 v3, v3
	s_delay_alu instid0(VALU_DEP_1) | instskip(SKIP_1) | instid1(VALU_DEP_2)
	v_fma_f32 v3, 0xcf800000, v3, |v1|
	v_ashrrev_i32_e32 v1, 31, v1
	v_cvt_u32_f32_e32 v3, v3
	s_delay_alu instid0(VALU_DEP_1) | instskip(NEXT) | instid1(VALU_DEP_1)
	v_xor_b32_e32 v3, v3, v1
	v_sub_nc_u32_e32 v4, v3, v1
.LBB103_600:
	s_mov_b32 s31, 0
	s_mov_b32 s30, -1
.LBB103_601:
	s_and_not1_b32 vcc_lo, exec_lo, s31
	s_cbranch_vccnz .LBB103_614
; %bb.602:
	s_cmp_gt_i32 s29, 14
	s_cbranch_scc0 .LBB103_605
; %bb.603:
	s_cmp_eq_u32 s29, 15
	s_cbranch_scc0 .LBB103_608
; %bb.604:
	global_load_u16 v1, v[10:11], off
	s_mov_b32 s30, -1
	s_mov_b32 s28, 0
	s_wait_loadcnt 0x0
	v_lshlrev_b32_e32 v1, 16, v1
	s_delay_alu instid0(VALU_DEP_1) | instskip(NEXT) | instid1(VALU_DEP_1)
	v_trunc_f32_e32 v1, v1
	v_mul_f32_e64 v3, 0x2f800000, |v1|
	s_delay_alu instid0(VALU_DEP_1) | instskip(NEXT) | instid1(VALU_DEP_1)
	v_floor_f32_e32 v3, v3
	v_fma_f32 v3, 0xcf800000, v3, |v1|
	v_ashrrev_i32_e32 v1, 31, v1
	s_delay_alu instid0(VALU_DEP_2) | instskip(NEXT) | instid1(VALU_DEP_1)
	v_cvt_u32_f32_e32 v3, v3
	v_xor_b32_e32 v3, v3, v1
	s_delay_alu instid0(VALU_DEP_1)
	v_sub_nc_u32_e32 v4, v3, v1
	s_branch .LBB103_609
.LBB103_605:
	s_mov_b32 s31, -1
                                        ; implicit-def: $vgpr4
	s_branch .LBB103_610
.LBB103_606:
	s_and_not1_saveexec_b32 s30, s30
	s_cbranch_execz .LBB103_587
.LBB103_607:
	v_cmp_ne_u16_e32 vcc_lo, 0, v1
	s_and_not1_b32 s31, s31, exec_lo
	s_and_b32 s50, vcc_lo, exec_lo
	s_delay_alu instid0(SALU_CYCLE_1)
	s_or_b32 s31, s31, s50
	s_or_b32 exec_lo, exec_lo, s30
	v_mov_b32_e32 v4, 0
	s_and_saveexec_b32 s30, s31
	s_cbranch_execnz .LBB103_588
	s_branch .LBB103_589
.LBB103_608:
	s_mov_b32 s28, -1
                                        ; implicit-def: $vgpr4
.LBB103_609:
	s_mov_b32 s31, 0
.LBB103_610:
	s_delay_alu instid0(SALU_CYCLE_1)
	s_and_b32 vcc_lo, exec_lo, s31
	s_cbranch_vccz .LBB103_614
; %bb.611:
	s_cmp_eq_u32 s29, 11
	s_cbranch_scc0 .LBB103_613
; %bb.612:
	global_load_u8 v1, v[10:11], off
	s_mov_b32 s28, 0
	s_mov_b32 s30, -1
	s_wait_loadcnt 0x0
	v_cmp_ne_u16_e32 vcc_lo, 0, v1
	v_cndmask_b32_e64 v4, 0, 1, vcc_lo
	s_branch .LBB103_614
.LBB103_613:
	s_mov_b32 s28, -1
                                        ; implicit-def: $vgpr4
.LBB103_614:
	s_branch .LBB103_535
.LBB103_615:
	s_and_b32 s0, 0xffff, s0
	s_delay_alu instid0(SALU_CYCLE_1)
	s_cmp_lt_i32 s0, 5
	s_cbranch_scc1 .LBB103_620
; %bb.616:
	s_cmp_lt_i32 s0, 8
	s_cbranch_scc1 .LBB103_621
; %bb.617:
	;; [unrolled: 3-line block ×3, first 2 shown]
	s_cmp_gt_i32 s0, 9
	s_cbranch_scc0 .LBB103_623
; %bb.619:
	s_wait_loadcnt 0x0
	global_load_b64 v[4:5], v[10:11], off
	s_mov_b32 s29, 0
	s_wait_loadcnt 0x0
	v_trunc_f64_e32 v[4:5], v[4:5]
	s_delay_alu instid0(VALU_DEP_1) | instskip(NEXT) | instid1(VALU_DEP_1)
	v_ldexp_f64 v[12:13], v[4:5], 0xffffffe0
	v_floor_f64_e32 v[12:13], v[12:13]
	s_delay_alu instid0(VALU_DEP_1) | instskip(NEXT) | instid1(VALU_DEP_1)
	v_fmamk_f64 v[4:5], v[12:13], 0xc1f00000, v[4:5]
	v_cvt_u32_f64_e32 v4, v[4:5]
	s_branch .LBB103_624
.LBB103_620:
	s_mov_b32 s29, -1
                                        ; implicit-def: $vgpr4
	s_branch .LBB103_642
.LBB103_621:
	s_mov_b32 s29, -1
                                        ; implicit-def: $vgpr4
	s_branch .LBB103_630
.LBB103_622:
	s_mov_b32 s29, -1
                                        ; implicit-def: $vgpr4
	s_branch .LBB103_627
.LBB103_623:
	s_mov_b32 s29, -1
                                        ; implicit-def: $vgpr4
.LBB103_624:
	s_delay_alu instid0(SALU_CYCLE_1)
	s_and_not1_b32 vcc_lo, exec_lo, s29
	s_cbranch_vccnz .LBB103_626
; %bb.625:
	global_load_b32 v1, v[10:11], off
	s_wait_loadcnt 0x0
	v_trunc_f32_e32 v1, v1
	s_delay_alu instid0(VALU_DEP_1) | instskip(NEXT) | instid1(VALU_DEP_1)
	v_mul_f32_e64 v3, 0x2f800000, |v1|
	v_floor_f32_e32 v3, v3
	s_delay_alu instid0(VALU_DEP_1) | instskip(SKIP_1) | instid1(VALU_DEP_2)
	v_fma_f32 v3, 0xcf800000, v3, |v1|
	v_ashrrev_i32_e32 v1, 31, v1
	v_cvt_u32_f32_e32 v3, v3
	s_delay_alu instid0(VALU_DEP_1) | instskip(NEXT) | instid1(VALU_DEP_1)
	v_xor_b32_e32 v3, v3, v1
	v_sub_nc_u32_e32 v4, v3, v1
.LBB103_626:
	s_mov_b32 s29, 0
.LBB103_627:
	s_delay_alu instid0(SALU_CYCLE_1)
	s_and_not1_b32 vcc_lo, exec_lo, s29
	s_cbranch_vccnz .LBB103_629
; %bb.628:
	global_load_b32 v1, v[10:11], off
	s_wait_loadcnt 0x0
	v_cvt_f32_f16_e32 v1, v1
	s_delay_alu instid0(VALU_DEP_1)
	v_cvt_i32_f32_e32 v4, v1
.LBB103_629:
	s_mov_b32 s29, 0
.LBB103_630:
	s_delay_alu instid0(SALU_CYCLE_1)
	s_and_not1_b32 vcc_lo, exec_lo, s29
	s_cbranch_vccnz .LBB103_641
; %bb.631:
	s_cmp_lt_i32 s0, 6
	s_cbranch_scc1 .LBB103_634
; %bb.632:
	s_cmp_gt_i32 s0, 6
	s_cbranch_scc0 .LBB103_635
; %bb.633:
	s_wait_loadcnt 0x0
	global_load_b64 v[4:5], v[10:11], off
	s_mov_b32 s29, 0
	s_wait_loadcnt 0x0
	v_trunc_f64_e32 v[4:5], v[4:5]
	s_delay_alu instid0(VALU_DEP_1) | instskip(NEXT) | instid1(VALU_DEP_1)
	v_ldexp_f64 v[12:13], v[4:5], 0xffffffe0
	v_floor_f64_e32 v[12:13], v[12:13]
	s_delay_alu instid0(VALU_DEP_1) | instskip(NEXT) | instid1(VALU_DEP_1)
	v_fmamk_f64 v[4:5], v[12:13], 0xc1f00000, v[4:5]
	v_cvt_u32_f64_e32 v4, v[4:5]
	s_branch .LBB103_636
.LBB103_634:
	s_mov_b32 s29, -1
                                        ; implicit-def: $vgpr4
	s_branch .LBB103_639
.LBB103_635:
	s_mov_b32 s29, -1
                                        ; implicit-def: $vgpr4
.LBB103_636:
	s_delay_alu instid0(SALU_CYCLE_1)
	s_and_not1_b32 vcc_lo, exec_lo, s29
	s_cbranch_vccnz .LBB103_638
; %bb.637:
	global_load_b32 v1, v[10:11], off
	s_wait_loadcnt 0x0
	v_trunc_f32_e32 v1, v1
	s_delay_alu instid0(VALU_DEP_1) | instskip(NEXT) | instid1(VALU_DEP_1)
	v_mul_f32_e64 v3, 0x2f800000, |v1|
	v_floor_f32_e32 v3, v3
	s_delay_alu instid0(VALU_DEP_1) | instskip(SKIP_1) | instid1(VALU_DEP_2)
	v_fma_f32 v3, 0xcf800000, v3, |v1|
	v_ashrrev_i32_e32 v1, 31, v1
	v_cvt_u32_f32_e32 v3, v3
	s_delay_alu instid0(VALU_DEP_1) | instskip(NEXT) | instid1(VALU_DEP_1)
	v_xor_b32_e32 v3, v3, v1
	v_sub_nc_u32_e32 v4, v3, v1
.LBB103_638:
	s_mov_b32 s29, 0
.LBB103_639:
	s_delay_alu instid0(SALU_CYCLE_1)
	s_and_not1_b32 vcc_lo, exec_lo, s29
	s_cbranch_vccnz .LBB103_641
; %bb.640:
	global_load_u16 v1, v[10:11], off
	s_wait_loadcnt 0x0
	v_cvt_f32_f16_e32 v1, v1
	s_delay_alu instid0(VALU_DEP_1)
	v_cvt_i32_f32_e32 v4, v1
.LBB103_641:
	s_mov_b32 s29, 0
.LBB103_642:
	s_delay_alu instid0(SALU_CYCLE_1)
	s_and_not1_b32 vcc_lo, exec_lo, s29
	s_cbranch_vccnz .LBB103_662
; %bb.643:
	s_cmp_lt_i32 s0, 2
	s_cbranch_scc1 .LBB103_647
; %bb.644:
	s_cmp_lt_i32 s0, 3
	s_cbranch_scc1 .LBB103_648
; %bb.645:
	s_cmp_gt_i32 s0, 3
	s_cbranch_scc0 .LBB103_649
; %bb.646:
	s_wait_loadcnt 0x0
	global_load_b64 v[4:5], v[10:11], off
	s_mov_b32 s29, 0
	s_branch .LBB103_650
.LBB103_647:
	s_mov_b32 s29, -1
                                        ; implicit-def: $vgpr4
	s_branch .LBB103_656
.LBB103_648:
	s_mov_b32 s29, -1
                                        ; implicit-def: $vgpr4
	s_branch .LBB103_653
.LBB103_649:
	s_mov_b32 s29, -1
                                        ; implicit-def: $vgpr4
.LBB103_650:
	s_delay_alu instid0(SALU_CYCLE_1)
	s_and_not1_b32 vcc_lo, exec_lo, s29
	s_cbranch_vccnz .LBB103_652
; %bb.651:
	s_wait_loadcnt 0x0
	global_load_b32 v4, v[10:11], off
.LBB103_652:
	s_mov_b32 s29, 0
.LBB103_653:
	s_delay_alu instid0(SALU_CYCLE_1)
	s_and_not1_b32 vcc_lo, exec_lo, s29
	s_cbranch_vccnz .LBB103_655
; %bb.654:
	s_wait_loadcnt 0x0
	global_load_u16 v4, v[10:11], off
.LBB103_655:
	s_mov_b32 s29, 0
.LBB103_656:
	s_delay_alu instid0(SALU_CYCLE_1)
	s_and_not1_b32 vcc_lo, exec_lo, s29
	s_cbranch_vccnz .LBB103_662
; %bb.657:
	s_cmp_gt_i32 s0, 0
	s_mov_b32 s0, 0
	s_cbranch_scc0 .LBB103_659
; %bb.658:
	s_wait_loadcnt 0x0
	global_load_u8 v4, v[10:11], off
	s_branch .LBB103_660
.LBB103_659:
	s_mov_b32 s0, -1
                                        ; implicit-def: $vgpr4
.LBB103_660:
	s_delay_alu instid0(SALU_CYCLE_1)
	s_and_not1_b32 vcc_lo, exec_lo, s0
	s_cbranch_vccnz .LBB103_662
; %bb.661:
	s_wait_loadcnt 0x0
	global_load_u8 v4, v[10:11], off
.LBB103_662:
	s_branch .LBB103_536
.LBB103_663:
	s_mov_b32 s31, 0
	s_mov_b32 s0, s42
	;; [unrolled: 1-line block ×4, first 2 shown]
	s_branch .LBB103_1031
.LBB103_664:
	s_and_not1_saveexec_b32 s48, s48
	s_cbranch_execz .LBB103_420
.LBB103_665:
	v_add_f32_e32 v4, 0x46000000, v5
	s_and_not1_b32 s47, s47, exec_lo
	s_delay_alu instid0(VALU_DEP_1) | instskip(NEXT) | instid1(VALU_DEP_1)
	v_and_b32_e32 v4, 0xff, v4
	v_cmp_ne_u32_e32 vcc_lo, 0, v4
	s_and_b32 s50, vcc_lo, exec_lo
	s_delay_alu instid0(SALU_CYCLE_1)
	s_or_b32 s47, s47, s50
	s_or_b32 exec_lo, exec_lo, s48
	v_mov_b32_e32 v6, 0
	s_and_saveexec_b32 s48, s47
	s_cbranch_execnz .LBB103_421
	s_branch .LBB103_422
.LBB103_666:
	s_mov_b32 s29, -1
	s_mov_b32 s31, 0
.LBB103_667:
                                        ; implicit-def: $vgpr8
.LBB103_668:
	s_and_b32 vcc_lo, exec_lo, s50
	s_cbranch_vccz .LBB103_672
; %bb.669:
	s_cmp_eq_u32 s30, 44
	s_cbranch_scc0 .LBB103_671
; %bb.670:
	global_load_u8 v1, v[10:11], off
	s_mov_b32 s29, 0
	s_mov_b32 s31, -1
	s_wait_loadcnt 0x0
	v_lshlrev_b32_e32 v3, 23, v1
	v_cmp_ne_u32_e32 vcc_lo, 0, v1
	s_delay_alu instid0(VALU_DEP_2) | instskip(NEXT) | instid1(VALU_DEP_1)
	v_trunc_f32_e32 v3, v3
	v_mul_f32_e64 v5, 0x2f800000, |v3|
	s_delay_alu instid0(VALU_DEP_1) | instskip(NEXT) | instid1(VALU_DEP_1)
	v_floor_f32_e32 v5, v5
	v_fma_f32 v5, 0xcf800000, v5, |v3|
	v_ashrrev_i32_e32 v3, 31, v3
	s_delay_alu instid0(VALU_DEP_2) | instskip(NEXT) | instid1(VALU_DEP_1)
	v_cvt_u32_f32_e32 v5, v5
	v_xor_b32_e32 v5, v5, v3
	s_delay_alu instid0(VALU_DEP_1) | instskip(NEXT) | instid1(VALU_DEP_1)
	v_sub_nc_u32_e32 v3, v5, v3
	v_cndmask_b32_e32 v8, 0, v3, vcc_lo
	s_branch .LBB103_672
.LBB103_671:
	s_mov_b32 s29, -1
                                        ; implicit-def: $vgpr8
.LBB103_672:
	s_mov_b32 s50, 0
.LBB103_673:
	s_delay_alu instid0(SALU_CYCLE_1)
	s_and_b32 vcc_lo, exec_lo, s50
	s_cbranch_vccz .LBB103_677
; %bb.674:
	s_cmp_eq_u32 s30, 29
	s_cbranch_scc0 .LBB103_676
; %bb.675:
	global_load_b64 v[8:9], v[10:11], off
	s_mov_b32 s31, -1
	s_mov_b32 s29, 0
	s_branch .LBB103_677
.LBB103_676:
	s_mov_b32 s29, -1
                                        ; implicit-def: $vgpr8
.LBB103_677:
	s_mov_b32 s50, 0
.LBB103_678:
	s_delay_alu instid0(SALU_CYCLE_1)
	s_and_b32 vcc_lo, exec_lo, s50
	s_cbranch_vccz .LBB103_694
; %bb.679:
	s_cmp_lt_i32 s30, 27
	s_cbranch_scc1 .LBB103_682
; %bb.680:
	s_cmp_gt_i32 s30, 27
	s_cbranch_scc0 .LBB103_683
; %bb.681:
	s_wait_loadcnt 0x0
	global_load_b32 v8, v[10:11], off
	s_mov_b32 s31, 0
	s_branch .LBB103_684
.LBB103_682:
	s_mov_b32 s31, -1
                                        ; implicit-def: $vgpr8
	s_branch .LBB103_687
.LBB103_683:
	s_mov_b32 s31, -1
                                        ; implicit-def: $vgpr8
.LBB103_684:
	s_delay_alu instid0(SALU_CYCLE_1)
	s_and_not1_b32 vcc_lo, exec_lo, s31
	s_cbranch_vccnz .LBB103_686
; %bb.685:
	s_wait_loadcnt 0x0
	global_load_u16 v8, v[10:11], off
.LBB103_686:
	s_mov_b32 s31, 0
.LBB103_687:
	s_delay_alu instid0(SALU_CYCLE_1)
	s_and_not1_b32 vcc_lo, exec_lo, s31
	s_cbranch_vccnz .LBB103_693
; %bb.688:
	global_load_u8 v1, v[10:11], off
	s_mov_b32 s50, 0
	s_mov_b32 s31, exec_lo
	s_wait_loadcnt 0x0
	v_cmpx_lt_i16_e32 0x7f, v1
	s_xor_b32 s31, exec_lo, s31
	s_cbranch_execz .LBB103_705
; %bb.689:
	v_cmp_ne_u16_e32 vcc_lo, 0x80, v1
	s_and_b32 s50, vcc_lo, exec_lo
	s_and_not1_saveexec_b32 s31, s31
	s_cbranch_execnz .LBB103_706
.LBB103_690:
	s_or_b32 exec_lo, exec_lo, s31
	v_mov_b32_e32 v8, 0
	s_and_saveexec_b32 s31, s50
	s_cbranch_execz .LBB103_692
.LBB103_691:
	v_and_b32_e32 v3, 0xffff, v1
	s_delay_alu instid0(VALU_DEP_1) | instskip(SKIP_1) | instid1(VALU_DEP_2)
	v_dual_lshlrev_b32 v1, 24, v1 :: v_dual_bitop2_b32 v5, 7, v3 bitop3:0x40
	v_bfe_u32 v9, v3, 3, 4
	v_and_b32_e32 v1, 0x80000000, v1
	s_delay_alu instid0(VALU_DEP_3) | instskip(NEXT) | instid1(VALU_DEP_3)
	v_clz_i32_u32_e32 v7, v5
	v_cmp_eq_u32_e32 vcc_lo, 0, v9
	s_delay_alu instid0(VALU_DEP_2) | instskip(NEXT) | instid1(VALU_DEP_1)
	v_min_u32_e32 v7, 32, v7
	v_subrev_nc_u32_e32 v8, 28, v7
	v_sub_nc_u32_e32 v7, 29, v7
	s_delay_alu instid0(VALU_DEP_2) | instskip(NEXT) | instid1(VALU_DEP_2)
	v_lshlrev_b32_e32 v3, v8, v3
	v_cndmask_b32_e32 v7, v9, v7, vcc_lo
	s_delay_alu instid0(VALU_DEP_2) | instskip(NEXT) | instid1(VALU_DEP_1)
	v_and_b32_e32 v3, 7, v3
	v_cndmask_b32_e32 v3, v5, v3, vcc_lo
	s_delay_alu instid0(VALU_DEP_3) | instskip(NEXT) | instid1(VALU_DEP_2)
	v_lshl_add_u32 v5, v7, 23, 0x3b800000
	v_lshlrev_b32_e32 v3, 20, v3
	s_delay_alu instid0(VALU_DEP_1) | instskip(NEXT) | instid1(VALU_DEP_1)
	v_or3_b32 v1, v1, v5, v3
	v_trunc_f32_e32 v1, v1
	s_delay_alu instid0(VALU_DEP_1) | instskip(NEXT) | instid1(VALU_DEP_1)
	v_mul_f32_e64 v3, 0x2f800000, |v1|
	v_floor_f32_e32 v3, v3
	s_delay_alu instid0(VALU_DEP_1) | instskip(SKIP_1) | instid1(VALU_DEP_2)
	v_fma_f32 v3, 0xcf800000, v3, |v1|
	v_ashrrev_i32_e32 v1, 31, v1
	v_cvt_u32_f32_e32 v3, v3
	s_delay_alu instid0(VALU_DEP_1) | instskip(NEXT) | instid1(VALU_DEP_1)
	v_xor_b32_e32 v3, v3, v1
	v_sub_nc_u32_e32 v8, v3, v1
.LBB103_692:
	s_or_b32 exec_lo, exec_lo, s31
.LBB103_693:
	s_mov_b32 s31, -1
.LBB103_694:
	s_mov_b32 s50, 0
.LBB103_695:
	s_delay_alu instid0(SALU_CYCLE_1)
	s_and_b32 vcc_lo, exec_lo, s50
	s_cbranch_vccz .LBB103_728
; %bb.696:
	s_cmp_gt_i32 s30, 22
	s_cbranch_scc0 .LBB103_704
; %bb.697:
	s_cmp_lt_i32 s30, 24
	s_cbranch_scc1 .LBB103_707
; %bb.698:
	s_cmp_gt_i32 s30, 24
	s_cbranch_scc0 .LBB103_708
; %bb.699:
	global_load_u8 v1, v[10:11], off
	s_mov_b32 s50, 0
	s_mov_b32 s31, exec_lo
	s_wait_loadcnt 0x0
	v_cmpx_lt_i16_e32 0x7f, v1
	s_xor_b32 s31, exec_lo, s31
	s_cbranch_execz .LBB103_720
; %bb.700:
	v_cmp_ne_u16_e32 vcc_lo, 0x80, v1
	s_and_b32 s50, vcc_lo, exec_lo
	s_and_not1_saveexec_b32 s31, s31
	s_cbranch_execnz .LBB103_721
.LBB103_701:
	s_or_b32 exec_lo, exec_lo, s31
	v_mov_b32_e32 v8, 0
	s_and_saveexec_b32 s31, s50
	s_cbranch_execz .LBB103_703
.LBB103_702:
	v_and_b32_e32 v3, 0xffff, v1
	s_delay_alu instid0(VALU_DEP_1) | instskip(SKIP_1) | instid1(VALU_DEP_2)
	v_dual_lshlrev_b32 v1, 24, v1 :: v_dual_bitop2_b32 v5, 3, v3 bitop3:0x40
	v_bfe_u32 v9, v3, 2, 5
	v_and_b32_e32 v1, 0x80000000, v1
	s_delay_alu instid0(VALU_DEP_3) | instskip(NEXT) | instid1(VALU_DEP_3)
	v_clz_i32_u32_e32 v7, v5
	v_cmp_eq_u32_e32 vcc_lo, 0, v9
	s_delay_alu instid0(VALU_DEP_2) | instskip(NEXT) | instid1(VALU_DEP_1)
	v_min_u32_e32 v7, 32, v7
	v_subrev_nc_u32_e32 v8, 29, v7
	v_sub_nc_u32_e32 v7, 30, v7
	s_delay_alu instid0(VALU_DEP_2) | instskip(NEXT) | instid1(VALU_DEP_2)
	v_lshlrev_b32_e32 v3, v8, v3
	v_cndmask_b32_e32 v7, v9, v7, vcc_lo
	s_delay_alu instid0(VALU_DEP_2) | instskip(NEXT) | instid1(VALU_DEP_1)
	v_and_b32_e32 v3, 3, v3
	v_cndmask_b32_e32 v3, v5, v3, vcc_lo
	s_delay_alu instid0(VALU_DEP_3) | instskip(NEXT) | instid1(VALU_DEP_2)
	v_lshl_add_u32 v5, v7, 23, 0x37800000
	v_lshlrev_b32_e32 v3, 21, v3
	s_delay_alu instid0(VALU_DEP_1) | instskip(NEXT) | instid1(VALU_DEP_1)
	v_or3_b32 v1, v1, v5, v3
	v_trunc_f32_e32 v1, v1
	s_delay_alu instid0(VALU_DEP_1) | instskip(NEXT) | instid1(VALU_DEP_1)
	v_mul_f32_e64 v3, 0x2f800000, |v1|
	v_floor_f32_e32 v3, v3
	s_delay_alu instid0(VALU_DEP_1) | instskip(SKIP_1) | instid1(VALU_DEP_2)
	v_fma_f32 v3, 0xcf800000, v3, |v1|
	v_ashrrev_i32_e32 v1, 31, v1
	v_cvt_u32_f32_e32 v3, v3
	s_delay_alu instid0(VALU_DEP_1) | instskip(NEXT) | instid1(VALU_DEP_1)
	v_xor_b32_e32 v3, v3, v1
	v_sub_nc_u32_e32 v8, v3, v1
.LBB103_703:
	s_or_b32 exec_lo, exec_lo, s31
	s_mov_b32 s31, 0
	s_branch .LBB103_709
.LBB103_704:
	s_mov_b32 s50, -1
                                        ; implicit-def: $vgpr8
	s_branch .LBB103_715
.LBB103_705:
	s_and_not1_saveexec_b32 s31, s31
	s_cbranch_execz .LBB103_690
.LBB103_706:
	v_cmp_ne_u16_e32 vcc_lo, 0, v1
	s_and_not1_b32 s50, s50, exec_lo
	s_and_b32 s51, vcc_lo, exec_lo
	s_delay_alu instid0(SALU_CYCLE_1)
	s_or_b32 s50, s50, s51
	s_or_b32 exec_lo, exec_lo, s31
	v_mov_b32_e32 v8, 0
	s_and_saveexec_b32 s31, s50
	s_cbranch_execnz .LBB103_691
	s_branch .LBB103_692
.LBB103_707:
	s_mov_b32 s31, -1
                                        ; implicit-def: $vgpr8
	s_branch .LBB103_712
.LBB103_708:
	s_mov_b32 s31, -1
                                        ; implicit-def: $vgpr8
.LBB103_709:
	s_delay_alu instid0(SALU_CYCLE_1)
	s_and_b32 vcc_lo, exec_lo, s31
	s_cbranch_vccz .LBB103_711
; %bb.710:
	global_load_u8 v1, v[10:11], off
	s_wait_loadcnt 0x0
	v_lshlrev_b32_e32 v1, 24, v1
	s_delay_alu instid0(VALU_DEP_1) | instskip(NEXT) | instid1(VALU_DEP_1)
	v_and_b32_e32 v3, 0x7f000000, v1
	v_clz_i32_u32_e32 v5, v3
	v_cmp_ne_u32_e32 vcc_lo, 0, v3
	v_add_nc_u32_e32 v8, 0x1000000, v3
	s_delay_alu instid0(VALU_DEP_3) | instskip(NEXT) | instid1(VALU_DEP_1)
	v_min_u32_e32 v5, 32, v5
	v_sub_nc_u32_e64 v5, v5, 4 clamp
	s_delay_alu instid0(VALU_DEP_1) | instskip(NEXT) | instid1(VALU_DEP_1)
	v_dual_lshlrev_b32 v7, v5, v3 :: v_dual_lshlrev_b32 v5, 23, v5
	v_lshrrev_b32_e32 v7, 4, v7
	s_delay_alu instid0(VALU_DEP_1) | instskip(NEXT) | instid1(VALU_DEP_1)
	v_dual_sub_nc_u32 v5, v7, v5 :: v_dual_ashrrev_i32 v7, 8, v8
	v_add_nc_u32_e32 v5, 0x3c000000, v5
	s_delay_alu instid0(VALU_DEP_1) | instskip(NEXT) | instid1(VALU_DEP_1)
	v_and_or_b32 v5, 0x7f800000, v7, v5
	v_cndmask_b32_e32 v3, 0, v5, vcc_lo
	s_delay_alu instid0(VALU_DEP_1) | instskip(NEXT) | instid1(VALU_DEP_1)
	v_and_or_b32 v1, 0x80000000, v1, v3
	v_trunc_f32_e32 v1, v1
	s_delay_alu instid0(VALU_DEP_1) | instskip(NEXT) | instid1(VALU_DEP_1)
	v_mul_f32_e64 v3, 0x2f800000, |v1|
	v_floor_f32_e32 v3, v3
	s_delay_alu instid0(VALU_DEP_1) | instskip(SKIP_1) | instid1(VALU_DEP_2)
	v_fma_f32 v3, 0xcf800000, v3, |v1|
	v_ashrrev_i32_e32 v1, 31, v1
	v_cvt_u32_f32_e32 v3, v3
	s_delay_alu instid0(VALU_DEP_1) | instskip(NEXT) | instid1(VALU_DEP_1)
	v_xor_b32_e32 v3, v3, v1
	v_sub_nc_u32_e32 v8, v3, v1
.LBB103_711:
	s_mov_b32 s31, 0
.LBB103_712:
	s_delay_alu instid0(SALU_CYCLE_1)
	s_and_not1_b32 vcc_lo, exec_lo, s31
	s_cbranch_vccnz .LBB103_714
; %bb.713:
	global_load_u8 v1, v[10:11], off
	s_wait_loadcnt 0x0
	v_lshlrev_b32_e32 v3, 25, v1
	v_lshlrev_b16 v1, 8, v1
	s_delay_alu instid0(VALU_DEP_1) | instskip(SKIP_1) | instid1(VALU_DEP_2)
	v_and_or_b32 v7, 0x7f00, v1, 0.5
	v_bfe_i32 v1, v1, 0, 16
	v_add_f32_e32 v7, -0.5, v7
	v_lshrrev_b32_e32 v5, 4, v3
	v_cmp_gt_u32_e32 vcc_lo, 0x8000000, v3
	s_delay_alu instid0(VALU_DEP_2) | instskip(NEXT) | instid1(VALU_DEP_1)
	v_or_b32_e32 v5, 0x70000000, v5
	v_mul_f32_e32 v5, 0x7800000, v5
	s_delay_alu instid0(VALU_DEP_1) | instskip(NEXT) | instid1(VALU_DEP_1)
	v_cndmask_b32_e32 v3, v5, v7, vcc_lo
	v_and_or_b32 v1, 0x80000000, v1, v3
	s_delay_alu instid0(VALU_DEP_1) | instskip(NEXT) | instid1(VALU_DEP_1)
	v_trunc_f32_e32 v1, v1
	v_mul_f32_e64 v3, 0x2f800000, |v1|
	s_delay_alu instid0(VALU_DEP_1) | instskip(NEXT) | instid1(VALU_DEP_1)
	v_floor_f32_e32 v3, v3
	v_fma_f32 v3, 0xcf800000, v3, |v1|
	v_ashrrev_i32_e32 v1, 31, v1
	s_delay_alu instid0(VALU_DEP_2) | instskip(NEXT) | instid1(VALU_DEP_1)
	v_cvt_u32_f32_e32 v3, v3
	v_xor_b32_e32 v3, v3, v1
	s_delay_alu instid0(VALU_DEP_1)
	v_sub_nc_u32_e32 v8, v3, v1
.LBB103_714:
	s_mov_b32 s50, 0
	s_mov_b32 s31, -1
.LBB103_715:
	s_and_not1_b32 vcc_lo, exec_lo, s50
	s_cbranch_vccnz .LBB103_728
; %bb.716:
	s_cmp_gt_i32 s30, 14
	s_cbranch_scc0 .LBB103_719
; %bb.717:
	s_cmp_eq_u32 s30, 15
	s_cbranch_scc0 .LBB103_722
; %bb.718:
	global_load_u16 v1, v[10:11], off
	s_mov_b32 s31, -1
	s_mov_b32 s29, 0
	s_wait_loadcnt 0x0
	v_lshlrev_b32_e32 v1, 16, v1
	s_delay_alu instid0(VALU_DEP_1) | instskip(NEXT) | instid1(VALU_DEP_1)
	v_trunc_f32_e32 v1, v1
	v_mul_f32_e64 v3, 0x2f800000, |v1|
	s_delay_alu instid0(VALU_DEP_1) | instskip(NEXT) | instid1(VALU_DEP_1)
	v_floor_f32_e32 v3, v3
	v_fma_f32 v3, 0xcf800000, v3, |v1|
	v_ashrrev_i32_e32 v1, 31, v1
	s_delay_alu instid0(VALU_DEP_2) | instskip(NEXT) | instid1(VALU_DEP_1)
	v_cvt_u32_f32_e32 v3, v3
	v_xor_b32_e32 v3, v3, v1
	s_delay_alu instid0(VALU_DEP_1)
	v_sub_nc_u32_e32 v8, v3, v1
	s_branch .LBB103_723
.LBB103_719:
	s_mov_b32 s50, -1
                                        ; implicit-def: $vgpr8
	s_branch .LBB103_724
.LBB103_720:
	s_and_not1_saveexec_b32 s31, s31
	s_cbranch_execz .LBB103_701
.LBB103_721:
	v_cmp_ne_u16_e32 vcc_lo, 0, v1
	s_and_not1_b32 s50, s50, exec_lo
	s_and_b32 s51, vcc_lo, exec_lo
	s_delay_alu instid0(SALU_CYCLE_1)
	s_or_b32 s50, s50, s51
	s_or_b32 exec_lo, exec_lo, s31
	v_mov_b32_e32 v8, 0
	s_and_saveexec_b32 s31, s50
	s_cbranch_execnz .LBB103_702
	s_branch .LBB103_703
.LBB103_722:
	s_mov_b32 s29, -1
                                        ; implicit-def: $vgpr8
.LBB103_723:
	s_mov_b32 s50, 0
.LBB103_724:
	s_delay_alu instid0(SALU_CYCLE_1)
	s_and_b32 vcc_lo, exec_lo, s50
	s_cbranch_vccz .LBB103_728
; %bb.725:
	s_cmp_eq_u32 s30, 11
	s_cbranch_scc0 .LBB103_727
; %bb.726:
	global_load_u8 v1, v[10:11], off
	s_mov_b32 s29, 0
	s_mov_b32 s31, -1
	s_wait_loadcnt 0x0
	v_cmp_ne_u16_e32 vcc_lo, 0, v1
	v_cndmask_b32_e64 v8, 0, 1, vcc_lo
	s_branch .LBB103_728
.LBB103_727:
	s_mov_b32 s29, -1
                                        ; implicit-def: $vgpr8
.LBB103_728:
	s_mov_b32 s30, 0
.LBB103_729:
	s_delay_alu instid0(SALU_CYCLE_1)
	s_and_b32 vcc_lo, exec_lo, s30
	s_cbranch_vccz .LBB103_778
; %bb.730:
	s_and_b32 s0, 0xffff, s0
	s_delay_alu instid0(SALU_CYCLE_1)
	s_cmp_lt_i32 s0, 5
	s_cbranch_scc1 .LBB103_735
; %bb.731:
	s_cmp_lt_i32 s0, 8
	s_cbranch_scc1 .LBB103_736
; %bb.732:
	;; [unrolled: 3-line block ×3, first 2 shown]
	s_cmp_gt_i32 s0, 9
	s_cbranch_scc0 .LBB103_738
; %bb.734:
	s_wait_loadcnt 0x0
	global_load_b64 v[8:9], v[10:11], off
	s_mov_b32 s30, 0
	s_wait_loadcnt 0x0
	v_trunc_f64_e32 v[8:9], v[8:9]
	s_delay_alu instid0(VALU_DEP_1) | instskip(NEXT) | instid1(VALU_DEP_1)
	v_ldexp_f64 v[12:13], v[8:9], 0xffffffe0
	v_floor_f64_e32 v[12:13], v[12:13]
	s_delay_alu instid0(VALU_DEP_1) | instskip(NEXT) | instid1(VALU_DEP_1)
	v_fmamk_f64 v[8:9], v[12:13], 0xc1f00000, v[8:9]
	v_cvt_u32_f64_e32 v8, v[8:9]
	s_branch .LBB103_739
.LBB103_735:
	s_mov_b32 s30, -1
                                        ; implicit-def: $vgpr8
	s_branch .LBB103_757
.LBB103_736:
	s_mov_b32 s30, -1
                                        ; implicit-def: $vgpr8
	s_branch .LBB103_745
.LBB103_737:
	s_mov_b32 s30, -1
                                        ; implicit-def: $vgpr8
	s_branch .LBB103_742
.LBB103_738:
	s_mov_b32 s30, -1
                                        ; implicit-def: $vgpr8
.LBB103_739:
	s_delay_alu instid0(SALU_CYCLE_1)
	s_and_not1_b32 vcc_lo, exec_lo, s30
	s_cbranch_vccnz .LBB103_741
; %bb.740:
	global_load_b32 v1, v[10:11], off
	s_wait_loadcnt 0x0
	v_trunc_f32_e32 v1, v1
	s_delay_alu instid0(VALU_DEP_1) | instskip(NEXT) | instid1(VALU_DEP_1)
	v_mul_f32_e64 v3, 0x2f800000, |v1|
	v_floor_f32_e32 v3, v3
	s_delay_alu instid0(VALU_DEP_1) | instskip(SKIP_1) | instid1(VALU_DEP_2)
	v_fma_f32 v3, 0xcf800000, v3, |v1|
	v_ashrrev_i32_e32 v1, 31, v1
	v_cvt_u32_f32_e32 v3, v3
	s_delay_alu instid0(VALU_DEP_1) | instskip(NEXT) | instid1(VALU_DEP_1)
	v_xor_b32_e32 v3, v3, v1
	v_sub_nc_u32_e32 v8, v3, v1
.LBB103_741:
	s_mov_b32 s30, 0
.LBB103_742:
	s_delay_alu instid0(SALU_CYCLE_1)
	s_and_not1_b32 vcc_lo, exec_lo, s30
	s_cbranch_vccnz .LBB103_744
; %bb.743:
	global_load_b32 v1, v[10:11], off
	s_wait_loadcnt 0x0
	v_cvt_f32_f16_e32 v1, v1
	s_delay_alu instid0(VALU_DEP_1)
	v_cvt_i32_f32_e32 v8, v1
.LBB103_744:
	s_mov_b32 s30, 0
.LBB103_745:
	s_delay_alu instid0(SALU_CYCLE_1)
	s_and_not1_b32 vcc_lo, exec_lo, s30
	s_cbranch_vccnz .LBB103_756
; %bb.746:
	s_cmp_lt_i32 s0, 6
	s_cbranch_scc1 .LBB103_749
; %bb.747:
	s_cmp_gt_i32 s0, 6
	s_cbranch_scc0 .LBB103_750
; %bb.748:
	s_wait_loadcnt 0x0
	global_load_b64 v[8:9], v[10:11], off
	s_mov_b32 s30, 0
	s_wait_loadcnt 0x0
	v_trunc_f64_e32 v[8:9], v[8:9]
	s_delay_alu instid0(VALU_DEP_1) | instskip(NEXT) | instid1(VALU_DEP_1)
	v_ldexp_f64 v[12:13], v[8:9], 0xffffffe0
	v_floor_f64_e32 v[12:13], v[12:13]
	s_delay_alu instid0(VALU_DEP_1) | instskip(NEXT) | instid1(VALU_DEP_1)
	v_fmamk_f64 v[8:9], v[12:13], 0xc1f00000, v[8:9]
	v_cvt_u32_f64_e32 v8, v[8:9]
	s_branch .LBB103_751
.LBB103_749:
	s_mov_b32 s30, -1
                                        ; implicit-def: $vgpr8
	s_branch .LBB103_754
.LBB103_750:
	s_mov_b32 s30, -1
                                        ; implicit-def: $vgpr8
.LBB103_751:
	s_delay_alu instid0(SALU_CYCLE_1)
	s_and_not1_b32 vcc_lo, exec_lo, s30
	s_cbranch_vccnz .LBB103_753
; %bb.752:
	global_load_b32 v1, v[10:11], off
	s_wait_loadcnt 0x0
	v_trunc_f32_e32 v1, v1
	s_delay_alu instid0(VALU_DEP_1) | instskip(NEXT) | instid1(VALU_DEP_1)
	v_mul_f32_e64 v3, 0x2f800000, |v1|
	v_floor_f32_e32 v3, v3
	s_delay_alu instid0(VALU_DEP_1) | instskip(SKIP_1) | instid1(VALU_DEP_2)
	v_fma_f32 v3, 0xcf800000, v3, |v1|
	v_ashrrev_i32_e32 v1, 31, v1
	v_cvt_u32_f32_e32 v3, v3
	s_delay_alu instid0(VALU_DEP_1) | instskip(NEXT) | instid1(VALU_DEP_1)
	v_xor_b32_e32 v3, v3, v1
	v_sub_nc_u32_e32 v8, v3, v1
.LBB103_753:
	s_mov_b32 s30, 0
.LBB103_754:
	s_delay_alu instid0(SALU_CYCLE_1)
	s_and_not1_b32 vcc_lo, exec_lo, s30
	s_cbranch_vccnz .LBB103_756
; %bb.755:
	global_load_u16 v1, v[10:11], off
	s_wait_loadcnt 0x0
	v_cvt_f32_f16_e32 v1, v1
	s_delay_alu instid0(VALU_DEP_1)
	v_cvt_i32_f32_e32 v8, v1
.LBB103_756:
	s_mov_b32 s30, 0
.LBB103_757:
	s_delay_alu instid0(SALU_CYCLE_1)
	s_and_not1_b32 vcc_lo, exec_lo, s30
	s_cbranch_vccnz .LBB103_777
; %bb.758:
	s_cmp_lt_i32 s0, 2
	s_cbranch_scc1 .LBB103_762
; %bb.759:
	s_cmp_lt_i32 s0, 3
	s_cbranch_scc1 .LBB103_763
; %bb.760:
	s_cmp_gt_i32 s0, 3
	s_cbranch_scc0 .LBB103_764
; %bb.761:
	s_wait_loadcnt 0x0
	global_load_b64 v[8:9], v[10:11], off
	s_mov_b32 s30, 0
	s_branch .LBB103_765
.LBB103_762:
	s_mov_b32 s30, -1
                                        ; implicit-def: $vgpr8
	s_branch .LBB103_771
.LBB103_763:
	s_mov_b32 s30, -1
                                        ; implicit-def: $vgpr8
	s_branch .LBB103_768
.LBB103_764:
	s_mov_b32 s30, -1
                                        ; implicit-def: $vgpr8
.LBB103_765:
	s_delay_alu instid0(SALU_CYCLE_1)
	s_and_not1_b32 vcc_lo, exec_lo, s30
	s_cbranch_vccnz .LBB103_767
; %bb.766:
	s_wait_loadcnt 0x0
	global_load_b32 v8, v[10:11], off
.LBB103_767:
	s_mov_b32 s30, 0
.LBB103_768:
	s_delay_alu instid0(SALU_CYCLE_1)
	s_and_not1_b32 vcc_lo, exec_lo, s30
	s_cbranch_vccnz .LBB103_770
; %bb.769:
	s_wait_loadcnt 0x0
	global_load_u16 v8, v[10:11], off
.LBB103_770:
	s_mov_b32 s30, 0
.LBB103_771:
	s_delay_alu instid0(SALU_CYCLE_1)
	s_and_not1_b32 vcc_lo, exec_lo, s30
	s_cbranch_vccnz .LBB103_777
; %bb.772:
	s_cmp_gt_i32 s0, 0
	s_mov_b32 s0, 0
	s_cbranch_scc0 .LBB103_774
; %bb.773:
	s_wait_loadcnt 0x0
	global_load_u8 v8, v[10:11], off
	s_branch .LBB103_775
.LBB103_774:
	s_mov_b32 s0, -1
                                        ; implicit-def: $vgpr8
.LBB103_775:
	s_delay_alu instid0(SALU_CYCLE_1)
	s_and_not1_b32 vcc_lo, exec_lo, s0
	s_cbranch_vccnz .LBB103_777
; %bb.776:
	s_wait_loadcnt 0x0
	global_load_u8 v8, v[10:11], off
.LBB103_777:
	s_mov_b32 s31, -1
.LBB103_778:
	s_delay_alu instid0(SALU_CYCLE_1)
	s_and_not1_b32 vcc_lo, exec_lo, s31
	s_cbranch_vccnz .LBB103_786
; %bb.779:
	v_mov_b32_e32 v7, 0
	s_and_b32 s0, 0xffff, s21
	s_delay_alu instid0(SALU_CYCLE_1) | instskip(NEXT) | instid1(VALU_DEP_1)
	s_cmp_lt_i32 s0, 11
	v_add_nc_u64_e32 v[6:7], s[10:11], v[6:7]
	s_cbranch_scc1 .LBB103_787
; %bb.780:
	s_cmp_gt_i32 s0, 25
	s_cbranch_scc0 .LBB103_788
; %bb.781:
	s_cmp_gt_i32 s0, 28
	s_cbranch_scc0 .LBB103_789
	;; [unrolled: 3-line block ×4, first 2 shown]
; %bb.784:
	s_cmp_eq_u32 s0, 46
	s_mov_b32 s50, 0
	s_cbranch_scc0 .LBB103_794
; %bb.785:
	global_load_b32 v1, v[6:7], off
	s_mov_b32 s31, -1
	s_mov_b32 s30, 0
	s_wait_loadcnt 0x0
	v_lshlrev_b32_e32 v1, 16, v1
	s_delay_alu instid0(VALU_DEP_1) | instskip(NEXT) | instid1(VALU_DEP_1)
	v_trunc_f32_e32 v1, v1
	v_mul_f32_e64 v3, 0x2f800000, |v1|
	s_delay_alu instid0(VALU_DEP_1) | instskip(NEXT) | instid1(VALU_DEP_1)
	v_floor_f32_e32 v3, v3
	v_fma_f32 v3, 0xcf800000, v3, |v1|
	v_ashrrev_i32_e32 v1, 31, v1
	s_delay_alu instid0(VALU_DEP_2) | instskip(NEXT) | instid1(VALU_DEP_1)
	v_cvt_u32_f32_e32 v3, v3
	v_xor_b32_e32 v3, v3, v1
	s_wait_xcnt 0x1
	s_delay_alu instid0(VALU_DEP_1)
	v_sub_nc_u32_e32 v10, v3, v1
	s_branch .LBB103_796
.LBB103_786:
	s_mov_b32 s31, 0
	s_mov_b32 s0, s42
	;; [unrolled: 1-line block ×3, first 2 shown]
	s_branch .LBB103_1031
.LBB103_787:
	s_mov_b32 s50, -1
	s_mov_b32 s31, 0
	s_mov_b32 s30, s46
                                        ; implicit-def: $vgpr10
	s_branch .LBB103_857
.LBB103_788:
	s_mov_b32 s50, -1
	s_mov_b32 s31, 0
	s_mov_b32 s30, s46
                                        ; implicit-def: $vgpr10
	s_branch .LBB103_823
.LBB103_789:
	s_mov_b32 s50, -1
	s_mov_b32 s31, 0
	s_mov_b32 s30, s46
                                        ; implicit-def: $vgpr10
	s_branch .LBB103_806
.LBB103_790:
	s_mov_b32 s50, -1
	s_mov_b32 s31, 0
	s_mov_b32 s30, s46
                                        ; implicit-def: $vgpr10
	s_branch .LBB103_801
.LBB103_791:
	s_mov_b32 s50, -1
	s_mov_b32 s31, 0
	s_mov_b32 s30, s46
	s_branch .LBB103_795
.LBB103_792:
	s_and_not1_saveexec_b32 s48, s48
	s_cbranch_execz .LBB103_433
.LBB103_793:
	v_add_f32_e32 v4, 0x42800000, v5
	s_and_not1_b32 s47, s47, exec_lo
	s_delay_alu instid0(VALU_DEP_1) | instskip(NEXT) | instid1(VALU_DEP_1)
	v_and_b32_e32 v4, 0xff, v4
	v_cmp_ne_u32_e32 vcc_lo, 0, v4
	s_and_b32 s50, vcc_lo, exec_lo
	s_delay_alu instid0(SALU_CYCLE_1)
	s_or_b32 s47, s47, s50
	s_or_b32 exec_lo, exec_lo, s48
	v_mov_b32_e32 v6, 0
	s_and_saveexec_b32 s48, s47
	s_cbranch_execnz .LBB103_434
	s_branch .LBB103_435
.LBB103_794:
	s_mov_b32 s30, -1
	s_mov_b32 s31, 0
.LBB103_795:
                                        ; implicit-def: $vgpr10
.LBB103_796:
	s_and_b32 vcc_lo, exec_lo, s50
	s_cbranch_vccz .LBB103_800
; %bb.797:
	s_cmp_eq_u32 s0, 44
	s_cbranch_scc0 .LBB103_799
; %bb.798:
	global_load_u8 v1, v[6:7], off
	s_mov_b32 s30, 0
	s_mov_b32 s31, -1
	s_wait_loadcnt 0x0
	v_lshlrev_b32_e32 v3, 23, v1
	v_cmp_ne_u32_e32 vcc_lo, 0, v1
	s_delay_alu instid0(VALU_DEP_2) | instskip(NEXT) | instid1(VALU_DEP_1)
	v_trunc_f32_e32 v3, v3
	v_mul_f32_e64 v5, 0x2f800000, |v3|
	s_delay_alu instid0(VALU_DEP_1) | instskip(NEXT) | instid1(VALU_DEP_1)
	v_floor_f32_e32 v5, v5
	v_fma_f32 v5, 0xcf800000, v5, |v3|
	v_ashrrev_i32_e32 v3, 31, v3
	s_delay_alu instid0(VALU_DEP_2) | instskip(NEXT) | instid1(VALU_DEP_1)
	v_cvt_u32_f32_e32 v5, v5
	v_xor_b32_e32 v5, v5, v3
	s_delay_alu instid0(VALU_DEP_1) | instskip(SKIP_1) | instid1(VALU_DEP_1)
	v_sub_nc_u32_e32 v3, v5, v3
	s_wait_xcnt 0x1
	v_cndmask_b32_e32 v10, 0, v3, vcc_lo
	s_branch .LBB103_800
.LBB103_799:
	s_mov_b32 s30, -1
                                        ; implicit-def: $vgpr10
.LBB103_800:
	s_mov_b32 s50, 0
.LBB103_801:
	s_delay_alu instid0(SALU_CYCLE_1)
	s_and_b32 vcc_lo, exec_lo, s50
	s_cbranch_vccz .LBB103_805
; %bb.802:
	s_cmp_eq_u32 s0, 29
	s_cbranch_scc0 .LBB103_804
; %bb.803:
	global_load_b64 v[10:11], v[6:7], off
	s_mov_b32 s31, -1
	s_mov_b32 s30, 0
	s_branch .LBB103_805
.LBB103_804:
	s_mov_b32 s30, -1
                                        ; implicit-def: $vgpr10
.LBB103_805:
	s_mov_b32 s50, 0
.LBB103_806:
	s_delay_alu instid0(SALU_CYCLE_1)
	s_and_b32 vcc_lo, exec_lo, s50
	s_cbranch_vccz .LBB103_822
; %bb.807:
	s_cmp_lt_i32 s0, 27
	s_cbranch_scc1 .LBB103_810
; %bb.808:
	s_cmp_gt_i32 s0, 27
	s_cbranch_scc0 .LBB103_811
; %bb.809:
	s_wait_loadcnt 0x0
	global_load_b32 v10, v[6:7], off
	s_mov_b32 s31, 0
	s_branch .LBB103_812
.LBB103_810:
	s_mov_b32 s31, -1
                                        ; implicit-def: $vgpr10
	s_branch .LBB103_815
.LBB103_811:
	s_mov_b32 s31, -1
                                        ; implicit-def: $vgpr10
.LBB103_812:
	s_delay_alu instid0(SALU_CYCLE_1)
	s_and_not1_b32 vcc_lo, exec_lo, s31
	s_cbranch_vccnz .LBB103_814
; %bb.813:
	s_wait_loadcnt 0x0
	global_load_u16 v10, v[6:7], off
.LBB103_814:
	s_mov_b32 s31, 0
.LBB103_815:
	s_delay_alu instid0(SALU_CYCLE_1)
	s_and_not1_b32 vcc_lo, exec_lo, s31
	s_cbranch_vccnz .LBB103_821
; %bb.816:
	global_load_u8 v1, v[6:7], off
	s_mov_b32 s50, 0
	s_mov_b32 s31, exec_lo
	s_wait_loadcnt 0x0
	v_cmpx_lt_i16_e32 0x7f, v1
	s_xor_b32 s31, exec_lo, s31
	s_cbranch_execz .LBB103_833
; %bb.817:
	v_cmp_ne_u16_e32 vcc_lo, 0x80, v1
	s_and_b32 s50, vcc_lo, exec_lo
	s_and_not1_saveexec_b32 s31, s31
	s_cbranch_execnz .LBB103_834
.LBB103_818:
	s_or_b32 exec_lo, exec_lo, s31
	v_mov_b32_e32 v10, 0
	s_and_saveexec_b32 s31, s50
	s_cbranch_execz .LBB103_820
.LBB103_819:
	v_and_b32_e32 v3, 0xffff, v1
	s_delay_alu instid0(VALU_DEP_1) | instskip(SKIP_1) | instid1(VALU_DEP_2)
	v_and_b32_e32 v5, 7, v3
	v_bfe_u32 v11, v3, 3, 4
	v_clz_i32_u32_e32 v9, v5
	s_delay_alu instid0(VALU_DEP_2) | instskip(NEXT) | instid1(VALU_DEP_2)
	v_cmp_eq_u32_e32 vcc_lo, 0, v11
	v_min_u32_e32 v9, 32, v9
	s_delay_alu instid0(VALU_DEP_1) | instskip(NEXT) | instid1(VALU_DEP_1)
	v_subrev_nc_u32_e32 v10, 28, v9
	v_dual_lshlrev_b32 v3, v10, v3 :: v_dual_sub_nc_u32 v9, 29, v9
	s_delay_alu instid0(VALU_DEP_1) | instskip(NEXT) | instid1(VALU_DEP_1)
	v_dual_lshlrev_b32 v1, 24, v1 :: v_dual_bitop2_b32 v3, 7, v3 bitop3:0x40
	v_dual_cndmask_b32 v3, v5, v3, vcc_lo :: v_dual_cndmask_b32 v9, v11, v9, vcc_lo
	s_delay_alu instid0(VALU_DEP_2) | instskip(NEXT) | instid1(VALU_DEP_2)
	v_and_b32_e32 v1, 0x80000000, v1
	v_lshlrev_b32_e32 v3, 20, v3
	s_delay_alu instid0(VALU_DEP_3) | instskip(NEXT) | instid1(VALU_DEP_1)
	v_lshl_add_u32 v5, v9, 23, 0x3b800000
	v_or3_b32 v1, v1, v5, v3
	s_delay_alu instid0(VALU_DEP_1) | instskip(NEXT) | instid1(VALU_DEP_1)
	v_trunc_f32_e32 v1, v1
	v_mul_f32_e64 v3, 0x2f800000, |v1|
	s_delay_alu instid0(VALU_DEP_1) | instskip(NEXT) | instid1(VALU_DEP_1)
	v_floor_f32_e32 v3, v3
	v_fma_f32 v3, 0xcf800000, v3, |v1|
	v_ashrrev_i32_e32 v1, 31, v1
	s_delay_alu instid0(VALU_DEP_2) | instskip(NEXT) | instid1(VALU_DEP_1)
	v_cvt_u32_f32_e32 v3, v3
	v_xor_b32_e32 v3, v3, v1
	s_delay_alu instid0(VALU_DEP_1)
	v_sub_nc_u32_e32 v10, v3, v1
.LBB103_820:
	s_or_b32 exec_lo, exec_lo, s31
.LBB103_821:
	s_mov_b32 s31, -1
.LBB103_822:
	s_mov_b32 s50, 0
.LBB103_823:
	s_delay_alu instid0(SALU_CYCLE_1)
	s_and_b32 vcc_lo, exec_lo, s50
	s_cbranch_vccz .LBB103_856
; %bb.824:
	s_cmp_gt_i32 s0, 22
	s_cbranch_scc0 .LBB103_832
; %bb.825:
	s_cmp_lt_i32 s0, 24
	s_cbranch_scc1 .LBB103_835
; %bb.826:
	s_cmp_gt_i32 s0, 24
	s_cbranch_scc0 .LBB103_836
; %bb.827:
	global_load_u8 v1, v[6:7], off
	s_mov_b32 s50, 0
	s_mov_b32 s31, exec_lo
	s_wait_loadcnt 0x0
	v_cmpx_lt_i16_e32 0x7f, v1
	s_xor_b32 s31, exec_lo, s31
	s_cbranch_execz .LBB103_848
; %bb.828:
	v_cmp_ne_u16_e32 vcc_lo, 0x80, v1
	s_and_b32 s50, vcc_lo, exec_lo
	s_and_not1_saveexec_b32 s31, s31
	s_cbranch_execnz .LBB103_849
.LBB103_829:
	s_or_b32 exec_lo, exec_lo, s31
	v_mov_b32_e32 v10, 0
	s_and_saveexec_b32 s31, s50
	s_cbranch_execz .LBB103_831
.LBB103_830:
	v_and_b32_e32 v3, 0xffff, v1
	s_delay_alu instid0(VALU_DEP_1) | instskip(SKIP_1) | instid1(VALU_DEP_2)
	v_and_b32_e32 v5, 3, v3
	v_bfe_u32 v11, v3, 2, 5
	v_clz_i32_u32_e32 v9, v5
	s_delay_alu instid0(VALU_DEP_2) | instskip(NEXT) | instid1(VALU_DEP_2)
	v_cmp_eq_u32_e32 vcc_lo, 0, v11
	v_min_u32_e32 v9, 32, v9
	s_delay_alu instid0(VALU_DEP_1) | instskip(NEXT) | instid1(VALU_DEP_1)
	v_subrev_nc_u32_e32 v10, 29, v9
	v_dual_lshlrev_b32 v3, v10, v3 :: v_dual_sub_nc_u32 v9, 30, v9
	s_delay_alu instid0(VALU_DEP_1) | instskip(NEXT) | instid1(VALU_DEP_1)
	v_dual_lshlrev_b32 v1, 24, v1 :: v_dual_bitop2_b32 v3, 3, v3 bitop3:0x40
	v_dual_cndmask_b32 v3, v5, v3, vcc_lo :: v_dual_cndmask_b32 v9, v11, v9, vcc_lo
	s_delay_alu instid0(VALU_DEP_2) | instskip(NEXT) | instid1(VALU_DEP_2)
	v_and_b32_e32 v1, 0x80000000, v1
	v_lshlrev_b32_e32 v3, 21, v3
	s_delay_alu instid0(VALU_DEP_3) | instskip(NEXT) | instid1(VALU_DEP_1)
	v_lshl_add_u32 v5, v9, 23, 0x37800000
	v_or3_b32 v1, v1, v5, v3
	s_delay_alu instid0(VALU_DEP_1) | instskip(NEXT) | instid1(VALU_DEP_1)
	v_trunc_f32_e32 v1, v1
	v_mul_f32_e64 v3, 0x2f800000, |v1|
	s_delay_alu instid0(VALU_DEP_1) | instskip(NEXT) | instid1(VALU_DEP_1)
	v_floor_f32_e32 v3, v3
	v_fma_f32 v3, 0xcf800000, v3, |v1|
	v_ashrrev_i32_e32 v1, 31, v1
	s_delay_alu instid0(VALU_DEP_2) | instskip(NEXT) | instid1(VALU_DEP_1)
	v_cvt_u32_f32_e32 v3, v3
	v_xor_b32_e32 v3, v3, v1
	s_delay_alu instid0(VALU_DEP_1)
	v_sub_nc_u32_e32 v10, v3, v1
.LBB103_831:
	s_or_b32 exec_lo, exec_lo, s31
	s_mov_b32 s31, 0
	s_branch .LBB103_837
.LBB103_832:
	s_mov_b32 s50, -1
                                        ; implicit-def: $vgpr10
	s_branch .LBB103_843
.LBB103_833:
	s_and_not1_saveexec_b32 s31, s31
	s_cbranch_execz .LBB103_818
.LBB103_834:
	v_cmp_ne_u16_e32 vcc_lo, 0, v1
	s_and_not1_b32 s50, s50, exec_lo
	s_and_b32 s51, vcc_lo, exec_lo
	s_delay_alu instid0(SALU_CYCLE_1)
	s_or_b32 s50, s50, s51
	s_or_b32 exec_lo, exec_lo, s31
	v_mov_b32_e32 v10, 0
	s_and_saveexec_b32 s31, s50
	s_cbranch_execnz .LBB103_819
	s_branch .LBB103_820
.LBB103_835:
	s_mov_b32 s31, -1
                                        ; implicit-def: $vgpr10
	s_branch .LBB103_840
.LBB103_836:
	s_mov_b32 s31, -1
                                        ; implicit-def: $vgpr10
.LBB103_837:
	s_delay_alu instid0(SALU_CYCLE_1)
	s_and_b32 vcc_lo, exec_lo, s31
	s_cbranch_vccz .LBB103_839
; %bb.838:
	global_load_u8 v1, v[6:7], off
	s_wait_loadcnt 0x0
	v_lshlrev_b32_e32 v1, 24, v1
	s_delay_alu instid0(VALU_DEP_1) | instskip(NEXT) | instid1(VALU_DEP_1)
	v_and_b32_e32 v3, 0x7f000000, v1
	v_clz_i32_u32_e32 v5, v3
	v_cmp_ne_u32_e32 vcc_lo, 0, v3
	s_wait_xcnt 0x1
	v_add_nc_u32_e32 v10, 0x1000000, v3
	s_delay_alu instid0(VALU_DEP_3) | instskip(NEXT) | instid1(VALU_DEP_1)
	v_min_u32_e32 v5, 32, v5
	v_sub_nc_u32_e64 v5, v5, 4 clamp
	s_delay_alu instid0(VALU_DEP_1) | instskip(NEXT) | instid1(VALU_DEP_1)
	v_dual_lshlrev_b32 v9, v5, v3 :: v_dual_lshlrev_b32 v5, 23, v5
	v_lshrrev_b32_e32 v9, 4, v9
	s_delay_alu instid0(VALU_DEP_1) | instskip(NEXT) | instid1(VALU_DEP_1)
	v_dual_sub_nc_u32 v5, v9, v5 :: v_dual_ashrrev_i32 v9, 8, v10
	v_add_nc_u32_e32 v5, 0x3c000000, v5
	s_delay_alu instid0(VALU_DEP_1) | instskip(NEXT) | instid1(VALU_DEP_1)
	v_and_or_b32 v5, 0x7f800000, v9, v5
	v_cndmask_b32_e32 v3, 0, v5, vcc_lo
	s_delay_alu instid0(VALU_DEP_1) | instskip(NEXT) | instid1(VALU_DEP_1)
	v_and_or_b32 v1, 0x80000000, v1, v3
	v_trunc_f32_e32 v1, v1
	s_delay_alu instid0(VALU_DEP_1) | instskip(NEXT) | instid1(VALU_DEP_1)
	v_mul_f32_e64 v3, 0x2f800000, |v1|
	v_floor_f32_e32 v3, v3
	s_delay_alu instid0(VALU_DEP_1) | instskip(SKIP_1) | instid1(VALU_DEP_2)
	v_fma_f32 v3, 0xcf800000, v3, |v1|
	v_ashrrev_i32_e32 v1, 31, v1
	v_cvt_u32_f32_e32 v3, v3
	s_delay_alu instid0(VALU_DEP_1) | instskip(NEXT) | instid1(VALU_DEP_1)
	v_xor_b32_e32 v3, v3, v1
	v_sub_nc_u32_e32 v10, v3, v1
.LBB103_839:
	s_mov_b32 s31, 0
.LBB103_840:
	s_delay_alu instid0(SALU_CYCLE_1)
	s_and_not1_b32 vcc_lo, exec_lo, s31
	s_cbranch_vccnz .LBB103_842
; %bb.841:
	global_load_u8 v1, v[6:7], off
	s_wait_loadcnt 0x0
	v_lshlrev_b32_e32 v3, 25, v1
	v_lshlrev_b16 v1, 8, v1
	s_delay_alu instid0(VALU_DEP_2) | instskip(NEXT) | instid1(VALU_DEP_2)
	v_cmp_gt_u32_e32 vcc_lo, 0x8000000, v3
	v_and_or_b32 v9, 0x7f00, v1, 0.5
	v_lshrrev_b32_e32 v5, 4, v3
	v_bfe_i32 v1, v1, 0, 16
	s_delay_alu instid0(VALU_DEP_3) | instskip(NEXT) | instid1(VALU_DEP_3)
	v_add_f32_e32 v9, -0.5, v9
	v_or_b32_e32 v5, 0x70000000, v5
	s_delay_alu instid0(VALU_DEP_1) | instskip(NEXT) | instid1(VALU_DEP_1)
	v_mul_f32_e32 v5, 0x7800000, v5
	v_cndmask_b32_e32 v3, v5, v9, vcc_lo
	s_delay_alu instid0(VALU_DEP_1) | instskip(NEXT) | instid1(VALU_DEP_1)
	v_and_or_b32 v1, 0x80000000, v1, v3
	v_trunc_f32_e32 v1, v1
	s_delay_alu instid0(VALU_DEP_1) | instskip(NEXT) | instid1(VALU_DEP_1)
	v_mul_f32_e64 v3, 0x2f800000, |v1|
	v_floor_f32_e32 v3, v3
	s_delay_alu instid0(VALU_DEP_1) | instskip(SKIP_1) | instid1(VALU_DEP_2)
	v_fma_f32 v3, 0xcf800000, v3, |v1|
	v_ashrrev_i32_e32 v1, 31, v1
	v_cvt_u32_f32_e32 v3, v3
	s_delay_alu instid0(VALU_DEP_1) | instskip(SKIP_1) | instid1(VALU_DEP_1)
	v_xor_b32_e32 v3, v3, v1
	s_wait_xcnt 0x1
	v_sub_nc_u32_e32 v10, v3, v1
.LBB103_842:
	s_mov_b32 s50, 0
	s_mov_b32 s31, -1
.LBB103_843:
	s_and_not1_b32 vcc_lo, exec_lo, s50
	s_cbranch_vccnz .LBB103_856
; %bb.844:
	s_cmp_gt_i32 s0, 14
	s_cbranch_scc0 .LBB103_847
; %bb.845:
	s_cmp_eq_u32 s0, 15
	s_cbranch_scc0 .LBB103_850
; %bb.846:
	global_load_u16 v1, v[6:7], off
	s_mov_b32 s31, -1
	s_mov_b32 s30, 0
	s_wait_loadcnt 0x0
	v_lshlrev_b32_e32 v1, 16, v1
	s_delay_alu instid0(VALU_DEP_1) | instskip(NEXT) | instid1(VALU_DEP_1)
	v_trunc_f32_e32 v1, v1
	v_mul_f32_e64 v3, 0x2f800000, |v1|
	s_delay_alu instid0(VALU_DEP_1) | instskip(NEXT) | instid1(VALU_DEP_1)
	v_floor_f32_e32 v3, v3
	v_fma_f32 v3, 0xcf800000, v3, |v1|
	v_ashrrev_i32_e32 v1, 31, v1
	s_delay_alu instid0(VALU_DEP_2) | instskip(NEXT) | instid1(VALU_DEP_1)
	v_cvt_u32_f32_e32 v3, v3
	v_xor_b32_e32 v3, v3, v1
	s_wait_xcnt 0x1
	s_delay_alu instid0(VALU_DEP_1)
	v_sub_nc_u32_e32 v10, v3, v1
	s_branch .LBB103_851
.LBB103_847:
	s_mov_b32 s50, -1
                                        ; implicit-def: $vgpr10
	s_branch .LBB103_852
.LBB103_848:
	s_and_not1_saveexec_b32 s31, s31
	s_cbranch_execz .LBB103_829
.LBB103_849:
	v_cmp_ne_u16_e32 vcc_lo, 0, v1
	s_and_not1_b32 s50, s50, exec_lo
	s_and_b32 s51, vcc_lo, exec_lo
	s_delay_alu instid0(SALU_CYCLE_1)
	s_or_b32 s50, s50, s51
	s_or_b32 exec_lo, exec_lo, s31
	v_mov_b32_e32 v10, 0
	s_and_saveexec_b32 s31, s50
	s_cbranch_execnz .LBB103_830
	s_branch .LBB103_831
.LBB103_850:
	s_mov_b32 s30, -1
                                        ; implicit-def: $vgpr10
.LBB103_851:
	s_mov_b32 s50, 0
.LBB103_852:
	s_delay_alu instid0(SALU_CYCLE_1)
	s_and_b32 vcc_lo, exec_lo, s50
	s_cbranch_vccz .LBB103_856
; %bb.853:
	s_cmp_eq_u32 s0, 11
	s_cbranch_scc0 .LBB103_855
; %bb.854:
	global_load_u8 v1, v[6:7], off
	s_mov_b32 s30, 0
	s_mov_b32 s31, -1
	s_wait_loadcnt 0x0
	v_cmp_ne_u16_e32 vcc_lo, 0, v1
	s_wait_xcnt 0x1
	v_cndmask_b32_e64 v10, 0, 1, vcc_lo
	s_branch .LBB103_856
.LBB103_855:
	s_mov_b32 s30, -1
                                        ; implicit-def: $vgpr10
.LBB103_856:
	s_mov_b32 s50, 0
.LBB103_857:
	s_delay_alu instid0(SALU_CYCLE_1)
	s_and_b32 vcc_lo, exec_lo, s50
	s_cbranch_vccz .LBB103_906
; %bb.858:
	s_cmp_lt_i32 s0, 5
	s_cbranch_scc1 .LBB103_863
; %bb.859:
	s_cmp_lt_i32 s0, 8
	s_cbranch_scc1 .LBB103_864
	;; [unrolled: 3-line block ×3, first 2 shown]
; %bb.861:
	s_cmp_gt_i32 s0, 9
	s_cbranch_scc0 .LBB103_866
; %bb.862:
	s_wait_loadcnt 0x0
	global_load_b64 v[10:11], v[6:7], off
	s_mov_b32 s31, 0
	s_wait_loadcnt 0x0
	v_trunc_f64_e32 v[10:11], v[10:11]
	s_delay_alu instid0(VALU_DEP_1) | instskip(NEXT) | instid1(VALU_DEP_1)
	v_ldexp_f64 v[12:13], v[10:11], 0xffffffe0
	v_floor_f64_e32 v[12:13], v[12:13]
	s_delay_alu instid0(VALU_DEP_1) | instskip(NEXT) | instid1(VALU_DEP_1)
	v_fmamk_f64 v[10:11], v[12:13], 0xc1f00000, v[10:11]
	v_cvt_u32_f64_e32 v10, v[10:11]
	s_branch .LBB103_867
.LBB103_863:
	s_mov_b32 s31, -1
                                        ; implicit-def: $vgpr10
	s_branch .LBB103_885
.LBB103_864:
	s_mov_b32 s31, -1
                                        ; implicit-def: $vgpr10
	s_branch .LBB103_873
.LBB103_865:
	s_mov_b32 s31, -1
                                        ; implicit-def: $vgpr10
	s_branch .LBB103_870
.LBB103_866:
	s_mov_b32 s31, -1
                                        ; implicit-def: $vgpr10
.LBB103_867:
	s_delay_alu instid0(SALU_CYCLE_1)
	s_and_not1_b32 vcc_lo, exec_lo, s31
	s_cbranch_vccnz .LBB103_869
; %bb.868:
	global_load_b32 v1, v[6:7], off
	s_wait_loadcnt 0x0
	v_trunc_f32_e32 v1, v1
	s_delay_alu instid0(VALU_DEP_1) | instskip(NEXT) | instid1(VALU_DEP_1)
	v_mul_f32_e64 v3, 0x2f800000, |v1|
	v_floor_f32_e32 v3, v3
	s_delay_alu instid0(VALU_DEP_1) | instskip(SKIP_1) | instid1(VALU_DEP_2)
	v_fma_f32 v3, 0xcf800000, v3, |v1|
	v_ashrrev_i32_e32 v1, 31, v1
	v_cvt_u32_f32_e32 v3, v3
	s_delay_alu instid0(VALU_DEP_1) | instskip(SKIP_1) | instid1(VALU_DEP_1)
	v_xor_b32_e32 v3, v3, v1
	s_wait_xcnt 0x1
	v_sub_nc_u32_e32 v10, v3, v1
.LBB103_869:
	s_mov_b32 s31, 0
.LBB103_870:
	s_delay_alu instid0(SALU_CYCLE_1)
	s_and_not1_b32 vcc_lo, exec_lo, s31
	s_cbranch_vccnz .LBB103_872
; %bb.871:
	global_load_b32 v1, v[6:7], off
	s_wait_loadcnt 0x0
	v_cvt_f32_f16_e32 v1, v1
	s_wait_xcnt 0x1
	s_delay_alu instid0(VALU_DEP_1)
	v_cvt_i32_f32_e32 v10, v1
.LBB103_872:
	s_mov_b32 s31, 0
.LBB103_873:
	s_delay_alu instid0(SALU_CYCLE_1)
	s_and_not1_b32 vcc_lo, exec_lo, s31
	s_cbranch_vccnz .LBB103_884
; %bb.874:
	s_cmp_lt_i32 s0, 6
	s_cbranch_scc1 .LBB103_877
; %bb.875:
	s_cmp_gt_i32 s0, 6
	s_cbranch_scc0 .LBB103_878
; %bb.876:
	s_wait_loadcnt 0x0
	global_load_b64 v[10:11], v[6:7], off
	s_mov_b32 s31, 0
	s_wait_loadcnt 0x0
	v_trunc_f64_e32 v[10:11], v[10:11]
	s_delay_alu instid0(VALU_DEP_1) | instskip(NEXT) | instid1(VALU_DEP_1)
	v_ldexp_f64 v[12:13], v[10:11], 0xffffffe0
	v_floor_f64_e32 v[12:13], v[12:13]
	s_delay_alu instid0(VALU_DEP_1) | instskip(NEXT) | instid1(VALU_DEP_1)
	v_fmamk_f64 v[10:11], v[12:13], 0xc1f00000, v[10:11]
	v_cvt_u32_f64_e32 v10, v[10:11]
	s_branch .LBB103_879
.LBB103_877:
	s_mov_b32 s31, -1
                                        ; implicit-def: $vgpr10
	s_branch .LBB103_882
.LBB103_878:
	s_mov_b32 s31, -1
                                        ; implicit-def: $vgpr10
.LBB103_879:
	s_delay_alu instid0(SALU_CYCLE_1)
	s_and_not1_b32 vcc_lo, exec_lo, s31
	s_cbranch_vccnz .LBB103_881
; %bb.880:
	global_load_b32 v1, v[6:7], off
	s_wait_loadcnt 0x0
	v_trunc_f32_e32 v1, v1
	s_delay_alu instid0(VALU_DEP_1) | instskip(NEXT) | instid1(VALU_DEP_1)
	v_mul_f32_e64 v3, 0x2f800000, |v1|
	v_floor_f32_e32 v3, v3
	s_delay_alu instid0(VALU_DEP_1) | instskip(SKIP_1) | instid1(VALU_DEP_2)
	v_fma_f32 v3, 0xcf800000, v3, |v1|
	v_ashrrev_i32_e32 v1, 31, v1
	v_cvt_u32_f32_e32 v3, v3
	s_delay_alu instid0(VALU_DEP_1) | instskip(SKIP_1) | instid1(VALU_DEP_1)
	v_xor_b32_e32 v3, v3, v1
	s_wait_xcnt 0x1
	v_sub_nc_u32_e32 v10, v3, v1
.LBB103_881:
	s_mov_b32 s31, 0
.LBB103_882:
	s_delay_alu instid0(SALU_CYCLE_1)
	s_and_not1_b32 vcc_lo, exec_lo, s31
	s_cbranch_vccnz .LBB103_884
; %bb.883:
	global_load_u16 v1, v[6:7], off
	s_wait_loadcnt 0x0
	v_cvt_f32_f16_e32 v1, v1
	s_wait_xcnt 0x1
	s_delay_alu instid0(VALU_DEP_1)
	v_cvt_i32_f32_e32 v10, v1
.LBB103_884:
	s_mov_b32 s31, 0
.LBB103_885:
	s_delay_alu instid0(SALU_CYCLE_1)
	s_and_not1_b32 vcc_lo, exec_lo, s31
	s_cbranch_vccnz .LBB103_905
; %bb.886:
	s_cmp_lt_i32 s0, 2
	s_cbranch_scc1 .LBB103_890
; %bb.887:
	s_cmp_lt_i32 s0, 3
	s_cbranch_scc1 .LBB103_891
; %bb.888:
	s_cmp_gt_i32 s0, 3
	s_cbranch_scc0 .LBB103_892
; %bb.889:
	s_wait_loadcnt 0x0
	global_load_b64 v[10:11], v[6:7], off
	s_mov_b32 s31, 0
	s_branch .LBB103_893
.LBB103_890:
	s_mov_b32 s31, -1
                                        ; implicit-def: $vgpr10
	s_branch .LBB103_899
.LBB103_891:
	s_mov_b32 s31, -1
                                        ; implicit-def: $vgpr10
	s_branch .LBB103_896
.LBB103_892:
	s_mov_b32 s31, -1
                                        ; implicit-def: $vgpr10
.LBB103_893:
	s_delay_alu instid0(SALU_CYCLE_1)
	s_and_not1_b32 vcc_lo, exec_lo, s31
	s_cbranch_vccnz .LBB103_895
; %bb.894:
	s_wait_loadcnt 0x0
	global_load_b32 v10, v[6:7], off
.LBB103_895:
	s_mov_b32 s31, 0
.LBB103_896:
	s_delay_alu instid0(SALU_CYCLE_1)
	s_and_not1_b32 vcc_lo, exec_lo, s31
	s_cbranch_vccnz .LBB103_898
; %bb.897:
	s_wait_loadcnt 0x0
	global_load_u16 v10, v[6:7], off
.LBB103_898:
	s_mov_b32 s31, 0
.LBB103_899:
	s_delay_alu instid0(SALU_CYCLE_1)
	s_and_not1_b32 vcc_lo, exec_lo, s31
	s_cbranch_vccnz .LBB103_905
; %bb.900:
	s_cmp_gt_i32 s0, 0
	s_mov_b32 s0, 0
	s_cbranch_scc0 .LBB103_902
; %bb.901:
	s_wait_loadcnt 0x0
	global_load_u8 v10, v[6:7], off
	s_branch .LBB103_903
.LBB103_902:
	s_mov_b32 s0, -1
                                        ; implicit-def: $vgpr10
.LBB103_903:
	s_delay_alu instid0(SALU_CYCLE_1)
	s_and_not1_b32 vcc_lo, exec_lo, s0
	s_cbranch_vccnz .LBB103_905
; %bb.904:
	s_wait_loadcnt 0x0
	global_load_u8 v10, v[6:7], off
.LBB103_905:
	s_mov_b32 s31, -1
.LBB103_906:
	s_delay_alu instid0(SALU_CYCLE_1)
	s_and_not1_b32 vcc_lo, exec_lo, s31
	s_cbranch_vccnz .LBB103_914
; %bb.907:
	s_wait_loadcnt 0x0
	s_delay_alu instid0(VALU_DEP_3) | instskip(SKIP_2) | instid1(VALU_DEP_4)
	v_and_b32_e32 v1, 0xff, v8
	v_and_b32_e32 v4, 0xff, v4
	v_mov_b32_e32 v3, 0
	v_and_b32_e32 v5, 0xff, v10
	s_and_b32 s31, s38, 0xff
	s_delay_alu instid0(VALU_DEP_3) | instskip(NEXT) | instid1(VALU_DEP_3)
	v_max_u16 v1, v4, v1
	v_add_nc_u64_e32 v[2:3], s[4:5], v[2:3]
	s_cmp_lt_i32 s31, 11
	s_delay_alu instid0(VALU_DEP_2)
	v_min_u16 v1, v1, v5
	s_cbranch_scc1 .LBB103_915
; %bb.908:
	s_and_b32 s50, 0xffff, s31
	s_delay_alu instid0(SALU_CYCLE_1)
	s_cmp_gt_i32 s50, 25
	s_cbranch_scc0 .LBB103_916
; %bb.909:
	s_cmp_gt_i32 s50, 28
	s_cbranch_scc0 .LBB103_917
; %bb.910:
	s_cmp_gt_i32 s50, 43
	s_cbranch_scc0 .LBB103_918
; %bb.911:
	s_cmp_gt_i32 s50, 45
	s_cbranch_scc0 .LBB103_919
; %bb.912:
	s_mov_b32 s52, 0
	s_mov_b32 s0, -1
	s_cmp_eq_u32 s50, 46
	s_mov_b32 s51, 0
	s_cbranch_scc0 .LBB103_920
; %bb.913:
	v_cvt_f32_ubyte0_e32 v4, v1
	s_mov_b32 s51, -1
	s_mov_b32 s0, 0
	s_delay_alu instid0(VALU_DEP_1) | instskip(NEXT) | instid1(VALU_DEP_1)
	v_bfe_u32 v5, v4, 16, 1
	v_add3_u32 v4, v4, v5, 0x7fff
	s_delay_alu instid0(VALU_DEP_1)
	v_lshrrev_b32_e32 v4, 16, v4
	global_store_b32 v[2:3], v4, off
	s_branch .LBB103_920
.LBB103_914:
	s_mov_b32 s31, 0
	s_mov_b32 s0, s42
	s_branch .LBB103_1031
.LBB103_915:
	s_mov_b32 s50, -1
	s_mov_b32 s51, 0
	s_mov_b32 s0, s42
	s_branch .LBB103_989
.LBB103_916:
	s_mov_b32 s52, -1
	s_mov_b32 s51, 0
	s_mov_b32 s0, s42
	s_branch .LBB103_947
.LBB103_917:
	s_mov_b32 s52, -1
	s_mov_b32 s51, 0
	s_mov_b32 s0, s42
	s_branch .LBB103_930
.LBB103_918:
	s_mov_b32 s52, -1
	s_mov_b32 s51, 0
	s_mov_b32 s0, s42
	s_branch .LBB103_926
.LBB103_919:
	s_mov_b32 s52, -1
	s_mov_b32 s51, 0
	s_mov_b32 s0, s42
.LBB103_920:
	s_and_b32 vcc_lo, exec_lo, s52
	s_cbranch_vccz .LBB103_925
; %bb.921:
	s_cmp_eq_u32 s50, 44
	s_mov_b32 s0, -1
	s_cbranch_scc0 .LBB103_925
; %bb.922:
	s_wait_xcnt 0x0
	v_cvt_f32_ubyte0_e32 v6, v1
	s_mov_b32 s51, exec_lo
	s_delay_alu instid0(VALU_DEP_1) | instskip(NEXT) | instid1(VALU_DEP_1)
	v_dual_mov_b32 v5, 0xff :: v_dual_lshrrev_b32 v4, 23, v6
	v_cmpx_ne_u32_e32 0xff, v4
; %bb.923:
	v_and_b32_e32 v5, 0x400000, v6
	v_and_or_b32 v6, 0x3fffff, v6, v4
	s_delay_alu instid0(VALU_DEP_2) | instskip(NEXT) | instid1(VALU_DEP_2)
	v_cmp_ne_u32_e32 vcc_lo, 0, v5
	v_cmp_ne_u32_e64 s0, 0, v6
	s_and_b32 s0, vcc_lo, s0
	s_delay_alu instid0(SALU_CYCLE_1) | instskip(NEXT) | instid1(VALU_DEP_1)
	v_cndmask_b32_e64 v5, 0, 1, s0
	v_add_nc_u32_e32 v5, v4, v5
; %bb.924:
	s_or_b32 exec_lo, exec_lo, s51
	s_mov_b32 s51, -1
	s_mov_b32 s0, 0
	global_store_b8 v[2:3], v5, off
.LBB103_925:
	s_mov_b32 s52, 0
.LBB103_926:
	s_delay_alu instid0(SALU_CYCLE_1)
	s_and_b32 vcc_lo, exec_lo, s52
	s_cbranch_vccz .LBB103_929
; %bb.927:
	s_cmp_eq_u32 s50, 29
	s_mov_b32 s0, -1
	s_cbranch_scc0 .LBB103_929
; %bb.928:
	s_mov_b32 s0, 0
	s_wait_xcnt 0x0
	v_and_b32_e32 v4, 0xffff, v1
	v_mov_b32_e32 v5, s0
	s_mov_b32 s51, -1
	s_mov_b32 s52, 0
	global_store_b64 v[2:3], v[4:5], off
	s_branch .LBB103_930
.LBB103_929:
	s_mov_b32 s52, 0
.LBB103_930:
	s_delay_alu instid0(SALU_CYCLE_1)
	s_and_b32 vcc_lo, exec_lo, s52
	s_cbranch_vccz .LBB103_946
; %bb.931:
	s_cmp_lt_i32 s50, 27
	s_mov_b32 s51, -1
	s_cbranch_scc1 .LBB103_937
; %bb.932:
	s_cmp_gt_i32 s50, 27
	s_cbranch_scc0 .LBB103_934
; %bb.933:
	s_wait_xcnt 0x0
	v_and_b32_e32 v4, 0xffff, v1
	s_mov_b32 s51, 0
	global_store_b32 v[2:3], v4, off
.LBB103_934:
	s_and_not1_b32 vcc_lo, exec_lo, s51
	s_cbranch_vccnz .LBB103_936
; %bb.935:
	global_store_b16 v[2:3], v1, off
.LBB103_936:
	s_mov_b32 s51, 0
.LBB103_937:
	s_delay_alu instid0(SALU_CYCLE_1)
	s_and_not1_b32 vcc_lo, exec_lo, s51
	s_cbranch_vccnz .LBB103_945
; %bb.938:
	s_wait_xcnt 0x0
	v_cvt_f32_ubyte0_e32 v5, v1
	v_mov_b32_e32 v6, 0x80
	s_mov_b32 s51, exec_lo
	s_delay_alu instid0(VALU_DEP_2)
	v_cmpx_gt_u32_e32 0x43800000, v5
	s_cbranch_execz .LBB103_944
; %bb.939:
	s_mov_b32 s52, 0
	s_mov_b32 s53, exec_lo
                                        ; implicit-def: $vgpr4
	v_cmpx_lt_u32_e32 0x3bffffff, v5
	s_xor_b32 s53, exec_lo, s53
	s_cbranch_execz .LBB103_1185
; %bb.940:
	v_bfe_u32 v4, v5, 20, 1
	s_mov_b32 s52, exec_lo
	s_delay_alu instid0(VALU_DEP_1) | instskip(NEXT) | instid1(VALU_DEP_1)
	v_add3_u32 v4, v5, v4, 0x487ffff
                                        ; implicit-def: $vgpr5
	v_lshrrev_b32_e32 v4, 20, v4
	s_and_not1_saveexec_b32 s53, s53
	s_cbranch_execnz .LBB103_1186
.LBB103_941:
	s_or_b32 exec_lo, exec_lo, s53
	v_mov_b32_e32 v6, 0
	s_and_saveexec_b32 s53, s52
.LBB103_942:
	v_mov_b32_e32 v6, v4
.LBB103_943:
	s_or_b32 exec_lo, exec_lo, s53
.LBB103_944:
	s_delay_alu instid0(SALU_CYCLE_1)
	s_or_b32 exec_lo, exec_lo, s51
	global_store_b8 v[2:3], v6, off
.LBB103_945:
	s_mov_b32 s51, -1
.LBB103_946:
	s_mov_b32 s52, 0
.LBB103_947:
	s_delay_alu instid0(SALU_CYCLE_1)
	s_and_b32 vcc_lo, exec_lo, s52
	s_cbranch_vccz .LBB103_988
; %bb.948:
	s_cmp_gt_i32 s50, 22
	s_mov_b32 s52, -1
	s_cbranch_scc0 .LBB103_980
; %bb.949:
	s_cmp_lt_i32 s50, 24
	s_mov_b32 s51, -1
	s_cbranch_scc1 .LBB103_969
; %bb.950:
	s_cmp_gt_i32 s50, 24
	s_cbranch_scc0 .LBB103_958
; %bb.951:
	s_wait_xcnt 0x0
	v_cvt_f32_ubyte0_e32 v5, v1
	v_mov_b32_e32 v6, 0x80
	s_mov_b32 s51, exec_lo
	s_delay_alu instid0(VALU_DEP_2)
	v_cmpx_gt_u32_e32 0x47800000, v5
	s_cbranch_execz .LBB103_957
; %bb.952:
	s_mov_b32 s52, 0
	s_mov_b32 s53, exec_lo
                                        ; implicit-def: $vgpr4
	v_cmpx_lt_u32_e32 0x37ffffff, v5
	s_xor_b32 s53, exec_lo, s53
	s_cbranch_execz .LBB103_1313
; %bb.953:
	v_bfe_u32 v4, v5, 21, 1
	s_mov_b32 s52, exec_lo
	s_delay_alu instid0(VALU_DEP_1) | instskip(NEXT) | instid1(VALU_DEP_1)
	v_add3_u32 v4, v5, v4, 0x88fffff
                                        ; implicit-def: $vgpr5
	v_lshrrev_b32_e32 v4, 21, v4
	s_and_not1_saveexec_b32 s53, s53
	s_cbranch_execnz .LBB103_1314
.LBB103_954:
	s_or_b32 exec_lo, exec_lo, s53
	v_mov_b32_e32 v6, 0
	s_and_saveexec_b32 s53, s52
.LBB103_955:
	v_mov_b32_e32 v6, v4
.LBB103_956:
	s_or_b32 exec_lo, exec_lo, s53
.LBB103_957:
	s_delay_alu instid0(SALU_CYCLE_1)
	s_or_b32 exec_lo, exec_lo, s51
	s_mov_b32 s51, 0
	global_store_b8 v[2:3], v6, off
.LBB103_958:
	s_and_b32 vcc_lo, exec_lo, s51
	s_cbranch_vccz .LBB103_968
; %bb.959:
	s_wait_xcnt 0x0
	v_cvt_f32_ubyte0_e32 v5, v1
	s_mov_b32 s51, exec_lo
                                        ; implicit-def: $vgpr4
	s_delay_alu instid0(VALU_DEP_1)
	v_cmpx_gt_u32_e32 0x43f00000, v5
	s_xor_b32 s51, exec_lo, s51
	s_cbranch_execz .LBB103_965
; %bb.960:
	s_mov_b32 s52, exec_lo
                                        ; implicit-def: $vgpr4
	v_cmpx_lt_u32_e32 0x3c7fffff, v5
	s_xor_b32 s52, exec_lo, s52
; %bb.961:
	v_bfe_u32 v4, v5, 20, 1
	s_delay_alu instid0(VALU_DEP_1) | instskip(NEXT) | instid1(VALU_DEP_1)
	v_add3_u32 v4, v5, v4, 0x407ffff
	v_and_b32_e32 v5, 0xff00000, v4
	v_lshrrev_b32_e32 v4, 20, v4
	s_delay_alu instid0(VALU_DEP_2) | instskip(NEXT) | instid1(VALU_DEP_2)
	v_cmp_ne_u32_e32 vcc_lo, 0x7f00000, v5
                                        ; implicit-def: $vgpr5
	v_cndmask_b32_e32 v4, 0x7e, v4, vcc_lo
; %bb.962:
	s_and_not1_saveexec_b32 s52, s52
; %bb.963:
	v_add_f32_e32 v4, 0x46800000, v5
; %bb.964:
	s_or_b32 exec_lo, exec_lo, s52
                                        ; implicit-def: $vgpr5
.LBB103_965:
	s_and_not1_saveexec_b32 s51, s51
; %bb.966:
	v_mov_b32_e32 v4, 0x7f
	v_cmp_lt_u32_e32 vcc_lo, 0x7f800000, v5
	s_delay_alu instid0(VALU_DEP_2)
	v_cndmask_b32_e32 v4, 0x7e, v4, vcc_lo
; %bb.967:
	s_or_b32 exec_lo, exec_lo, s51
	global_store_b8 v[2:3], v4, off
.LBB103_968:
	s_mov_b32 s51, 0
.LBB103_969:
	s_delay_alu instid0(SALU_CYCLE_1)
	s_and_not1_b32 vcc_lo, exec_lo, s51
	s_cbranch_vccnz .LBB103_979
; %bb.970:
	s_wait_xcnt 0x0
	v_cvt_f32_ubyte0_e32 v5, v1
	s_mov_b32 s51, exec_lo
                                        ; implicit-def: $vgpr4
	s_delay_alu instid0(VALU_DEP_1)
	v_cmpx_gt_u32_e32 0x47800000, v5
	s_xor_b32 s51, exec_lo, s51
	s_cbranch_execz .LBB103_976
; %bb.971:
	s_mov_b32 s52, exec_lo
                                        ; implicit-def: $vgpr4
	v_cmpx_lt_u32_e32 0x387fffff, v5
	s_xor_b32 s52, exec_lo, s52
; %bb.972:
	v_bfe_u32 v4, v5, 21, 1
	s_delay_alu instid0(VALU_DEP_1) | instskip(NEXT) | instid1(VALU_DEP_1)
	v_add3_u32 v4, v5, v4, 0x80fffff
                                        ; implicit-def: $vgpr5
	v_lshrrev_b32_e32 v4, 21, v4
; %bb.973:
	s_and_not1_saveexec_b32 s52, s52
; %bb.974:
	v_add_f32_e32 v4, 0x43000000, v5
; %bb.975:
	s_or_b32 exec_lo, exec_lo, s52
                                        ; implicit-def: $vgpr5
.LBB103_976:
	s_and_not1_saveexec_b32 s51, s51
; %bb.977:
	v_mov_b32_e32 v4, 0x7f
	v_cmp_lt_u32_e32 vcc_lo, 0x7f800000, v5
	s_delay_alu instid0(VALU_DEP_2)
	v_cndmask_b32_e32 v4, 0x7c, v4, vcc_lo
; %bb.978:
	s_or_b32 exec_lo, exec_lo, s51
	global_store_b8 v[2:3], v4, off
.LBB103_979:
	s_mov_b32 s52, 0
	s_mov_b32 s51, -1
.LBB103_980:
	s_and_not1_b32 vcc_lo, exec_lo, s52
	s_cbranch_vccnz .LBB103_988
; %bb.981:
	s_cmp_gt_i32 s50, 14
	s_mov_b32 s52, -1
	s_cbranch_scc0 .LBB103_985
; %bb.982:
	s_cmp_eq_u32 s50, 15
	s_mov_b32 s0, -1
	s_cbranch_scc0 .LBB103_984
; %bb.983:
	s_wait_xcnt 0x0
	v_cvt_f32_ubyte0_e32 v4, v1
	s_mov_b32 s51, -1
	s_mov_b32 s0, 0
	s_delay_alu instid0(VALU_DEP_1) | instskip(NEXT) | instid1(VALU_DEP_1)
	v_bfe_u32 v5, v4, 16, 1
	v_add3_u32 v4, v4, v5, 0x7fff
	global_store_d16_hi_b16 v[2:3], v4, off
.LBB103_984:
	s_mov_b32 s52, 0
.LBB103_985:
	s_delay_alu instid0(SALU_CYCLE_1)
	s_and_b32 vcc_lo, exec_lo, s52
	s_cbranch_vccz .LBB103_988
; %bb.986:
	s_cmp_eq_u32 s50, 11
	s_mov_b32 s0, -1
	s_cbranch_scc0 .LBB103_988
; %bb.987:
	v_cmp_ne_u16_e32 vcc_lo, 0, v1
	s_mov_b32 s0, 0
	s_mov_b32 s51, -1
	s_wait_xcnt 0x0
	v_cndmask_b32_e64 v4, 0, 1, vcc_lo
	global_store_b8 v[2:3], v4, off
.LBB103_988:
	s_mov_b32 s50, 0
.LBB103_989:
	s_delay_alu instid0(SALU_CYCLE_1)
	s_and_b32 vcc_lo, exec_lo, s50
	s_cbranch_vccz .LBB103_1028
; %bb.990:
	s_and_b32 s31, 0xffff, s31
	s_mov_b32 s50, -1
	s_cmp_lt_i32 s31, 5
	s_cbranch_scc1 .LBB103_1011
; %bb.991:
	s_cmp_lt_i32 s31, 8
	s_cbranch_scc1 .LBB103_1001
; %bb.992:
	;; [unrolled: 3-line block ×3, first 2 shown]
	s_cmp_gt_i32 s31, 9
	s_cbranch_scc0 .LBB103_995
; %bb.994:
	s_wait_xcnt 0x0
	v_and_b32_e32 v4, 0xffff, v1
	v_mov_b32_e32 v6, 0
	s_mov_b32 s50, 0
	s_delay_alu instid0(VALU_DEP_2) | instskip(NEXT) | instid1(VALU_DEP_2)
	v_cvt_f64_u32_e32 v[4:5], v4
	v_mov_b32_e32 v7, v6
	global_store_b128 v[2:3], v[4:7], off
.LBB103_995:
	s_and_not1_b32 vcc_lo, exec_lo, s50
	s_cbranch_vccnz .LBB103_997
; %bb.996:
	s_wait_xcnt 0x0
	v_cvt_f32_ubyte0_e32 v4, v1
	v_mov_b32_e32 v5, 0
	global_store_b64 v[2:3], v[4:5], off
.LBB103_997:
	s_mov_b32 s50, 0
.LBB103_998:
	s_delay_alu instid0(SALU_CYCLE_1)
	s_and_not1_b32 vcc_lo, exec_lo, s50
	s_cbranch_vccnz .LBB103_1000
; %bb.999:
	s_wait_xcnt 0x0
	v_cvt_f16_u16_e32 v4, v1
	s_delay_alu instid0(VALU_DEP_1)
	v_and_b32_e32 v4, 0xffff, v4
	global_store_b32 v[2:3], v4, off
.LBB103_1000:
	s_mov_b32 s50, 0
.LBB103_1001:
	s_delay_alu instid0(SALU_CYCLE_1)
	s_and_not1_b32 vcc_lo, exec_lo, s50
	s_cbranch_vccnz .LBB103_1010
; %bb.1002:
	s_cmp_lt_i32 s31, 6
	s_mov_b32 s50, -1
	s_cbranch_scc1 .LBB103_1008
; %bb.1003:
	s_cmp_gt_i32 s31, 6
	s_cbranch_scc0 .LBB103_1005
; %bb.1004:
	s_wait_xcnt 0x0
	v_and_b32_e32 v4, 0xffff, v1
	s_mov_b32 s50, 0
	s_delay_alu instid0(VALU_DEP_1)
	v_cvt_f64_u32_e32 v[4:5], v4
	global_store_b64 v[2:3], v[4:5], off
.LBB103_1005:
	s_and_not1_b32 vcc_lo, exec_lo, s50
	s_cbranch_vccnz .LBB103_1007
; %bb.1006:
	s_wait_xcnt 0x0
	v_cvt_f32_ubyte0_e32 v4, v1
	global_store_b32 v[2:3], v4, off
.LBB103_1007:
	s_mov_b32 s50, 0
.LBB103_1008:
	s_delay_alu instid0(SALU_CYCLE_1)
	s_and_not1_b32 vcc_lo, exec_lo, s50
	s_cbranch_vccnz .LBB103_1010
; %bb.1009:
	s_wait_xcnt 0x0
	v_cvt_f16_u16_e32 v4, v1
	global_store_b16 v[2:3], v4, off
.LBB103_1010:
	s_mov_b32 s50, 0
.LBB103_1011:
	s_delay_alu instid0(SALU_CYCLE_1)
	s_and_not1_b32 vcc_lo, exec_lo, s50
	s_cbranch_vccnz .LBB103_1027
; %bb.1012:
	s_cmp_lt_i32 s31, 2
	s_mov_b32 s50, -1
	s_cbranch_scc1 .LBB103_1022
; %bb.1013:
	s_cmp_lt_i32 s31, 3
	s_cbranch_scc1 .LBB103_1019
; %bb.1014:
	s_cmp_gt_i32 s31, 3
	s_cbranch_scc0 .LBB103_1016
; %bb.1015:
	s_mov_b32 s50, 0
	s_wait_xcnt 0x0
	v_and_b32_e32 v4, 0xffff, v1
	v_mov_b32_e32 v5, s50
	global_store_b64 v[2:3], v[4:5], off
.LBB103_1016:
	s_and_not1_b32 vcc_lo, exec_lo, s50
	s_cbranch_vccnz .LBB103_1018
; %bb.1017:
	s_wait_xcnt 0x0
	v_and_b32_e32 v4, 0xffff, v1
	global_store_b32 v[2:3], v4, off
.LBB103_1018:
	s_mov_b32 s50, 0
.LBB103_1019:
	s_delay_alu instid0(SALU_CYCLE_1)
	s_and_not1_b32 vcc_lo, exec_lo, s50
	s_cbranch_vccnz .LBB103_1021
; %bb.1020:
	global_store_b16 v[2:3], v1, off
.LBB103_1021:
	s_mov_b32 s50, 0
.LBB103_1022:
	s_delay_alu instid0(SALU_CYCLE_1)
	s_and_not1_b32 vcc_lo, exec_lo, s50
	s_cbranch_vccnz .LBB103_1027
; %bb.1023:
	s_cmp_gt_i32 s31, 0
	s_mov_b32 s31, -1
	s_cbranch_scc0 .LBB103_1025
; %bb.1024:
	s_mov_b32 s31, 0
	global_store_b8 v[2:3], v1, off
.LBB103_1025:
	s_and_not1_b32 vcc_lo, exec_lo, s31
	s_cbranch_vccnz .LBB103_1027
; %bb.1026:
	global_store_b8 v[2:3], v1, off
.LBB103_1027:
	s_mov_b32 s51, -1
.LBB103_1028:
	s_delay_alu instid0(SALU_CYCLE_1)
	s_and_not1_b32 vcc_lo, exec_lo, s51
	s_cbranch_vccnz .LBB103_1030
; %bb.1029:
	v_add_nc_u32_e32 v0, 0x80, v0
	s_mov_b32 s31, -1
	s_branch .LBB103_1032
.LBB103_1030:
	s_mov_b32 s31, 0
.LBB103_1031:
                                        ; implicit-def: $vgpr0
.LBB103_1032:
	s_and_not1_b32 s50, s42, exec_lo
	s_and_b32 s0, s0, exec_lo
	s_and_not1_b32 s52, s46, exec_lo
	s_and_b32 s30, s30, exec_lo
	s_or_b32 s51, s50, s0
	s_or_b32 s52, s52, s30
	s_and_not1_b32 s0, s47, exec_lo
	s_and_b32 s29, s29, exec_lo
	s_and_not1_b32 s30, s48, exec_lo
	s_and_b32 s28, s28, exec_lo
	s_or_b32 s53, s0, s29
	s_or_b32 s50, s30, s28
	s_or_not1_b32 s31, s31, exec_lo
.LBB103_1033:
	s_wait_xcnt 0x0
	s_or_b32 exec_lo, exec_lo, s54
	s_mov_b32 s29, 0
	s_mov_b32 s30, 0
	;; [unrolled: 1-line block ×3, first 2 shown]
                                        ; implicit-def: $sgpr0
                                        ; implicit-def: $vgpr10_vgpr11
                                        ; implicit-def: $vgpr2
                                        ; implicit-def: $vgpr6
                                        ; implicit-def: $vgpr8
                                        ; implicit-def: $vgpr4
	s_and_saveexec_b32 s54, s31
	s_cbranch_execz .LBB103_1644
; %bb.1034:
	s_mov_b32 s31, -1
	s_mov_b32 s56, s50
	s_mov_b32 s58, s53
	;; [unrolled: 1-line block ×4, first 2 shown]
	s_mov_b32 s55, exec_lo
	v_cmpx_gt_i32_e64 s44, v0
	s_cbranch_execz .LBB103_1554
; %bb.1035:
	s_and_not1_b32 vcc_lo, exec_lo, s36
	s_cbranch_vccnz .LBB103_1041
; %bb.1036:
	s_and_not1_b32 vcc_lo, exec_lo, s45
	s_cbranch_vccnz .LBB103_1042
; %bb.1037:
	s_wait_loadcnt 0x0
	v_dual_mov_b32 v8, 0 :: v_dual_mov_b32 v1, v0
	v_dual_mov_b32 v6, 0 :: v_dual_mov_b32 v2, 0
	v_mov_b32_e32 v4, 0
	s_add_co_i32 s0, s43, 1
	s_mov_b64 s[28:29], 0xffffffffffffffe0
	s_and_b32 s0, s0, 30
	s_add_nc_u64 s[28:29], s[2:3], s[28:29]
	s_mov_b64 s[30:31], s[2:3]
.LBB103_1038:                           ; =>This Inner Loop Header: Depth=1
	s_clause 0x1
	s_load_b128 s[64:67], s[30:31], 0x4
	s_load_b64 s[68:69], s[30:31], 0x14
	s_load_b256 s[56:63], s[28:29], 0xe4
	s_add_co_i32 s0, s0, -2
	s_wait_xcnt 0x0
	s_add_nc_u64 s[30:31], s[30:31], 24
	s_cmp_eq_u32 s0, 0
	s_add_nc_u64 s[28:29], s[28:29], 32
	s_wait_kmcnt 0x0
	v_mul_hi_u32 v3, s65, v1
	s_delay_alu instid0(VALU_DEP_1) | instskip(NEXT) | instid1(VALU_DEP_1)
	v_add_nc_u32_e32 v3, v1, v3
	v_lshrrev_b32_e32 v3, s66, v3
	s_delay_alu instid0(VALU_DEP_1) | instskip(SKIP_1) | instid1(VALU_DEP_1)
	v_mul_hi_u32 v5, s68, v3
	v_mul_lo_u32 v7, v3, s64
	v_dual_add_nc_u32 v5, v3, v5 :: v_dual_sub_nc_u32 v7, v1, v7
	s_delay_alu instid0(VALU_DEP_1) | instskip(NEXT) | instid1(VALU_DEP_2)
	v_lshrrev_b32_e32 v1, s69, v5
	v_mad_u32 v4, v7, s57, v4
	v_mad_u32 v2, v7, s56, v2
	;; [unrolled: 1-line block ×4, first 2 shown]
	v_mul_lo_u32 v5, v1, s67
	s_delay_alu instid0(VALU_DEP_1) | instskip(NEXT) | instid1(VALU_DEP_1)
	v_sub_nc_u32_e32 v3, v3, v5
	v_mad_u32 v4, v3, s61, v4
	v_mad_u32 v2, v3, s60, v2
	;; [unrolled: 1-line block ×4, first 2 shown]
	s_cbranch_scc0 .LBB103_1038
; %bb.1039:
	s_bitcmp1_b32 s43, 0
	s_cselect_b32 s0, -1, 0
	s_delay_alu instid0(SALU_CYCLE_1)
	s_and_b32 vcc_lo, exec_lo, s0
	s_cbranch_vccnz .LBB103_1043
; %bb.1040:
	s_load_b96 s[60:62], s[30:31], 0x4
	s_load_b128 s[56:59], s[28:29], 0xe4
	s_wait_kmcnt 0x0
	v_mul_hi_u32 v3, s61, v1
	s_delay_alu instid0(VALU_DEP_1) | instskip(NEXT) | instid1(VALU_DEP_1)
	v_add_nc_u32_e32 v3, v1, v3
	v_lshrrev_b32_e32 v3, s62, v3
	s_delay_alu instid0(VALU_DEP_1) | instskip(NEXT) | instid1(VALU_DEP_1)
	v_mul_lo_u32 v3, v3, s60
	v_sub_nc_u32_e32 v1, v1, v3
	s_delay_alu instid0(VALU_DEP_1)
	v_mad_u32 v2, v1, s56, v2
	v_mad_u32 v4, v1, s57, v4
	;; [unrolled: 1-line block ×4, first 2 shown]
	s_branch .LBB103_1043
.LBB103_1041:
	s_mov_b32 s0, -1
                                        ; implicit-def: $vgpr4
                                        ; implicit-def: $vgpr2
                                        ; implicit-def: $vgpr6
                                        ; implicit-def: $vgpr8
	s_branch .LBB103_1044
.LBB103_1042:
	s_wait_loadcnt 0x0
	v_dual_mov_b32 v4, 0 :: v_dual_mov_b32 v2, 0
	v_dual_mov_b32 v6, 0 :: v_dual_mov_b32 v8, 0
.LBB103_1043:
	s_mov_b32 s0, 0
.LBB103_1044:
	s_delay_alu instid0(SALU_CYCLE_1)
	s_and_not1_b32 vcc_lo, exec_lo, s0
	s_cbranch_vccnz .LBB103_1047
; %bb.1045:
	v_mov_b32_e32 v1, 0
	s_and_not1_b32 vcc_lo, exec_lo, s41
	s_delay_alu instid0(VALU_DEP_1) | instskip(NEXT) | instid1(VALU_DEP_1)
	v_mul_u64_e32 v[2:3], s[24:25], v[0:1]
	v_add_nc_u32_e32 v2, v0, v3
	s_wait_loadcnt 0x0
	s_delay_alu instid0(VALU_DEP_1) | instskip(NEXT) | instid1(VALU_DEP_1)
	v_lshrrev_b32_e32 v10, s22, v2
	v_mul_lo_u32 v2, v10, s20
	s_delay_alu instid0(VALU_DEP_1) | instskip(NEXT) | instid1(VALU_DEP_1)
	v_sub_nc_u32_e32 v3, v0, v2
	v_mul_lo_u32 v4, v3, s13
	v_mul_lo_u32 v2, v3, s12
	;; [unrolled: 1-line block ×4, first 2 shown]
	s_cbranch_vccnz .LBB103_1047
; %bb.1046:
	v_mov_b32_e32 v11, v1
	s_delay_alu instid0(VALU_DEP_1) | instskip(NEXT) | instid1(VALU_DEP_1)
	v_mul_u64_e32 v[12:13], s[26:27], v[10:11]
	v_add_nc_u32_e32 v1, v10, v13
	s_delay_alu instid0(VALU_DEP_1) | instskip(NEXT) | instid1(VALU_DEP_1)
	v_lshrrev_b32_e32 v1, s1, v1
	v_mul_lo_u32 v1, v1, s23
	s_delay_alu instid0(VALU_DEP_1) | instskip(NEXT) | instid1(VALU_DEP_1)
	v_sub_nc_u32_e32 v1, v10, v1
	v_mad_u32 v2, v1, s16, v2
	v_mad_u32 v4, v1, s17, v4
	;; [unrolled: 1-line block ×4, first 2 shown]
.LBB103_1047:
	s_wait_loadcnt 0x0
	v_mov_b32_e32 v5, 0
	s_and_b32 s0, s40, 0xff
	s_delay_alu instid0(SALU_CYCLE_1) | instskip(NEXT) | instid1(VALU_DEP_1)
	s_cmp_lt_i32 s0, 11
	v_add_nc_u64_e32 v[10:11], s[6:7], v[4:5]
	s_cbranch_scc1 .LBB103_1054
; %bb.1048:
	s_and_b32 s29, 0xffff, s0
	s_delay_alu instid0(SALU_CYCLE_1)
	s_cmp_gt_i32 s29, 25
	s_cbranch_scc0 .LBB103_1055
; %bb.1049:
	s_cmp_gt_i32 s29, 28
	s_cbranch_scc0 .LBB103_1056
; %bb.1050:
	;; [unrolled: 3-line block ×4, first 2 shown]
	s_cmp_eq_u32 s29, 46
	s_mov_b32 s31, 0
	s_cbranch_scc0 .LBB103_1059
; %bb.1053:
	global_load_b32 v1, v[10:11], off
	s_mov_b32 s30, -1
	s_mov_b32 s28, 0
	s_wait_loadcnt 0x0
	v_lshlrev_b32_e32 v1, 16, v1
	s_delay_alu instid0(VALU_DEP_1) | instskip(NEXT) | instid1(VALU_DEP_1)
	v_trunc_f32_e32 v1, v1
	v_mul_f32_e64 v3, 0x2f800000, |v1|
	s_delay_alu instid0(VALU_DEP_1) | instskip(NEXT) | instid1(VALU_DEP_1)
	v_floor_f32_e32 v3, v3
	v_fma_f32 v3, 0xcf800000, v3, |v1|
	v_ashrrev_i32_e32 v1, 31, v1
	s_delay_alu instid0(VALU_DEP_2) | instskip(NEXT) | instid1(VALU_DEP_1)
	v_cvt_u32_f32_e32 v3, v3
	v_xor_b32_e32 v3, v3, v1
	s_delay_alu instid0(VALU_DEP_1)
	v_sub_nc_u32_e32 v4, v3, v1
	s_branch .LBB103_1061
.LBB103_1054:
	s_mov_b32 s29, -1
	s_mov_b32 s30, 0
	s_mov_b32 s28, s50
                                        ; implicit-def: $vgpr4
	s_branch .LBB103_1122
.LBB103_1055:
	s_mov_b32 s31, -1
	s_mov_b32 s30, 0
	s_mov_b32 s28, s50
                                        ; implicit-def: $vgpr4
	s_branch .LBB103_1088
.LBB103_1056:
	s_mov_b32 s31, -1
	s_mov_b32 s30, 0
	s_mov_b32 s28, s50
                                        ; implicit-def: $vgpr4
	s_branch .LBB103_1071
.LBB103_1057:
	s_mov_b32 s31, -1
	s_mov_b32 s30, 0
	s_mov_b32 s28, s50
                                        ; implicit-def: $vgpr4
	s_branch .LBB103_1066
.LBB103_1058:
	s_mov_b32 s31, -1
	s_mov_b32 s30, 0
	s_mov_b32 s28, s50
	s_branch .LBB103_1060
.LBB103_1059:
	s_mov_b32 s28, -1
	s_mov_b32 s30, 0
.LBB103_1060:
                                        ; implicit-def: $vgpr4
.LBB103_1061:
	s_and_b32 vcc_lo, exec_lo, s31
	s_cbranch_vccz .LBB103_1065
; %bb.1062:
	s_cmp_eq_u32 s29, 44
	s_cbranch_scc0 .LBB103_1064
; %bb.1063:
	global_load_u8 v1, v[10:11], off
	s_mov_b32 s28, 0
	s_mov_b32 s30, -1
	s_wait_loadcnt 0x0
	v_lshlrev_b32_e32 v3, 23, v1
	v_cmp_ne_u32_e32 vcc_lo, 0, v1
	s_delay_alu instid0(VALU_DEP_2) | instskip(NEXT) | instid1(VALU_DEP_1)
	v_trunc_f32_e32 v3, v3
	v_mul_f32_e64 v4, 0x2f800000, |v3|
	s_delay_alu instid0(VALU_DEP_1) | instskip(NEXT) | instid1(VALU_DEP_1)
	v_floor_f32_e32 v4, v4
	v_fma_f32 v4, 0xcf800000, v4, |v3|
	v_ashrrev_i32_e32 v3, 31, v3
	s_delay_alu instid0(VALU_DEP_2) | instskip(NEXT) | instid1(VALU_DEP_1)
	v_cvt_u32_f32_e32 v4, v4
	v_xor_b32_e32 v4, v4, v3
	s_delay_alu instid0(VALU_DEP_1) | instskip(NEXT) | instid1(VALU_DEP_1)
	v_sub_nc_u32_e32 v3, v4, v3
	v_cndmask_b32_e32 v4, 0, v3, vcc_lo
	s_branch .LBB103_1065
.LBB103_1064:
	s_mov_b32 s28, -1
                                        ; implicit-def: $vgpr4
.LBB103_1065:
	s_mov_b32 s31, 0
.LBB103_1066:
	s_delay_alu instid0(SALU_CYCLE_1)
	s_and_b32 vcc_lo, exec_lo, s31
	s_cbranch_vccz .LBB103_1070
; %bb.1067:
	s_cmp_eq_u32 s29, 29
	s_cbranch_scc0 .LBB103_1069
; %bb.1068:
	global_load_b64 v[4:5], v[10:11], off
	s_mov_b32 s30, -1
	s_mov_b32 s28, 0
	s_branch .LBB103_1070
.LBB103_1069:
	s_mov_b32 s28, -1
                                        ; implicit-def: $vgpr4
.LBB103_1070:
	s_mov_b32 s31, 0
.LBB103_1071:
	s_delay_alu instid0(SALU_CYCLE_1)
	s_and_b32 vcc_lo, exec_lo, s31
	s_cbranch_vccz .LBB103_1087
; %bb.1072:
	s_cmp_lt_i32 s29, 27
	s_cbranch_scc1 .LBB103_1075
; %bb.1073:
	s_cmp_gt_i32 s29, 27
	s_cbranch_scc0 .LBB103_1076
; %bb.1074:
	s_wait_loadcnt 0x0
	global_load_b32 v4, v[10:11], off
	s_mov_b32 s30, 0
	s_branch .LBB103_1077
.LBB103_1075:
	s_mov_b32 s30, -1
                                        ; implicit-def: $vgpr4
	s_branch .LBB103_1080
.LBB103_1076:
	s_mov_b32 s30, -1
                                        ; implicit-def: $vgpr4
.LBB103_1077:
	s_delay_alu instid0(SALU_CYCLE_1)
	s_and_not1_b32 vcc_lo, exec_lo, s30
	s_cbranch_vccnz .LBB103_1079
; %bb.1078:
	s_wait_loadcnt 0x0
	global_load_u16 v4, v[10:11], off
.LBB103_1079:
	s_mov_b32 s30, 0
.LBB103_1080:
	s_delay_alu instid0(SALU_CYCLE_1)
	s_and_not1_b32 vcc_lo, exec_lo, s30
	s_cbranch_vccnz .LBB103_1086
; %bb.1081:
	global_load_u8 v1, v[10:11], off
	s_mov_b32 s31, 0
	s_mov_b32 s30, exec_lo
	s_wait_loadcnt 0x0
	v_cmpx_lt_i16_e32 0x7f, v1
	s_xor_b32 s30, exec_lo, s30
	s_cbranch_execz .LBB103_1098
; %bb.1082:
	v_cmp_ne_u16_e32 vcc_lo, 0x80, v1
	s_and_b32 s31, vcc_lo, exec_lo
	s_and_not1_saveexec_b32 s30, s30
	s_cbranch_execnz .LBB103_1099
.LBB103_1083:
	s_or_b32 exec_lo, exec_lo, s30
	v_mov_b32_e32 v4, 0
	s_and_saveexec_b32 s30, s31
	s_cbranch_execz .LBB103_1085
.LBB103_1084:
	v_and_b32_e32 v3, 0xffff, v1
	s_delay_alu instid0(VALU_DEP_1) | instskip(SKIP_1) | instid1(VALU_DEP_2)
	v_and_b32_e32 v4, 7, v3
	v_bfe_u32 v9, v3, 3, 4
	v_clz_i32_u32_e32 v5, v4
	s_delay_alu instid0(VALU_DEP_2) | instskip(NEXT) | instid1(VALU_DEP_2)
	v_cmp_eq_u32_e32 vcc_lo, 0, v9
	v_min_u32_e32 v5, 32, v5
	s_delay_alu instid0(VALU_DEP_1) | instskip(NEXT) | instid1(VALU_DEP_1)
	v_subrev_nc_u32_e32 v7, 28, v5
	v_dual_lshlrev_b32 v3, v7, v3 :: v_dual_sub_nc_u32 v5, 29, v5
	s_delay_alu instid0(VALU_DEP_1) | instskip(NEXT) | instid1(VALU_DEP_1)
	v_dual_lshlrev_b32 v1, 24, v1 :: v_dual_bitop2_b32 v3, 7, v3 bitop3:0x40
	v_dual_cndmask_b32 v3, v4, v3, vcc_lo :: v_dual_cndmask_b32 v5, v9, v5, vcc_lo
	s_delay_alu instid0(VALU_DEP_2) | instskip(NEXT) | instid1(VALU_DEP_2)
	v_and_b32_e32 v1, 0x80000000, v1
	v_lshlrev_b32_e32 v3, 20, v3
	s_delay_alu instid0(VALU_DEP_3) | instskip(NEXT) | instid1(VALU_DEP_1)
	v_lshl_add_u32 v4, v5, 23, 0x3b800000
	v_or3_b32 v1, v1, v4, v3
	s_delay_alu instid0(VALU_DEP_1) | instskip(NEXT) | instid1(VALU_DEP_1)
	v_trunc_f32_e32 v1, v1
	v_mul_f32_e64 v3, 0x2f800000, |v1|
	s_delay_alu instid0(VALU_DEP_1) | instskip(NEXT) | instid1(VALU_DEP_1)
	v_floor_f32_e32 v3, v3
	v_fma_f32 v3, 0xcf800000, v3, |v1|
	v_ashrrev_i32_e32 v1, 31, v1
	s_delay_alu instid0(VALU_DEP_2) | instskip(NEXT) | instid1(VALU_DEP_1)
	v_cvt_u32_f32_e32 v3, v3
	v_xor_b32_e32 v3, v3, v1
	s_delay_alu instid0(VALU_DEP_1)
	v_sub_nc_u32_e32 v4, v3, v1
.LBB103_1085:
	s_or_b32 exec_lo, exec_lo, s30
.LBB103_1086:
	s_mov_b32 s30, -1
.LBB103_1087:
	s_mov_b32 s31, 0
.LBB103_1088:
	s_delay_alu instid0(SALU_CYCLE_1)
	s_and_b32 vcc_lo, exec_lo, s31
	s_cbranch_vccz .LBB103_1121
; %bb.1089:
	s_cmp_gt_i32 s29, 22
	s_cbranch_scc0 .LBB103_1097
; %bb.1090:
	s_cmp_lt_i32 s29, 24
	s_cbranch_scc1 .LBB103_1100
; %bb.1091:
	s_cmp_gt_i32 s29, 24
	s_cbranch_scc0 .LBB103_1101
; %bb.1092:
	global_load_u8 v1, v[10:11], off
	s_mov_b32 s31, 0
	s_mov_b32 s30, exec_lo
	s_wait_loadcnt 0x0
	v_cmpx_lt_i16_e32 0x7f, v1
	s_xor_b32 s30, exec_lo, s30
	s_cbranch_execz .LBB103_1113
; %bb.1093:
	v_cmp_ne_u16_e32 vcc_lo, 0x80, v1
	s_and_b32 s31, vcc_lo, exec_lo
	s_and_not1_saveexec_b32 s30, s30
	s_cbranch_execnz .LBB103_1114
.LBB103_1094:
	s_or_b32 exec_lo, exec_lo, s30
	v_mov_b32_e32 v4, 0
	s_and_saveexec_b32 s30, s31
	s_cbranch_execz .LBB103_1096
.LBB103_1095:
	v_and_b32_e32 v3, 0xffff, v1
	s_delay_alu instid0(VALU_DEP_1) | instskip(SKIP_1) | instid1(VALU_DEP_2)
	v_and_b32_e32 v4, 3, v3
	v_bfe_u32 v9, v3, 2, 5
	v_clz_i32_u32_e32 v5, v4
	s_delay_alu instid0(VALU_DEP_2) | instskip(NEXT) | instid1(VALU_DEP_2)
	v_cmp_eq_u32_e32 vcc_lo, 0, v9
	v_min_u32_e32 v5, 32, v5
	s_delay_alu instid0(VALU_DEP_1) | instskip(NEXT) | instid1(VALU_DEP_1)
	v_subrev_nc_u32_e32 v7, 29, v5
	v_dual_lshlrev_b32 v3, v7, v3 :: v_dual_sub_nc_u32 v5, 30, v5
	s_delay_alu instid0(VALU_DEP_1) | instskip(NEXT) | instid1(VALU_DEP_1)
	v_dual_lshlrev_b32 v1, 24, v1 :: v_dual_bitop2_b32 v3, 3, v3 bitop3:0x40
	v_dual_cndmask_b32 v3, v4, v3, vcc_lo :: v_dual_cndmask_b32 v5, v9, v5, vcc_lo
	s_delay_alu instid0(VALU_DEP_2) | instskip(NEXT) | instid1(VALU_DEP_2)
	v_and_b32_e32 v1, 0x80000000, v1
	v_lshlrev_b32_e32 v3, 21, v3
	s_delay_alu instid0(VALU_DEP_3) | instskip(NEXT) | instid1(VALU_DEP_1)
	v_lshl_add_u32 v4, v5, 23, 0x37800000
	v_or3_b32 v1, v1, v4, v3
	s_delay_alu instid0(VALU_DEP_1) | instskip(NEXT) | instid1(VALU_DEP_1)
	v_trunc_f32_e32 v1, v1
	v_mul_f32_e64 v3, 0x2f800000, |v1|
	s_delay_alu instid0(VALU_DEP_1) | instskip(NEXT) | instid1(VALU_DEP_1)
	v_floor_f32_e32 v3, v3
	v_fma_f32 v3, 0xcf800000, v3, |v1|
	v_ashrrev_i32_e32 v1, 31, v1
	s_delay_alu instid0(VALU_DEP_2) | instskip(NEXT) | instid1(VALU_DEP_1)
	v_cvt_u32_f32_e32 v3, v3
	v_xor_b32_e32 v3, v3, v1
	s_delay_alu instid0(VALU_DEP_1)
	v_sub_nc_u32_e32 v4, v3, v1
.LBB103_1096:
	s_or_b32 exec_lo, exec_lo, s30
	s_mov_b32 s30, 0
	s_branch .LBB103_1102
.LBB103_1097:
	s_mov_b32 s31, -1
                                        ; implicit-def: $vgpr4
	s_branch .LBB103_1108
.LBB103_1098:
	s_and_not1_saveexec_b32 s30, s30
	s_cbranch_execz .LBB103_1083
.LBB103_1099:
	v_cmp_ne_u16_e32 vcc_lo, 0, v1
	s_and_not1_b32 s31, s31, exec_lo
	s_and_b32 s56, vcc_lo, exec_lo
	s_delay_alu instid0(SALU_CYCLE_1)
	s_or_b32 s31, s31, s56
	s_or_b32 exec_lo, exec_lo, s30
	v_mov_b32_e32 v4, 0
	s_and_saveexec_b32 s30, s31
	s_cbranch_execnz .LBB103_1084
	s_branch .LBB103_1085
.LBB103_1100:
	s_mov_b32 s30, -1
                                        ; implicit-def: $vgpr4
	s_branch .LBB103_1105
.LBB103_1101:
	s_mov_b32 s30, -1
                                        ; implicit-def: $vgpr4
.LBB103_1102:
	s_delay_alu instid0(SALU_CYCLE_1)
	s_and_b32 vcc_lo, exec_lo, s30
	s_cbranch_vccz .LBB103_1104
; %bb.1103:
	global_load_u8 v1, v[10:11], off
	s_wait_loadcnt 0x0
	v_lshlrev_b32_e32 v1, 24, v1
	s_delay_alu instid0(VALU_DEP_1) | instskip(NEXT) | instid1(VALU_DEP_1)
	v_and_b32_e32 v3, 0x7f000000, v1
	v_clz_i32_u32_e32 v4, v3
	v_add_nc_u32_e32 v7, 0x1000000, v3
	v_cmp_ne_u32_e32 vcc_lo, 0, v3
	s_delay_alu instid0(VALU_DEP_3) | instskip(NEXT) | instid1(VALU_DEP_1)
	v_min_u32_e32 v4, 32, v4
	v_sub_nc_u32_e64 v4, v4, 4 clamp
	s_delay_alu instid0(VALU_DEP_1) | instskip(NEXT) | instid1(VALU_DEP_1)
	v_dual_lshlrev_b32 v5, v4, v3 :: v_dual_lshlrev_b32 v4, 23, v4
	v_lshrrev_b32_e32 v5, 4, v5
	s_delay_alu instid0(VALU_DEP_1) | instskip(NEXT) | instid1(VALU_DEP_1)
	v_dual_sub_nc_u32 v4, v5, v4 :: v_dual_ashrrev_i32 v5, 8, v7
	v_add_nc_u32_e32 v4, 0x3c000000, v4
	s_delay_alu instid0(VALU_DEP_1) | instskip(NEXT) | instid1(VALU_DEP_1)
	v_and_or_b32 v4, 0x7f800000, v5, v4
	v_cndmask_b32_e32 v3, 0, v4, vcc_lo
	s_delay_alu instid0(VALU_DEP_1) | instskip(NEXT) | instid1(VALU_DEP_1)
	v_and_or_b32 v1, 0x80000000, v1, v3
	v_trunc_f32_e32 v1, v1
	s_delay_alu instid0(VALU_DEP_1) | instskip(NEXT) | instid1(VALU_DEP_1)
	v_mul_f32_e64 v3, 0x2f800000, |v1|
	v_floor_f32_e32 v3, v3
	s_delay_alu instid0(VALU_DEP_1) | instskip(SKIP_1) | instid1(VALU_DEP_2)
	v_fma_f32 v3, 0xcf800000, v3, |v1|
	v_ashrrev_i32_e32 v1, 31, v1
	v_cvt_u32_f32_e32 v3, v3
	s_delay_alu instid0(VALU_DEP_1) | instskip(NEXT) | instid1(VALU_DEP_1)
	v_xor_b32_e32 v3, v3, v1
	v_sub_nc_u32_e32 v4, v3, v1
.LBB103_1104:
	s_mov_b32 s30, 0
.LBB103_1105:
	s_delay_alu instid0(SALU_CYCLE_1)
	s_and_not1_b32 vcc_lo, exec_lo, s30
	s_cbranch_vccnz .LBB103_1107
; %bb.1106:
	global_load_u8 v1, v[10:11], off
	s_wait_loadcnt 0x0
	v_lshlrev_b32_e32 v3, 25, v1
	v_lshlrev_b16 v1, 8, v1
	s_delay_alu instid0(VALU_DEP_1) | instskip(NEXT) | instid1(VALU_DEP_3)
	v_and_or_b32 v5, 0x7f00, v1, 0.5
	v_lshrrev_b32_e32 v4, 4, v3
	v_bfe_i32 v1, v1, 0, 16
	s_delay_alu instid0(VALU_DEP_3) | instskip(NEXT) | instid1(VALU_DEP_3)
	v_add_f32_e32 v5, -0.5, v5
	v_or_b32_e32 v4, 0x70000000, v4
	s_delay_alu instid0(VALU_DEP_1) | instskip(SKIP_1) | instid1(VALU_DEP_2)
	v_mul_f32_e32 v4, 0x7800000, v4
	v_cmp_gt_u32_e32 vcc_lo, 0x8000000, v3
	v_cndmask_b32_e32 v3, v4, v5, vcc_lo
	s_delay_alu instid0(VALU_DEP_1) | instskip(NEXT) | instid1(VALU_DEP_1)
	v_and_or_b32 v1, 0x80000000, v1, v3
	v_trunc_f32_e32 v1, v1
	s_delay_alu instid0(VALU_DEP_1) | instskip(NEXT) | instid1(VALU_DEP_1)
	v_mul_f32_e64 v3, 0x2f800000, |v1|
	v_floor_f32_e32 v3, v3
	s_delay_alu instid0(VALU_DEP_1) | instskip(SKIP_1) | instid1(VALU_DEP_2)
	v_fma_f32 v3, 0xcf800000, v3, |v1|
	v_ashrrev_i32_e32 v1, 31, v1
	v_cvt_u32_f32_e32 v3, v3
	s_delay_alu instid0(VALU_DEP_1) | instskip(NEXT) | instid1(VALU_DEP_1)
	v_xor_b32_e32 v3, v3, v1
	v_sub_nc_u32_e32 v4, v3, v1
.LBB103_1107:
	s_mov_b32 s31, 0
	s_mov_b32 s30, -1
.LBB103_1108:
	s_and_not1_b32 vcc_lo, exec_lo, s31
	s_cbranch_vccnz .LBB103_1121
; %bb.1109:
	s_cmp_gt_i32 s29, 14
	s_cbranch_scc0 .LBB103_1112
; %bb.1110:
	s_cmp_eq_u32 s29, 15
	s_cbranch_scc0 .LBB103_1115
; %bb.1111:
	global_load_u16 v1, v[10:11], off
	s_mov_b32 s30, -1
	s_mov_b32 s28, 0
	s_wait_loadcnt 0x0
	v_lshlrev_b32_e32 v1, 16, v1
	s_delay_alu instid0(VALU_DEP_1) | instskip(NEXT) | instid1(VALU_DEP_1)
	v_trunc_f32_e32 v1, v1
	v_mul_f32_e64 v3, 0x2f800000, |v1|
	s_delay_alu instid0(VALU_DEP_1) | instskip(NEXT) | instid1(VALU_DEP_1)
	v_floor_f32_e32 v3, v3
	v_fma_f32 v3, 0xcf800000, v3, |v1|
	v_ashrrev_i32_e32 v1, 31, v1
	s_delay_alu instid0(VALU_DEP_2) | instskip(NEXT) | instid1(VALU_DEP_1)
	v_cvt_u32_f32_e32 v3, v3
	v_xor_b32_e32 v3, v3, v1
	s_delay_alu instid0(VALU_DEP_1)
	v_sub_nc_u32_e32 v4, v3, v1
	s_branch .LBB103_1116
.LBB103_1112:
	s_mov_b32 s31, -1
                                        ; implicit-def: $vgpr4
	s_branch .LBB103_1117
.LBB103_1113:
	s_and_not1_saveexec_b32 s30, s30
	s_cbranch_execz .LBB103_1094
.LBB103_1114:
	v_cmp_ne_u16_e32 vcc_lo, 0, v1
	s_and_not1_b32 s31, s31, exec_lo
	s_and_b32 s56, vcc_lo, exec_lo
	s_delay_alu instid0(SALU_CYCLE_1)
	s_or_b32 s31, s31, s56
	s_or_b32 exec_lo, exec_lo, s30
	v_mov_b32_e32 v4, 0
	s_and_saveexec_b32 s30, s31
	s_cbranch_execnz .LBB103_1095
	s_branch .LBB103_1096
.LBB103_1115:
	s_mov_b32 s28, -1
                                        ; implicit-def: $vgpr4
.LBB103_1116:
	s_mov_b32 s31, 0
.LBB103_1117:
	s_delay_alu instid0(SALU_CYCLE_1)
	s_and_b32 vcc_lo, exec_lo, s31
	s_cbranch_vccz .LBB103_1121
; %bb.1118:
	s_cmp_eq_u32 s29, 11
	s_cbranch_scc0 .LBB103_1120
; %bb.1119:
	global_load_u8 v1, v[10:11], off
	s_mov_b32 s28, 0
	s_mov_b32 s30, -1
	s_wait_loadcnt 0x0
	v_cmp_ne_u16_e32 vcc_lo, 0, v1
	v_cndmask_b32_e64 v4, 0, 1, vcc_lo
	s_branch .LBB103_1121
.LBB103_1120:
	s_mov_b32 s28, -1
                                        ; implicit-def: $vgpr4
.LBB103_1121:
	s_mov_b32 s29, 0
.LBB103_1122:
	s_delay_alu instid0(SALU_CYCLE_1)
	s_and_b32 vcc_lo, exec_lo, s29
	s_cbranch_vccz .LBB103_1171
; %bb.1123:
	s_and_b32 s0, 0xffff, s0
	s_delay_alu instid0(SALU_CYCLE_1)
	s_cmp_lt_i32 s0, 5
	s_cbranch_scc1 .LBB103_1128
; %bb.1124:
	s_cmp_lt_i32 s0, 8
	s_cbranch_scc1 .LBB103_1129
; %bb.1125:
	;; [unrolled: 3-line block ×3, first 2 shown]
	s_cmp_gt_i32 s0, 9
	s_cbranch_scc0 .LBB103_1131
; %bb.1127:
	s_wait_loadcnt 0x0
	global_load_b64 v[4:5], v[10:11], off
	s_mov_b32 s29, 0
	s_wait_loadcnt 0x0
	v_trunc_f64_e32 v[4:5], v[4:5]
	s_delay_alu instid0(VALU_DEP_1) | instskip(NEXT) | instid1(VALU_DEP_1)
	v_ldexp_f64 v[12:13], v[4:5], 0xffffffe0
	v_floor_f64_e32 v[12:13], v[12:13]
	s_delay_alu instid0(VALU_DEP_1) | instskip(NEXT) | instid1(VALU_DEP_1)
	v_fmamk_f64 v[4:5], v[12:13], 0xc1f00000, v[4:5]
	v_cvt_u32_f64_e32 v4, v[4:5]
	s_branch .LBB103_1132
.LBB103_1128:
	s_mov_b32 s29, -1
                                        ; implicit-def: $vgpr4
	s_branch .LBB103_1150
.LBB103_1129:
	s_mov_b32 s29, -1
                                        ; implicit-def: $vgpr4
	s_branch .LBB103_1138
.LBB103_1130:
	s_mov_b32 s29, -1
                                        ; implicit-def: $vgpr4
	s_branch .LBB103_1135
.LBB103_1131:
	s_mov_b32 s29, -1
                                        ; implicit-def: $vgpr4
.LBB103_1132:
	s_delay_alu instid0(SALU_CYCLE_1)
	s_and_not1_b32 vcc_lo, exec_lo, s29
	s_cbranch_vccnz .LBB103_1134
; %bb.1133:
	global_load_b32 v1, v[10:11], off
	s_wait_loadcnt 0x0
	v_trunc_f32_e32 v1, v1
	s_delay_alu instid0(VALU_DEP_1) | instskip(NEXT) | instid1(VALU_DEP_1)
	v_mul_f32_e64 v3, 0x2f800000, |v1|
	v_floor_f32_e32 v3, v3
	s_delay_alu instid0(VALU_DEP_1) | instskip(SKIP_1) | instid1(VALU_DEP_2)
	v_fma_f32 v3, 0xcf800000, v3, |v1|
	v_ashrrev_i32_e32 v1, 31, v1
	v_cvt_u32_f32_e32 v3, v3
	s_delay_alu instid0(VALU_DEP_1) | instskip(NEXT) | instid1(VALU_DEP_1)
	v_xor_b32_e32 v3, v3, v1
	v_sub_nc_u32_e32 v4, v3, v1
.LBB103_1134:
	s_mov_b32 s29, 0
.LBB103_1135:
	s_delay_alu instid0(SALU_CYCLE_1)
	s_and_not1_b32 vcc_lo, exec_lo, s29
	s_cbranch_vccnz .LBB103_1137
; %bb.1136:
	global_load_b32 v1, v[10:11], off
	s_wait_loadcnt 0x0
	v_cvt_f32_f16_e32 v1, v1
	s_delay_alu instid0(VALU_DEP_1)
	v_cvt_i32_f32_e32 v4, v1
.LBB103_1137:
	s_mov_b32 s29, 0
.LBB103_1138:
	s_delay_alu instid0(SALU_CYCLE_1)
	s_and_not1_b32 vcc_lo, exec_lo, s29
	s_cbranch_vccnz .LBB103_1149
; %bb.1139:
	s_cmp_lt_i32 s0, 6
	s_cbranch_scc1 .LBB103_1142
; %bb.1140:
	s_cmp_gt_i32 s0, 6
	s_cbranch_scc0 .LBB103_1143
; %bb.1141:
	s_wait_loadcnt 0x0
	global_load_b64 v[4:5], v[10:11], off
	s_mov_b32 s29, 0
	s_wait_loadcnt 0x0
	v_trunc_f64_e32 v[4:5], v[4:5]
	s_delay_alu instid0(VALU_DEP_1) | instskip(NEXT) | instid1(VALU_DEP_1)
	v_ldexp_f64 v[12:13], v[4:5], 0xffffffe0
	v_floor_f64_e32 v[12:13], v[12:13]
	s_delay_alu instid0(VALU_DEP_1) | instskip(NEXT) | instid1(VALU_DEP_1)
	v_fmamk_f64 v[4:5], v[12:13], 0xc1f00000, v[4:5]
	v_cvt_u32_f64_e32 v4, v[4:5]
	s_branch .LBB103_1144
.LBB103_1142:
	s_mov_b32 s29, -1
                                        ; implicit-def: $vgpr4
	s_branch .LBB103_1147
.LBB103_1143:
	s_mov_b32 s29, -1
                                        ; implicit-def: $vgpr4
.LBB103_1144:
	s_delay_alu instid0(SALU_CYCLE_1)
	s_and_not1_b32 vcc_lo, exec_lo, s29
	s_cbranch_vccnz .LBB103_1146
; %bb.1145:
	global_load_b32 v1, v[10:11], off
	s_wait_loadcnt 0x0
	v_trunc_f32_e32 v1, v1
	s_delay_alu instid0(VALU_DEP_1) | instskip(NEXT) | instid1(VALU_DEP_1)
	v_mul_f32_e64 v3, 0x2f800000, |v1|
	v_floor_f32_e32 v3, v3
	s_delay_alu instid0(VALU_DEP_1) | instskip(SKIP_1) | instid1(VALU_DEP_2)
	v_fma_f32 v3, 0xcf800000, v3, |v1|
	v_ashrrev_i32_e32 v1, 31, v1
	v_cvt_u32_f32_e32 v3, v3
	s_delay_alu instid0(VALU_DEP_1) | instskip(NEXT) | instid1(VALU_DEP_1)
	v_xor_b32_e32 v3, v3, v1
	v_sub_nc_u32_e32 v4, v3, v1
.LBB103_1146:
	s_mov_b32 s29, 0
.LBB103_1147:
	s_delay_alu instid0(SALU_CYCLE_1)
	s_and_not1_b32 vcc_lo, exec_lo, s29
	s_cbranch_vccnz .LBB103_1149
; %bb.1148:
	global_load_u16 v1, v[10:11], off
	s_wait_loadcnt 0x0
	v_cvt_f32_f16_e32 v1, v1
	s_delay_alu instid0(VALU_DEP_1)
	v_cvt_i32_f32_e32 v4, v1
.LBB103_1149:
	s_mov_b32 s29, 0
.LBB103_1150:
	s_delay_alu instid0(SALU_CYCLE_1)
	s_and_not1_b32 vcc_lo, exec_lo, s29
	s_cbranch_vccnz .LBB103_1170
; %bb.1151:
	s_cmp_lt_i32 s0, 2
	s_cbranch_scc1 .LBB103_1155
; %bb.1152:
	s_cmp_lt_i32 s0, 3
	s_cbranch_scc1 .LBB103_1156
; %bb.1153:
	s_cmp_gt_i32 s0, 3
	s_cbranch_scc0 .LBB103_1157
; %bb.1154:
	s_wait_loadcnt 0x0
	global_load_b64 v[4:5], v[10:11], off
	s_mov_b32 s29, 0
	s_branch .LBB103_1158
.LBB103_1155:
	s_mov_b32 s29, -1
                                        ; implicit-def: $vgpr4
	s_branch .LBB103_1164
.LBB103_1156:
	s_mov_b32 s29, -1
                                        ; implicit-def: $vgpr4
	s_branch .LBB103_1161
.LBB103_1157:
	s_mov_b32 s29, -1
                                        ; implicit-def: $vgpr4
.LBB103_1158:
	s_delay_alu instid0(SALU_CYCLE_1)
	s_and_not1_b32 vcc_lo, exec_lo, s29
	s_cbranch_vccnz .LBB103_1160
; %bb.1159:
	s_wait_loadcnt 0x0
	global_load_b32 v4, v[10:11], off
.LBB103_1160:
	s_mov_b32 s29, 0
.LBB103_1161:
	s_delay_alu instid0(SALU_CYCLE_1)
	s_and_not1_b32 vcc_lo, exec_lo, s29
	s_cbranch_vccnz .LBB103_1163
; %bb.1162:
	s_wait_loadcnt 0x0
	global_load_u16 v4, v[10:11], off
.LBB103_1163:
	s_mov_b32 s29, 0
.LBB103_1164:
	s_delay_alu instid0(SALU_CYCLE_1)
	s_and_not1_b32 vcc_lo, exec_lo, s29
	s_cbranch_vccnz .LBB103_1170
; %bb.1165:
	s_cmp_gt_i32 s0, 0
	s_mov_b32 s0, 0
	s_cbranch_scc0 .LBB103_1167
; %bb.1166:
	s_wait_loadcnt 0x0
	global_load_u8 v4, v[10:11], off
	s_branch .LBB103_1168
.LBB103_1167:
	s_mov_b32 s0, -1
                                        ; implicit-def: $vgpr4
.LBB103_1168:
	s_delay_alu instid0(SALU_CYCLE_1)
	s_and_not1_b32 vcc_lo, exec_lo, s0
	s_cbranch_vccnz .LBB103_1170
; %bb.1169:
	s_wait_loadcnt 0x0
	global_load_u8 v4, v[10:11], off
.LBB103_1170:
	s_mov_b32 s30, -1
.LBB103_1171:
	s_delay_alu instid0(SALU_CYCLE_1)
	s_and_not1_b32 vcc_lo, exec_lo, s30
	s_cbranch_vccnz .LBB103_1179
; %bb.1172:
	v_mov_b32_e32 v9, 0
	s_and_b32 s0, s39, 0xff
	s_delay_alu instid0(SALU_CYCLE_1) | instskip(SKIP_1) | instid1(VALU_DEP_1)
	s_cmp_lt_i32 s0, 11
	s_wait_xcnt 0x0
	v_add_nc_u64_e32 v[10:11], s[8:9], v[8:9]
	s_cbranch_scc1 .LBB103_1180
; %bb.1173:
	s_and_b32 s30, 0xffff, s0
	s_delay_alu instid0(SALU_CYCLE_1)
	s_cmp_gt_i32 s30, 25
	s_cbranch_scc0 .LBB103_1181
; %bb.1174:
	s_cmp_gt_i32 s30, 28
	s_cbranch_scc0 .LBB103_1182
; %bb.1175:
	s_cmp_gt_i32 s30, 43
	s_cbranch_scc0 .LBB103_1183
; %bb.1176:
	s_cmp_gt_i32 s30, 45
	s_cbranch_scc0 .LBB103_1184
; %bb.1177:
	s_cmp_eq_u32 s30, 46
	s_mov_b32 s56, 0
	s_cbranch_scc0 .LBB103_1187
; %bb.1178:
	global_load_b32 v1, v[10:11], off
	s_mov_b32 s31, -1
	s_mov_b32 s29, 0
	s_wait_loadcnt 0x0
	v_lshlrev_b32_e32 v1, 16, v1
	s_delay_alu instid0(VALU_DEP_1) | instskip(NEXT) | instid1(VALU_DEP_1)
	v_trunc_f32_e32 v1, v1
	v_mul_f32_e64 v3, 0x2f800000, |v1|
	s_delay_alu instid0(VALU_DEP_1) | instskip(NEXT) | instid1(VALU_DEP_1)
	v_floor_f32_e32 v3, v3
	v_fma_f32 v3, 0xcf800000, v3, |v1|
	v_ashrrev_i32_e32 v1, 31, v1
	s_delay_alu instid0(VALU_DEP_2) | instskip(NEXT) | instid1(VALU_DEP_1)
	v_cvt_u32_f32_e32 v3, v3
	v_xor_b32_e32 v3, v3, v1
	s_delay_alu instid0(VALU_DEP_1)
	v_sub_nc_u32_e32 v8, v3, v1
	s_branch .LBB103_1189
.LBB103_1179:
	s_mov_b32 s31, 0
	s_mov_b32 s0, s51
	;; [unrolled: 1-line block ×4, first 2 shown]
	s_branch .LBB103_1552
.LBB103_1180:
	s_mov_b32 s30, -1
	s_mov_b32 s31, 0
	s_mov_b32 s29, s53
                                        ; implicit-def: $vgpr8
	s_branch .LBB103_1250
.LBB103_1181:
	s_mov_b32 s56, -1
	s_mov_b32 s31, 0
	s_mov_b32 s29, s53
                                        ; implicit-def: $vgpr8
	s_branch .LBB103_1216
.LBB103_1182:
	s_mov_b32 s56, -1
	s_mov_b32 s31, 0
	s_mov_b32 s29, s53
                                        ; implicit-def: $vgpr8
	s_branch .LBB103_1199
.LBB103_1183:
	s_mov_b32 s56, -1
	s_mov_b32 s31, 0
	s_mov_b32 s29, s53
                                        ; implicit-def: $vgpr8
	s_branch .LBB103_1194
.LBB103_1184:
	s_mov_b32 s56, -1
	s_mov_b32 s31, 0
	s_mov_b32 s29, s53
	s_branch .LBB103_1188
.LBB103_1185:
	s_and_not1_saveexec_b32 s53, s53
	s_cbranch_execz .LBB103_941
.LBB103_1186:
	v_add_f32_e32 v4, 0x46000000, v5
	s_and_not1_b32 s52, s52, exec_lo
	s_delay_alu instid0(VALU_DEP_1) | instskip(NEXT) | instid1(VALU_DEP_1)
	v_and_b32_e32 v4, 0xff, v4
	v_cmp_ne_u32_e32 vcc_lo, 0, v4
	s_and_b32 s55, vcc_lo, exec_lo
	s_delay_alu instid0(SALU_CYCLE_1)
	s_or_b32 s52, s52, s55
	s_or_b32 exec_lo, exec_lo, s53
	v_mov_b32_e32 v6, 0
	s_and_saveexec_b32 s53, s52
	s_cbranch_execnz .LBB103_942
	s_branch .LBB103_943
.LBB103_1187:
	s_mov_b32 s29, -1
	s_mov_b32 s31, 0
.LBB103_1188:
                                        ; implicit-def: $vgpr8
.LBB103_1189:
	s_and_b32 vcc_lo, exec_lo, s56
	s_cbranch_vccz .LBB103_1193
; %bb.1190:
	s_cmp_eq_u32 s30, 44
	s_cbranch_scc0 .LBB103_1192
; %bb.1191:
	global_load_u8 v1, v[10:11], off
	s_mov_b32 s29, 0
	s_mov_b32 s31, -1
	s_wait_loadcnt 0x0
	v_lshlrev_b32_e32 v3, 23, v1
	v_cmp_ne_u32_e32 vcc_lo, 0, v1
	s_delay_alu instid0(VALU_DEP_2) | instskip(NEXT) | instid1(VALU_DEP_1)
	v_trunc_f32_e32 v3, v3
	v_mul_f32_e64 v5, 0x2f800000, |v3|
	s_delay_alu instid0(VALU_DEP_1) | instskip(NEXT) | instid1(VALU_DEP_1)
	v_floor_f32_e32 v5, v5
	v_fma_f32 v5, 0xcf800000, v5, |v3|
	v_ashrrev_i32_e32 v3, 31, v3
	s_delay_alu instid0(VALU_DEP_2) | instskip(NEXT) | instid1(VALU_DEP_1)
	v_cvt_u32_f32_e32 v5, v5
	v_xor_b32_e32 v5, v5, v3
	s_delay_alu instid0(VALU_DEP_1) | instskip(NEXT) | instid1(VALU_DEP_1)
	v_sub_nc_u32_e32 v3, v5, v3
	v_cndmask_b32_e32 v8, 0, v3, vcc_lo
	s_branch .LBB103_1193
.LBB103_1192:
	s_mov_b32 s29, -1
                                        ; implicit-def: $vgpr8
.LBB103_1193:
	s_mov_b32 s56, 0
.LBB103_1194:
	s_delay_alu instid0(SALU_CYCLE_1)
	s_and_b32 vcc_lo, exec_lo, s56
	s_cbranch_vccz .LBB103_1198
; %bb.1195:
	s_cmp_eq_u32 s30, 29
	s_cbranch_scc0 .LBB103_1197
; %bb.1196:
	global_load_b64 v[8:9], v[10:11], off
	s_mov_b32 s31, -1
	s_mov_b32 s29, 0
	s_branch .LBB103_1198
.LBB103_1197:
	s_mov_b32 s29, -1
                                        ; implicit-def: $vgpr8
.LBB103_1198:
	s_mov_b32 s56, 0
.LBB103_1199:
	s_delay_alu instid0(SALU_CYCLE_1)
	s_and_b32 vcc_lo, exec_lo, s56
	s_cbranch_vccz .LBB103_1215
; %bb.1200:
	s_cmp_lt_i32 s30, 27
	s_cbranch_scc1 .LBB103_1203
; %bb.1201:
	s_cmp_gt_i32 s30, 27
	s_cbranch_scc0 .LBB103_1204
; %bb.1202:
	s_wait_loadcnt 0x0
	global_load_b32 v8, v[10:11], off
	s_mov_b32 s31, 0
	s_branch .LBB103_1205
.LBB103_1203:
	s_mov_b32 s31, -1
                                        ; implicit-def: $vgpr8
	s_branch .LBB103_1208
.LBB103_1204:
	s_mov_b32 s31, -1
                                        ; implicit-def: $vgpr8
.LBB103_1205:
	s_delay_alu instid0(SALU_CYCLE_1)
	s_and_not1_b32 vcc_lo, exec_lo, s31
	s_cbranch_vccnz .LBB103_1207
; %bb.1206:
	s_wait_loadcnt 0x0
	global_load_u16 v8, v[10:11], off
.LBB103_1207:
	s_mov_b32 s31, 0
.LBB103_1208:
	s_delay_alu instid0(SALU_CYCLE_1)
	s_and_not1_b32 vcc_lo, exec_lo, s31
	s_cbranch_vccnz .LBB103_1214
; %bb.1209:
	global_load_u8 v1, v[10:11], off
	s_mov_b32 s56, 0
	s_mov_b32 s31, exec_lo
	s_wait_loadcnt 0x0
	v_cmpx_lt_i16_e32 0x7f, v1
	s_xor_b32 s31, exec_lo, s31
	s_cbranch_execz .LBB103_1226
; %bb.1210:
	v_cmp_ne_u16_e32 vcc_lo, 0x80, v1
	s_and_b32 s56, vcc_lo, exec_lo
	s_and_not1_saveexec_b32 s31, s31
	s_cbranch_execnz .LBB103_1227
.LBB103_1211:
	s_or_b32 exec_lo, exec_lo, s31
	v_mov_b32_e32 v8, 0
	s_and_saveexec_b32 s31, s56
	s_cbranch_execz .LBB103_1213
.LBB103_1212:
	v_and_b32_e32 v3, 0xffff, v1
	s_delay_alu instid0(VALU_DEP_1) | instskip(SKIP_1) | instid1(VALU_DEP_2)
	v_dual_lshlrev_b32 v1, 24, v1 :: v_dual_bitop2_b32 v5, 7, v3 bitop3:0x40
	v_bfe_u32 v9, v3, 3, 4
	v_and_b32_e32 v1, 0x80000000, v1
	s_delay_alu instid0(VALU_DEP_3) | instskip(NEXT) | instid1(VALU_DEP_3)
	v_clz_i32_u32_e32 v7, v5
	v_cmp_eq_u32_e32 vcc_lo, 0, v9
	s_delay_alu instid0(VALU_DEP_2) | instskip(NEXT) | instid1(VALU_DEP_1)
	v_min_u32_e32 v7, 32, v7
	v_subrev_nc_u32_e32 v8, 28, v7
	v_sub_nc_u32_e32 v7, 29, v7
	s_delay_alu instid0(VALU_DEP_2) | instskip(NEXT) | instid1(VALU_DEP_2)
	v_lshlrev_b32_e32 v3, v8, v3
	v_cndmask_b32_e32 v7, v9, v7, vcc_lo
	s_delay_alu instid0(VALU_DEP_2) | instskip(NEXT) | instid1(VALU_DEP_1)
	v_and_b32_e32 v3, 7, v3
	v_cndmask_b32_e32 v3, v5, v3, vcc_lo
	s_delay_alu instid0(VALU_DEP_3) | instskip(NEXT) | instid1(VALU_DEP_2)
	v_lshl_add_u32 v5, v7, 23, 0x3b800000
	v_lshlrev_b32_e32 v3, 20, v3
	s_delay_alu instid0(VALU_DEP_1) | instskip(NEXT) | instid1(VALU_DEP_1)
	v_or3_b32 v1, v1, v5, v3
	v_trunc_f32_e32 v1, v1
	s_delay_alu instid0(VALU_DEP_1) | instskip(NEXT) | instid1(VALU_DEP_1)
	v_mul_f32_e64 v3, 0x2f800000, |v1|
	v_floor_f32_e32 v3, v3
	s_delay_alu instid0(VALU_DEP_1) | instskip(SKIP_1) | instid1(VALU_DEP_2)
	v_fma_f32 v3, 0xcf800000, v3, |v1|
	v_ashrrev_i32_e32 v1, 31, v1
	v_cvt_u32_f32_e32 v3, v3
	s_delay_alu instid0(VALU_DEP_1) | instskip(NEXT) | instid1(VALU_DEP_1)
	v_xor_b32_e32 v3, v3, v1
	v_sub_nc_u32_e32 v8, v3, v1
.LBB103_1213:
	s_or_b32 exec_lo, exec_lo, s31
.LBB103_1214:
	s_mov_b32 s31, -1
.LBB103_1215:
	s_mov_b32 s56, 0
.LBB103_1216:
	s_delay_alu instid0(SALU_CYCLE_1)
	s_and_b32 vcc_lo, exec_lo, s56
	s_cbranch_vccz .LBB103_1249
; %bb.1217:
	s_cmp_gt_i32 s30, 22
	s_cbranch_scc0 .LBB103_1225
; %bb.1218:
	s_cmp_lt_i32 s30, 24
	s_cbranch_scc1 .LBB103_1228
; %bb.1219:
	s_cmp_gt_i32 s30, 24
	s_cbranch_scc0 .LBB103_1229
; %bb.1220:
	global_load_u8 v1, v[10:11], off
	s_mov_b32 s56, 0
	s_mov_b32 s31, exec_lo
	s_wait_loadcnt 0x0
	v_cmpx_lt_i16_e32 0x7f, v1
	s_xor_b32 s31, exec_lo, s31
	s_cbranch_execz .LBB103_1241
; %bb.1221:
	v_cmp_ne_u16_e32 vcc_lo, 0x80, v1
	s_and_b32 s56, vcc_lo, exec_lo
	s_and_not1_saveexec_b32 s31, s31
	s_cbranch_execnz .LBB103_1242
.LBB103_1222:
	s_or_b32 exec_lo, exec_lo, s31
	v_mov_b32_e32 v8, 0
	s_and_saveexec_b32 s31, s56
	s_cbranch_execz .LBB103_1224
.LBB103_1223:
	v_and_b32_e32 v3, 0xffff, v1
	s_delay_alu instid0(VALU_DEP_1) | instskip(SKIP_1) | instid1(VALU_DEP_2)
	v_dual_lshlrev_b32 v1, 24, v1 :: v_dual_bitop2_b32 v5, 3, v3 bitop3:0x40
	v_bfe_u32 v9, v3, 2, 5
	v_and_b32_e32 v1, 0x80000000, v1
	s_delay_alu instid0(VALU_DEP_3) | instskip(NEXT) | instid1(VALU_DEP_3)
	v_clz_i32_u32_e32 v7, v5
	v_cmp_eq_u32_e32 vcc_lo, 0, v9
	s_delay_alu instid0(VALU_DEP_2) | instskip(NEXT) | instid1(VALU_DEP_1)
	v_min_u32_e32 v7, 32, v7
	v_subrev_nc_u32_e32 v8, 29, v7
	v_sub_nc_u32_e32 v7, 30, v7
	s_delay_alu instid0(VALU_DEP_2) | instskip(NEXT) | instid1(VALU_DEP_2)
	v_lshlrev_b32_e32 v3, v8, v3
	v_cndmask_b32_e32 v7, v9, v7, vcc_lo
	s_delay_alu instid0(VALU_DEP_2) | instskip(NEXT) | instid1(VALU_DEP_1)
	v_and_b32_e32 v3, 3, v3
	v_cndmask_b32_e32 v3, v5, v3, vcc_lo
	s_delay_alu instid0(VALU_DEP_3) | instskip(NEXT) | instid1(VALU_DEP_2)
	v_lshl_add_u32 v5, v7, 23, 0x37800000
	v_lshlrev_b32_e32 v3, 21, v3
	s_delay_alu instid0(VALU_DEP_1) | instskip(NEXT) | instid1(VALU_DEP_1)
	v_or3_b32 v1, v1, v5, v3
	v_trunc_f32_e32 v1, v1
	s_delay_alu instid0(VALU_DEP_1) | instskip(NEXT) | instid1(VALU_DEP_1)
	v_mul_f32_e64 v3, 0x2f800000, |v1|
	v_floor_f32_e32 v3, v3
	s_delay_alu instid0(VALU_DEP_1) | instskip(SKIP_1) | instid1(VALU_DEP_2)
	v_fma_f32 v3, 0xcf800000, v3, |v1|
	v_ashrrev_i32_e32 v1, 31, v1
	v_cvt_u32_f32_e32 v3, v3
	s_delay_alu instid0(VALU_DEP_1) | instskip(NEXT) | instid1(VALU_DEP_1)
	v_xor_b32_e32 v3, v3, v1
	v_sub_nc_u32_e32 v8, v3, v1
.LBB103_1224:
	s_or_b32 exec_lo, exec_lo, s31
	s_mov_b32 s31, 0
	s_branch .LBB103_1230
.LBB103_1225:
	s_mov_b32 s56, -1
                                        ; implicit-def: $vgpr8
	s_branch .LBB103_1236
.LBB103_1226:
	s_and_not1_saveexec_b32 s31, s31
	s_cbranch_execz .LBB103_1211
.LBB103_1227:
	v_cmp_ne_u16_e32 vcc_lo, 0, v1
	s_and_not1_b32 s56, s56, exec_lo
	s_and_b32 s57, vcc_lo, exec_lo
	s_delay_alu instid0(SALU_CYCLE_1)
	s_or_b32 s56, s56, s57
	s_or_b32 exec_lo, exec_lo, s31
	v_mov_b32_e32 v8, 0
	s_and_saveexec_b32 s31, s56
	s_cbranch_execnz .LBB103_1212
	s_branch .LBB103_1213
.LBB103_1228:
	s_mov_b32 s31, -1
                                        ; implicit-def: $vgpr8
	s_branch .LBB103_1233
.LBB103_1229:
	s_mov_b32 s31, -1
                                        ; implicit-def: $vgpr8
.LBB103_1230:
	s_delay_alu instid0(SALU_CYCLE_1)
	s_and_b32 vcc_lo, exec_lo, s31
	s_cbranch_vccz .LBB103_1232
; %bb.1231:
	global_load_u8 v1, v[10:11], off
	s_wait_loadcnt 0x0
	v_lshlrev_b32_e32 v1, 24, v1
	s_delay_alu instid0(VALU_DEP_1) | instskip(NEXT) | instid1(VALU_DEP_1)
	v_and_b32_e32 v3, 0x7f000000, v1
	v_clz_i32_u32_e32 v5, v3
	v_cmp_ne_u32_e32 vcc_lo, 0, v3
	v_add_nc_u32_e32 v8, 0x1000000, v3
	s_delay_alu instid0(VALU_DEP_3) | instskip(NEXT) | instid1(VALU_DEP_1)
	v_min_u32_e32 v5, 32, v5
	v_sub_nc_u32_e64 v5, v5, 4 clamp
	s_delay_alu instid0(VALU_DEP_1) | instskip(NEXT) | instid1(VALU_DEP_1)
	v_dual_lshlrev_b32 v7, v5, v3 :: v_dual_lshlrev_b32 v5, 23, v5
	v_lshrrev_b32_e32 v7, 4, v7
	s_delay_alu instid0(VALU_DEP_1) | instskip(NEXT) | instid1(VALU_DEP_1)
	v_dual_sub_nc_u32 v5, v7, v5 :: v_dual_ashrrev_i32 v7, 8, v8
	v_add_nc_u32_e32 v5, 0x3c000000, v5
	s_delay_alu instid0(VALU_DEP_1) | instskip(NEXT) | instid1(VALU_DEP_1)
	v_and_or_b32 v5, 0x7f800000, v7, v5
	v_cndmask_b32_e32 v3, 0, v5, vcc_lo
	s_delay_alu instid0(VALU_DEP_1) | instskip(NEXT) | instid1(VALU_DEP_1)
	v_and_or_b32 v1, 0x80000000, v1, v3
	v_trunc_f32_e32 v1, v1
	s_delay_alu instid0(VALU_DEP_1) | instskip(NEXT) | instid1(VALU_DEP_1)
	v_mul_f32_e64 v3, 0x2f800000, |v1|
	v_floor_f32_e32 v3, v3
	s_delay_alu instid0(VALU_DEP_1) | instskip(SKIP_1) | instid1(VALU_DEP_2)
	v_fma_f32 v3, 0xcf800000, v3, |v1|
	v_ashrrev_i32_e32 v1, 31, v1
	v_cvt_u32_f32_e32 v3, v3
	s_delay_alu instid0(VALU_DEP_1) | instskip(NEXT) | instid1(VALU_DEP_1)
	v_xor_b32_e32 v3, v3, v1
	v_sub_nc_u32_e32 v8, v3, v1
.LBB103_1232:
	s_mov_b32 s31, 0
.LBB103_1233:
	s_delay_alu instid0(SALU_CYCLE_1)
	s_and_not1_b32 vcc_lo, exec_lo, s31
	s_cbranch_vccnz .LBB103_1235
; %bb.1234:
	global_load_u8 v1, v[10:11], off
	s_wait_loadcnt 0x0
	v_lshlrev_b32_e32 v3, 25, v1
	v_lshlrev_b16 v1, 8, v1
	s_delay_alu instid0(VALU_DEP_1) | instskip(SKIP_1) | instid1(VALU_DEP_2)
	v_and_or_b32 v7, 0x7f00, v1, 0.5
	v_bfe_i32 v1, v1, 0, 16
	v_add_f32_e32 v7, -0.5, v7
	v_lshrrev_b32_e32 v5, 4, v3
	v_cmp_gt_u32_e32 vcc_lo, 0x8000000, v3
	s_delay_alu instid0(VALU_DEP_2) | instskip(NEXT) | instid1(VALU_DEP_1)
	v_or_b32_e32 v5, 0x70000000, v5
	v_mul_f32_e32 v5, 0x7800000, v5
	s_delay_alu instid0(VALU_DEP_1) | instskip(NEXT) | instid1(VALU_DEP_1)
	v_cndmask_b32_e32 v3, v5, v7, vcc_lo
	v_and_or_b32 v1, 0x80000000, v1, v3
	s_delay_alu instid0(VALU_DEP_1) | instskip(NEXT) | instid1(VALU_DEP_1)
	v_trunc_f32_e32 v1, v1
	v_mul_f32_e64 v3, 0x2f800000, |v1|
	s_delay_alu instid0(VALU_DEP_1) | instskip(NEXT) | instid1(VALU_DEP_1)
	v_floor_f32_e32 v3, v3
	v_fma_f32 v3, 0xcf800000, v3, |v1|
	v_ashrrev_i32_e32 v1, 31, v1
	s_delay_alu instid0(VALU_DEP_2) | instskip(NEXT) | instid1(VALU_DEP_1)
	v_cvt_u32_f32_e32 v3, v3
	v_xor_b32_e32 v3, v3, v1
	s_delay_alu instid0(VALU_DEP_1)
	v_sub_nc_u32_e32 v8, v3, v1
.LBB103_1235:
	s_mov_b32 s56, 0
	s_mov_b32 s31, -1
.LBB103_1236:
	s_and_not1_b32 vcc_lo, exec_lo, s56
	s_cbranch_vccnz .LBB103_1249
; %bb.1237:
	s_cmp_gt_i32 s30, 14
	s_cbranch_scc0 .LBB103_1240
; %bb.1238:
	s_cmp_eq_u32 s30, 15
	s_cbranch_scc0 .LBB103_1243
; %bb.1239:
	global_load_u16 v1, v[10:11], off
	s_mov_b32 s31, -1
	s_mov_b32 s29, 0
	s_wait_loadcnt 0x0
	v_lshlrev_b32_e32 v1, 16, v1
	s_delay_alu instid0(VALU_DEP_1) | instskip(NEXT) | instid1(VALU_DEP_1)
	v_trunc_f32_e32 v1, v1
	v_mul_f32_e64 v3, 0x2f800000, |v1|
	s_delay_alu instid0(VALU_DEP_1) | instskip(NEXT) | instid1(VALU_DEP_1)
	v_floor_f32_e32 v3, v3
	v_fma_f32 v3, 0xcf800000, v3, |v1|
	v_ashrrev_i32_e32 v1, 31, v1
	s_delay_alu instid0(VALU_DEP_2) | instskip(NEXT) | instid1(VALU_DEP_1)
	v_cvt_u32_f32_e32 v3, v3
	v_xor_b32_e32 v3, v3, v1
	s_delay_alu instid0(VALU_DEP_1)
	v_sub_nc_u32_e32 v8, v3, v1
	s_branch .LBB103_1244
.LBB103_1240:
	s_mov_b32 s56, -1
                                        ; implicit-def: $vgpr8
	s_branch .LBB103_1245
.LBB103_1241:
	s_and_not1_saveexec_b32 s31, s31
	s_cbranch_execz .LBB103_1222
.LBB103_1242:
	v_cmp_ne_u16_e32 vcc_lo, 0, v1
	s_and_not1_b32 s56, s56, exec_lo
	s_and_b32 s57, vcc_lo, exec_lo
	s_delay_alu instid0(SALU_CYCLE_1)
	s_or_b32 s56, s56, s57
	s_or_b32 exec_lo, exec_lo, s31
	v_mov_b32_e32 v8, 0
	s_and_saveexec_b32 s31, s56
	s_cbranch_execnz .LBB103_1223
	s_branch .LBB103_1224
.LBB103_1243:
	s_mov_b32 s29, -1
                                        ; implicit-def: $vgpr8
.LBB103_1244:
	s_mov_b32 s56, 0
.LBB103_1245:
	s_delay_alu instid0(SALU_CYCLE_1)
	s_and_b32 vcc_lo, exec_lo, s56
	s_cbranch_vccz .LBB103_1249
; %bb.1246:
	s_cmp_eq_u32 s30, 11
	s_cbranch_scc0 .LBB103_1248
; %bb.1247:
	global_load_u8 v1, v[10:11], off
	s_mov_b32 s29, 0
	s_mov_b32 s31, -1
	s_wait_loadcnt 0x0
	v_cmp_ne_u16_e32 vcc_lo, 0, v1
	v_cndmask_b32_e64 v8, 0, 1, vcc_lo
	s_branch .LBB103_1249
.LBB103_1248:
	s_mov_b32 s29, -1
                                        ; implicit-def: $vgpr8
.LBB103_1249:
	s_mov_b32 s30, 0
.LBB103_1250:
	s_delay_alu instid0(SALU_CYCLE_1)
	s_and_b32 vcc_lo, exec_lo, s30
	s_cbranch_vccz .LBB103_1299
; %bb.1251:
	s_and_b32 s0, 0xffff, s0
	s_delay_alu instid0(SALU_CYCLE_1)
	s_cmp_lt_i32 s0, 5
	s_cbranch_scc1 .LBB103_1256
; %bb.1252:
	s_cmp_lt_i32 s0, 8
	s_cbranch_scc1 .LBB103_1257
; %bb.1253:
	;; [unrolled: 3-line block ×3, first 2 shown]
	s_cmp_gt_i32 s0, 9
	s_cbranch_scc0 .LBB103_1259
; %bb.1255:
	s_wait_loadcnt 0x0
	global_load_b64 v[8:9], v[10:11], off
	s_mov_b32 s30, 0
	s_wait_loadcnt 0x0
	v_trunc_f64_e32 v[8:9], v[8:9]
	s_delay_alu instid0(VALU_DEP_1) | instskip(NEXT) | instid1(VALU_DEP_1)
	v_ldexp_f64 v[12:13], v[8:9], 0xffffffe0
	v_floor_f64_e32 v[12:13], v[12:13]
	s_delay_alu instid0(VALU_DEP_1) | instskip(NEXT) | instid1(VALU_DEP_1)
	v_fmamk_f64 v[8:9], v[12:13], 0xc1f00000, v[8:9]
	v_cvt_u32_f64_e32 v8, v[8:9]
	s_branch .LBB103_1260
.LBB103_1256:
	s_mov_b32 s30, -1
                                        ; implicit-def: $vgpr8
	s_branch .LBB103_1278
.LBB103_1257:
	s_mov_b32 s30, -1
                                        ; implicit-def: $vgpr8
	s_branch .LBB103_1266
.LBB103_1258:
	s_mov_b32 s30, -1
                                        ; implicit-def: $vgpr8
	s_branch .LBB103_1263
.LBB103_1259:
	s_mov_b32 s30, -1
                                        ; implicit-def: $vgpr8
.LBB103_1260:
	s_delay_alu instid0(SALU_CYCLE_1)
	s_and_not1_b32 vcc_lo, exec_lo, s30
	s_cbranch_vccnz .LBB103_1262
; %bb.1261:
	global_load_b32 v1, v[10:11], off
	s_wait_loadcnt 0x0
	v_trunc_f32_e32 v1, v1
	s_delay_alu instid0(VALU_DEP_1) | instskip(NEXT) | instid1(VALU_DEP_1)
	v_mul_f32_e64 v3, 0x2f800000, |v1|
	v_floor_f32_e32 v3, v3
	s_delay_alu instid0(VALU_DEP_1) | instskip(SKIP_1) | instid1(VALU_DEP_2)
	v_fma_f32 v3, 0xcf800000, v3, |v1|
	v_ashrrev_i32_e32 v1, 31, v1
	v_cvt_u32_f32_e32 v3, v3
	s_delay_alu instid0(VALU_DEP_1) | instskip(NEXT) | instid1(VALU_DEP_1)
	v_xor_b32_e32 v3, v3, v1
	v_sub_nc_u32_e32 v8, v3, v1
.LBB103_1262:
	s_mov_b32 s30, 0
.LBB103_1263:
	s_delay_alu instid0(SALU_CYCLE_1)
	s_and_not1_b32 vcc_lo, exec_lo, s30
	s_cbranch_vccnz .LBB103_1265
; %bb.1264:
	global_load_b32 v1, v[10:11], off
	s_wait_loadcnt 0x0
	v_cvt_f32_f16_e32 v1, v1
	s_delay_alu instid0(VALU_DEP_1)
	v_cvt_i32_f32_e32 v8, v1
.LBB103_1265:
	s_mov_b32 s30, 0
.LBB103_1266:
	s_delay_alu instid0(SALU_CYCLE_1)
	s_and_not1_b32 vcc_lo, exec_lo, s30
	s_cbranch_vccnz .LBB103_1277
; %bb.1267:
	s_cmp_lt_i32 s0, 6
	s_cbranch_scc1 .LBB103_1270
; %bb.1268:
	s_cmp_gt_i32 s0, 6
	s_cbranch_scc0 .LBB103_1271
; %bb.1269:
	s_wait_loadcnt 0x0
	global_load_b64 v[8:9], v[10:11], off
	s_mov_b32 s30, 0
	s_wait_loadcnt 0x0
	v_trunc_f64_e32 v[8:9], v[8:9]
	s_delay_alu instid0(VALU_DEP_1) | instskip(NEXT) | instid1(VALU_DEP_1)
	v_ldexp_f64 v[12:13], v[8:9], 0xffffffe0
	v_floor_f64_e32 v[12:13], v[12:13]
	s_delay_alu instid0(VALU_DEP_1) | instskip(NEXT) | instid1(VALU_DEP_1)
	v_fmamk_f64 v[8:9], v[12:13], 0xc1f00000, v[8:9]
	v_cvt_u32_f64_e32 v8, v[8:9]
	s_branch .LBB103_1272
.LBB103_1270:
	s_mov_b32 s30, -1
                                        ; implicit-def: $vgpr8
	s_branch .LBB103_1275
.LBB103_1271:
	s_mov_b32 s30, -1
                                        ; implicit-def: $vgpr8
.LBB103_1272:
	s_delay_alu instid0(SALU_CYCLE_1)
	s_and_not1_b32 vcc_lo, exec_lo, s30
	s_cbranch_vccnz .LBB103_1274
; %bb.1273:
	global_load_b32 v1, v[10:11], off
	s_wait_loadcnt 0x0
	v_trunc_f32_e32 v1, v1
	s_delay_alu instid0(VALU_DEP_1) | instskip(NEXT) | instid1(VALU_DEP_1)
	v_mul_f32_e64 v3, 0x2f800000, |v1|
	v_floor_f32_e32 v3, v3
	s_delay_alu instid0(VALU_DEP_1) | instskip(SKIP_1) | instid1(VALU_DEP_2)
	v_fma_f32 v3, 0xcf800000, v3, |v1|
	v_ashrrev_i32_e32 v1, 31, v1
	v_cvt_u32_f32_e32 v3, v3
	s_delay_alu instid0(VALU_DEP_1) | instskip(NEXT) | instid1(VALU_DEP_1)
	v_xor_b32_e32 v3, v3, v1
	v_sub_nc_u32_e32 v8, v3, v1
.LBB103_1274:
	s_mov_b32 s30, 0
.LBB103_1275:
	s_delay_alu instid0(SALU_CYCLE_1)
	s_and_not1_b32 vcc_lo, exec_lo, s30
	s_cbranch_vccnz .LBB103_1277
; %bb.1276:
	global_load_u16 v1, v[10:11], off
	s_wait_loadcnt 0x0
	v_cvt_f32_f16_e32 v1, v1
	s_delay_alu instid0(VALU_DEP_1)
	v_cvt_i32_f32_e32 v8, v1
.LBB103_1277:
	s_mov_b32 s30, 0
.LBB103_1278:
	s_delay_alu instid0(SALU_CYCLE_1)
	s_and_not1_b32 vcc_lo, exec_lo, s30
	s_cbranch_vccnz .LBB103_1298
; %bb.1279:
	s_cmp_lt_i32 s0, 2
	s_cbranch_scc1 .LBB103_1283
; %bb.1280:
	s_cmp_lt_i32 s0, 3
	s_cbranch_scc1 .LBB103_1284
; %bb.1281:
	s_cmp_gt_i32 s0, 3
	s_cbranch_scc0 .LBB103_1285
; %bb.1282:
	s_wait_loadcnt 0x0
	global_load_b64 v[8:9], v[10:11], off
	s_mov_b32 s30, 0
	s_branch .LBB103_1286
.LBB103_1283:
	s_mov_b32 s30, -1
                                        ; implicit-def: $vgpr8
	s_branch .LBB103_1292
.LBB103_1284:
	s_mov_b32 s30, -1
                                        ; implicit-def: $vgpr8
	s_branch .LBB103_1289
.LBB103_1285:
	s_mov_b32 s30, -1
                                        ; implicit-def: $vgpr8
.LBB103_1286:
	s_delay_alu instid0(SALU_CYCLE_1)
	s_and_not1_b32 vcc_lo, exec_lo, s30
	s_cbranch_vccnz .LBB103_1288
; %bb.1287:
	s_wait_loadcnt 0x0
	global_load_b32 v8, v[10:11], off
.LBB103_1288:
	s_mov_b32 s30, 0
.LBB103_1289:
	s_delay_alu instid0(SALU_CYCLE_1)
	s_and_not1_b32 vcc_lo, exec_lo, s30
	s_cbranch_vccnz .LBB103_1291
; %bb.1290:
	s_wait_loadcnt 0x0
	global_load_u16 v8, v[10:11], off
.LBB103_1291:
	s_mov_b32 s30, 0
.LBB103_1292:
	s_delay_alu instid0(SALU_CYCLE_1)
	s_and_not1_b32 vcc_lo, exec_lo, s30
	s_cbranch_vccnz .LBB103_1298
; %bb.1293:
	s_cmp_gt_i32 s0, 0
	s_mov_b32 s0, 0
	s_cbranch_scc0 .LBB103_1295
; %bb.1294:
	s_wait_loadcnt 0x0
	global_load_u8 v8, v[10:11], off
	s_branch .LBB103_1296
.LBB103_1295:
	s_mov_b32 s0, -1
                                        ; implicit-def: $vgpr8
.LBB103_1296:
	s_delay_alu instid0(SALU_CYCLE_1)
	s_and_not1_b32 vcc_lo, exec_lo, s0
	s_cbranch_vccnz .LBB103_1298
; %bb.1297:
	s_wait_loadcnt 0x0
	global_load_u8 v8, v[10:11], off
.LBB103_1298:
	s_mov_b32 s31, -1
.LBB103_1299:
	s_delay_alu instid0(SALU_CYCLE_1)
	s_and_not1_b32 vcc_lo, exec_lo, s31
	s_cbranch_vccnz .LBB103_1307
; %bb.1300:
	v_mov_b32_e32 v7, 0
	s_and_b32 s0, 0xffff, s21
	s_delay_alu instid0(SALU_CYCLE_1) | instskip(NEXT) | instid1(VALU_DEP_1)
	s_cmp_lt_i32 s0, 11
	v_add_nc_u64_e32 v[6:7], s[10:11], v[6:7]
	s_cbranch_scc1 .LBB103_1308
; %bb.1301:
	s_cmp_gt_i32 s0, 25
	s_cbranch_scc0 .LBB103_1309
; %bb.1302:
	s_cmp_gt_i32 s0, 28
	s_cbranch_scc0 .LBB103_1310
	;; [unrolled: 3-line block ×4, first 2 shown]
; %bb.1305:
	s_cmp_eq_u32 s0, 46
	s_mov_b32 s56, 0
	s_cbranch_scc0 .LBB103_1315
; %bb.1306:
	global_load_b32 v1, v[6:7], off
	s_mov_b32 s31, -1
	s_mov_b32 s30, 0
	s_wait_loadcnt 0x0
	v_lshlrev_b32_e32 v1, 16, v1
	s_delay_alu instid0(VALU_DEP_1) | instskip(NEXT) | instid1(VALU_DEP_1)
	v_trunc_f32_e32 v1, v1
	v_mul_f32_e64 v3, 0x2f800000, |v1|
	s_delay_alu instid0(VALU_DEP_1) | instskip(NEXT) | instid1(VALU_DEP_1)
	v_floor_f32_e32 v3, v3
	v_fma_f32 v3, 0xcf800000, v3, |v1|
	v_ashrrev_i32_e32 v1, 31, v1
	s_delay_alu instid0(VALU_DEP_2) | instskip(NEXT) | instid1(VALU_DEP_1)
	v_cvt_u32_f32_e32 v3, v3
	v_xor_b32_e32 v3, v3, v1
	s_wait_xcnt 0x1
	s_delay_alu instid0(VALU_DEP_1)
	v_sub_nc_u32_e32 v10, v3, v1
	s_branch .LBB103_1317
.LBB103_1307:
	s_mov_b32 s31, 0
	s_mov_b32 s0, s51
	;; [unrolled: 1-line block ×3, first 2 shown]
	s_branch .LBB103_1552
.LBB103_1308:
	s_mov_b32 s56, -1
	s_mov_b32 s31, 0
	s_mov_b32 s30, s52
                                        ; implicit-def: $vgpr10
	s_branch .LBB103_1378
.LBB103_1309:
	s_mov_b32 s56, -1
	s_mov_b32 s31, 0
	s_mov_b32 s30, s52
                                        ; implicit-def: $vgpr10
	s_branch .LBB103_1344
.LBB103_1310:
	s_mov_b32 s56, -1
	s_mov_b32 s31, 0
	s_mov_b32 s30, s52
                                        ; implicit-def: $vgpr10
	s_branch .LBB103_1327
.LBB103_1311:
	s_mov_b32 s56, -1
	s_mov_b32 s31, 0
	s_mov_b32 s30, s52
                                        ; implicit-def: $vgpr10
	s_branch .LBB103_1322
.LBB103_1312:
	s_mov_b32 s56, -1
	s_mov_b32 s31, 0
	s_mov_b32 s30, s52
	s_branch .LBB103_1316
.LBB103_1313:
	s_and_not1_saveexec_b32 s53, s53
	s_cbranch_execz .LBB103_954
.LBB103_1314:
	v_add_f32_e32 v4, 0x42800000, v5
	s_and_not1_b32 s52, s52, exec_lo
	s_delay_alu instid0(VALU_DEP_1) | instskip(NEXT) | instid1(VALU_DEP_1)
	v_and_b32_e32 v4, 0xff, v4
	v_cmp_ne_u32_e32 vcc_lo, 0, v4
	s_and_b32 s55, vcc_lo, exec_lo
	s_delay_alu instid0(SALU_CYCLE_1)
	s_or_b32 s52, s52, s55
	s_or_b32 exec_lo, exec_lo, s53
	v_mov_b32_e32 v6, 0
	s_and_saveexec_b32 s53, s52
	s_cbranch_execnz .LBB103_955
	s_branch .LBB103_956
.LBB103_1315:
	s_mov_b32 s30, -1
	s_mov_b32 s31, 0
.LBB103_1316:
                                        ; implicit-def: $vgpr10
.LBB103_1317:
	s_and_b32 vcc_lo, exec_lo, s56
	s_cbranch_vccz .LBB103_1321
; %bb.1318:
	s_cmp_eq_u32 s0, 44
	s_cbranch_scc0 .LBB103_1320
; %bb.1319:
	global_load_u8 v1, v[6:7], off
	s_mov_b32 s30, 0
	s_mov_b32 s31, -1
	s_wait_loadcnt 0x0
	v_lshlrev_b32_e32 v3, 23, v1
	v_cmp_ne_u32_e32 vcc_lo, 0, v1
	s_delay_alu instid0(VALU_DEP_2) | instskip(NEXT) | instid1(VALU_DEP_1)
	v_trunc_f32_e32 v3, v3
	v_mul_f32_e64 v5, 0x2f800000, |v3|
	s_delay_alu instid0(VALU_DEP_1) | instskip(NEXT) | instid1(VALU_DEP_1)
	v_floor_f32_e32 v5, v5
	v_fma_f32 v5, 0xcf800000, v5, |v3|
	v_ashrrev_i32_e32 v3, 31, v3
	s_delay_alu instid0(VALU_DEP_2) | instskip(NEXT) | instid1(VALU_DEP_1)
	v_cvt_u32_f32_e32 v5, v5
	v_xor_b32_e32 v5, v5, v3
	s_delay_alu instid0(VALU_DEP_1) | instskip(SKIP_1) | instid1(VALU_DEP_1)
	v_sub_nc_u32_e32 v3, v5, v3
	s_wait_xcnt 0x1
	v_cndmask_b32_e32 v10, 0, v3, vcc_lo
	s_branch .LBB103_1321
.LBB103_1320:
	s_mov_b32 s30, -1
                                        ; implicit-def: $vgpr10
.LBB103_1321:
	s_mov_b32 s56, 0
.LBB103_1322:
	s_delay_alu instid0(SALU_CYCLE_1)
	s_and_b32 vcc_lo, exec_lo, s56
	s_cbranch_vccz .LBB103_1326
; %bb.1323:
	s_cmp_eq_u32 s0, 29
	s_cbranch_scc0 .LBB103_1325
; %bb.1324:
	global_load_b64 v[10:11], v[6:7], off
	s_mov_b32 s31, -1
	s_mov_b32 s30, 0
	s_branch .LBB103_1326
.LBB103_1325:
	s_mov_b32 s30, -1
                                        ; implicit-def: $vgpr10
.LBB103_1326:
	s_mov_b32 s56, 0
.LBB103_1327:
	s_delay_alu instid0(SALU_CYCLE_1)
	s_and_b32 vcc_lo, exec_lo, s56
	s_cbranch_vccz .LBB103_1343
; %bb.1328:
	s_cmp_lt_i32 s0, 27
	s_cbranch_scc1 .LBB103_1331
; %bb.1329:
	s_cmp_gt_i32 s0, 27
	s_cbranch_scc0 .LBB103_1332
; %bb.1330:
	s_wait_loadcnt 0x0
	global_load_b32 v10, v[6:7], off
	s_mov_b32 s31, 0
	s_branch .LBB103_1333
.LBB103_1331:
	s_mov_b32 s31, -1
                                        ; implicit-def: $vgpr10
	s_branch .LBB103_1336
.LBB103_1332:
	s_mov_b32 s31, -1
                                        ; implicit-def: $vgpr10
.LBB103_1333:
	s_delay_alu instid0(SALU_CYCLE_1)
	s_and_not1_b32 vcc_lo, exec_lo, s31
	s_cbranch_vccnz .LBB103_1335
; %bb.1334:
	s_wait_loadcnt 0x0
	global_load_u16 v10, v[6:7], off
.LBB103_1335:
	s_mov_b32 s31, 0
.LBB103_1336:
	s_delay_alu instid0(SALU_CYCLE_1)
	s_and_not1_b32 vcc_lo, exec_lo, s31
	s_cbranch_vccnz .LBB103_1342
; %bb.1337:
	global_load_u8 v1, v[6:7], off
	s_mov_b32 s56, 0
	s_mov_b32 s31, exec_lo
	s_wait_loadcnt 0x0
	v_cmpx_lt_i16_e32 0x7f, v1
	s_xor_b32 s31, exec_lo, s31
	s_cbranch_execz .LBB103_1354
; %bb.1338:
	v_cmp_ne_u16_e32 vcc_lo, 0x80, v1
	s_and_b32 s56, vcc_lo, exec_lo
	s_and_not1_saveexec_b32 s31, s31
	s_cbranch_execnz .LBB103_1355
.LBB103_1339:
	s_or_b32 exec_lo, exec_lo, s31
	v_mov_b32_e32 v10, 0
	s_and_saveexec_b32 s31, s56
	s_cbranch_execz .LBB103_1341
.LBB103_1340:
	v_and_b32_e32 v3, 0xffff, v1
	s_delay_alu instid0(VALU_DEP_1) | instskip(SKIP_1) | instid1(VALU_DEP_2)
	v_and_b32_e32 v5, 7, v3
	v_bfe_u32 v11, v3, 3, 4
	v_clz_i32_u32_e32 v9, v5
	s_delay_alu instid0(VALU_DEP_2) | instskip(NEXT) | instid1(VALU_DEP_2)
	v_cmp_eq_u32_e32 vcc_lo, 0, v11
	v_min_u32_e32 v9, 32, v9
	s_delay_alu instid0(VALU_DEP_1) | instskip(NEXT) | instid1(VALU_DEP_1)
	v_subrev_nc_u32_e32 v10, 28, v9
	v_dual_lshlrev_b32 v3, v10, v3 :: v_dual_sub_nc_u32 v9, 29, v9
	s_delay_alu instid0(VALU_DEP_1) | instskip(NEXT) | instid1(VALU_DEP_1)
	v_dual_lshlrev_b32 v1, 24, v1 :: v_dual_bitop2_b32 v3, 7, v3 bitop3:0x40
	v_dual_cndmask_b32 v3, v5, v3, vcc_lo :: v_dual_cndmask_b32 v9, v11, v9, vcc_lo
	s_delay_alu instid0(VALU_DEP_2) | instskip(NEXT) | instid1(VALU_DEP_2)
	v_and_b32_e32 v1, 0x80000000, v1
	v_lshlrev_b32_e32 v3, 20, v3
	s_delay_alu instid0(VALU_DEP_3) | instskip(NEXT) | instid1(VALU_DEP_1)
	v_lshl_add_u32 v5, v9, 23, 0x3b800000
	v_or3_b32 v1, v1, v5, v3
	s_delay_alu instid0(VALU_DEP_1) | instskip(NEXT) | instid1(VALU_DEP_1)
	v_trunc_f32_e32 v1, v1
	v_mul_f32_e64 v3, 0x2f800000, |v1|
	s_delay_alu instid0(VALU_DEP_1) | instskip(NEXT) | instid1(VALU_DEP_1)
	v_floor_f32_e32 v3, v3
	v_fma_f32 v3, 0xcf800000, v3, |v1|
	v_ashrrev_i32_e32 v1, 31, v1
	s_delay_alu instid0(VALU_DEP_2) | instskip(NEXT) | instid1(VALU_DEP_1)
	v_cvt_u32_f32_e32 v3, v3
	v_xor_b32_e32 v3, v3, v1
	s_delay_alu instid0(VALU_DEP_1)
	v_sub_nc_u32_e32 v10, v3, v1
.LBB103_1341:
	s_or_b32 exec_lo, exec_lo, s31
.LBB103_1342:
	s_mov_b32 s31, -1
.LBB103_1343:
	s_mov_b32 s56, 0
.LBB103_1344:
	s_delay_alu instid0(SALU_CYCLE_1)
	s_and_b32 vcc_lo, exec_lo, s56
	s_cbranch_vccz .LBB103_1377
; %bb.1345:
	s_cmp_gt_i32 s0, 22
	s_cbranch_scc0 .LBB103_1353
; %bb.1346:
	s_cmp_lt_i32 s0, 24
	s_cbranch_scc1 .LBB103_1356
; %bb.1347:
	s_cmp_gt_i32 s0, 24
	s_cbranch_scc0 .LBB103_1357
; %bb.1348:
	global_load_u8 v1, v[6:7], off
	s_mov_b32 s56, 0
	s_mov_b32 s31, exec_lo
	s_wait_loadcnt 0x0
	v_cmpx_lt_i16_e32 0x7f, v1
	s_xor_b32 s31, exec_lo, s31
	s_cbranch_execz .LBB103_1369
; %bb.1349:
	v_cmp_ne_u16_e32 vcc_lo, 0x80, v1
	s_and_b32 s56, vcc_lo, exec_lo
	s_and_not1_saveexec_b32 s31, s31
	s_cbranch_execnz .LBB103_1370
.LBB103_1350:
	s_or_b32 exec_lo, exec_lo, s31
	v_mov_b32_e32 v10, 0
	s_and_saveexec_b32 s31, s56
	s_cbranch_execz .LBB103_1352
.LBB103_1351:
	v_and_b32_e32 v3, 0xffff, v1
	s_delay_alu instid0(VALU_DEP_1) | instskip(SKIP_1) | instid1(VALU_DEP_2)
	v_and_b32_e32 v5, 3, v3
	v_bfe_u32 v11, v3, 2, 5
	v_clz_i32_u32_e32 v9, v5
	s_delay_alu instid0(VALU_DEP_2) | instskip(NEXT) | instid1(VALU_DEP_2)
	v_cmp_eq_u32_e32 vcc_lo, 0, v11
	v_min_u32_e32 v9, 32, v9
	s_delay_alu instid0(VALU_DEP_1) | instskip(NEXT) | instid1(VALU_DEP_1)
	v_subrev_nc_u32_e32 v10, 29, v9
	v_dual_lshlrev_b32 v3, v10, v3 :: v_dual_sub_nc_u32 v9, 30, v9
	s_delay_alu instid0(VALU_DEP_1) | instskip(NEXT) | instid1(VALU_DEP_1)
	v_dual_lshlrev_b32 v1, 24, v1 :: v_dual_bitop2_b32 v3, 3, v3 bitop3:0x40
	v_dual_cndmask_b32 v3, v5, v3, vcc_lo :: v_dual_cndmask_b32 v9, v11, v9, vcc_lo
	s_delay_alu instid0(VALU_DEP_2) | instskip(NEXT) | instid1(VALU_DEP_2)
	v_and_b32_e32 v1, 0x80000000, v1
	v_lshlrev_b32_e32 v3, 21, v3
	s_delay_alu instid0(VALU_DEP_3) | instskip(NEXT) | instid1(VALU_DEP_1)
	v_lshl_add_u32 v5, v9, 23, 0x37800000
	v_or3_b32 v1, v1, v5, v3
	s_delay_alu instid0(VALU_DEP_1) | instskip(NEXT) | instid1(VALU_DEP_1)
	v_trunc_f32_e32 v1, v1
	v_mul_f32_e64 v3, 0x2f800000, |v1|
	s_delay_alu instid0(VALU_DEP_1) | instskip(NEXT) | instid1(VALU_DEP_1)
	v_floor_f32_e32 v3, v3
	v_fma_f32 v3, 0xcf800000, v3, |v1|
	v_ashrrev_i32_e32 v1, 31, v1
	s_delay_alu instid0(VALU_DEP_2) | instskip(NEXT) | instid1(VALU_DEP_1)
	v_cvt_u32_f32_e32 v3, v3
	v_xor_b32_e32 v3, v3, v1
	s_delay_alu instid0(VALU_DEP_1)
	v_sub_nc_u32_e32 v10, v3, v1
.LBB103_1352:
	s_or_b32 exec_lo, exec_lo, s31
	s_mov_b32 s31, 0
	s_branch .LBB103_1358
.LBB103_1353:
	s_mov_b32 s56, -1
                                        ; implicit-def: $vgpr10
	s_branch .LBB103_1364
.LBB103_1354:
	s_and_not1_saveexec_b32 s31, s31
	s_cbranch_execz .LBB103_1339
.LBB103_1355:
	v_cmp_ne_u16_e32 vcc_lo, 0, v1
	s_and_not1_b32 s56, s56, exec_lo
	s_and_b32 s57, vcc_lo, exec_lo
	s_delay_alu instid0(SALU_CYCLE_1)
	s_or_b32 s56, s56, s57
	s_or_b32 exec_lo, exec_lo, s31
	v_mov_b32_e32 v10, 0
	s_and_saveexec_b32 s31, s56
	s_cbranch_execnz .LBB103_1340
	s_branch .LBB103_1341
.LBB103_1356:
	s_mov_b32 s31, -1
                                        ; implicit-def: $vgpr10
	s_branch .LBB103_1361
.LBB103_1357:
	s_mov_b32 s31, -1
                                        ; implicit-def: $vgpr10
.LBB103_1358:
	s_delay_alu instid0(SALU_CYCLE_1)
	s_and_b32 vcc_lo, exec_lo, s31
	s_cbranch_vccz .LBB103_1360
; %bb.1359:
	global_load_u8 v1, v[6:7], off
	s_wait_loadcnt 0x0
	v_lshlrev_b32_e32 v1, 24, v1
	s_delay_alu instid0(VALU_DEP_1) | instskip(NEXT) | instid1(VALU_DEP_1)
	v_and_b32_e32 v3, 0x7f000000, v1
	v_clz_i32_u32_e32 v5, v3
	v_cmp_ne_u32_e32 vcc_lo, 0, v3
	s_wait_xcnt 0x1
	v_add_nc_u32_e32 v10, 0x1000000, v3
	s_delay_alu instid0(VALU_DEP_3) | instskip(NEXT) | instid1(VALU_DEP_1)
	v_min_u32_e32 v5, 32, v5
	v_sub_nc_u32_e64 v5, v5, 4 clamp
	s_delay_alu instid0(VALU_DEP_1) | instskip(NEXT) | instid1(VALU_DEP_1)
	v_dual_lshlrev_b32 v9, v5, v3 :: v_dual_lshlrev_b32 v5, 23, v5
	v_lshrrev_b32_e32 v9, 4, v9
	s_delay_alu instid0(VALU_DEP_1) | instskip(NEXT) | instid1(VALU_DEP_1)
	v_dual_sub_nc_u32 v5, v9, v5 :: v_dual_ashrrev_i32 v9, 8, v10
	v_add_nc_u32_e32 v5, 0x3c000000, v5
	s_delay_alu instid0(VALU_DEP_1) | instskip(NEXT) | instid1(VALU_DEP_1)
	v_and_or_b32 v5, 0x7f800000, v9, v5
	v_cndmask_b32_e32 v3, 0, v5, vcc_lo
	s_delay_alu instid0(VALU_DEP_1) | instskip(NEXT) | instid1(VALU_DEP_1)
	v_and_or_b32 v1, 0x80000000, v1, v3
	v_trunc_f32_e32 v1, v1
	s_delay_alu instid0(VALU_DEP_1) | instskip(NEXT) | instid1(VALU_DEP_1)
	v_mul_f32_e64 v3, 0x2f800000, |v1|
	v_floor_f32_e32 v3, v3
	s_delay_alu instid0(VALU_DEP_1) | instskip(SKIP_1) | instid1(VALU_DEP_2)
	v_fma_f32 v3, 0xcf800000, v3, |v1|
	v_ashrrev_i32_e32 v1, 31, v1
	v_cvt_u32_f32_e32 v3, v3
	s_delay_alu instid0(VALU_DEP_1) | instskip(NEXT) | instid1(VALU_DEP_1)
	v_xor_b32_e32 v3, v3, v1
	v_sub_nc_u32_e32 v10, v3, v1
.LBB103_1360:
	s_mov_b32 s31, 0
.LBB103_1361:
	s_delay_alu instid0(SALU_CYCLE_1)
	s_and_not1_b32 vcc_lo, exec_lo, s31
	s_cbranch_vccnz .LBB103_1363
; %bb.1362:
	global_load_u8 v1, v[6:7], off
	s_wait_loadcnt 0x0
	v_lshlrev_b32_e32 v3, 25, v1
	v_lshlrev_b16 v1, 8, v1
	s_delay_alu instid0(VALU_DEP_2) | instskip(NEXT) | instid1(VALU_DEP_2)
	v_cmp_gt_u32_e32 vcc_lo, 0x8000000, v3
	v_and_or_b32 v9, 0x7f00, v1, 0.5
	v_lshrrev_b32_e32 v5, 4, v3
	v_bfe_i32 v1, v1, 0, 16
	s_delay_alu instid0(VALU_DEP_3) | instskip(NEXT) | instid1(VALU_DEP_3)
	v_add_f32_e32 v9, -0.5, v9
	v_or_b32_e32 v5, 0x70000000, v5
	s_delay_alu instid0(VALU_DEP_1) | instskip(NEXT) | instid1(VALU_DEP_1)
	v_mul_f32_e32 v5, 0x7800000, v5
	v_cndmask_b32_e32 v3, v5, v9, vcc_lo
	s_delay_alu instid0(VALU_DEP_1) | instskip(NEXT) | instid1(VALU_DEP_1)
	v_and_or_b32 v1, 0x80000000, v1, v3
	v_trunc_f32_e32 v1, v1
	s_delay_alu instid0(VALU_DEP_1) | instskip(NEXT) | instid1(VALU_DEP_1)
	v_mul_f32_e64 v3, 0x2f800000, |v1|
	v_floor_f32_e32 v3, v3
	s_delay_alu instid0(VALU_DEP_1) | instskip(SKIP_1) | instid1(VALU_DEP_2)
	v_fma_f32 v3, 0xcf800000, v3, |v1|
	v_ashrrev_i32_e32 v1, 31, v1
	v_cvt_u32_f32_e32 v3, v3
	s_delay_alu instid0(VALU_DEP_1) | instskip(SKIP_1) | instid1(VALU_DEP_1)
	v_xor_b32_e32 v3, v3, v1
	s_wait_xcnt 0x1
	v_sub_nc_u32_e32 v10, v3, v1
.LBB103_1363:
	s_mov_b32 s56, 0
	s_mov_b32 s31, -1
.LBB103_1364:
	s_and_not1_b32 vcc_lo, exec_lo, s56
	s_cbranch_vccnz .LBB103_1377
; %bb.1365:
	s_cmp_gt_i32 s0, 14
	s_cbranch_scc0 .LBB103_1368
; %bb.1366:
	s_cmp_eq_u32 s0, 15
	s_cbranch_scc0 .LBB103_1371
; %bb.1367:
	global_load_u16 v1, v[6:7], off
	s_mov_b32 s31, -1
	s_mov_b32 s30, 0
	s_wait_loadcnt 0x0
	v_lshlrev_b32_e32 v1, 16, v1
	s_delay_alu instid0(VALU_DEP_1) | instskip(NEXT) | instid1(VALU_DEP_1)
	v_trunc_f32_e32 v1, v1
	v_mul_f32_e64 v3, 0x2f800000, |v1|
	s_delay_alu instid0(VALU_DEP_1) | instskip(NEXT) | instid1(VALU_DEP_1)
	v_floor_f32_e32 v3, v3
	v_fma_f32 v3, 0xcf800000, v3, |v1|
	v_ashrrev_i32_e32 v1, 31, v1
	s_delay_alu instid0(VALU_DEP_2) | instskip(NEXT) | instid1(VALU_DEP_1)
	v_cvt_u32_f32_e32 v3, v3
	v_xor_b32_e32 v3, v3, v1
	s_wait_xcnt 0x1
	s_delay_alu instid0(VALU_DEP_1)
	v_sub_nc_u32_e32 v10, v3, v1
	s_branch .LBB103_1372
.LBB103_1368:
	s_mov_b32 s56, -1
                                        ; implicit-def: $vgpr10
	s_branch .LBB103_1373
.LBB103_1369:
	s_and_not1_saveexec_b32 s31, s31
	s_cbranch_execz .LBB103_1350
.LBB103_1370:
	v_cmp_ne_u16_e32 vcc_lo, 0, v1
	s_and_not1_b32 s56, s56, exec_lo
	s_and_b32 s57, vcc_lo, exec_lo
	s_delay_alu instid0(SALU_CYCLE_1)
	s_or_b32 s56, s56, s57
	s_or_b32 exec_lo, exec_lo, s31
	v_mov_b32_e32 v10, 0
	s_and_saveexec_b32 s31, s56
	s_cbranch_execnz .LBB103_1351
	s_branch .LBB103_1352
.LBB103_1371:
	s_mov_b32 s30, -1
                                        ; implicit-def: $vgpr10
.LBB103_1372:
	s_mov_b32 s56, 0
.LBB103_1373:
	s_delay_alu instid0(SALU_CYCLE_1)
	s_and_b32 vcc_lo, exec_lo, s56
	s_cbranch_vccz .LBB103_1377
; %bb.1374:
	s_cmp_eq_u32 s0, 11
	s_cbranch_scc0 .LBB103_1376
; %bb.1375:
	global_load_u8 v1, v[6:7], off
	s_mov_b32 s30, 0
	s_mov_b32 s31, -1
	s_wait_loadcnt 0x0
	v_cmp_ne_u16_e32 vcc_lo, 0, v1
	s_wait_xcnt 0x1
	v_cndmask_b32_e64 v10, 0, 1, vcc_lo
	s_branch .LBB103_1377
.LBB103_1376:
	s_mov_b32 s30, -1
                                        ; implicit-def: $vgpr10
.LBB103_1377:
	s_mov_b32 s56, 0
.LBB103_1378:
	s_delay_alu instid0(SALU_CYCLE_1)
	s_and_b32 vcc_lo, exec_lo, s56
	s_cbranch_vccz .LBB103_1427
; %bb.1379:
	s_cmp_lt_i32 s0, 5
	s_cbranch_scc1 .LBB103_1384
; %bb.1380:
	s_cmp_lt_i32 s0, 8
	s_cbranch_scc1 .LBB103_1385
	;; [unrolled: 3-line block ×3, first 2 shown]
; %bb.1382:
	s_cmp_gt_i32 s0, 9
	s_cbranch_scc0 .LBB103_1387
; %bb.1383:
	s_wait_loadcnt 0x0
	global_load_b64 v[10:11], v[6:7], off
	s_mov_b32 s31, 0
	s_wait_loadcnt 0x0
	v_trunc_f64_e32 v[10:11], v[10:11]
	s_delay_alu instid0(VALU_DEP_1) | instskip(NEXT) | instid1(VALU_DEP_1)
	v_ldexp_f64 v[12:13], v[10:11], 0xffffffe0
	v_floor_f64_e32 v[12:13], v[12:13]
	s_delay_alu instid0(VALU_DEP_1) | instskip(NEXT) | instid1(VALU_DEP_1)
	v_fmamk_f64 v[10:11], v[12:13], 0xc1f00000, v[10:11]
	v_cvt_u32_f64_e32 v10, v[10:11]
	s_branch .LBB103_1388
.LBB103_1384:
	s_mov_b32 s31, -1
                                        ; implicit-def: $vgpr10
	s_branch .LBB103_1406
.LBB103_1385:
	s_mov_b32 s31, -1
                                        ; implicit-def: $vgpr10
	s_branch .LBB103_1394
.LBB103_1386:
	s_mov_b32 s31, -1
                                        ; implicit-def: $vgpr10
	s_branch .LBB103_1391
.LBB103_1387:
	s_mov_b32 s31, -1
                                        ; implicit-def: $vgpr10
.LBB103_1388:
	s_delay_alu instid0(SALU_CYCLE_1)
	s_and_not1_b32 vcc_lo, exec_lo, s31
	s_cbranch_vccnz .LBB103_1390
; %bb.1389:
	global_load_b32 v1, v[6:7], off
	s_wait_loadcnt 0x0
	v_trunc_f32_e32 v1, v1
	s_delay_alu instid0(VALU_DEP_1) | instskip(NEXT) | instid1(VALU_DEP_1)
	v_mul_f32_e64 v3, 0x2f800000, |v1|
	v_floor_f32_e32 v3, v3
	s_delay_alu instid0(VALU_DEP_1) | instskip(SKIP_1) | instid1(VALU_DEP_2)
	v_fma_f32 v3, 0xcf800000, v3, |v1|
	v_ashrrev_i32_e32 v1, 31, v1
	v_cvt_u32_f32_e32 v3, v3
	s_delay_alu instid0(VALU_DEP_1) | instskip(SKIP_1) | instid1(VALU_DEP_1)
	v_xor_b32_e32 v3, v3, v1
	s_wait_xcnt 0x1
	v_sub_nc_u32_e32 v10, v3, v1
.LBB103_1390:
	s_mov_b32 s31, 0
.LBB103_1391:
	s_delay_alu instid0(SALU_CYCLE_1)
	s_and_not1_b32 vcc_lo, exec_lo, s31
	s_cbranch_vccnz .LBB103_1393
; %bb.1392:
	global_load_b32 v1, v[6:7], off
	s_wait_loadcnt 0x0
	v_cvt_f32_f16_e32 v1, v1
	s_wait_xcnt 0x1
	s_delay_alu instid0(VALU_DEP_1)
	v_cvt_i32_f32_e32 v10, v1
.LBB103_1393:
	s_mov_b32 s31, 0
.LBB103_1394:
	s_delay_alu instid0(SALU_CYCLE_1)
	s_and_not1_b32 vcc_lo, exec_lo, s31
	s_cbranch_vccnz .LBB103_1405
; %bb.1395:
	s_cmp_lt_i32 s0, 6
	s_cbranch_scc1 .LBB103_1398
; %bb.1396:
	s_cmp_gt_i32 s0, 6
	s_cbranch_scc0 .LBB103_1399
; %bb.1397:
	s_wait_loadcnt 0x0
	global_load_b64 v[10:11], v[6:7], off
	s_mov_b32 s31, 0
	s_wait_loadcnt 0x0
	v_trunc_f64_e32 v[10:11], v[10:11]
	s_delay_alu instid0(VALU_DEP_1) | instskip(NEXT) | instid1(VALU_DEP_1)
	v_ldexp_f64 v[12:13], v[10:11], 0xffffffe0
	v_floor_f64_e32 v[12:13], v[12:13]
	s_delay_alu instid0(VALU_DEP_1) | instskip(NEXT) | instid1(VALU_DEP_1)
	v_fmamk_f64 v[10:11], v[12:13], 0xc1f00000, v[10:11]
	v_cvt_u32_f64_e32 v10, v[10:11]
	s_branch .LBB103_1400
.LBB103_1398:
	s_mov_b32 s31, -1
                                        ; implicit-def: $vgpr10
	s_branch .LBB103_1403
.LBB103_1399:
	s_mov_b32 s31, -1
                                        ; implicit-def: $vgpr10
.LBB103_1400:
	s_delay_alu instid0(SALU_CYCLE_1)
	s_and_not1_b32 vcc_lo, exec_lo, s31
	s_cbranch_vccnz .LBB103_1402
; %bb.1401:
	global_load_b32 v1, v[6:7], off
	s_wait_loadcnt 0x0
	v_trunc_f32_e32 v1, v1
	s_delay_alu instid0(VALU_DEP_1) | instskip(NEXT) | instid1(VALU_DEP_1)
	v_mul_f32_e64 v3, 0x2f800000, |v1|
	v_floor_f32_e32 v3, v3
	s_delay_alu instid0(VALU_DEP_1) | instskip(SKIP_1) | instid1(VALU_DEP_2)
	v_fma_f32 v3, 0xcf800000, v3, |v1|
	v_ashrrev_i32_e32 v1, 31, v1
	v_cvt_u32_f32_e32 v3, v3
	s_delay_alu instid0(VALU_DEP_1) | instskip(SKIP_1) | instid1(VALU_DEP_1)
	v_xor_b32_e32 v3, v3, v1
	s_wait_xcnt 0x1
	v_sub_nc_u32_e32 v10, v3, v1
.LBB103_1402:
	s_mov_b32 s31, 0
.LBB103_1403:
	s_delay_alu instid0(SALU_CYCLE_1)
	s_and_not1_b32 vcc_lo, exec_lo, s31
	s_cbranch_vccnz .LBB103_1405
; %bb.1404:
	global_load_u16 v1, v[6:7], off
	s_wait_loadcnt 0x0
	v_cvt_f32_f16_e32 v1, v1
	s_wait_xcnt 0x1
	s_delay_alu instid0(VALU_DEP_1)
	v_cvt_i32_f32_e32 v10, v1
.LBB103_1405:
	s_mov_b32 s31, 0
.LBB103_1406:
	s_delay_alu instid0(SALU_CYCLE_1)
	s_and_not1_b32 vcc_lo, exec_lo, s31
	s_cbranch_vccnz .LBB103_1426
; %bb.1407:
	s_cmp_lt_i32 s0, 2
	s_cbranch_scc1 .LBB103_1411
; %bb.1408:
	s_cmp_lt_i32 s0, 3
	s_cbranch_scc1 .LBB103_1412
; %bb.1409:
	s_cmp_gt_i32 s0, 3
	s_cbranch_scc0 .LBB103_1413
; %bb.1410:
	s_wait_loadcnt 0x0
	global_load_b64 v[10:11], v[6:7], off
	s_mov_b32 s31, 0
	s_branch .LBB103_1414
.LBB103_1411:
	s_mov_b32 s31, -1
                                        ; implicit-def: $vgpr10
	s_branch .LBB103_1420
.LBB103_1412:
	s_mov_b32 s31, -1
                                        ; implicit-def: $vgpr10
	s_branch .LBB103_1417
.LBB103_1413:
	s_mov_b32 s31, -1
                                        ; implicit-def: $vgpr10
.LBB103_1414:
	s_delay_alu instid0(SALU_CYCLE_1)
	s_and_not1_b32 vcc_lo, exec_lo, s31
	s_cbranch_vccnz .LBB103_1416
; %bb.1415:
	s_wait_loadcnt 0x0
	global_load_b32 v10, v[6:7], off
.LBB103_1416:
	s_mov_b32 s31, 0
.LBB103_1417:
	s_delay_alu instid0(SALU_CYCLE_1)
	s_and_not1_b32 vcc_lo, exec_lo, s31
	s_cbranch_vccnz .LBB103_1419
; %bb.1418:
	s_wait_loadcnt 0x0
	global_load_u16 v10, v[6:7], off
.LBB103_1419:
	s_mov_b32 s31, 0
.LBB103_1420:
	s_delay_alu instid0(SALU_CYCLE_1)
	s_and_not1_b32 vcc_lo, exec_lo, s31
	s_cbranch_vccnz .LBB103_1426
; %bb.1421:
	s_cmp_gt_i32 s0, 0
	s_mov_b32 s0, 0
	s_cbranch_scc0 .LBB103_1423
; %bb.1422:
	s_wait_loadcnt 0x0
	global_load_u8 v10, v[6:7], off
	s_branch .LBB103_1424
.LBB103_1423:
	s_mov_b32 s0, -1
                                        ; implicit-def: $vgpr10
.LBB103_1424:
	s_delay_alu instid0(SALU_CYCLE_1)
	s_and_not1_b32 vcc_lo, exec_lo, s0
	s_cbranch_vccnz .LBB103_1426
; %bb.1425:
	s_wait_loadcnt 0x0
	global_load_u8 v10, v[6:7], off
.LBB103_1426:
	s_mov_b32 s31, -1
.LBB103_1427:
	s_delay_alu instid0(SALU_CYCLE_1)
	s_and_not1_b32 vcc_lo, exec_lo, s31
	s_cbranch_vccnz .LBB103_1435
; %bb.1428:
	s_wait_loadcnt 0x0
	s_delay_alu instid0(VALU_DEP_3) | instskip(SKIP_2) | instid1(VALU_DEP_4)
	v_and_b32_e32 v1, 0xff, v8
	v_and_b32_e32 v4, 0xff, v4
	v_mov_b32_e32 v3, 0
	v_and_b32_e32 v5, 0xff, v10
	s_and_b32 s31, s38, 0xff
	s_delay_alu instid0(VALU_DEP_3) | instskip(NEXT) | instid1(VALU_DEP_3)
	v_max_u16 v1, v4, v1
	v_add_nc_u64_e32 v[2:3], s[4:5], v[2:3]
	s_cmp_lt_i32 s31, 11
	s_delay_alu instid0(VALU_DEP_2)
	v_min_u16 v1, v1, v5
	s_cbranch_scc1 .LBB103_1436
; %bb.1429:
	s_and_b32 s56, 0xffff, s31
	s_delay_alu instid0(SALU_CYCLE_1)
	s_cmp_gt_i32 s56, 25
	s_cbranch_scc0 .LBB103_1437
; %bb.1430:
	s_cmp_gt_i32 s56, 28
	s_cbranch_scc0 .LBB103_1438
; %bb.1431:
	;; [unrolled: 3-line block ×4, first 2 shown]
	s_mov_b32 s58, 0
	s_mov_b32 s0, -1
	s_cmp_eq_u32 s56, 46
	s_mov_b32 s57, 0
	s_cbranch_scc0 .LBB103_1441
; %bb.1434:
	v_cvt_f32_ubyte0_e32 v4, v1
	s_mov_b32 s57, -1
	s_mov_b32 s0, 0
	s_delay_alu instid0(VALU_DEP_1) | instskip(NEXT) | instid1(VALU_DEP_1)
	v_bfe_u32 v5, v4, 16, 1
	v_add3_u32 v4, v4, v5, 0x7fff
	s_delay_alu instid0(VALU_DEP_1)
	v_lshrrev_b32_e32 v4, 16, v4
	global_store_b32 v[2:3], v4, off
	s_branch .LBB103_1441
.LBB103_1435:
	s_mov_b32 s31, 0
	s_mov_b32 s0, s51
	s_branch .LBB103_1552
.LBB103_1436:
	s_mov_b32 s56, -1
	s_mov_b32 s57, 0
	s_mov_b32 s0, s51
	s_branch .LBB103_1510
.LBB103_1437:
	s_mov_b32 s58, -1
	s_mov_b32 s57, 0
	s_mov_b32 s0, s51
	s_branch .LBB103_1468
.LBB103_1438:
	s_mov_b32 s58, -1
	s_mov_b32 s57, 0
	s_mov_b32 s0, s51
	s_branch .LBB103_1451
.LBB103_1439:
	s_mov_b32 s58, -1
	s_mov_b32 s57, 0
	s_mov_b32 s0, s51
	s_branch .LBB103_1447
.LBB103_1440:
	s_mov_b32 s58, -1
	s_mov_b32 s57, 0
	s_mov_b32 s0, s51
.LBB103_1441:
	s_and_b32 vcc_lo, exec_lo, s58
	s_cbranch_vccz .LBB103_1446
; %bb.1442:
	s_cmp_eq_u32 s56, 44
	s_mov_b32 s0, -1
	s_cbranch_scc0 .LBB103_1446
; %bb.1443:
	s_wait_xcnt 0x0
	v_cvt_f32_ubyte0_e32 v6, v1
	s_mov_b32 s57, exec_lo
	s_delay_alu instid0(VALU_DEP_1) | instskip(NEXT) | instid1(VALU_DEP_1)
	v_dual_mov_b32 v5, 0xff :: v_dual_lshrrev_b32 v4, 23, v6
	v_cmpx_ne_u32_e32 0xff, v4
; %bb.1444:
	v_and_b32_e32 v5, 0x400000, v6
	v_and_or_b32 v6, 0x3fffff, v6, v4
	s_delay_alu instid0(VALU_DEP_2) | instskip(NEXT) | instid1(VALU_DEP_2)
	v_cmp_ne_u32_e32 vcc_lo, 0, v5
	v_cmp_ne_u32_e64 s0, 0, v6
	s_and_b32 s0, vcc_lo, s0
	s_delay_alu instid0(SALU_CYCLE_1) | instskip(NEXT) | instid1(VALU_DEP_1)
	v_cndmask_b32_e64 v5, 0, 1, s0
	v_add_nc_u32_e32 v5, v4, v5
; %bb.1445:
	s_or_b32 exec_lo, exec_lo, s57
	s_mov_b32 s57, -1
	s_mov_b32 s0, 0
	global_store_b8 v[2:3], v5, off
.LBB103_1446:
	s_mov_b32 s58, 0
.LBB103_1447:
	s_delay_alu instid0(SALU_CYCLE_1)
	s_and_b32 vcc_lo, exec_lo, s58
	s_cbranch_vccz .LBB103_1450
; %bb.1448:
	s_cmp_eq_u32 s56, 29
	s_mov_b32 s0, -1
	s_cbranch_scc0 .LBB103_1450
; %bb.1449:
	s_mov_b32 s0, 0
	s_wait_xcnt 0x0
	v_and_b32_e32 v4, 0xffff, v1
	v_mov_b32_e32 v5, s0
	s_mov_b32 s57, -1
	s_mov_b32 s58, 0
	global_store_b64 v[2:3], v[4:5], off
	s_branch .LBB103_1451
.LBB103_1450:
	s_mov_b32 s58, 0
.LBB103_1451:
	s_delay_alu instid0(SALU_CYCLE_1)
	s_and_b32 vcc_lo, exec_lo, s58
	s_cbranch_vccz .LBB103_1467
; %bb.1452:
	s_cmp_lt_i32 s56, 27
	s_mov_b32 s57, -1
	s_cbranch_scc1 .LBB103_1458
; %bb.1453:
	s_cmp_gt_i32 s56, 27
	s_cbranch_scc0 .LBB103_1455
; %bb.1454:
	s_wait_xcnt 0x0
	v_and_b32_e32 v4, 0xffff, v1
	s_mov_b32 s57, 0
	global_store_b32 v[2:3], v4, off
.LBB103_1455:
	s_and_not1_b32 vcc_lo, exec_lo, s57
	s_cbranch_vccnz .LBB103_1457
; %bb.1456:
	global_store_b16 v[2:3], v1, off
.LBB103_1457:
	s_mov_b32 s57, 0
.LBB103_1458:
	s_delay_alu instid0(SALU_CYCLE_1)
	s_and_not1_b32 vcc_lo, exec_lo, s57
	s_cbranch_vccnz .LBB103_1466
; %bb.1459:
	s_wait_xcnt 0x0
	v_cvt_f32_ubyte0_e32 v5, v1
	v_mov_b32_e32 v6, 0x80
	s_mov_b32 s57, exec_lo
	s_delay_alu instid0(VALU_DEP_2)
	v_cmpx_gt_u32_e32 0x43800000, v5
	s_cbranch_execz .LBB103_1465
; %bb.1460:
	s_mov_b32 s58, 0
	s_mov_b32 s59, exec_lo
                                        ; implicit-def: $vgpr4
	v_cmpx_lt_u32_e32 0x3bffffff, v5
	s_xor_b32 s59, exec_lo, s59
	s_cbranch_execz .LBB103_2745
; %bb.1461:
	v_bfe_u32 v4, v5, 20, 1
	s_mov_b32 s58, exec_lo
	s_delay_alu instid0(VALU_DEP_1) | instskip(NEXT) | instid1(VALU_DEP_1)
	v_add3_u32 v4, v5, v4, 0x487ffff
                                        ; implicit-def: $vgpr5
	v_lshrrev_b32_e32 v4, 20, v4
	s_and_not1_saveexec_b32 s59, s59
	s_cbranch_execnz .LBB103_2746
.LBB103_1462:
	s_or_b32 exec_lo, exec_lo, s59
	v_mov_b32_e32 v6, 0
	s_and_saveexec_b32 s59, s58
.LBB103_1463:
	v_mov_b32_e32 v6, v4
.LBB103_1464:
	s_or_b32 exec_lo, exec_lo, s59
.LBB103_1465:
	s_delay_alu instid0(SALU_CYCLE_1)
	s_or_b32 exec_lo, exec_lo, s57
	global_store_b8 v[2:3], v6, off
.LBB103_1466:
	s_mov_b32 s57, -1
.LBB103_1467:
	s_mov_b32 s58, 0
.LBB103_1468:
	s_delay_alu instid0(SALU_CYCLE_1)
	s_and_b32 vcc_lo, exec_lo, s58
	s_cbranch_vccz .LBB103_1509
; %bb.1469:
	s_cmp_gt_i32 s56, 22
	s_mov_b32 s58, -1
	s_cbranch_scc0 .LBB103_1501
; %bb.1470:
	s_cmp_lt_i32 s56, 24
	s_mov_b32 s57, -1
	s_cbranch_scc1 .LBB103_1490
; %bb.1471:
	s_cmp_gt_i32 s56, 24
	s_cbranch_scc0 .LBB103_1479
; %bb.1472:
	s_wait_xcnt 0x0
	v_cvt_f32_ubyte0_e32 v5, v1
	v_mov_b32_e32 v6, 0x80
	s_mov_b32 s57, exec_lo
	s_delay_alu instid0(VALU_DEP_2)
	v_cmpx_gt_u32_e32 0x47800000, v5
	s_cbranch_execz .LBB103_1478
; %bb.1473:
	s_mov_b32 s58, 0
	s_mov_b32 s59, exec_lo
                                        ; implicit-def: $vgpr4
	v_cmpx_lt_u32_e32 0x37ffffff, v5
	s_xor_b32 s59, exec_lo, s59
	s_cbranch_execz .LBB103_2874
; %bb.1474:
	v_bfe_u32 v4, v5, 21, 1
	s_mov_b32 s58, exec_lo
	s_delay_alu instid0(VALU_DEP_1) | instskip(NEXT) | instid1(VALU_DEP_1)
	v_add3_u32 v4, v5, v4, 0x88fffff
                                        ; implicit-def: $vgpr5
	v_lshrrev_b32_e32 v4, 21, v4
	s_and_not1_saveexec_b32 s59, s59
	s_cbranch_execnz .LBB103_2875
.LBB103_1475:
	s_or_b32 exec_lo, exec_lo, s59
	v_mov_b32_e32 v6, 0
	s_and_saveexec_b32 s59, s58
.LBB103_1476:
	v_mov_b32_e32 v6, v4
.LBB103_1477:
	s_or_b32 exec_lo, exec_lo, s59
.LBB103_1478:
	s_delay_alu instid0(SALU_CYCLE_1)
	s_or_b32 exec_lo, exec_lo, s57
	s_mov_b32 s57, 0
	global_store_b8 v[2:3], v6, off
.LBB103_1479:
	s_and_b32 vcc_lo, exec_lo, s57
	s_cbranch_vccz .LBB103_1489
; %bb.1480:
	s_wait_xcnt 0x0
	v_cvt_f32_ubyte0_e32 v5, v1
	s_mov_b32 s57, exec_lo
                                        ; implicit-def: $vgpr4
	s_delay_alu instid0(VALU_DEP_1)
	v_cmpx_gt_u32_e32 0x43f00000, v5
	s_xor_b32 s57, exec_lo, s57
	s_cbranch_execz .LBB103_1486
; %bb.1481:
	s_mov_b32 s58, exec_lo
                                        ; implicit-def: $vgpr4
	v_cmpx_lt_u32_e32 0x3c7fffff, v5
	s_xor_b32 s58, exec_lo, s58
; %bb.1482:
	v_bfe_u32 v4, v5, 20, 1
	s_delay_alu instid0(VALU_DEP_1) | instskip(NEXT) | instid1(VALU_DEP_1)
	v_add3_u32 v4, v5, v4, 0x407ffff
	v_and_b32_e32 v5, 0xff00000, v4
	v_lshrrev_b32_e32 v4, 20, v4
	s_delay_alu instid0(VALU_DEP_2) | instskip(NEXT) | instid1(VALU_DEP_2)
	v_cmp_ne_u32_e32 vcc_lo, 0x7f00000, v5
                                        ; implicit-def: $vgpr5
	v_cndmask_b32_e32 v4, 0x7e, v4, vcc_lo
; %bb.1483:
	s_and_not1_saveexec_b32 s58, s58
; %bb.1484:
	v_add_f32_e32 v4, 0x46800000, v5
; %bb.1485:
	s_or_b32 exec_lo, exec_lo, s58
                                        ; implicit-def: $vgpr5
.LBB103_1486:
	s_and_not1_saveexec_b32 s57, s57
; %bb.1487:
	v_mov_b32_e32 v4, 0x7f
	v_cmp_lt_u32_e32 vcc_lo, 0x7f800000, v5
	s_delay_alu instid0(VALU_DEP_2)
	v_cndmask_b32_e32 v4, 0x7e, v4, vcc_lo
; %bb.1488:
	s_or_b32 exec_lo, exec_lo, s57
	global_store_b8 v[2:3], v4, off
.LBB103_1489:
	s_mov_b32 s57, 0
.LBB103_1490:
	s_delay_alu instid0(SALU_CYCLE_1)
	s_and_not1_b32 vcc_lo, exec_lo, s57
	s_cbranch_vccnz .LBB103_1500
; %bb.1491:
	s_wait_xcnt 0x0
	v_cvt_f32_ubyte0_e32 v5, v1
	s_mov_b32 s57, exec_lo
                                        ; implicit-def: $vgpr4
	s_delay_alu instid0(VALU_DEP_1)
	v_cmpx_gt_u32_e32 0x47800000, v5
	s_xor_b32 s57, exec_lo, s57
	s_cbranch_execz .LBB103_1497
; %bb.1492:
	s_mov_b32 s58, exec_lo
                                        ; implicit-def: $vgpr4
	v_cmpx_lt_u32_e32 0x387fffff, v5
	s_xor_b32 s58, exec_lo, s58
; %bb.1493:
	v_bfe_u32 v4, v5, 21, 1
	s_delay_alu instid0(VALU_DEP_1) | instskip(NEXT) | instid1(VALU_DEP_1)
	v_add3_u32 v4, v5, v4, 0x80fffff
                                        ; implicit-def: $vgpr5
	v_lshrrev_b32_e32 v4, 21, v4
; %bb.1494:
	s_and_not1_saveexec_b32 s58, s58
; %bb.1495:
	v_add_f32_e32 v4, 0x43000000, v5
; %bb.1496:
	s_or_b32 exec_lo, exec_lo, s58
                                        ; implicit-def: $vgpr5
.LBB103_1497:
	s_and_not1_saveexec_b32 s57, s57
; %bb.1498:
	v_mov_b32_e32 v4, 0x7f
	v_cmp_lt_u32_e32 vcc_lo, 0x7f800000, v5
	s_delay_alu instid0(VALU_DEP_2)
	v_cndmask_b32_e32 v4, 0x7c, v4, vcc_lo
; %bb.1499:
	s_or_b32 exec_lo, exec_lo, s57
	global_store_b8 v[2:3], v4, off
.LBB103_1500:
	s_mov_b32 s58, 0
	s_mov_b32 s57, -1
.LBB103_1501:
	s_and_not1_b32 vcc_lo, exec_lo, s58
	s_cbranch_vccnz .LBB103_1509
; %bb.1502:
	s_cmp_gt_i32 s56, 14
	s_mov_b32 s58, -1
	s_cbranch_scc0 .LBB103_1506
; %bb.1503:
	s_cmp_eq_u32 s56, 15
	s_mov_b32 s0, -1
	s_cbranch_scc0 .LBB103_1505
; %bb.1504:
	s_wait_xcnt 0x0
	v_cvt_f32_ubyte0_e32 v4, v1
	s_mov_b32 s57, -1
	s_mov_b32 s0, 0
	s_delay_alu instid0(VALU_DEP_1) | instskip(NEXT) | instid1(VALU_DEP_1)
	v_bfe_u32 v5, v4, 16, 1
	v_add3_u32 v4, v4, v5, 0x7fff
	global_store_d16_hi_b16 v[2:3], v4, off
.LBB103_1505:
	s_mov_b32 s58, 0
.LBB103_1506:
	s_delay_alu instid0(SALU_CYCLE_1)
	s_and_b32 vcc_lo, exec_lo, s58
	s_cbranch_vccz .LBB103_1509
; %bb.1507:
	s_cmp_eq_u32 s56, 11
	s_mov_b32 s0, -1
	s_cbranch_scc0 .LBB103_1509
; %bb.1508:
	v_cmp_ne_u16_e32 vcc_lo, 0, v1
	s_mov_b32 s0, 0
	s_mov_b32 s57, -1
	s_wait_xcnt 0x0
	v_cndmask_b32_e64 v4, 0, 1, vcc_lo
	global_store_b8 v[2:3], v4, off
.LBB103_1509:
	s_mov_b32 s56, 0
.LBB103_1510:
	s_delay_alu instid0(SALU_CYCLE_1)
	s_and_b32 vcc_lo, exec_lo, s56
	s_cbranch_vccz .LBB103_1549
; %bb.1511:
	s_and_b32 s31, 0xffff, s31
	s_mov_b32 s56, -1
	s_cmp_lt_i32 s31, 5
	s_cbranch_scc1 .LBB103_1532
; %bb.1512:
	s_cmp_lt_i32 s31, 8
	s_cbranch_scc1 .LBB103_1522
; %bb.1513:
	;; [unrolled: 3-line block ×3, first 2 shown]
	s_cmp_gt_i32 s31, 9
	s_cbranch_scc0 .LBB103_1516
; %bb.1515:
	s_wait_xcnt 0x0
	v_and_b32_e32 v4, 0xffff, v1
	v_mov_b32_e32 v6, 0
	s_mov_b32 s56, 0
	s_delay_alu instid0(VALU_DEP_2) | instskip(NEXT) | instid1(VALU_DEP_2)
	v_cvt_f64_u32_e32 v[4:5], v4
	v_mov_b32_e32 v7, v6
	global_store_b128 v[2:3], v[4:7], off
.LBB103_1516:
	s_and_not1_b32 vcc_lo, exec_lo, s56
	s_cbranch_vccnz .LBB103_1518
; %bb.1517:
	s_wait_xcnt 0x0
	v_cvt_f32_ubyte0_e32 v4, v1
	v_mov_b32_e32 v5, 0
	global_store_b64 v[2:3], v[4:5], off
.LBB103_1518:
	s_mov_b32 s56, 0
.LBB103_1519:
	s_delay_alu instid0(SALU_CYCLE_1)
	s_and_not1_b32 vcc_lo, exec_lo, s56
	s_cbranch_vccnz .LBB103_1521
; %bb.1520:
	s_wait_xcnt 0x0
	v_cvt_f16_u16_e32 v4, v1
	s_delay_alu instid0(VALU_DEP_1)
	v_and_b32_e32 v4, 0xffff, v4
	global_store_b32 v[2:3], v4, off
.LBB103_1521:
	s_mov_b32 s56, 0
.LBB103_1522:
	s_delay_alu instid0(SALU_CYCLE_1)
	s_and_not1_b32 vcc_lo, exec_lo, s56
	s_cbranch_vccnz .LBB103_1531
; %bb.1523:
	s_cmp_lt_i32 s31, 6
	s_mov_b32 s56, -1
	s_cbranch_scc1 .LBB103_1529
; %bb.1524:
	s_cmp_gt_i32 s31, 6
	s_cbranch_scc0 .LBB103_1526
; %bb.1525:
	s_wait_xcnt 0x0
	v_and_b32_e32 v4, 0xffff, v1
	s_mov_b32 s56, 0
	s_delay_alu instid0(VALU_DEP_1)
	v_cvt_f64_u32_e32 v[4:5], v4
	global_store_b64 v[2:3], v[4:5], off
.LBB103_1526:
	s_and_not1_b32 vcc_lo, exec_lo, s56
	s_cbranch_vccnz .LBB103_1528
; %bb.1527:
	s_wait_xcnt 0x0
	v_cvt_f32_ubyte0_e32 v4, v1
	global_store_b32 v[2:3], v4, off
.LBB103_1528:
	s_mov_b32 s56, 0
.LBB103_1529:
	s_delay_alu instid0(SALU_CYCLE_1)
	s_and_not1_b32 vcc_lo, exec_lo, s56
	s_cbranch_vccnz .LBB103_1531
; %bb.1530:
	s_wait_xcnt 0x0
	v_cvt_f16_u16_e32 v4, v1
	global_store_b16 v[2:3], v4, off
.LBB103_1531:
	s_mov_b32 s56, 0
.LBB103_1532:
	s_delay_alu instid0(SALU_CYCLE_1)
	s_and_not1_b32 vcc_lo, exec_lo, s56
	s_cbranch_vccnz .LBB103_1548
; %bb.1533:
	s_cmp_lt_i32 s31, 2
	s_mov_b32 s56, -1
	s_cbranch_scc1 .LBB103_1543
; %bb.1534:
	s_cmp_lt_i32 s31, 3
	s_cbranch_scc1 .LBB103_1540
; %bb.1535:
	s_cmp_gt_i32 s31, 3
	s_cbranch_scc0 .LBB103_1537
; %bb.1536:
	s_mov_b32 s56, 0
	s_wait_xcnt 0x0
	v_and_b32_e32 v4, 0xffff, v1
	v_mov_b32_e32 v5, s56
	global_store_b64 v[2:3], v[4:5], off
.LBB103_1537:
	s_and_not1_b32 vcc_lo, exec_lo, s56
	s_cbranch_vccnz .LBB103_1539
; %bb.1538:
	s_wait_xcnt 0x0
	v_and_b32_e32 v4, 0xffff, v1
	global_store_b32 v[2:3], v4, off
.LBB103_1539:
	s_mov_b32 s56, 0
.LBB103_1540:
	s_delay_alu instid0(SALU_CYCLE_1)
	s_and_not1_b32 vcc_lo, exec_lo, s56
	s_cbranch_vccnz .LBB103_1542
; %bb.1541:
	global_store_b16 v[2:3], v1, off
.LBB103_1542:
	s_mov_b32 s56, 0
.LBB103_1543:
	s_delay_alu instid0(SALU_CYCLE_1)
	s_and_not1_b32 vcc_lo, exec_lo, s56
	s_cbranch_vccnz .LBB103_1548
; %bb.1544:
	s_cmp_gt_i32 s31, 0
	s_mov_b32 s31, -1
	s_cbranch_scc0 .LBB103_1546
; %bb.1545:
	s_mov_b32 s31, 0
	global_store_b8 v[2:3], v1, off
.LBB103_1546:
	s_and_not1_b32 vcc_lo, exec_lo, s31
	s_cbranch_vccnz .LBB103_1548
; %bb.1547:
	global_store_b8 v[2:3], v1, off
.LBB103_1548:
	s_mov_b32 s57, -1
.LBB103_1549:
	s_delay_alu instid0(SALU_CYCLE_1)
	s_and_not1_b32 vcc_lo, exec_lo, s57
	s_cbranch_vccnz .LBB103_1551
; %bb.1550:
	v_add_nc_u32_e32 v0, 0x80, v0
	s_mov_b32 s31, -1
	s_branch .LBB103_1553
.LBB103_1551:
	s_mov_b32 s31, 0
.LBB103_1552:
                                        ; implicit-def: $vgpr0
.LBB103_1553:
	s_and_not1_b32 s56, s51, exec_lo
	s_and_b32 s0, s0, exec_lo
	s_and_not1_b32 s57, s52, exec_lo
	s_and_b32 s30, s30, exec_lo
	s_or_b32 s59, s56, s0
	s_or_b32 s57, s57, s30
	s_and_not1_b32 s0, s53, exec_lo
	s_and_b32 s29, s29, exec_lo
	s_and_not1_b32 s30, s50, exec_lo
	s_and_b32 s28, s28, exec_lo
	s_or_b32 s58, s0, s29
	s_or_b32 s56, s30, s28
	s_or_not1_b32 s31, s31, exec_lo
.LBB103_1554:
	s_wait_xcnt 0x0
	s_or_b32 exec_lo, exec_lo, s55
	s_mov_b32 s29, 0
	s_mov_b32 s30, 0
	;; [unrolled: 1-line block ×3, first 2 shown]
                                        ; implicit-def: $sgpr0
                                        ; implicit-def: $vgpr10_vgpr11
                                        ; implicit-def: $vgpr2
                                        ; implicit-def: $vgpr6
                                        ; implicit-def: $vgpr8
                                        ; implicit-def: $vgpr4
	s_and_saveexec_b32 s55, s31
	s_cbranch_execz .LBB103_1643
; %bb.1555:
	v_cmp_gt_i32_e32 vcc_lo, s44, v0
	s_mov_b32 s31, s56
                                        ; implicit-def: $sgpr0
                                        ; implicit-def: $vgpr10_vgpr11
                                        ; implicit-def: $vgpr2
                                        ; implicit-def: $vgpr6
                                        ; implicit-def: $vgpr8
                                        ; implicit-def: $vgpr4
	s_and_saveexec_b32 s44, vcc_lo
	s_cbranch_execz .LBB103_1642
; %bb.1556:
	s_and_not1_b32 vcc_lo, exec_lo, s36
	s_cbranch_vccnz .LBB103_1562
; %bb.1557:
	s_and_not1_b32 vcc_lo, exec_lo, s45
	s_cbranch_vccnz .LBB103_1563
; %bb.1558:
	s_wait_loadcnt 0x0
	v_dual_mov_b32 v8, 0 :: v_dual_mov_b32 v1, v0
	v_dual_mov_b32 v6, 0 :: v_dual_mov_b32 v2, 0
	v_mov_b32_e32 v4, 0
	s_add_co_i32 s0, s43, 1
	s_mov_b64 s[28:29], 0xffffffffffffffe0
	s_and_b32 s0, s0, 30
	s_add_nc_u64 s[28:29], s[2:3], s[28:29]
	s_mov_b64 s[30:31], s[2:3]
.LBB103_1559:                           ; =>This Inner Loop Header: Depth=1
	s_clause 0x1
	s_load_b128 s[68:71], s[30:31], 0x4
	s_load_b64 s[72:73], s[30:31], 0x14
	s_load_b256 s[60:67], s[28:29], 0xe4
	s_add_co_i32 s0, s0, -2
	s_wait_xcnt 0x0
	s_add_nc_u64 s[30:31], s[30:31], 24
	s_cmp_eq_u32 s0, 0
	s_add_nc_u64 s[28:29], s[28:29], 32
	s_wait_kmcnt 0x0
	v_mul_hi_u32 v3, s69, v1
	s_delay_alu instid0(VALU_DEP_1) | instskip(NEXT) | instid1(VALU_DEP_1)
	v_add_nc_u32_e32 v3, v1, v3
	v_lshrrev_b32_e32 v3, s70, v3
	s_delay_alu instid0(VALU_DEP_1) | instskip(SKIP_1) | instid1(VALU_DEP_1)
	v_mul_hi_u32 v5, s72, v3
	v_mul_lo_u32 v7, v3, s68
	v_dual_add_nc_u32 v5, v3, v5 :: v_dual_sub_nc_u32 v7, v1, v7
	s_delay_alu instid0(VALU_DEP_1) | instskip(NEXT) | instid1(VALU_DEP_2)
	v_lshrrev_b32_e32 v1, s73, v5
	v_mad_u32 v4, v7, s61, v4
	v_mad_u32 v2, v7, s60, v2
	;; [unrolled: 1-line block ×4, first 2 shown]
	v_mul_lo_u32 v5, v1, s71
	s_delay_alu instid0(VALU_DEP_1) | instskip(NEXT) | instid1(VALU_DEP_1)
	v_sub_nc_u32_e32 v3, v3, v5
	v_mad_u32 v4, v3, s65, v4
	v_mad_u32 v2, v3, s64, v2
	;; [unrolled: 1-line block ×4, first 2 shown]
	s_cbranch_scc0 .LBB103_1559
; %bb.1560:
	s_bitcmp1_b32 s43, 0
	s_cselect_b32 s0, -1, 0
	s_delay_alu instid0(SALU_CYCLE_1)
	s_and_b32 vcc_lo, exec_lo, s0
	s_cbranch_vccnz .LBB103_1564
; %bb.1561:
	s_load_b96 s[64:66], s[30:31], 0x4
	s_load_b128 s[60:63], s[28:29], 0xe4
	s_wait_kmcnt 0x0
	v_mul_hi_u32 v3, s65, v1
	s_delay_alu instid0(VALU_DEP_1) | instskip(NEXT) | instid1(VALU_DEP_1)
	v_add_nc_u32_e32 v3, v1, v3
	v_lshrrev_b32_e32 v3, s66, v3
	s_delay_alu instid0(VALU_DEP_1) | instskip(NEXT) | instid1(VALU_DEP_1)
	v_mul_lo_u32 v3, v3, s64
	v_sub_nc_u32_e32 v1, v1, v3
	s_delay_alu instid0(VALU_DEP_1)
	v_mad_u32 v2, v1, s60, v2
	v_mad_u32 v4, v1, s61, v4
	;; [unrolled: 1-line block ×4, first 2 shown]
	s_branch .LBB103_1564
.LBB103_1562:
	s_mov_b32 s0, -1
                                        ; implicit-def: $vgpr4
                                        ; implicit-def: $vgpr2
                                        ; implicit-def: $vgpr6
                                        ; implicit-def: $vgpr8
	s_branch .LBB103_1565
.LBB103_1563:
	s_wait_loadcnt 0x0
	v_dual_mov_b32 v4, 0 :: v_dual_mov_b32 v2, 0
	v_dual_mov_b32 v6, 0 :: v_dual_mov_b32 v8, 0
.LBB103_1564:
	s_mov_b32 s0, 0
.LBB103_1565:
	s_delay_alu instid0(SALU_CYCLE_1)
	s_and_not1_b32 vcc_lo, exec_lo, s0
	s_cbranch_vccnz .LBB103_1568
; %bb.1566:
	v_mov_b32_e32 v1, 0
	s_and_not1_b32 vcc_lo, exec_lo, s41
	s_delay_alu instid0(VALU_DEP_1) | instskip(NEXT) | instid1(VALU_DEP_1)
	v_mul_u64_e32 v[2:3], s[24:25], v[0:1]
	v_add_nc_u32_e32 v2, v0, v3
	s_wait_loadcnt 0x0
	s_delay_alu instid0(VALU_DEP_1) | instskip(NEXT) | instid1(VALU_DEP_1)
	v_lshrrev_b32_e32 v10, s22, v2
	v_mul_lo_u32 v2, v10, s20
	s_delay_alu instid0(VALU_DEP_1) | instskip(NEXT) | instid1(VALU_DEP_1)
	v_sub_nc_u32_e32 v0, v0, v2
	v_mul_lo_u32 v4, v0, s13
	v_mul_lo_u32 v2, v0, s12
	;; [unrolled: 1-line block ×4, first 2 shown]
	s_cbranch_vccnz .LBB103_1568
; %bb.1567:
	v_mov_b32_e32 v11, v1
	s_delay_alu instid0(VALU_DEP_1) | instskip(NEXT) | instid1(VALU_DEP_1)
	v_mul_u64_e32 v[0:1], s[26:27], v[10:11]
	v_add_nc_u32_e32 v0, v10, v1
	s_delay_alu instid0(VALU_DEP_1) | instskip(NEXT) | instid1(VALU_DEP_1)
	v_lshrrev_b32_e32 v0, s1, v0
	v_mul_lo_u32 v0, v0, s23
	s_delay_alu instid0(VALU_DEP_1) | instskip(NEXT) | instid1(VALU_DEP_1)
	v_sub_nc_u32_e32 v0, v10, v0
	v_mad_u32 v2, v0, s16, v2
	v_mad_u32 v4, v0, s17, v4
	;; [unrolled: 1-line block ×4, first 2 shown]
.LBB103_1568:
	s_wait_loadcnt 0x0
	v_mov_b32_e32 v5, 0
	s_and_b32 s0, s40, 0xff
	s_delay_alu instid0(SALU_CYCLE_1) | instskip(NEXT) | instid1(VALU_DEP_1)
	s_cmp_lt_i32 s0, 11
	v_add_nc_u64_e32 v[10:11], s[6:7], v[4:5]
	s_cbranch_scc1 .LBB103_1575
; %bb.1569:
	s_and_b32 s1, 0xffff, s0
	s_mov_b32 s7, 0
	s_cmp_gt_i32 s1, 25
	s_cbranch_scc0 .LBB103_1576
; %bb.1570:
	s_cmp_gt_i32 s1, 28
	s_cbranch_scc0 .LBB103_1577
; %bb.1571:
	;; [unrolled: 3-line block ×4, first 2 shown]
	s_cmp_eq_u32 s1, 46
	s_mov_b32 s13, 0
	s_cbranch_scc0 .LBB103_1580
; %bb.1574:
	global_load_b32 v0, v[10:11], off
	s_mov_b32 s6, 0
	s_mov_b32 s12, -1
	s_wait_loadcnt 0x0
	v_lshlrev_b32_e32 v0, 16, v0
	s_delay_alu instid0(VALU_DEP_1) | instskip(NEXT) | instid1(VALU_DEP_1)
	v_trunc_f32_e32 v0, v0
	v_mul_f32_e64 v1, 0x2f800000, |v0|
	s_delay_alu instid0(VALU_DEP_1) | instskip(NEXT) | instid1(VALU_DEP_1)
	v_floor_f32_e32 v1, v1
	v_fma_f32 v1, 0xcf800000, v1, |v0|
	v_ashrrev_i32_e32 v0, 31, v0
	s_delay_alu instid0(VALU_DEP_2) | instskip(NEXT) | instid1(VALU_DEP_1)
	v_cvt_u32_f32_e32 v1, v1
	v_xor_b32_e32 v1, v1, v0
	s_delay_alu instid0(VALU_DEP_1)
	v_sub_nc_u32_e32 v4, v1, v0
	s_branch .LBB103_1582
.LBB103_1575:
	s_mov_b32 s1, -1
	s_mov_b32 s12, 0
	s_mov_b32 s7, 0
	;; [unrolled: 1-line block ×3, first 2 shown]
                                        ; implicit-def: $vgpr4
	s_branch .LBB103_1641
.LBB103_1576:
	s_mov_b32 s13, -1
	s_mov_b32 s12, 0
	s_mov_b32 s6, s56
                                        ; implicit-def: $vgpr4
	s_branch .LBB103_1609
.LBB103_1577:
	s_mov_b32 s13, -1
	s_mov_b32 s12, 0
	s_mov_b32 s6, s56
                                        ; implicit-def: $vgpr4
	s_branch .LBB103_1592
.LBB103_1578:
	s_mov_b32 s13, -1
	s_mov_b32 s12, 0
	s_mov_b32 s6, s56
                                        ; implicit-def: $vgpr4
	s_branch .LBB103_1587
.LBB103_1579:
	s_mov_b32 s13, -1
	s_mov_b32 s12, 0
	s_mov_b32 s6, s56
	s_branch .LBB103_1581
.LBB103_1580:
	s_mov_b32 s6, -1
	s_mov_b32 s12, 0
.LBB103_1581:
                                        ; implicit-def: $vgpr4
.LBB103_1582:
	s_and_b32 vcc_lo, exec_lo, s13
	s_cbranch_vccz .LBB103_1586
; %bb.1583:
	s_cmp_eq_u32 s1, 44
	s_cbranch_scc0 .LBB103_1585
; %bb.1584:
	global_load_u8 v0, v[10:11], off
	s_mov_b32 s6, 0
	s_mov_b32 s12, -1
	s_wait_loadcnt 0x0
	v_lshlrev_b32_e32 v1, 23, v0
	v_cmp_ne_u32_e32 vcc_lo, 0, v0
	s_delay_alu instid0(VALU_DEP_2) | instskip(NEXT) | instid1(VALU_DEP_1)
	v_trunc_f32_e32 v1, v1
	v_mul_f32_e64 v3, 0x2f800000, |v1|
	s_delay_alu instid0(VALU_DEP_1) | instskip(NEXT) | instid1(VALU_DEP_1)
	v_floor_f32_e32 v3, v3
	v_fma_f32 v3, 0xcf800000, v3, |v1|
	v_ashrrev_i32_e32 v1, 31, v1
	s_delay_alu instid0(VALU_DEP_2) | instskip(NEXT) | instid1(VALU_DEP_1)
	v_cvt_u32_f32_e32 v3, v3
	v_xor_b32_e32 v3, v3, v1
	s_delay_alu instid0(VALU_DEP_1) | instskip(NEXT) | instid1(VALU_DEP_1)
	v_sub_nc_u32_e32 v1, v3, v1
	v_cndmask_b32_e32 v4, 0, v1, vcc_lo
	s_branch .LBB103_1586
.LBB103_1585:
	s_mov_b32 s6, -1
                                        ; implicit-def: $vgpr4
.LBB103_1586:
	s_mov_b32 s13, 0
.LBB103_1587:
	s_delay_alu instid0(SALU_CYCLE_1)
	s_and_b32 vcc_lo, exec_lo, s13
	s_cbranch_vccz .LBB103_1591
; %bb.1588:
	s_cmp_eq_u32 s1, 29
	s_cbranch_scc0 .LBB103_1590
; %bb.1589:
	global_load_b64 v[4:5], v[10:11], off
	s_mov_b32 s6, 0
	s_mov_b32 s12, -1
	s_branch .LBB103_1591
.LBB103_1590:
	s_mov_b32 s6, -1
                                        ; implicit-def: $vgpr4
.LBB103_1591:
	s_mov_b32 s13, 0
.LBB103_1592:
	s_delay_alu instid0(SALU_CYCLE_1)
	s_and_b32 vcc_lo, exec_lo, s13
	s_cbranch_vccz .LBB103_1608
; %bb.1593:
	s_cmp_lt_i32 s1, 27
	s_cbranch_scc1 .LBB103_1596
; %bb.1594:
	s_cmp_gt_i32 s1, 27
	s_cbranch_scc0 .LBB103_1597
; %bb.1595:
	s_wait_loadcnt 0x0
	global_load_b32 v4, v[10:11], off
	s_mov_b32 s12, 0
	s_branch .LBB103_1598
.LBB103_1596:
	s_mov_b32 s12, -1
                                        ; implicit-def: $vgpr4
	s_branch .LBB103_1601
.LBB103_1597:
	s_mov_b32 s12, -1
                                        ; implicit-def: $vgpr4
.LBB103_1598:
	s_delay_alu instid0(SALU_CYCLE_1)
	s_and_not1_b32 vcc_lo, exec_lo, s12
	s_cbranch_vccnz .LBB103_1600
; %bb.1599:
	s_wait_loadcnt 0x0
	global_load_u16 v4, v[10:11], off
.LBB103_1600:
	s_mov_b32 s12, 0
.LBB103_1601:
	s_delay_alu instid0(SALU_CYCLE_1)
	s_and_not1_b32 vcc_lo, exec_lo, s12
	s_cbranch_vccnz .LBB103_1607
; %bb.1602:
	global_load_u8 v0, v[10:11], off
	s_mov_b32 s13, 0
	s_mov_b32 s12, exec_lo
	s_wait_loadcnt 0x0
	v_cmpx_lt_i16_e32 0x7f, v0
	s_xor_b32 s12, exec_lo, s12
	s_cbranch_execz .LBB103_1619
; %bb.1603:
	v_cmp_ne_u16_e32 vcc_lo, 0x80, v0
	s_and_b32 s13, vcc_lo, exec_lo
	s_and_not1_saveexec_b32 s12, s12
	s_cbranch_execnz .LBB103_1620
.LBB103_1604:
	s_or_b32 exec_lo, exec_lo, s12
	v_mov_b32_e32 v4, 0
	s_and_saveexec_b32 s12, s13
	s_cbranch_execz .LBB103_1606
.LBB103_1605:
	v_and_b32_e32 v1, 0xffff, v0
	s_delay_alu instid0(VALU_DEP_1) | instskip(SKIP_1) | instid1(VALU_DEP_2)
	v_and_b32_e32 v3, 7, v1
	v_bfe_u32 v7, v1, 3, 4
	v_clz_i32_u32_e32 v4, v3
	s_delay_alu instid0(VALU_DEP_2) | instskip(NEXT) | instid1(VALU_DEP_2)
	v_cmp_eq_u32_e32 vcc_lo, 0, v7
	v_min_u32_e32 v4, 32, v4
	s_delay_alu instid0(VALU_DEP_1) | instskip(NEXT) | instid1(VALU_DEP_1)
	v_subrev_nc_u32_e32 v5, 28, v4
	v_dual_lshlrev_b32 v1, v5, v1 :: v_dual_sub_nc_u32 v4, 29, v4
	s_delay_alu instid0(VALU_DEP_1) | instskip(NEXT) | instid1(VALU_DEP_1)
	v_dual_lshlrev_b32 v0, 24, v0 :: v_dual_bitop2_b32 v1, 7, v1 bitop3:0x40
	v_cndmask_b32_e32 v1, v3, v1, vcc_lo
	s_delay_alu instid0(VALU_DEP_3) | instskip(NEXT) | instid1(VALU_DEP_3)
	v_cndmask_b32_e32 v4, v7, v4, vcc_lo
	v_and_b32_e32 v0, 0x80000000, v0
	s_delay_alu instid0(VALU_DEP_3) | instskip(NEXT) | instid1(VALU_DEP_3)
	v_lshlrev_b32_e32 v1, 20, v1
	v_lshl_add_u32 v3, v4, 23, 0x3b800000
	s_delay_alu instid0(VALU_DEP_1) | instskip(NEXT) | instid1(VALU_DEP_1)
	v_or3_b32 v0, v0, v3, v1
	v_trunc_f32_e32 v0, v0
	s_delay_alu instid0(VALU_DEP_1) | instskip(NEXT) | instid1(VALU_DEP_1)
	v_mul_f32_e64 v1, 0x2f800000, |v0|
	v_floor_f32_e32 v1, v1
	s_delay_alu instid0(VALU_DEP_1) | instskip(SKIP_1) | instid1(VALU_DEP_2)
	v_fma_f32 v1, 0xcf800000, v1, |v0|
	v_ashrrev_i32_e32 v0, 31, v0
	v_cvt_u32_f32_e32 v1, v1
	s_delay_alu instid0(VALU_DEP_1) | instskip(NEXT) | instid1(VALU_DEP_1)
	v_xor_b32_e32 v1, v1, v0
	v_sub_nc_u32_e32 v4, v1, v0
.LBB103_1606:
	s_or_b32 exec_lo, exec_lo, s12
.LBB103_1607:
	s_mov_b32 s12, -1
.LBB103_1608:
	s_mov_b32 s13, 0
.LBB103_1609:
	s_delay_alu instid0(SALU_CYCLE_1)
	s_and_b32 vcc_lo, exec_lo, s13
	s_cbranch_vccz .LBB103_1640
; %bb.1610:
	s_cmp_gt_i32 s1, 22
	s_cbranch_scc0 .LBB103_1618
; %bb.1611:
	s_cmp_lt_i32 s1, 24
	s_cbranch_scc1 .LBB103_1621
; %bb.1612:
	s_cmp_gt_i32 s1, 24
	s_cbranch_scc0 .LBB103_1622
; %bb.1613:
	global_load_u8 v0, v[10:11], off
	s_mov_b32 s12, 0
	s_mov_b32 s7, exec_lo
	s_wait_loadcnt 0x0
	v_cmpx_lt_i16_e32 0x7f, v0
	s_xor_b32 s7, exec_lo, s7
	s_cbranch_execz .LBB103_1634
; %bb.1614:
	v_cmp_ne_u16_e32 vcc_lo, 0x80, v0
	s_and_b32 s12, vcc_lo, exec_lo
	s_and_not1_saveexec_b32 s7, s7
	s_cbranch_execnz .LBB103_1635
.LBB103_1615:
	s_or_b32 exec_lo, exec_lo, s7
	v_mov_b32_e32 v4, 0
	s_and_saveexec_b32 s7, s12
	s_cbranch_execz .LBB103_1617
.LBB103_1616:
	v_and_b32_e32 v1, 0xffff, v0
	s_delay_alu instid0(VALU_DEP_1) | instskip(SKIP_1) | instid1(VALU_DEP_2)
	v_and_b32_e32 v3, 3, v1
	v_bfe_u32 v7, v1, 2, 5
	v_clz_i32_u32_e32 v4, v3
	s_delay_alu instid0(VALU_DEP_2) | instskip(NEXT) | instid1(VALU_DEP_2)
	v_cmp_eq_u32_e32 vcc_lo, 0, v7
	v_min_u32_e32 v4, 32, v4
	s_delay_alu instid0(VALU_DEP_1) | instskip(NEXT) | instid1(VALU_DEP_1)
	v_subrev_nc_u32_e32 v5, 29, v4
	v_dual_lshlrev_b32 v1, v5, v1 :: v_dual_sub_nc_u32 v4, 30, v4
	s_delay_alu instid0(VALU_DEP_1) | instskip(NEXT) | instid1(VALU_DEP_1)
	v_dual_lshlrev_b32 v0, 24, v0 :: v_dual_bitop2_b32 v1, 3, v1 bitop3:0x40
	v_cndmask_b32_e32 v1, v3, v1, vcc_lo
	s_delay_alu instid0(VALU_DEP_3) | instskip(NEXT) | instid1(VALU_DEP_3)
	v_cndmask_b32_e32 v4, v7, v4, vcc_lo
	v_and_b32_e32 v0, 0x80000000, v0
	s_delay_alu instid0(VALU_DEP_3) | instskip(NEXT) | instid1(VALU_DEP_3)
	v_lshlrev_b32_e32 v1, 21, v1
	v_lshl_add_u32 v3, v4, 23, 0x37800000
	s_delay_alu instid0(VALU_DEP_1) | instskip(NEXT) | instid1(VALU_DEP_1)
	v_or3_b32 v0, v0, v3, v1
	v_trunc_f32_e32 v0, v0
	s_delay_alu instid0(VALU_DEP_1) | instskip(NEXT) | instid1(VALU_DEP_1)
	v_mul_f32_e64 v1, 0x2f800000, |v0|
	v_floor_f32_e32 v1, v1
	s_delay_alu instid0(VALU_DEP_1) | instskip(SKIP_1) | instid1(VALU_DEP_2)
	v_fma_f32 v1, 0xcf800000, v1, |v0|
	v_ashrrev_i32_e32 v0, 31, v0
	v_cvt_u32_f32_e32 v1, v1
	s_delay_alu instid0(VALU_DEP_1) | instskip(NEXT) | instid1(VALU_DEP_1)
	v_xor_b32_e32 v1, v1, v0
	v_sub_nc_u32_e32 v4, v1, v0
.LBB103_1617:
	s_or_b32 exec_lo, exec_lo, s7
	s_mov_b32 s7, 0
	s_branch .LBB103_1623
.LBB103_1618:
	s_mov_b32 s7, -1
                                        ; implicit-def: $vgpr4
	s_branch .LBB103_1629
.LBB103_1619:
	s_and_not1_saveexec_b32 s12, s12
	s_cbranch_execz .LBB103_1604
.LBB103_1620:
	v_cmp_ne_u16_e32 vcc_lo, 0, v0
	s_and_not1_b32 s13, s13, exec_lo
	s_and_b32 s14, vcc_lo, exec_lo
	s_delay_alu instid0(SALU_CYCLE_1)
	s_or_b32 s13, s13, s14
	s_or_b32 exec_lo, exec_lo, s12
	v_mov_b32_e32 v4, 0
	s_and_saveexec_b32 s12, s13
	s_cbranch_execnz .LBB103_1605
	s_branch .LBB103_1606
.LBB103_1621:
	s_mov_b32 s7, -1
                                        ; implicit-def: $vgpr4
	s_branch .LBB103_1626
.LBB103_1622:
	s_mov_b32 s7, -1
                                        ; implicit-def: $vgpr4
.LBB103_1623:
	s_delay_alu instid0(SALU_CYCLE_1)
	s_and_b32 vcc_lo, exec_lo, s7
	s_cbranch_vccz .LBB103_1625
; %bb.1624:
	global_load_u8 v0, v[10:11], off
	s_wait_loadcnt 0x0
	v_lshlrev_b32_e32 v0, 24, v0
	s_delay_alu instid0(VALU_DEP_1) | instskip(NEXT) | instid1(VALU_DEP_1)
	v_and_b32_e32 v1, 0x7f000000, v0
	v_clz_i32_u32_e32 v3, v1
	v_add_nc_u32_e32 v5, 0x1000000, v1
	v_cmp_ne_u32_e32 vcc_lo, 0, v1
	s_delay_alu instid0(VALU_DEP_3) | instskip(NEXT) | instid1(VALU_DEP_1)
	v_min_u32_e32 v3, 32, v3
	v_sub_nc_u32_e64 v3, v3, 4 clamp
	s_delay_alu instid0(VALU_DEP_1) | instskip(NEXT) | instid1(VALU_DEP_1)
	v_dual_lshlrev_b32 v4, v3, v1 :: v_dual_lshlrev_b32 v3, 23, v3
	v_lshrrev_b32_e32 v4, 4, v4
	s_delay_alu instid0(VALU_DEP_1) | instskip(NEXT) | instid1(VALU_DEP_1)
	v_dual_sub_nc_u32 v3, v4, v3 :: v_dual_ashrrev_i32 v4, 8, v5
	v_add_nc_u32_e32 v3, 0x3c000000, v3
	s_delay_alu instid0(VALU_DEP_1) | instskip(NEXT) | instid1(VALU_DEP_1)
	v_and_or_b32 v3, 0x7f800000, v4, v3
	v_cndmask_b32_e32 v1, 0, v3, vcc_lo
	s_delay_alu instid0(VALU_DEP_1) | instskip(NEXT) | instid1(VALU_DEP_1)
	v_and_or_b32 v0, 0x80000000, v0, v1
	v_trunc_f32_e32 v0, v0
	s_delay_alu instid0(VALU_DEP_1) | instskip(NEXT) | instid1(VALU_DEP_1)
	v_mul_f32_e64 v1, 0x2f800000, |v0|
	v_floor_f32_e32 v1, v1
	s_delay_alu instid0(VALU_DEP_1) | instskip(SKIP_1) | instid1(VALU_DEP_2)
	v_fma_f32 v1, 0xcf800000, v1, |v0|
	v_ashrrev_i32_e32 v0, 31, v0
	v_cvt_u32_f32_e32 v1, v1
	s_delay_alu instid0(VALU_DEP_1) | instskip(NEXT) | instid1(VALU_DEP_1)
	v_xor_b32_e32 v1, v1, v0
	v_sub_nc_u32_e32 v4, v1, v0
.LBB103_1625:
	s_mov_b32 s7, 0
.LBB103_1626:
	s_delay_alu instid0(SALU_CYCLE_1)
	s_and_not1_b32 vcc_lo, exec_lo, s7
	s_cbranch_vccnz .LBB103_1628
; %bb.1627:
	global_load_u8 v0, v[10:11], off
	s_wait_loadcnt 0x0
	v_lshlrev_b32_e32 v1, 25, v0
	v_lshlrev_b16 v0, 8, v0
	s_delay_alu instid0(VALU_DEP_2) | instskip(NEXT) | instid1(VALU_DEP_2)
	v_cmp_gt_u32_e32 vcc_lo, 0x8000000, v1
	v_and_or_b32 v4, 0x7f00, v0, 0.5
	v_lshrrev_b32_e32 v3, 4, v1
	v_bfe_i32 v0, v0, 0, 16
	s_delay_alu instid0(VALU_DEP_3) | instskip(NEXT) | instid1(VALU_DEP_3)
	v_add_f32_e32 v4, -0.5, v4
	v_or_b32_e32 v3, 0x70000000, v3
	s_delay_alu instid0(VALU_DEP_1) | instskip(NEXT) | instid1(VALU_DEP_1)
	v_mul_f32_e32 v3, 0x7800000, v3
	v_cndmask_b32_e32 v1, v3, v4, vcc_lo
	s_delay_alu instid0(VALU_DEP_1) | instskip(NEXT) | instid1(VALU_DEP_1)
	v_and_or_b32 v0, 0x80000000, v0, v1
	v_trunc_f32_e32 v0, v0
	s_delay_alu instid0(VALU_DEP_1) | instskip(NEXT) | instid1(VALU_DEP_1)
	v_mul_f32_e64 v1, 0x2f800000, |v0|
	v_floor_f32_e32 v1, v1
	s_delay_alu instid0(VALU_DEP_1) | instskip(SKIP_1) | instid1(VALU_DEP_2)
	v_fma_f32 v1, 0xcf800000, v1, |v0|
	v_ashrrev_i32_e32 v0, 31, v0
	v_cvt_u32_f32_e32 v1, v1
	s_delay_alu instid0(VALU_DEP_1) | instskip(NEXT) | instid1(VALU_DEP_1)
	v_xor_b32_e32 v1, v1, v0
	v_sub_nc_u32_e32 v4, v1, v0
.LBB103_1628:
	s_mov_b32 s7, 0
	s_mov_b32 s12, -1
.LBB103_1629:
	s_and_not1_b32 vcc_lo, exec_lo, s7
	s_mov_b32 s7, 0
	s_cbranch_vccnz .LBB103_1640
; %bb.1630:
	s_cmp_gt_i32 s1, 14
	s_cbranch_scc0 .LBB103_1633
; %bb.1631:
	s_cmp_eq_u32 s1, 15
	s_cbranch_scc0 .LBB103_1636
; %bb.1632:
	global_load_u16 v0, v[10:11], off
	s_mov_b32 s6, 0
	s_mov_b32 s12, -1
	s_wait_loadcnt 0x0
	v_lshlrev_b32_e32 v0, 16, v0
	s_delay_alu instid0(VALU_DEP_1) | instskip(NEXT) | instid1(VALU_DEP_1)
	v_trunc_f32_e32 v0, v0
	v_mul_f32_e64 v1, 0x2f800000, |v0|
	s_delay_alu instid0(VALU_DEP_1) | instskip(NEXT) | instid1(VALU_DEP_1)
	v_floor_f32_e32 v1, v1
	v_fma_f32 v1, 0xcf800000, v1, |v0|
	v_ashrrev_i32_e32 v0, 31, v0
	s_delay_alu instid0(VALU_DEP_2) | instskip(NEXT) | instid1(VALU_DEP_1)
	v_cvt_u32_f32_e32 v1, v1
	v_xor_b32_e32 v1, v1, v0
	s_delay_alu instid0(VALU_DEP_1)
	v_sub_nc_u32_e32 v4, v1, v0
	s_branch .LBB103_1638
.LBB103_1633:
	s_mov_b32 s7, -1
	s_branch .LBB103_1637
.LBB103_1634:
	s_and_not1_saveexec_b32 s7, s7
	s_cbranch_execz .LBB103_1615
.LBB103_1635:
	v_cmp_ne_u16_e32 vcc_lo, 0, v0
	s_and_not1_b32 s12, s12, exec_lo
	s_and_b32 s13, vcc_lo, exec_lo
	s_delay_alu instid0(SALU_CYCLE_1)
	s_or_b32 s12, s12, s13
	s_or_b32 exec_lo, exec_lo, s7
	v_mov_b32_e32 v4, 0
	s_and_saveexec_b32 s7, s12
	s_cbranch_execnz .LBB103_1616
	s_branch .LBB103_1617
.LBB103_1636:
	s_mov_b32 s6, -1
.LBB103_1637:
                                        ; implicit-def: $vgpr4
.LBB103_1638:
	s_and_b32 vcc_lo, exec_lo, s7
	s_mov_b32 s7, 0
	s_cbranch_vccz .LBB103_1640
; %bb.1639:
	s_cmp_lg_u32 s1, 11
	s_mov_b32 s7, -1
	s_cselect_b32 s1, -1, 0
	s_and_not1_b32 s6, s6, exec_lo
	s_and_b32 s1, s1, exec_lo
	s_delay_alu instid0(SALU_CYCLE_1)
	s_or_b32 s6, s6, s1
.LBB103_1640:
	s_mov_b32 s1, 0
.LBB103_1641:
	s_delay_alu instid0(SALU_CYCLE_1)
	s_and_b32 s30, s1, exec_lo
	s_and_not1_b32 s1, s56, exec_lo
	s_and_b32 s6, s6, exec_lo
	s_and_b32 s28, s12, exec_lo
	;; [unrolled: 1-line block ×3, first 2 shown]
	s_or_b32 s31, s1, s6
.LBB103_1642:
	s_wait_xcnt 0x0
	s_or_b32 exec_lo, exec_lo, s44
	s_delay_alu instid0(SALU_CYCLE_1)
	s_and_not1_b32 s1, s56, exec_lo
	s_and_b32 s6, s31, exec_lo
	s_and_b32 s28, s28, exec_lo
	;; [unrolled: 1-line block ×4, first 2 shown]
	s_or_b32 s56, s1, s6
.LBB103_1643:
	s_or_b32 exec_lo, exec_lo, s55
	s_delay_alu instid0(SALU_CYCLE_1)
	s_and_not1_b32 s1, s51, exec_lo
	s_and_b32 s6, s59, exec_lo
	s_and_not1_b32 s7, s53, exec_lo
	s_or_b32 s51, s1, s6
	s_and_not1_b32 s1, s52, exec_lo
	s_and_b32 s6, s57, exec_lo
	s_and_b32 s12, s58, exec_lo
	s_or_b32 s52, s1, s6
	s_and_not1_b32 s1, s50, exec_lo
	s_and_b32 s6, s56, exec_lo
	s_or_b32 s53, s7, s12
	s_and_b32 s28, s28, exec_lo
	s_and_b32 s30, s30, exec_lo
	;; [unrolled: 1-line block ×3, first 2 shown]
	s_or_b32 s50, s1, s6
.LBB103_1644:
	s_or_b32 exec_lo, exec_lo, s54
	s_delay_alu instid0(SALU_CYCLE_1)
	s_and_not1_b32 s1, s42, exec_lo
	s_and_b32 s6, s51, exec_lo
	s_and_not1_b32 s7, s47, exec_lo
	s_or_b32 s42, s1, s6
	s_and_not1_b32 s1, s46, exec_lo
	s_and_b32 s6, s52, exec_lo
	s_and_b32 s12, s53, exec_lo
	s_or_b32 s46, s1, s6
	s_and_not1_b32 s1, s48, exec_lo
	s_and_b32 s6, s50, exec_lo
	s_or_b32 s47, s7, s12
	s_and_b32 s28, s28, exec_lo
	s_and_b32 s30, s30, exec_lo
	;; [unrolled: 1-line block ×3, first 2 shown]
	s_or_b32 s48, s1, s6
	s_or_b32 exec_lo, exec_lo, s49
	s_mov_b32 s1, 0
	s_and_saveexec_b32 s6, s48
	s_cbranch_execz .LBB103_520
.LBB103_1645:
	s_mov_b32 s1, exec_lo
	s_and_not1_b32 s25, s25, exec_lo
	s_trap 2
	s_or_b32 exec_lo, exec_lo, s6
	s_and_saveexec_b32 s6, s25
	s_delay_alu instid0(SALU_CYCLE_1)
	s_xor_b32 s6, exec_lo, s6
	s_cbranch_execnz .LBB103_521
.LBB103_1646:
	s_or_b32 exec_lo, exec_lo, s6
	s_and_saveexec_b32 s6, s30
	s_cbranch_execz .LBB103_1692
.LBB103_1647:
	s_sext_i32_i16 s7, s0
	s_delay_alu instid0(SALU_CYCLE_1)
	s_cmp_lt_i32 s7, 5
	s_cbranch_scc1 .LBB103_1652
; %bb.1648:
	s_cmp_lt_i32 s7, 8
	s_cbranch_scc1 .LBB103_1653
; %bb.1649:
	;; [unrolled: 3-line block ×3, first 2 shown]
	s_cmp_gt_i32 s7, 9
	s_cbranch_scc0 .LBB103_1655
; %bb.1651:
	s_wait_loadcnt 0x0
	global_load_b64 v[0:1], v[10:11], off
	s_mov_b32 s7, 0
	s_wait_loadcnt 0x0
	v_trunc_f64_e32 v[0:1], v[0:1]
	s_delay_alu instid0(VALU_DEP_1) | instskip(NEXT) | instid1(VALU_DEP_1)
	v_ldexp_f64 v[4:5], v[0:1], 0xffffffe0
	v_floor_f64_e32 v[4:5], v[4:5]
	s_delay_alu instid0(VALU_DEP_1) | instskip(NEXT) | instid1(VALU_DEP_1)
	v_fmamk_f64 v[0:1], v[4:5], 0xc1f00000, v[0:1]
	v_cvt_u32_f64_e32 v4, v[0:1]
	s_branch .LBB103_1656
.LBB103_1652:
                                        ; implicit-def: $vgpr4
	s_branch .LBB103_1673
.LBB103_1653:
                                        ; implicit-def: $vgpr4
	s_branch .LBB103_1662
.LBB103_1654:
	s_mov_b32 s7, -1
                                        ; implicit-def: $vgpr4
	s_branch .LBB103_1659
.LBB103_1655:
	s_mov_b32 s7, -1
                                        ; implicit-def: $vgpr4
.LBB103_1656:
	s_delay_alu instid0(SALU_CYCLE_1)
	s_and_not1_b32 vcc_lo, exec_lo, s7
	s_cbranch_vccnz .LBB103_1658
; %bb.1657:
	s_wait_loadcnt 0x0
	global_load_b32 v0, v[10:11], off
	s_wait_loadcnt 0x0
	v_trunc_f32_e32 v0, v0
	s_delay_alu instid0(VALU_DEP_1) | instskip(NEXT) | instid1(VALU_DEP_1)
	v_mul_f32_e64 v1, 0x2f800000, |v0|
	v_floor_f32_e32 v1, v1
	s_delay_alu instid0(VALU_DEP_1) | instskip(SKIP_1) | instid1(VALU_DEP_2)
	v_fma_f32 v1, 0xcf800000, v1, |v0|
	v_ashrrev_i32_e32 v0, 31, v0
	v_cvt_u32_f32_e32 v1, v1
	s_delay_alu instid0(VALU_DEP_1) | instskip(NEXT) | instid1(VALU_DEP_1)
	v_xor_b32_e32 v1, v1, v0
	v_sub_nc_u32_e32 v4, v1, v0
.LBB103_1658:
	s_mov_b32 s7, 0
.LBB103_1659:
	s_delay_alu instid0(SALU_CYCLE_1)
	s_and_not1_b32 vcc_lo, exec_lo, s7
	s_cbranch_vccnz .LBB103_1661
; %bb.1660:
	s_wait_loadcnt 0x0
	global_load_b32 v0, v[10:11], off
	s_wait_loadcnt 0x0
	v_cvt_f32_f16_e32 v0, v0
	s_delay_alu instid0(VALU_DEP_1)
	v_cvt_i32_f32_e32 v4, v0
.LBB103_1661:
	s_cbranch_execnz .LBB103_1672
.LBB103_1662:
	s_sext_i32_i16 s7, s0
	s_delay_alu instid0(SALU_CYCLE_1)
	s_cmp_lt_i32 s7, 6
	s_cbranch_scc1 .LBB103_1665
; %bb.1663:
	s_cmp_gt_i32 s7, 6
	s_cbranch_scc0 .LBB103_1666
; %bb.1664:
	s_wait_loadcnt 0x0
	global_load_b64 v[0:1], v[10:11], off
	s_mov_b32 s7, 0
	s_wait_loadcnt 0x0
	v_trunc_f64_e32 v[0:1], v[0:1]
	s_delay_alu instid0(VALU_DEP_1) | instskip(NEXT) | instid1(VALU_DEP_1)
	v_ldexp_f64 v[4:5], v[0:1], 0xffffffe0
	v_floor_f64_e32 v[4:5], v[4:5]
	s_delay_alu instid0(VALU_DEP_1) | instskip(NEXT) | instid1(VALU_DEP_1)
	v_fmamk_f64 v[0:1], v[4:5], 0xc1f00000, v[0:1]
	v_cvt_u32_f64_e32 v4, v[0:1]
	s_branch .LBB103_1667
.LBB103_1665:
	s_mov_b32 s7, -1
                                        ; implicit-def: $vgpr4
	s_branch .LBB103_1670
.LBB103_1666:
	s_mov_b32 s7, -1
                                        ; implicit-def: $vgpr4
.LBB103_1667:
	s_delay_alu instid0(SALU_CYCLE_1)
	s_and_not1_b32 vcc_lo, exec_lo, s7
	s_cbranch_vccnz .LBB103_1669
; %bb.1668:
	s_wait_loadcnt 0x0
	global_load_b32 v0, v[10:11], off
	s_wait_loadcnt 0x0
	v_trunc_f32_e32 v0, v0
	s_delay_alu instid0(VALU_DEP_1) | instskip(NEXT) | instid1(VALU_DEP_1)
	v_mul_f32_e64 v1, 0x2f800000, |v0|
	v_floor_f32_e32 v1, v1
	s_delay_alu instid0(VALU_DEP_1) | instskip(SKIP_1) | instid1(VALU_DEP_2)
	v_fma_f32 v1, 0xcf800000, v1, |v0|
	v_ashrrev_i32_e32 v0, 31, v0
	v_cvt_u32_f32_e32 v1, v1
	s_delay_alu instid0(VALU_DEP_1) | instskip(NEXT) | instid1(VALU_DEP_1)
	v_xor_b32_e32 v1, v1, v0
	v_sub_nc_u32_e32 v4, v1, v0
.LBB103_1669:
	s_mov_b32 s7, 0
.LBB103_1670:
	s_delay_alu instid0(SALU_CYCLE_1)
	s_and_not1_b32 vcc_lo, exec_lo, s7
	s_cbranch_vccnz .LBB103_1672
; %bb.1671:
	s_wait_loadcnt 0x0
	global_load_u16 v0, v[10:11], off
	s_wait_loadcnt 0x0
	v_cvt_f32_f16_e32 v0, v0
	s_delay_alu instid0(VALU_DEP_1)
	v_cvt_i32_f32_e32 v4, v0
.LBB103_1672:
	s_cbranch_execnz .LBB103_1691
.LBB103_1673:
	s_sext_i32_i16 s7, s0
	s_delay_alu instid0(SALU_CYCLE_1)
	s_cmp_lt_i32 s7, 2
	s_cbranch_scc1 .LBB103_1677
; %bb.1674:
	s_cmp_lt_i32 s7, 3
	s_cbranch_scc1 .LBB103_1678
; %bb.1675:
	s_cmp_gt_i32 s7, 3
	s_cbranch_scc0 .LBB103_1679
; %bb.1676:
	s_wait_loadcnt 0x0
	global_load_b64 v[4:5], v[10:11], off
	s_mov_b32 s7, 0
	s_branch .LBB103_1680
.LBB103_1677:
                                        ; implicit-def: $vgpr4
	s_branch .LBB103_1686
.LBB103_1678:
	s_mov_b32 s7, -1
                                        ; implicit-def: $vgpr4
	s_branch .LBB103_1683
.LBB103_1679:
	s_mov_b32 s7, -1
                                        ; implicit-def: $vgpr4
.LBB103_1680:
	s_delay_alu instid0(SALU_CYCLE_1)
	s_and_not1_b32 vcc_lo, exec_lo, s7
	s_cbranch_vccnz .LBB103_1682
; %bb.1681:
	s_wait_loadcnt 0x0
	global_load_b32 v4, v[10:11], off
.LBB103_1682:
	s_mov_b32 s7, 0
.LBB103_1683:
	s_delay_alu instid0(SALU_CYCLE_1)
	s_and_not1_b32 vcc_lo, exec_lo, s7
	s_cbranch_vccnz .LBB103_1685
; %bb.1684:
	s_wait_loadcnt 0x0
	global_load_u16 v4, v[10:11], off
.LBB103_1685:
	s_cbranch_execnz .LBB103_1691
.LBB103_1686:
	s_sext_i32_i16 s0, s0
	s_delay_alu instid0(SALU_CYCLE_1)
	s_cmp_gt_i32 s0, 0
	s_mov_b32 s0, 0
	s_cbranch_scc0 .LBB103_1688
; %bb.1687:
	s_wait_loadcnt 0x0
	global_load_u8 v4, v[10:11], off
	s_branch .LBB103_1689
.LBB103_1688:
	s_mov_b32 s0, -1
                                        ; implicit-def: $vgpr4
.LBB103_1689:
	s_delay_alu instid0(SALU_CYCLE_1)
	s_and_not1_b32 vcc_lo, exec_lo, s0
	s_cbranch_vccnz .LBB103_1691
; %bb.1690:
	s_wait_loadcnt 0x0
	global_load_u8 v4, v[10:11], off
.LBB103_1691:
	s_or_b32 s28, s28, exec_lo
.LBB103_1692:
	s_wait_xcnt 0x0
	s_or_b32 exec_lo, exec_lo, s6
	s_mov_b32 s13, 0
	s_mov_b32 s12, 0
	;; [unrolled: 1-line block ×3, first 2 shown]
                                        ; implicit-def: $sgpr0
                                        ; implicit-def: $vgpr10_vgpr11
                                        ; implicit-def: $vgpr0
	s_and_saveexec_b32 s6, s28
	s_cbranch_execz .LBB103_1700
; %bb.1693:
	s_wait_loadcnt 0x0
	v_mov_b32_e32 v9, 0
	s_and_b32 s0, s39, 0xff
	s_delay_alu instid0(SALU_CYCLE_1) | instskip(NEXT) | instid1(VALU_DEP_1)
	s_cmp_lt_i32 s0, 11
	v_add_nc_u64_e32 v[10:11], s[8:9], v[8:9]
	s_cbranch_scc1 .LBB103_1703
; %bb.1694:
	s_and_b32 s7, 0xffff, s0
	s_mov_b32 s9, 0
	s_cmp_gt_i32 s7, 25
	s_cbranch_scc0 .LBB103_1704
; %bb.1695:
	s_cmp_gt_i32 s7, 28
	s_cbranch_scc0 .LBB103_1705
; %bb.1696:
	;; [unrolled: 3-line block ×4, first 2 shown]
	s_cmp_eq_u32 s7, 46
	s_cbranch_scc0 .LBB103_1708
; %bb.1699:
	global_load_b32 v0, v[10:11], off
	s_mov_b32 s8, 0
	s_mov_b32 s12, -1
	s_wait_loadcnt 0x0
	v_lshlrev_b32_e32 v0, 16, v0
	s_delay_alu instid0(VALU_DEP_1) | instskip(NEXT) | instid1(VALU_DEP_1)
	v_trunc_f32_e32 v0, v0
	v_mul_f32_e64 v1, 0x2f800000, |v0|
	s_delay_alu instid0(VALU_DEP_1) | instskip(NEXT) | instid1(VALU_DEP_1)
	v_floor_f32_e32 v1, v1
	v_fma_f32 v1, 0xcf800000, v1, |v0|
	v_ashrrev_i32_e32 v0, 31, v0
	s_delay_alu instid0(VALU_DEP_2) | instskip(NEXT) | instid1(VALU_DEP_1)
	v_cvt_u32_f32_e32 v1, v1
	v_xor_b32_e32 v1, v1, v0
	s_delay_alu instid0(VALU_DEP_1)
	v_sub_nc_u32_e32 v0, v1, v0
	s_branch .LBB103_1710
.LBB103_1700:
	s_or_b32 exec_lo, exec_lo, s6
	s_and_saveexec_b32 s6, s47
	s_cbranch_execnz .LBB103_1769
.LBB103_1701:
	s_or_b32 exec_lo, exec_lo, s6
	s_and_saveexec_b32 s6, s13
	s_delay_alu instid0(SALU_CYCLE_1)
	s_xor_b32 s6, exec_lo, s6
	s_cbranch_execz .LBB103_1770
.LBB103_1702:
	s_wait_loadcnt 0x0
	global_load_u8 v0, v[10:11], off
	s_or_b32 s7, s7, exec_lo
	s_wait_loadcnt 0x0
	v_cmp_ne_u16_e32 vcc_lo, 0, v0
	v_cndmask_b32_e64 v0, 0, 1, vcc_lo
	s_wait_xcnt 0x0
	s_or_b32 exec_lo, exec_lo, s6
	s_and_saveexec_b32 s6, s12
	s_cbranch_execz .LBB103_1816
	s_branch .LBB103_1771
.LBB103_1703:
	s_mov_b32 s13, -1
	s_mov_b32 s9, 0
	s_mov_b32 s8, s47
                                        ; implicit-def: $vgpr0
	s_branch .LBB103_1768
.LBB103_1704:
	s_mov_b32 s8, s47
                                        ; implicit-def: $vgpr0
	s_cbranch_execnz .LBB103_1737
	s_branch .LBB103_1767
.LBB103_1705:
	s_mov_b32 s13, -1
	s_mov_b32 s8, s47
                                        ; implicit-def: $vgpr0
	s_branch .LBB103_1720
.LBB103_1706:
	s_mov_b32 s13, -1
	s_mov_b32 s8, s47
                                        ; implicit-def: $vgpr0
	s_branch .LBB103_1715
.LBB103_1707:
	s_mov_b32 s13, -1
	s_mov_b32 s8, s47
	s_branch .LBB103_1709
.LBB103_1708:
	s_mov_b32 s8, -1
.LBB103_1709:
                                        ; implicit-def: $vgpr0
.LBB103_1710:
	s_and_b32 vcc_lo, exec_lo, s13
	s_cbranch_vccz .LBB103_1714
; %bb.1711:
	s_cmp_eq_u32 s7, 44
	s_cbranch_scc0 .LBB103_1713
; %bb.1712:
	global_load_u8 v0, v[10:11], off
	s_mov_b32 s8, 0
	s_mov_b32 s12, -1
	s_wait_loadcnt 0x0
	v_lshlrev_b32_e32 v1, 23, v0
	v_cmp_ne_u32_e32 vcc_lo, 0, v0
	s_delay_alu instid0(VALU_DEP_2) | instskip(NEXT) | instid1(VALU_DEP_1)
	v_trunc_f32_e32 v1, v1
	v_mul_f32_e64 v3, 0x2f800000, |v1|
	s_delay_alu instid0(VALU_DEP_1) | instskip(NEXT) | instid1(VALU_DEP_1)
	v_floor_f32_e32 v3, v3
	v_fma_f32 v3, 0xcf800000, v3, |v1|
	v_ashrrev_i32_e32 v1, 31, v1
	s_delay_alu instid0(VALU_DEP_2) | instskip(NEXT) | instid1(VALU_DEP_1)
	v_cvt_u32_f32_e32 v3, v3
	v_xor_b32_e32 v3, v3, v1
	s_delay_alu instid0(VALU_DEP_1) | instskip(NEXT) | instid1(VALU_DEP_1)
	v_sub_nc_u32_e32 v1, v3, v1
	v_cndmask_b32_e32 v0, 0, v1, vcc_lo
	s_branch .LBB103_1714
.LBB103_1713:
	s_mov_b32 s8, -1
                                        ; implicit-def: $vgpr0
.LBB103_1714:
	s_mov_b32 s13, 0
.LBB103_1715:
	s_delay_alu instid0(SALU_CYCLE_1)
	s_and_b32 vcc_lo, exec_lo, s13
	s_cbranch_vccz .LBB103_1719
; %bb.1716:
	s_cmp_eq_u32 s7, 29
	s_cbranch_scc0 .LBB103_1718
; %bb.1717:
	global_load_b64 v[0:1], v[10:11], off
	s_mov_b32 s8, 0
	s_mov_b32 s12, -1
	s_branch .LBB103_1719
.LBB103_1718:
	s_mov_b32 s8, -1
                                        ; implicit-def: $vgpr0
.LBB103_1719:
	s_mov_b32 s13, 0
.LBB103_1720:
	s_delay_alu instid0(SALU_CYCLE_1)
	s_and_b32 vcc_lo, exec_lo, s13
	s_cbranch_vccz .LBB103_1736
; %bb.1721:
	s_cmp_lt_i32 s7, 27
	s_cbranch_scc1 .LBB103_1724
; %bb.1722:
	s_cmp_gt_i32 s7, 27
	s_cbranch_scc0 .LBB103_1725
; %bb.1723:
	s_wait_loadcnt 0x0
	global_load_b32 v0, v[10:11], off
	s_mov_b32 s12, 0
	s_branch .LBB103_1726
.LBB103_1724:
	s_mov_b32 s12, -1
                                        ; implicit-def: $vgpr0
	s_branch .LBB103_1729
.LBB103_1725:
	s_mov_b32 s12, -1
                                        ; implicit-def: $vgpr0
.LBB103_1726:
	s_delay_alu instid0(SALU_CYCLE_1)
	s_and_not1_b32 vcc_lo, exec_lo, s12
	s_cbranch_vccnz .LBB103_1728
; %bb.1727:
	s_wait_loadcnt 0x0
	global_load_u16 v0, v[10:11], off
.LBB103_1728:
	s_mov_b32 s12, 0
.LBB103_1729:
	s_delay_alu instid0(SALU_CYCLE_1)
	s_and_not1_b32 vcc_lo, exec_lo, s12
	s_cbranch_vccnz .LBB103_1735
; %bb.1730:
	s_wait_loadcnt 0x0
	global_load_u8 v1, v[10:11], off
	s_mov_b32 s13, 0
	s_mov_b32 s12, exec_lo
	s_wait_loadcnt 0x0
	v_cmpx_lt_i16_e32 0x7f, v1
	s_xor_b32 s12, exec_lo, s12
	s_cbranch_execz .LBB103_1746
; %bb.1731:
	v_cmp_ne_u16_e32 vcc_lo, 0x80, v1
	s_and_b32 s13, vcc_lo, exec_lo
	s_and_not1_saveexec_b32 s12, s12
	s_cbranch_execnz .LBB103_1747
.LBB103_1732:
	s_or_b32 exec_lo, exec_lo, s12
	v_mov_b32_e32 v0, 0
	s_and_saveexec_b32 s12, s13
	s_cbranch_execz .LBB103_1734
.LBB103_1733:
	v_and_b32_e32 v0, 0xffff, v1
	s_delay_alu instid0(VALU_DEP_1) | instskip(SKIP_1) | instid1(VALU_DEP_2)
	v_and_b32_e32 v3, 7, v0
	v_bfe_u32 v8, v0, 3, 4
	v_clz_i32_u32_e32 v5, v3
	s_delay_alu instid0(VALU_DEP_2) | instskip(NEXT) | instid1(VALU_DEP_2)
	v_cmp_eq_u32_e32 vcc_lo, 0, v8
	v_min_u32_e32 v5, 32, v5
	s_delay_alu instid0(VALU_DEP_1) | instskip(NEXT) | instid1(VALU_DEP_1)
	v_subrev_nc_u32_e32 v7, 28, v5
	v_dual_lshlrev_b32 v0, v7, v0 :: v_dual_sub_nc_u32 v5, 29, v5
	s_delay_alu instid0(VALU_DEP_1) | instskip(NEXT) | instid1(VALU_DEP_1)
	v_dual_lshlrev_b32 v1, 24, v1 :: v_dual_bitop2_b32 v0, 7, v0 bitop3:0x40
	v_dual_cndmask_b32 v0, v3, v0 :: v_dual_cndmask_b32 v5, v8, v5
	s_delay_alu instid0(VALU_DEP_2) | instskip(NEXT) | instid1(VALU_DEP_2)
	v_and_b32_e32 v1, 0x80000000, v1
	v_lshlrev_b32_e32 v0, 20, v0
	s_delay_alu instid0(VALU_DEP_3) | instskip(NEXT) | instid1(VALU_DEP_1)
	v_lshl_add_u32 v3, v5, 23, 0x3b800000
	v_or3_b32 v0, v1, v3, v0
	s_delay_alu instid0(VALU_DEP_1) | instskip(NEXT) | instid1(VALU_DEP_1)
	v_trunc_f32_e32 v0, v0
	v_mul_f32_e64 v1, 0x2f800000, |v0|
	s_delay_alu instid0(VALU_DEP_1) | instskip(NEXT) | instid1(VALU_DEP_1)
	v_floor_f32_e32 v1, v1
	v_fma_f32 v1, 0xcf800000, v1, |v0|
	v_ashrrev_i32_e32 v0, 31, v0
	s_delay_alu instid0(VALU_DEP_2) | instskip(NEXT) | instid1(VALU_DEP_1)
	v_cvt_u32_f32_e32 v1, v1
	v_xor_b32_e32 v1, v1, v0
	s_delay_alu instid0(VALU_DEP_1)
	v_sub_nc_u32_e32 v0, v1, v0
.LBB103_1734:
	s_or_b32 exec_lo, exec_lo, s12
.LBB103_1735:
	s_mov_b32 s12, -1
.LBB103_1736:
	s_branch .LBB103_1767
.LBB103_1737:
	s_cmp_gt_i32 s7, 22
	s_cbranch_scc0 .LBB103_1745
; %bb.1738:
	s_cmp_lt_i32 s7, 24
	s_cbranch_scc1 .LBB103_1748
; %bb.1739:
	s_cmp_gt_i32 s7, 24
	s_cbranch_scc0 .LBB103_1749
; %bb.1740:
	s_wait_loadcnt 0x0
	global_load_u8 v1, v[10:11], off
	s_mov_b32 s12, 0
	s_mov_b32 s9, exec_lo
	s_wait_loadcnt 0x0
	v_cmpx_lt_i16_e32 0x7f, v1
	s_xor_b32 s9, exec_lo, s9
	s_cbranch_execz .LBB103_1761
; %bb.1741:
	v_cmp_ne_u16_e32 vcc_lo, 0x80, v1
	s_and_b32 s12, vcc_lo, exec_lo
	s_and_not1_saveexec_b32 s9, s9
	s_cbranch_execnz .LBB103_1762
.LBB103_1742:
	s_or_b32 exec_lo, exec_lo, s9
	v_mov_b32_e32 v0, 0
	s_and_saveexec_b32 s9, s12
	s_cbranch_execz .LBB103_1744
.LBB103_1743:
	v_and_b32_e32 v0, 0xffff, v1
	s_delay_alu instid0(VALU_DEP_1) | instskip(SKIP_1) | instid1(VALU_DEP_2)
	v_and_b32_e32 v3, 3, v0
	v_bfe_u32 v8, v0, 2, 5
	v_clz_i32_u32_e32 v5, v3
	s_delay_alu instid0(VALU_DEP_2) | instskip(NEXT) | instid1(VALU_DEP_2)
	v_cmp_eq_u32_e32 vcc_lo, 0, v8
	v_min_u32_e32 v5, 32, v5
	s_delay_alu instid0(VALU_DEP_1) | instskip(NEXT) | instid1(VALU_DEP_1)
	v_subrev_nc_u32_e32 v7, 29, v5
	v_dual_lshlrev_b32 v0, v7, v0 :: v_dual_sub_nc_u32 v5, 30, v5
	s_delay_alu instid0(VALU_DEP_1) | instskip(NEXT) | instid1(VALU_DEP_1)
	v_dual_lshlrev_b32 v1, 24, v1 :: v_dual_bitop2_b32 v0, 3, v0 bitop3:0x40
	v_dual_cndmask_b32 v0, v3, v0 :: v_dual_cndmask_b32 v5, v8, v5
	s_delay_alu instid0(VALU_DEP_2) | instskip(NEXT) | instid1(VALU_DEP_2)
	v_and_b32_e32 v1, 0x80000000, v1
	v_lshlrev_b32_e32 v0, 21, v0
	s_delay_alu instid0(VALU_DEP_3) | instskip(NEXT) | instid1(VALU_DEP_1)
	v_lshl_add_u32 v3, v5, 23, 0x37800000
	v_or3_b32 v0, v1, v3, v0
	s_delay_alu instid0(VALU_DEP_1) | instskip(NEXT) | instid1(VALU_DEP_1)
	v_trunc_f32_e32 v0, v0
	v_mul_f32_e64 v1, 0x2f800000, |v0|
	s_delay_alu instid0(VALU_DEP_1) | instskip(NEXT) | instid1(VALU_DEP_1)
	v_floor_f32_e32 v1, v1
	v_fma_f32 v1, 0xcf800000, v1, |v0|
	v_ashrrev_i32_e32 v0, 31, v0
	s_delay_alu instid0(VALU_DEP_2) | instskip(NEXT) | instid1(VALU_DEP_1)
	v_cvt_u32_f32_e32 v1, v1
	v_xor_b32_e32 v1, v1, v0
	s_delay_alu instid0(VALU_DEP_1)
	v_sub_nc_u32_e32 v0, v1, v0
.LBB103_1744:
	s_or_b32 exec_lo, exec_lo, s9
	s_mov_b32 s9, 0
	s_branch .LBB103_1750
.LBB103_1745:
	s_mov_b32 s9, -1
                                        ; implicit-def: $vgpr0
	s_branch .LBB103_1756
.LBB103_1746:
	s_and_not1_saveexec_b32 s12, s12
	s_cbranch_execz .LBB103_1732
.LBB103_1747:
	v_cmp_ne_u16_e32 vcc_lo, 0, v1
	s_and_not1_b32 s13, s13, exec_lo
	s_and_b32 s14, vcc_lo, exec_lo
	s_delay_alu instid0(SALU_CYCLE_1)
	s_or_b32 s13, s13, s14
	s_or_b32 exec_lo, exec_lo, s12
	v_mov_b32_e32 v0, 0
	s_and_saveexec_b32 s12, s13
	s_cbranch_execnz .LBB103_1733
	s_branch .LBB103_1734
.LBB103_1748:
	s_mov_b32 s9, -1
                                        ; implicit-def: $vgpr0
	s_branch .LBB103_1753
.LBB103_1749:
	s_mov_b32 s9, -1
                                        ; implicit-def: $vgpr0
.LBB103_1750:
	s_delay_alu instid0(SALU_CYCLE_1)
	s_and_b32 vcc_lo, exec_lo, s9
	s_cbranch_vccz .LBB103_1752
; %bb.1751:
	s_wait_loadcnt 0x0
	global_load_u8 v0, v[10:11], off
	s_wait_loadcnt 0x0
	v_lshlrev_b32_e32 v0, 24, v0
	s_delay_alu instid0(VALU_DEP_1) | instskip(NEXT) | instid1(VALU_DEP_1)
	v_and_b32_e32 v1, 0x7f000000, v0
	v_clz_i32_u32_e32 v3, v1
	v_add_nc_u32_e32 v7, 0x1000000, v1
	v_cmp_ne_u32_e32 vcc_lo, 0, v1
	s_delay_alu instid0(VALU_DEP_3) | instskip(NEXT) | instid1(VALU_DEP_1)
	v_min_u32_e32 v3, 32, v3
	v_sub_nc_u32_e64 v3, v3, 4 clamp
	s_delay_alu instid0(VALU_DEP_1) | instskip(NEXT) | instid1(VALU_DEP_1)
	v_dual_lshlrev_b32 v5, v3, v1 :: v_dual_lshlrev_b32 v3, 23, v3
	v_lshrrev_b32_e32 v5, 4, v5
	s_delay_alu instid0(VALU_DEP_1) | instskip(SKIP_1) | instid1(VALU_DEP_2)
	v_sub_nc_u32_e32 v3, v5, v3
	v_ashrrev_i32_e32 v5, 8, v7
	v_add_nc_u32_e32 v3, 0x3c000000, v3
	s_delay_alu instid0(VALU_DEP_1) | instskip(NEXT) | instid1(VALU_DEP_1)
	v_and_or_b32 v3, 0x7f800000, v5, v3
	v_cndmask_b32_e32 v1, 0, v3, vcc_lo
	s_delay_alu instid0(VALU_DEP_1) | instskip(NEXT) | instid1(VALU_DEP_1)
	v_and_or_b32 v0, 0x80000000, v0, v1
	v_trunc_f32_e32 v0, v0
	s_delay_alu instid0(VALU_DEP_1) | instskip(NEXT) | instid1(VALU_DEP_1)
	v_mul_f32_e64 v1, 0x2f800000, |v0|
	v_floor_f32_e32 v1, v1
	s_delay_alu instid0(VALU_DEP_1) | instskip(SKIP_1) | instid1(VALU_DEP_2)
	v_fma_f32 v1, 0xcf800000, v1, |v0|
	v_ashrrev_i32_e32 v0, 31, v0
	v_cvt_u32_f32_e32 v1, v1
	s_delay_alu instid0(VALU_DEP_1) | instskip(NEXT) | instid1(VALU_DEP_1)
	v_xor_b32_e32 v1, v1, v0
	v_sub_nc_u32_e32 v0, v1, v0
.LBB103_1752:
	s_mov_b32 s9, 0
.LBB103_1753:
	s_delay_alu instid0(SALU_CYCLE_1)
	s_and_not1_b32 vcc_lo, exec_lo, s9
	s_cbranch_vccnz .LBB103_1755
; %bb.1754:
	s_wait_loadcnt 0x0
	global_load_u8 v0, v[10:11], off
	s_wait_loadcnt 0x0
	v_lshlrev_b32_e32 v1, 25, v0
	v_lshlrev_b16 v0, 8, v0
	s_delay_alu instid0(VALU_DEP_1) | instskip(SKIP_1) | instid1(VALU_DEP_2)
	v_and_or_b32 v5, 0x7f00, v0, 0.5
	v_bfe_i32 v0, v0, 0, 16
	v_add_f32_e32 v5, -0.5, v5
	v_lshrrev_b32_e32 v3, 4, v1
	v_cmp_gt_u32_e32 vcc_lo, 0x8000000, v1
	s_delay_alu instid0(VALU_DEP_2) | instskip(NEXT) | instid1(VALU_DEP_1)
	v_or_b32_e32 v3, 0x70000000, v3
	v_mul_f32_e32 v3, 0x7800000, v3
	s_delay_alu instid0(VALU_DEP_1) | instskip(NEXT) | instid1(VALU_DEP_1)
	v_cndmask_b32_e32 v1, v3, v5, vcc_lo
	v_and_or_b32 v0, 0x80000000, v0, v1
	s_delay_alu instid0(VALU_DEP_1) | instskip(NEXT) | instid1(VALU_DEP_1)
	v_trunc_f32_e32 v0, v0
	v_mul_f32_e64 v1, 0x2f800000, |v0|
	s_delay_alu instid0(VALU_DEP_1) | instskip(NEXT) | instid1(VALU_DEP_1)
	v_floor_f32_e32 v1, v1
	v_fma_f32 v1, 0xcf800000, v1, |v0|
	v_ashrrev_i32_e32 v0, 31, v0
	s_delay_alu instid0(VALU_DEP_2) | instskip(NEXT) | instid1(VALU_DEP_1)
	v_cvt_u32_f32_e32 v1, v1
	v_xor_b32_e32 v1, v1, v0
	s_delay_alu instid0(VALU_DEP_1)
	v_sub_nc_u32_e32 v0, v1, v0
.LBB103_1755:
	s_mov_b32 s9, 0
	s_mov_b32 s12, -1
.LBB103_1756:
	s_and_not1_b32 vcc_lo, exec_lo, s9
	s_mov_b32 s9, 0
	s_cbranch_vccnz .LBB103_1767
; %bb.1757:
	s_cmp_gt_i32 s7, 14
	s_cbranch_scc0 .LBB103_1760
; %bb.1758:
	s_cmp_eq_u32 s7, 15
	s_cbranch_scc0 .LBB103_1763
; %bb.1759:
	s_wait_loadcnt 0x0
	global_load_u16 v0, v[10:11], off
	s_mov_b32 s8, 0
	s_mov_b32 s12, -1
	s_wait_loadcnt 0x0
	v_lshlrev_b32_e32 v0, 16, v0
	s_delay_alu instid0(VALU_DEP_1) | instskip(NEXT) | instid1(VALU_DEP_1)
	v_trunc_f32_e32 v0, v0
	v_mul_f32_e64 v1, 0x2f800000, |v0|
	s_delay_alu instid0(VALU_DEP_1) | instskip(NEXT) | instid1(VALU_DEP_1)
	v_floor_f32_e32 v1, v1
	v_fma_f32 v1, 0xcf800000, v1, |v0|
	v_ashrrev_i32_e32 v0, 31, v0
	s_delay_alu instid0(VALU_DEP_2) | instskip(NEXT) | instid1(VALU_DEP_1)
	v_cvt_u32_f32_e32 v1, v1
	v_xor_b32_e32 v1, v1, v0
	s_delay_alu instid0(VALU_DEP_1)
	v_sub_nc_u32_e32 v0, v1, v0
	s_branch .LBB103_1765
.LBB103_1760:
	s_mov_b32 s9, -1
	s_branch .LBB103_1764
.LBB103_1761:
	s_and_not1_saveexec_b32 s9, s9
	s_cbranch_execz .LBB103_1742
.LBB103_1762:
	v_cmp_ne_u16_e32 vcc_lo, 0, v1
	s_and_not1_b32 s12, s12, exec_lo
	s_and_b32 s13, vcc_lo, exec_lo
	s_delay_alu instid0(SALU_CYCLE_1)
	s_or_b32 s12, s12, s13
	s_or_b32 exec_lo, exec_lo, s9
	v_mov_b32_e32 v0, 0
	s_and_saveexec_b32 s9, s12
	s_cbranch_execnz .LBB103_1743
	s_branch .LBB103_1744
.LBB103_1763:
	s_mov_b32 s8, -1
.LBB103_1764:
                                        ; implicit-def: $vgpr0
.LBB103_1765:
	s_and_b32 vcc_lo, exec_lo, s9
	s_mov_b32 s9, 0
	s_cbranch_vccz .LBB103_1767
; %bb.1766:
	s_cmp_lg_u32 s7, 11
	s_mov_b32 s9, -1
	s_cselect_b32 s7, -1, 0
	s_and_not1_b32 s8, s8, exec_lo
	s_and_b32 s7, s7, exec_lo
	s_delay_alu instid0(SALU_CYCLE_1)
	s_or_b32 s8, s8, s7
.LBB103_1767:
	s_mov_b32 s13, 0
.LBB103_1768:
	s_and_not1_b32 s14, s47, exec_lo
	s_and_b32 s8, s8, exec_lo
	s_and_b32 s7, s12, exec_lo
	;; [unrolled: 1-line block ×4, first 2 shown]
	s_or_b32 s47, s14, s8
	s_wait_xcnt 0x0
	s_or_b32 exec_lo, exec_lo, s6
	s_and_saveexec_b32 s6, s47
	s_cbranch_execz .LBB103_1701
.LBB103_1769:
	s_or_b32 s1, s1, exec_lo
	s_and_not1_b32 s13, s13, exec_lo
	s_trap 2
	s_or_b32 exec_lo, exec_lo, s6
	s_and_saveexec_b32 s6, s13
	s_delay_alu instid0(SALU_CYCLE_1)
	s_xor_b32 s6, exec_lo, s6
	s_cbranch_execnz .LBB103_1702
.LBB103_1770:
	s_or_b32 exec_lo, exec_lo, s6
	s_and_saveexec_b32 s6, s12
	s_cbranch_execz .LBB103_1816
.LBB103_1771:
	s_sext_i32_i16 s8, s0
	s_delay_alu instid0(SALU_CYCLE_1)
	s_cmp_lt_i32 s8, 5
	s_cbranch_scc1 .LBB103_1776
; %bb.1772:
	s_cmp_lt_i32 s8, 8
	s_cbranch_scc1 .LBB103_1777
; %bb.1773:
	;; [unrolled: 3-line block ×3, first 2 shown]
	s_cmp_gt_i32 s8, 9
	s_cbranch_scc0 .LBB103_1779
; %bb.1775:
	s_wait_loadcnt 0x0
	global_load_b64 v[0:1], v[10:11], off
	s_mov_b32 s8, 0
	s_wait_loadcnt 0x0
	v_trunc_f64_e32 v[0:1], v[0:1]
	s_delay_alu instid0(VALU_DEP_1) | instskip(NEXT) | instid1(VALU_DEP_1)
	v_ldexp_f64 v[8:9], v[0:1], 0xffffffe0
	v_floor_f64_e32 v[8:9], v[8:9]
	s_delay_alu instid0(VALU_DEP_1) | instskip(NEXT) | instid1(VALU_DEP_1)
	v_fmamk_f64 v[0:1], v[8:9], 0xc1f00000, v[0:1]
	v_cvt_u32_f64_e32 v0, v[0:1]
	s_branch .LBB103_1780
.LBB103_1776:
                                        ; implicit-def: $vgpr0
	s_branch .LBB103_1797
.LBB103_1777:
                                        ; implicit-def: $vgpr0
	s_branch .LBB103_1786
.LBB103_1778:
	s_mov_b32 s8, -1
                                        ; implicit-def: $vgpr0
	s_branch .LBB103_1783
.LBB103_1779:
	s_mov_b32 s8, -1
                                        ; implicit-def: $vgpr0
.LBB103_1780:
	s_delay_alu instid0(SALU_CYCLE_1)
	s_and_not1_b32 vcc_lo, exec_lo, s8
	s_cbranch_vccnz .LBB103_1782
; %bb.1781:
	s_wait_loadcnt 0x0
	global_load_b32 v0, v[10:11], off
	s_wait_loadcnt 0x0
	v_trunc_f32_e32 v0, v0
	s_delay_alu instid0(VALU_DEP_1) | instskip(NEXT) | instid1(VALU_DEP_1)
	v_mul_f32_e64 v1, 0x2f800000, |v0|
	v_floor_f32_e32 v1, v1
	s_delay_alu instid0(VALU_DEP_1) | instskip(SKIP_1) | instid1(VALU_DEP_2)
	v_fma_f32 v1, 0xcf800000, v1, |v0|
	v_ashrrev_i32_e32 v0, 31, v0
	v_cvt_u32_f32_e32 v1, v1
	s_delay_alu instid0(VALU_DEP_1) | instskip(NEXT) | instid1(VALU_DEP_1)
	v_xor_b32_e32 v1, v1, v0
	v_sub_nc_u32_e32 v0, v1, v0
.LBB103_1782:
	s_mov_b32 s8, 0
.LBB103_1783:
	s_delay_alu instid0(SALU_CYCLE_1)
	s_and_not1_b32 vcc_lo, exec_lo, s8
	s_cbranch_vccnz .LBB103_1785
; %bb.1784:
	s_wait_loadcnt 0x0
	global_load_b32 v0, v[10:11], off
	s_wait_loadcnt 0x0
	v_cvt_f32_f16_e32 v0, v0
	s_delay_alu instid0(VALU_DEP_1)
	v_cvt_i32_f32_e32 v0, v0
.LBB103_1785:
	s_cbranch_execnz .LBB103_1796
.LBB103_1786:
	s_sext_i32_i16 s8, s0
	s_delay_alu instid0(SALU_CYCLE_1)
	s_cmp_lt_i32 s8, 6
	s_cbranch_scc1 .LBB103_1789
; %bb.1787:
	s_cmp_gt_i32 s8, 6
	s_cbranch_scc0 .LBB103_1790
; %bb.1788:
	s_wait_loadcnt 0x0
	global_load_b64 v[0:1], v[10:11], off
	s_mov_b32 s8, 0
	s_wait_loadcnt 0x0
	v_trunc_f64_e32 v[0:1], v[0:1]
	s_delay_alu instid0(VALU_DEP_1) | instskip(NEXT) | instid1(VALU_DEP_1)
	v_ldexp_f64 v[8:9], v[0:1], 0xffffffe0
	v_floor_f64_e32 v[8:9], v[8:9]
	s_delay_alu instid0(VALU_DEP_1) | instskip(NEXT) | instid1(VALU_DEP_1)
	v_fmamk_f64 v[0:1], v[8:9], 0xc1f00000, v[0:1]
	v_cvt_u32_f64_e32 v0, v[0:1]
	s_branch .LBB103_1791
.LBB103_1789:
	s_mov_b32 s8, -1
                                        ; implicit-def: $vgpr0
	s_branch .LBB103_1794
.LBB103_1790:
	s_mov_b32 s8, -1
                                        ; implicit-def: $vgpr0
.LBB103_1791:
	s_delay_alu instid0(SALU_CYCLE_1)
	s_and_not1_b32 vcc_lo, exec_lo, s8
	s_cbranch_vccnz .LBB103_1793
; %bb.1792:
	s_wait_loadcnt 0x0
	global_load_b32 v0, v[10:11], off
	s_wait_loadcnt 0x0
	v_trunc_f32_e32 v0, v0
	s_delay_alu instid0(VALU_DEP_1) | instskip(NEXT) | instid1(VALU_DEP_1)
	v_mul_f32_e64 v1, 0x2f800000, |v0|
	v_floor_f32_e32 v1, v1
	s_delay_alu instid0(VALU_DEP_1) | instskip(SKIP_1) | instid1(VALU_DEP_2)
	v_fma_f32 v1, 0xcf800000, v1, |v0|
	v_ashrrev_i32_e32 v0, 31, v0
	v_cvt_u32_f32_e32 v1, v1
	s_delay_alu instid0(VALU_DEP_1) | instskip(NEXT) | instid1(VALU_DEP_1)
	v_xor_b32_e32 v1, v1, v0
	v_sub_nc_u32_e32 v0, v1, v0
.LBB103_1793:
	s_mov_b32 s8, 0
.LBB103_1794:
	s_delay_alu instid0(SALU_CYCLE_1)
	s_and_not1_b32 vcc_lo, exec_lo, s8
	s_cbranch_vccnz .LBB103_1796
; %bb.1795:
	s_wait_loadcnt 0x0
	global_load_u16 v0, v[10:11], off
	s_wait_loadcnt 0x0
	v_cvt_f32_f16_e32 v0, v0
	s_delay_alu instid0(VALU_DEP_1)
	v_cvt_i32_f32_e32 v0, v0
.LBB103_1796:
	s_cbranch_execnz .LBB103_1815
.LBB103_1797:
	s_sext_i32_i16 s8, s0
	s_delay_alu instid0(SALU_CYCLE_1)
	s_cmp_lt_i32 s8, 2
	s_cbranch_scc1 .LBB103_1801
; %bb.1798:
	s_cmp_lt_i32 s8, 3
	s_cbranch_scc1 .LBB103_1802
; %bb.1799:
	s_cmp_gt_i32 s8, 3
	s_cbranch_scc0 .LBB103_1803
; %bb.1800:
	s_wait_loadcnt 0x0
	global_load_b64 v[0:1], v[10:11], off
	s_mov_b32 s8, 0
	s_branch .LBB103_1804
.LBB103_1801:
                                        ; implicit-def: $vgpr0
	s_branch .LBB103_1810
.LBB103_1802:
	s_mov_b32 s8, -1
                                        ; implicit-def: $vgpr0
	s_branch .LBB103_1807
.LBB103_1803:
	s_mov_b32 s8, -1
                                        ; implicit-def: $vgpr0
.LBB103_1804:
	s_delay_alu instid0(SALU_CYCLE_1)
	s_and_not1_b32 vcc_lo, exec_lo, s8
	s_cbranch_vccnz .LBB103_1806
; %bb.1805:
	s_wait_loadcnt 0x0
	global_load_b32 v0, v[10:11], off
.LBB103_1806:
	s_mov_b32 s8, 0
.LBB103_1807:
	s_delay_alu instid0(SALU_CYCLE_1)
	s_and_not1_b32 vcc_lo, exec_lo, s8
	s_cbranch_vccnz .LBB103_1809
; %bb.1808:
	s_wait_loadcnt 0x0
	global_load_u16 v0, v[10:11], off
.LBB103_1809:
	s_cbranch_execnz .LBB103_1815
.LBB103_1810:
	s_sext_i32_i16 s0, s0
	s_delay_alu instid0(SALU_CYCLE_1)
	s_cmp_gt_i32 s0, 0
	s_mov_b32 s0, 0
	s_cbranch_scc0 .LBB103_1812
; %bb.1811:
	s_wait_loadcnt 0x0
	global_load_u8 v0, v[10:11], off
	s_branch .LBB103_1813
.LBB103_1812:
	s_mov_b32 s0, -1
                                        ; implicit-def: $vgpr0
.LBB103_1813:
	s_delay_alu instid0(SALU_CYCLE_1)
	s_and_not1_b32 vcc_lo, exec_lo, s0
	s_cbranch_vccnz .LBB103_1815
; %bb.1814:
	s_wait_loadcnt 0x0
	global_load_u8 v0, v[10:11], off
.LBB103_1815:
	s_or_b32 s7, s7, exec_lo
.LBB103_1816:
	s_wait_xcnt 0x0
	s_or_b32 exec_lo, exec_lo, s6
	s_mov_b32 s9, 0
	s_mov_b32 s6, 0
	;; [unrolled: 1-line block ×3, first 2 shown]
                                        ; implicit-def: $vgpr8_vgpr9
                                        ; implicit-def: $vgpr10
	s_and_saveexec_b32 s0, s7
	s_cbranch_execz .LBB103_1824
; %bb.1817:
	v_mov_b32_e32 v7, 0
	s_and_b32 s6, 0xffff, s21
	s_delay_alu instid0(SALU_CYCLE_1) | instskip(SKIP_1) | instid1(VALU_DEP_1)
	s_cmp_lt_i32 s6, 11
	s_wait_loadcnt 0x0
	v_add_nc_u64_e32 v[8:9], s[10:11], v[6:7]
	s_cbranch_scc1 .LBB103_1827
; %bb.1818:
	s_cmp_gt_i32 s6, 25
	s_cbranch_scc0 .LBB103_1828
; %bb.1819:
	s_cmp_gt_i32 s6, 28
	s_cbranch_scc0 .LBB103_1829
	;; [unrolled: 3-line block ×4, first 2 shown]
; %bb.1822:
	s_cmp_eq_u32 s6, 46
	s_mov_b32 s10, 0
	s_cbranch_scc0 .LBB103_1832
; %bb.1823:
	global_load_b32 v1, v[8:9], off
	s_mov_b32 s7, 0
	s_mov_b32 s8, -1
	s_wait_loadcnt 0x0
	v_lshlrev_b32_e32 v1, 16, v1
	s_delay_alu instid0(VALU_DEP_1) | instskip(NEXT) | instid1(VALU_DEP_1)
	v_trunc_f32_e32 v1, v1
	v_mul_f32_e64 v3, 0x2f800000, |v1|
	s_delay_alu instid0(VALU_DEP_1) | instskip(NEXT) | instid1(VALU_DEP_1)
	v_floor_f32_e32 v3, v3
	v_fma_f32 v3, 0xcf800000, v3, |v1|
	v_ashrrev_i32_e32 v1, 31, v1
	s_delay_alu instid0(VALU_DEP_2) | instskip(NEXT) | instid1(VALU_DEP_1)
	v_cvt_u32_f32_e32 v3, v3
	v_xor_b32_e32 v3, v3, v1
	s_delay_alu instid0(VALU_DEP_1)
	v_sub_nc_u32_e32 v10, v3, v1
	s_branch .LBB103_1834
.LBB103_1824:
	s_or_b32 exec_lo, exec_lo, s0
	s_and_saveexec_b32 s0, s46
	s_cbranch_execnz .LBB103_1893
.LBB103_1825:
	s_or_b32 exec_lo, exec_lo, s0
	s_and_saveexec_b32 s0, s9
	s_delay_alu instid0(SALU_CYCLE_1)
	s_xor_b32 s0, exec_lo, s0
	s_cbranch_execz .LBB103_1894
.LBB103_1826:
	s_wait_loadcnt 0x0
	global_load_u8 v1, v[8:9], off
	s_or_b32 s8, s8, exec_lo
	s_wait_loadcnt 0x0
	v_cmp_ne_u16_e32 vcc_lo, 0, v1
	v_cndmask_b32_e64 v10, 0, 1, vcc_lo
	s_wait_xcnt 0x0
	s_or_b32 exec_lo, exec_lo, s0
	s_and_saveexec_b32 s0, s6
	s_cbranch_execz .LBB103_1940
	s_branch .LBB103_1895
.LBB103_1827:
	s_mov_b32 s6, -1
	s_mov_b32 s7, s46
                                        ; implicit-def: $vgpr10
	s_branch .LBB103_1892
.LBB103_1828:
	s_mov_b32 s7, s46
                                        ; implicit-def: $vgpr10
	s_cbranch_execnz .LBB103_1861
	s_branch .LBB103_1891
.LBB103_1829:
	s_mov_b32 s10, -1
	s_mov_b32 s7, s46
                                        ; implicit-def: $vgpr10
	s_branch .LBB103_1844
.LBB103_1830:
	s_mov_b32 s10, -1
	s_mov_b32 s7, s46
                                        ; implicit-def: $vgpr10
	s_branch .LBB103_1839
.LBB103_1831:
	s_mov_b32 s10, -1
	s_mov_b32 s7, s46
	s_branch .LBB103_1833
.LBB103_1832:
	s_mov_b32 s7, -1
.LBB103_1833:
                                        ; implicit-def: $vgpr10
.LBB103_1834:
	s_and_b32 vcc_lo, exec_lo, s10
	s_cbranch_vccz .LBB103_1838
; %bb.1835:
	s_cmp_eq_u32 s6, 44
	s_cbranch_scc0 .LBB103_1837
; %bb.1836:
	global_load_u8 v1, v[8:9], off
	s_mov_b32 s7, 0
	s_mov_b32 s8, -1
	s_wait_loadcnt 0x0
	v_lshlrev_b32_e32 v3, 23, v1
	v_cmp_ne_u32_e32 vcc_lo, 0, v1
	s_delay_alu instid0(VALU_DEP_2) | instskip(NEXT) | instid1(VALU_DEP_1)
	v_trunc_f32_e32 v3, v3
	v_mul_f32_e64 v5, 0x2f800000, |v3|
	s_delay_alu instid0(VALU_DEP_1) | instskip(NEXT) | instid1(VALU_DEP_1)
	v_floor_f32_e32 v5, v5
	v_fma_f32 v5, 0xcf800000, v5, |v3|
	v_ashrrev_i32_e32 v3, 31, v3
	s_delay_alu instid0(VALU_DEP_2) | instskip(NEXT) | instid1(VALU_DEP_1)
	v_cvt_u32_f32_e32 v5, v5
	v_xor_b32_e32 v5, v5, v3
	s_delay_alu instid0(VALU_DEP_1) | instskip(NEXT) | instid1(VALU_DEP_1)
	v_sub_nc_u32_e32 v3, v5, v3
	v_cndmask_b32_e32 v10, 0, v3, vcc_lo
	s_branch .LBB103_1838
.LBB103_1837:
	s_mov_b32 s7, -1
                                        ; implicit-def: $vgpr10
.LBB103_1838:
	s_mov_b32 s10, 0
.LBB103_1839:
	s_delay_alu instid0(SALU_CYCLE_1)
	s_and_b32 vcc_lo, exec_lo, s10
	s_cbranch_vccz .LBB103_1843
; %bb.1840:
	s_cmp_eq_u32 s6, 29
	s_cbranch_scc0 .LBB103_1842
; %bb.1841:
	global_load_b64 v[10:11], v[8:9], off
	s_mov_b32 s7, 0
	s_mov_b32 s8, -1
	s_branch .LBB103_1843
.LBB103_1842:
	s_mov_b32 s7, -1
                                        ; implicit-def: $vgpr10
.LBB103_1843:
	s_mov_b32 s10, 0
.LBB103_1844:
	s_delay_alu instid0(SALU_CYCLE_1)
	s_and_b32 vcc_lo, exec_lo, s10
	s_cbranch_vccz .LBB103_1860
; %bb.1845:
	s_cmp_lt_i32 s6, 27
	s_cbranch_scc1 .LBB103_1848
; %bb.1846:
	s_cmp_gt_i32 s6, 27
	s_cbranch_scc0 .LBB103_1849
; %bb.1847:
	s_wait_loadcnt 0x0
	global_load_b32 v10, v[8:9], off
	s_mov_b32 s8, 0
	s_branch .LBB103_1850
.LBB103_1848:
	s_mov_b32 s8, -1
                                        ; implicit-def: $vgpr10
	s_branch .LBB103_1853
.LBB103_1849:
	s_mov_b32 s8, -1
                                        ; implicit-def: $vgpr10
.LBB103_1850:
	s_delay_alu instid0(SALU_CYCLE_1)
	s_and_not1_b32 vcc_lo, exec_lo, s8
	s_cbranch_vccnz .LBB103_1852
; %bb.1851:
	s_wait_loadcnt 0x0
	global_load_u16 v10, v[8:9], off
.LBB103_1852:
	s_mov_b32 s8, 0
.LBB103_1853:
	s_delay_alu instid0(SALU_CYCLE_1)
	s_and_not1_b32 vcc_lo, exec_lo, s8
	s_cbranch_vccnz .LBB103_1859
; %bb.1854:
	global_load_u8 v1, v[8:9], off
	s_mov_b32 s10, 0
	s_mov_b32 s8, exec_lo
	s_wait_loadcnt 0x0
	v_cmpx_lt_i16_e32 0x7f, v1
	s_xor_b32 s8, exec_lo, s8
	s_cbranch_execz .LBB103_1870
; %bb.1855:
	v_cmp_ne_u16_e32 vcc_lo, 0x80, v1
	s_and_b32 s10, vcc_lo, exec_lo
	s_and_not1_saveexec_b32 s8, s8
	s_cbranch_execnz .LBB103_1871
.LBB103_1856:
	s_or_b32 exec_lo, exec_lo, s8
	v_mov_b32_e32 v10, 0
	s_and_saveexec_b32 s8, s10
	s_cbranch_execz .LBB103_1858
.LBB103_1857:
	v_and_b32_e32 v3, 0xffff, v1
	s_delay_alu instid0(VALU_DEP_1) | instskip(SKIP_1) | instid1(VALU_DEP_2)
	v_and_b32_e32 v5, 7, v3
	v_bfe_u32 v10, v3, 3, 4
	v_clz_i32_u32_e32 v6, v5
	s_delay_alu instid0(VALU_DEP_2) | instskip(NEXT) | instid1(VALU_DEP_2)
	v_cmp_eq_u32_e32 vcc_lo, 0, v10
	v_min_u32_e32 v6, 32, v6
	s_delay_alu instid0(VALU_DEP_1) | instskip(NEXT) | instid1(VALU_DEP_1)
	v_subrev_nc_u32_e32 v7, 28, v6
	v_dual_lshlrev_b32 v3, v7, v3 :: v_dual_sub_nc_u32 v6, 29, v6
	s_delay_alu instid0(VALU_DEP_1) | instskip(NEXT) | instid1(VALU_DEP_1)
	v_dual_lshlrev_b32 v1, 24, v1 :: v_dual_bitop2_b32 v3, 7, v3 bitop3:0x40
	v_dual_cndmask_b32 v6, v10, v6 :: v_dual_cndmask_b32 v3, v5, v3
	s_delay_alu instid0(VALU_DEP_2) | instskip(NEXT) | instid1(VALU_DEP_2)
	v_and_b32_e32 v1, 0x80000000, v1
	v_lshl_add_u32 v5, v6, 23, 0x3b800000
	s_delay_alu instid0(VALU_DEP_3) | instskip(NEXT) | instid1(VALU_DEP_1)
	v_lshlrev_b32_e32 v3, 20, v3
	v_or3_b32 v1, v1, v5, v3
	s_delay_alu instid0(VALU_DEP_1) | instskip(NEXT) | instid1(VALU_DEP_1)
	v_trunc_f32_e32 v1, v1
	v_mul_f32_e64 v3, 0x2f800000, |v1|
	s_delay_alu instid0(VALU_DEP_1) | instskip(NEXT) | instid1(VALU_DEP_1)
	v_floor_f32_e32 v3, v3
	v_fma_f32 v3, 0xcf800000, v3, |v1|
	v_ashrrev_i32_e32 v1, 31, v1
	s_delay_alu instid0(VALU_DEP_2) | instskip(NEXT) | instid1(VALU_DEP_1)
	v_cvt_u32_f32_e32 v3, v3
	v_xor_b32_e32 v3, v3, v1
	s_delay_alu instid0(VALU_DEP_1)
	v_sub_nc_u32_e32 v10, v3, v1
.LBB103_1858:
	s_or_b32 exec_lo, exec_lo, s8
.LBB103_1859:
	s_mov_b32 s8, -1
.LBB103_1860:
	s_branch .LBB103_1891
.LBB103_1861:
	s_cmp_gt_i32 s6, 22
	s_cbranch_scc0 .LBB103_1869
; %bb.1862:
	s_cmp_lt_i32 s6, 24
	s_cbranch_scc1 .LBB103_1872
; %bb.1863:
	s_cmp_gt_i32 s6, 24
	s_cbranch_scc0 .LBB103_1873
; %bb.1864:
	global_load_u8 v1, v[8:9], off
	s_mov_b32 s8, exec_lo
	s_wait_loadcnt 0x0
	v_cmpx_lt_i16_e32 0x7f, v1
	s_xor_b32 s8, exec_lo, s8
	s_cbranch_execz .LBB103_1885
; %bb.1865:
	v_cmp_ne_u16_e32 vcc_lo, 0x80, v1
	s_and_b32 s9, vcc_lo, exec_lo
	s_and_not1_saveexec_b32 s8, s8
	s_cbranch_execnz .LBB103_1886
.LBB103_1866:
	s_or_b32 exec_lo, exec_lo, s8
	v_mov_b32_e32 v10, 0
	s_and_saveexec_b32 s8, s9
	s_cbranch_execz .LBB103_1868
.LBB103_1867:
	v_and_b32_e32 v3, 0xffff, v1
	s_delay_alu instid0(VALU_DEP_1) | instskip(SKIP_1) | instid1(VALU_DEP_2)
	v_and_b32_e32 v5, 3, v3
	v_bfe_u32 v10, v3, 2, 5
	v_clz_i32_u32_e32 v6, v5
	s_delay_alu instid0(VALU_DEP_2) | instskip(NEXT) | instid1(VALU_DEP_2)
	v_cmp_eq_u32_e32 vcc_lo, 0, v10
	v_min_u32_e32 v6, 32, v6
	s_delay_alu instid0(VALU_DEP_1) | instskip(NEXT) | instid1(VALU_DEP_1)
	v_subrev_nc_u32_e32 v7, 29, v6
	v_dual_lshlrev_b32 v3, v7, v3 :: v_dual_sub_nc_u32 v6, 30, v6
	s_delay_alu instid0(VALU_DEP_1) | instskip(NEXT) | instid1(VALU_DEP_1)
	v_dual_lshlrev_b32 v1, 24, v1 :: v_dual_bitop2_b32 v3, 3, v3 bitop3:0x40
	v_dual_cndmask_b32 v6, v10, v6 :: v_dual_cndmask_b32 v3, v5, v3
	s_delay_alu instid0(VALU_DEP_2) | instskip(NEXT) | instid1(VALU_DEP_2)
	v_and_b32_e32 v1, 0x80000000, v1
	v_lshl_add_u32 v5, v6, 23, 0x37800000
	s_delay_alu instid0(VALU_DEP_3) | instskip(NEXT) | instid1(VALU_DEP_1)
	v_lshlrev_b32_e32 v3, 21, v3
	v_or3_b32 v1, v1, v5, v3
	s_delay_alu instid0(VALU_DEP_1) | instskip(NEXT) | instid1(VALU_DEP_1)
	v_trunc_f32_e32 v1, v1
	v_mul_f32_e64 v3, 0x2f800000, |v1|
	s_delay_alu instid0(VALU_DEP_1) | instskip(NEXT) | instid1(VALU_DEP_1)
	v_floor_f32_e32 v3, v3
	v_fma_f32 v3, 0xcf800000, v3, |v1|
	v_ashrrev_i32_e32 v1, 31, v1
	s_delay_alu instid0(VALU_DEP_2) | instskip(NEXT) | instid1(VALU_DEP_1)
	v_cvt_u32_f32_e32 v3, v3
	v_xor_b32_e32 v3, v3, v1
	s_delay_alu instid0(VALU_DEP_1)
	v_sub_nc_u32_e32 v10, v3, v1
.LBB103_1868:
	s_or_b32 exec_lo, exec_lo, s8
	s_mov_b32 s8, 0
	s_branch .LBB103_1874
.LBB103_1869:
	s_mov_b32 s9, -1
                                        ; implicit-def: $vgpr10
	s_branch .LBB103_1880
.LBB103_1870:
	s_and_not1_saveexec_b32 s8, s8
	s_cbranch_execz .LBB103_1856
.LBB103_1871:
	v_cmp_ne_u16_e32 vcc_lo, 0, v1
	s_and_not1_b32 s10, s10, exec_lo
	s_and_b32 s11, vcc_lo, exec_lo
	s_delay_alu instid0(SALU_CYCLE_1)
	s_or_b32 s10, s10, s11
	s_or_b32 exec_lo, exec_lo, s8
	v_mov_b32_e32 v10, 0
	s_and_saveexec_b32 s8, s10
	s_cbranch_execnz .LBB103_1857
	s_branch .LBB103_1858
.LBB103_1872:
	s_mov_b32 s8, -1
                                        ; implicit-def: $vgpr10
	s_branch .LBB103_1877
.LBB103_1873:
	s_mov_b32 s8, -1
                                        ; implicit-def: $vgpr10
.LBB103_1874:
	s_delay_alu instid0(SALU_CYCLE_1)
	s_and_b32 vcc_lo, exec_lo, s8
	s_cbranch_vccz .LBB103_1876
; %bb.1875:
	global_load_u8 v1, v[8:9], off
	s_wait_loadcnt 0x0
	v_lshlrev_b32_e32 v1, 24, v1
	s_delay_alu instid0(VALU_DEP_1) | instskip(NEXT) | instid1(VALU_DEP_1)
	v_and_b32_e32 v3, 0x7f000000, v1
	v_clz_i32_u32_e32 v5, v3
	v_add_nc_u32_e32 v7, 0x1000000, v3
	v_cmp_ne_u32_e32 vcc_lo, 0, v3
	s_delay_alu instid0(VALU_DEP_3) | instskip(NEXT) | instid1(VALU_DEP_1)
	v_min_u32_e32 v5, 32, v5
	v_sub_nc_u32_e64 v5, v5, 4 clamp
	s_delay_alu instid0(VALU_DEP_1) | instskip(NEXT) | instid1(VALU_DEP_1)
	v_dual_lshlrev_b32 v6, v5, v3 :: v_dual_lshlrev_b32 v5, 23, v5
	v_lshrrev_b32_e32 v6, 4, v6
	s_delay_alu instid0(VALU_DEP_1) | instskip(NEXT) | instid1(VALU_DEP_1)
	v_dual_sub_nc_u32 v5, v6, v5 :: v_dual_ashrrev_i32 v6, 8, v7
	v_add_nc_u32_e32 v5, 0x3c000000, v5
	s_delay_alu instid0(VALU_DEP_1) | instskip(NEXT) | instid1(VALU_DEP_1)
	v_and_or_b32 v5, 0x7f800000, v6, v5
	v_cndmask_b32_e32 v3, 0, v5, vcc_lo
	s_delay_alu instid0(VALU_DEP_1) | instskip(NEXT) | instid1(VALU_DEP_1)
	v_and_or_b32 v1, 0x80000000, v1, v3
	v_trunc_f32_e32 v1, v1
	s_delay_alu instid0(VALU_DEP_1) | instskip(NEXT) | instid1(VALU_DEP_1)
	v_mul_f32_e64 v3, 0x2f800000, |v1|
	v_floor_f32_e32 v3, v3
	s_delay_alu instid0(VALU_DEP_1) | instskip(SKIP_1) | instid1(VALU_DEP_2)
	v_fma_f32 v3, 0xcf800000, v3, |v1|
	v_ashrrev_i32_e32 v1, 31, v1
	v_cvt_u32_f32_e32 v3, v3
	s_delay_alu instid0(VALU_DEP_1) | instskip(NEXT) | instid1(VALU_DEP_1)
	v_xor_b32_e32 v3, v3, v1
	v_sub_nc_u32_e32 v10, v3, v1
.LBB103_1876:
	s_mov_b32 s8, 0
.LBB103_1877:
	s_delay_alu instid0(SALU_CYCLE_1)
	s_and_not1_b32 vcc_lo, exec_lo, s8
	s_cbranch_vccnz .LBB103_1879
; %bb.1878:
	global_load_u8 v1, v[8:9], off
	s_wait_loadcnt 0x0
	v_lshlrev_b32_e32 v3, 25, v1
	v_lshlrev_b16 v1, 8, v1
	s_delay_alu instid0(VALU_DEP_1) | instskip(SKIP_1) | instid1(VALU_DEP_2)
	v_and_or_b32 v6, 0x7f00, v1, 0.5
	v_bfe_i32 v1, v1, 0, 16
	v_dual_add_f32 v6, -0.5, v6 :: v_dual_lshrrev_b32 v5, 4, v3
	v_cmp_gt_u32_e32 vcc_lo, 0x8000000, v3
	s_delay_alu instid0(VALU_DEP_2) | instskip(NEXT) | instid1(VALU_DEP_1)
	v_or_b32_e32 v5, 0x70000000, v5
	v_mul_f32_e32 v5, 0x7800000, v5
	s_delay_alu instid0(VALU_DEP_1) | instskip(NEXT) | instid1(VALU_DEP_1)
	v_cndmask_b32_e32 v3, v5, v6, vcc_lo
	v_and_or_b32 v1, 0x80000000, v1, v3
	s_delay_alu instid0(VALU_DEP_1) | instskip(NEXT) | instid1(VALU_DEP_1)
	v_trunc_f32_e32 v1, v1
	v_mul_f32_e64 v3, 0x2f800000, |v1|
	s_delay_alu instid0(VALU_DEP_1) | instskip(NEXT) | instid1(VALU_DEP_1)
	v_floor_f32_e32 v3, v3
	v_fma_f32 v3, 0xcf800000, v3, |v1|
	v_ashrrev_i32_e32 v1, 31, v1
	s_delay_alu instid0(VALU_DEP_2) | instskip(NEXT) | instid1(VALU_DEP_1)
	v_cvt_u32_f32_e32 v3, v3
	v_xor_b32_e32 v3, v3, v1
	s_delay_alu instid0(VALU_DEP_1)
	v_sub_nc_u32_e32 v10, v3, v1
.LBB103_1879:
	s_mov_b32 s9, 0
	s_mov_b32 s8, -1
.LBB103_1880:
	s_and_not1_b32 vcc_lo, exec_lo, s9
	s_mov_b32 s9, 0
	s_cbranch_vccnz .LBB103_1891
; %bb.1881:
	s_cmp_gt_i32 s6, 14
	s_cbranch_scc0 .LBB103_1884
; %bb.1882:
	s_cmp_eq_u32 s6, 15
	s_cbranch_scc0 .LBB103_1887
; %bb.1883:
	global_load_u16 v1, v[8:9], off
	s_mov_b32 s7, 0
	s_mov_b32 s8, -1
	s_wait_loadcnt 0x0
	v_lshlrev_b32_e32 v1, 16, v1
	s_delay_alu instid0(VALU_DEP_1) | instskip(NEXT) | instid1(VALU_DEP_1)
	v_trunc_f32_e32 v1, v1
	v_mul_f32_e64 v3, 0x2f800000, |v1|
	s_delay_alu instid0(VALU_DEP_1) | instskip(NEXT) | instid1(VALU_DEP_1)
	v_floor_f32_e32 v3, v3
	v_fma_f32 v3, 0xcf800000, v3, |v1|
	v_ashrrev_i32_e32 v1, 31, v1
	s_delay_alu instid0(VALU_DEP_2) | instskip(NEXT) | instid1(VALU_DEP_1)
	v_cvt_u32_f32_e32 v3, v3
	v_xor_b32_e32 v3, v3, v1
	s_delay_alu instid0(VALU_DEP_1)
	v_sub_nc_u32_e32 v10, v3, v1
	s_branch .LBB103_1889
.LBB103_1884:
	s_mov_b32 s9, -1
	s_branch .LBB103_1888
.LBB103_1885:
	s_and_not1_saveexec_b32 s8, s8
	s_cbranch_execz .LBB103_1866
.LBB103_1886:
	v_cmp_ne_u16_e32 vcc_lo, 0, v1
	s_and_not1_b32 s9, s9, exec_lo
	s_and_b32 s10, vcc_lo, exec_lo
	s_delay_alu instid0(SALU_CYCLE_1)
	s_or_b32 s9, s9, s10
	s_or_b32 exec_lo, exec_lo, s8
	v_mov_b32_e32 v10, 0
	s_and_saveexec_b32 s8, s9
	s_cbranch_execnz .LBB103_1867
	s_branch .LBB103_1868
.LBB103_1887:
	s_mov_b32 s7, -1
.LBB103_1888:
                                        ; implicit-def: $vgpr10
.LBB103_1889:
	s_and_b32 vcc_lo, exec_lo, s9
	s_mov_b32 s9, 0
	s_cbranch_vccz .LBB103_1891
; %bb.1890:
	s_cmp_lg_u32 s6, 11
	s_mov_b32 s9, -1
	s_cselect_b32 s6, -1, 0
	s_and_not1_b32 s7, s7, exec_lo
	s_and_b32 s6, s6, exec_lo
	s_delay_alu instid0(SALU_CYCLE_1)
	s_or_b32 s7, s7, s6
.LBB103_1891:
	s_mov_b32 s6, 0
.LBB103_1892:
	s_and_not1_b32 s10, s46, exec_lo
	s_and_b32 s7, s7, exec_lo
	s_and_b32 s8, s8, exec_lo
	;; [unrolled: 1-line block ×4, first 2 shown]
	s_or_b32 s46, s10, s7
	s_wait_xcnt 0x0
	s_or_b32 exec_lo, exec_lo, s0
	s_and_saveexec_b32 s0, s46
	s_cbranch_execz .LBB103_1825
.LBB103_1893:
	s_or_b32 s1, s1, exec_lo
	s_and_not1_b32 s9, s9, exec_lo
	s_trap 2
	s_or_b32 exec_lo, exec_lo, s0
	s_and_saveexec_b32 s0, s9
	s_delay_alu instid0(SALU_CYCLE_1)
	s_xor_b32 s0, exec_lo, s0
	s_cbranch_execnz .LBB103_1826
.LBB103_1894:
	s_or_b32 exec_lo, exec_lo, s0
	s_and_saveexec_b32 s0, s6
	s_cbranch_execz .LBB103_1940
.LBB103_1895:
	s_sext_i32_i16 s6, s21
	s_delay_alu instid0(SALU_CYCLE_1)
	s_cmp_lt_i32 s6, 5
	s_cbranch_scc1 .LBB103_1900
; %bb.1896:
	s_cmp_lt_i32 s6, 8
	s_cbranch_scc1 .LBB103_1901
; %bb.1897:
	;; [unrolled: 3-line block ×3, first 2 shown]
	s_cmp_gt_i32 s6, 9
	s_cbranch_scc0 .LBB103_1903
; %bb.1899:
	s_wait_loadcnt 0x0
	global_load_b64 v[6:7], v[8:9], off
	s_mov_b32 s6, 0
	s_wait_loadcnt 0x0
	v_trunc_f64_e32 v[6:7], v[6:7]
	s_delay_alu instid0(VALU_DEP_1) | instskip(NEXT) | instid1(VALU_DEP_1)
	v_ldexp_f64 v[10:11], v[6:7], 0xffffffe0
	v_floor_f64_e32 v[10:11], v[10:11]
	s_delay_alu instid0(VALU_DEP_1) | instskip(NEXT) | instid1(VALU_DEP_1)
	v_fmamk_f64 v[6:7], v[10:11], 0xc1f00000, v[6:7]
	v_cvt_u32_f64_e32 v10, v[6:7]
	s_branch .LBB103_1904
.LBB103_1900:
                                        ; implicit-def: $vgpr10
	s_branch .LBB103_1921
.LBB103_1901:
                                        ; implicit-def: $vgpr10
	s_branch .LBB103_1910
.LBB103_1902:
	s_mov_b32 s6, -1
                                        ; implicit-def: $vgpr10
	s_branch .LBB103_1907
.LBB103_1903:
	s_mov_b32 s6, -1
                                        ; implicit-def: $vgpr10
.LBB103_1904:
	s_delay_alu instid0(SALU_CYCLE_1)
	s_and_not1_b32 vcc_lo, exec_lo, s6
	s_cbranch_vccnz .LBB103_1906
; %bb.1905:
	s_wait_loadcnt 0x0
	global_load_b32 v1, v[8:9], off
	s_wait_loadcnt 0x0
	v_trunc_f32_e32 v1, v1
	s_delay_alu instid0(VALU_DEP_1) | instskip(NEXT) | instid1(VALU_DEP_1)
	v_mul_f32_e64 v3, 0x2f800000, |v1|
	v_floor_f32_e32 v3, v3
	s_delay_alu instid0(VALU_DEP_1) | instskip(SKIP_1) | instid1(VALU_DEP_2)
	v_fma_f32 v3, 0xcf800000, v3, |v1|
	v_ashrrev_i32_e32 v1, 31, v1
	v_cvt_u32_f32_e32 v3, v3
	s_delay_alu instid0(VALU_DEP_1) | instskip(NEXT) | instid1(VALU_DEP_1)
	v_xor_b32_e32 v3, v3, v1
	v_sub_nc_u32_e32 v10, v3, v1
.LBB103_1906:
	s_mov_b32 s6, 0
.LBB103_1907:
	s_delay_alu instid0(SALU_CYCLE_1)
	s_and_not1_b32 vcc_lo, exec_lo, s6
	s_cbranch_vccnz .LBB103_1909
; %bb.1908:
	s_wait_loadcnt 0x0
	global_load_b32 v1, v[8:9], off
	s_wait_loadcnt 0x0
	v_cvt_f32_f16_e32 v1, v1
	s_delay_alu instid0(VALU_DEP_1)
	v_cvt_i32_f32_e32 v10, v1
.LBB103_1909:
	s_cbranch_execnz .LBB103_1920
.LBB103_1910:
	s_sext_i32_i16 s6, s21
	s_delay_alu instid0(SALU_CYCLE_1)
	s_cmp_lt_i32 s6, 6
	s_cbranch_scc1 .LBB103_1913
; %bb.1911:
	s_cmp_gt_i32 s6, 6
	s_cbranch_scc0 .LBB103_1914
; %bb.1912:
	s_wait_loadcnt 0x0
	global_load_b64 v[6:7], v[8:9], off
	s_mov_b32 s6, 0
	s_wait_loadcnt 0x0
	v_trunc_f64_e32 v[6:7], v[6:7]
	s_delay_alu instid0(VALU_DEP_1) | instskip(NEXT) | instid1(VALU_DEP_1)
	v_ldexp_f64 v[10:11], v[6:7], 0xffffffe0
	v_floor_f64_e32 v[10:11], v[10:11]
	s_delay_alu instid0(VALU_DEP_1) | instskip(NEXT) | instid1(VALU_DEP_1)
	v_fmamk_f64 v[6:7], v[10:11], 0xc1f00000, v[6:7]
	v_cvt_u32_f64_e32 v10, v[6:7]
	s_branch .LBB103_1915
.LBB103_1913:
	s_mov_b32 s6, -1
                                        ; implicit-def: $vgpr10
	s_branch .LBB103_1918
.LBB103_1914:
	s_mov_b32 s6, -1
                                        ; implicit-def: $vgpr10
.LBB103_1915:
	s_delay_alu instid0(SALU_CYCLE_1)
	s_and_not1_b32 vcc_lo, exec_lo, s6
	s_cbranch_vccnz .LBB103_1917
; %bb.1916:
	s_wait_loadcnt 0x0
	global_load_b32 v1, v[8:9], off
	s_wait_loadcnt 0x0
	v_trunc_f32_e32 v1, v1
	s_delay_alu instid0(VALU_DEP_1) | instskip(NEXT) | instid1(VALU_DEP_1)
	v_mul_f32_e64 v3, 0x2f800000, |v1|
	v_floor_f32_e32 v3, v3
	s_delay_alu instid0(VALU_DEP_1) | instskip(SKIP_1) | instid1(VALU_DEP_2)
	v_fma_f32 v3, 0xcf800000, v3, |v1|
	v_ashrrev_i32_e32 v1, 31, v1
	v_cvt_u32_f32_e32 v3, v3
	s_delay_alu instid0(VALU_DEP_1) | instskip(NEXT) | instid1(VALU_DEP_1)
	v_xor_b32_e32 v3, v3, v1
	v_sub_nc_u32_e32 v10, v3, v1
.LBB103_1917:
	s_mov_b32 s6, 0
.LBB103_1918:
	s_delay_alu instid0(SALU_CYCLE_1)
	s_and_not1_b32 vcc_lo, exec_lo, s6
	s_cbranch_vccnz .LBB103_1920
; %bb.1919:
	s_wait_loadcnt 0x0
	global_load_u16 v1, v[8:9], off
	s_wait_loadcnt 0x0
	v_cvt_f32_f16_e32 v1, v1
	s_delay_alu instid0(VALU_DEP_1)
	v_cvt_i32_f32_e32 v10, v1
.LBB103_1920:
	s_cbranch_execnz .LBB103_1939
.LBB103_1921:
	s_sext_i32_i16 s6, s21
	s_delay_alu instid0(SALU_CYCLE_1)
	s_cmp_lt_i32 s6, 2
	s_cbranch_scc1 .LBB103_1925
; %bb.1922:
	s_cmp_lt_i32 s6, 3
	s_cbranch_scc1 .LBB103_1926
; %bb.1923:
	s_cmp_gt_i32 s6, 3
	s_cbranch_scc0 .LBB103_1927
; %bb.1924:
	s_wait_loadcnt 0x0
	global_load_b64 v[10:11], v[8:9], off
	s_mov_b32 s6, 0
	s_branch .LBB103_1928
.LBB103_1925:
                                        ; implicit-def: $vgpr10
	s_branch .LBB103_1934
.LBB103_1926:
	s_mov_b32 s6, -1
                                        ; implicit-def: $vgpr10
	s_branch .LBB103_1931
.LBB103_1927:
	s_mov_b32 s6, -1
                                        ; implicit-def: $vgpr10
.LBB103_1928:
	s_delay_alu instid0(SALU_CYCLE_1)
	s_and_not1_b32 vcc_lo, exec_lo, s6
	s_cbranch_vccnz .LBB103_1930
; %bb.1929:
	s_wait_loadcnt 0x0
	global_load_b32 v10, v[8:9], off
.LBB103_1930:
	s_mov_b32 s6, 0
.LBB103_1931:
	s_delay_alu instid0(SALU_CYCLE_1)
	s_and_not1_b32 vcc_lo, exec_lo, s6
	s_cbranch_vccnz .LBB103_1933
; %bb.1932:
	s_wait_loadcnt 0x0
	global_load_u16 v10, v[8:9], off
.LBB103_1933:
	s_cbranch_execnz .LBB103_1939
.LBB103_1934:
	s_sext_i32_i16 s6, s21
	s_delay_alu instid0(SALU_CYCLE_1)
	s_cmp_gt_i32 s6, 0
	s_mov_b32 s6, 0
	s_cbranch_scc0 .LBB103_1936
; %bb.1935:
	s_wait_loadcnt 0x0
	global_load_u8 v10, v[8:9], off
	s_branch .LBB103_1937
.LBB103_1936:
	s_mov_b32 s6, -1
                                        ; implicit-def: $vgpr10
.LBB103_1937:
	s_delay_alu instid0(SALU_CYCLE_1)
	s_and_not1_b32 vcc_lo, exec_lo, s6
	s_cbranch_vccnz .LBB103_1939
; %bb.1938:
	s_wait_loadcnt 0x0
	global_load_u8 v10, v[8:9], off
.LBB103_1939:
	s_or_b32 s8, s8, exec_lo
.LBB103_1940:
	s_wait_xcnt 0x0
	s_or_b32 exec_lo, exec_lo, s0
	s_mov_b32 s0, 0
	s_mov_b32 s9, 0
                                        ; implicit-def: $sgpr6
                                        ; implicit-def: $vgpr6_vgpr7
                                        ; implicit-def: $vgpr1
	s_and_saveexec_b32 s7, s8
	s_cbranch_execz .LBB103_1948
; %bb.1941:
	s_wait_loadcnt 0x0
	v_and_b32_e32 v0, 0xff, v0
	v_and_b32_e32 v1, 0xff, v4
	v_mov_b32_e32 v3, 0
	s_delay_alu instid0(VALU_DEP_4) | instskip(SKIP_1) | instid1(VALU_DEP_3)
	v_and_b32_e32 v4, 0xff, v10
	s_and_b32 s6, s38, 0xff
	v_max_u16 v0, v1, v0
	s_delay_alu instid0(VALU_DEP_3) | instskip(SKIP_1) | instid1(VALU_DEP_2)
	v_add_nc_u64_e32 v[6:7], s[4:5], v[2:3]
	s_cmp_lt_i32 s6, 11
	v_min_u16 v1, v0, v4
	s_cbranch_scc1 .LBB103_1951
; %bb.1942:
	s_and_b32 s4, 0xffff, s6
	s_mov_b32 s5, -1
	s_cmp_gt_i32 s4, 25
	s_mov_b32 s0, s42
	s_cbranch_scc0 .LBB103_1979
; %bb.1943:
	s_cmp_gt_i32 s4, 28
	s_mov_b32 s0, s42
	s_cbranch_scc0 .LBB103_1963
; %bb.1944:
	;; [unrolled: 4-line block ×4, first 2 shown]
	s_cmp_eq_u32 s4, 46
	s_mov_b32 s0, -1
	s_cbranch_scc0 .LBB103_1952
; %bb.1947:
	v_cvt_f32_ubyte0_e32 v0, v1
	s_mov_b32 s0, 0
	s_mov_b32 s5, 0
	s_delay_alu instid0(VALU_DEP_1) | instskip(NEXT) | instid1(VALU_DEP_1)
	v_bfe_u32 v2, v0, 16, 1
	v_add3_u32 v0, v0, v2, 0x7fff
	s_delay_alu instid0(VALU_DEP_1)
	v_lshrrev_b32_e32 v0, 16, v0
	global_store_b32 v[6:7], v0, off
	s_branch .LBB103_1953
.LBB103_1948:
	s_or_b32 exec_lo, exec_lo, s7
	s_and_saveexec_b32 s4, s42
	s_cbranch_execnz .LBB103_2021
.LBB103_1949:
	s_or_b32 exec_lo, exec_lo, s4
	s_and_saveexec_b32 s4, s0
	s_delay_alu instid0(SALU_CYCLE_1)
	s_xor_b32 s0, exec_lo, s4
	s_cbranch_execz .LBB103_2022
.LBB103_1950:
	s_wait_loadcnt 0x0
	v_and_b32_e32 v0, 0xff, v1
	s_delay_alu instid0(VALU_DEP_1)
	v_cmp_ne_u16_e32 vcc_lo, 0, v0
	v_cndmask_b32_e64 v0, 0, 1, vcc_lo
	global_store_b8 v[6:7], v0, off
	s_wait_xcnt 0x0
	s_or_b32 exec_lo, exec_lo, s0
	s_and_saveexec_b32 s0, s9
	s_delay_alu instid0(SALU_CYCLE_1)
	s_xor_b32 s0, exec_lo, s0
	s_cbranch_execz .LBB103_2060
	s_branch .LBB103_2023
.LBB103_1951:
	s_mov_b32 s8, 0
	s_mov_b32 s5, -1
	s_mov_b32 s0, s42
	s_branch .LBB103_2020
.LBB103_1952:
	s_mov_b32 s5, 0
.LBB103_1953:
	s_delay_alu instid0(SALU_CYCLE_1)
	s_and_b32 vcc_lo, exec_lo, s5
	s_cbranch_vccz .LBB103_1958
; %bb.1954:
	s_cmp_eq_u32 s4, 44
	s_mov_b32 s0, -1
	s_cbranch_scc0 .LBB103_1958
; %bb.1955:
	v_cvt_f32_ubyte0_e32 v3, v1
	v_mov_b32_e32 v2, 0xff
	s_mov_b32 s5, exec_lo
	s_wait_xcnt 0x0
	s_delay_alu instid0(VALU_DEP_2) | instskip(NEXT) | instid1(VALU_DEP_1)
	v_lshrrev_b32_e32 v0, 23, v3
	v_cmpx_ne_u32_e32 0xff, v0
; %bb.1956:
	v_and_b32_e32 v2, 0x400000, v3
	v_and_or_b32 v3, 0x3fffff, v3, v0
	s_delay_alu instid0(VALU_DEP_2) | instskip(NEXT) | instid1(VALU_DEP_2)
	v_cmp_ne_u32_e32 vcc_lo, 0, v2
	v_cmp_ne_u32_e64 s0, 0, v3
	s_and_b32 s0, vcc_lo, s0
	s_delay_alu instid0(SALU_CYCLE_1) | instskip(NEXT) | instid1(VALU_DEP_1)
	v_cndmask_b32_e64 v2, 0, 1, s0
	v_add_nc_u32_e32 v2, v0, v2
; %bb.1957:
	s_or_b32 exec_lo, exec_lo, s5
	s_mov_b32 s0, 0
	global_store_b8 v[6:7], v2, off
.LBB103_1958:
	s_mov_b32 s5, 0
.LBB103_1959:
	s_delay_alu instid0(SALU_CYCLE_1)
	s_and_b32 vcc_lo, exec_lo, s5
	s_cbranch_vccz .LBB103_1962
; %bb.1960:
	s_cmp_eq_u32 s4, 29
	s_mov_b32 s0, -1
	s_cbranch_scc0 .LBB103_1962
; %bb.1961:
	s_mov_b32 s0, 0
	s_wait_xcnt 0x0
	v_and_b32_e32 v2, 0xffff, v1
	v_mov_b32_e32 v3, s0
	s_mov_b32 s5, 0
	global_store_b64 v[6:7], v[2:3], off
	s_branch .LBB103_1963
.LBB103_1962:
	s_mov_b32 s5, 0
.LBB103_1963:
	s_delay_alu instid0(SALU_CYCLE_1)
	s_and_b32 vcc_lo, exec_lo, s5
	s_cbranch_vccz .LBB103_1978
; %bb.1964:
	s_cmp_lt_i32 s4, 27
	s_mov_b32 s5, -1
	s_cbranch_scc1 .LBB103_1970
; %bb.1965:
	s_cmp_gt_i32 s4, 27
	s_cbranch_scc0 .LBB103_1967
; %bb.1966:
	s_wait_xcnt 0x0
	v_and_b32_e32 v0, 0xffff, v1
	s_mov_b32 s5, 0
	global_store_b32 v[6:7], v0, off
.LBB103_1967:
	s_and_not1_b32 vcc_lo, exec_lo, s5
	s_cbranch_vccnz .LBB103_1969
; %bb.1968:
	global_store_b16 v[6:7], v1, off
.LBB103_1969:
	s_mov_b32 s5, 0
.LBB103_1970:
	s_delay_alu instid0(SALU_CYCLE_1)
	s_and_not1_b32 vcc_lo, exec_lo, s5
	s_cbranch_vccnz .LBB103_1978
; %bb.1971:
	s_wait_xcnt 0x0
	v_cvt_f32_ubyte0_e32 v2, v1
	v_mov_b32_e32 v3, 0x80
	s_mov_b32 s5, exec_lo
	s_delay_alu instid0(VALU_DEP_2)
	v_cmpx_gt_u32_e32 0x43800000, v2
	s_cbranch_execz .LBB103_1977
; %bb.1972:
	s_mov_b32 s8, 0
	s_mov_b32 s9, exec_lo
                                        ; implicit-def: $vgpr0
	v_cmpx_lt_u32_e32 0x3bffffff, v2
	s_xor_b32 s9, exec_lo, s9
	s_cbranch_execz .LBB103_2119
; %bb.1973:
	v_bfe_u32 v0, v2, 20, 1
	s_mov_b32 s8, exec_lo
	s_delay_alu instid0(VALU_DEP_1) | instskip(NEXT) | instid1(VALU_DEP_1)
	v_add3_u32 v0, v2, v0, 0x487ffff
                                        ; implicit-def: $vgpr2
	v_lshrrev_b32_e32 v0, 20, v0
	s_and_not1_saveexec_b32 s9, s9
	s_cbranch_execnz .LBB103_2120
.LBB103_1974:
	s_or_b32 exec_lo, exec_lo, s9
	v_mov_b32_e32 v3, 0
	s_and_saveexec_b32 s9, s8
.LBB103_1975:
	v_mov_b32_e32 v3, v0
.LBB103_1976:
	s_or_b32 exec_lo, exec_lo, s9
.LBB103_1977:
	s_delay_alu instid0(SALU_CYCLE_1)
	s_or_b32 exec_lo, exec_lo, s5
	global_store_b8 v[6:7], v3, off
.LBB103_1978:
	s_mov_b32 s5, 0
.LBB103_1979:
	s_delay_alu instid0(SALU_CYCLE_1)
	s_and_b32 vcc_lo, exec_lo, s5
	s_mov_b32 s5, 0
	s_cbranch_vccz .LBB103_2019
; %bb.1980:
	s_cmp_gt_i32 s4, 22
	s_mov_b32 s8, -1
	s_cbranch_scc0 .LBB103_2012
; %bb.1981:
	s_cmp_lt_i32 s4, 24
	s_cbranch_scc1 .LBB103_2001
; %bb.1982:
	s_cmp_gt_i32 s4, 24
	s_cbranch_scc0 .LBB103_1990
; %bb.1983:
	s_wait_xcnt 0x0
	v_cvt_f32_ubyte0_e32 v2, v1
	v_mov_b32_e32 v3, 0x80
	s_mov_b32 s8, exec_lo
	s_delay_alu instid0(VALU_DEP_2)
	v_cmpx_gt_u32_e32 0x47800000, v2
	s_cbranch_execz .LBB103_1989
; %bb.1984:
	s_mov_b32 s9, 0
	s_mov_b32 s10, exec_lo
                                        ; implicit-def: $vgpr0
	v_cmpx_lt_u32_e32 0x37ffffff, v2
	s_xor_b32 s10, exec_lo, s10
	s_cbranch_execz .LBB103_2240
; %bb.1985:
	v_bfe_u32 v0, v2, 21, 1
	s_mov_b32 s9, exec_lo
	s_delay_alu instid0(VALU_DEP_1) | instskip(NEXT) | instid1(VALU_DEP_1)
	v_add3_u32 v0, v2, v0, 0x88fffff
                                        ; implicit-def: $vgpr2
	v_lshrrev_b32_e32 v0, 21, v0
	s_and_not1_saveexec_b32 s10, s10
	s_cbranch_execnz .LBB103_2241
.LBB103_1986:
	s_or_b32 exec_lo, exec_lo, s10
	v_mov_b32_e32 v3, 0
	s_and_saveexec_b32 s10, s9
.LBB103_1987:
	v_mov_b32_e32 v3, v0
.LBB103_1988:
	s_or_b32 exec_lo, exec_lo, s10
.LBB103_1989:
	s_delay_alu instid0(SALU_CYCLE_1)
	s_or_b32 exec_lo, exec_lo, s8
	s_mov_b32 s8, 0
	global_store_b8 v[6:7], v3, off
.LBB103_1990:
	s_and_b32 vcc_lo, exec_lo, s8
	s_cbranch_vccz .LBB103_2000
; %bb.1991:
	s_wait_xcnt 0x0
	v_cvt_f32_ubyte0_e32 v2, v1
	s_mov_b32 s8, exec_lo
                                        ; implicit-def: $vgpr0
	s_delay_alu instid0(VALU_DEP_1)
	v_cmpx_gt_u32_e32 0x43f00000, v2
	s_xor_b32 s8, exec_lo, s8
	s_cbranch_execz .LBB103_1997
; %bb.1992:
	s_mov_b32 s9, exec_lo
                                        ; implicit-def: $vgpr0
	v_cmpx_lt_u32_e32 0x3c7fffff, v2
	s_xor_b32 s9, exec_lo, s9
; %bb.1993:
	v_bfe_u32 v0, v2, 20, 1
	s_delay_alu instid0(VALU_DEP_1) | instskip(NEXT) | instid1(VALU_DEP_1)
	v_add3_u32 v0, v2, v0, 0x407ffff
	v_and_b32_e32 v2, 0xff00000, v0
	v_lshrrev_b32_e32 v0, 20, v0
	s_delay_alu instid0(VALU_DEP_2) | instskip(NEXT) | instid1(VALU_DEP_2)
	v_cmp_ne_u32_e32 vcc_lo, 0x7f00000, v2
                                        ; implicit-def: $vgpr2
	v_cndmask_b32_e32 v0, 0x7e, v0, vcc_lo
; %bb.1994:
	s_and_not1_saveexec_b32 s9, s9
; %bb.1995:
	v_add_f32_e32 v0, 0x46800000, v2
; %bb.1996:
	s_or_b32 exec_lo, exec_lo, s9
                                        ; implicit-def: $vgpr2
.LBB103_1997:
	s_and_not1_saveexec_b32 s8, s8
; %bb.1998:
	v_mov_b32_e32 v0, 0x7f
	v_cmp_lt_u32_e32 vcc_lo, 0x7f800000, v2
	s_delay_alu instid0(VALU_DEP_2)
	v_cndmask_b32_e32 v0, 0x7e, v0, vcc_lo
; %bb.1999:
	s_or_b32 exec_lo, exec_lo, s8
	global_store_b8 v[6:7], v0, off
.LBB103_2000:
	s_mov_b32 s8, 0
.LBB103_2001:
	s_delay_alu instid0(SALU_CYCLE_1)
	s_and_not1_b32 vcc_lo, exec_lo, s8
	s_cbranch_vccnz .LBB103_2011
; %bb.2002:
	s_wait_xcnt 0x0
	v_cvt_f32_ubyte0_e32 v2, v1
	s_mov_b32 s8, exec_lo
                                        ; implicit-def: $vgpr0
	s_delay_alu instid0(VALU_DEP_1)
	v_cmpx_gt_u32_e32 0x47800000, v2
	s_xor_b32 s8, exec_lo, s8
	s_cbranch_execz .LBB103_2008
; %bb.2003:
	s_mov_b32 s9, exec_lo
                                        ; implicit-def: $vgpr0
	v_cmpx_lt_u32_e32 0x387fffff, v2
	s_xor_b32 s9, exec_lo, s9
; %bb.2004:
	v_bfe_u32 v0, v2, 21, 1
	s_delay_alu instid0(VALU_DEP_1) | instskip(NEXT) | instid1(VALU_DEP_1)
	v_add3_u32 v0, v2, v0, 0x80fffff
                                        ; implicit-def: $vgpr2
	v_lshrrev_b32_e32 v0, 21, v0
; %bb.2005:
	s_and_not1_saveexec_b32 s9, s9
; %bb.2006:
	v_add_f32_e32 v0, 0x43000000, v2
; %bb.2007:
	s_or_b32 exec_lo, exec_lo, s9
                                        ; implicit-def: $vgpr2
.LBB103_2008:
	s_and_not1_saveexec_b32 s8, s8
; %bb.2009:
	v_mov_b32_e32 v0, 0x7f
	v_cmp_lt_u32_e32 vcc_lo, 0x7f800000, v2
	s_delay_alu instid0(VALU_DEP_2)
	v_cndmask_b32_e32 v0, 0x7c, v0, vcc_lo
; %bb.2010:
	s_or_b32 exec_lo, exec_lo, s8
	global_store_b8 v[6:7], v0, off
.LBB103_2011:
	s_mov_b32 s8, 0
.LBB103_2012:
	s_delay_alu instid0(SALU_CYCLE_1)
	s_and_not1_b32 vcc_lo, exec_lo, s8
	s_mov_b32 s8, 0
	s_cbranch_vccnz .LBB103_2020
; %bb.2013:
	s_cmp_gt_i32 s4, 14
	s_mov_b32 s8, -1
	s_cbranch_scc0 .LBB103_2017
; %bb.2014:
	s_cmp_eq_u32 s4, 15
	s_mov_b32 s0, -1
	s_cbranch_scc0 .LBB103_2016
; %bb.2015:
	s_wait_xcnt 0x0
	v_cvt_f32_ubyte0_e32 v0, v1
	s_mov_b32 s0, 0
	s_delay_alu instid0(VALU_DEP_1) | instskip(NEXT) | instid1(VALU_DEP_1)
	v_bfe_u32 v2, v0, 16, 1
	v_add3_u32 v0, v0, v2, 0x7fff
	global_store_d16_hi_b16 v[6:7], v0, off
.LBB103_2016:
	s_mov_b32 s8, 0
.LBB103_2017:
	s_delay_alu instid0(SALU_CYCLE_1)
	s_and_b32 vcc_lo, exec_lo, s8
	s_mov_b32 s8, 0
	s_cbranch_vccz .LBB103_2020
; %bb.2018:
	s_cmp_lg_u32 s4, 11
	s_mov_b32 s8, -1
	s_cselect_b32 s4, -1, 0
	s_and_not1_b32 s0, s0, exec_lo
	s_and_b32 s4, s4, exec_lo
	s_delay_alu instid0(SALU_CYCLE_1)
	s_or_b32 s0, s0, s4
	s_branch .LBB103_2020
.LBB103_2019:
	s_mov_b32 s8, 0
.LBB103_2020:
	s_and_b32 s9, s5, exec_lo
	s_and_not1_b32 s4, s42, exec_lo
	s_and_b32 s5, s0, exec_lo
	s_and_b32 s0, s8, exec_lo
	s_or_b32 s42, s4, s5
	s_wait_xcnt 0x0
	s_or_b32 exec_lo, exec_lo, s7
	s_and_saveexec_b32 s4, s42
	s_cbranch_execz .LBB103_1949
.LBB103_2021:
	s_or_b32 s1, s1, exec_lo
	s_and_not1_b32 s0, s0, exec_lo
	s_trap 2
	s_or_b32 exec_lo, exec_lo, s4
	s_and_saveexec_b32 s4, s0
	s_delay_alu instid0(SALU_CYCLE_1)
	s_xor_b32 s0, exec_lo, s4
	s_cbranch_execnz .LBB103_1950
.LBB103_2022:
	s_or_b32 exec_lo, exec_lo, s0
	s_and_saveexec_b32 s0, s9
	s_delay_alu instid0(SALU_CYCLE_1)
	s_xor_b32 s0, exec_lo, s0
	s_cbranch_execz .LBB103_2060
.LBB103_2023:
	s_sext_i32_i16 s5, s6
	s_mov_b32 s4, -1
	s_cmp_lt_i32 s5, 5
	s_cbranch_scc1 .LBB103_2044
; %bb.2024:
	s_cmp_lt_i32 s5, 8
	s_cbranch_scc1 .LBB103_2034
; %bb.2025:
	;; [unrolled: 3-line block ×3, first 2 shown]
	s_cmp_gt_i32 s5, 9
	s_cbranch_scc0 .LBB103_2028
; %bb.2027:
	s_wait_loadcnt 0x0
	v_and_b32_e32 v0, 0xff, v1
	v_mov_b32_e32 v4, 0
	s_mov_b32 s4, 0
	s_delay_alu instid0(VALU_DEP_2) | instskip(NEXT) | instid1(VALU_DEP_2)
	v_and_b32_e32 v0, 0xffff, v0
	v_mov_b32_e32 v5, v4
	s_delay_alu instid0(VALU_DEP_2)
	v_cvt_f64_u32_e32 v[2:3], v0
	global_store_b128 v[6:7], v[2:5], off
.LBB103_2028:
	s_and_not1_b32 vcc_lo, exec_lo, s4
	s_cbranch_vccnz .LBB103_2030
; %bb.2029:
	s_wait_loadcnt 0x0
	v_cvt_f32_ubyte0_e32 v2, v1
	v_mov_b32_e32 v3, 0
	global_store_b64 v[6:7], v[2:3], off
.LBB103_2030:
	s_mov_b32 s4, 0
.LBB103_2031:
	s_delay_alu instid0(SALU_CYCLE_1)
	s_and_not1_b32 vcc_lo, exec_lo, s4
	s_cbranch_vccnz .LBB103_2033
; %bb.2032:
	s_wait_loadcnt 0x0
	v_and_b32_e32 v0, 0xff, v1
	s_delay_alu instid0(VALU_DEP_1) | instskip(NEXT) | instid1(VALU_DEP_1)
	v_cvt_f16_u16_e32 v0, v0
	v_and_b32_e32 v0, 0xffff, v0
	global_store_b32 v[6:7], v0, off
.LBB103_2033:
	s_mov_b32 s4, 0
.LBB103_2034:
	s_delay_alu instid0(SALU_CYCLE_1)
	s_and_not1_b32 vcc_lo, exec_lo, s4
	s_cbranch_vccnz .LBB103_2043
; %bb.2035:
	s_sext_i32_i16 s5, s6
	s_mov_b32 s4, -1
	s_cmp_lt_i32 s5, 6
	s_cbranch_scc1 .LBB103_2041
; %bb.2036:
	s_cmp_gt_i32 s5, 6
	s_cbranch_scc0 .LBB103_2038
; %bb.2037:
	s_wait_loadcnt 0x0
	v_and_b32_e32 v0, 0xff, v1
	s_mov_b32 s4, 0
	s_delay_alu instid0(VALU_DEP_1) | instskip(NEXT) | instid1(VALU_DEP_1)
	v_and_b32_e32 v0, 0xffff, v0
	v_cvt_f64_u32_e32 v[2:3], v0
	global_store_b64 v[6:7], v[2:3], off
.LBB103_2038:
	s_and_not1_b32 vcc_lo, exec_lo, s4
	s_cbranch_vccnz .LBB103_2040
; %bb.2039:
	s_wait_loadcnt 0x0
	v_cvt_f32_ubyte0_e32 v0, v1
	global_store_b32 v[6:7], v0, off
.LBB103_2040:
	s_mov_b32 s4, 0
.LBB103_2041:
	s_delay_alu instid0(SALU_CYCLE_1)
	s_and_not1_b32 vcc_lo, exec_lo, s4
	s_cbranch_vccnz .LBB103_2043
; %bb.2042:
	s_wait_loadcnt 0x0
	v_and_b32_e32 v0, 0xff, v1
	s_delay_alu instid0(VALU_DEP_1)
	v_cvt_f16_u16_e32 v0, v0
	global_store_b16 v[6:7], v0, off
.LBB103_2043:
	s_mov_b32 s4, 0
.LBB103_2044:
	s_delay_alu instid0(SALU_CYCLE_1)
	s_and_not1_b32 vcc_lo, exec_lo, s4
	s_cbranch_vccnz .LBB103_2060
; %bb.2045:
	s_sext_i32_i16 s5, s6
	s_mov_b32 s4, -1
	s_cmp_lt_i32 s5, 2
	s_cbranch_scc1 .LBB103_2055
; %bb.2046:
	s_cmp_lt_i32 s5, 3
	s_cbranch_scc1 .LBB103_2052
; %bb.2047:
	s_cmp_gt_i32 s5, 3
	s_cbranch_scc0 .LBB103_2049
; %bb.2048:
	s_wait_loadcnt 0x0
	v_and_b32_e32 v2, 0xff, v1
	v_mov_b32_e32 v3, 0
	s_mov_b32 s4, 0
	global_store_b64 v[6:7], v[2:3], off
.LBB103_2049:
	s_and_not1_b32 vcc_lo, exec_lo, s4
	s_cbranch_vccnz .LBB103_2051
; %bb.2050:
	s_wait_loadcnt 0x0
	v_and_b32_e32 v0, 0xff, v1
	global_store_b32 v[6:7], v0, off
.LBB103_2051:
	s_mov_b32 s4, 0
.LBB103_2052:
	s_delay_alu instid0(SALU_CYCLE_1)
	s_and_not1_b32 vcc_lo, exec_lo, s4
	s_cbranch_vccnz .LBB103_2054
; %bb.2053:
	s_wait_loadcnt 0x0
	v_and_b32_e32 v0, 0xff, v1
	global_store_b16 v[6:7], v0, off
.LBB103_2054:
	s_mov_b32 s4, 0
.LBB103_2055:
	s_delay_alu instid0(SALU_CYCLE_1)
	s_and_not1_b32 vcc_lo, exec_lo, s4
	s_cbranch_vccnz .LBB103_2060
; %bb.2056:
	s_sext_i32_i16 s4, s6
	s_delay_alu instid0(SALU_CYCLE_1)
	s_cmp_gt_i32 s4, 0
	s_mov_b32 s4, -1
	s_cbranch_scc0 .LBB103_2058
; %bb.2057:
	s_mov_b32 s4, 0
	s_wait_loadcnt 0x0
	global_store_b8 v[6:7], v1, off
.LBB103_2058:
	s_and_not1_b32 vcc_lo, exec_lo, s4
	s_cbranch_vccnz .LBB103_2060
; %bb.2059:
	s_wait_loadcnt 0x0
	global_store_b8 v[6:7], v1, off
.LBB103_2060:
	s_wait_xcnt 0x0
	s_or_b32 exec_lo, exec_lo, s0
	s_delay_alu instid0(SALU_CYCLE_1)
	s_and_b32 s10, s1, exec_lo
                                        ; implicit-def: $vgpr5
                                        ; implicit-def: $vgpr0
.LBB103_2061:
	s_or_saveexec_b32 s11, s37
	s_mov_b32 s0, 0
                                        ; implicit-def: $vgpr2_vgpr3
                                        ; implicit-def: $sgpr1
                                        ; implicit-def: $vgpr1
	s_xor_b32 exec_lo, exec_lo, s11
	s_cbranch_execz .LBB103_4060
; %bb.2062:
	s_wait_loadcnt 0x0
	v_cndmask_b32_e64 v1, 0, 1, s36
	s_and_not1_b32 vcc_lo, exec_lo, s36
	s_cbranch_vccnz .LBB103_2068
; %bb.2063:
	s_cmp_lg_u32 s33, 0
	s_mov_b32 s6, 0
	s_cbranch_scc0 .LBB103_2072
; %bb.2064:
	s_min_u32 s7, s34, 15
	v_dual_mov_b32 v12, 0 :: v_dual_mov_b32 v2, v0
	v_dual_mov_b32 v16, 0 :: v_dual_mov_b32 v6, 0
	v_mov_b32_e32 v8, 0
	s_add_co_i32 s4, s7, 1
	s_mov_b64 s[0:1], 0xffffffffffffffe0
	s_and_b32 s8, s4, 30
	s_add_nc_u64 s[0:1], s[2:3], s[0:1]
	s_mov_b64 s[4:5], s[2:3]
.LBB103_2065:                           ; =>This Inner Loop Header: Depth=1
	s_clause 0x1
	s_load_b128 s[20:23], s[4:5], 0x4
	s_load_b64 s[24:25], s[4:5], 0x14
	s_load_b256 s[12:19], s[0:1], 0xe4
	s_add_co_i32 s8, s8, -2
	s_wait_xcnt 0x0
	s_add_nc_u64 s[4:5], s[4:5], 24
	s_cmp_lg_u32 s8, 0
	s_add_nc_u64 s[0:1], s[0:1], 32
	s_wait_kmcnt 0x0
	v_mul_hi_u32 v3, s21, v2
	s_delay_alu instid0(VALU_DEP_1) | instskip(NEXT) | instid1(VALU_DEP_1)
	v_add_nc_u32_e32 v3, v2, v3
	v_lshrrev_b32_e32 v3, s22, v3
	s_delay_alu instid0(VALU_DEP_1) | instskip(SKIP_1) | instid1(VALU_DEP_1)
	v_mul_hi_u32 v4, s24, v3
	v_mul_lo_u32 v7, v3, s20
	v_dual_add_nc_u32 v4, v3, v4 :: v_dual_sub_nc_u32 v7, v2, v7
	s_delay_alu instid0(VALU_DEP_1) | instskip(NEXT) | instid1(VALU_DEP_2)
	v_lshrrev_b32_e32 v2, s25, v4
	v_mad_u32 v8, v7, s13, v8
	v_mad_u32 v6, v7, s12, v6
	;; [unrolled: 1-line block ×4, first 2 shown]
	v_mul_lo_u32 v4, v2, s23
	s_delay_alu instid0(VALU_DEP_1) | instskip(NEXT) | instid1(VALU_DEP_1)
	v_sub_nc_u32_e32 v3, v3, v4
	v_mad_u32 v8, v3, s17, v8
	v_mad_u32 v6, v3, s16, v6
	;; [unrolled: 1-line block ×4, first 2 shown]
	s_cbranch_scc1 .LBB103_2065
; %bb.2066:
	s_bitcmp1_b32 s7, 0
	s_cselect_b32 s7, -1, 0
	s_delay_alu instid0(SALU_CYCLE_1)
	s_and_b32 vcc_lo, exec_lo, s7
	s_cbranch_vccnz .LBB103_2069
; %bb.2067:
	s_load_b96 s[16:18], s[4:5], 0x4
	s_load_b128 s[12:15], s[0:1], 0xe4
	s_wait_kmcnt 0x0
	v_mul_hi_u32 v3, s17, v2
	s_delay_alu instid0(VALU_DEP_1) | instskip(NEXT) | instid1(VALU_DEP_1)
	v_add_nc_u32_e32 v3, v2, v3
	v_lshrrev_b32_e32 v3, s18, v3
	s_delay_alu instid0(VALU_DEP_1) | instskip(NEXT) | instid1(VALU_DEP_1)
	v_mul_lo_u32 v3, v3, s16
	v_sub_nc_u32_e32 v2, v2, v3
	s_delay_alu instid0(VALU_DEP_1)
	v_mad_u32 v6, v2, s12, v6
	v_mad_u32 v8, v2, s13, v8
	;; [unrolled: 1-line block ×4, first 2 shown]
	s_and_not1_b32 vcc_lo, exec_lo, s6
	s_cbranch_vccz .LBB103_2070
	s_branch .LBB103_2073
.LBB103_2068:
	s_mov_b32 s6, -1
                                        ; implicit-def: $vgpr8
                                        ; implicit-def: $vgpr6
                                        ; implicit-def: $vgpr16
                                        ; implicit-def: $vgpr12
.LBB103_2069:
	s_delay_alu instid0(SALU_CYCLE_1)
	s_and_not1_b32 vcc_lo, exec_lo, s6
	s_cbranch_vccnz .LBB103_2073
.LBB103_2070:
	s_clause 0x1
	s_load_b96 s[12:14], s[2:3], 0x4
	s_load_b128 s[4:7], s[2:3], 0xc4
	s_cmp_lt_u32 s33, 2
	s_wait_kmcnt 0x0
	v_mul_hi_u32 v2, s13, v0
	s_delay_alu instid0(VALU_DEP_1) | instskip(NEXT) | instid1(VALU_DEP_1)
	v_add_nc_u32_e32 v2, v0, v2
	v_lshrrev_b32_e32 v2, s14, v2
	s_delay_alu instid0(VALU_DEP_1) | instskip(NEXT) | instid1(VALU_DEP_1)
	v_mul_lo_u32 v3, v2, s12
	v_sub_nc_u32_e32 v3, v0, v3
	s_delay_alu instid0(VALU_DEP_1)
	v_mul_lo_u32 v8, v3, s5
	v_mul_lo_u32 v6, v3, s4
	;; [unrolled: 1-line block ×4, first 2 shown]
	s_cbranch_scc1 .LBB103_2073
; %bb.2071:
	s_clause 0x1
	s_load_b96 s[12:14], s[2:3], 0x10
	s_load_b128 s[4:7], s[2:3], 0xd4
	s_wait_kmcnt 0x0
	v_mul_hi_u32 v3, s13, v2
	s_delay_alu instid0(VALU_DEP_1) | instskip(NEXT) | instid1(VALU_DEP_1)
	v_add_nc_u32_e32 v3, v2, v3
	v_lshrrev_b32_e32 v3, s14, v3
	s_delay_alu instid0(VALU_DEP_1) | instskip(NEXT) | instid1(VALU_DEP_1)
	v_mul_lo_u32 v3, v3, s12
	v_sub_nc_u32_e32 v2, v2, v3
	s_delay_alu instid0(VALU_DEP_1)
	v_mad_u32 v6, v2, s4, v6
	v_mad_u32 v8, v2, s5, v8
	;; [unrolled: 1-line block ×4, first 2 shown]
	s_branch .LBB103_2073
.LBB103_2072:
	v_dual_mov_b32 v8, 0 :: v_dual_mov_b32 v6, 0
	v_dual_mov_b32 v16, 0 :: v_dual_mov_b32 v12, 0
	s_and_not1_b32 vcc_lo, exec_lo, s6
	s_cbranch_vccz .LBB103_2070
.LBB103_2073:
	v_cmp_ne_u32_e32 vcc_lo, 1, v1
	v_add_nc_u32_e32 v2, 0x80, v0
	s_cbranch_vccnz .LBB103_2079
; %bb.2074:
	s_cmp_lg_u32 s33, 0
	s_mov_b32 s6, 0
	s_cbranch_scc0 .LBB103_2083
; %bb.2075:
	s_min_u32 s7, s34, 15
	v_dual_mov_b32 v22, 0 :: v_dual_mov_b32 v3, v2
	v_dual_mov_b32 v26, 0 :: v_dual_mov_b32 v4, 0
	v_mov_b32_e32 v18, 0
	s_add_co_i32 s4, s7, 1
	s_mov_b64 s[0:1], 0xffffffffffffffe0
	s_and_b32 s8, s4, 30
	s_add_nc_u64 s[0:1], s[2:3], s[0:1]
	s_mov_b64 s[4:5], s[2:3]
.LBB103_2076:                           ; =>This Inner Loop Header: Depth=1
	s_clause 0x1
	s_load_b128 s[20:23], s[4:5], 0x4
	s_load_b64 s[24:25], s[4:5], 0x14
	s_load_b256 s[12:19], s[0:1], 0xe4
	s_add_co_i32 s8, s8, -2
	s_wait_xcnt 0x0
	s_add_nc_u64 s[4:5], s[4:5], 24
	s_cmp_lg_u32 s8, 0
	s_add_nc_u64 s[0:1], s[0:1], 32
	s_wait_kmcnt 0x0
	v_mul_hi_u32 v7, s21, v3
	s_delay_alu instid0(VALU_DEP_1) | instskip(NEXT) | instid1(VALU_DEP_1)
	v_add_nc_u32_e32 v7, v3, v7
	v_lshrrev_b32_e32 v7, s22, v7
	s_delay_alu instid0(VALU_DEP_1) | instskip(SKIP_1) | instid1(VALU_DEP_2)
	v_mul_hi_u32 v9, s24, v7
	v_mul_lo_u32 v10, v7, s20
	v_add_nc_u32_e32 v9, v7, v9
	s_delay_alu instid0(VALU_DEP_1) | instskip(NEXT) | instid1(VALU_DEP_1)
	v_dual_sub_nc_u32 v10, v3, v10 :: v_dual_lshrrev_b32 v3, s25, v9
	v_mad_u32 v11, v10, s13, v18
	v_mad_u32 v4, v10, s12, v4
	v_mad_u32 v13, v10, s15, v26
	v_mad_u32 v10, v10, s14, v22
	v_mul_lo_u32 v9, v3, s23
	s_delay_alu instid0(VALU_DEP_1) | instskip(NEXT) | instid1(VALU_DEP_1)
	v_sub_nc_u32_e32 v7, v7, v9
	v_mad_u32 v18, v7, s17, v11
	v_mad_u32 v4, v7, s16, v4
	;; [unrolled: 1-line block ×4, first 2 shown]
	s_cbranch_scc1 .LBB103_2076
; %bb.2077:
	s_bitcmp1_b32 s7, 0
	s_cselect_b32 s7, -1, 0
	s_delay_alu instid0(SALU_CYCLE_1)
	s_and_b32 vcc_lo, exec_lo, s7
	s_cbranch_vccnz .LBB103_2080
; %bb.2078:
	s_load_b96 s[16:18], s[4:5], 0x4
	s_load_b128 s[12:15], s[0:1], 0xe4
	s_wait_kmcnt 0x0
	v_mul_hi_u32 v7, s17, v3
	s_delay_alu instid0(VALU_DEP_1) | instskip(NEXT) | instid1(VALU_DEP_1)
	v_add_nc_u32_e32 v7, v3, v7
	v_lshrrev_b32_e32 v7, s18, v7
	s_delay_alu instid0(VALU_DEP_1) | instskip(NEXT) | instid1(VALU_DEP_1)
	v_mul_lo_u32 v7, v7, s16
	v_sub_nc_u32_e32 v3, v3, v7
	s_delay_alu instid0(VALU_DEP_1)
	v_mad_u32 v4, v3, s12, v4
	v_mad_u32 v18, v3, s13, v18
	;; [unrolled: 1-line block ×4, first 2 shown]
	s_and_not1_b32 vcc_lo, exec_lo, s6
	s_cbranch_vccz .LBB103_2081
	s_branch .LBB103_2084
.LBB103_2079:
	s_mov_b32 s6, -1
                                        ; implicit-def: $vgpr18
                                        ; implicit-def: $vgpr4
                                        ; implicit-def: $vgpr26
                                        ; implicit-def: $vgpr22
.LBB103_2080:
	s_delay_alu instid0(SALU_CYCLE_1)
	s_and_not1_b32 vcc_lo, exec_lo, s6
	s_cbranch_vccnz .LBB103_2084
.LBB103_2081:
	s_clause 0x1
	s_load_b96 s[12:14], s[2:3], 0x4
	s_load_b128 s[4:7], s[2:3], 0xc4
	s_cmp_lt_u32 s33, 2
	s_wait_kmcnt 0x0
	v_mul_hi_u32 v3, s13, v2
	s_delay_alu instid0(VALU_DEP_1) | instskip(NEXT) | instid1(VALU_DEP_1)
	v_add_nc_u32_e32 v3, v2, v3
	v_lshrrev_b32_e32 v3, s14, v3
	s_delay_alu instid0(VALU_DEP_1) | instskip(NEXT) | instid1(VALU_DEP_1)
	v_mul_lo_u32 v4, v3, s12
	v_sub_nc_u32_e32 v2, v2, v4
	s_delay_alu instid0(VALU_DEP_1)
	v_mul_lo_u32 v18, v2, s5
	v_mul_lo_u32 v4, v2, s4
	;; [unrolled: 1-line block ×4, first 2 shown]
	s_cbranch_scc1 .LBB103_2084
; %bb.2082:
	s_clause 0x1
	s_load_b96 s[12:14], s[2:3], 0x10
	s_load_b128 s[4:7], s[2:3], 0xd4
	s_wait_kmcnt 0x0
	v_mul_hi_u32 v2, s13, v3
	s_delay_alu instid0(VALU_DEP_1) | instskip(NEXT) | instid1(VALU_DEP_1)
	v_add_nc_u32_e32 v2, v3, v2
	v_lshrrev_b32_e32 v2, s14, v2
	s_delay_alu instid0(VALU_DEP_1) | instskip(NEXT) | instid1(VALU_DEP_1)
	v_mul_lo_u32 v2, v2, s12
	v_sub_nc_u32_e32 v2, v3, v2
	s_delay_alu instid0(VALU_DEP_1)
	v_mad_u32 v4, v2, s4, v4
	v_mad_u32 v18, v2, s5, v18
	;; [unrolled: 1-line block ×4, first 2 shown]
	s_branch .LBB103_2084
.LBB103_2083:
	v_dual_mov_b32 v18, 0 :: v_dual_mov_b32 v4, 0
	v_dual_mov_b32 v26, 0 :: v_dual_mov_b32 v22, 0
	s_and_not1_b32 vcc_lo, exec_lo, s6
	s_cbranch_vccz .LBB103_2081
.LBB103_2084:
	v_cmp_ne_u32_e32 vcc_lo, 1, v1
	v_add_nc_u32_e32 v0, 0x100, v0
	s_cbranch_vccnz .LBB103_2090
; %bb.2085:
	s_cmp_lg_u32 s33, 0
	s_mov_b32 s6, 0
	s_cbranch_scc0 .LBB103_2094
; %bb.2086:
	s_min_u32 s7, s34, 15
	v_dual_mov_b32 v30, 0 :: v_dual_mov_b32 v3, v0
	v_dual_mov_b32 v24, 0 :: v_dual_mov_b32 v2, 0
	v_mov_b32_e32 v28, 0
	s_add_co_i32 s4, s7, 1
	s_mov_b64 s[0:1], 0xffffffffffffffe0
	s_and_b32 s8, s4, 30
	s_add_nc_u64 s[0:1], s[2:3], s[0:1]
	s_mov_b64 s[4:5], s[2:3]
.LBB103_2087:                           ; =>This Inner Loop Header: Depth=1
	s_clause 0x1
	s_load_b128 s[20:23], s[4:5], 0x4
	s_load_b64 s[24:25], s[4:5], 0x14
	s_load_b256 s[12:19], s[0:1], 0xe4
	s_add_co_i32 s8, s8, -2
	s_wait_xcnt 0x0
	s_add_nc_u64 s[4:5], s[4:5], 24
	s_cmp_lg_u32 s8, 0
	s_add_nc_u64 s[0:1], s[0:1], 32
	s_wait_kmcnt 0x0
	v_mul_hi_u32 v7, s21, v3
	s_delay_alu instid0(VALU_DEP_1) | instskip(NEXT) | instid1(VALU_DEP_1)
	v_add_nc_u32_e32 v7, v3, v7
	v_lshrrev_b32_e32 v7, s22, v7
	s_delay_alu instid0(VALU_DEP_1) | instskip(SKIP_1) | instid1(VALU_DEP_2)
	v_mul_hi_u32 v9, s24, v7
	v_mul_lo_u32 v10, v7, s20
	v_add_nc_u32_e32 v9, v7, v9
	s_delay_alu instid0(VALU_DEP_1) | instskip(NEXT) | instid1(VALU_DEP_1)
	v_dual_sub_nc_u32 v10, v3, v10 :: v_dual_lshrrev_b32 v3, s25, v9
	v_mad_u32 v11, v10, s13, v28
	v_mad_u32 v2, v10, s12, v2
	;; [unrolled: 1-line block ×4, first 2 shown]
	v_mul_lo_u32 v9, v3, s23
	s_delay_alu instid0(VALU_DEP_1) | instskip(NEXT) | instid1(VALU_DEP_1)
	v_sub_nc_u32_e32 v7, v7, v9
	v_mad_u32 v28, v7, s17, v11
	v_mad_u32 v2, v7, s16, v2
	;; [unrolled: 1-line block ×4, first 2 shown]
	s_cbranch_scc1 .LBB103_2087
; %bb.2088:
	s_bitcmp1_b32 s7, 0
	s_cselect_b32 s7, -1, 0
	s_delay_alu instid0(SALU_CYCLE_1)
	s_and_b32 vcc_lo, exec_lo, s7
	s_cbranch_vccnz .LBB103_2091
; %bb.2089:
	s_load_b96 s[16:18], s[4:5], 0x4
	s_load_b128 s[12:15], s[0:1], 0xe4
	s_wait_kmcnt 0x0
	v_mul_hi_u32 v7, s17, v3
	s_delay_alu instid0(VALU_DEP_1) | instskip(NEXT) | instid1(VALU_DEP_1)
	v_add_nc_u32_e32 v7, v3, v7
	v_lshrrev_b32_e32 v7, s18, v7
	s_delay_alu instid0(VALU_DEP_1) | instskip(NEXT) | instid1(VALU_DEP_1)
	v_mul_lo_u32 v7, v7, s16
	v_sub_nc_u32_e32 v3, v3, v7
	s_delay_alu instid0(VALU_DEP_1)
	v_mad_u32 v2, v3, s12, v2
	v_mad_u32 v28, v3, s13, v28
	;; [unrolled: 1-line block ×4, first 2 shown]
	s_and_not1_b32 vcc_lo, exec_lo, s6
	s_cbranch_vccz .LBB103_2092
	s_branch .LBB103_2095
.LBB103_2090:
	s_mov_b32 s6, -1
                                        ; implicit-def: $vgpr28
                                        ; implicit-def: $vgpr2
                                        ; implicit-def: $vgpr24
                                        ; implicit-def: $vgpr30
.LBB103_2091:
	s_delay_alu instid0(SALU_CYCLE_1)
	s_and_not1_b32 vcc_lo, exec_lo, s6
	s_cbranch_vccnz .LBB103_2095
.LBB103_2092:
	s_clause 0x1
	s_load_b96 s[12:14], s[2:3], 0x4
	s_load_b128 s[4:7], s[2:3], 0xc4
	s_cmp_lt_u32 s33, 2
	s_wait_kmcnt 0x0
	v_mul_hi_u32 v2, s13, v0
	s_delay_alu instid0(VALU_DEP_1) | instskip(NEXT) | instid1(VALU_DEP_1)
	v_add_nc_u32_e32 v2, v0, v2
	v_lshrrev_b32_e32 v3, s14, v2
	s_delay_alu instid0(VALU_DEP_1) | instskip(NEXT) | instid1(VALU_DEP_1)
	v_mul_lo_u32 v2, v3, s12
	v_sub_nc_u32_e32 v0, v0, v2
	s_delay_alu instid0(VALU_DEP_1)
	v_mul_lo_u32 v28, v0, s5
	v_mul_lo_u32 v2, v0, s4
	;; [unrolled: 1-line block ×4, first 2 shown]
	s_cbranch_scc1 .LBB103_2095
; %bb.2093:
	s_clause 0x1
	s_load_b96 s[12:14], s[2:3], 0x10
	s_load_b128 s[4:7], s[2:3], 0xd4
	s_wait_kmcnt 0x0
	v_mul_hi_u32 v0, s13, v3
	s_delay_alu instid0(VALU_DEP_1) | instskip(NEXT) | instid1(VALU_DEP_1)
	v_add_nc_u32_e32 v0, v3, v0
	v_lshrrev_b32_e32 v0, s14, v0
	s_delay_alu instid0(VALU_DEP_1) | instskip(NEXT) | instid1(VALU_DEP_1)
	v_mul_lo_u32 v0, v0, s12
	v_sub_nc_u32_e32 v0, v3, v0
	s_delay_alu instid0(VALU_DEP_1)
	v_mad_u32 v2, v0, s4, v2
	v_mad_u32 v28, v0, s5, v28
	;; [unrolled: 1-line block ×4, first 2 shown]
	s_branch .LBB103_2095
.LBB103_2094:
	v_dual_mov_b32 v28, 0 :: v_dual_mov_b32 v2, 0
	v_dual_mov_b32 v24, 0 :: v_dual_mov_b32 v30, 0
	s_and_not1_b32 vcc_lo, exec_lo, s6
	s_cbranch_vccz .LBB103_2092
.LBB103_2095:
	v_cmp_ne_u32_e32 vcc_lo, 1, v1
	s_cbranch_vccnz .LBB103_2101
; %bb.2096:
	s_cmp_lg_u32 s33, 0
	s_mov_b32 s6, 0
	s_cbranch_scc0 .LBB103_2105
; %bb.2097:
	s_min_u32 s7, s34, 15
	v_dual_mov_b32 v14, 0 :: v_dual_mov_b32 v1, v5
	v_dual_mov_b32 v10, 0 :: v_dual_mov_b32 v0, 0
	v_mov_b32_e32 v20, 0
	s_add_co_i32 s4, s7, 1
	s_mov_b64 s[0:1], 0xffffffffffffffe0
	s_and_b32 s8, s4, 30
	s_add_nc_u64 s[0:1], s[2:3], s[0:1]
	s_mov_b64 s[4:5], s[2:3]
.LBB103_2098:                           ; =>This Inner Loop Header: Depth=1
	s_clause 0x1
	s_load_b128 s[20:23], s[4:5], 0x4
	s_load_b64 s[24:25], s[4:5], 0x14
	s_load_b256 s[12:19], s[0:1], 0xe4
	s_add_co_i32 s8, s8, -2
	s_wait_xcnt 0x0
	s_add_nc_u64 s[4:5], s[4:5], 24
	s_cmp_lg_u32 s8, 0
	s_add_nc_u64 s[0:1], s[0:1], 32
	s_wait_kmcnt 0x0
	v_mul_hi_u32 v3, s21, v1
	s_delay_alu instid0(VALU_DEP_1) | instskip(NEXT) | instid1(VALU_DEP_1)
	v_add_nc_u32_e32 v3, v1, v3
	v_lshrrev_b32_e32 v3, s22, v3
	s_delay_alu instid0(VALU_DEP_1) | instskip(SKIP_1) | instid1(VALU_DEP_1)
	v_mul_hi_u32 v7, s24, v3
	v_mul_lo_u32 v9, v3, s20
	v_dual_add_nc_u32 v7, v3, v7 :: v_dual_sub_nc_u32 v9, v1, v9
	s_delay_alu instid0(VALU_DEP_1) | instskip(NEXT) | instid1(VALU_DEP_2)
	v_lshrrev_b32_e32 v1, s25, v7
	v_mad_u32 v11, v9, s13, v20
	v_mad_u32 v0, v9, s12, v0
	;; [unrolled: 1-line block ×4, first 2 shown]
	v_mul_lo_u32 v7, v1, s23
	s_delay_alu instid0(VALU_DEP_1) | instskip(NEXT) | instid1(VALU_DEP_1)
	v_sub_nc_u32_e32 v3, v3, v7
	v_mad_u32 v20, v3, s17, v11
	v_mad_u32 v0, v3, s16, v0
	;; [unrolled: 1-line block ×4, first 2 shown]
	s_cbranch_scc1 .LBB103_2098
; %bb.2099:
	s_bitcmp1_b32 s7, 0
	s_cselect_b32 s7, -1, 0
	s_delay_alu instid0(SALU_CYCLE_1)
	s_and_b32 vcc_lo, exec_lo, s7
	s_cbranch_vccnz .LBB103_2102
; %bb.2100:
	s_load_b96 s[16:18], s[4:5], 0x4
	s_load_b128 s[12:15], s[0:1], 0xe4
	s_wait_kmcnt 0x0
	v_mul_hi_u32 v3, s17, v1
	s_delay_alu instid0(VALU_DEP_1) | instskip(NEXT) | instid1(VALU_DEP_1)
	v_add_nc_u32_e32 v3, v1, v3
	v_lshrrev_b32_e32 v3, s18, v3
	s_delay_alu instid0(VALU_DEP_1) | instskip(NEXT) | instid1(VALU_DEP_1)
	v_mul_lo_u32 v3, v3, s16
	v_sub_nc_u32_e32 v1, v1, v3
	s_delay_alu instid0(VALU_DEP_1)
	v_mad_u32 v0, v1, s12, v0
	v_mad_u32 v20, v1, s13, v20
	;; [unrolled: 1-line block ×4, first 2 shown]
	s_and_not1_b32 vcc_lo, exec_lo, s6
	s_cbranch_vccz .LBB103_2103
	s_branch .LBB103_2106
.LBB103_2101:
	s_mov_b32 s6, -1
                                        ; implicit-def: $vgpr20
                                        ; implicit-def: $vgpr0
                                        ; implicit-def: $vgpr10
                                        ; implicit-def: $vgpr14
.LBB103_2102:
	s_delay_alu instid0(SALU_CYCLE_1)
	s_and_not1_b32 vcc_lo, exec_lo, s6
	s_cbranch_vccnz .LBB103_2106
.LBB103_2103:
	s_clause 0x1
	s_load_b96 s[12:14], s[2:3], 0x4
	s_load_b128 s[4:7], s[2:3], 0xc4
	s_cmp_lt_u32 s33, 2
	s_wait_kmcnt 0x0
	v_mul_hi_u32 v0, s13, v5
	s_delay_alu instid0(VALU_DEP_1) | instskip(NEXT) | instid1(VALU_DEP_1)
	v_add_nc_u32_e32 v0, v5, v0
	v_lshrrev_b32_e32 v1, s14, v0
	s_delay_alu instid0(VALU_DEP_1) | instskip(NEXT) | instid1(VALU_DEP_1)
	v_mul_lo_u32 v0, v1, s12
	v_sub_nc_u32_e32 v3, v5, v0
	s_delay_alu instid0(VALU_DEP_1)
	v_mul_lo_u32 v20, v3, s5
	v_mul_lo_u32 v0, v3, s4
	;; [unrolled: 1-line block ×4, first 2 shown]
	s_cbranch_scc1 .LBB103_2106
; %bb.2104:
	s_clause 0x1
	s_load_b96 s[12:14], s[2:3], 0x10
	s_load_b128 s[4:7], s[2:3], 0xd4
	s_wait_kmcnt 0x0
	v_mul_hi_u32 v3, s13, v1
	s_delay_alu instid0(VALU_DEP_1) | instskip(NEXT) | instid1(VALU_DEP_1)
	v_add_nc_u32_e32 v3, v1, v3
	v_lshrrev_b32_e32 v3, s14, v3
	s_delay_alu instid0(VALU_DEP_1) | instskip(NEXT) | instid1(VALU_DEP_1)
	v_mul_lo_u32 v3, v3, s12
	v_sub_nc_u32_e32 v1, v1, v3
	s_delay_alu instid0(VALU_DEP_1)
	v_mad_u32 v0, v1, s4, v0
	v_mad_u32 v20, v1, s5, v20
	;; [unrolled: 1-line block ×4, first 2 shown]
	s_branch .LBB103_2106
.LBB103_2105:
	v_dual_mov_b32 v20, 0 :: v_dual_mov_b32 v0, 0
	v_dual_mov_b32 v10, 0 :: v_dual_mov_b32 v14, 0
	s_and_not1_b32 vcc_lo, exec_lo, s6
	s_cbranch_vccz .LBB103_2103
.LBB103_2106:
	v_mov_b32_e32 v9, 0
	s_load_b128 s[4:7], s[2:3], 0x1c8
	global_load_u8 v1, v9, s[2:3] offset:490
	s_wait_kmcnt 0x0
	v_add_nc_u64_e32 v[32:33], s[6:7], v[8:9]
	s_wait_loadcnt 0x0
	v_and_b32_e32 v3, 0xffff, v1
	v_readfirstlane_b32 s13, v1
	s_delay_alu instid0(VALU_DEP_2)
	v_cmp_gt_i32_e32 vcc_lo, 11, v3
	s_cbranch_vccnz .LBB103_2113
; %bb.2107:
	s_and_b32 s0, 0xffff, s13
	s_mov_b32 s8, 0
	s_cmp_gt_i32 s0, 25
	s_cbranch_scc0 .LBB103_2115
; %bb.2108:
	s_cmp_gt_i32 s0, 28
	s_cbranch_scc0 .LBB103_2116
; %bb.2109:
	;; [unrolled: 3-line block ×4, first 2 shown]
	s_cmp_eq_u32 s0, 46
	s_mov_b32 s12, 0
	s_cbranch_scc0 .LBB103_2121
; %bb.2112:
	global_load_b32 v1, v[32:33], off
	s_mov_b32 s1, 0
	s_mov_b32 s9, -1
	s_wait_loadcnt 0x0
	v_lshlrev_b32_e32 v1, 16, v1
	s_delay_alu instid0(VALU_DEP_1) | instskip(NEXT) | instid1(VALU_DEP_1)
	v_trunc_f32_e32 v1, v1
	v_mul_f32_e64 v3, 0x2f800000, |v1|
	s_delay_alu instid0(VALU_DEP_1) | instskip(NEXT) | instid1(VALU_DEP_1)
	v_floor_f32_e32 v3, v3
	v_fma_f32 v3, 0xcf800000, v3, |v1|
	v_ashrrev_i32_e32 v1, 31, v1
	s_delay_alu instid0(VALU_DEP_2) | instskip(NEXT) | instid1(VALU_DEP_1)
	v_cvt_u32_f32_e32 v3, v3
	v_xor_b32_e32 v3, v3, v1
	s_delay_alu instid0(VALU_DEP_1)
	v_sub_nc_u32_e32 v8, v3, v1
	s_branch .LBB103_2123
.LBB103_2113:
	s_mov_b32 s9, 0
	s_mov_b32 s12, s10
                                        ; implicit-def: $vgpr8
	s_cbranch_execnz .LBB103_2181
.LBB103_2114:
	s_and_not1_b32 vcc_lo, exec_lo, s9
	s_cbranch_vccz .LBB103_2226
	s_branch .LBB103_4058
.LBB103_2115:
	s_mov_b32 s9, 0
	s_mov_b32 s1, 0
                                        ; implicit-def: $vgpr8
	s_cbranch_execnz .LBB103_2148
	s_branch .LBB103_2177
.LBB103_2116:
	s_mov_b32 s9, 0
	s_mov_b32 s1, 0
                                        ; implicit-def: $vgpr8
	s_cbranch_execz .LBB103_2147
	s_branch .LBB103_2132
.LBB103_2117:
	s_mov_b32 s9, 0
	s_mov_b32 s1, 0
                                        ; implicit-def: $vgpr8
	s_cbranch_execnz .LBB103_2128
	s_branch .LBB103_2131
.LBB103_2118:
	s_mov_b32 s12, -1
	s_mov_b32 s9, 0
	s_mov_b32 s1, 0
	s_branch .LBB103_2122
.LBB103_2119:
	s_and_not1_saveexec_b32 s9, s9
	s_cbranch_execz .LBB103_1974
.LBB103_2120:
	v_add_f32_e32 v0, 0x46000000, v2
	s_and_not1_b32 s8, s8, exec_lo
	s_delay_alu instid0(VALU_DEP_1) | instskip(NEXT) | instid1(VALU_DEP_1)
	v_and_b32_e32 v0, 0xff, v0
	v_cmp_ne_u32_e32 vcc_lo, 0, v0
	s_and_b32 s10, vcc_lo, exec_lo
	s_delay_alu instid0(SALU_CYCLE_1)
	s_or_b32 s8, s8, s10
	s_or_b32 exec_lo, exec_lo, s9
	v_mov_b32_e32 v3, 0
	s_and_saveexec_b32 s9, s8
	s_cbranch_execnz .LBB103_1975
	s_branch .LBB103_1976
.LBB103_2121:
	s_mov_b32 s1, -1
	s_mov_b32 s9, 0
.LBB103_2122:
                                        ; implicit-def: $vgpr8
.LBB103_2123:
	s_and_b32 vcc_lo, exec_lo, s12
	s_cbranch_vccz .LBB103_2126
; %bb.2124:
	s_cmp_eq_u32 s0, 44
	s_cbranch_scc0 .LBB103_2127
; %bb.2125:
	global_load_u8 v1, v[32:33], off
	s_mov_b32 s1, 0
	s_mov_b32 s9, -1
	s_wait_loadcnt 0x0
	v_lshlrev_b32_e32 v3, 23, v1
	v_cmp_ne_u32_e32 vcc_lo, 0, v1
	s_delay_alu instid0(VALU_DEP_2) | instskip(NEXT) | instid1(VALU_DEP_1)
	v_trunc_f32_e32 v3, v3
	v_mul_f32_e64 v5, 0x2f800000, |v3|
	s_delay_alu instid0(VALU_DEP_1) | instskip(NEXT) | instid1(VALU_DEP_1)
	v_floor_f32_e32 v5, v5
	v_fma_f32 v5, 0xcf800000, v5, |v3|
	v_ashrrev_i32_e32 v3, 31, v3
	s_delay_alu instid0(VALU_DEP_2) | instskip(NEXT) | instid1(VALU_DEP_1)
	v_cvt_u32_f32_e32 v5, v5
	v_xor_b32_e32 v5, v5, v3
	s_delay_alu instid0(VALU_DEP_1) | instskip(NEXT) | instid1(VALU_DEP_1)
	v_sub_nc_u32_e32 v3, v5, v3
	v_cndmask_b32_e32 v8, 0, v3, vcc_lo
.LBB103_2126:
	s_branch .LBB103_2131
.LBB103_2127:
	s_mov_b32 s1, -1
                                        ; implicit-def: $vgpr8
	s_branch .LBB103_2131
.LBB103_2128:
	s_cmp_eq_u32 s0, 29
	s_cbranch_scc0 .LBB103_2130
; %bb.2129:
	global_load_b64 v[8:9], v[32:33], off
	s_mov_b32 s1, 0
	s_mov_b32 s9, -1
	s_branch .LBB103_2131
.LBB103_2130:
	s_mov_b32 s1, -1
                                        ; implicit-def: $vgpr8
.LBB103_2131:
	s_branch .LBB103_2147
.LBB103_2132:
	s_cmp_lt_i32 s0, 27
	s_cbranch_scc1 .LBB103_2135
; %bb.2133:
	s_cmp_gt_i32 s0, 27
	s_cbranch_scc0 .LBB103_2136
; %bb.2134:
	s_wait_loadcnt 0x0
	global_load_b32 v8, v[32:33], off
	s_mov_b32 s9, 0
	s_branch .LBB103_2137
.LBB103_2135:
	s_mov_b32 s9, -1
                                        ; implicit-def: $vgpr8
	s_branch .LBB103_2140
.LBB103_2136:
	s_mov_b32 s9, -1
                                        ; implicit-def: $vgpr8
.LBB103_2137:
	s_delay_alu instid0(SALU_CYCLE_1)
	s_and_not1_b32 vcc_lo, exec_lo, s9
	s_cbranch_vccnz .LBB103_2139
; %bb.2138:
	s_wait_loadcnt 0x0
	global_load_u16 v8, v[32:33], off
.LBB103_2139:
	s_mov_b32 s9, 0
.LBB103_2140:
	s_delay_alu instid0(SALU_CYCLE_1)
	s_and_not1_b32 vcc_lo, exec_lo, s9
	s_cbranch_vccnz .LBB103_2146
; %bb.2141:
	global_load_u8 v1, v[32:33], off
	s_mov_b32 s12, 0
	s_mov_b32 s9, exec_lo
	s_wait_loadcnt 0x0
	v_cmpx_lt_i16_e32 0x7f, v1
	s_xor_b32 s9, exec_lo, s9
	s_cbranch_execz .LBB103_2157
; %bb.2142:
	v_cmp_ne_u16_e32 vcc_lo, 0x80, v1
	s_and_b32 s12, vcc_lo, exec_lo
	s_and_not1_saveexec_b32 s9, s9
	s_cbranch_execnz .LBB103_2158
.LBB103_2143:
	s_or_b32 exec_lo, exec_lo, s9
	v_mov_b32_e32 v8, 0
	s_and_saveexec_b32 s9, s12
	s_cbranch_execz .LBB103_2145
.LBB103_2144:
	v_and_b32_e32 v3, 0xffff, v1
	s_delay_alu instid0(VALU_DEP_1) | instskip(SKIP_1) | instid1(VALU_DEP_2)
	v_dual_lshlrev_b32 v1, 24, v1 :: v_dual_bitop2_b32 v5, 7, v3 bitop3:0x40
	v_bfe_u32 v9, v3, 3, 4
	v_and_b32_e32 v1, 0x80000000, v1
	s_delay_alu instid0(VALU_DEP_3) | instskip(NEXT) | instid1(VALU_DEP_3)
	v_clz_i32_u32_e32 v7, v5
	v_cmp_eq_u32_e32 vcc_lo, 0, v9
	s_delay_alu instid0(VALU_DEP_2) | instskip(NEXT) | instid1(VALU_DEP_1)
	v_min_u32_e32 v7, 32, v7
	v_subrev_nc_u32_e32 v8, 28, v7
	v_sub_nc_u32_e32 v7, 29, v7
	s_delay_alu instid0(VALU_DEP_2) | instskip(NEXT) | instid1(VALU_DEP_2)
	v_lshlrev_b32_e32 v3, v8, v3
	v_cndmask_b32_e32 v7, v9, v7, vcc_lo
	s_delay_alu instid0(VALU_DEP_2) | instskip(NEXT) | instid1(VALU_DEP_1)
	v_and_b32_e32 v3, 7, v3
	v_cndmask_b32_e32 v3, v5, v3, vcc_lo
	s_delay_alu instid0(VALU_DEP_3) | instskip(NEXT) | instid1(VALU_DEP_2)
	v_lshl_add_u32 v5, v7, 23, 0x3b800000
	v_lshlrev_b32_e32 v3, 20, v3
	s_delay_alu instid0(VALU_DEP_1) | instskip(NEXT) | instid1(VALU_DEP_1)
	v_or3_b32 v1, v1, v5, v3
	v_trunc_f32_e32 v1, v1
	s_delay_alu instid0(VALU_DEP_1) | instskip(NEXT) | instid1(VALU_DEP_1)
	v_mul_f32_e64 v3, 0x2f800000, |v1|
	v_floor_f32_e32 v3, v3
	s_delay_alu instid0(VALU_DEP_1) | instskip(SKIP_1) | instid1(VALU_DEP_2)
	v_fma_f32 v3, 0xcf800000, v3, |v1|
	v_ashrrev_i32_e32 v1, 31, v1
	v_cvt_u32_f32_e32 v3, v3
	s_delay_alu instid0(VALU_DEP_1) | instskip(NEXT) | instid1(VALU_DEP_1)
	v_xor_b32_e32 v3, v3, v1
	v_sub_nc_u32_e32 v8, v3, v1
.LBB103_2145:
	s_or_b32 exec_lo, exec_lo, s9
.LBB103_2146:
	s_mov_b32 s9, -1
.LBB103_2147:
	s_branch .LBB103_2177
.LBB103_2148:
	s_cmp_gt_i32 s0, 22
	s_cbranch_scc0 .LBB103_2156
; %bb.2149:
	s_cmp_lt_i32 s0, 24
	s_cbranch_scc1 .LBB103_2159
; %bb.2150:
	s_cmp_gt_i32 s0, 24
	s_cbranch_scc0 .LBB103_2160
; %bb.2151:
	global_load_u8 v1, v[32:33], off
	s_mov_b32 s9, 0
	s_mov_b32 s8, exec_lo
	s_wait_loadcnt 0x0
	v_cmpx_lt_i16_e32 0x7f, v1
	s_xor_b32 s8, exec_lo, s8
	s_cbranch_execz .LBB103_2171
; %bb.2152:
	v_cmp_ne_u16_e32 vcc_lo, 0x80, v1
	s_and_b32 s9, vcc_lo, exec_lo
	s_and_not1_saveexec_b32 s8, s8
	s_cbranch_execnz .LBB103_2172
.LBB103_2153:
	s_or_b32 exec_lo, exec_lo, s8
	v_mov_b32_e32 v8, 0
	s_and_saveexec_b32 s8, s9
	s_cbranch_execz .LBB103_2155
.LBB103_2154:
	v_and_b32_e32 v3, 0xffff, v1
	s_delay_alu instid0(VALU_DEP_1) | instskip(SKIP_1) | instid1(VALU_DEP_2)
	v_dual_lshlrev_b32 v1, 24, v1 :: v_dual_bitop2_b32 v5, 3, v3 bitop3:0x40
	v_bfe_u32 v9, v3, 2, 5
	v_and_b32_e32 v1, 0x80000000, v1
	s_delay_alu instid0(VALU_DEP_3) | instskip(NEXT) | instid1(VALU_DEP_3)
	v_clz_i32_u32_e32 v7, v5
	v_cmp_eq_u32_e32 vcc_lo, 0, v9
	s_delay_alu instid0(VALU_DEP_2) | instskip(NEXT) | instid1(VALU_DEP_1)
	v_min_u32_e32 v7, 32, v7
	v_subrev_nc_u32_e32 v8, 29, v7
	v_sub_nc_u32_e32 v7, 30, v7
	s_delay_alu instid0(VALU_DEP_2) | instskip(NEXT) | instid1(VALU_DEP_2)
	v_lshlrev_b32_e32 v3, v8, v3
	v_cndmask_b32_e32 v7, v9, v7, vcc_lo
	s_delay_alu instid0(VALU_DEP_2) | instskip(NEXT) | instid1(VALU_DEP_1)
	v_and_b32_e32 v3, 3, v3
	v_cndmask_b32_e32 v3, v5, v3, vcc_lo
	s_delay_alu instid0(VALU_DEP_3) | instskip(NEXT) | instid1(VALU_DEP_2)
	v_lshl_add_u32 v5, v7, 23, 0x37800000
	v_lshlrev_b32_e32 v3, 21, v3
	s_delay_alu instid0(VALU_DEP_1) | instskip(NEXT) | instid1(VALU_DEP_1)
	v_or3_b32 v1, v1, v5, v3
	v_trunc_f32_e32 v1, v1
	s_delay_alu instid0(VALU_DEP_1) | instskip(NEXT) | instid1(VALU_DEP_1)
	v_mul_f32_e64 v3, 0x2f800000, |v1|
	v_floor_f32_e32 v3, v3
	s_delay_alu instid0(VALU_DEP_1) | instskip(SKIP_1) | instid1(VALU_DEP_2)
	v_fma_f32 v3, 0xcf800000, v3, |v1|
	v_ashrrev_i32_e32 v1, 31, v1
	v_cvt_u32_f32_e32 v3, v3
	s_delay_alu instid0(VALU_DEP_1) | instskip(NEXT) | instid1(VALU_DEP_1)
	v_xor_b32_e32 v3, v3, v1
	v_sub_nc_u32_e32 v8, v3, v1
.LBB103_2155:
	s_or_b32 exec_lo, exec_lo, s8
	s_mov_b32 s8, 0
	s_branch .LBB103_2161
.LBB103_2156:
                                        ; implicit-def: $vgpr8
	s_mov_b32 s8, 0
	s_branch .LBB103_2167
.LBB103_2157:
	s_and_not1_saveexec_b32 s9, s9
	s_cbranch_execz .LBB103_2143
.LBB103_2158:
	v_cmp_ne_u16_e32 vcc_lo, 0, v1
	s_and_not1_b32 s12, s12, exec_lo
	s_and_b32 s14, vcc_lo, exec_lo
	s_delay_alu instid0(SALU_CYCLE_1)
	s_or_b32 s12, s12, s14
	s_or_b32 exec_lo, exec_lo, s9
	v_mov_b32_e32 v8, 0
	s_and_saveexec_b32 s9, s12
	s_cbranch_execnz .LBB103_2144
	s_branch .LBB103_2145
.LBB103_2159:
	s_mov_b32 s8, -1
                                        ; implicit-def: $vgpr8
	s_branch .LBB103_2164
.LBB103_2160:
	s_mov_b32 s8, -1
                                        ; implicit-def: $vgpr8
.LBB103_2161:
	s_delay_alu instid0(SALU_CYCLE_1)
	s_and_b32 vcc_lo, exec_lo, s8
	s_cbranch_vccz .LBB103_2163
; %bb.2162:
	global_load_u8 v1, v[32:33], off
	s_wait_loadcnt 0x0
	v_lshlrev_b32_e32 v1, 24, v1
	s_delay_alu instid0(VALU_DEP_1) | instskip(NEXT) | instid1(VALU_DEP_1)
	v_and_b32_e32 v3, 0x7f000000, v1
	v_clz_i32_u32_e32 v5, v3
	v_cmp_ne_u32_e32 vcc_lo, 0, v3
	v_add_nc_u32_e32 v8, 0x1000000, v3
	s_delay_alu instid0(VALU_DEP_3) | instskip(NEXT) | instid1(VALU_DEP_1)
	v_min_u32_e32 v5, 32, v5
	v_sub_nc_u32_e64 v5, v5, 4 clamp
	s_delay_alu instid0(VALU_DEP_1) | instskip(NEXT) | instid1(VALU_DEP_1)
	v_dual_lshlrev_b32 v7, v5, v3 :: v_dual_lshlrev_b32 v5, 23, v5
	v_lshrrev_b32_e32 v7, 4, v7
	s_delay_alu instid0(VALU_DEP_1) | instskip(NEXT) | instid1(VALU_DEP_1)
	v_dual_sub_nc_u32 v5, v7, v5 :: v_dual_ashrrev_i32 v7, 8, v8
	v_add_nc_u32_e32 v5, 0x3c000000, v5
	s_delay_alu instid0(VALU_DEP_1) | instskip(NEXT) | instid1(VALU_DEP_1)
	v_and_or_b32 v5, 0x7f800000, v7, v5
	v_cndmask_b32_e32 v3, 0, v5, vcc_lo
	s_delay_alu instid0(VALU_DEP_1) | instskip(NEXT) | instid1(VALU_DEP_1)
	v_and_or_b32 v1, 0x80000000, v1, v3
	v_trunc_f32_e32 v1, v1
	s_delay_alu instid0(VALU_DEP_1) | instskip(NEXT) | instid1(VALU_DEP_1)
	v_mul_f32_e64 v3, 0x2f800000, |v1|
	v_floor_f32_e32 v3, v3
	s_delay_alu instid0(VALU_DEP_1) | instskip(SKIP_1) | instid1(VALU_DEP_2)
	v_fma_f32 v3, 0xcf800000, v3, |v1|
	v_ashrrev_i32_e32 v1, 31, v1
	v_cvt_u32_f32_e32 v3, v3
	s_delay_alu instid0(VALU_DEP_1) | instskip(NEXT) | instid1(VALU_DEP_1)
	v_xor_b32_e32 v3, v3, v1
	v_sub_nc_u32_e32 v8, v3, v1
.LBB103_2163:
	s_mov_b32 s8, 0
.LBB103_2164:
	s_delay_alu instid0(SALU_CYCLE_1)
	s_and_not1_b32 vcc_lo, exec_lo, s8
	s_cbranch_vccnz .LBB103_2166
; %bb.2165:
	global_load_u8 v1, v[32:33], off
	s_wait_loadcnt 0x0
	v_lshlrev_b32_e32 v3, 25, v1
	v_lshlrev_b16 v1, 8, v1
	s_delay_alu instid0(VALU_DEP_1) | instskip(SKIP_1) | instid1(VALU_DEP_2)
	v_and_or_b32 v7, 0x7f00, v1, 0.5
	v_bfe_i32 v1, v1, 0, 16
	v_add_f32_e32 v7, -0.5, v7
	v_lshrrev_b32_e32 v5, 4, v3
	v_cmp_gt_u32_e32 vcc_lo, 0x8000000, v3
	s_delay_alu instid0(VALU_DEP_2) | instskip(NEXT) | instid1(VALU_DEP_1)
	v_or_b32_e32 v5, 0x70000000, v5
	v_mul_f32_e32 v5, 0x7800000, v5
	s_delay_alu instid0(VALU_DEP_1) | instskip(NEXT) | instid1(VALU_DEP_1)
	v_cndmask_b32_e32 v3, v5, v7, vcc_lo
	v_and_or_b32 v1, 0x80000000, v1, v3
	s_delay_alu instid0(VALU_DEP_1) | instskip(NEXT) | instid1(VALU_DEP_1)
	v_trunc_f32_e32 v1, v1
	v_mul_f32_e64 v3, 0x2f800000, |v1|
	s_delay_alu instid0(VALU_DEP_1) | instskip(NEXT) | instid1(VALU_DEP_1)
	v_floor_f32_e32 v3, v3
	v_fma_f32 v3, 0xcf800000, v3, |v1|
	v_ashrrev_i32_e32 v1, 31, v1
	s_delay_alu instid0(VALU_DEP_2) | instskip(NEXT) | instid1(VALU_DEP_1)
	v_cvt_u32_f32_e32 v3, v3
	v_xor_b32_e32 v3, v3, v1
	s_delay_alu instid0(VALU_DEP_1)
	v_sub_nc_u32_e32 v8, v3, v1
.LBB103_2166:
	s_mov_b32 s9, -1
	s_mov_b32 s8, 0
	s_cbranch_execnz .LBB103_2177
.LBB103_2167:
	s_cmp_gt_i32 s0, 14
	s_cbranch_scc0 .LBB103_2170
; %bb.2168:
	s_cmp_eq_u32 s0, 15
	s_cbranch_scc0 .LBB103_2173
; %bb.2169:
	global_load_u16 v1, v[32:33], off
	s_mov_b32 s1, 0
	s_mov_b32 s9, -1
	s_wait_loadcnt 0x0
	v_lshlrev_b32_e32 v1, 16, v1
	s_delay_alu instid0(VALU_DEP_1) | instskip(NEXT) | instid1(VALU_DEP_1)
	v_trunc_f32_e32 v1, v1
	v_mul_f32_e64 v3, 0x2f800000, |v1|
	s_delay_alu instid0(VALU_DEP_1) | instskip(NEXT) | instid1(VALU_DEP_1)
	v_floor_f32_e32 v3, v3
	v_fma_f32 v3, 0xcf800000, v3, |v1|
	v_ashrrev_i32_e32 v1, 31, v1
	s_delay_alu instid0(VALU_DEP_2) | instskip(NEXT) | instid1(VALU_DEP_1)
	v_cvt_u32_f32_e32 v3, v3
	v_xor_b32_e32 v3, v3, v1
	s_delay_alu instid0(VALU_DEP_1)
	v_sub_nc_u32_e32 v8, v3, v1
	s_branch .LBB103_2175
.LBB103_2170:
	s_mov_b32 s8, -1
	s_branch .LBB103_2174
.LBB103_2171:
	s_and_not1_saveexec_b32 s8, s8
	s_cbranch_execz .LBB103_2153
.LBB103_2172:
	v_cmp_ne_u16_e32 vcc_lo, 0, v1
	s_and_not1_b32 s9, s9, exec_lo
	s_and_b32 s12, vcc_lo, exec_lo
	s_delay_alu instid0(SALU_CYCLE_1)
	s_or_b32 s9, s9, s12
	s_or_b32 exec_lo, exec_lo, s8
	v_mov_b32_e32 v8, 0
	s_and_saveexec_b32 s8, s9
	s_cbranch_execnz .LBB103_2154
	s_branch .LBB103_2155
.LBB103_2173:
	s_mov_b32 s1, -1
.LBB103_2174:
                                        ; implicit-def: $vgpr8
.LBB103_2175:
	s_and_b32 vcc_lo, exec_lo, s8
	s_mov_b32 s8, 0
	s_cbranch_vccz .LBB103_2177
; %bb.2176:
	s_cmp_lg_u32 s0, 11
	s_mov_b32 s8, -1
	s_cselect_b32 s1, -1, 0
.LBB103_2177:
	s_delay_alu instid0(SALU_CYCLE_1)
	s_and_b32 vcc_lo, exec_lo, s1
	s_mov_b32 s12, s10
	s_cbranch_vccnz .LBB103_2238
; %bb.2178:
	s_and_not1_b32 vcc_lo, exec_lo, s8
	s_cbranch_vccnz .LBB103_2180
.LBB103_2179:
	global_load_u8 v1, v[32:33], off
	s_mov_b32 s9, -1
	s_wait_loadcnt 0x0
	v_cmp_ne_u16_e32 vcc_lo, 0, v1
	v_cndmask_b32_e64 v8, 0, 1, vcc_lo
.LBB103_2180:
	s_branch .LBB103_2114
.LBB103_2181:
	s_and_b32 s0, 0xffff, s13
	s_delay_alu instid0(SALU_CYCLE_1)
	s_cmp_lt_i32 s0, 5
	s_cbranch_scc1 .LBB103_2186
; %bb.2182:
	s_cmp_lt_i32 s0, 8
	s_cbranch_scc1 .LBB103_2187
; %bb.2183:
	;; [unrolled: 3-line block ×3, first 2 shown]
	s_cmp_gt_i32 s0, 9
	s_cbranch_scc0 .LBB103_2189
; %bb.2185:
	s_wait_loadcnt 0x0
	global_load_b64 v[8:9], v[32:33], off
	s_mov_b32 s1, 0
	s_wait_loadcnt 0x0
	v_trunc_f64_e32 v[8:9], v[8:9]
	s_delay_alu instid0(VALU_DEP_1) | instskip(NEXT) | instid1(VALU_DEP_1)
	v_ldexp_f64 v[34:35], v[8:9], 0xffffffe0
	v_floor_f64_e32 v[34:35], v[34:35]
	s_delay_alu instid0(VALU_DEP_1) | instskip(NEXT) | instid1(VALU_DEP_1)
	v_fmamk_f64 v[8:9], v[34:35], 0xc1f00000, v[8:9]
	v_cvt_u32_f64_e32 v8, v[8:9]
	s_branch .LBB103_2190
.LBB103_2186:
                                        ; implicit-def: $vgpr8
	s_branch .LBB103_2207
.LBB103_2187:
                                        ; implicit-def: $vgpr8
	s_branch .LBB103_2196
.LBB103_2188:
	s_mov_b32 s1, -1
                                        ; implicit-def: $vgpr8
	s_branch .LBB103_2193
.LBB103_2189:
	s_mov_b32 s1, -1
                                        ; implicit-def: $vgpr8
.LBB103_2190:
	s_delay_alu instid0(SALU_CYCLE_1)
	s_and_not1_b32 vcc_lo, exec_lo, s1
	s_cbranch_vccnz .LBB103_2192
; %bb.2191:
	global_load_b32 v1, v[32:33], off
	s_wait_loadcnt 0x0
	v_trunc_f32_e32 v1, v1
	s_delay_alu instid0(VALU_DEP_1) | instskip(NEXT) | instid1(VALU_DEP_1)
	v_mul_f32_e64 v3, 0x2f800000, |v1|
	v_floor_f32_e32 v3, v3
	s_delay_alu instid0(VALU_DEP_1) | instskip(SKIP_1) | instid1(VALU_DEP_2)
	v_fma_f32 v3, 0xcf800000, v3, |v1|
	v_ashrrev_i32_e32 v1, 31, v1
	v_cvt_u32_f32_e32 v3, v3
	s_delay_alu instid0(VALU_DEP_1) | instskip(NEXT) | instid1(VALU_DEP_1)
	v_xor_b32_e32 v3, v3, v1
	v_sub_nc_u32_e32 v8, v3, v1
.LBB103_2192:
	s_mov_b32 s1, 0
.LBB103_2193:
	s_delay_alu instid0(SALU_CYCLE_1)
	s_and_not1_b32 vcc_lo, exec_lo, s1
	s_cbranch_vccnz .LBB103_2195
; %bb.2194:
	global_load_b32 v1, v[32:33], off
	s_wait_loadcnt 0x0
	v_cvt_f32_f16_e32 v1, v1
	s_delay_alu instid0(VALU_DEP_1)
	v_cvt_i32_f32_e32 v8, v1
.LBB103_2195:
	s_cbranch_execnz .LBB103_2206
.LBB103_2196:
	s_cmp_lt_i32 s0, 6
	s_cbranch_scc1 .LBB103_2199
; %bb.2197:
	s_cmp_gt_i32 s0, 6
	s_cbranch_scc0 .LBB103_2200
; %bb.2198:
	s_wait_loadcnt 0x0
	global_load_b64 v[8:9], v[32:33], off
	s_mov_b32 s1, 0
	s_wait_loadcnt 0x0
	v_trunc_f64_e32 v[8:9], v[8:9]
	s_delay_alu instid0(VALU_DEP_1) | instskip(NEXT) | instid1(VALU_DEP_1)
	v_ldexp_f64 v[34:35], v[8:9], 0xffffffe0
	v_floor_f64_e32 v[34:35], v[34:35]
	s_delay_alu instid0(VALU_DEP_1) | instskip(NEXT) | instid1(VALU_DEP_1)
	v_fmamk_f64 v[8:9], v[34:35], 0xc1f00000, v[8:9]
	v_cvt_u32_f64_e32 v8, v[8:9]
	s_branch .LBB103_2201
.LBB103_2199:
	s_mov_b32 s1, -1
                                        ; implicit-def: $vgpr8
	s_branch .LBB103_2204
.LBB103_2200:
	s_mov_b32 s1, -1
                                        ; implicit-def: $vgpr8
.LBB103_2201:
	s_delay_alu instid0(SALU_CYCLE_1)
	s_and_not1_b32 vcc_lo, exec_lo, s1
	s_cbranch_vccnz .LBB103_2203
; %bb.2202:
	global_load_b32 v1, v[32:33], off
	s_wait_loadcnt 0x0
	v_trunc_f32_e32 v1, v1
	s_delay_alu instid0(VALU_DEP_1) | instskip(NEXT) | instid1(VALU_DEP_1)
	v_mul_f32_e64 v3, 0x2f800000, |v1|
	v_floor_f32_e32 v3, v3
	s_delay_alu instid0(VALU_DEP_1) | instskip(SKIP_1) | instid1(VALU_DEP_2)
	v_fma_f32 v3, 0xcf800000, v3, |v1|
	v_ashrrev_i32_e32 v1, 31, v1
	v_cvt_u32_f32_e32 v3, v3
	s_delay_alu instid0(VALU_DEP_1) | instskip(NEXT) | instid1(VALU_DEP_1)
	v_xor_b32_e32 v3, v3, v1
	v_sub_nc_u32_e32 v8, v3, v1
.LBB103_2203:
	s_mov_b32 s1, 0
.LBB103_2204:
	s_delay_alu instid0(SALU_CYCLE_1)
	s_and_not1_b32 vcc_lo, exec_lo, s1
	s_cbranch_vccnz .LBB103_2206
; %bb.2205:
	global_load_u16 v1, v[32:33], off
	s_wait_loadcnt 0x0
	v_cvt_f32_f16_e32 v1, v1
	s_delay_alu instid0(VALU_DEP_1)
	v_cvt_i32_f32_e32 v8, v1
.LBB103_2206:
	s_cbranch_execnz .LBB103_2225
.LBB103_2207:
	s_cmp_lt_i32 s0, 2
	s_cbranch_scc1 .LBB103_2211
; %bb.2208:
	s_cmp_lt_i32 s0, 3
	s_cbranch_scc1 .LBB103_2212
; %bb.2209:
	s_cmp_gt_i32 s0, 3
	s_cbranch_scc0 .LBB103_2213
; %bb.2210:
	s_wait_loadcnt 0x0
	global_load_b64 v[8:9], v[32:33], off
	s_mov_b32 s1, 0
	s_branch .LBB103_2214
.LBB103_2211:
                                        ; implicit-def: $vgpr8
	s_branch .LBB103_2220
.LBB103_2212:
	s_mov_b32 s1, -1
                                        ; implicit-def: $vgpr8
	s_branch .LBB103_2217
.LBB103_2213:
	s_mov_b32 s1, -1
                                        ; implicit-def: $vgpr8
.LBB103_2214:
	s_delay_alu instid0(SALU_CYCLE_1)
	s_and_not1_b32 vcc_lo, exec_lo, s1
	s_cbranch_vccnz .LBB103_2216
; %bb.2215:
	s_wait_loadcnt 0x0
	global_load_b32 v8, v[32:33], off
.LBB103_2216:
	s_mov_b32 s1, 0
.LBB103_2217:
	s_delay_alu instid0(SALU_CYCLE_1)
	s_and_not1_b32 vcc_lo, exec_lo, s1
	s_cbranch_vccnz .LBB103_2219
; %bb.2218:
	s_wait_loadcnt 0x0
	global_load_u16 v8, v[32:33], off
.LBB103_2219:
	s_cbranch_execnz .LBB103_2225
.LBB103_2220:
	s_cmp_gt_i32 s0, 0
	s_mov_b32 s0, 0
	s_cbranch_scc0 .LBB103_2222
; %bb.2221:
	s_wait_loadcnt 0x0
	global_load_u8 v8, v[32:33], off
	s_branch .LBB103_2223
.LBB103_2222:
	s_mov_b32 s0, -1
                                        ; implicit-def: $vgpr8
.LBB103_2223:
	s_delay_alu instid0(SALU_CYCLE_1)
	s_and_not1_b32 vcc_lo, exec_lo, s0
	s_cbranch_vccnz .LBB103_2225
; %bb.2224:
	s_wait_loadcnt 0x0
	global_load_u8 v8, v[32:33], off
.LBB103_2225:
.LBB103_2226:
	v_mov_b32_e32 v13, 0
	s_load_b64 s[0:1], s[2:3], 0x1d8
	global_load_u8 v1, v13, s[2:3] offset:491
	s_wait_kmcnt 0x0
	v_add_nc_u64_e32 v[32:33], s[0:1], v[12:13]
	s_wait_loadcnt 0x0
	v_and_b32_e32 v3, 0xffff, v1
	v_readfirstlane_b32 s14, v1
	s_delay_alu instid0(VALU_DEP_2)
	v_cmp_gt_i32_e32 vcc_lo, 11, v3
	s_cbranch_vccnz .LBB103_2233
; %bb.2227:
	s_and_b32 s8, 0xffff, s14
	s_mov_b32 s15, 0
	s_cmp_gt_i32 s8, 25
	s_cbranch_scc0 .LBB103_2235
; %bb.2228:
	s_cmp_gt_i32 s8, 28
	s_cbranch_scc0 .LBB103_2236
; %bb.2229:
	s_cmp_gt_i32 s8, 43
	s_cbranch_scc0 .LBB103_2237
; %bb.2230:
	s_cmp_gt_i32 s8, 45
	s_cbranch_scc0 .LBB103_2239
; %bb.2231:
	s_cmp_eq_u32 s8, 46
	s_mov_b32 s17, 0
	s_cbranch_scc0 .LBB103_2242
; %bb.2232:
	global_load_b32 v1, v[32:33], off
	s_mov_b32 s9, 0
	s_mov_b32 s16, -1
	s_wait_loadcnt 0x0
	v_lshlrev_b32_e32 v1, 16, v1
	s_delay_alu instid0(VALU_DEP_1) | instskip(NEXT) | instid1(VALU_DEP_1)
	v_trunc_f32_e32 v1, v1
	v_mul_f32_e64 v3, 0x2f800000, |v1|
	s_delay_alu instid0(VALU_DEP_1) | instskip(NEXT) | instid1(VALU_DEP_1)
	v_floor_f32_e32 v3, v3
	v_fma_f32 v3, 0xcf800000, v3, |v1|
	v_ashrrev_i32_e32 v1, 31, v1
	s_delay_alu instid0(VALU_DEP_2) | instskip(NEXT) | instid1(VALU_DEP_1)
	v_cvt_u32_f32_e32 v3, v3
	v_xor_b32_e32 v3, v3, v1
	s_delay_alu instid0(VALU_DEP_1)
	v_sub_nc_u32_e32 v12, v3, v1
	s_branch .LBB103_2244
.LBB103_2233:
	s_mov_b32 s16, 0
                                        ; implicit-def: $vgpr12
	s_cbranch_execnz .LBB103_2305
.LBB103_2234:
	s_and_not1_b32 vcc_lo, exec_lo, s16
	s_cbranch_vccnz .LBB103_4058
	s_branch .LBB103_2352
.LBB103_2235:
	s_mov_b32 s16, 0
	s_mov_b32 s9, 0
                                        ; implicit-def: $vgpr12
	s_cbranch_execnz .LBB103_2271
	s_branch .LBB103_2301
.LBB103_2236:
	s_mov_b32 s17, -1
	s_mov_b32 s16, 0
	s_mov_b32 s9, 0
                                        ; implicit-def: $vgpr12
	s_branch .LBB103_2254
.LBB103_2237:
	s_mov_b32 s17, -1
	s_mov_b32 s16, 0
	s_mov_b32 s9, 0
                                        ; implicit-def: $vgpr12
	s_branch .LBB103_2249
.LBB103_2238:
	s_or_b32 s12, s10, exec_lo
	s_trap 2
	s_cbranch_execz .LBB103_2179
	s_branch .LBB103_2180
.LBB103_2239:
	s_mov_b32 s17, -1
	s_mov_b32 s16, 0
	s_mov_b32 s9, 0
	s_branch .LBB103_2243
.LBB103_2240:
	s_and_not1_saveexec_b32 s10, s10
	s_cbranch_execz .LBB103_1986
.LBB103_2241:
	v_add_f32_e32 v0, 0x42800000, v2
	s_and_not1_b32 s9, s9, exec_lo
	s_delay_alu instid0(VALU_DEP_1) | instskip(NEXT) | instid1(VALU_DEP_1)
	v_and_b32_e32 v0, 0xff, v0
	v_cmp_ne_u32_e32 vcc_lo, 0, v0
	s_and_b32 s11, vcc_lo, exec_lo
	s_delay_alu instid0(SALU_CYCLE_1)
	s_or_b32 s9, s9, s11
	s_or_b32 exec_lo, exec_lo, s10
	v_mov_b32_e32 v3, 0
	s_and_saveexec_b32 s10, s9
	s_cbranch_execnz .LBB103_1987
	s_branch .LBB103_1988
.LBB103_2242:
	s_mov_b32 s9, -1
	s_mov_b32 s16, 0
.LBB103_2243:
                                        ; implicit-def: $vgpr12
.LBB103_2244:
	s_and_b32 vcc_lo, exec_lo, s17
	s_cbranch_vccz .LBB103_2248
; %bb.2245:
	s_cmp_eq_u32 s8, 44
	s_cbranch_scc0 .LBB103_2247
; %bb.2246:
	global_load_u8 v1, v[32:33], off
	s_mov_b32 s9, 0
	s_mov_b32 s16, -1
	s_wait_loadcnt 0x0
	v_lshlrev_b32_e32 v3, 23, v1
	v_cmp_ne_u32_e32 vcc_lo, 0, v1
	s_delay_alu instid0(VALU_DEP_2) | instskip(NEXT) | instid1(VALU_DEP_1)
	v_trunc_f32_e32 v3, v3
	v_mul_f32_e64 v5, 0x2f800000, |v3|
	s_delay_alu instid0(VALU_DEP_1) | instskip(NEXT) | instid1(VALU_DEP_1)
	v_floor_f32_e32 v5, v5
	v_fma_f32 v5, 0xcf800000, v5, |v3|
	v_ashrrev_i32_e32 v3, 31, v3
	s_delay_alu instid0(VALU_DEP_2) | instskip(NEXT) | instid1(VALU_DEP_1)
	v_cvt_u32_f32_e32 v5, v5
	v_xor_b32_e32 v5, v5, v3
	s_delay_alu instid0(VALU_DEP_1) | instskip(NEXT) | instid1(VALU_DEP_1)
	v_sub_nc_u32_e32 v3, v5, v3
	v_cndmask_b32_e32 v12, 0, v3, vcc_lo
	s_branch .LBB103_2248
.LBB103_2247:
	s_mov_b32 s9, -1
                                        ; implicit-def: $vgpr12
.LBB103_2248:
	s_mov_b32 s17, 0
.LBB103_2249:
	s_delay_alu instid0(SALU_CYCLE_1)
	s_and_b32 vcc_lo, exec_lo, s17
	s_cbranch_vccz .LBB103_2253
; %bb.2250:
	s_cmp_eq_u32 s8, 29
	s_cbranch_scc0 .LBB103_2252
; %bb.2251:
	global_load_b64 v[12:13], v[32:33], off
	s_mov_b32 s9, 0
	s_mov_b32 s16, -1
	s_branch .LBB103_2253
.LBB103_2252:
	s_mov_b32 s9, -1
                                        ; implicit-def: $vgpr12
.LBB103_2253:
	s_mov_b32 s17, 0
.LBB103_2254:
	s_delay_alu instid0(SALU_CYCLE_1)
	s_and_b32 vcc_lo, exec_lo, s17
	s_cbranch_vccz .LBB103_2270
; %bb.2255:
	s_cmp_lt_i32 s8, 27
	s_cbranch_scc1 .LBB103_2258
; %bb.2256:
	s_cmp_gt_i32 s8, 27
	s_cbranch_scc0 .LBB103_2259
; %bb.2257:
	s_wait_loadcnt 0x0
	global_load_b32 v12, v[32:33], off
	s_mov_b32 s16, 0
	s_branch .LBB103_2260
.LBB103_2258:
	s_mov_b32 s16, -1
                                        ; implicit-def: $vgpr12
	s_branch .LBB103_2263
.LBB103_2259:
	s_mov_b32 s16, -1
                                        ; implicit-def: $vgpr12
.LBB103_2260:
	s_delay_alu instid0(SALU_CYCLE_1)
	s_and_not1_b32 vcc_lo, exec_lo, s16
	s_cbranch_vccnz .LBB103_2262
; %bb.2261:
	s_wait_loadcnt 0x0
	global_load_u16 v12, v[32:33], off
.LBB103_2262:
	s_mov_b32 s16, 0
.LBB103_2263:
	s_delay_alu instid0(SALU_CYCLE_1)
	s_and_not1_b32 vcc_lo, exec_lo, s16
	s_cbranch_vccnz .LBB103_2269
; %bb.2264:
	global_load_u8 v1, v[32:33], off
	s_mov_b32 s17, 0
	s_mov_b32 s16, exec_lo
	s_wait_loadcnt 0x0
	v_cmpx_lt_i16_e32 0x7f, v1
	s_xor_b32 s16, exec_lo, s16
	s_cbranch_execz .LBB103_2280
; %bb.2265:
	v_cmp_ne_u16_e32 vcc_lo, 0x80, v1
	s_and_b32 s17, vcc_lo, exec_lo
	s_and_not1_saveexec_b32 s16, s16
	s_cbranch_execnz .LBB103_2281
.LBB103_2266:
	s_or_b32 exec_lo, exec_lo, s16
	v_mov_b32_e32 v12, 0
	s_and_saveexec_b32 s16, s17
	s_cbranch_execz .LBB103_2268
.LBB103_2267:
	v_and_b32_e32 v3, 0xffff, v1
	s_delay_alu instid0(VALU_DEP_1) | instskip(SKIP_1) | instid1(VALU_DEP_2)
	v_dual_lshlrev_b32 v1, 24, v1 :: v_dual_bitop2_b32 v5, 7, v3 bitop3:0x40
	v_bfe_u32 v11, v3, 3, 4
	v_and_b32_e32 v1, 0x80000000, v1
	s_delay_alu instid0(VALU_DEP_3) | instskip(NEXT) | instid1(VALU_DEP_3)
	v_clz_i32_u32_e32 v7, v5
	v_cmp_eq_u32_e32 vcc_lo, 0, v11
	s_delay_alu instid0(VALU_DEP_2) | instskip(NEXT) | instid1(VALU_DEP_1)
	v_min_u32_e32 v7, 32, v7
	v_subrev_nc_u32_e32 v9, 28, v7
	v_sub_nc_u32_e32 v7, 29, v7
	s_delay_alu instid0(VALU_DEP_2) | instskip(NEXT) | instid1(VALU_DEP_2)
	v_lshlrev_b32_e32 v3, v9, v3
	v_cndmask_b32_e32 v7, v11, v7, vcc_lo
	s_delay_alu instid0(VALU_DEP_2) | instskip(NEXT) | instid1(VALU_DEP_1)
	v_and_b32_e32 v3, 7, v3
	v_cndmask_b32_e32 v3, v5, v3, vcc_lo
	s_delay_alu instid0(VALU_DEP_3) | instskip(NEXT) | instid1(VALU_DEP_2)
	v_lshl_add_u32 v5, v7, 23, 0x3b800000
	v_lshlrev_b32_e32 v3, 20, v3
	s_delay_alu instid0(VALU_DEP_1) | instskip(NEXT) | instid1(VALU_DEP_1)
	v_or3_b32 v1, v1, v5, v3
	v_trunc_f32_e32 v1, v1
	s_delay_alu instid0(VALU_DEP_1) | instskip(NEXT) | instid1(VALU_DEP_1)
	v_mul_f32_e64 v3, 0x2f800000, |v1|
	v_floor_f32_e32 v3, v3
	s_delay_alu instid0(VALU_DEP_1) | instskip(SKIP_1) | instid1(VALU_DEP_2)
	v_fma_f32 v3, 0xcf800000, v3, |v1|
	v_ashrrev_i32_e32 v1, 31, v1
	v_cvt_u32_f32_e32 v3, v3
	s_delay_alu instid0(VALU_DEP_1) | instskip(NEXT) | instid1(VALU_DEP_1)
	v_xor_b32_e32 v3, v3, v1
	v_sub_nc_u32_e32 v12, v3, v1
.LBB103_2268:
	s_or_b32 exec_lo, exec_lo, s16
.LBB103_2269:
	s_mov_b32 s16, -1
.LBB103_2270:
	s_branch .LBB103_2301
.LBB103_2271:
	s_cmp_gt_i32 s8, 22
	s_cbranch_scc0 .LBB103_2279
; %bb.2272:
	s_cmp_lt_i32 s8, 24
	s_cbranch_scc1 .LBB103_2282
; %bb.2273:
	s_cmp_gt_i32 s8, 24
	s_cbranch_scc0 .LBB103_2283
; %bb.2274:
	global_load_u8 v1, v[32:33], off
	s_mov_b32 s16, 0
	s_mov_b32 s15, exec_lo
	s_wait_loadcnt 0x0
	v_cmpx_lt_i16_e32 0x7f, v1
	s_xor_b32 s15, exec_lo, s15
	s_cbranch_execz .LBB103_2295
; %bb.2275:
	v_cmp_ne_u16_e32 vcc_lo, 0x80, v1
	s_and_b32 s16, vcc_lo, exec_lo
	s_and_not1_saveexec_b32 s15, s15
	s_cbranch_execnz .LBB103_2296
.LBB103_2276:
	s_or_b32 exec_lo, exec_lo, s15
	v_mov_b32_e32 v12, 0
	s_and_saveexec_b32 s15, s16
	s_cbranch_execz .LBB103_2278
.LBB103_2277:
	v_and_b32_e32 v3, 0xffff, v1
	s_delay_alu instid0(VALU_DEP_1) | instskip(SKIP_1) | instid1(VALU_DEP_2)
	v_dual_lshlrev_b32 v1, 24, v1 :: v_dual_bitop2_b32 v5, 3, v3 bitop3:0x40
	v_bfe_u32 v11, v3, 2, 5
	v_and_b32_e32 v1, 0x80000000, v1
	s_delay_alu instid0(VALU_DEP_3) | instskip(NEXT) | instid1(VALU_DEP_3)
	v_clz_i32_u32_e32 v7, v5
	v_cmp_eq_u32_e32 vcc_lo, 0, v11
	s_delay_alu instid0(VALU_DEP_2) | instskip(NEXT) | instid1(VALU_DEP_1)
	v_min_u32_e32 v7, 32, v7
	v_subrev_nc_u32_e32 v9, 29, v7
	v_sub_nc_u32_e32 v7, 30, v7
	s_delay_alu instid0(VALU_DEP_2) | instskip(NEXT) | instid1(VALU_DEP_2)
	v_lshlrev_b32_e32 v3, v9, v3
	v_cndmask_b32_e32 v7, v11, v7, vcc_lo
	s_delay_alu instid0(VALU_DEP_2) | instskip(NEXT) | instid1(VALU_DEP_1)
	v_and_b32_e32 v3, 3, v3
	v_cndmask_b32_e32 v3, v5, v3, vcc_lo
	s_delay_alu instid0(VALU_DEP_3) | instskip(NEXT) | instid1(VALU_DEP_2)
	v_lshl_add_u32 v5, v7, 23, 0x37800000
	v_lshlrev_b32_e32 v3, 21, v3
	s_delay_alu instid0(VALU_DEP_1) | instskip(NEXT) | instid1(VALU_DEP_1)
	v_or3_b32 v1, v1, v5, v3
	v_trunc_f32_e32 v1, v1
	s_delay_alu instid0(VALU_DEP_1) | instskip(NEXT) | instid1(VALU_DEP_1)
	v_mul_f32_e64 v3, 0x2f800000, |v1|
	v_floor_f32_e32 v3, v3
	s_delay_alu instid0(VALU_DEP_1) | instskip(SKIP_1) | instid1(VALU_DEP_2)
	v_fma_f32 v3, 0xcf800000, v3, |v1|
	v_ashrrev_i32_e32 v1, 31, v1
	v_cvt_u32_f32_e32 v3, v3
	s_delay_alu instid0(VALU_DEP_1) | instskip(NEXT) | instid1(VALU_DEP_1)
	v_xor_b32_e32 v3, v3, v1
	v_sub_nc_u32_e32 v12, v3, v1
.LBB103_2278:
	s_or_b32 exec_lo, exec_lo, s15
	s_mov_b32 s15, 0
	s_branch .LBB103_2284
.LBB103_2279:
	s_mov_b32 s15, -1
                                        ; implicit-def: $vgpr12
	s_branch .LBB103_2290
.LBB103_2280:
	s_and_not1_saveexec_b32 s16, s16
	s_cbranch_execz .LBB103_2266
.LBB103_2281:
	v_cmp_ne_u16_e32 vcc_lo, 0, v1
	s_and_not1_b32 s17, s17, exec_lo
	s_and_b32 s18, vcc_lo, exec_lo
	s_delay_alu instid0(SALU_CYCLE_1)
	s_or_b32 s17, s17, s18
	s_or_b32 exec_lo, exec_lo, s16
	v_mov_b32_e32 v12, 0
	s_and_saveexec_b32 s16, s17
	s_cbranch_execnz .LBB103_2267
	s_branch .LBB103_2268
.LBB103_2282:
	s_mov_b32 s15, -1
                                        ; implicit-def: $vgpr12
	s_branch .LBB103_2287
.LBB103_2283:
	s_mov_b32 s15, -1
                                        ; implicit-def: $vgpr12
.LBB103_2284:
	s_delay_alu instid0(SALU_CYCLE_1)
	s_and_b32 vcc_lo, exec_lo, s15
	s_cbranch_vccz .LBB103_2286
; %bb.2285:
	global_load_u8 v1, v[32:33], off
	s_wait_loadcnt 0x0
	v_lshlrev_b32_e32 v1, 24, v1
	s_delay_alu instid0(VALU_DEP_1) | instskip(NEXT) | instid1(VALU_DEP_1)
	v_and_b32_e32 v3, 0x7f000000, v1
	v_clz_i32_u32_e32 v5, v3
	v_add_nc_u32_e32 v9, 0x1000000, v3
	v_cmp_ne_u32_e32 vcc_lo, 0, v3
	s_delay_alu instid0(VALU_DEP_3) | instskip(NEXT) | instid1(VALU_DEP_1)
	v_min_u32_e32 v5, 32, v5
	v_sub_nc_u32_e64 v5, v5, 4 clamp
	s_delay_alu instid0(VALU_DEP_1) | instskip(NEXT) | instid1(VALU_DEP_1)
	v_dual_lshlrev_b32 v7, v5, v3 :: v_dual_lshlrev_b32 v5, 23, v5
	v_lshrrev_b32_e32 v7, 4, v7
	s_delay_alu instid0(VALU_DEP_1) | instskip(SKIP_1) | instid1(VALU_DEP_2)
	v_sub_nc_u32_e32 v5, v7, v5
	v_ashrrev_i32_e32 v7, 8, v9
	v_add_nc_u32_e32 v5, 0x3c000000, v5
	s_delay_alu instid0(VALU_DEP_1) | instskip(NEXT) | instid1(VALU_DEP_1)
	v_and_or_b32 v5, 0x7f800000, v7, v5
	v_cndmask_b32_e32 v3, 0, v5, vcc_lo
	s_delay_alu instid0(VALU_DEP_1) | instskip(NEXT) | instid1(VALU_DEP_1)
	v_and_or_b32 v1, 0x80000000, v1, v3
	v_trunc_f32_e32 v1, v1
	s_delay_alu instid0(VALU_DEP_1) | instskip(NEXT) | instid1(VALU_DEP_1)
	v_mul_f32_e64 v3, 0x2f800000, |v1|
	v_floor_f32_e32 v3, v3
	s_delay_alu instid0(VALU_DEP_1) | instskip(SKIP_1) | instid1(VALU_DEP_2)
	v_fma_f32 v3, 0xcf800000, v3, |v1|
	v_ashrrev_i32_e32 v1, 31, v1
	v_cvt_u32_f32_e32 v3, v3
	s_delay_alu instid0(VALU_DEP_1) | instskip(NEXT) | instid1(VALU_DEP_1)
	v_xor_b32_e32 v3, v3, v1
	v_sub_nc_u32_e32 v12, v3, v1
.LBB103_2286:
	s_mov_b32 s15, 0
.LBB103_2287:
	s_delay_alu instid0(SALU_CYCLE_1)
	s_and_not1_b32 vcc_lo, exec_lo, s15
	s_cbranch_vccnz .LBB103_2289
; %bb.2288:
	global_load_u8 v1, v[32:33], off
	s_wait_loadcnt 0x0
	v_lshlrev_b32_e32 v3, 25, v1
	v_lshlrev_b16 v1, 8, v1
	s_delay_alu instid0(VALU_DEP_1) | instskip(SKIP_1) | instid1(VALU_DEP_2)
	v_and_or_b32 v7, 0x7f00, v1, 0.5
	v_bfe_i32 v1, v1, 0, 16
	v_add_f32_e32 v7, -0.5, v7
	v_lshrrev_b32_e32 v5, 4, v3
	v_cmp_gt_u32_e32 vcc_lo, 0x8000000, v3
	s_delay_alu instid0(VALU_DEP_2) | instskip(NEXT) | instid1(VALU_DEP_1)
	v_or_b32_e32 v5, 0x70000000, v5
	v_mul_f32_e32 v5, 0x7800000, v5
	s_delay_alu instid0(VALU_DEP_1) | instskip(NEXT) | instid1(VALU_DEP_1)
	v_cndmask_b32_e32 v3, v5, v7, vcc_lo
	v_and_or_b32 v1, 0x80000000, v1, v3
	s_delay_alu instid0(VALU_DEP_1) | instskip(NEXT) | instid1(VALU_DEP_1)
	v_trunc_f32_e32 v1, v1
	v_mul_f32_e64 v3, 0x2f800000, |v1|
	s_delay_alu instid0(VALU_DEP_1) | instskip(NEXT) | instid1(VALU_DEP_1)
	v_floor_f32_e32 v3, v3
	v_fma_f32 v3, 0xcf800000, v3, |v1|
	v_ashrrev_i32_e32 v1, 31, v1
	s_delay_alu instid0(VALU_DEP_2) | instskip(NEXT) | instid1(VALU_DEP_1)
	v_cvt_u32_f32_e32 v3, v3
	v_xor_b32_e32 v3, v3, v1
	s_delay_alu instid0(VALU_DEP_1)
	v_sub_nc_u32_e32 v12, v3, v1
.LBB103_2289:
	s_mov_b32 s15, 0
	s_mov_b32 s16, -1
.LBB103_2290:
	s_and_not1_b32 vcc_lo, exec_lo, s15
	s_mov_b32 s15, 0
	s_cbranch_vccnz .LBB103_2301
; %bb.2291:
	s_cmp_gt_i32 s8, 14
	s_cbranch_scc0 .LBB103_2294
; %bb.2292:
	s_cmp_eq_u32 s8, 15
	s_cbranch_scc0 .LBB103_2297
; %bb.2293:
	global_load_u16 v1, v[32:33], off
	s_mov_b32 s9, 0
	s_mov_b32 s16, -1
	s_wait_loadcnt 0x0
	v_lshlrev_b32_e32 v1, 16, v1
	s_delay_alu instid0(VALU_DEP_1) | instskip(NEXT) | instid1(VALU_DEP_1)
	v_trunc_f32_e32 v1, v1
	v_mul_f32_e64 v3, 0x2f800000, |v1|
	s_delay_alu instid0(VALU_DEP_1) | instskip(NEXT) | instid1(VALU_DEP_1)
	v_floor_f32_e32 v3, v3
	v_fma_f32 v3, 0xcf800000, v3, |v1|
	v_ashrrev_i32_e32 v1, 31, v1
	s_delay_alu instid0(VALU_DEP_2) | instskip(NEXT) | instid1(VALU_DEP_1)
	v_cvt_u32_f32_e32 v3, v3
	v_xor_b32_e32 v3, v3, v1
	s_delay_alu instid0(VALU_DEP_1)
	v_sub_nc_u32_e32 v12, v3, v1
	s_branch .LBB103_2299
.LBB103_2294:
	s_mov_b32 s15, -1
	s_branch .LBB103_2298
.LBB103_2295:
	s_and_not1_saveexec_b32 s15, s15
	s_cbranch_execz .LBB103_2276
.LBB103_2296:
	v_cmp_ne_u16_e32 vcc_lo, 0, v1
	s_and_not1_b32 s16, s16, exec_lo
	s_and_b32 s17, vcc_lo, exec_lo
	s_delay_alu instid0(SALU_CYCLE_1)
	s_or_b32 s16, s16, s17
	s_or_b32 exec_lo, exec_lo, s15
	v_mov_b32_e32 v12, 0
	s_and_saveexec_b32 s15, s16
	s_cbranch_execnz .LBB103_2277
	s_branch .LBB103_2278
.LBB103_2297:
	s_mov_b32 s9, -1
.LBB103_2298:
                                        ; implicit-def: $vgpr12
.LBB103_2299:
	s_and_b32 vcc_lo, exec_lo, s15
	s_mov_b32 s15, 0
	s_cbranch_vccz .LBB103_2301
; %bb.2300:
	s_cmp_lg_u32 s8, 11
	s_mov_b32 s15, -1
	s_cselect_b32 s9, -1, 0
.LBB103_2301:
	s_delay_alu instid0(SALU_CYCLE_1)
	s_and_b32 vcc_lo, exec_lo, s9
	s_cbranch_vccnz .LBB103_2364
; %bb.2302:
	s_and_not1_b32 vcc_lo, exec_lo, s15
	s_cbranch_vccnz .LBB103_2304
.LBB103_2303:
	global_load_u8 v1, v[32:33], off
	s_mov_b32 s16, -1
	s_wait_loadcnt 0x0
	v_cmp_ne_u16_e32 vcc_lo, 0, v1
	v_cndmask_b32_e64 v12, 0, 1, vcc_lo
.LBB103_2304:
	s_branch .LBB103_2234
.LBB103_2305:
	s_and_b32 s8, 0xffff, s14
	s_delay_alu instid0(SALU_CYCLE_1)
	s_cmp_lt_i32 s8, 5
	s_cbranch_scc1 .LBB103_2310
; %bb.2306:
	s_cmp_lt_i32 s8, 8
	s_cbranch_scc1 .LBB103_2311
; %bb.2307:
	;; [unrolled: 3-line block ×3, first 2 shown]
	s_cmp_gt_i32 s8, 9
	s_cbranch_scc0 .LBB103_2313
; %bb.2309:
	s_wait_loadcnt 0x0
	global_load_b64 v[12:13], v[32:33], off
	s_mov_b32 s9, 0
	s_wait_loadcnt 0x0
	v_trunc_f64_e32 v[12:13], v[12:13]
	s_delay_alu instid0(VALU_DEP_1) | instskip(NEXT) | instid1(VALU_DEP_1)
	v_ldexp_f64 v[34:35], v[12:13], 0xffffffe0
	v_floor_f64_e32 v[34:35], v[34:35]
	s_delay_alu instid0(VALU_DEP_1) | instskip(NEXT) | instid1(VALU_DEP_1)
	v_fmamk_f64 v[12:13], v[34:35], 0xc1f00000, v[12:13]
	v_cvt_u32_f64_e32 v12, v[12:13]
	s_branch .LBB103_2314
.LBB103_2310:
                                        ; implicit-def: $vgpr12
	s_branch .LBB103_2332
.LBB103_2311:
	s_mov_b32 s9, -1
                                        ; implicit-def: $vgpr12
	s_branch .LBB103_2320
.LBB103_2312:
	s_mov_b32 s9, -1
                                        ; implicit-def: $vgpr12
	s_branch .LBB103_2317
.LBB103_2313:
	s_mov_b32 s9, -1
                                        ; implicit-def: $vgpr12
.LBB103_2314:
	s_delay_alu instid0(SALU_CYCLE_1)
	s_and_not1_b32 vcc_lo, exec_lo, s9
	s_cbranch_vccnz .LBB103_2316
; %bb.2315:
	global_load_b32 v1, v[32:33], off
	s_wait_loadcnt 0x0
	v_trunc_f32_e32 v1, v1
	s_delay_alu instid0(VALU_DEP_1) | instskip(NEXT) | instid1(VALU_DEP_1)
	v_mul_f32_e64 v3, 0x2f800000, |v1|
	v_floor_f32_e32 v3, v3
	s_delay_alu instid0(VALU_DEP_1) | instskip(SKIP_1) | instid1(VALU_DEP_2)
	v_fma_f32 v3, 0xcf800000, v3, |v1|
	v_ashrrev_i32_e32 v1, 31, v1
	v_cvt_u32_f32_e32 v3, v3
	s_delay_alu instid0(VALU_DEP_1) | instskip(NEXT) | instid1(VALU_DEP_1)
	v_xor_b32_e32 v3, v3, v1
	v_sub_nc_u32_e32 v12, v3, v1
.LBB103_2316:
	s_mov_b32 s9, 0
.LBB103_2317:
	s_delay_alu instid0(SALU_CYCLE_1)
	s_and_not1_b32 vcc_lo, exec_lo, s9
	s_cbranch_vccnz .LBB103_2319
; %bb.2318:
	global_load_b32 v1, v[32:33], off
	s_wait_loadcnt 0x0
	v_cvt_f32_f16_e32 v1, v1
	s_delay_alu instid0(VALU_DEP_1)
	v_cvt_i32_f32_e32 v12, v1
.LBB103_2319:
	s_mov_b32 s9, 0
.LBB103_2320:
	s_delay_alu instid0(SALU_CYCLE_1)
	s_and_not1_b32 vcc_lo, exec_lo, s9
	s_cbranch_vccnz .LBB103_2331
; %bb.2321:
	s_cmp_lt_i32 s8, 6
	s_cbranch_scc1 .LBB103_2324
; %bb.2322:
	s_cmp_gt_i32 s8, 6
	s_cbranch_scc0 .LBB103_2325
; %bb.2323:
	s_wait_loadcnt 0x0
	global_load_b64 v[12:13], v[32:33], off
	s_mov_b32 s9, 0
	s_wait_loadcnt 0x0
	v_trunc_f64_e32 v[12:13], v[12:13]
	s_delay_alu instid0(VALU_DEP_1) | instskip(NEXT) | instid1(VALU_DEP_1)
	v_ldexp_f64 v[34:35], v[12:13], 0xffffffe0
	v_floor_f64_e32 v[34:35], v[34:35]
	s_delay_alu instid0(VALU_DEP_1) | instskip(NEXT) | instid1(VALU_DEP_1)
	v_fmamk_f64 v[12:13], v[34:35], 0xc1f00000, v[12:13]
	v_cvt_u32_f64_e32 v12, v[12:13]
	s_branch .LBB103_2326
.LBB103_2324:
	s_mov_b32 s9, -1
                                        ; implicit-def: $vgpr12
	s_branch .LBB103_2329
.LBB103_2325:
	s_mov_b32 s9, -1
                                        ; implicit-def: $vgpr12
.LBB103_2326:
	s_delay_alu instid0(SALU_CYCLE_1)
	s_and_not1_b32 vcc_lo, exec_lo, s9
	s_cbranch_vccnz .LBB103_2328
; %bb.2327:
	global_load_b32 v1, v[32:33], off
	s_wait_loadcnt 0x0
	v_trunc_f32_e32 v1, v1
	s_delay_alu instid0(VALU_DEP_1) | instskip(NEXT) | instid1(VALU_DEP_1)
	v_mul_f32_e64 v3, 0x2f800000, |v1|
	v_floor_f32_e32 v3, v3
	s_delay_alu instid0(VALU_DEP_1) | instskip(SKIP_1) | instid1(VALU_DEP_2)
	v_fma_f32 v3, 0xcf800000, v3, |v1|
	v_ashrrev_i32_e32 v1, 31, v1
	v_cvt_u32_f32_e32 v3, v3
	s_delay_alu instid0(VALU_DEP_1) | instskip(NEXT) | instid1(VALU_DEP_1)
	v_xor_b32_e32 v3, v3, v1
	v_sub_nc_u32_e32 v12, v3, v1
.LBB103_2328:
	s_mov_b32 s9, 0
.LBB103_2329:
	s_delay_alu instid0(SALU_CYCLE_1)
	s_and_not1_b32 vcc_lo, exec_lo, s9
	s_cbranch_vccnz .LBB103_2331
; %bb.2330:
	global_load_u16 v1, v[32:33], off
	s_wait_loadcnt 0x0
	v_cvt_f32_f16_e32 v1, v1
	s_delay_alu instid0(VALU_DEP_1)
	v_cvt_i32_f32_e32 v12, v1
.LBB103_2331:
	s_cbranch_execnz .LBB103_2351
.LBB103_2332:
	s_cmp_lt_i32 s8, 2
	s_cbranch_scc1 .LBB103_2336
; %bb.2333:
	s_cmp_lt_i32 s8, 3
	s_cbranch_scc1 .LBB103_2337
; %bb.2334:
	s_cmp_gt_i32 s8, 3
	s_cbranch_scc0 .LBB103_2338
; %bb.2335:
	s_wait_loadcnt 0x0
	global_load_b64 v[12:13], v[32:33], off
	s_mov_b32 s9, 0
	s_branch .LBB103_2339
.LBB103_2336:
	s_mov_b32 s9, -1
                                        ; implicit-def: $vgpr12
	s_branch .LBB103_2345
.LBB103_2337:
	s_mov_b32 s9, -1
                                        ; implicit-def: $vgpr12
	s_branch .LBB103_2342
.LBB103_2338:
	s_mov_b32 s9, -1
                                        ; implicit-def: $vgpr12
.LBB103_2339:
	s_delay_alu instid0(SALU_CYCLE_1)
	s_and_not1_b32 vcc_lo, exec_lo, s9
	s_cbranch_vccnz .LBB103_2341
; %bb.2340:
	s_wait_loadcnt 0x0
	global_load_b32 v12, v[32:33], off
.LBB103_2341:
	s_mov_b32 s9, 0
.LBB103_2342:
	s_delay_alu instid0(SALU_CYCLE_1)
	s_and_not1_b32 vcc_lo, exec_lo, s9
	s_cbranch_vccnz .LBB103_2344
; %bb.2343:
	s_wait_loadcnt 0x0
	global_load_u16 v12, v[32:33], off
.LBB103_2344:
	s_mov_b32 s9, 0
.LBB103_2345:
	s_delay_alu instid0(SALU_CYCLE_1)
	s_and_not1_b32 vcc_lo, exec_lo, s9
	s_cbranch_vccnz .LBB103_2351
; %bb.2346:
	s_cmp_gt_i32 s8, 0
	s_mov_b32 s8, 0
	s_cbranch_scc0 .LBB103_2348
; %bb.2347:
	s_wait_loadcnt 0x0
	global_load_u8 v12, v[32:33], off
	s_branch .LBB103_2349
.LBB103_2348:
	s_mov_b32 s8, -1
                                        ; implicit-def: $vgpr12
.LBB103_2349:
	s_delay_alu instid0(SALU_CYCLE_1)
	s_and_not1_b32 vcc_lo, exec_lo, s8
	s_cbranch_vccnz .LBB103_2351
; %bb.2350:
	s_wait_loadcnt 0x0
	global_load_u8 v12, v[32:33], off
.LBB103_2351:
.LBB103_2352:
	s_clause 0x1
	s_load_b64 s[8:9], s[2:3], 0x1e0
	s_load_b32 s15, s[2:3], 0x1ec
	v_mov_b32_e32 v17, 0
	s_wait_kmcnt 0x0
	s_delay_alu instid0(VALU_DEP_1) | instskip(SKIP_1) | instid1(SALU_CYCLE_1)
	v_add_nc_u64_e32 v[32:33], s[8:9], v[16:17]
	s_and_b32 s15, s15, 0xff
	s_cmp_lt_i32 s15, 11
	s_cbranch_scc1 .LBB103_2359
; %bb.2353:
	s_and_b32 s16, 0xffff, s15
	s_mov_b32 s18, 0
	s_cmp_gt_i32 s16, 25
	s_cbranch_scc0 .LBB103_2361
; %bb.2354:
	s_cmp_gt_i32 s16, 28
	s_cbranch_scc0 .LBB103_2362
; %bb.2355:
	;; [unrolled: 3-line block ×4, first 2 shown]
	s_cmp_eq_u32 s16, 46
	s_mov_b32 s20, 0
	s_cbranch_scc0 .LBB103_2366
; %bb.2358:
	global_load_b32 v1, v[32:33], off
	s_mov_b32 s17, 0
	s_mov_b32 s19, -1
	s_wait_loadcnt 0x0
	v_lshlrev_b32_e32 v1, 16, v1
	s_delay_alu instid0(VALU_DEP_1) | instskip(NEXT) | instid1(VALU_DEP_1)
	v_trunc_f32_e32 v1, v1
	v_mul_f32_e64 v3, 0x2f800000, |v1|
	s_delay_alu instid0(VALU_DEP_1) | instskip(NEXT) | instid1(VALU_DEP_1)
	v_floor_f32_e32 v3, v3
	v_fma_f32 v3, 0xcf800000, v3, |v1|
	v_ashrrev_i32_e32 v1, 31, v1
	s_delay_alu instid0(VALU_DEP_2) | instskip(NEXT) | instid1(VALU_DEP_1)
	v_cvt_u32_f32_e32 v3, v3
	v_xor_b32_e32 v3, v3, v1
	s_delay_alu instid0(VALU_DEP_1)
	v_sub_nc_u32_e32 v16, v3, v1
	s_branch .LBB103_2368
.LBB103_2359:
	s_mov_b32 s19, 0
                                        ; implicit-def: $vgpr16
	s_cbranch_execnz .LBB103_2430
.LBB103_2360:
	s_and_not1_b32 vcc_lo, exec_lo, s19
	s_cbranch_vccnz .LBB103_4058
	s_branch .LBB103_2478
.LBB103_2361:
	s_mov_b32 s20, -1
	s_mov_b32 s19, 0
	s_mov_b32 s17, 0
                                        ; implicit-def: $vgpr16
	s_branch .LBB103_2395
.LBB103_2362:
	s_mov_b32 s20, -1
	s_mov_b32 s19, 0
	s_mov_b32 s17, 0
                                        ; implicit-def: $vgpr16
	s_branch .LBB103_2378
.LBB103_2363:
	s_mov_b32 s20, -1
	s_mov_b32 s19, 0
	s_mov_b32 s17, 0
                                        ; implicit-def: $vgpr16
	s_branch .LBB103_2373
.LBB103_2364:
	s_or_b32 s12, s12, exec_lo
	s_trap 2
	s_cbranch_execz .LBB103_2303
	s_branch .LBB103_2304
.LBB103_2365:
	s_mov_b32 s20, -1
	s_mov_b32 s19, 0
	s_mov_b32 s17, 0
	s_branch .LBB103_2367
.LBB103_2366:
	s_mov_b32 s17, -1
	s_mov_b32 s19, 0
.LBB103_2367:
                                        ; implicit-def: $vgpr16
.LBB103_2368:
	s_and_b32 vcc_lo, exec_lo, s20
	s_cbranch_vccz .LBB103_2372
; %bb.2369:
	s_cmp_eq_u32 s16, 44
	s_cbranch_scc0 .LBB103_2371
; %bb.2370:
	global_load_u8 v1, v[32:33], off
	s_mov_b32 s17, 0
	s_mov_b32 s19, -1
	s_wait_loadcnt 0x0
	v_lshlrev_b32_e32 v3, 23, v1
	v_cmp_ne_u32_e32 vcc_lo, 0, v1
	s_delay_alu instid0(VALU_DEP_2) | instskip(NEXT) | instid1(VALU_DEP_1)
	v_trunc_f32_e32 v3, v3
	v_mul_f32_e64 v5, 0x2f800000, |v3|
	s_delay_alu instid0(VALU_DEP_1) | instskip(NEXT) | instid1(VALU_DEP_1)
	v_floor_f32_e32 v5, v5
	v_fma_f32 v5, 0xcf800000, v5, |v3|
	v_ashrrev_i32_e32 v3, 31, v3
	s_delay_alu instid0(VALU_DEP_2) | instskip(NEXT) | instid1(VALU_DEP_1)
	v_cvt_u32_f32_e32 v5, v5
	v_xor_b32_e32 v5, v5, v3
	s_delay_alu instid0(VALU_DEP_1) | instskip(NEXT) | instid1(VALU_DEP_1)
	v_sub_nc_u32_e32 v3, v5, v3
	v_cndmask_b32_e32 v16, 0, v3, vcc_lo
	s_branch .LBB103_2372
.LBB103_2371:
	s_mov_b32 s17, -1
                                        ; implicit-def: $vgpr16
.LBB103_2372:
	s_mov_b32 s20, 0
.LBB103_2373:
	s_delay_alu instid0(SALU_CYCLE_1)
	s_and_b32 vcc_lo, exec_lo, s20
	s_cbranch_vccz .LBB103_2377
; %bb.2374:
	s_cmp_eq_u32 s16, 29
	s_cbranch_scc0 .LBB103_2376
; %bb.2375:
	global_load_b64 v[16:17], v[32:33], off
	s_mov_b32 s17, 0
	s_mov_b32 s19, -1
	s_branch .LBB103_2377
.LBB103_2376:
	s_mov_b32 s17, -1
                                        ; implicit-def: $vgpr16
.LBB103_2377:
	s_mov_b32 s20, 0
.LBB103_2378:
	s_delay_alu instid0(SALU_CYCLE_1)
	s_and_b32 vcc_lo, exec_lo, s20
	s_cbranch_vccz .LBB103_2394
; %bb.2379:
	s_cmp_lt_i32 s16, 27
	s_cbranch_scc1 .LBB103_2382
; %bb.2380:
	s_cmp_gt_i32 s16, 27
	s_cbranch_scc0 .LBB103_2383
; %bb.2381:
	s_wait_loadcnt 0x0
	global_load_b32 v16, v[32:33], off
	s_mov_b32 s19, 0
	s_branch .LBB103_2384
.LBB103_2382:
	s_mov_b32 s19, -1
                                        ; implicit-def: $vgpr16
	s_branch .LBB103_2387
.LBB103_2383:
	s_mov_b32 s19, -1
                                        ; implicit-def: $vgpr16
.LBB103_2384:
	s_delay_alu instid0(SALU_CYCLE_1)
	s_and_not1_b32 vcc_lo, exec_lo, s19
	s_cbranch_vccnz .LBB103_2386
; %bb.2385:
	s_wait_loadcnt 0x0
	global_load_u16 v16, v[32:33], off
.LBB103_2386:
	s_mov_b32 s19, 0
.LBB103_2387:
	s_delay_alu instid0(SALU_CYCLE_1)
	s_and_not1_b32 vcc_lo, exec_lo, s19
	s_cbranch_vccnz .LBB103_2393
; %bb.2388:
	global_load_u8 v1, v[32:33], off
	s_mov_b32 s20, 0
	s_mov_b32 s19, exec_lo
	s_wait_loadcnt 0x0
	v_cmpx_lt_i16_e32 0x7f, v1
	s_xor_b32 s19, exec_lo, s19
	s_cbranch_execz .LBB103_2405
; %bb.2389:
	v_cmp_ne_u16_e32 vcc_lo, 0x80, v1
	s_and_b32 s20, vcc_lo, exec_lo
	s_and_not1_saveexec_b32 s19, s19
	s_cbranch_execnz .LBB103_2406
.LBB103_2390:
	s_or_b32 exec_lo, exec_lo, s19
	v_mov_b32_e32 v16, 0
	s_and_saveexec_b32 s19, s20
	s_cbranch_execz .LBB103_2392
.LBB103_2391:
	v_and_b32_e32 v3, 0xffff, v1
	s_delay_alu instid0(VALU_DEP_1) | instskip(SKIP_1) | instid1(VALU_DEP_2)
	v_dual_lshlrev_b32 v1, 24, v1 :: v_dual_bitop2_b32 v5, 7, v3 bitop3:0x40
	v_bfe_u32 v11, v3, 3, 4
	v_and_b32_e32 v1, 0x80000000, v1
	s_delay_alu instid0(VALU_DEP_3) | instskip(NEXT) | instid1(VALU_DEP_3)
	v_clz_i32_u32_e32 v7, v5
	v_cmp_eq_u32_e32 vcc_lo, 0, v11
	s_delay_alu instid0(VALU_DEP_2) | instskip(NEXT) | instid1(VALU_DEP_1)
	v_min_u32_e32 v7, 32, v7
	v_subrev_nc_u32_e32 v9, 28, v7
	v_sub_nc_u32_e32 v7, 29, v7
	s_delay_alu instid0(VALU_DEP_2) | instskip(NEXT) | instid1(VALU_DEP_2)
	v_lshlrev_b32_e32 v3, v9, v3
	v_cndmask_b32_e32 v7, v11, v7, vcc_lo
	s_delay_alu instid0(VALU_DEP_2) | instskip(NEXT) | instid1(VALU_DEP_1)
	v_and_b32_e32 v3, 7, v3
	v_cndmask_b32_e32 v3, v5, v3, vcc_lo
	s_delay_alu instid0(VALU_DEP_3) | instskip(NEXT) | instid1(VALU_DEP_2)
	v_lshl_add_u32 v5, v7, 23, 0x3b800000
	v_lshlrev_b32_e32 v3, 20, v3
	s_delay_alu instid0(VALU_DEP_1) | instskip(NEXT) | instid1(VALU_DEP_1)
	v_or3_b32 v1, v1, v5, v3
	v_trunc_f32_e32 v1, v1
	s_delay_alu instid0(VALU_DEP_1) | instskip(NEXT) | instid1(VALU_DEP_1)
	v_mul_f32_e64 v3, 0x2f800000, |v1|
	v_floor_f32_e32 v3, v3
	s_delay_alu instid0(VALU_DEP_1) | instskip(SKIP_1) | instid1(VALU_DEP_2)
	v_fma_f32 v3, 0xcf800000, v3, |v1|
	v_ashrrev_i32_e32 v1, 31, v1
	v_cvt_u32_f32_e32 v3, v3
	s_delay_alu instid0(VALU_DEP_1) | instskip(NEXT) | instid1(VALU_DEP_1)
	v_xor_b32_e32 v3, v3, v1
	v_sub_nc_u32_e32 v16, v3, v1
.LBB103_2392:
	s_or_b32 exec_lo, exec_lo, s19
.LBB103_2393:
	s_mov_b32 s19, -1
.LBB103_2394:
	s_mov_b32 s20, 0
.LBB103_2395:
	s_delay_alu instid0(SALU_CYCLE_1)
	s_and_b32 vcc_lo, exec_lo, s20
	s_cbranch_vccz .LBB103_2426
; %bb.2396:
	s_cmp_gt_i32 s16, 22
	s_cbranch_scc0 .LBB103_2404
; %bb.2397:
	s_cmp_lt_i32 s16, 24
	s_cbranch_scc1 .LBB103_2407
; %bb.2398:
	s_cmp_gt_i32 s16, 24
	s_cbranch_scc0 .LBB103_2408
; %bb.2399:
	global_load_u8 v1, v[32:33], off
	s_mov_b32 s19, 0
	s_mov_b32 s18, exec_lo
	s_wait_loadcnt 0x0
	v_cmpx_lt_i16_e32 0x7f, v1
	s_xor_b32 s18, exec_lo, s18
	s_cbranch_execz .LBB103_2420
; %bb.2400:
	v_cmp_ne_u16_e32 vcc_lo, 0x80, v1
	s_and_b32 s19, vcc_lo, exec_lo
	s_and_not1_saveexec_b32 s18, s18
	s_cbranch_execnz .LBB103_2421
.LBB103_2401:
	s_or_b32 exec_lo, exec_lo, s18
	v_mov_b32_e32 v16, 0
	s_and_saveexec_b32 s18, s19
	s_cbranch_execz .LBB103_2403
.LBB103_2402:
	v_and_b32_e32 v3, 0xffff, v1
	s_delay_alu instid0(VALU_DEP_1) | instskip(SKIP_1) | instid1(VALU_DEP_2)
	v_dual_lshlrev_b32 v1, 24, v1 :: v_dual_bitop2_b32 v5, 3, v3 bitop3:0x40
	v_bfe_u32 v11, v3, 2, 5
	v_and_b32_e32 v1, 0x80000000, v1
	s_delay_alu instid0(VALU_DEP_3) | instskip(NEXT) | instid1(VALU_DEP_3)
	v_clz_i32_u32_e32 v7, v5
	v_cmp_eq_u32_e32 vcc_lo, 0, v11
	s_delay_alu instid0(VALU_DEP_2) | instskip(NEXT) | instid1(VALU_DEP_1)
	v_min_u32_e32 v7, 32, v7
	v_subrev_nc_u32_e32 v9, 29, v7
	v_sub_nc_u32_e32 v7, 30, v7
	s_delay_alu instid0(VALU_DEP_2) | instskip(NEXT) | instid1(VALU_DEP_2)
	v_lshlrev_b32_e32 v3, v9, v3
	v_cndmask_b32_e32 v7, v11, v7, vcc_lo
	s_delay_alu instid0(VALU_DEP_2) | instskip(NEXT) | instid1(VALU_DEP_1)
	v_and_b32_e32 v3, 3, v3
	v_cndmask_b32_e32 v3, v5, v3, vcc_lo
	s_delay_alu instid0(VALU_DEP_3) | instskip(NEXT) | instid1(VALU_DEP_2)
	v_lshl_add_u32 v5, v7, 23, 0x37800000
	v_lshlrev_b32_e32 v3, 21, v3
	s_delay_alu instid0(VALU_DEP_1) | instskip(NEXT) | instid1(VALU_DEP_1)
	v_or3_b32 v1, v1, v5, v3
	v_trunc_f32_e32 v1, v1
	s_delay_alu instid0(VALU_DEP_1) | instskip(NEXT) | instid1(VALU_DEP_1)
	v_mul_f32_e64 v3, 0x2f800000, |v1|
	v_floor_f32_e32 v3, v3
	s_delay_alu instid0(VALU_DEP_1) | instskip(SKIP_1) | instid1(VALU_DEP_2)
	v_fma_f32 v3, 0xcf800000, v3, |v1|
	v_ashrrev_i32_e32 v1, 31, v1
	v_cvt_u32_f32_e32 v3, v3
	s_delay_alu instid0(VALU_DEP_1) | instskip(NEXT) | instid1(VALU_DEP_1)
	v_xor_b32_e32 v3, v3, v1
	v_sub_nc_u32_e32 v16, v3, v1
.LBB103_2403:
	s_or_b32 exec_lo, exec_lo, s18
	s_mov_b32 s18, 0
	s_branch .LBB103_2409
.LBB103_2404:
	s_mov_b32 s18, -1
                                        ; implicit-def: $vgpr16
	s_branch .LBB103_2415
.LBB103_2405:
	s_and_not1_saveexec_b32 s19, s19
	s_cbranch_execz .LBB103_2390
.LBB103_2406:
	v_cmp_ne_u16_e32 vcc_lo, 0, v1
	s_and_not1_b32 s20, s20, exec_lo
	s_and_b32 s21, vcc_lo, exec_lo
	s_delay_alu instid0(SALU_CYCLE_1)
	s_or_b32 s20, s20, s21
	s_or_b32 exec_lo, exec_lo, s19
	v_mov_b32_e32 v16, 0
	s_and_saveexec_b32 s19, s20
	s_cbranch_execnz .LBB103_2391
	s_branch .LBB103_2392
.LBB103_2407:
	s_mov_b32 s18, -1
                                        ; implicit-def: $vgpr16
	s_branch .LBB103_2412
.LBB103_2408:
	s_mov_b32 s18, -1
                                        ; implicit-def: $vgpr16
.LBB103_2409:
	s_delay_alu instid0(SALU_CYCLE_1)
	s_and_b32 vcc_lo, exec_lo, s18
	s_cbranch_vccz .LBB103_2411
; %bb.2410:
	global_load_u8 v1, v[32:33], off
	s_wait_loadcnt 0x0
	v_lshlrev_b32_e32 v1, 24, v1
	s_delay_alu instid0(VALU_DEP_1) | instskip(NEXT) | instid1(VALU_DEP_1)
	v_and_b32_e32 v3, 0x7f000000, v1
	v_clz_i32_u32_e32 v5, v3
	v_add_nc_u32_e32 v9, 0x1000000, v3
	v_cmp_ne_u32_e32 vcc_lo, 0, v3
	s_delay_alu instid0(VALU_DEP_3) | instskip(NEXT) | instid1(VALU_DEP_1)
	v_min_u32_e32 v5, 32, v5
	v_sub_nc_u32_e64 v5, v5, 4 clamp
	s_delay_alu instid0(VALU_DEP_1) | instskip(NEXT) | instid1(VALU_DEP_1)
	v_dual_lshlrev_b32 v7, v5, v3 :: v_dual_lshlrev_b32 v5, 23, v5
	v_lshrrev_b32_e32 v7, 4, v7
	s_delay_alu instid0(VALU_DEP_1) | instskip(SKIP_1) | instid1(VALU_DEP_2)
	v_sub_nc_u32_e32 v5, v7, v5
	v_ashrrev_i32_e32 v7, 8, v9
	v_add_nc_u32_e32 v5, 0x3c000000, v5
	s_delay_alu instid0(VALU_DEP_1) | instskip(NEXT) | instid1(VALU_DEP_1)
	v_and_or_b32 v5, 0x7f800000, v7, v5
	v_cndmask_b32_e32 v3, 0, v5, vcc_lo
	s_delay_alu instid0(VALU_DEP_1) | instskip(NEXT) | instid1(VALU_DEP_1)
	v_and_or_b32 v1, 0x80000000, v1, v3
	v_trunc_f32_e32 v1, v1
	s_delay_alu instid0(VALU_DEP_1) | instskip(NEXT) | instid1(VALU_DEP_1)
	v_mul_f32_e64 v3, 0x2f800000, |v1|
	v_floor_f32_e32 v3, v3
	s_delay_alu instid0(VALU_DEP_1) | instskip(SKIP_1) | instid1(VALU_DEP_2)
	v_fma_f32 v3, 0xcf800000, v3, |v1|
	v_ashrrev_i32_e32 v1, 31, v1
	v_cvt_u32_f32_e32 v3, v3
	s_delay_alu instid0(VALU_DEP_1) | instskip(NEXT) | instid1(VALU_DEP_1)
	v_xor_b32_e32 v3, v3, v1
	v_sub_nc_u32_e32 v16, v3, v1
.LBB103_2411:
	s_mov_b32 s18, 0
.LBB103_2412:
	s_delay_alu instid0(SALU_CYCLE_1)
	s_and_not1_b32 vcc_lo, exec_lo, s18
	s_cbranch_vccnz .LBB103_2414
; %bb.2413:
	global_load_u8 v1, v[32:33], off
	s_wait_loadcnt 0x0
	v_lshlrev_b32_e32 v3, 25, v1
	v_lshlrev_b16 v1, 8, v1
	s_delay_alu instid0(VALU_DEP_1) | instskip(SKIP_1) | instid1(VALU_DEP_2)
	v_and_or_b32 v7, 0x7f00, v1, 0.5
	v_bfe_i32 v1, v1, 0, 16
	v_add_f32_e32 v7, -0.5, v7
	v_lshrrev_b32_e32 v5, 4, v3
	v_cmp_gt_u32_e32 vcc_lo, 0x8000000, v3
	s_delay_alu instid0(VALU_DEP_2) | instskip(NEXT) | instid1(VALU_DEP_1)
	v_or_b32_e32 v5, 0x70000000, v5
	v_mul_f32_e32 v5, 0x7800000, v5
	s_delay_alu instid0(VALU_DEP_1) | instskip(NEXT) | instid1(VALU_DEP_1)
	v_cndmask_b32_e32 v3, v5, v7, vcc_lo
	v_and_or_b32 v1, 0x80000000, v1, v3
	s_delay_alu instid0(VALU_DEP_1) | instskip(NEXT) | instid1(VALU_DEP_1)
	v_trunc_f32_e32 v1, v1
	v_mul_f32_e64 v3, 0x2f800000, |v1|
	s_delay_alu instid0(VALU_DEP_1) | instskip(NEXT) | instid1(VALU_DEP_1)
	v_floor_f32_e32 v3, v3
	v_fma_f32 v3, 0xcf800000, v3, |v1|
	v_ashrrev_i32_e32 v1, 31, v1
	s_delay_alu instid0(VALU_DEP_2) | instskip(NEXT) | instid1(VALU_DEP_1)
	v_cvt_u32_f32_e32 v3, v3
	v_xor_b32_e32 v3, v3, v1
	s_delay_alu instid0(VALU_DEP_1)
	v_sub_nc_u32_e32 v16, v3, v1
.LBB103_2414:
	s_mov_b32 s18, 0
	s_mov_b32 s19, -1
.LBB103_2415:
	s_and_not1_b32 vcc_lo, exec_lo, s18
	s_mov_b32 s18, 0
	s_cbranch_vccnz .LBB103_2426
; %bb.2416:
	s_cmp_gt_i32 s16, 14
	s_cbranch_scc0 .LBB103_2419
; %bb.2417:
	s_cmp_eq_u32 s16, 15
	s_cbranch_scc0 .LBB103_2422
; %bb.2418:
	global_load_u16 v1, v[32:33], off
	s_mov_b32 s17, 0
	s_mov_b32 s19, -1
	s_wait_loadcnt 0x0
	v_lshlrev_b32_e32 v1, 16, v1
	s_delay_alu instid0(VALU_DEP_1) | instskip(NEXT) | instid1(VALU_DEP_1)
	v_trunc_f32_e32 v1, v1
	v_mul_f32_e64 v3, 0x2f800000, |v1|
	s_delay_alu instid0(VALU_DEP_1) | instskip(NEXT) | instid1(VALU_DEP_1)
	v_floor_f32_e32 v3, v3
	v_fma_f32 v3, 0xcf800000, v3, |v1|
	v_ashrrev_i32_e32 v1, 31, v1
	s_delay_alu instid0(VALU_DEP_2) | instskip(NEXT) | instid1(VALU_DEP_1)
	v_cvt_u32_f32_e32 v3, v3
	v_xor_b32_e32 v3, v3, v1
	s_delay_alu instid0(VALU_DEP_1)
	v_sub_nc_u32_e32 v16, v3, v1
	s_branch .LBB103_2424
.LBB103_2419:
	s_mov_b32 s18, -1
	s_branch .LBB103_2423
.LBB103_2420:
	s_and_not1_saveexec_b32 s18, s18
	s_cbranch_execz .LBB103_2401
.LBB103_2421:
	v_cmp_ne_u16_e32 vcc_lo, 0, v1
	s_and_not1_b32 s19, s19, exec_lo
	s_and_b32 s20, vcc_lo, exec_lo
	s_delay_alu instid0(SALU_CYCLE_1)
	s_or_b32 s19, s19, s20
	s_or_b32 exec_lo, exec_lo, s18
	v_mov_b32_e32 v16, 0
	s_and_saveexec_b32 s18, s19
	s_cbranch_execnz .LBB103_2402
	s_branch .LBB103_2403
.LBB103_2422:
	s_mov_b32 s17, -1
.LBB103_2423:
                                        ; implicit-def: $vgpr16
.LBB103_2424:
	s_and_b32 vcc_lo, exec_lo, s18
	s_mov_b32 s18, 0
	s_cbranch_vccz .LBB103_2426
; %bb.2425:
	s_cmp_lg_u32 s16, 11
	s_mov_b32 s18, -1
	s_cselect_b32 s17, -1, 0
.LBB103_2426:
	s_delay_alu instid0(SALU_CYCLE_1)
	s_and_b32 vcc_lo, exec_lo, s17
	s_cbranch_vccnz .LBB103_2489
; %bb.2427:
	s_and_not1_b32 vcc_lo, exec_lo, s18
	s_cbranch_vccnz .LBB103_2429
.LBB103_2428:
	global_load_u8 v1, v[32:33], off
	s_mov_b32 s19, -1
	s_wait_loadcnt 0x0
	v_cmp_ne_u16_e32 vcc_lo, 0, v1
	v_cndmask_b32_e64 v16, 0, 1, vcc_lo
.LBB103_2429:
	s_branch .LBB103_2360
.LBB103_2430:
	s_and_b32 s16, 0xffff, s15
	s_delay_alu instid0(SALU_CYCLE_1)
	s_cmp_lt_i32 s16, 5
	s_cbranch_scc1 .LBB103_2435
; %bb.2431:
	s_cmp_lt_i32 s16, 8
	s_cbranch_scc1 .LBB103_2436
; %bb.2432:
	s_cmp_lt_i32 s16, 9
	s_cbranch_scc1 .LBB103_2437
; %bb.2433:
	s_cmp_gt_i32 s16, 9
	s_cbranch_scc0 .LBB103_2438
; %bb.2434:
	s_wait_loadcnt 0x0
	global_load_b64 v[16:17], v[32:33], off
	s_mov_b32 s17, 0
	s_wait_loadcnt 0x0
	v_trunc_f64_e32 v[16:17], v[16:17]
	s_delay_alu instid0(VALU_DEP_1) | instskip(NEXT) | instid1(VALU_DEP_1)
	v_ldexp_f64 v[34:35], v[16:17], 0xffffffe0
	v_floor_f64_e32 v[34:35], v[34:35]
	s_delay_alu instid0(VALU_DEP_1) | instskip(NEXT) | instid1(VALU_DEP_1)
	v_fmamk_f64 v[16:17], v[34:35], 0xc1f00000, v[16:17]
	v_cvt_u32_f64_e32 v16, v[16:17]
	s_branch .LBB103_2439
.LBB103_2435:
	s_mov_b32 s17, -1
                                        ; implicit-def: $vgpr16
	s_branch .LBB103_2457
.LBB103_2436:
	s_mov_b32 s17, -1
                                        ; implicit-def: $vgpr16
	s_branch .LBB103_2445
.LBB103_2437:
	s_mov_b32 s17, -1
                                        ; implicit-def: $vgpr16
	s_branch .LBB103_2442
.LBB103_2438:
	s_mov_b32 s17, -1
                                        ; implicit-def: $vgpr16
.LBB103_2439:
	s_delay_alu instid0(SALU_CYCLE_1)
	s_and_not1_b32 vcc_lo, exec_lo, s17
	s_cbranch_vccnz .LBB103_2441
; %bb.2440:
	global_load_b32 v1, v[32:33], off
	s_wait_loadcnt 0x0
	v_trunc_f32_e32 v1, v1
	s_delay_alu instid0(VALU_DEP_1) | instskip(NEXT) | instid1(VALU_DEP_1)
	v_mul_f32_e64 v3, 0x2f800000, |v1|
	v_floor_f32_e32 v3, v3
	s_delay_alu instid0(VALU_DEP_1) | instskip(SKIP_1) | instid1(VALU_DEP_2)
	v_fma_f32 v3, 0xcf800000, v3, |v1|
	v_ashrrev_i32_e32 v1, 31, v1
	v_cvt_u32_f32_e32 v3, v3
	s_delay_alu instid0(VALU_DEP_1) | instskip(NEXT) | instid1(VALU_DEP_1)
	v_xor_b32_e32 v3, v3, v1
	v_sub_nc_u32_e32 v16, v3, v1
.LBB103_2441:
	s_mov_b32 s17, 0
.LBB103_2442:
	s_delay_alu instid0(SALU_CYCLE_1)
	s_and_not1_b32 vcc_lo, exec_lo, s17
	s_cbranch_vccnz .LBB103_2444
; %bb.2443:
	global_load_b32 v1, v[32:33], off
	s_wait_loadcnt 0x0
	v_cvt_f32_f16_e32 v1, v1
	s_delay_alu instid0(VALU_DEP_1)
	v_cvt_i32_f32_e32 v16, v1
.LBB103_2444:
	s_mov_b32 s17, 0
.LBB103_2445:
	s_delay_alu instid0(SALU_CYCLE_1)
	s_and_not1_b32 vcc_lo, exec_lo, s17
	s_cbranch_vccnz .LBB103_2456
; %bb.2446:
	s_cmp_lt_i32 s16, 6
	s_cbranch_scc1 .LBB103_2449
; %bb.2447:
	s_cmp_gt_i32 s16, 6
	s_cbranch_scc0 .LBB103_2450
; %bb.2448:
	s_wait_loadcnt 0x0
	global_load_b64 v[16:17], v[32:33], off
	s_mov_b32 s17, 0
	s_wait_loadcnt 0x0
	v_trunc_f64_e32 v[16:17], v[16:17]
	s_delay_alu instid0(VALU_DEP_1) | instskip(NEXT) | instid1(VALU_DEP_1)
	v_ldexp_f64 v[34:35], v[16:17], 0xffffffe0
	v_floor_f64_e32 v[34:35], v[34:35]
	s_delay_alu instid0(VALU_DEP_1) | instskip(NEXT) | instid1(VALU_DEP_1)
	v_fmamk_f64 v[16:17], v[34:35], 0xc1f00000, v[16:17]
	v_cvt_u32_f64_e32 v16, v[16:17]
	s_branch .LBB103_2451
.LBB103_2449:
	s_mov_b32 s17, -1
                                        ; implicit-def: $vgpr16
	s_branch .LBB103_2454
.LBB103_2450:
	s_mov_b32 s17, -1
                                        ; implicit-def: $vgpr16
.LBB103_2451:
	s_delay_alu instid0(SALU_CYCLE_1)
	s_and_not1_b32 vcc_lo, exec_lo, s17
	s_cbranch_vccnz .LBB103_2453
; %bb.2452:
	global_load_b32 v1, v[32:33], off
	s_wait_loadcnt 0x0
	v_trunc_f32_e32 v1, v1
	s_delay_alu instid0(VALU_DEP_1) | instskip(NEXT) | instid1(VALU_DEP_1)
	v_mul_f32_e64 v3, 0x2f800000, |v1|
	v_floor_f32_e32 v3, v3
	s_delay_alu instid0(VALU_DEP_1) | instskip(SKIP_1) | instid1(VALU_DEP_2)
	v_fma_f32 v3, 0xcf800000, v3, |v1|
	v_ashrrev_i32_e32 v1, 31, v1
	v_cvt_u32_f32_e32 v3, v3
	s_delay_alu instid0(VALU_DEP_1) | instskip(NEXT) | instid1(VALU_DEP_1)
	v_xor_b32_e32 v3, v3, v1
	v_sub_nc_u32_e32 v16, v3, v1
.LBB103_2453:
	s_mov_b32 s17, 0
.LBB103_2454:
	s_delay_alu instid0(SALU_CYCLE_1)
	s_and_not1_b32 vcc_lo, exec_lo, s17
	s_cbranch_vccnz .LBB103_2456
; %bb.2455:
	global_load_u16 v1, v[32:33], off
	s_wait_loadcnt 0x0
	v_cvt_f32_f16_e32 v1, v1
	s_delay_alu instid0(VALU_DEP_1)
	v_cvt_i32_f32_e32 v16, v1
.LBB103_2456:
	s_mov_b32 s17, 0
.LBB103_2457:
	s_delay_alu instid0(SALU_CYCLE_1)
	s_and_not1_b32 vcc_lo, exec_lo, s17
	s_cbranch_vccnz .LBB103_2477
; %bb.2458:
	s_cmp_lt_i32 s16, 2
	s_cbranch_scc1 .LBB103_2462
; %bb.2459:
	s_cmp_lt_i32 s16, 3
	s_cbranch_scc1 .LBB103_2463
; %bb.2460:
	s_cmp_gt_i32 s16, 3
	s_cbranch_scc0 .LBB103_2464
; %bb.2461:
	s_wait_loadcnt 0x0
	global_load_b64 v[16:17], v[32:33], off
	s_mov_b32 s17, 0
	s_branch .LBB103_2465
.LBB103_2462:
	s_mov_b32 s17, -1
                                        ; implicit-def: $vgpr16
	s_branch .LBB103_2471
.LBB103_2463:
	s_mov_b32 s17, -1
                                        ; implicit-def: $vgpr16
	s_branch .LBB103_2468
.LBB103_2464:
	s_mov_b32 s17, -1
                                        ; implicit-def: $vgpr16
.LBB103_2465:
	s_delay_alu instid0(SALU_CYCLE_1)
	s_and_not1_b32 vcc_lo, exec_lo, s17
	s_cbranch_vccnz .LBB103_2467
; %bb.2466:
	s_wait_loadcnt 0x0
	global_load_b32 v16, v[32:33], off
.LBB103_2467:
	s_mov_b32 s17, 0
.LBB103_2468:
	s_delay_alu instid0(SALU_CYCLE_1)
	s_and_not1_b32 vcc_lo, exec_lo, s17
	s_cbranch_vccnz .LBB103_2470
; %bb.2469:
	s_wait_loadcnt 0x0
	global_load_u16 v16, v[32:33], off
.LBB103_2470:
	s_mov_b32 s17, 0
.LBB103_2471:
	s_delay_alu instid0(SALU_CYCLE_1)
	s_and_not1_b32 vcc_lo, exec_lo, s17
	s_cbranch_vccnz .LBB103_2477
; %bb.2472:
	s_cmp_gt_i32 s16, 0
	s_mov_b32 s16, 0
	s_cbranch_scc0 .LBB103_2474
; %bb.2473:
	s_wait_loadcnt 0x0
	global_load_u8 v16, v[32:33], off
	s_branch .LBB103_2475
.LBB103_2474:
	s_mov_b32 s16, -1
                                        ; implicit-def: $vgpr16
.LBB103_2475:
	s_delay_alu instid0(SALU_CYCLE_1)
	s_and_not1_b32 vcc_lo, exec_lo, s16
	s_cbranch_vccnz .LBB103_2477
; %bb.2476:
	s_wait_loadcnt 0x0
	global_load_u8 v16, v[32:33], off
.LBB103_2477:
.LBB103_2478:
	v_mov_b32_e32 v19, 0
	s_and_b32 s13, 0xffff, s13
	s_delay_alu instid0(SALU_CYCLE_1) | instskip(SKIP_1) | instid1(VALU_DEP_1)
	s_cmp_lt_i32 s13, 11
	s_wait_xcnt 0x0
	v_add_nc_u64_e32 v[32:33], s[6:7], v[18:19]
	s_cbranch_scc1 .LBB103_2485
; %bb.2479:
	s_cmp_gt_i32 s13, 25
	s_mov_b32 s17, 0
	s_cbranch_scc0 .LBB103_2486
; %bb.2480:
	s_cmp_gt_i32 s13, 28
	s_cbranch_scc0 .LBB103_2487
; %bb.2481:
	s_cmp_gt_i32 s13, 43
	;; [unrolled: 3-line block ×3, first 2 shown]
	s_cbranch_scc0 .LBB103_2490
; %bb.2483:
	s_cmp_eq_u32 s13, 46
	s_mov_b32 s19, 0
	s_cbranch_scc0 .LBB103_2491
; %bb.2484:
	global_load_b32 v1, v[32:33], off
	s_mov_b32 s16, 0
	s_mov_b32 s18, -1
	s_wait_loadcnt 0x0
	v_lshlrev_b32_e32 v1, 16, v1
	s_delay_alu instid0(VALU_DEP_1) | instskip(NEXT) | instid1(VALU_DEP_1)
	v_trunc_f32_e32 v1, v1
	v_mul_f32_e64 v3, 0x2f800000, |v1|
	s_delay_alu instid0(VALU_DEP_1) | instskip(NEXT) | instid1(VALU_DEP_1)
	v_floor_f32_e32 v3, v3
	v_fma_f32 v3, 0xcf800000, v3, |v1|
	v_ashrrev_i32_e32 v1, 31, v1
	s_delay_alu instid0(VALU_DEP_2) | instskip(NEXT) | instid1(VALU_DEP_1)
	v_cvt_u32_f32_e32 v3, v3
	v_xor_b32_e32 v3, v3, v1
	s_delay_alu instid0(VALU_DEP_1)
	v_sub_nc_u32_e32 v18, v3, v1
	s_branch .LBB103_2493
.LBB103_2485:
	s_mov_b32 s16, -1
	s_mov_b32 s18, 0
                                        ; implicit-def: $vgpr18
	s_branch .LBB103_2555
.LBB103_2486:
	s_mov_b32 s19, -1
	s_mov_b32 s18, 0
	s_mov_b32 s16, 0
                                        ; implicit-def: $vgpr18
	s_branch .LBB103_2520
.LBB103_2487:
	s_mov_b32 s19, -1
	s_mov_b32 s18, 0
	s_mov_b32 s16, 0
                                        ; implicit-def: $vgpr18
	s_branch .LBB103_2503
.LBB103_2488:
	s_mov_b32 s19, -1
	s_mov_b32 s18, 0
	s_mov_b32 s16, 0
                                        ; implicit-def: $vgpr18
	s_branch .LBB103_2498
.LBB103_2489:
	s_or_b32 s12, s12, exec_lo
	s_trap 2
	s_cbranch_execz .LBB103_2428
	s_branch .LBB103_2429
.LBB103_2490:
	s_mov_b32 s19, -1
	s_mov_b32 s18, 0
	s_mov_b32 s16, 0
	s_branch .LBB103_2492
.LBB103_2491:
	s_mov_b32 s16, -1
	s_mov_b32 s18, 0
.LBB103_2492:
                                        ; implicit-def: $vgpr18
.LBB103_2493:
	s_and_b32 vcc_lo, exec_lo, s19
	s_cbranch_vccz .LBB103_2497
; %bb.2494:
	s_cmp_eq_u32 s13, 44
	s_cbranch_scc0 .LBB103_2496
; %bb.2495:
	global_load_u8 v1, v[32:33], off
	s_mov_b32 s16, 0
	s_mov_b32 s18, -1
	s_wait_loadcnt 0x0
	v_lshlrev_b32_e32 v3, 23, v1
	v_cmp_ne_u32_e32 vcc_lo, 0, v1
	s_delay_alu instid0(VALU_DEP_2) | instskip(NEXT) | instid1(VALU_DEP_1)
	v_trunc_f32_e32 v3, v3
	v_mul_f32_e64 v5, 0x2f800000, |v3|
	s_delay_alu instid0(VALU_DEP_1) | instskip(NEXT) | instid1(VALU_DEP_1)
	v_floor_f32_e32 v5, v5
	v_fma_f32 v5, 0xcf800000, v5, |v3|
	v_ashrrev_i32_e32 v3, 31, v3
	s_delay_alu instid0(VALU_DEP_2) | instskip(NEXT) | instid1(VALU_DEP_1)
	v_cvt_u32_f32_e32 v5, v5
	v_xor_b32_e32 v5, v5, v3
	s_delay_alu instid0(VALU_DEP_1) | instskip(NEXT) | instid1(VALU_DEP_1)
	v_sub_nc_u32_e32 v3, v5, v3
	v_cndmask_b32_e32 v18, 0, v3, vcc_lo
	s_branch .LBB103_2497
.LBB103_2496:
	s_mov_b32 s16, -1
                                        ; implicit-def: $vgpr18
.LBB103_2497:
	s_mov_b32 s19, 0
.LBB103_2498:
	s_delay_alu instid0(SALU_CYCLE_1)
	s_and_b32 vcc_lo, exec_lo, s19
	s_cbranch_vccz .LBB103_2502
; %bb.2499:
	s_cmp_eq_u32 s13, 29
	s_cbranch_scc0 .LBB103_2501
; %bb.2500:
	global_load_b64 v[18:19], v[32:33], off
	s_mov_b32 s16, 0
	s_mov_b32 s18, -1
	s_branch .LBB103_2502
.LBB103_2501:
	s_mov_b32 s16, -1
                                        ; implicit-def: $vgpr18
.LBB103_2502:
	s_mov_b32 s19, 0
.LBB103_2503:
	s_delay_alu instid0(SALU_CYCLE_1)
	s_and_b32 vcc_lo, exec_lo, s19
	s_cbranch_vccz .LBB103_2519
; %bb.2504:
	s_cmp_lt_i32 s13, 27
	s_cbranch_scc1 .LBB103_2507
; %bb.2505:
	s_cmp_gt_i32 s13, 27
	s_cbranch_scc0 .LBB103_2508
; %bb.2506:
	s_wait_loadcnt 0x0
	global_load_b32 v18, v[32:33], off
	s_mov_b32 s18, 0
	s_branch .LBB103_2509
.LBB103_2507:
	s_mov_b32 s18, -1
                                        ; implicit-def: $vgpr18
	s_branch .LBB103_2512
.LBB103_2508:
	s_mov_b32 s18, -1
                                        ; implicit-def: $vgpr18
.LBB103_2509:
	s_delay_alu instid0(SALU_CYCLE_1)
	s_and_not1_b32 vcc_lo, exec_lo, s18
	s_cbranch_vccnz .LBB103_2511
; %bb.2510:
	s_wait_loadcnt 0x0
	global_load_u16 v18, v[32:33], off
.LBB103_2511:
	s_mov_b32 s18, 0
.LBB103_2512:
	s_delay_alu instid0(SALU_CYCLE_1)
	s_and_not1_b32 vcc_lo, exec_lo, s18
	s_cbranch_vccnz .LBB103_2518
; %bb.2513:
	global_load_u8 v1, v[32:33], off
	s_mov_b32 s19, 0
	s_mov_b32 s18, exec_lo
	s_wait_loadcnt 0x0
	v_cmpx_lt_i16_e32 0x7f, v1
	s_xor_b32 s18, exec_lo, s18
	s_cbranch_execz .LBB103_2530
; %bb.2514:
	v_cmp_ne_u16_e32 vcc_lo, 0x80, v1
	s_and_b32 s19, vcc_lo, exec_lo
	s_and_not1_saveexec_b32 s18, s18
	s_cbranch_execnz .LBB103_2531
.LBB103_2515:
	s_or_b32 exec_lo, exec_lo, s18
	v_mov_b32_e32 v18, 0
	s_and_saveexec_b32 s18, s19
	s_cbranch_execz .LBB103_2517
.LBB103_2516:
	v_and_b32_e32 v3, 0xffff, v1
	s_delay_alu instid0(VALU_DEP_1) | instskip(SKIP_1) | instid1(VALU_DEP_2)
	v_dual_lshlrev_b32 v1, 24, v1 :: v_dual_bitop2_b32 v5, 7, v3 bitop3:0x40
	v_bfe_u32 v11, v3, 3, 4
	v_and_b32_e32 v1, 0x80000000, v1
	s_delay_alu instid0(VALU_DEP_3) | instskip(NEXT) | instid1(VALU_DEP_3)
	v_clz_i32_u32_e32 v7, v5
	v_cmp_eq_u32_e32 vcc_lo, 0, v11
	s_delay_alu instid0(VALU_DEP_2) | instskip(NEXT) | instid1(VALU_DEP_1)
	v_min_u32_e32 v7, 32, v7
	v_subrev_nc_u32_e32 v9, 28, v7
	v_sub_nc_u32_e32 v7, 29, v7
	s_delay_alu instid0(VALU_DEP_2) | instskip(NEXT) | instid1(VALU_DEP_2)
	v_lshlrev_b32_e32 v3, v9, v3
	v_cndmask_b32_e32 v7, v11, v7, vcc_lo
	s_delay_alu instid0(VALU_DEP_2) | instskip(NEXT) | instid1(VALU_DEP_1)
	v_and_b32_e32 v3, 7, v3
	v_cndmask_b32_e32 v3, v5, v3, vcc_lo
	s_delay_alu instid0(VALU_DEP_3) | instskip(NEXT) | instid1(VALU_DEP_2)
	v_lshl_add_u32 v5, v7, 23, 0x3b800000
	v_lshlrev_b32_e32 v3, 20, v3
	s_delay_alu instid0(VALU_DEP_1) | instskip(NEXT) | instid1(VALU_DEP_1)
	v_or3_b32 v1, v1, v5, v3
	v_trunc_f32_e32 v1, v1
	s_delay_alu instid0(VALU_DEP_1) | instskip(NEXT) | instid1(VALU_DEP_1)
	v_mul_f32_e64 v3, 0x2f800000, |v1|
	v_floor_f32_e32 v3, v3
	s_delay_alu instid0(VALU_DEP_1) | instskip(SKIP_1) | instid1(VALU_DEP_2)
	v_fma_f32 v3, 0xcf800000, v3, |v1|
	v_ashrrev_i32_e32 v1, 31, v1
	v_cvt_u32_f32_e32 v3, v3
	s_delay_alu instid0(VALU_DEP_1) | instskip(NEXT) | instid1(VALU_DEP_1)
	v_xor_b32_e32 v3, v3, v1
	v_sub_nc_u32_e32 v18, v3, v1
.LBB103_2517:
	s_or_b32 exec_lo, exec_lo, s18
.LBB103_2518:
	s_mov_b32 s18, -1
.LBB103_2519:
	s_mov_b32 s19, 0
.LBB103_2520:
	s_delay_alu instid0(SALU_CYCLE_1)
	s_and_b32 vcc_lo, exec_lo, s19
	s_cbranch_vccz .LBB103_2551
; %bb.2521:
	s_cmp_gt_i32 s13, 22
	s_cbranch_scc0 .LBB103_2529
; %bb.2522:
	s_cmp_lt_i32 s13, 24
	s_cbranch_scc1 .LBB103_2532
; %bb.2523:
	s_cmp_gt_i32 s13, 24
	s_cbranch_scc0 .LBB103_2533
; %bb.2524:
	global_load_u8 v1, v[32:33], off
	s_mov_b32 s18, 0
	s_mov_b32 s17, exec_lo
	s_wait_loadcnt 0x0
	v_cmpx_lt_i16_e32 0x7f, v1
	s_xor_b32 s17, exec_lo, s17
	s_cbranch_execz .LBB103_2545
; %bb.2525:
	v_cmp_ne_u16_e32 vcc_lo, 0x80, v1
	s_and_b32 s18, vcc_lo, exec_lo
	s_and_not1_saveexec_b32 s17, s17
	s_cbranch_execnz .LBB103_2546
.LBB103_2526:
	s_or_b32 exec_lo, exec_lo, s17
	v_mov_b32_e32 v18, 0
	s_and_saveexec_b32 s17, s18
	s_cbranch_execz .LBB103_2528
.LBB103_2527:
	v_and_b32_e32 v3, 0xffff, v1
	s_delay_alu instid0(VALU_DEP_1) | instskip(SKIP_1) | instid1(VALU_DEP_2)
	v_dual_lshlrev_b32 v1, 24, v1 :: v_dual_bitop2_b32 v5, 3, v3 bitop3:0x40
	v_bfe_u32 v11, v3, 2, 5
	v_and_b32_e32 v1, 0x80000000, v1
	s_delay_alu instid0(VALU_DEP_3) | instskip(NEXT) | instid1(VALU_DEP_3)
	v_clz_i32_u32_e32 v7, v5
	v_cmp_eq_u32_e32 vcc_lo, 0, v11
	s_delay_alu instid0(VALU_DEP_2) | instskip(NEXT) | instid1(VALU_DEP_1)
	v_min_u32_e32 v7, 32, v7
	v_subrev_nc_u32_e32 v9, 29, v7
	v_sub_nc_u32_e32 v7, 30, v7
	s_delay_alu instid0(VALU_DEP_2) | instskip(NEXT) | instid1(VALU_DEP_2)
	v_lshlrev_b32_e32 v3, v9, v3
	v_cndmask_b32_e32 v7, v11, v7, vcc_lo
	s_delay_alu instid0(VALU_DEP_2) | instskip(NEXT) | instid1(VALU_DEP_1)
	v_and_b32_e32 v3, 3, v3
	v_cndmask_b32_e32 v3, v5, v3, vcc_lo
	s_delay_alu instid0(VALU_DEP_3) | instskip(NEXT) | instid1(VALU_DEP_2)
	v_lshl_add_u32 v5, v7, 23, 0x37800000
	v_lshlrev_b32_e32 v3, 21, v3
	s_delay_alu instid0(VALU_DEP_1) | instskip(NEXT) | instid1(VALU_DEP_1)
	v_or3_b32 v1, v1, v5, v3
	v_trunc_f32_e32 v1, v1
	s_delay_alu instid0(VALU_DEP_1) | instskip(NEXT) | instid1(VALU_DEP_1)
	v_mul_f32_e64 v3, 0x2f800000, |v1|
	v_floor_f32_e32 v3, v3
	s_delay_alu instid0(VALU_DEP_1) | instskip(SKIP_1) | instid1(VALU_DEP_2)
	v_fma_f32 v3, 0xcf800000, v3, |v1|
	v_ashrrev_i32_e32 v1, 31, v1
	v_cvt_u32_f32_e32 v3, v3
	s_delay_alu instid0(VALU_DEP_1) | instskip(NEXT) | instid1(VALU_DEP_1)
	v_xor_b32_e32 v3, v3, v1
	v_sub_nc_u32_e32 v18, v3, v1
.LBB103_2528:
	s_or_b32 exec_lo, exec_lo, s17
	s_mov_b32 s17, 0
	s_branch .LBB103_2534
.LBB103_2529:
	s_mov_b32 s17, -1
                                        ; implicit-def: $vgpr18
	s_branch .LBB103_2540
.LBB103_2530:
	s_and_not1_saveexec_b32 s18, s18
	s_cbranch_execz .LBB103_2515
.LBB103_2531:
	v_cmp_ne_u16_e32 vcc_lo, 0, v1
	s_and_not1_b32 s19, s19, exec_lo
	s_and_b32 s20, vcc_lo, exec_lo
	s_delay_alu instid0(SALU_CYCLE_1)
	s_or_b32 s19, s19, s20
	s_or_b32 exec_lo, exec_lo, s18
	v_mov_b32_e32 v18, 0
	s_and_saveexec_b32 s18, s19
	s_cbranch_execnz .LBB103_2516
	s_branch .LBB103_2517
.LBB103_2532:
	s_mov_b32 s17, -1
                                        ; implicit-def: $vgpr18
	s_branch .LBB103_2537
.LBB103_2533:
	s_mov_b32 s17, -1
                                        ; implicit-def: $vgpr18
.LBB103_2534:
	s_delay_alu instid0(SALU_CYCLE_1)
	s_and_b32 vcc_lo, exec_lo, s17
	s_cbranch_vccz .LBB103_2536
; %bb.2535:
	global_load_u8 v1, v[32:33], off
	s_wait_loadcnt 0x0
	v_lshlrev_b32_e32 v1, 24, v1
	s_delay_alu instid0(VALU_DEP_1) | instskip(NEXT) | instid1(VALU_DEP_1)
	v_and_b32_e32 v3, 0x7f000000, v1
	v_clz_i32_u32_e32 v5, v3
	v_add_nc_u32_e32 v9, 0x1000000, v3
	v_cmp_ne_u32_e32 vcc_lo, 0, v3
	s_delay_alu instid0(VALU_DEP_3) | instskip(NEXT) | instid1(VALU_DEP_1)
	v_min_u32_e32 v5, 32, v5
	v_sub_nc_u32_e64 v5, v5, 4 clamp
	s_delay_alu instid0(VALU_DEP_1) | instskip(NEXT) | instid1(VALU_DEP_1)
	v_dual_lshlrev_b32 v7, v5, v3 :: v_dual_lshlrev_b32 v5, 23, v5
	v_lshrrev_b32_e32 v7, 4, v7
	s_delay_alu instid0(VALU_DEP_1) | instskip(SKIP_1) | instid1(VALU_DEP_2)
	v_sub_nc_u32_e32 v5, v7, v5
	v_ashrrev_i32_e32 v7, 8, v9
	v_add_nc_u32_e32 v5, 0x3c000000, v5
	s_delay_alu instid0(VALU_DEP_1) | instskip(NEXT) | instid1(VALU_DEP_1)
	v_and_or_b32 v5, 0x7f800000, v7, v5
	v_cndmask_b32_e32 v3, 0, v5, vcc_lo
	s_delay_alu instid0(VALU_DEP_1) | instskip(NEXT) | instid1(VALU_DEP_1)
	v_and_or_b32 v1, 0x80000000, v1, v3
	v_trunc_f32_e32 v1, v1
	s_delay_alu instid0(VALU_DEP_1) | instskip(NEXT) | instid1(VALU_DEP_1)
	v_mul_f32_e64 v3, 0x2f800000, |v1|
	v_floor_f32_e32 v3, v3
	s_delay_alu instid0(VALU_DEP_1) | instskip(SKIP_1) | instid1(VALU_DEP_2)
	v_fma_f32 v3, 0xcf800000, v3, |v1|
	v_ashrrev_i32_e32 v1, 31, v1
	v_cvt_u32_f32_e32 v3, v3
	s_delay_alu instid0(VALU_DEP_1) | instskip(NEXT) | instid1(VALU_DEP_1)
	v_xor_b32_e32 v3, v3, v1
	v_sub_nc_u32_e32 v18, v3, v1
.LBB103_2536:
	s_mov_b32 s17, 0
.LBB103_2537:
	s_delay_alu instid0(SALU_CYCLE_1)
	s_and_not1_b32 vcc_lo, exec_lo, s17
	s_cbranch_vccnz .LBB103_2539
; %bb.2538:
	global_load_u8 v1, v[32:33], off
	s_wait_loadcnt 0x0
	v_lshlrev_b32_e32 v3, 25, v1
	v_lshlrev_b16 v1, 8, v1
	s_delay_alu instid0(VALU_DEP_1) | instskip(SKIP_1) | instid1(VALU_DEP_2)
	v_and_or_b32 v7, 0x7f00, v1, 0.5
	v_bfe_i32 v1, v1, 0, 16
	v_add_f32_e32 v7, -0.5, v7
	v_lshrrev_b32_e32 v5, 4, v3
	v_cmp_gt_u32_e32 vcc_lo, 0x8000000, v3
	s_delay_alu instid0(VALU_DEP_2) | instskip(NEXT) | instid1(VALU_DEP_1)
	v_or_b32_e32 v5, 0x70000000, v5
	v_mul_f32_e32 v5, 0x7800000, v5
	s_delay_alu instid0(VALU_DEP_1) | instskip(NEXT) | instid1(VALU_DEP_1)
	v_cndmask_b32_e32 v3, v5, v7, vcc_lo
	v_and_or_b32 v1, 0x80000000, v1, v3
	s_delay_alu instid0(VALU_DEP_1) | instskip(NEXT) | instid1(VALU_DEP_1)
	v_trunc_f32_e32 v1, v1
	v_mul_f32_e64 v3, 0x2f800000, |v1|
	s_delay_alu instid0(VALU_DEP_1) | instskip(NEXT) | instid1(VALU_DEP_1)
	v_floor_f32_e32 v3, v3
	v_fma_f32 v3, 0xcf800000, v3, |v1|
	v_ashrrev_i32_e32 v1, 31, v1
	s_delay_alu instid0(VALU_DEP_2) | instskip(NEXT) | instid1(VALU_DEP_1)
	v_cvt_u32_f32_e32 v3, v3
	v_xor_b32_e32 v3, v3, v1
	s_delay_alu instid0(VALU_DEP_1)
	v_sub_nc_u32_e32 v18, v3, v1
.LBB103_2539:
	s_mov_b32 s17, 0
	s_mov_b32 s18, -1
.LBB103_2540:
	s_and_not1_b32 vcc_lo, exec_lo, s17
	s_mov_b32 s17, 0
	s_cbranch_vccnz .LBB103_2551
; %bb.2541:
	s_cmp_gt_i32 s13, 14
	s_cbranch_scc0 .LBB103_2544
; %bb.2542:
	s_cmp_eq_u32 s13, 15
	s_cbranch_scc0 .LBB103_2547
; %bb.2543:
	global_load_u16 v1, v[32:33], off
	s_mov_b32 s16, 0
	s_mov_b32 s18, -1
	s_wait_loadcnt 0x0
	v_lshlrev_b32_e32 v1, 16, v1
	s_delay_alu instid0(VALU_DEP_1) | instskip(NEXT) | instid1(VALU_DEP_1)
	v_trunc_f32_e32 v1, v1
	v_mul_f32_e64 v3, 0x2f800000, |v1|
	s_delay_alu instid0(VALU_DEP_1) | instskip(NEXT) | instid1(VALU_DEP_1)
	v_floor_f32_e32 v3, v3
	v_fma_f32 v3, 0xcf800000, v3, |v1|
	v_ashrrev_i32_e32 v1, 31, v1
	s_delay_alu instid0(VALU_DEP_2) | instskip(NEXT) | instid1(VALU_DEP_1)
	v_cvt_u32_f32_e32 v3, v3
	v_xor_b32_e32 v3, v3, v1
	s_delay_alu instid0(VALU_DEP_1)
	v_sub_nc_u32_e32 v18, v3, v1
	s_branch .LBB103_2549
.LBB103_2544:
	s_mov_b32 s17, -1
	s_branch .LBB103_2548
.LBB103_2545:
	s_and_not1_saveexec_b32 s17, s17
	s_cbranch_execz .LBB103_2526
.LBB103_2546:
	v_cmp_ne_u16_e32 vcc_lo, 0, v1
	s_and_not1_b32 s18, s18, exec_lo
	s_and_b32 s19, vcc_lo, exec_lo
	s_delay_alu instid0(SALU_CYCLE_1)
	s_or_b32 s18, s18, s19
	s_or_b32 exec_lo, exec_lo, s17
	v_mov_b32_e32 v18, 0
	s_and_saveexec_b32 s17, s18
	s_cbranch_execnz .LBB103_2527
	s_branch .LBB103_2528
.LBB103_2547:
	s_mov_b32 s16, -1
.LBB103_2548:
                                        ; implicit-def: $vgpr18
.LBB103_2549:
	s_and_b32 vcc_lo, exec_lo, s17
	s_mov_b32 s17, 0
	s_cbranch_vccz .LBB103_2551
; %bb.2550:
	s_cmp_lg_u32 s13, 11
	s_mov_b32 s17, -1
	s_cselect_b32 s16, -1, 0
.LBB103_2551:
	s_delay_alu instid0(SALU_CYCLE_1)
	s_and_b32 vcc_lo, exec_lo, s16
	s_cbranch_vccnz .LBB103_2616
; %bb.2552:
	s_and_not1_b32 vcc_lo, exec_lo, s17
	s_cbranch_vccnz .LBB103_2554
.LBB103_2553:
	global_load_u8 v1, v[32:33], off
	s_mov_b32 s18, -1
	s_wait_loadcnt 0x0
	v_cmp_ne_u16_e32 vcc_lo, 0, v1
	v_cndmask_b32_e64 v18, 0, 1, vcc_lo
.LBB103_2554:
	s_mov_b32 s16, 0
.LBB103_2555:
	s_delay_alu instid0(SALU_CYCLE_1)
	s_and_b32 vcc_lo, exec_lo, s16
	s_cbranch_vccz .LBB103_2604
; %bb.2556:
	s_cmp_lt_i32 s13, 5
	s_cbranch_scc1 .LBB103_2561
; %bb.2557:
	s_cmp_lt_i32 s13, 8
	s_cbranch_scc1 .LBB103_2562
	;; [unrolled: 3-line block ×3, first 2 shown]
; %bb.2559:
	s_cmp_gt_i32 s13, 9
	s_cbranch_scc0 .LBB103_2564
; %bb.2560:
	s_wait_loadcnt 0x0
	global_load_b64 v[18:19], v[32:33], off
	s_mov_b32 s16, 0
	s_wait_loadcnt 0x0
	v_trunc_f64_e32 v[18:19], v[18:19]
	s_delay_alu instid0(VALU_DEP_1) | instskip(NEXT) | instid1(VALU_DEP_1)
	v_ldexp_f64 v[34:35], v[18:19], 0xffffffe0
	v_floor_f64_e32 v[34:35], v[34:35]
	s_delay_alu instid0(VALU_DEP_1) | instskip(NEXT) | instid1(VALU_DEP_1)
	v_fmamk_f64 v[18:19], v[34:35], 0xc1f00000, v[18:19]
	v_cvt_u32_f64_e32 v18, v[18:19]
	s_branch .LBB103_2565
.LBB103_2561:
	s_mov_b32 s16, -1
                                        ; implicit-def: $vgpr18
	s_branch .LBB103_2583
.LBB103_2562:
	s_mov_b32 s16, -1
                                        ; implicit-def: $vgpr18
	s_branch .LBB103_2571
.LBB103_2563:
	s_mov_b32 s16, -1
                                        ; implicit-def: $vgpr18
	s_branch .LBB103_2568
.LBB103_2564:
	s_mov_b32 s16, -1
                                        ; implicit-def: $vgpr18
.LBB103_2565:
	s_delay_alu instid0(SALU_CYCLE_1)
	s_and_not1_b32 vcc_lo, exec_lo, s16
	s_cbranch_vccnz .LBB103_2567
; %bb.2566:
	global_load_b32 v1, v[32:33], off
	s_wait_loadcnt 0x0
	v_trunc_f32_e32 v1, v1
	s_delay_alu instid0(VALU_DEP_1) | instskip(NEXT) | instid1(VALU_DEP_1)
	v_mul_f32_e64 v3, 0x2f800000, |v1|
	v_floor_f32_e32 v3, v3
	s_delay_alu instid0(VALU_DEP_1) | instskip(SKIP_1) | instid1(VALU_DEP_2)
	v_fma_f32 v3, 0xcf800000, v3, |v1|
	v_ashrrev_i32_e32 v1, 31, v1
	v_cvt_u32_f32_e32 v3, v3
	s_delay_alu instid0(VALU_DEP_1) | instskip(NEXT) | instid1(VALU_DEP_1)
	v_xor_b32_e32 v3, v3, v1
	v_sub_nc_u32_e32 v18, v3, v1
.LBB103_2567:
	s_mov_b32 s16, 0
.LBB103_2568:
	s_delay_alu instid0(SALU_CYCLE_1)
	s_and_not1_b32 vcc_lo, exec_lo, s16
	s_cbranch_vccnz .LBB103_2570
; %bb.2569:
	global_load_b32 v1, v[32:33], off
	s_wait_loadcnt 0x0
	v_cvt_f32_f16_e32 v1, v1
	s_delay_alu instid0(VALU_DEP_1)
	v_cvt_i32_f32_e32 v18, v1
.LBB103_2570:
	s_mov_b32 s16, 0
.LBB103_2571:
	s_delay_alu instid0(SALU_CYCLE_1)
	s_and_not1_b32 vcc_lo, exec_lo, s16
	s_cbranch_vccnz .LBB103_2582
; %bb.2572:
	s_cmp_lt_i32 s13, 6
	s_cbranch_scc1 .LBB103_2575
; %bb.2573:
	s_cmp_gt_i32 s13, 6
	s_cbranch_scc0 .LBB103_2576
; %bb.2574:
	s_wait_loadcnt 0x0
	global_load_b64 v[18:19], v[32:33], off
	s_mov_b32 s16, 0
	s_wait_loadcnt 0x0
	v_trunc_f64_e32 v[18:19], v[18:19]
	s_delay_alu instid0(VALU_DEP_1) | instskip(NEXT) | instid1(VALU_DEP_1)
	v_ldexp_f64 v[34:35], v[18:19], 0xffffffe0
	v_floor_f64_e32 v[34:35], v[34:35]
	s_delay_alu instid0(VALU_DEP_1) | instskip(NEXT) | instid1(VALU_DEP_1)
	v_fmamk_f64 v[18:19], v[34:35], 0xc1f00000, v[18:19]
	v_cvt_u32_f64_e32 v18, v[18:19]
	s_branch .LBB103_2577
.LBB103_2575:
	s_mov_b32 s16, -1
                                        ; implicit-def: $vgpr18
	s_branch .LBB103_2580
.LBB103_2576:
	s_mov_b32 s16, -1
                                        ; implicit-def: $vgpr18
.LBB103_2577:
	s_delay_alu instid0(SALU_CYCLE_1)
	s_and_not1_b32 vcc_lo, exec_lo, s16
	s_cbranch_vccnz .LBB103_2579
; %bb.2578:
	global_load_b32 v1, v[32:33], off
	s_wait_loadcnt 0x0
	v_trunc_f32_e32 v1, v1
	s_delay_alu instid0(VALU_DEP_1) | instskip(NEXT) | instid1(VALU_DEP_1)
	v_mul_f32_e64 v3, 0x2f800000, |v1|
	v_floor_f32_e32 v3, v3
	s_delay_alu instid0(VALU_DEP_1) | instskip(SKIP_1) | instid1(VALU_DEP_2)
	v_fma_f32 v3, 0xcf800000, v3, |v1|
	v_ashrrev_i32_e32 v1, 31, v1
	v_cvt_u32_f32_e32 v3, v3
	s_delay_alu instid0(VALU_DEP_1) | instskip(NEXT) | instid1(VALU_DEP_1)
	v_xor_b32_e32 v3, v3, v1
	v_sub_nc_u32_e32 v18, v3, v1
.LBB103_2579:
	s_mov_b32 s16, 0
.LBB103_2580:
	s_delay_alu instid0(SALU_CYCLE_1)
	s_and_not1_b32 vcc_lo, exec_lo, s16
	s_cbranch_vccnz .LBB103_2582
; %bb.2581:
	global_load_u16 v1, v[32:33], off
	s_wait_loadcnt 0x0
	v_cvt_f32_f16_e32 v1, v1
	s_delay_alu instid0(VALU_DEP_1)
	v_cvt_i32_f32_e32 v18, v1
.LBB103_2582:
	s_mov_b32 s16, 0
.LBB103_2583:
	s_delay_alu instid0(SALU_CYCLE_1)
	s_and_not1_b32 vcc_lo, exec_lo, s16
	s_cbranch_vccnz .LBB103_2603
; %bb.2584:
	s_cmp_lt_i32 s13, 2
	s_cbranch_scc1 .LBB103_2588
; %bb.2585:
	s_cmp_lt_i32 s13, 3
	s_cbranch_scc1 .LBB103_2589
; %bb.2586:
	s_cmp_gt_i32 s13, 3
	s_cbranch_scc0 .LBB103_2590
; %bb.2587:
	s_wait_loadcnt 0x0
	global_load_b64 v[18:19], v[32:33], off
	s_mov_b32 s16, 0
	s_branch .LBB103_2591
.LBB103_2588:
	s_mov_b32 s16, -1
                                        ; implicit-def: $vgpr18
	s_branch .LBB103_2597
.LBB103_2589:
	s_mov_b32 s16, -1
                                        ; implicit-def: $vgpr18
	s_branch .LBB103_2594
.LBB103_2590:
	s_mov_b32 s16, -1
                                        ; implicit-def: $vgpr18
.LBB103_2591:
	s_delay_alu instid0(SALU_CYCLE_1)
	s_and_not1_b32 vcc_lo, exec_lo, s16
	s_cbranch_vccnz .LBB103_2593
; %bb.2592:
	s_wait_loadcnt 0x0
	global_load_b32 v18, v[32:33], off
.LBB103_2593:
	s_mov_b32 s16, 0
.LBB103_2594:
	s_delay_alu instid0(SALU_CYCLE_1)
	s_and_not1_b32 vcc_lo, exec_lo, s16
	s_cbranch_vccnz .LBB103_2596
; %bb.2595:
	s_wait_loadcnt 0x0
	global_load_u16 v18, v[32:33], off
.LBB103_2596:
	s_mov_b32 s16, 0
.LBB103_2597:
	s_delay_alu instid0(SALU_CYCLE_1)
	s_and_not1_b32 vcc_lo, exec_lo, s16
	s_cbranch_vccnz .LBB103_2603
; %bb.2598:
	s_cmp_gt_i32 s13, 0
	s_mov_b32 s16, 0
	s_cbranch_scc0 .LBB103_2600
; %bb.2599:
	s_wait_loadcnt 0x0
	global_load_u8 v18, v[32:33], off
	s_branch .LBB103_2601
.LBB103_2600:
	s_mov_b32 s16, -1
                                        ; implicit-def: $vgpr18
.LBB103_2601:
	s_delay_alu instid0(SALU_CYCLE_1)
	s_and_not1_b32 vcc_lo, exec_lo, s16
	s_cbranch_vccnz .LBB103_2603
; %bb.2602:
	s_wait_loadcnt 0x0
	global_load_u8 v18, v[32:33], off
.LBB103_2603:
	s_mov_b32 s18, -1
.LBB103_2604:
	s_delay_alu instid0(SALU_CYCLE_1)
	s_and_not1_b32 vcc_lo, exec_lo, s18
	s_cbranch_vccnz .LBB103_4058
; %bb.2605:
	v_mov_b32_e32 v23, 0
	s_and_b32 s14, 0xffff, s14
	s_delay_alu instid0(SALU_CYCLE_1) | instskip(SKIP_1) | instid1(VALU_DEP_1)
	s_cmp_lt_i32 s14, 11
	s_wait_xcnt 0x0
	v_add_nc_u64_e32 v[32:33], s[0:1], v[22:23]
	s_cbranch_scc1 .LBB103_2612
; %bb.2606:
	s_cmp_gt_i32 s14, 25
	s_mov_b32 s17, 0
	s_cbranch_scc0 .LBB103_2613
; %bb.2607:
	s_cmp_gt_i32 s14, 28
	s_cbranch_scc0 .LBB103_2614
; %bb.2608:
	s_cmp_gt_i32 s14, 43
	;; [unrolled: 3-line block ×3, first 2 shown]
	s_cbranch_scc0 .LBB103_2617
; %bb.2610:
	s_cmp_eq_u32 s14, 46
	s_mov_b32 s19, 0
	s_cbranch_scc0 .LBB103_2618
; %bb.2611:
	global_load_b32 v1, v[32:33], off
	s_mov_b32 s16, 0
	s_mov_b32 s18, -1
	s_wait_loadcnt 0x0
	v_lshlrev_b32_e32 v1, 16, v1
	s_delay_alu instid0(VALU_DEP_1) | instskip(NEXT) | instid1(VALU_DEP_1)
	v_trunc_f32_e32 v1, v1
	v_mul_f32_e64 v3, 0x2f800000, |v1|
	s_delay_alu instid0(VALU_DEP_1) | instskip(NEXT) | instid1(VALU_DEP_1)
	v_floor_f32_e32 v3, v3
	v_fma_f32 v3, 0xcf800000, v3, |v1|
	v_ashrrev_i32_e32 v1, 31, v1
	s_delay_alu instid0(VALU_DEP_2) | instskip(NEXT) | instid1(VALU_DEP_1)
	v_cvt_u32_f32_e32 v3, v3
	v_xor_b32_e32 v3, v3, v1
	s_delay_alu instid0(VALU_DEP_1)
	v_sub_nc_u32_e32 v22, v3, v1
	s_branch .LBB103_2620
.LBB103_2612:
	s_mov_b32 s16, -1
	s_mov_b32 s18, 0
                                        ; implicit-def: $vgpr22
	s_branch .LBB103_2682
.LBB103_2613:
	s_mov_b32 s19, -1
	s_mov_b32 s18, 0
	s_mov_b32 s16, 0
                                        ; implicit-def: $vgpr22
	s_branch .LBB103_2647
.LBB103_2614:
	s_mov_b32 s19, -1
	s_mov_b32 s18, 0
	s_mov_b32 s16, 0
                                        ; implicit-def: $vgpr22
	s_branch .LBB103_2630
.LBB103_2615:
	s_mov_b32 s19, -1
	s_mov_b32 s18, 0
	s_mov_b32 s16, 0
                                        ; implicit-def: $vgpr22
	s_branch .LBB103_2625
.LBB103_2616:
	s_or_b32 s12, s12, exec_lo
	s_trap 2
	s_cbranch_execz .LBB103_2553
	s_branch .LBB103_2554
.LBB103_2617:
	s_mov_b32 s19, -1
	s_mov_b32 s18, 0
	s_mov_b32 s16, 0
	s_branch .LBB103_2619
.LBB103_2618:
	s_mov_b32 s16, -1
	s_mov_b32 s18, 0
.LBB103_2619:
                                        ; implicit-def: $vgpr22
.LBB103_2620:
	s_and_b32 vcc_lo, exec_lo, s19
	s_cbranch_vccz .LBB103_2624
; %bb.2621:
	s_cmp_eq_u32 s14, 44
	s_cbranch_scc0 .LBB103_2623
; %bb.2622:
	global_load_u8 v1, v[32:33], off
	s_mov_b32 s16, 0
	s_mov_b32 s18, -1
	s_wait_loadcnt 0x0
	v_lshlrev_b32_e32 v3, 23, v1
	v_cmp_ne_u32_e32 vcc_lo, 0, v1
	s_delay_alu instid0(VALU_DEP_2) | instskip(NEXT) | instid1(VALU_DEP_1)
	v_trunc_f32_e32 v3, v3
	v_mul_f32_e64 v5, 0x2f800000, |v3|
	s_delay_alu instid0(VALU_DEP_1) | instskip(NEXT) | instid1(VALU_DEP_1)
	v_floor_f32_e32 v5, v5
	v_fma_f32 v5, 0xcf800000, v5, |v3|
	v_ashrrev_i32_e32 v3, 31, v3
	s_delay_alu instid0(VALU_DEP_2) | instskip(NEXT) | instid1(VALU_DEP_1)
	v_cvt_u32_f32_e32 v5, v5
	v_xor_b32_e32 v5, v5, v3
	s_delay_alu instid0(VALU_DEP_1) | instskip(NEXT) | instid1(VALU_DEP_1)
	v_sub_nc_u32_e32 v3, v5, v3
	v_cndmask_b32_e32 v22, 0, v3, vcc_lo
	s_branch .LBB103_2624
.LBB103_2623:
	s_mov_b32 s16, -1
                                        ; implicit-def: $vgpr22
.LBB103_2624:
	s_mov_b32 s19, 0
.LBB103_2625:
	s_delay_alu instid0(SALU_CYCLE_1)
	s_and_b32 vcc_lo, exec_lo, s19
	s_cbranch_vccz .LBB103_2629
; %bb.2626:
	s_cmp_eq_u32 s14, 29
	s_cbranch_scc0 .LBB103_2628
; %bb.2627:
	global_load_b64 v[22:23], v[32:33], off
	s_mov_b32 s16, 0
	s_mov_b32 s18, -1
	s_branch .LBB103_2629
.LBB103_2628:
	s_mov_b32 s16, -1
                                        ; implicit-def: $vgpr22
.LBB103_2629:
	s_mov_b32 s19, 0
.LBB103_2630:
	s_delay_alu instid0(SALU_CYCLE_1)
	s_and_b32 vcc_lo, exec_lo, s19
	s_cbranch_vccz .LBB103_2646
; %bb.2631:
	s_cmp_lt_i32 s14, 27
	s_cbranch_scc1 .LBB103_2634
; %bb.2632:
	s_cmp_gt_i32 s14, 27
	s_cbranch_scc0 .LBB103_2635
; %bb.2633:
	s_wait_loadcnt 0x0
	global_load_b32 v22, v[32:33], off
	s_mov_b32 s18, 0
	s_branch .LBB103_2636
.LBB103_2634:
	s_mov_b32 s18, -1
                                        ; implicit-def: $vgpr22
	s_branch .LBB103_2639
.LBB103_2635:
	s_mov_b32 s18, -1
                                        ; implicit-def: $vgpr22
.LBB103_2636:
	s_delay_alu instid0(SALU_CYCLE_1)
	s_and_not1_b32 vcc_lo, exec_lo, s18
	s_cbranch_vccnz .LBB103_2638
; %bb.2637:
	s_wait_loadcnt 0x0
	global_load_u16 v22, v[32:33], off
.LBB103_2638:
	s_mov_b32 s18, 0
.LBB103_2639:
	s_delay_alu instid0(SALU_CYCLE_1)
	s_and_not1_b32 vcc_lo, exec_lo, s18
	s_cbranch_vccnz .LBB103_2645
; %bb.2640:
	global_load_u8 v1, v[32:33], off
	s_mov_b32 s19, 0
	s_mov_b32 s18, exec_lo
	s_wait_loadcnt 0x0
	v_cmpx_lt_i16_e32 0x7f, v1
	s_xor_b32 s18, exec_lo, s18
	s_cbranch_execz .LBB103_2657
; %bb.2641:
	v_cmp_ne_u16_e32 vcc_lo, 0x80, v1
	s_and_b32 s19, vcc_lo, exec_lo
	s_and_not1_saveexec_b32 s18, s18
	s_cbranch_execnz .LBB103_2658
.LBB103_2642:
	s_or_b32 exec_lo, exec_lo, s18
	v_mov_b32_e32 v22, 0
	s_and_saveexec_b32 s18, s19
	s_cbranch_execz .LBB103_2644
.LBB103_2643:
	v_and_b32_e32 v3, 0xffff, v1
	s_delay_alu instid0(VALU_DEP_1) | instskip(SKIP_1) | instid1(VALU_DEP_2)
	v_dual_lshlrev_b32 v1, 24, v1 :: v_dual_bitop2_b32 v5, 7, v3 bitop3:0x40
	v_bfe_u32 v11, v3, 3, 4
	v_and_b32_e32 v1, 0x80000000, v1
	s_delay_alu instid0(VALU_DEP_3) | instskip(NEXT) | instid1(VALU_DEP_3)
	v_clz_i32_u32_e32 v7, v5
	v_cmp_eq_u32_e32 vcc_lo, 0, v11
	s_delay_alu instid0(VALU_DEP_2) | instskip(NEXT) | instid1(VALU_DEP_1)
	v_min_u32_e32 v7, 32, v7
	v_subrev_nc_u32_e32 v9, 28, v7
	v_sub_nc_u32_e32 v7, 29, v7
	s_delay_alu instid0(VALU_DEP_2) | instskip(NEXT) | instid1(VALU_DEP_2)
	v_lshlrev_b32_e32 v3, v9, v3
	v_cndmask_b32_e32 v7, v11, v7, vcc_lo
	s_delay_alu instid0(VALU_DEP_2) | instskip(NEXT) | instid1(VALU_DEP_1)
	v_and_b32_e32 v3, 7, v3
	v_cndmask_b32_e32 v3, v5, v3, vcc_lo
	s_delay_alu instid0(VALU_DEP_3) | instskip(NEXT) | instid1(VALU_DEP_2)
	v_lshl_add_u32 v5, v7, 23, 0x3b800000
	v_lshlrev_b32_e32 v3, 20, v3
	s_delay_alu instid0(VALU_DEP_1) | instskip(NEXT) | instid1(VALU_DEP_1)
	v_or3_b32 v1, v1, v5, v3
	v_trunc_f32_e32 v1, v1
	s_delay_alu instid0(VALU_DEP_1) | instskip(NEXT) | instid1(VALU_DEP_1)
	v_mul_f32_e64 v3, 0x2f800000, |v1|
	v_floor_f32_e32 v3, v3
	s_delay_alu instid0(VALU_DEP_1) | instskip(SKIP_1) | instid1(VALU_DEP_2)
	v_fma_f32 v3, 0xcf800000, v3, |v1|
	v_ashrrev_i32_e32 v1, 31, v1
	v_cvt_u32_f32_e32 v3, v3
	s_delay_alu instid0(VALU_DEP_1) | instskip(NEXT) | instid1(VALU_DEP_1)
	v_xor_b32_e32 v3, v3, v1
	v_sub_nc_u32_e32 v22, v3, v1
.LBB103_2644:
	s_or_b32 exec_lo, exec_lo, s18
.LBB103_2645:
	s_mov_b32 s18, -1
.LBB103_2646:
	s_mov_b32 s19, 0
.LBB103_2647:
	s_delay_alu instid0(SALU_CYCLE_1)
	s_and_b32 vcc_lo, exec_lo, s19
	s_cbranch_vccz .LBB103_2678
; %bb.2648:
	s_cmp_gt_i32 s14, 22
	s_cbranch_scc0 .LBB103_2656
; %bb.2649:
	s_cmp_lt_i32 s14, 24
	s_cbranch_scc1 .LBB103_2659
; %bb.2650:
	s_cmp_gt_i32 s14, 24
	s_cbranch_scc0 .LBB103_2660
; %bb.2651:
	global_load_u8 v1, v[32:33], off
	s_mov_b32 s18, 0
	s_mov_b32 s17, exec_lo
	s_wait_loadcnt 0x0
	v_cmpx_lt_i16_e32 0x7f, v1
	s_xor_b32 s17, exec_lo, s17
	s_cbranch_execz .LBB103_2672
; %bb.2652:
	v_cmp_ne_u16_e32 vcc_lo, 0x80, v1
	s_and_b32 s18, vcc_lo, exec_lo
	s_and_not1_saveexec_b32 s17, s17
	s_cbranch_execnz .LBB103_2673
.LBB103_2653:
	s_or_b32 exec_lo, exec_lo, s17
	v_mov_b32_e32 v22, 0
	s_and_saveexec_b32 s17, s18
	s_cbranch_execz .LBB103_2655
.LBB103_2654:
	v_and_b32_e32 v3, 0xffff, v1
	s_delay_alu instid0(VALU_DEP_1) | instskip(SKIP_1) | instid1(VALU_DEP_2)
	v_dual_lshlrev_b32 v1, 24, v1 :: v_dual_bitop2_b32 v5, 3, v3 bitop3:0x40
	v_bfe_u32 v11, v3, 2, 5
	v_and_b32_e32 v1, 0x80000000, v1
	s_delay_alu instid0(VALU_DEP_3) | instskip(NEXT) | instid1(VALU_DEP_3)
	v_clz_i32_u32_e32 v7, v5
	v_cmp_eq_u32_e32 vcc_lo, 0, v11
	s_delay_alu instid0(VALU_DEP_2) | instskip(NEXT) | instid1(VALU_DEP_1)
	v_min_u32_e32 v7, 32, v7
	v_subrev_nc_u32_e32 v9, 29, v7
	v_sub_nc_u32_e32 v7, 30, v7
	s_delay_alu instid0(VALU_DEP_2) | instskip(NEXT) | instid1(VALU_DEP_2)
	v_lshlrev_b32_e32 v3, v9, v3
	v_cndmask_b32_e32 v7, v11, v7, vcc_lo
	s_delay_alu instid0(VALU_DEP_2) | instskip(NEXT) | instid1(VALU_DEP_1)
	v_and_b32_e32 v3, 3, v3
	v_cndmask_b32_e32 v3, v5, v3, vcc_lo
	s_delay_alu instid0(VALU_DEP_3) | instskip(NEXT) | instid1(VALU_DEP_2)
	v_lshl_add_u32 v5, v7, 23, 0x37800000
	v_lshlrev_b32_e32 v3, 21, v3
	s_delay_alu instid0(VALU_DEP_1) | instskip(NEXT) | instid1(VALU_DEP_1)
	v_or3_b32 v1, v1, v5, v3
	v_trunc_f32_e32 v1, v1
	s_delay_alu instid0(VALU_DEP_1) | instskip(NEXT) | instid1(VALU_DEP_1)
	v_mul_f32_e64 v3, 0x2f800000, |v1|
	v_floor_f32_e32 v3, v3
	s_delay_alu instid0(VALU_DEP_1) | instskip(SKIP_1) | instid1(VALU_DEP_2)
	v_fma_f32 v3, 0xcf800000, v3, |v1|
	v_ashrrev_i32_e32 v1, 31, v1
	v_cvt_u32_f32_e32 v3, v3
	s_delay_alu instid0(VALU_DEP_1) | instskip(NEXT) | instid1(VALU_DEP_1)
	v_xor_b32_e32 v3, v3, v1
	v_sub_nc_u32_e32 v22, v3, v1
.LBB103_2655:
	s_or_b32 exec_lo, exec_lo, s17
	s_mov_b32 s17, 0
	s_branch .LBB103_2661
.LBB103_2656:
	s_mov_b32 s17, -1
                                        ; implicit-def: $vgpr22
	s_branch .LBB103_2667
.LBB103_2657:
	s_and_not1_saveexec_b32 s18, s18
	s_cbranch_execz .LBB103_2642
.LBB103_2658:
	v_cmp_ne_u16_e32 vcc_lo, 0, v1
	s_and_not1_b32 s19, s19, exec_lo
	s_and_b32 s20, vcc_lo, exec_lo
	s_delay_alu instid0(SALU_CYCLE_1)
	s_or_b32 s19, s19, s20
	s_or_b32 exec_lo, exec_lo, s18
	v_mov_b32_e32 v22, 0
	s_and_saveexec_b32 s18, s19
	s_cbranch_execnz .LBB103_2643
	s_branch .LBB103_2644
.LBB103_2659:
	s_mov_b32 s17, -1
                                        ; implicit-def: $vgpr22
	s_branch .LBB103_2664
.LBB103_2660:
	s_mov_b32 s17, -1
                                        ; implicit-def: $vgpr22
.LBB103_2661:
	s_delay_alu instid0(SALU_CYCLE_1)
	s_and_b32 vcc_lo, exec_lo, s17
	s_cbranch_vccz .LBB103_2663
; %bb.2662:
	global_load_u8 v1, v[32:33], off
	s_wait_loadcnt 0x0
	v_lshlrev_b32_e32 v1, 24, v1
	s_delay_alu instid0(VALU_DEP_1) | instskip(NEXT) | instid1(VALU_DEP_1)
	v_and_b32_e32 v3, 0x7f000000, v1
	v_clz_i32_u32_e32 v5, v3
	v_add_nc_u32_e32 v9, 0x1000000, v3
	v_cmp_ne_u32_e32 vcc_lo, 0, v3
	s_delay_alu instid0(VALU_DEP_3) | instskip(NEXT) | instid1(VALU_DEP_1)
	v_min_u32_e32 v5, 32, v5
	v_sub_nc_u32_e64 v5, v5, 4 clamp
	s_delay_alu instid0(VALU_DEP_1) | instskip(NEXT) | instid1(VALU_DEP_1)
	v_dual_lshlrev_b32 v7, v5, v3 :: v_dual_lshlrev_b32 v5, 23, v5
	v_lshrrev_b32_e32 v7, 4, v7
	s_delay_alu instid0(VALU_DEP_1) | instskip(SKIP_1) | instid1(VALU_DEP_2)
	v_sub_nc_u32_e32 v5, v7, v5
	v_ashrrev_i32_e32 v7, 8, v9
	v_add_nc_u32_e32 v5, 0x3c000000, v5
	s_delay_alu instid0(VALU_DEP_1) | instskip(NEXT) | instid1(VALU_DEP_1)
	v_and_or_b32 v5, 0x7f800000, v7, v5
	v_cndmask_b32_e32 v3, 0, v5, vcc_lo
	s_delay_alu instid0(VALU_DEP_1) | instskip(NEXT) | instid1(VALU_DEP_1)
	v_and_or_b32 v1, 0x80000000, v1, v3
	v_trunc_f32_e32 v1, v1
	s_delay_alu instid0(VALU_DEP_1) | instskip(NEXT) | instid1(VALU_DEP_1)
	v_mul_f32_e64 v3, 0x2f800000, |v1|
	v_floor_f32_e32 v3, v3
	s_delay_alu instid0(VALU_DEP_1) | instskip(SKIP_1) | instid1(VALU_DEP_2)
	v_fma_f32 v3, 0xcf800000, v3, |v1|
	v_ashrrev_i32_e32 v1, 31, v1
	v_cvt_u32_f32_e32 v3, v3
	s_delay_alu instid0(VALU_DEP_1) | instskip(NEXT) | instid1(VALU_DEP_1)
	v_xor_b32_e32 v3, v3, v1
	v_sub_nc_u32_e32 v22, v3, v1
.LBB103_2663:
	s_mov_b32 s17, 0
.LBB103_2664:
	s_delay_alu instid0(SALU_CYCLE_1)
	s_and_not1_b32 vcc_lo, exec_lo, s17
	s_cbranch_vccnz .LBB103_2666
; %bb.2665:
	global_load_u8 v1, v[32:33], off
	s_wait_loadcnt 0x0
	v_lshlrev_b32_e32 v3, 25, v1
	v_lshlrev_b16 v1, 8, v1
	s_delay_alu instid0(VALU_DEP_1) | instskip(SKIP_1) | instid1(VALU_DEP_2)
	v_and_or_b32 v7, 0x7f00, v1, 0.5
	v_bfe_i32 v1, v1, 0, 16
	v_add_f32_e32 v7, -0.5, v7
	v_lshrrev_b32_e32 v5, 4, v3
	v_cmp_gt_u32_e32 vcc_lo, 0x8000000, v3
	s_delay_alu instid0(VALU_DEP_2) | instskip(NEXT) | instid1(VALU_DEP_1)
	v_or_b32_e32 v5, 0x70000000, v5
	v_mul_f32_e32 v5, 0x7800000, v5
	s_delay_alu instid0(VALU_DEP_1) | instskip(NEXT) | instid1(VALU_DEP_1)
	v_cndmask_b32_e32 v3, v5, v7, vcc_lo
	v_and_or_b32 v1, 0x80000000, v1, v3
	s_delay_alu instid0(VALU_DEP_1) | instskip(NEXT) | instid1(VALU_DEP_1)
	v_trunc_f32_e32 v1, v1
	v_mul_f32_e64 v3, 0x2f800000, |v1|
	s_delay_alu instid0(VALU_DEP_1) | instskip(NEXT) | instid1(VALU_DEP_1)
	v_floor_f32_e32 v3, v3
	v_fma_f32 v3, 0xcf800000, v3, |v1|
	v_ashrrev_i32_e32 v1, 31, v1
	s_delay_alu instid0(VALU_DEP_2) | instskip(NEXT) | instid1(VALU_DEP_1)
	v_cvt_u32_f32_e32 v3, v3
	v_xor_b32_e32 v3, v3, v1
	s_delay_alu instid0(VALU_DEP_1)
	v_sub_nc_u32_e32 v22, v3, v1
.LBB103_2666:
	s_mov_b32 s17, 0
	s_mov_b32 s18, -1
.LBB103_2667:
	s_and_not1_b32 vcc_lo, exec_lo, s17
	s_mov_b32 s17, 0
	s_cbranch_vccnz .LBB103_2678
; %bb.2668:
	s_cmp_gt_i32 s14, 14
	s_cbranch_scc0 .LBB103_2671
; %bb.2669:
	s_cmp_eq_u32 s14, 15
	s_cbranch_scc0 .LBB103_2674
; %bb.2670:
	global_load_u16 v1, v[32:33], off
	s_mov_b32 s16, 0
	s_mov_b32 s18, -1
	s_wait_loadcnt 0x0
	v_lshlrev_b32_e32 v1, 16, v1
	s_delay_alu instid0(VALU_DEP_1) | instskip(NEXT) | instid1(VALU_DEP_1)
	v_trunc_f32_e32 v1, v1
	v_mul_f32_e64 v3, 0x2f800000, |v1|
	s_delay_alu instid0(VALU_DEP_1) | instskip(NEXT) | instid1(VALU_DEP_1)
	v_floor_f32_e32 v3, v3
	v_fma_f32 v3, 0xcf800000, v3, |v1|
	v_ashrrev_i32_e32 v1, 31, v1
	s_delay_alu instid0(VALU_DEP_2) | instskip(NEXT) | instid1(VALU_DEP_1)
	v_cvt_u32_f32_e32 v3, v3
	v_xor_b32_e32 v3, v3, v1
	s_delay_alu instid0(VALU_DEP_1)
	v_sub_nc_u32_e32 v22, v3, v1
	s_branch .LBB103_2676
.LBB103_2671:
	s_mov_b32 s17, -1
	s_branch .LBB103_2675
.LBB103_2672:
	s_and_not1_saveexec_b32 s17, s17
	s_cbranch_execz .LBB103_2653
.LBB103_2673:
	v_cmp_ne_u16_e32 vcc_lo, 0, v1
	s_and_not1_b32 s18, s18, exec_lo
	s_and_b32 s19, vcc_lo, exec_lo
	s_delay_alu instid0(SALU_CYCLE_1)
	s_or_b32 s18, s18, s19
	s_or_b32 exec_lo, exec_lo, s17
	v_mov_b32_e32 v22, 0
	s_and_saveexec_b32 s17, s18
	s_cbranch_execnz .LBB103_2654
	s_branch .LBB103_2655
.LBB103_2674:
	s_mov_b32 s16, -1
.LBB103_2675:
                                        ; implicit-def: $vgpr22
.LBB103_2676:
	s_and_b32 vcc_lo, exec_lo, s17
	s_mov_b32 s17, 0
	s_cbranch_vccz .LBB103_2678
; %bb.2677:
	s_cmp_lg_u32 s14, 11
	s_mov_b32 s17, -1
	s_cselect_b32 s16, -1, 0
.LBB103_2678:
	s_delay_alu instid0(SALU_CYCLE_1)
	s_and_b32 vcc_lo, exec_lo, s16
	s_cbranch_vccnz .LBB103_2743
; %bb.2679:
	s_and_not1_b32 vcc_lo, exec_lo, s17
	s_cbranch_vccnz .LBB103_2681
.LBB103_2680:
	global_load_u8 v1, v[32:33], off
	s_mov_b32 s18, -1
	s_wait_loadcnt 0x0
	v_cmp_ne_u16_e32 vcc_lo, 0, v1
	v_cndmask_b32_e64 v22, 0, 1, vcc_lo
.LBB103_2681:
	s_mov_b32 s16, 0
.LBB103_2682:
	s_delay_alu instid0(SALU_CYCLE_1)
	s_and_b32 vcc_lo, exec_lo, s16
	s_cbranch_vccz .LBB103_2731
; %bb.2683:
	s_cmp_lt_i32 s14, 5
	s_cbranch_scc1 .LBB103_2688
; %bb.2684:
	s_cmp_lt_i32 s14, 8
	s_cbranch_scc1 .LBB103_2689
	;; [unrolled: 3-line block ×3, first 2 shown]
; %bb.2686:
	s_cmp_gt_i32 s14, 9
	s_cbranch_scc0 .LBB103_2691
; %bb.2687:
	s_wait_loadcnt 0x0
	global_load_b64 v[22:23], v[32:33], off
	s_mov_b32 s16, 0
	s_wait_loadcnt 0x0
	v_trunc_f64_e32 v[22:23], v[22:23]
	s_delay_alu instid0(VALU_DEP_1) | instskip(NEXT) | instid1(VALU_DEP_1)
	v_ldexp_f64 v[34:35], v[22:23], 0xffffffe0
	v_floor_f64_e32 v[34:35], v[34:35]
	s_delay_alu instid0(VALU_DEP_1) | instskip(NEXT) | instid1(VALU_DEP_1)
	v_fmamk_f64 v[22:23], v[34:35], 0xc1f00000, v[22:23]
	v_cvt_u32_f64_e32 v22, v[22:23]
	s_branch .LBB103_2692
.LBB103_2688:
	s_mov_b32 s16, -1
                                        ; implicit-def: $vgpr22
	s_branch .LBB103_2710
.LBB103_2689:
	s_mov_b32 s16, -1
                                        ; implicit-def: $vgpr22
	s_branch .LBB103_2698
.LBB103_2690:
	s_mov_b32 s16, -1
                                        ; implicit-def: $vgpr22
	s_branch .LBB103_2695
.LBB103_2691:
	s_mov_b32 s16, -1
                                        ; implicit-def: $vgpr22
.LBB103_2692:
	s_delay_alu instid0(SALU_CYCLE_1)
	s_and_not1_b32 vcc_lo, exec_lo, s16
	s_cbranch_vccnz .LBB103_2694
; %bb.2693:
	global_load_b32 v1, v[32:33], off
	s_wait_loadcnt 0x0
	v_trunc_f32_e32 v1, v1
	s_delay_alu instid0(VALU_DEP_1) | instskip(NEXT) | instid1(VALU_DEP_1)
	v_mul_f32_e64 v3, 0x2f800000, |v1|
	v_floor_f32_e32 v3, v3
	s_delay_alu instid0(VALU_DEP_1) | instskip(SKIP_1) | instid1(VALU_DEP_2)
	v_fma_f32 v3, 0xcf800000, v3, |v1|
	v_ashrrev_i32_e32 v1, 31, v1
	v_cvt_u32_f32_e32 v3, v3
	s_delay_alu instid0(VALU_DEP_1) | instskip(NEXT) | instid1(VALU_DEP_1)
	v_xor_b32_e32 v3, v3, v1
	v_sub_nc_u32_e32 v22, v3, v1
.LBB103_2694:
	s_mov_b32 s16, 0
.LBB103_2695:
	s_delay_alu instid0(SALU_CYCLE_1)
	s_and_not1_b32 vcc_lo, exec_lo, s16
	s_cbranch_vccnz .LBB103_2697
; %bb.2696:
	global_load_b32 v1, v[32:33], off
	s_wait_loadcnt 0x0
	v_cvt_f32_f16_e32 v1, v1
	s_delay_alu instid0(VALU_DEP_1)
	v_cvt_i32_f32_e32 v22, v1
.LBB103_2697:
	s_mov_b32 s16, 0
.LBB103_2698:
	s_delay_alu instid0(SALU_CYCLE_1)
	s_and_not1_b32 vcc_lo, exec_lo, s16
	s_cbranch_vccnz .LBB103_2709
; %bb.2699:
	s_cmp_lt_i32 s14, 6
	s_cbranch_scc1 .LBB103_2702
; %bb.2700:
	s_cmp_gt_i32 s14, 6
	s_cbranch_scc0 .LBB103_2703
; %bb.2701:
	s_wait_loadcnt 0x0
	global_load_b64 v[22:23], v[32:33], off
	s_mov_b32 s16, 0
	s_wait_loadcnt 0x0
	v_trunc_f64_e32 v[22:23], v[22:23]
	s_delay_alu instid0(VALU_DEP_1) | instskip(NEXT) | instid1(VALU_DEP_1)
	v_ldexp_f64 v[34:35], v[22:23], 0xffffffe0
	v_floor_f64_e32 v[34:35], v[34:35]
	s_delay_alu instid0(VALU_DEP_1) | instskip(NEXT) | instid1(VALU_DEP_1)
	v_fmamk_f64 v[22:23], v[34:35], 0xc1f00000, v[22:23]
	v_cvt_u32_f64_e32 v22, v[22:23]
	s_branch .LBB103_2704
.LBB103_2702:
	s_mov_b32 s16, -1
                                        ; implicit-def: $vgpr22
	s_branch .LBB103_2707
.LBB103_2703:
	s_mov_b32 s16, -1
                                        ; implicit-def: $vgpr22
.LBB103_2704:
	s_delay_alu instid0(SALU_CYCLE_1)
	s_and_not1_b32 vcc_lo, exec_lo, s16
	s_cbranch_vccnz .LBB103_2706
; %bb.2705:
	global_load_b32 v1, v[32:33], off
	s_wait_loadcnt 0x0
	v_trunc_f32_e32 v1, v1
	s_delay_alu instid0(VALU_DEP_1) | instskip(NEXT) | instid1(VALU_DEP_1)
	v_mul_f32_e64 v3, 0x2f800000, |v1|
	v_floor_f32_e32 v3, v3
	s_delay_alu instid0(VALU_DEP_1) | instskip(SKIP_1) | instid1(VALU_DEP_2)
	v_fma_f32 v3, 0xcf800000, v3, |v1|
	v_ashrrev_i32_e32 v1, 31, v1
	v_cvt_u32_f32_e32 v3, v3
	s_delay_alu instid0(VALU_DEP_1) | instskip(NEXT) | instid1(VALU_DEP_1)
	v_xor_b32_e32 v3, v3, v1
	v_sub_nc_u32_e32 v22, v3, v1
.LBB103_2706:
	s_mov_b32 s16, 0
.LBB103_2707:
	s_delay_alu instid0(SALU_CYCLE_1)
	s_and_not1_b32 vcc_lo, exec_lo, s16
	s_cbranch_vccnz .LBB103_2709
; %bb.2708:
	global_load_u16 v1, v[32:33], off
	s_wait_loadcnt 0x0
	v_cvt_f32_f16_e32 v1, v1
	s_delay_alu instid0(VALU_DEP_1)
	v_cvt_i32_f32_e32 v22, v1
.LBB103_2709:
	s_mov_b32 s16, 0
.LBB103_2710:
	s_delay_alu instid0(SALU_CYCLE_1)
	s_and_not1_b32 vcc_lo, exec_lo, s16
	s_cbranch_vccnz .LBB103_2730
; %bb.2711:
	s_cmp_lt_i32 s14, 2
	s_cbranch_scc1 .LBB103_2715
; %bb.2712:
	s_cmp_lt_i32 s14, 3
	s_cbranch_scc1 .LBB103_2716
; %bb.2713:
	s_cmp_gt_i32 s14, 3
	s_cbranch_scc0 .LBB103_2717
; %bb.2714:
	s_wait_loadcnt 0x0
	global_load_b64 v[22:23], v[32:33], off
	s_mov_b32 s16, 0
	s_branch .LBB103_2718
.LBB103_2715:
	s_mov_b32 s16, -1
                                        ; implicit-def: $vgpr22
	s_branch .LBB103_2724
.LBB103_2716:
	s_mov_b32 s16, -1
                                        ; implicit-def: $vgpr22
	s_branch .LBB103_2721
.LBB103_2717:
	s_mov_b32 s16, -1
                                        ; implicit-def: $vgpr22
.LBB103_2718:
	s_delay_alu instid0(SALU_CYCLE_1)
	s_and_not1_b32 vcc_lo, exec_lo, s16
	s_cbranch_vccnz .LBB103_2720
; %bb.2719:
	s_wait_loadcnt 0x0
	global_load_b32 v22, v[32:33], off
.LBB103_2720:
	s_mov_b32 s16, 0
.LBB103_2721:
	s_delay_alu instid0(SALU_CYCLE_1)
	s_and_not1_b32 vcc_lo, exec_lo, s16
	s_cbranch_vccnz .LBB103_2723
; %bb.2722:
	s_wait_loadcnt 0x0
	global_load_u16 v22, v[32:33], off
.LBB103_2723:
	s_mov_b32 s16, 0
.LBB103_2724:
	s_delay_alu instid0(SALU_CYCLE_1)
	s_and_not1_b32 vcc_lo, exec_lo, s16
	s_cbranch_vccnz .LBB103_2730
; %bb.2725:
	s_cmp_gt_i32 s14, 0
	s_mov_b32 s16, 0
	s_cbranch_scc0 .LBB103_2727
; %bb.2726:
	s_wait_loadcnt 0x0
	global_load_u8 v22, v[32:33], off
	s_branch .LBB103_2728
.LBB103_2727:
	s_mov_b32 s16, -1
                                        ; implicit-def: $vgpr22
.LBB103_2728:
	s_delay_alu instid0(SALU_CYCLE_1)
	s_and_not1_b32 vcc_lo, exec_lo, s16
	s_cbranch_vccnz .LBB103_2730
; %bb.2729:
	s_wait_loadcnt 0x0
	global_load_u8 v22, v[32:33], off
.LBB103_2730:
	s_mov_b32 s18, -1
.LBB103_2731:
	s_delay_alu instid0(SALU_CYCLE_1)
	s_and_not1_b32 vcc_lo, exec_lo, s18
	s_cbranch_vccnz .LBB103_4058
; %bb.2732:
	v_mov_b32_e32 v27, 0
	s_and_b32 s15, 0xffff, s15
	s_delay_alu instid0(SALU_CYCLE_1) | instskip(SKIP_1) | instid1(VALU_DEP_1)
	s_cmp_lt_i32 s15, 11
	s_wait_xcnt 0x0
	v_add_nc_u64_e32 v[32:33], s[8:9], v[26:27]
	s_cbranch_scc1 .LBB103_2739
; %bb.2733:
	s_cmp_gt_i32 s15, 25
	s_mov_b32 s17, 0
	s_cbranch_scc0 .LBB103_2740
; %bb.2734:
	s_cmp_gt_i32 s15, 28
	s_cbranch_scc0 .LBB103_2741
; %bb.2735:
	s_cmp_gt_i32 s15, 43
	;; [unrolled: 3-line block ×3, first 2 shown]
	s_cbranch_scc0 .LBB103_2744
; %bb.2737:
	s_cmp_eq_u32 s15, 46
	s_mov_b32 s19, 0
	s_cbranch_scc0 .LBB103_2747
; %bb.2738:
	global_load_b32 v1, v[32:33], off
	s_mov_b32 s16, 0
	s_mov_b32 s18, -1
	s_wait_loadcnt 0x0
	v_lshlrev_b32_e32 v1, 16, v1
	s_delay_alu instid0(VALU_DEP_1) | instskip(NEXT) | instid1(VALU_DEP_1)
	v_trunc_f32_e32 v1, v1
	v_mul_f32_e64 v3, 0x2f800000, |v1|
	s_delay_alu instid0(VALU_DEP_1) | instskip(NEXT) | instid1(VALU_DEP_1)
	v_floor_f32_e32 v3, v3
	v_fma_f32 v3, 0xcf800000, v3, |v1|
	v_ashrrev_i32_e32 v1, 31, v1
	s_delay_alu instid0(VALU_DEP_2) | instskip(NEXT) | instid1(VALU_DEP_1)
	v_cvt_u32_f32_e32 v3, v3
	v_xor_b32_e32 v3, v3, v1
	s_delay_alu instid0(VALU_DEP_1)
	v_sub_nc_u32_e32 v26, v3, v1
	s_branch .LBB103_2749
.LBB103_2739:
	s_mov_b32 s16, -1
	s_mov_b32 s18, 0
                                        ; implicit-def: $vgpr26
	s_branch .LBB103_2811
.LBB103_2740:
	s_mov_b32 s19, -1
	s_mov_b32 s18, 0
	s_mov_b32 s16, 0
                                        ; implicit-def: $vgpr26
	s_branch .LBB103_2776
.LBB103_2741:
	s_mov_b32 s19, -1
	s_mov_b32 s18, 0
	s_mov_b32 s16, 0
                                        ; implicit-def: $vgpr26
	s_branch .LBB103_2759
.LBB103_2742:
	s_mov_b32 s19, -1
	s_mov_b32 s18, 0
	s_mov_b32 s16, 0
                                        ; implicit-def: $vgpr26
	s_branch .LBB103_2754
.LBB103_2743:
	s_or_b32 s12, s12, exec_lo
	s_trap 2
	s_cbranch_execz .LBB103_2680
	s_branch .LBB103_2681
.LBB103_2744:
	s_mov_b32 s19, -1
	s_mov_b32 s18, 0
	s_mov_b32 s16, 0
	s_branch .LBB103_2748
.LBB103_2745:
	s_and_not1_saveexec_b32 s59, s59
	s_cbranch_execz .LBB103_1462
.LBB103_2746:
	v_add_f32_e32 v4, 0x46000000, v5
	s_and_not1_b32 s58, s58, exec_lo
	s_delay_alu instid0(VALU_DEP_1) | instskip(NEXT) | instid1(VALU_DEP_1)
	v_and_b32_e32 v4, 0xff, v4
	v_cmp_ne_u32_e32 vcc_lo, 0, v4
	s_and_b32 s60, vcc_lo, exec_lo
	s_delay_alu instid0(SALU_CYCLE_1)
	s_or_b32 s58, s58, s60
	s_or_b32 exec_lo, exec_lo, s59
	v_mov_b32_e32 v6, 0
	s_and_saveexec_b32 s59, s58
	s_cbranch_execnz .LBB103_1463
	s_branch .LBB103_1464
.LBB103_2747:
	s_mov_b32 s16, -1
	s_mov_b32 s18, 0
.LBB103_2748:
                                        ; implicit-def: $vgpr26
.LBB103_2749:
	s_and_b32 vcc_lo, exec_lo, s19
	s_cbranch_vccz .LBB103_2753
; %bb.2750:
	s_cmp_eq_u32 s15, 44
	s_cbranch_scc0 .LBB103_2752
; %bb.2751:
	global_load_u8 v1, v[32:33], off
	s_mov_b32 s16, 0
	s_mov_b32 s18, -1
	s_wait_loadcnt 0x0
	v_lshlrev_b32_e32 v3, 23, v1
	v_cmp_ne_u32_e32 vcc_lo, 0, v1
	s_delay_alu instid0(VALU_DEP_2) | instskip(NEXT) | instid1(VALU_DEP_1)
	v_trunc_f32_e32 v3, v3
	v_mul_f32_e64 v5, 0x2f800000, |v3|
	s_delay_alu instid0(VALU_DEP_1) | instskip(NEXT) | instid1(VALU_DEP_1)
	v_floor_f32_e32 v5, v5
	v_fma_f32 v5, 0xcf800000, v5, |v3|
	v_ashrrev_i32_e32 v3, 31, v3
	s_delay_alu instid0(VALU_DEP_2) | instskip(NEXT) | instid1(VALU_DEP_1)
	v_cvt_u32_f32_e32 v5, v5
	v_xor_b32_e32 v5, v5, v3
	s_delay_alu instid0(VALU_DEP_1) | instskip(NEXT) | instid1(VALU_DEP_1)
	v_sub_nc_u32_e32 v3, v5, v3
	v_cndmask_b32_e32 v26, 0, v3, vcc_lo
	s_branch .LBB103_2753
.LBB103_2752:
	s_mov_b32 s16, -1
                                        ; implicit-def: $vgpr26
.LBB103_2753:
	s_mov_b32 s19, 0
.LBB103_2754:
	s_delay_alu instid0(SALU_CYCLE_1)
	s_and_b32 vcc_lo, exec_lo, s19
	s_cbranch_vccz .LBB103_2758
; %bb.2755:
	s_cmp_eq_u32 s15, 29
	s_cbranch_scc0 .LBB103_2757
; %bb.2756:
	global_load_b64 v[26:27], v[32:33], off
	s_mov_b32 s16, 0
	s_mov_b32 s18, -1
	s_branch .LBB103_2758
.LBB103_2757:
	s_mov_b32 s16, -1
                                        ; implicit-def: $vgpr26
.LBB103_2758:
	s_mov_b32 s19, 0
.LBB103_2759:
	s_delay_alu instid0(SALU_CYCLE_1)
	s_and_b32 vcc_lo, exec_lo, s19
	s_cbranch_vccz .LBB103_2775
; %bb.2760:
	s_cmp_lt_i32 s15, 27
	s_cbranch_scc1 .LBB103_2763
; %bb.2761:
	s_cmp_gt_i32 s15, 27
	s_cbranch_scc0 .LBB103_2764
; %bb.2762:
	s_wait_loadcnt 0x0
	global_load_b32 v26, v[32:33], off
	s_mov_b32 s18, 0
	s_branch .LBB103_2765
.LBB103_2763:
	s_mov_b32 s18, -1
                                        ; implicit-def: $vgpr26
	s_branch .LBB103_2768
.LBB103_2764:
	s_mov_b32 s18, -1
                                        ; implicit-def: $vgpr26
.LBB103_2765:
	s_delay_alu instid0(SALU_CYCLE_1)
	s_and_not1_b32 vcc_lo, exec_lo, s18
	s_cbranch_vccnz .LBB103_2767
; %bb.2766:
	s_wait_loadcnt 0x0
	global_load_u16 v26, v[32:33], off
.LBB103_2767:
	s_mov_b32 s18, 0
.LBB103_2768:
	s_delay_alu instid0(SALU_CYCLE_1)
	s_and_not1_b32 vcc_lo, exec_lo, s18
	s_cbranch_vccnz .LBB103_2774
; %bb.2769:
	global_load_u8 v1, v[32:33], off
	s_mov_b32 s19, 0
	s_mov_b32 s18, exec_lo
	s_wait_loadcnt 0x0
	v_cmpx_lt_i16_e32 0x7f, v1
	s_xor_b32 s18, exec_lo, s18
	s_cbranch_execz .LBB103_2786
; %bb.2770:
	v_cmp_ne_u16_e32 vcc_lo, 0x80, v1
	s_and_b32 s19, vcc_lo, exec_lo
	s_and_not1_saveexec_b32 s18, s18
	s_cbranch_execnz .LBB103_2787
.LBB103_2771:
	s_or_b32 exec_lo, exec_lo, s18
	v_mov_b32_e32 v26, 0
	s_and_saveexec_b32 s18, s19
	s_cbranch_execz .LBB103_2773
.LBB103_2772:
	v_and_b32_e32 v3, 0xffff, v1
	s_delay_alu instid0(VALU_DEP_1) | instskip(SKIP_1) | instid1(VALU_DEP_2)
	v_dual_lshlrev_b32 v1, 24, v1 :: v_dual_bitop2_b32 v5, 7, v3 bitop3:0x40
	v_bfe_u32 v11, v3, 3, 4
	v_and_b32_e32 v1, 0x80000000, v1
	s_delay_alu instid0(VALU_DEP_3) | instskip(NEXT) | instid1(VALU_DEP_3)
	v_clz_i32_u32_e32 v7, v5
	v_cmp_eq_u32_e32 vcc_lo, 0, v11
	s_delay_alu instid0(VALU_DEP_2) | instskip(NEXT) | instid1(VALU_DEP_1)
	v_min_u32_e32 v7, 32, v7
	v_subrev_nc_u32_e32 v9, 28, v7
	v_sub_nc_u32_e32 v7, 29, v7
	s_delay_alu instid0(VALU_DEP_2) | instskip(NEXT) | instid1(VALU_DEP_2)
	v_lshlrev_b32_e32 v3, v9, v3
	v_cndmask_b32_e32 v7, v11, v7, vcc_lo
	s_delay_alu instid0(VALU_DEP_2) | instskip(NEXT) | instid1(VALU_DEP_1)
	v_and_b32_e32 v3, 7, v3
	v_cndmask_b32_e32 v3, v5, v3, vcc_lo
	s_delay_alu instid0(VALU_DEP_3) | instskip(NEXT) | instid1(VALU_DEP_2)
	v_lshl_add_u32 v5, v7, 23, 0x3b800000
	v_lshlrev_b32_e32 v3, 20, v3
	s_delay_alu instid0(VALU_DEP_1) | instskip(NEXT) | instid1(VALU_DEP_1)
	v_or3_b32 v1, v1, v5, v3
	v_trunc_f32_e32 v1, v1
	s_delay_alu instid0(VALU_DEP_1) | instskip(NEXT) | instid1(VALU_DEP_1)
	v_mul_f32_e64 v3, 0x2f800000, |v1|
	v_floor_f32_e32 v3, v3
	s_delay_alu instid0(VALU_DEP_1) | instskip(SKIP_1) | instid1(VALU_DEP_2)
	v_fma_f32 v3, 0xcf800000, v3, |v1|
	v_ashrrev_i32_e32 v1, 31, v1
	v_cvt_u32_f32_e32 v3, v3
	s_delay_alu instid0(VALU_DEP_1) | instskip(NEXT) | instid1(VALU_DEP_1)
	v_xor_b32_e32 v3, v3, v1
	v_sub_nc_u32_e32 v26, v3, v1
.LBB103_2773:
	s_or_b32 exec_lo, exec_lo, s18
.LBB103_2774:
	s_mov_b32 s18, -1
.LBB103_2775:
	s_mov_b32 s19, 0
.LBB103_2776:
	s_delay_alu instid0(SALU_CYCLE_1)
	s_and_b32 vcc_lo, exec_lo, s19
	s_cbranch_vccz .LBB103_2807
; %bb.2777:
	s_cmp_gt_i32 s15, 22
	s_cbranch_scc0 .LBB103_2785
; %bb.2778:
	s_cmp_lt_i32 s15, 24
	s_cbranch_scc1 .LBB103_2788
; %bb.2779:
	s_cmp_gt_i32 s15, 24
	s_cbranch_scc0 .LBB103_2789
; %bb.2780:
	global_load_u8 v1, v[32:33], off
	s_mov_b32 s18, 0
	s_mov_b32 s17, exec_lo
	s_wait_loadcnt 0x0
	v_cmpx_lt_i16_e32 0x7f, v1
	s_xor_b32 s17, exec_lo, s17
	s_cbranch_execz .LBB103_2801
; %bb.2781:
	v_cmp_ne_u16_e32 vcc_lo, 0x80, v1
	s_and_b32 s18, vcc_lo, exec_lo
	s_and_not1_saveexec_b32 s17, s17
	s_cbranch_execnz .LBB103_2802
.LBB103_2782:
	s_or_b32 exec_lo, exec_lo, s17
	v_mov_b32_e32 v26, 0
	s_and_saveexec_b32 s17, s18
	s_cbranch_execz .LBB103_2784
.LBB103_2783:
	v_and_b32_e32 v3, 0xffff, v1
	s_delay_alu instid0(VALU_DEP_1) | instskip(SKIP_1) | instid1(VALU_DEP_2)
	v_dual_lshlrev_b32 v1, 24, v1 :: v_dual_bitop2_b32 v5, 3, v3 bitop3:0x40
	v_bfe_u32 v11, v3, 2, 5
	v_and_b32_e32 v1, 0x80000000, v1
	s_delay_alu instid0(VALU_DEP_3) | instskip(NEXT) | instid1(VALU_DEP_3)
	v_clz_i32_u32_e32 v7, v5
	v_cmp_eq_u32_e32 vcc_lo, 0, v11
	s_delay_alu instid0(VALU_DEP_2) | instskip(NEXT) | instid1(VALU_DEP_1)
	v_min_u32_e32 v7, 32, v7
	v_subrev_nc_u32_e32 v9, 29, v7
	v_sub_nc_u32_e32 v7, 30, v7
	s_delay_alu instid0(VALU_DEP_2) | instskip(NEXT) | instid1(VALU_DEP_2)
	v_lshlrev_b32_e32 v3, v9, v3
	v_cndmask_b32_e32 v7, v11, v7, vcc_lo
	s_delay_alu instid0(VALU_DEP_2) | instskip(NEXT) | instid1(VALU_DEP_1)
	v_and_b32_e32 v3, 3, v3
	v_cndmask_b32_e32 v3, v5, v3, vcc_lo
	s_delay_alu instid0(VALU_DEP_3) | instskip(NEXT) | instid1(VALU_DEP_2)
	v_lshl_add_u32 v5, v7, 23, 0x37800000
	v_lshlrev_b32_e32 v3, 21, v3
	s_delay_alu instid0(VALU_DEP_1) | instskip(NEXT) | instid1(VALU_DEP_1)
	v_or3_b32 v1, v1, v5, v3
	v_trunc_f32_e32 v1, v1
	s_delay_alu instid0(VALU_DEP_1) | instskip(NEXT) | instid1(VALU_DEP_1)
	v_mul_f32_e64 v3, 0x2f800000, |v1|
	v_floor_f32_e32 v3, v3
	s_delay_alu instid0(VALU_DEP_1) | instskip(SKIP_1) | instid1(VALU_DEP_2)
	v_fma_f32 v3, 0xcf800000, v3, |v1|
	v_ashrrev_i32_e32 v1, 31, v1
	v_cvt_u32_f32_e32 v3, v3
	s_delay_alu instid0(VALU_DEP_1) | instskip(NEXT) | instid1(VALU_DEP_1)
	v_xor_b32_e32 v3, v3, v1
	v_sub_nc_u32_e32 v26, v3, v1
.LBB103_2784:
	s_or_b32 exec_lo, exec_lo, s17
	s_mov_b32 s17, 0
	s_branch .LBB103_2790
.LBB103_2785:
	s_mov_b32 s17, -1
                                        ; implicit-def: $vgpr26
	s_branch .LBB103_2796
.LBB103_2786:
	s_and_not1_saveexec_b32 s18, s18
	s_cbranch_execz .LBB103_2771
.LBB103_2787:
	v_cmp_ne_u16_e32 vcc_lo, 0, v1
	s_and_not1_b32 s19, s19, exec_lo
	s_and_b32 s20, vcc_lo, exec_lo
	s_delay_alu instid0(SALU_CYCLE_1)
	s_or_b32 s19, s19, s20
	s_or_b32 exec_lo, exec_lo, s18
	v_mov_b32_e32 v26, 0
	s_and_saveexec_b32 s18, s19
	s_cbranch_execnz .LBB103_2772
	s_branch .LBB103_2773
.LBB103_2788:
	s_mov_b32 s17, -1
                                        ; implicit-def: $vgpr26
	s_branch .LBB103_2793
.LBB103_2789:
	s_mov_b32 s17, -1
                                        ; implicit-def: $vgpr26
.LBB103_2790:
	s_delay_alu instid0(SALU_CYCLE_1)
	s_and_b32 vcc_lo, exec_lo, s17
	s_cbranch_vccz .LBB103_2792
; %bb.2791:
	global_load_u8 v1, v[32:33], off
	s_wait_loadcnt 0x0
	v_lshlrev_b32_e32 v1, 24, v1
	s_delay_alu instid0(VALU_DEP_1) | instskip(NEXT) | instid1(VALU_DEP_1)
	v_and_b32_e32 v3, 0x7f000000, v1
	v_clz_i32_u32_e32 v5, v3
	v_add_nc_u32_e32 v9, 0x1000000, v3
	v_cmp_ne_u32_e32 vcc_lo, 0, v3
	s_delay_alu instid0(VALU_DEP_3) | instskip(NEXT) | instid1(VALU_DEP_1)
	v_min_u32_e32 v5, 32, v5
	v_sub_nc_u32_e64 v5, v5, 4 clamp
	s_delay_alu instid0(VALU_DEP_1) | instskip(NEXT) | instid1(VALU_DEP_1)
	v_dual_lshlrev_b32 v7, v5, v3 :: v_dual_lshlrev_b32 v5, 23, v5
	v_lshrrev_b32_e32 v7, 4, v7
	s_delay_alu instid0(VALU_DEP_1) | instskip(SKIP_1) | instid1(VALU_DEP_2)
	v_sub_nc_u32_e32 v5, v7, v5
	v_ashrrev_i32_e32 v7, 8, v9
	v_add_nc_u32_e32 v5, 0x3c000000, v5
	s_delay_alu instid0(VALU_DEP_1) | instskip(NEXT) | instid1(VALU_DEP_1)
	v_and_or_b32 v5, 0x7f800000, v7, v5
	v_cndmask_b32_e32 v3, 0, v5, vcc_lo
	s_delay_alu instid0(VALU_DEP_1) | instskip(NEXT) | instid1(VALU_DEP_1)
	v_and_or_b32 v1, 0x80000000, v1, v3
	v_trunc_f32_e32 v1, v1
	s_delay_alu instid0(VALU_DEP_1) | instskip(NEXT) | instid1(VALU_DEP_1)
	v_mul_f32_e64 v3, 0x2f800000, |v1|
	v_floor_f32_e32 v3, v3
	s_delay_alu instid0(VALU_DEP_1) | instskip(SKIP_1) | instid1(VALU_DEP_2)
	v_fma_f32 v3, 0xcf800000, v3, |v1|
	v_ashrrev_i32_e32 v1, 31, v1
	v_cvt_u32_f32_e32 v3, v3
	s_delay_alu instid0(VALU_DEP_1) | instskip(NEXT) | instid1(VALU_DEP_1)
	v_xor_b32_e32 v3, v3, v1
	v_sub_nc_u32_e32 v26, v3, v1
.LBB103_2792:
	s_mov_b32 s17, 0
.LBB103_2793:
	s_delay_alu instid0(SALU_CYCLE_1)
	s_and_not1_b32 vcc_lo, exec_lo, s17
	s_cbranch_vccnz .LBB103_2795
; %bb.2794:
	global_load_u8 v1, v[32:33], off
	s_wait_loadcnt 0x0
	v_lshlrev_b32_e32 v3, 25, v1
	v_lshlrev_b16 v1, 8, v1
	s_delay_alu instid0(VALU_DEP_1) | instskip(SKIP_1) | instid1(VALU_DEP_2)
	v_and_or_b32 v7, 0x7f00, v1, 0.5
	v_bfe_i32 v1, v1, 0, 16
	v_add_f32_e32 v7, -0.5, v7
	v_lshrrev_b32_e32 v5, 4, v3
	v_cmp_gt_u32_e32 vcc_lo, 0x8000000, v3
	s_delay_alu instid0(VALU_DEP_2) | instskip(NEXT) | instid1(VALU_DEP_1)
	v_or_b32_e32 v5, 0x70000000, v5
	v_mul_f32_e32 v5, 0x7800000, v5
	s_delay_alu instid0(VALU_DEP_1) | instskip(NEXT) | instid1(VALU_DEP_1)
	v_cndmask_b32_e32 v3, v5, v7, vcc_lo
	v_and_or_b32 v1, 0x80000000, v1, v3
	s_delay_alu instid0(VALU_DEP_1) | instskip(NEXT) | instid1(VALU_DEP_1)
	v_trunc_f32_e32 v1, v1
	v_mul_f32_e64 v3, 0x2f800000, |v1|
	s_delay_alu instid0(VALU_DEP_1) | instskip(NEXT) | instid1(VALU_DEP_1)
	v_floor_f32_e32 v3, v3
	v_fma_f32 v3, 0xcf800000, v3, |v1|
	v_ashrrev_i32_e32 v1, 31, v1
	s_delay_alu instid0(VALU_DEP_2) | instskip(NEXT) | instid1(VALU_DEP_1)
	v_cvt_u32_f32_e32 v3, v3
	v_xor_b32_e32 v3, v3, v1
	s_delay_alu instid0(VALU_DEP_1)
	v_sub_nc_u32_e32 v26, v3, v1
.LBB103_2795:
	s_mov_b32 s17, 0
	s_mov_b32 s18, -1
.LBB103_2796:
	s_and_not1_b32 vcc_lo, exec_lo, s17
	s_mov_b32 s17, 0
	s_cbranch_vccnz .LBB103_2807
; %bb.2797:
	s_cmp_gt_i32 s15, 14
	s_cbranch_scc0 .LBB103_2800
; %bb.2798:
	s_cmp_eq_u32 s15, 15
	s_cbranch_scc0 .LBB103_2803
; %bb.2799:
	global_load_u16 v1, v[32:33], off
	s_mov_b32 s16, 0
	s_mov_b32 s18, -1
	s_wait_loadcnt 0x0
	v_lshlrev_b32_e32 v1, 16, v1
	s_delay_alu instid0(VALU_DEP_1) | instskip(NEXT) | instid1(VALU_DEP_1)
	v_trunc_f32_e32 v1, v1
	v_mul_f32_e64 v3, 0x2f800000, |v1|
	s_delay_alu instid0(VALU_DEP_1) | instskip(NEXT) | instid1(VALU_DEP_1)
	v_floor_f32_e32 v3, v3
	v_fma_f32 v3, 0xcf800000, v3, |v1|
	v_ashrrev_i32_e32 v1, 31, v1
	s_delay_alu instid0(VALU_DEP_2) | instskip(NEXT) | instid1(VALU_DEP_1)
	v_cvt_u32_f32_e32 v3, v3
	v_xor_b32_e32 v3, v3, v1
	s_delay_alu instid0(VALU_DEP_1)
	v_sub_nc_u32_e32 v26, v3, v1
	s_branch .LBB103_2805
.LBB103_2800:
	s_mov_b32 s17, -1
	s_branch .LBB103_2804
.LBB103_2801:
	s_and_not1_saveexec_b32 s17, s17
	s_cbranch_execz .LBB103_2782
.LBB103_2802:
	v_cmp_ne_u16_e32 vcc_lo, 0, v1
	s_and_not1_b32 s18, s18, exec_lo
	s_and_b32 s19, vcc_lo, exec_lo
	s_delay_alu instid0(SALU_CYCLE_1)
	s_or_b32 s18, s18, s19
	s_or_b32 exec_lo, exec_lo, s17
	v_mov_b32_e32 v26, 0
	s_and_saveexec_b32 s17, s18
	s_cbranch_execnz .LBB103_2783
	s_branch .LBB103_2784
.LBB103_2803:
	s_mov_b32 s16, -1
.LBB103_2804:
                                        ; implicit-def: $vgpr26
.LBB103_2805:
	s_and_b32 vcc_lo, exec_lo, s17
	s_mov_b32 s17, 0
	s_cbranch_vccz .LBB103_2807
; %bb.2806:
	s_cmp_lg_u32 s15, 11
	s_mov_b32 s17, -1
	s_cselect_b32 s16, -1, 0
.LBB103_2807:
	s_delay_alu instid0(SALU_CYCLE_1)
	s_and_b32 vcc_lo, exec_lo, s16
	s_cbranch_vccnz .LBB103_2872
; %bb.2808:
	s_and_not1_b32 vcc_lo, exec_lo, s17
	s_cbranch_vccnz .LBB103_2810
.LBB103_2809:
	global_load_u8 v1, v[32:33], off
	s_mov_b32 s18, -1
	s_wait_loadcnt 0x0
	v_cmp_ne_u16_e32 vcc_lo, 0, v1
	v_cndmask_b32_e64 v26, 0, 1, vcc_lo
.LBB103_2810:
	s_mov_b32 s16, 0
.LBB103_2811:
	s_delay_alu instid0(SALU_CYCLE_1)
	s_and_b32 vcc_lo, exec_lo, s16
	s_cbranch_vccz .LBB103_2860
; %bb.2812:
	s_cmp_lt_i32 s15, 5
	s_cbranch_scc1 .LBB103_2817
; %bb.2813:
	s_cmp_lt_i32 s15, 8
	s_cbranch_scc1 .LBB103_2818
	;; [unrolled: 3-line block ×3, first 2 shown]
; %bb.2815:
	s_cmp_gt_i32 s15, 9
	s_cbranch_scc0 .LBB103_2820
; %bb.2816:
	s_wait_loadcnt 0x0
	global_load_b64 v[26:27], v[32:33], off
	s_mov_b32 s16, 0
	s_wait_loadcnt 0x0
	v_trunc_f64_e32 v[26:27], v[26:27]
	s_delay_alu instid0(VALU_DEP_1) | instskip(NEXT) | instid1(VALU_DEP_1)
	v_ldexp_f64 v[34:35], v[26:27], 0xffffffe0
	v_floor_f64_e32 v[34:35], v[34:35]
	s_delay_alu instid0(VALU_DEP_1) | instskip(NEXT) | instid1(VALU_DEP_1)
	v_fmamk_f64 v[26:27], v[34:35], 0xc1f00000, v[26:27]
	v_cvt_u32_f64_e32 v26, v[26:27]
	s_branch .LBB103_2821
.LBB103_2817:
	s_mov_b32 s16, -1
                                        ; implicit-def: $vgpr26
	s_branch .LBB103_2839
.LBB103_2818:
	s_mov_b32 s16, -1
                                        ; implicit-def: $vgpr26
	s_branch .LBB103_2827
.LBB103_2819:
	s_mov_b32 s16, -1
                                        ; implicit-def: $vgpr26
	s_branch .LBB103_2824
.LBB103_2820:
	s_mov_b32 s16, -1
                                        ; implicit-def: $vgpr26
.LBB103_2821:
	s_delay_alu instid0(SALU_CYCLE_1)
	s_and_not1_b32 vcc_lo, exec_lo, s16
	s_cbranch_vccnz .LBB103_2823
; %bb.2822:
	global_load_b32 v1, v[32:33], off
	s_wait_loadcnt 0x0
	v_trunc_f32_e32 v1, v1
	s_delay_alu instid0(VALU_DEP_1) | instskip(NEXT) | instid1(VALU_DEP_1)
	v_mul_f32_e64 v3, 0x2f800000, |v1|
	v_floor_f32_e32 v3, v3
	s_delay_alu instid0(VALU_DEP_1) | instskip(SKIP_1) | instid1(VALU_DEP_2)
	v_fma_f32 v3, 0xcf800000, v3, |v1|
	v_ashrrev_i32_e32 v1, 31, v1
	v_cvt_u32_f32_e32 v3, v3
	s_delay_alu instid0(VALU_DEP_1) | instskip(NEXT) | instid1(VALU_DEP_1)
	v_xor_b32_e32 v3, v3, v1
	v_sub_nc_u32_e32 v26, v3, v1
.LBB103_2823:
	s_mov_b32 s16, 0
.LBB103_2824:
	s_delay_alu instid0(SALU_CYCLE_1)
	s_and_not1_b32 vcc_lo, exec_lo, s16
	s_cbranch_vccnz .LBB103_2826
; %bb.2825:
	global_load_b32 v1, v[32:33], off
	s_wait_loadcnt 0x0
	v_cvt_f32_f16_e32 v1, v1
	s_delay_alu instid0(VALU_DEP_1)
	v_cvt_i32_f32_e32 v26, v1
.LBB103_2826:
	s_mov_b32 s16, 0
.LBB103_2827:
	s_delay_alu instid0(SALU_CYCLE_1)
	s_and_not1_b32 vcc_lo, exec_lo, s16
	s_cbranch_vccnz .LBB103_2838
; %bb.2828:
	s_cmp_lt_i32 s15, 6
	s_cbranch_scc1 .LBB103_2831
; %bb.2829:
	s_cmp_gt_i32 s15, 6
	s_cbranch_scc0 .LBB103_2832
; %bb.2830:
	s_wait_loadcnt 0x0
	global_load_b64 v[26:27], v[32:33], off
	s_mov_b32 s16, 0
	s_wait_loadcnt 0x0
	v_trunc_f64_e32 v[26:27], v[26:27]
	s_delay_alu instid0(VALU_DEP_1) | instskip(NEXT) | instid1(VALU_DEP_1)
	v_ldexp_f64 v[34:35], v[26:27], 0xffffffe0
	v_floor_f64_e32 v[34:35], v[34:35]
	s_delay_alu instid0(VALU_DEP_1) | instskip(NEXT) | instid1(VALU_DEP_1)
	v_fmamk_f64 v[26:27], v[34:35], 0xc1f00000, v[26:27]
	v_cvt_u32_f64_e32 v26, v[26:27]
	s_branch .LBB103_2833
.LBB103_2831:
	s_mov_b32 s16, -1
                                        ; implicit-def: $vgpr26
	s_branch .LBB103_2836
.LBB103_2832:
	s_mov_b32 s16, -1
                                        ; implicit-def: $vgpr26
.LBB103_2833:
	s_delay_alu instid0(SALU_CYCLE_1)
	s_and_not1_b32 vcc_lo, exec_lo, s16
	s_cbranch_vccnz .LBB103_2835
; %bb.2834:
	global_load_b32 v1, v[32:33], off
	s_wait_loadcnt 0x0
	v_trunc_f32_e32 v1, v1
	s_delay_alu instid0(VALU_DEP_1) | instskip(NEXT) | instid1(VALU_DEP_1)
	v_mul_f32_e64 v3, 0x2f800000, |v1|
	v_floor_f32_e32 v3, v3
	s_delay_alu instid0(VALU_DEP_1) | instskip(SKIP_1) | instid1(VALU_DEP_2)
	v_fma_f32 v3, 0xcf800000, v3, |v1|
	v_ashrrev_i32_e32 v1, 31, v1
	v_cvt_u32_f32_e32 v3, v3
	s_delay_alu instid0(VALU_DEP_1) | instskip(NEXT) | instid1(VALU_DEP_1)
	v_xor_b32_e32 v3, v3, v1
	v_sub_nc_u32_e32 v26, v3, v1
.LBB103_2835:
	s_mov_b32 s16, 0
.LBB103_2836:
	s_delay_alu instid0(SALU_CYCLE_1)
	s_and_not1_b32 vcc_lo, exec_lo, s16
	s_cbranch_vccnz .LBB103_2838
; %bb.2837:
	global_load_u16 v1, v[32:33], off
	s_wait_loadcnt 0x0
	v_cvt_f32_f16_e32 v1, v1
	s_delay_alu instid0(VALU_DEP_1)
	v_cvt_i32_f32_e32 v26, v1
.LBB103_2838:
	s_mov_b32 s16, 0
.LBB103_2839:
	s_delay_alu instid0(SALU_CYCLE_1)
	s_and_not1_b32 vcc_lo, exec_lo, s16
	s_cbranch_vccnz .LBB103_2859
; %bb.2840:
	s_cmp_lt_i32 s15, 2
	s_cbranch_scc1 .LBB103_2844
; %bb.2841:
	s_cmp_lt_i32 s15, 3
	s_cbranch_scc1 .LBB103_2845
; %bb.2842:
	s_cmp_gt_i32 s15, 3
	s_cbranch_scc0 .LBB103_2846
; %bb.2843:
	s_wait_loadcnt 0x0
	global_load_b64 v[26:27], v[32:33], off
	s_mov_b32 s16, 0
	s_branch .LBB103_2847
.LBB103_2844:
	s_mov_b32 s16, -1
                                        ; implicit-def: $vgpr26
	s_branch .LBB103_2853
.LBB103_2845:
	s_mov_b32 s16, -1
                                        ; implicit-def: $vgpr26
	s_branch .LBB103_2850
.LBB103_2846:
	s_mov_b32 s16, -1
                                        ; implicit-def: $vgpr26
.LBB103_2847:
	s_delay_alu instid0(SALU_CYCLE_1)
	s_and_not1_b32 vcc_lo, exec_lo, s16
	s_cbranch_vccnz .LBB103_2849
; %bb.2848:
	s_wait_loadcnt 0x0
	global_load_b32 v26, v[32:33], off
.LBB103_2849:
	s_mov_b32 s16, 0
.LBB103_2850:
	s_delay_alu instid0(SALU_CYCLE_1)
	s_and_not1_b32 vcc_lo, exec_lo, s16
	s_cbranch_vccnz .LBB103_2852
; %bb.2851:
	s_wait_loadcnt 0x0
	global_load_u16 v26, v[32:33], off
.LBB103_2852:
	s_mov_b32 s16, 0
.LBB103_2853:
	s_delay_alu instid0(SALU_CYCLE_1)
	s_and_not1_b32 vcc_lo, exec_lo, s16
	s_cbranch_vccnz .LBB103_2859
; %bb.2854:
	s_cmp_gt_i32 s15, 0
	s_mov_b32 s16, 0
	s_cbranch_scc0 .LBB103_2856
; %bb.2855:
	s_wait_loadcnt 0x0
	global_load_u8 v26, v[32:33], off
	s_branch .LBB103_2857
.LBB103_2856:
	s_mov_b32 s16, -1
                                        ; implicit-def: $vgpr26
.LBB103_2857:
	s_delay_alu instid0(SALU_CYCLE_1)
	s_and_not1_b32 vcc_lo, exec_lo, s16
	s_cbranch_vccnz .LBB103_2859
; %bb.2858:
	s_wait_loadcnt 0x0
	global_load_u8 v26, v[32:33], off
.LBB103_2859:
	s_mov_b32 s18, -1
.LBB103_2860:
	s_delay_alu instid0(SALU_CYCLE_1)
	s_and_not1_b32 vcc_lo, exec_lo, s18
	s_cbranch_vccnz .LBB103_4058
; %bb.2861:
	v_mov_b32_e32 v29, 0
	s_cmp_lt_i32 s13, 11
	s_wait_xcnt 0x0
	s_delay_alu instid0(VALU_DEP_1)
	v_add_nc_u64_e32 v[32:33], s[6:7], v[28:29]
	s_cbranch_scc1 .LBB103_2868
; %bb.2862:
	s_cmp_gt_i32 s13, 25
	s_mov_b32 s17, 0
	s_cbranch_scc0 .LBB103_2869
; %bb.2863:
	s_cmp_gt_i32 s13, 28
	s_cbranch_scc0 .LBB103_2870
; %bb.2864:
	s_cmp_gt_i32 s13, 43
	;; [unrolled: 3-line block ×3, first 2 shown]
	s_cbranch_scc0 .LBB103_2873
; %bb.2866:
	s_cmp_eq_u32 s13, 46
	s_mov_b32 s19, 0
	s_cbranch_scc0 .LBB103_2876
; %bb.2867:
	global_load_b32 v1, v[32:33], off
	s_mov_b32 s16, 0
	s_mov_b32 s18, -1
	s_wait_loadcnt 0x0
	v_lshlrev_b32_e32 v1, 16, v1
	s_delay_alu instid0(VALU_DEP_1) | instskip(NEXT) | instid1(VALU_DEP_1)
	v_trunc_f32_e32 v1, v1
	v_mul_f32_e64 v3, 0x2f800000, |v1|
	s_delay_alu instid0(VALU_DEP_1) | instskip(NEXT) | instid1(VALU_DEP_1)
	v_floor_f32_e32 v3, v3
	v_fma_f32 v3, 0xcf800000, v3, |v1|
	v_ashrrev_i32_e32 v1, 31, v1
	s_delay_alu instid0(VALU_DEP_2) | instskip(NEXT) | instid1(VALU_DEP_1)
	v_cvt_u32_f32_e32 v3, v3
	v_xor_b32_e32 v3, v3, v1
	s_delay_alu instid0(VALU_DEP_1)
	v_sub_nc_u32_e32 v28, v3, v1
	s_branch .LBB103_2878
.LBB103_2868:
	s_mov_b32 s16, -1
	s_mov_b32 s18, 0
                                        ; implicit-def: $vgpr28
	s_branch .LBB103_2940
.LBB103_2869:
	s_mov_b32 s19, -1
	s_mov_b32 s18, 0
	s_mov_b32 s16, 0
                                        ; implicit-def: $vgpr28
	s_branch .LBB103_2905
.LBB103_2870:
	s_mov_b32 s19, -1
	s_mov_b32 s18, 0
	s_mov_b32 s16, 0
                                        ; implicit-def: $vgpr28
	s_branch .LBB103_2888
.LBB103_2871:
	s_mov_b32 s19, -1
	s_mov_b32 s18, 0
	s_mov_b32 s16, 0
                                        ; implicit-def: $vgpr28
	s_branch .LBB103_2883
.LBB103_2872:
	s_or_b32 s12, s12, exec_lo
	s_trap 2
	s_cbranch_execz .LBB103_2809
	s_branch .LBB103_2810
.LBB103_2873:
	s_mov_b32 s19, -1
	s_mov_b32 s18, 0
	s_mov_b32 s16, 0
	s_branch .LBB103_2877
.LBB103_2874:
	s_and_not1_saveexec_b32 s59, s59
	s_cbranch_execz .LBB103_1475
.LBB103_2875:
	v_add_f32_e32 v4, 0x42800000, v5
	s_and_not1_b32 s58, s58, exec_lo
	s_delay_alu instid0(VALU_DEP_1) | instskip(NEXT) | instid1(VALU_DEP_1)
	v_and_b32_e32 v4, 0xff, v4
	v_cmp_ne_u32_e32 vcc_lo, 0, v4
	s_and_b32 s60, vcc_lo, exec_lo
	s_delay_alu instid0(SALU_CYCLE_1)
	s_or_b32 s58, s58, s60
	s_or_b32 exec_lo, exec_lo, s59
	v_mov_b32_e32 v6, 0
	s_and_saveexec_b32 s59, s58
	s_cbranch_execnz .LBB103_1476
	s_branch .LBB103_1477
.LBB103_2876:
	s_mov_b32 s16, -1
	s_mov_b32 s18, 0
.LBB103_2877:
                                        ; implicit-def: $vgpr28
.LBB103_2878:
	s_and_b32 vcc_lo, exec_lo, s19
	s_cbranch_vccz .LBB103_2882
; %bb.2879:
	s_cmp_eq_u32 s13, 44
	s_cbranch_scc0 .LBB103_2881
; %bb.2880:
	global_load_u8 v1, v[32:33], off
	s_mov_b32 s16, 0
	s_mov_b32 s18, -1
	s_wait_loadcnt 0x0
	v_lshlrev_b32_e32 v3, 23, v1
	v_cmp_ne_u32_e32 vcc_lo, 0, v1
	s_delay_alu instid0(VALU_DEP_2) | instskip(NEXT) | instid1(VALU_DEP_1)
	v_trunc_f32_e32 v3, v3
	v_mul_f32_e64 v5, 0x2f800000, |v3|
	s_delay_alu instid0(VALU_DEP_1) | instskip(NEXT) | instid1(VALU_DEP_1)
	v_floor_f32_e32 v5, v5
	v_fma_f32 v5, 0xcf800000, v5, |v3|
	v_ashrrev_i32_e32 v3, 31, v3
	s_delay_alu instid0(VALU_DEP_2) | instskip(NEXT) | instid1(VALU_DEP_1)
	v_cvt_u32_f32_e32 v5, v5
	v_xor_b32_e32 v5, v5, v3
	s_delay_alu instid0(VALU_DEP_1) | instskip(NEXT) | instid1(VALU_DEP_1)
	v_sub_nc_u32_e32 v3, v5, v3
	v_cndmask_b32_e32 v28, 0, v3, vcc_lo
	s_branch .LBB103_2882
.LBB103_2881:
	s_mov_b32 s16, -1
                                        ; implicit-def: $vgpr28
.LBB103_2882:
	s_mov_b32 s19, 0
.LBB103_2883:
	s_delay_alu instid0(SALU_CYCLE_1)
	s_and_b32 vcc_lo, exec_lo, s19
	s_cbranch_vccz .LBB103_2887
; %bb.2884:
	s_cmp_eq_u32 s13, 29
	s_cbranch_scc0 .LBB103_2886
; %bb.2885:
	global_load_b64 v[28:29], v[32:33], off
	s_mov_b32 s16, 0
	s_mov_b32 s18, -1
	s_branch .LBB103_2887
.LBB103_2886:
	s_mov_b32 s16, -1
                                        ; implicit-def: $vgpr28
.LBB103_2887:
	s_mov_b32 s19, 0
.LBB103_2888:
	s_delay_alu instid0(SALU_CYCLE_1)
	s_and_b32 vcc_lo, exec_lo, s19
	s_cbranch_vccz .LBB103_2904
; %bb.2889:
	s_cmp_lt_i32 s13, 27
	s_cbranch_scc1 .LBB103_2892
; %bb.2890:
	s_cmp_gt_i32 s13, 27
	s_cbranch_scc0 .LBB103_2893
; %bb.2891:
	s_wait_loadcnt 0x0
	global_load_b32 v28, v[32:33], off
	s_mov_b32 s18, 0
	s_branch .LBB103_2894
.LBB103_2892:
	s_mov_b32 s18, -1
                                        ; implicit-def: $vgpr28
	s_branch .LBB103_2897
.LBB103_2893:
	s_mov_b32 s18, -1
                                        ; implicit-def: $vgpr28
.LBB103_2894:
	s_delay_alu instid0(SALU_CYCLE_1)
	s_and_not1_b32 vcc_lo, exec_lo, s18
	s_cbranch_vccnz .LBB103_2896
; %bb.2895:
	s_wait_loadcnt 0x0
	global_load_u16 v28, v[32:33], off
.LBB103_2896:
	s_mov_b32 s18, 0
.LBB103_2897:
	s_delay_alu instid0(SALU_CYCLE_1)
	s_and_not1_b32 vcc_lo, exec_lo, s18
	s_cbranch_vccnz .LBB103_2903
; %bb.2898:
	global_load_u8 v1, v[32:33], off
	s_mov_b32 s19, 0
	s_mov_b32 s18, exec_lo
	s_wait_loadcnt 0x0
	v_cmpx_lt_i16_e32 0x7f, v1
	s_xor_b32 s18, exec_lo, s18
	s_cbranch_execz .LBB103_2915
; %bb.2899:
	v_cmp_ne_u16_e32 vcc_lo, 0x80, v1
	s_and_b32 s19, vcc_lo, exec_lo
	s_and_not1_saveexec_b32 s18, s18
	s_cbranch_execnz .LBB103_2916
.LBB103_2900:
	s_or_b32 exec_lo, exec_lo, s18
	v_mov_b32_e32 v28, 0
	s_and_saveexec_b32 s18, s19
	s_cbranch_execz .LBB103_2902
.LBB103_2901:
	v_and_b32_e32 v3, 0xffff, v1
	s_delay_alu instid0(VALU_DEP_1) | instskip(SKIP_1) | instid1(VALU_DEP_2)
	v_dual_lshlrev_b32 v1, 24, v1 :: v_dual_bitop2_b32 v5, 7, v3 bitop3:0x40
	v_bfe_u32 v11, v3, 3, 4
	v_and_b32_e32 v1, 0x80000000, v1
	s_delay_alu instid0(VALU_DEP_3) | instskip(NEXT) | instid1(VALU_DEP_3)
	v_clz_i32_u32_e32 v7, v5
	v_cmp_eq_u32_e32 vcc_lo, 0, v11
	s_delay_alu instid0(VALU_DEP_2) | instskip(NEXT) | instid1(VALU_DEP_1)
	v_min_u32_e32 v7, 32, v7
	v_subrev_nc_u32_e32 v9, 28, v7
	v_sub_nc_u32_e32 v7, 29, v7
	s_delay_alu instid0(VALU_DEP_2) | instskip(NEXT) | instid1(VALU_DEP_2)
	v_lshlrev_b32_e32 v3, v9, v3
	v_cndmask_b32_e32 v7, v11, v7, vcc_lo
	s_delay_alu instid0(VALU_DEP_2) | instskip(NEXT) | instid1(VALU_DEP_1)
	v_and_b32_e32 v3, 7, v3
	v_cndmask_b32_e32 v3, v5, v3, vcc_lo
	s_delay_alu instid0(VALU_DEP_3) | instskip(NEXT) | instid1(VALU_DEP_2)
	v_lshl_add_u32 v5, v7, 23, 0x3b800000
	v_lshlrev_b32_e32 v3, 20, v3
	s_delay_alu instid0(VALU_DEP_1) | instskip(NEXT) | instid1(VALU_DEP_1)
	v_or3_b32 v1, v1, v5, v3
	v_trunc_f32_e32 v1, v1
	s_delay_alu instid0(VALU_DEP_1) | instskip(NEXT) | instid1(VALU_DEP_1)
	v_mul_f32_e64 v3, 0x2f800000, |v1|
	v_floor_f32_e32 v3, v3
	s_delay_alu instid0(VALU_DEP_1) | instskip(SKIP_1) | instid1(VALU_DEP_2)
	v_fma_f32 v3, 0xcf800000, v3, |v1|
	v_ashrrev_i32_e32 v1, 31, v1
	v_cvt_u32_f32_e32 v3, v3
	s_delay_alu instid0(VALU_DEP_1) | instskip(NEXT) | instid1(VALU_DEP_1)
	v_xor_b32_e32 v3, v3, v1
	v_sub_nc_u32_e32 v28, v3, v1
.LBB103_2902:
	s_or_b32 exec_lo, exec_lo, s18
.LBB103_2903:
	s_mov_b32 s18, -1
.LBB103_2904:
	s_mov_b32 s19, 0
.LBB103_2905:
	s_delay_alu instid0(SALU_CYCLE_1)
	s_and_b32 vcc_lo, exec_lo, s19
	s_cbranch_vccz .LBB103_2936
; %bb.2906:
	s_cmp_gt_i32 s13, 22
	s_cbranch_scc0 .LBB103_2914
; %bb.2907:
	s_cmp_lt_i32 s13, 24
	s_cbranch_scc1 .LBB103_2917
; %bb.2908:
	s_cmp_gt_i32 s13, 24
	s_cbranch_scc0 .LBB103_2918
; %bb.2909:
	global_load_u8 v1, v[32:33], off
	s_mov_b32 s18, 0
	s_mov_b32 s17, exec_lo
	s_wait_loadcnt 0x0
	v_cmpx_lt_i16_e32 0x7f, v1
	s_xor_b32 s17, exec_lo, s17
	s_cbranch_execz .LBB103_2930
; %bb.2910:
	v_cmp_ne_u16_e32 vcc_lo, 0x80, v1
	s_and_b32 s18, vcc_lo, exec_lo
	s_and_not1_saveexec_b32 s17, s17
	s_cbranch_execnz .LBB103_2931
.LBB103_2911:
	s_or_b32 exec_lo, exec_lo, s17
	v_mov_b32_e32 v28, 0
	s_and_saveexec_b32 s17, s18
	s_cbranch_execz .LBB103_2913
.LBB103_2912:
	v_and_b32_e32 v3, 0xffff, v1
	s_delay_alu instid0(VALU_DEP_1) | instskip(SKIP_1) | instid1(VALU_DEP_2)
	v_dual_lshlrev_b32 v1, 24, v1 :: v_dual_bitop2_b32 v5, 3, v3 bitop3:0x40
	v_bfe_u32 v11, v3, 2, 5
	v_and_b32_e32 v1, 0x80000000, v1
	s_delay_alu instid0(VALU_DEP_3) | instskip(NEXT) | instid1(VALU_DEP_3)
	v_clz_i32_u32_e32 v7, v5
	v_cmp_eq_u32_e32 vcc_lo, 0, v11
	s_delay_alu instid0(VALU_DEP_2) | instskip(NEXT) | instid1(VALU_DEP_1)
	v_min_u32_e32 v7, 32, v7
	v_subrev_nc_u32_e32 v9, 29, v7
	v_sub_nc_u32_e32 v7, 30, v7
	s_delay_alu instid0(VALU_DEP_2) | instskip(NEXT) | instid1(VALU_DEP_2)
	v_lshlrev_b32_e32 v3, v9, v3
	v_cndmask_b32_e32 v7, v11, v7, vcc_lo
	s_delay_alu instid0(VALU_DEP_2) | instskip(NEXT) | instid1(VALU_DEP_1)
	v_and_b32_e32 v3, 3, v3
	v_cndmask_b32_e32 v3, v5, v3, vcc_lo
	s_delay_alu instid0(VALU_DEP_3) | instskip(NEXT) | instid1(VALU_DEP_2)
	v_lshl_add_u32 v5, v7, 23, 0x37800000
	v_lshlrev_b32_e32 v3, 21, v3
	s_delay_alu instid0(VALU_DEP_1) | instskip(NEXT) | instid1(VALU_DEP_1)
	v_or3_b32 v1, v1, v5, v3
	v_trunc_f32_e32 v1, v1
	s_delay_alu instid0(VALU_DEP_1) | instskip(NEXT) | instid1(VALU_DEP_1)
	v_mul_f32_e64 v3, 0x2f800000, |v1|
	v_floor_f32_e32 v3, v3
	s_delay_alu instid0(VALU_DEP_1) | instskip(SKIP_1) | instid1(VALU_DEP_2)
	v_fma_f32 v3, 0xcf800000, v3, |v1|
	v_ashrrev_i32_e32 v1, 31, v1
	v_cvt_u32_f32_e32 v3, v3
	s_delay_alu instid0(VALU_DEP_1) | instskip(NEXT) | instid1(VALU_DEP_1)
	v_xor_b32_e32 v3, v3, v1
	v_sub_nc_u32_e32 v28, v3, v1
.LBB103_2913:
	s_or_b32 exec_lo, exec_lo, s17
	s_mov_b32 s17, 0
	s_branch .LBB103_2919
.LBB103_2914:
	s_mov_b32 s17, -1
                                        ; implicit-def: $vgpr28
	s_branch .LBB103_2925
.LBB103_2915:
	s_and_not1_saveexec_b32 s18, s18
	s_cbranch_execz .LBB103_2900
.LBB103_2916:
	v_cmp_ne_u16_e32 vcc_lo, 0, v1
	s_and_not1_b32 s19, s19, exec_lo
	s_and_b32 s20, vcc_lo, exec_lo
	s_delay_alu instid0(SALU_CYCLE_1)
	s_or_b32 s19, s19, s20
	s_or_b32 exec_lo, exec_lo, s18
	v_mov_b32_e32 v28, 0
	s_and_saveexec_b32 s18, s19
	s_cbranch_execnz .LBB103_2901
	s_branch .LBB103_2902
.LBB103_2917:
	s_mov_b32 s17, -1
                                        ; implicit-def: $vgpr28
	s_branch .LBB103_2922
.LBB103_2918:
	s_mov_b32 s17, -1
                                        ; implicit-def: $vgpr28
.LBB103_2919:
	s_delay_alu instid0(SALU_CYCLE_1)
	s_and_b32 vcc_lo, exec_lo, s17
	s_cbranch_vccz .LBB103_2921
; %bb.2920:
	global_load_u8 v1, v[32:33], off
	s_wait_loadcnt 0x0
	v_lshlrev_b32_e32 v1, 24, v1
	s_delay_alu instid0(VALU_DEP_1) | instskip(NEXT) | instid1(VALU_DEP_1)
	v_and_b32_e32 v3, 0x7f000000, v1
	v_clz_i32_u32_e32 v5, v3
	v_add_nc_u32_e32 v9, 0x1000000, v3
	v_cmp_ne_u32_e32 vcc_lo, 0, v3
	s_delay_alu instid0(VALU_DEP_3) | instskip(NEXT) | instid1(VALU_DEP_1)
	v_min_u32_e32 v5, 32, v5
	v_sub_nc_u32_e64 v5, v5, 4 clamp
	s_delay_alu instid0(VALU_DEP_1) | instskip(NEXT) | instid1(VALU_DEP_1)
	v_dual_lshlrev_b32 v7, v5, v3 :: v_dual_lshlrev_b32 v5, 23, v5
	v_lshrrev_b32_e32 v7, 4, v7
	s_delay_alu instid0(VALU_DEP_1) | instskip(SKIP_1) | instid1(VALU_DEP_2)
	v_sub_nc_u32_e32 v5, v7, v5
	v_ashrrev_i32_e32 v7, 8, v9
	v_add_nc_u32_e32 v5, 0x3c000000, v5
	s_delay_alu instid0(VALU_DEP_1) | instskip(NEXT) | instid1(VALU_DEP_1)
	v_and_or_b32 v5, 0x7f800000, v7, v5
	v_cndmask_b32_e32 v3, 0, v5, vcc_lo
	s_delay_alu instid0(VALU_DEP_1) | instskip(NEXT) | instid1(VALU_DEP_1)
	v_and_or_b32 v1, 0x80000000, v1, v3
	v_trunc_f32_e32 v1, v1
	s_delay_alu instid0(VALU_DEP_1) | instskip(NEXT) | instid1(VALU_DEP_1)
	v_mul_f32_e64 v3, 0x2f800000, |v1|
	v_floor_f32_e32 v3, v3
	s_delay_alu instid0(VALU_DEP_1) | instskip(SKIP_1) | instid1(VALU_DEP_2)
	v_fma_f32 v3, 0xcf800000, v3, |v1|
	v_ashrrev_i32_e32 v1, 31, v1
	v_cvt_u32_f32_e32 v3, v3
	s_delay_alu instid0(VALU_DEP_1) | instskip(NEXT) | instid1(VALU_DEP_1)
	v_xor_b32_e32 v3, v3, v1
	v_sub_nc_u32_e32 v28, v3, v1
.LBB103_2921:
	s_mov_b32 s17, 0
.LBB103_2922:
	s_delay_alu instid0(SALU_CYCLE_1)
	s_and_not1_b32 vcc_lo, exec_lo, s17
	s_cbranch_vccnz .LBB103_2924
; %bb.2923:
	global_load_u8 v1, v[32:33], off
	s_wait_loadcnt 0x0
	v_lshlrev_b32_e32 v3, 25, v1
	v_lshlrev_b16 v1, 8, v1
	s_delay_alu instid0(VALU_DEP_1) | instskip(SKIP_1) | instid1(VALU_DEP_2)
	v_and_or_b32 v7, 0x7f00, v1, 0.5
	v_bfe_i32 v1, v1, 0, 16
	v_add_f32_e32 v7, -0.5, v7
	v_lshrrev_b32_e32 v5, 4, v3
	v_cmp_gt_u32_e32 vcc_lo, 0x8000000, v3
	s_delay_alu instid0(VALU_DEP_2) | instskip(NEXT) | instid1(VALU_DEP_1)
	v_or_b32_e32 v5, 0x70000000, v5
	v_mul_f32_e32 v5, 0x7800000, v5
	s_delay_alu instid0(VALU_DEP_1) | instskip(NEXT) | instid1(VALU_DEP_1)
	v_cndmask_b32_e32 v3, v5, v7, vcc_lo
	v_and_or_b32 v1, 0x80000000, v1, v3
	s_delay_alu instid0(VALU_DEP_1) | instskip(NEXT) | instid1(VALU_DEP_1)
	v_trunc_f32_e32 v1, v1
	v_mul_f32_e64 v3, 0x2f800000, |v1|
	s_delay_alu instid0(VALU_DEP_1) | instskip(NEXT) | instid1(VALU_DEP_1)
	v_floor_f32_e32 v3, v3
	v_fma_f32 v3, 0xcf800000, v3, |v1|
	v_ashrrev_i32_e32 v1, 31, v1
	s_delay_alu instid0(VALU_DEP_2) | instskip(NEXT) | instid1(VALU_DEP_1)
	v_cvt_u32_f32_e32 v3, v3
	v_xor_b32_e32 v3, v3, v1
	s_delay_alu instid0(VALU_DEP_1)
	v_sub_nc_u32_e32 v28, v3, v1
.LBB103_2924:
	s_mov_b32 s17, 0
	s_mov_b32 s18, -1
.LBB103_2925:
	s_and_not1_b32 vcc_lo, exec_lo, s17
	s_mov_b32 s17, 0
	s_cbranch_vccnz .LBB103_2936
; %bb.2926:
	s_cmp_gt_i32 s13, 14
	s_cbranch_scc0 .LBB103_2929
; %bb.2927:
	s_cmp_eq_u32 s13, 15
	s_cbranch_scc0 .LBB103_2932
; %bb.2928:
	global_load_u16 v1, v[32:33], off
	s_mov_b32 s16, 0
	s_mov_b32 s18, -1
	s_wait_loadcnt 0x0
	v_lshlrev_b32_e32 v1, 16, v1
	s_delay_alu instid0(VALU_DEP_1) | instskip(NEXT) | instid1(VALU_DEP_1)
	v_trunc_f32_e32 v1, v1
	v_mul_f32_e64 v3, 0x2f800000, |v1|
	s_delay_alu instid0(VALU_DEP_1) | instskip(NEXT) | instid1(VALU_DEP_1)
	v_floor_f32_e32 v3, v3
	v_fma_f32 v3, 0xcf800000, v3, |v1|
	v_ashrrev_i32_e32 v1, 31, v1
	s_delay_alu instid0(VALU_DEP_2) | instskip(NEXT) | instid1(VALU_DEP_1)
	v_cvt_u32_f32_e32 v3, v3
	v_xor_b32_e32 v3, v3, v1
	s_delay_alu instid0(VALU_DEP_1)
	v_sub_nc_u32_e32 v28, v3, v1
	s_branch .LBB103_2934
.LBB103_2929:
	s_mov_b32 s17, -1
	s_branch .LBB103_2933
.LBB103_2930:
	s_and_not1_saveexec_b32 s17, s17
	s_cbranch_execz .LBB103_2911
.LBB103_2931:
	v_cmp_ne_u16_e32 vcc_lo, 0, v1
	s_and_not1_b32 s18, s18, exec_lo
	s_and_b32 s19, vcc_lo, exec_lo
	s_delay_alu instid0(SALU_CYCLE_1)
	s_or_b32 s18, s18, s19
	s_or_b32 exec_lo, exec_lo, s17
	v_mov_b32_e32 v28, 0
	s_and_saveexec_b32 s17, s18
	s_cbranch_execnz .LBB103_2912
	s_branch .LBB103_2913
.LBB103_2932:
	s_mov_b32 s16, -1
.LBB103_2933:
                                        ; implicit-def: $vgpr28
.LBB103_2934:
	s_and_b32 vcc_lo, exec_lo, s17
	s_mov_b32 s17, 0
	s_cbranch_vccz .LBB103_2936
; %bb.2935:
	s_cmp_lg_u32 s13, 11
	s_mov_b32 s17, -1
	s_cselect_b32 s16, -1, 0
.LBB103_2936:
	s_delay_alu instid0(SALU_CYCLE_1)
	s_and_b32 vcc_lo, exec_lo, s16
	s_cbranch_vccnz .LBB103_3001
; %bb.2937:
	s_and_not1_b32 vcc_lo, exec_lo, s17
	s_cbranch_vccnz .LBB103_2939
.LBB103_2938:
	global_load_u8 v1, v[32:33], off
	s_mov_b32 s18, -1
	s_wait_loadcnt 0x0
	v_cmp_ne_u16_e32 vcc_lo, 0, v1
	v_cndmask_b32_e64 v28, 0, 1, vcc_lo
.LBB103_2939:
	s_mov_b32 s16, 0
.LBB103_2940:
	s_delay_alu instid0(SALU_CYCLE_1)
	s_and_b32 vcc_lo, exec_lo, s16
	s_cbranch_vccz .LBB103_2989
; %bb.2941:
	s_cmp_lt_i32 s13, 5
	s_cbranch_scc1 .LBB103_2946
; %bb.2942:
	s_cmp_lt_i32 s13, 8
	s_cbranch_scc1 .LBB103_2947
	;; [unrolled: 3-line block ×3, first 2 shown]
; %bb.2944:
	s_cmp_gt_i32 s13, 9
	s_cbranch_scc0 .LBB103_2949
; %bb.2945:
	s_wait_loadcnt 0x0
	global_load_b64 v[28:29], v[32:33], off
	s_mov_b32 s16, 0
	s_wait_loadcnt 0x0
	v_trunc_f64_e32 v[28:29], v[28:29]
	s_delay_alu instid0(VALU_DEP_1) | instskip(NEXT) | instid1(VALU_DEP_1)
	v_ldexp_f64 v[34:35], v[28:29], 0xffffffe0
	v_floor_f64_e32 v[34:35], v[34:35]
	s_delay_alu instid0(VALU_DEP_1) | instskip(NEXT) | instid1(VALU_DEP_1)
	v_fmamk_f64 v[28:29], v[34:35], 0xc1f00000, v[28:29]
	v_cvt_u32_f64_e32 v28, v[28:29]
	s_branch .LBB103_2950
.LBB103_2946:
	s_mov_b32 s16, -1
                                        ; implicit-def: $vgpr28
	s_branch .LBB103_2968
.LBB103_2947:
	s_mov_b32 s16, -1
                                        ; implicit-def: $vgpr28
	s_branch .LBB103_2956
.LBB103_2948:
	s_mov_b32 s16, -1
                                        ; implicit-def: $vgpr28
	s_branch .LBB103_2953
.LBB103_2949:
	s_mov_b32 s16, -1
                                        ; implicit-def: $vgpr28
.LBB103_2950:
	s_delay_alu instid0(SALU_CYCLE_1)
	s_and_not1_b32 vcc_lo, exec_lo, s16
	s_cbranch_vccnz .LBB103_2952
; %bb.2951:
	global_load_b32 v1, v[32:33], off
	s_wait_loadcnt 0x0
	v_trunc_f32_e32 v1, v1
	s_delay_alu instid0(VALU_DEP_1) | instskip(NEXT) | instid1(VALU_DEP_1)
	v_mul_f32_e64 v3, 0x2f800000, |v1|
	v_floor_f32_e32 v3, v3
	s_delay_alu instid0(VALU_DEP_1) | instskip(SKIP_1) | instid1(VALU_DEP_2)
	v_fma_f32 v3, 0xcf800000, v3, |v1|
	v_ashrrev_i32_e32 v1, 31, v1
	v_cvt_u32_f32_e32 v3, v3
	s_delay_alu instid0(VALU_DEP_1) | instskip(NEXT) | instid1(VALU_DEP_1)
	v_xor_b32_e32 v3, v3, v1
	v_sub_nc_u32_e32 v28, v3, v1
.LBB103_2952:
	s_mov_b32 s16, 0
.LBB103_2953:
	s_delay_alu instid0(SALU_CYCLE_1)
	s_and_not1_b32 vcc_lo, exec_lo, s16
	s_cbranch_vccnz .LBB103_2955
; %bb.2954:
	global_load_b32 v1, v[32:33], off
	s_wait_loadcnt 0x0
	v_cvt_f32_f16_e32 v1, v1
	s_delay_alu instid0(VALU_DEP_1)
	v_cvt_i32_f32_e32 v28, v1
.LBB103_2955:
	s_mov_b32 s16, 0
.LBB103_2956:
	s_delay_alu instid0(SALU_CYCLE_1)
	s_and_not1_b32 vcc_lo, exec_lo, s16
	s_cbranch_vccnz .LBB103_2967
; %bb.2957:
	s_cmp_lt_i32 s13, 6
	s_cbranch_scc1 .LBB103_2960
; %bb.2958:
	s_cmp_gt_i32 s13, 6
	s_cbranch_scc0 .LBB103_2961
; %bb.2959:
	s_wait_loadcnt 0x0
	global_load_b64 v[28:29], v[32:33], off
	s_mov_b32 s16, 0
	s_wait_loadcnt 0x0
	v_trunc_f64_e32 v[28:29], v[28:29]
	s_delay_alu instid0(VALU_DEP_1) | instskip(NEXT) | instid1(VALU_DEP_1)
	v_ldexp_f64 v[34:35], v[28:29], 0xffffffe0
	v_floor_f64_e32 v[34:35], v[34:35]
	s_delay_alu instid0(VALU_DEP_1) | instskip(NEXT) | instid1(VALU_DEP_1)
	v_fmamk_f64 v[28:29], v[34:35], 0xc1f00000, v[28:29]
	v_cvt_u32_f64_e32 v28, v[28:29]
	s_branch .LBB103_2962
.LBB103_2960:
	s_mov_b32 s16, -1
                                        ; implicit-def: $vgpr28
	s_branch .LBB103_2965
.LBB103_2961:
	s_mov_b32 s16, -1
                                        ; implicit-def: $vgpr28
.LBB103_2962:
	s_delay_alu instid0(SALU_CYCLE_1)
	s_and_not1_b32 vcc_lo, exec_lo, s16
	s_cbranch_vccnz .LBB103_2964
; %bb.2963:
	global_load_b32 v1, v[32:33], off
	s_wait_loadcnt 0x0
	v_trunc_f32_e32 v1, v1
	s_delay_alu instid0(VALU_DEP_1) | instskip(NEXT) | instid1(VALU_DEP_1)
	v_mul_f32_e64 v3, 0x2f800000, |v1|
	v_floor_f32_e32 v3, v3
	s_delay_alu instid0(VALU_DEP_1) | instskip(SKIP_1) | instid1(VALU_DEP_2)
	v_fma_f32 v3, 0xcf800000, v3, |v1|
	v_ashrrev_i32_e32 v1, 31, v1
	v_cvt_u32_f32_e32 v3, v3
	s_delay_alu instid0(VALU_DEP_1) | instskip(NEXT) | instid1(VALU_DEP_1)
	v_xor_b32_e32 v3, v3, v1
	v_sub_nc_u32_e32 v28, v3, v1
.LBB103_2964:
	s_mov_b32 s16, 0
.LBB103_2965:
	s_delay_alu instid0(SALU_CYCLE_1)
	s_and_not1_b32 vcc_lo, exec_lo, s16
	s_cbranch_vccnz .LBB103_2967
; %bb.2966:
	global_load_u16 v1, v[32:33], off
	s_wait_loadcnt 0x0
	v_cvt_f32_f16_e32 v1, v1
	s_delay_alu instid0(VALU_DEP_1)
	v_cvt_i32_f32_e32 v28, v1
.LBB103_2967:
	s_mov_b32 s16, 0
.LBB103_2968:
	s_delay_alu instid0(SALU_CYCLE_1)
	s_and_not1_b32 vcc_lo, exec_lo, s16
	s_cbranch_vccnz .LBB103_2988
; %bb.2969:
	s_cmp_lt_i32 s13, 2
	s_cbranch_scc1 .LBB103_2973
; %bb.2970:
	s_cmp_lt_i32 s13, 3
	s_cbranch_scc1 .LBB103_2974
; %bb.2971:
	s_cmp_gt_i32 s13, 3
	s_cbranch_scc0 .LBB103_2975
; %bb.2972:
	s_wait_loadcnt 0x0
	global_load_b64 v[28:29], v[32:33], off
	s_mov_b32 s16, 0
	s_branch .LBB103_2976
.LBB103_2973:
	s_mov_b32 s16, -1
                                        ; implicit-def: $vgpr28
	s_branch .LBB103_2982
.LBB103_2974:
	s_mov_b32 s16, -1
                                        ; implicit-def: $vgpr28
	s_branch .LBB103_2979
.LBB103_2975:
	s_mov_b32 s16, -1
                                        ; implicit-def: $vgpr28
.LBB103_2976:
	s_delay_alu instid0(SALU_CYCLE_1)
	s_and_not1_b32 vcc_lo, exec_lo, s16
	s_cbranch_vccnz .LBB103_2978
; %bb.2977:
	s_wait_loadcnt 0x0
	global_load_b32 v28, v[32:33], off
.LBB103_2978:
	s_mov_b32 s16, 0
.LBB103_2979:
	s_delay_alu instid0(SALU_CYCLE_1)
	s_and_not1_b32 vcc_lo, exec_lo, s16
	s_cbranch_vccnz .LBB103_2981
; %bb.2980:
	s_wait_loadcnt 0x0
	global_load_u16 v28, v[32:33], off
.LBB103_2981:
	s_mov_b32 s16, 0
.LBB103_2982:
	s_delay_alu instid0(SALU_CYCLE_1)
	s_and_not1_b32 vcc_lo, exec_lo, s16
	s_cbranch_vccnz .LBB103_2988
; %bb.2983:
	s_cmp_gt_i32 s13, 0
	s_mov_b32 s16, 0
	s_cbranch_scc0 .LBB103_2985
; %bb.2984:
	s_wait_loadcnt 0x0
	global_load_u8 v28, v[32:33], off
	s_branch .LBB103_2986
.LBB103_2985:
	s_mov_b32 s16, -1
                                        ; implicit-def: $vgpr28
.LBB103_2986:
	s_delay_alu instid0(SALU_CYCLE_1)
	s_and_not1_b32 vcc_lo, exec_lo, s16
	s_cbranch_vccnz .LBB103_2988
; %bb.2987:
	s_wait_loadcnt 0x0
	global_load_u8 v28, v[32:33], off
.LBB103_2988:
	s_mov_b32 s18, -1
.LBB103_2989:
	s_delay_alu instid0(SALU_CYCLE_1)
	s_and_not1_b32 vcc_lo, exec_lo, s18
	s_cbranch_vccnz .LBB103_4058
; %bb.2990:
	v_mov_b32_e32 v31, 0
	s_cmp_lt_i32 s14, 11
	s_wait_xcnt 0x0
	s_delay_alu instid0(VALU_DEP_1)
	v_add_nc_u64_e32 v[32:33], s[0:1], v[30:31]
	s_cbranch_scc1 .LBB103_2997
; %bb.2991:
	s_cmp_gt_i32 s14, 25
	s_mov_b32 s17, 0
	s_cbranch_scc0 .LBB103_2998
; %bb.2992:
	s_cmp_gt_i32 s14, 28
	s_cbranch_scc0 .LBB103_2999
; %bb.2993:
	s_cmp_gt_i32 s14, 43
	;; [unrolled: 3-line block ×3, first 2 shown]
	s_cbranch_scc0 .LBB103_3002
; %bb.2995:
	s_cmp_eq_u32 s14, 46
	s_mov_b32 s19, 0
	s_cbranch_scc0 .LBB103_3003
; %bb.2996:
	global_load_b32 v1, v[32:33], off
	s_mov_b32 s16, 0
	s_mov_b32 s18, -1
	s_wait_loadcnt 0x0
	v_lshlrev_b32_e32 v1, 16, v1
	s_delay_alu instid0(VALU_DEP_1) | instskip(NEXT) | instid1(VALU_DEP_1)
	v_trunc_f32_e32 v1, v1
	v_mul_f32_e64 v3, 0x2f800000, |v1|
	s_delay_alu instid0(VALU_DEP_1) | instskip(NEXT) | instid1(VALU_DEP_1)
	v_floor_f32_e32 v3, v3
	v_fma_f32 v3, 0xcf800000, v3, |v1|
	v_ashrrev_i32_e32 v1, 31, v1
	s_delay_alu instid0(VALU_DEP_2) | instskip(NEXT) | instid1(VALU_DEP_1)
	v_cvt_u32_f32_e32 v3, v3
	v_xor_b32_e32 v3, v3, v1
	s_delay_alu instid0(VALU_DEP_1)
	v_sub_nc_u32_e32 v30, v3, v1
	s_branch .LBB103_3005
.LBB103_2997:
	s_mov_b32 s16, -1
	s_mov_b32 s18, 0
                                        ; implicit-def: $vgpr30
	s_branch .LBB103_3067
.LBB103_2998:
	s_mov_b32 s19, -1
	s_mov_b32 s18, 0
	s_mov_b32 s16, 0
                                        ; implicit-def: $vgpr30
	s_branch .LBB103_3032
.LBB103_2999:
	s_mov_b32 s19, -1
	s_mov_b32 s18, 0
	s_mov_b32 s16, 0
                                        ; implicit-def: $vgpr30
	s_branch .LBB103_3015
.LBB103_3000:
	s_mov_b32 s19, -1
	s_mov_b32 s18, 0
	s_mov_b32 s16, 0
                                        ; implicit-def: $vgpr30
	s_branch .LBB103_3010
.LBB103_3001:
	s_or_b32 s12, s12, exec_lo
	s_trap 2
	s_cbranch_execz .LBB103_2938
	s_branch .LBB103_2939
.LBB103_3002:
	s_mov_b32 s19, -1
	s_mov_b32 s18, 0
	s_mov_b32 s16, 0
	s_branch .LBB103_3004
.LBB103_3003:
	s_mov_b32 s16, -1
	s_mov_b32 s18, 0
.LBB103_3004:
                                        ; implicit-def: $vgpr30
.LBB103_3005:
	s_and_b32 vcc_lo, exec_lo, s19
	s_cbranch_vccz .LBB103_3009
; %bb.3006:
	s_cmp_eq_u32 s14, 44
	s_cbranch_scc0 .LBB103_3008
; %bb.3007:
	global_load_u8 v1, v[32:33], off
	s_mov_b32 s16, 0
	s_mov_b32 s18, -1
	s_wait_loadcnt 0x0
	v_lshlrev_b32_e32 v3, 23, v1
	v_cmp_ne_u32_e32 vcc_lo, 0, v1
	s_delay_alu instid0(VALU_DEP_2) | instskip(NEXT) | instid1(VALU_DEP_1)
	v_trunc_f32_e32 v3, v3
	v_mul_f32_e64 v5, 0x2f800000, |v3|
	s_delay_alu instid0(VALU_DEP_1) | instskip(NEXT) | instid1(VALU_DEP_1)
	v_floor_f32_e32 v5, v5
	v_fma_f32 v5, 0xcf800000, v5, |v3|
	v_ashrrev_i32_e32 v3, 31, v3
	s_delay_alu instid0(VALU_DEP_2) | instskip(NEXT) | instid1(VALU_DEP_1)
	v_cvt_u32_f32_e32 v5, v5
	v_xor_b32_e32 v5, v5, v3
	s_delay_alu instid0(VALU_DEP_1) | instskip(NEXT) | instid1(VALU_DEP_1)
	v_sub_nc_u32_e32 v3, v5, v3
	v_cndmask_b32_e32 v30, 0, v3, vcc_lo
	s_branch .LBB103_3009
.LBB103_3008:
	s_mov_b32 s16, -1
                                        ; implicit-def: $vgpr30
.LBB103_3009:
	s_mov_b32 s19, 0
.LBB103_3010:
	s_delay_alu instid0(SALU_CYCLE_1)
	s_and_b32 vcc_lo, exec_lo, s19
	s_cbranch_vccz .LBB103_3014
; %bb.3011:
	s_cmp_eq_u32 s14, 29
	s_cbranch_scc0 .LBB103_3013
; %bb.3012:
	global_load_b64 v[30:31], v[32:33], off
	s_mov_b32 s16, 0
	s_mov_b32 s18, -1
	s_branch .LBB103_3014
.LBB103_3013:
	s_mov_b32 s16, -1
                                        ; implicit-def: $vgpr30
.LBB103_3014:
	s_mov_b32 s19, 0
.LBB103_3015:
	s_delay_alu instid0(SALU_CYCLE_1)
	s_and_b32 vcc_lo, exec_lo, s19
	s_cbranch_vccz .LBB103_3031
; %bb.3016:
	s_cmp_lt_i32 s14, 27
	s_cbranch_scc1 .LBB103_3019
; %bb.3017:
	s_cmp_gt_i32 s14, 27
	s_cbranch_scc0 .LBB103_3020
; %bb.3018:
	s_wait_loadcnt 0x0
	global_load_b32 v30, v[32:33], off
	s_mov_b32 s18, 0
	s_branch .LBB103_3021
.LBB103_3019:
	s_mov_b32 s18, -1
                                        ; implicit-def: $vgpr30
	s_branch .LBB103_3024
.LBB103_3020:
	s_mov_b32 s18, -1
                                        ; implicit-def: $vgpr30
.LBB103_3021:
	s_delay_alu instid0(SALU_CYCLE_1)
	s_and_not1_b32 vcc_lo, exec_lo, s18
	s_cbranch_vccnz .LBB103_3023
; %bb.3022:
	s_wait_loadcnt 0x0
	global_load_u16 v30, v[32:33], off
.LBB103_3023:
	s_mov_b32 s18, 0
.LBB103_3024:
	s_delay_alu instid0(SALU_CYCLE_1)
	s_and_not1_b32 vcc_lo, exec_lo, s18
	s_cbranch_vccnz .LBB103_3030
; %bb.3025:
	global_load_u8 v1, v[32:33], off
	s_mov_b32 s19, 0
	s_mov_b32 s18, exec_lo
	s_wait_loadcnt 0x0
	v_cmpx_lt_i16_e32 0x7f, v1
	s_xor_b32 s18, exec_lo, s18
	s_cbranch_execz .LBB103_3042
; %bb.3026:
	v_cmp_ne_u16_e32 vcc_lo, 0x80, v1
	s_and_b32 s19, vcc_lo, exec_lo
	s_and_not1_saveexec_b32 s18, s18
	s_cbranch_execnz .LBB103_3043
.LBB103_3027:
	s_or_b32 exec_lo, exec_lo, s18
	v_mov_b32_e32 v30, 0
	s_and_saveexec_b32 s18, s19
	s_cbranch_execz .LBB103_3029
.LBB103_3028:
	v_and_b32_e32 v3, 0xffff, v1
	s_delay_alu instid0(VALU_DEP_1) | instskip(SKIP_1) | instid1(VALU_DEP_2)
	v_dual_lshlrev_b32 v1, 24, v1 :: v_dual_bitop2_b32 v5, 7, v3 bitop3:0x40
	v_bfe_u32 v11, v3, 3, 4
	v_and_b32_e32 v1, 0x80000000, v1
	s_delay_alu instid0(VALU_DEP_3) | instskip(NEXT) | instid1(VALU_DEP_3)
	v_clz_i32_u32_e32 v7, v5
	v_cmp_eq_u32_e32 vcc_lo, 0, v11
	s_delay_alu instid0(VALU_DEP_2) | instskip(NEXT) | instid1(VALU_DEP_1)
	v_min_u32_e32 v7, 32, v7
	v_subrev_nc_u32_e32 v9, 28, v7
	v_sub_nc_u32_e32 v7, 29, v7
	s_delay_alu instid0(VALU_DEP_2) | instskip(NEXT) | instid1(VALU_DEP_2)
	v_lshlrev_b32_e32 v3, v9, v3
	v_cndmask_b32_e32 v7, v11, v7, vcc_lo
	s_delay_alu instid0(VALU_DEP_2) | instskip(NEXT) | instid1(VALU_DEP_1)
	v_and_b32_e32 v3, 7, v3
	v_cndmask_b32_e32 v3, v5, v3, vcc_lo
	s_delay_alu instid0(VALU_DEP_3) | instskip(NEXT) | instid1(VALU_DEP_2)
	v_lshl_add_u32 v5, v7, 23, 0x3b800000
	v_lshlrev_b32_e32 v3, 20, v3
	s_delay_alu instid0(VALU_DEP_1) | instskip(NEXT) | instid1(VALU_DEP_1)
	v_or3_b32 v1, v1, v5, v3
	v_trunc_f32_e32 v1, v1
	s_delay_alu instid0(VALU_DEP_1) | instskip(NEXT) | instid1(VALU_DEP_1)
	v_mul_f32_e64 v3, 0x2f800000, |v1|
	v_floor_f32_e32 v3, v3
	s_delay_alu instid0(VALU_DEP_1) | instskip(SKIP_1) | instid1(VALU_DEP_2)
	v_fma_f32 v3, 0xcf800000, v3, |v1|
	v_ashrrev_i32_e32 v1, 31, v1
	v_cvt_u32_f32_e32 v3, v3
	s_delay_alu instid0(VALU_DEP_1) | instskip(NEXT) | instid1(VALU_DEP_1)
	v_xor_b32_e32 v3, v3, v1
	v_sub_nc_u32_e32 v30, v3, v1
.LBB103_3029:
	s_or_b32 exec_lo, exec_lo, s18
.LBB103_3030:
	s_mov_b32 s18, -1
.LBB103_3031:
	s_mov_b32 s19, 0
.LBB103_3032:
	s_delay_alu instid0(SALU_CYCLE_1)
	s_and_b32 vcc_lo, exec_lo, s19
	s_cbranch_vccz .LBB103_3063
; %bb.3033:
	s_cmp_gt_i32 s14, 22
	s_cbranch_scc0 .LBB103_3041
; %bb.3034:
	s_cmp_lt_i32 s14, 24
	s_cbranch_scc1 .LBB103_3044
; %bb.3035:
	s_cmp_gt_i32 s14, 24
	s_cbranch_scc0 .LBB103_3045
; %bb.3036:
	global_load_u8 v1, v[32:33], off
	s_mov_b32 s18, 0
	s_mov_b32 s17, exec_lo
	s_wait_loadcnt 0x0
	v_cmpx_lt_i16_e32 0x7f, v1
	s_xor_b32 s17, exec_lo, s17
	s_cbranch_execz .LBB103_3057
; %bb.3037:
	v_cmp_ne_u16_e32 vcc_lo, 0x80, v1
	s_and_b32 s18, vcc_lo, exec_lo
	s_and_not1_saveexec_b32 s17, s17
	s_cbranch_execnz .LBB103_3058
.LBB103_3038:
	s_or_b32 exec_lo, exec_lo, s17
	v_mov_b32_e32 v30, 0
	s_and_saveexec_b32 s17, s18
	s_cbranch_execz .LBB103_3040
.LBB103_3039:
	v_and_b32_e32 v3, 0xffff, v1
	s_delay_alu instid0(VALU_DEP_1) | instskip(SKIP_1) | instid1(VALU_DEP_2)
	v_dual_lshlrev_b32 v1, 24, v1 :: v_dual_bitop2_b32 v5, 3, v3 bitop3:0x40
	v_bfe_u32 v11, v3, 2, 5
	v_and_b32_e32 v1, 0x80000000, v1
	s_delay_alu instid0(VALU_DEP_3) | instskip(NEXT) | instid1(VALU_DEP_3)
	v_clz_i32_u32_e32 v7, v5
	v_cmp_eq_u32_e32 vcc_lo, 0, v11
	s_delay_alu instid0(VALU_DEP_2) | instskip(NEXT) | instid1(VALU_DEP_1)
	v_min_u32_e32 v7, 32, v7
	v_subrev_nc_u32_e32 v9, 29, v7
	v_sub_nc_u32_e32 v7, 30, v7
	s_delay_alu instid0(VALU_DEP_2) | instskip(NEXT) | instid1(VALU_DEP_2)
	v_lshlrev_b32_e32 v3, v9, v3
	v_cndmask_b32_e32 v7, v11, v7, vcc_lo
	s_delay_alu instid0(VALU_DEP_2) | instskip(NEXT) | instid1(VALU_DEP_1)
	v_and_b32_e32 v3, 3, v3
	v_cndmask_b32_e32 v3, v5, v3, vcc_lo
	s_delay_alu instid0(VALU_DEP_3) | instskip(NEXT) | instid1(VALU_DEP_2)
	v_lshl_add_u32 v5, v7, 23, 0x37800000
	v_lshlrev_b32_e32 v3, 21, v3
	s_delay_alu instid0(VALU_DEP_1) | instskip(NEXT) | instid1(VALU_DEP_1)
	v_or3_b32 v1, v1, v5, v3
	v_trunc_f32_e32 v1, v1
	s_delay_alu instid0(VALU_DEP_1) | instskip(NEXT) | instid1(VALU_DEP_1)
	v_mul_f32_e64 v3, 0x2f800000, |v1|
	v_floor_f32_e32 v3, v3
	s_delay_alu instid0(VALU_DEP_1) | instskip(SKIP_1) | instid1(VALU_DEP_2)
	v_fma_f32 v3, 0xcf800000, v3, |v1|
	v_ashrrev_i32_e32 v1, 31, v1
	v_cvt_u32_f32_e32 v3, v3
	s_delay_alu instid0(VALU_DEP_1) | instskip(NEXT) | instid1(VALU_DEP_1)
	v_xor_b32_e32 v3, v3, v1
	v_sub_nc_u32_e32 v30, v3, v1
.LBB103_3040:
	s_or_b32 exec_lo, exec_lo, s17
	s_mov_b32 s17, 0
	s_branch .LBB103_3046
.LBB103_3041:
	s_mov_b32 s17, -1
                                        ; implicit-def: $vgpr30
	s_branch .LBB103_3052
.LBB103_3042:
	s_and_not1_saveexec_b32 s18, s18
	s_cbranch_execz .LBB103_3027
.LBB103_3043:
	v_cmp_ne_u16_e32 vcc_lo, 0, v1
	s_and_not1_b32 s19, s19, exec_lo
	s_and_b32 s20, vcc_lo, exec_lo
	s_delay_alu instid0(SALU_CYCLE_1)
	s_or_b32 s19, s19, s20
	s_or_b32 exec_lo, exec_lo, s18
	v_mov_b32_e32 v30, 0
	s_and_saveexec_b32 s18, s19
	s_cbranch_execnz .LBB103_3028
	s_branch .LBB103_3029
.LBB103_3044:
	s_mov_b32 s17, -1
                                        ; implicit-def: $vgpr30
	s_branch .LBB103_3049
.LBB103_3045:
	s_mov_b32 s17, -1
                                        ; implicit-def: $vgpr30
.LBB103_3046:
	s_delay_alu instid0(SALU_CYCLE_1)
	s_and_b32 vcc_lo, exec_lo, s17
	s_cbranch_vccz .LBB103_3048
; %bb.3047:
	global_load_u8 v1, v[32:33], off
	s_wait_loadcnt 0x0
	v_lshlrev_b32_e32 v1, 24, v1
	s_delay_alu instid0(VALU_DEP_1) | instskip(NEXT) | instid1(VALU_DEP_1)
	v_and_b32_e32 v3, 0x7f000000, v1
	v_clz_i32_u32_e32 v5, v3
	v_add_nc_u32_e32 v9, 0x1000000, v3
	v_cmp_ne_u32_e32 vcc_lo, 0, v3
	s_delay_alu instid0(VALU_DEP_3) | instskip(NEXT) | instid1(VALU_DEP_1)
	v_min_u32_e32 v5, 32, v5
	v_sub_nc_u32_e64 v5, v5, 4 clamp
	s_delay_alu instid0(VALU_DEP_1) | instskip(NEXT) | instid1(VALU_DEP_1)
	v_dual_lshlrev_b32 v7, v5, v3 :: v_dual_lshlrev_b32 v5, 23, v5
	v_lshrrev_b32_e32 v7, 4, v7
	s_delay_alu instid0(VALU_DEP_1) | instskip(SKIP_1) | instid1(VALU_DEP_2)
	v_sub_nc_u32_e32 v5, v7, v5
	v_ashrrev_i32_e32 v7, 8, v9
	v_add_nc_u32_e32 v5, 0x3c000000, v5
	s_delay_alu instid0(VALU_DEP_1) | instskip(NEXT) | instid1(VALU_DEP_1)
	v_and_or_b32 v5, 0x7f800000, v7, v5
	v_cndmask_b32_e32 v3, 0, v5, vcc_lo
	s_delay_alu instid0(VALU_DEP_1) | instskip(NEXT) | instid1(VALU_DEP_1)
	v_and_or_b32 v1, 0x80000000, v1, v3
	v_trunc_f32_e32 v1, v1
	s_delay_alu instid0(VALU_DEP_1) | instskip(NEXT) | instid1(VALU_DEP_1)
	v_mul_f32_e64 v3, 0x2f800000, |v1|
	v_floor_f32_e32 v3, v3
	s_delay_alu instid0(VALU_DEP_1) | instskip(SKIP_1) | instid1(VALU_DEP_2)
	v_fma_f32 v3, 0xcf800000, v3, |v1|
	v_ashrrev_i32_e32 v1, 31, v1
	v_cvt_u32_f32_e32 v3, v3
	s_delay_alu instid0(VALU_DEP_1) | instskip(NEXT) | instid1(VALU_DEP_1)
	v_xor_b32_e32 v3, v3, v1
	v_sub_nc_u32_e32 v30, v3, v1
.LBB103_3048:
	s_mov_b32 s17, 0
.LBB103_3049:
	s_delay_alu instid0(SALU_CYCLE_1)
	s_and_not1_b32 vcc_lo, exec_lo, s17
	s_cbranch_vccnz .LBB103_3051
; %bb.3050:
	global_load_u8 v1, v[32:33], off
	s_wait_loadcnt 0x0
	v_lshlrev_b32_e32 v3, 25, v1
	v_lshlrev_b16 v1, 8, v1
	s_delay_alu instid0(VALU_DEP_1) | instskip(SKIP_1) | instid1(VALU_DEP_2)
	v_and_or_b32 v7, 0x7f00, v1, 0.5
	v_bfe_i32 v1, v1, 0, 16
	v_add_f32_e32 v7, -0.5, v7
	v_lshrrev_b32_e32 v5, 4, v3
	v_cmp_gt_u32_e32 vcc_lo, 0x8000000, v3
	s_delay_alu instid0(VALU_DEP_2) | instskip(NEXT) | instid1(VALU_DEP_1)
	v_or_b32_e32 v5, 0x70000000, v5
	v_mul_f32_e32 v5, 0x7800000, v5
	s_delay_alu instid0(VALU_DEP_1) | instskip(NEXT) | instid1(VALU_DEP_1)
	v_cndmask_b32_e32 v3, v5, v7, vcc_lo
	v_and_or_b32 v1, 0x80000000, v1, v3
	s_delay_alu instid0(VALU_DEP_1) | instskip(NEXT) | instid1(VALU_DEP_1)
	v_trunc_f32_e32 v1, v1
	v_mul_f32_e64 v3, 0x2f800000, |v1|
	s_delay_alu instid0(VALU_DEP_1) | instskip(NEXT) | instid1(VALU_DEP_1)
	v_floor_f32_e32 v3, v3
	v_fma_f32 v3, 0xcf800000, v3, |v1|
	v_ashrrev_i32_e32 v1, 31, v1
	s_delay_alu instid0(VALU_DEP_2) | instskip(NEXT) | instid1(VALU_DEP_1)
	v_cvt_u32_f32_e32 v3, v3
	v_xor_b32_e32 v3, v3, v1
	s_delay_alu instid0(VALU_DEP_1)
	v_sub_nc_u32_e32 v30, v3, v1
.LBB103_3051:
	s_mov_b32 s17, 0
	s_mov_b32 s18, -1
.LBB103_3052:
	s_and_not1_b32 vcc_lo, exec_lo, s17
	s_mov_b32 s17, 0
	s_cbranch_vccnz .LBB103_3063
; %bb.3053:
	s_cmp_gt_i32 s14, 14
	s_cbranch_scc0 .LBB103_3056
; %bb.3054:
	s_cmp_eq_u32 s14, 15
	s_cbranch_scc0 .LBB103_3059
; %bb.3055:
	global_load_u16 v1, v[32:33], off
	s_mov_b32 s16, 0
	s_mov_b32 s18, -1
	s_wait_loadcnt 0x0
	v_lshlrev_b32_e32 v1, 16, v1
	s_delay_alu instid0(VALU_DEP_1) | instskip(NEXT) | instid1(VALU_DEP_1)
	v_trunc_f32_e32 v1, v1
	v_mul_f32_e64 v3, 0x2f800000, |v1|
	s_delay_alu instid0(VALU_DEP_1) | instskip(NEXT) | instid1(VALU_DEP_1)
	v_floor_f32_e32 v3, v3
	v_fma_f32 v3, 0xcf800000, v3, |v1|
	v_ashrrev_i32_e32 v1, 31, v1
	s_delay_alu instid0(VALU_DEP_2) | instskip(NEXT) | instid1(VALU_DEP_1)
	v_cvt_u32_f32_e32 v3, v3
	v_xor_b32_e32 v3, v3, v1
	s_delay_alu instid0(VALU_DEP_1)
	v_sub_nc_u32_e32 v30, v3, v1
	s_branch .LBB103_3061
.LBB103_3056:
	s_mov_b32 s17, -1
	s_branch .LBB103_3060
.LBB103_3057:
	s_and_not1_saveexec_b32 s17, s17
	s_cbranch_execz .LBB103_3038
.LBB103_3058:
	v_cmp_ne_u16_e32 vcc_lo, 0, v1
	s_and_not1_b32 s18, s18, exec_lo
	s_and_b32 s19, vcc_lo, exec_lo
	s_delay_alu instid0(SALU_CYCLE_1)
	s_or_b32 s18, s18, s19
	s_or_b32 exec_lo, exec_lo, s17
	v_mov_b32_e32 v30, 0
	s_and_saveexec_b32 s17, s18
	s_cbranch_execnz .LBB103_3039
	s_branch .LBB103_3040
.LBB103_3059:
	s_mov_b32 s16, -1
.LBB103_3060:
                                        ; implicit-def: $vgpr30
.LBB103_3061:
	s_and_b32 vcc_lo, exec_lo, s17
	s_mov_b32 s17, 0
	s_cbranch_vccz .LBB103_3063
; %bb.3062:
	s_cmp_lg_u32 s14, 11
	s_mov_b32 s17, -1
	s_cselect_b32 s16, -1, 0
.LBB103_3063:
	s_delay_alu instid0(SALU_CYCLE_1)
	s_and_b32 vcc_lo, exec_lo, s16
	s_cbranch_vccnz .LBB103_3128
; %bb.3064:
	s_and_not1_b32 vcc_lo, exec_lo, s17
	s_cbranch_vccnz .LBB103_3066
.LBB103_3065:
	global_load_u8 v1, v[32:33], off
	s_mov_b32 s18, -1
	s_wait_loadcnt 0x0
	v_cmp_ne_u16_e32 vcc_lo, 0, v1
	v_cndmask_b32_e64 v30, 0, 1, vcc_lo
.LBB103_3066:
	s_mov_b32 s16, 0
.LBB103_3067:
	s_delay_alu instid0(SALU_CYCLE_1)
	s_and_b32 vcc_lo, exec_lo, s16
	s_cbranch_vccz .LBB103_3116
; %bb.3068:
	s_cmp_lt_i32 s14, 5
	s_cbranch_scc1 .LBB103_3073
; %bb.3069:
	s_cmp_lt_i32 s14, 8
	s_cbranch_scc1 .LBB103_3074
	;; [unrolled: 3-line block ×3, first 2 shown]
; %bb.3071:
	s_cmp_gt_i32 s14, 9
	s_cbranch_scc0 .LBB103_3076
; %bb.3072:
	s_wait_loadcnt 0x0
	global_load_b64 v[30:31], v[32:33], off
	s_mov_b32 s16, 0
	s_wait_loadcnt 0x0
	v_trunc_f64_e32 v[30:31], v[30:31]
	s_delay_alu instid0(VALU_DEP_1) | instskip(NEXT) | instid1(VALU_DEP_1)
	v_ldexp_f64 v[34:35], v[30:31], 0xffffffe0
	v_floor_f64_e32 v[34:35], v[34:35]
	s_delay_alu instid0(VALU_DEP_1) | instskip(NEXT) | instid1(VALU_DEP_1)
	v_fmamk_f64 v[30:31], v[34:35], 0xc1f00000, v[30:31]
	v_cvt_u32_f64_e32 v30, v[30:31]
	s_branch .LBB103_3077
.LBB103_3073:
	s_mov_b32 s16, -1
                                        ; implicit-def: $vgpr30
	s_branch .LBB103_3095
.LBB103_3074:
	s_mov_b32 s16, -1
                                        ; implicit-def: $vgpr30
	s_branch .LBB103_3083
.LBB103_3075:
	s_mov_b32 s16, -1
                                        ; implicit-def: $vgpr30
	s_branch .LBB103_3080
.LBB103_3076:
	s_mov_b32 s16, -1
                                        ; implicit-def: $vgpr30
.LBB103_3077:
	s_delay_alu instid0(SALU_CYCLE_1)
	s_and_not1_b32 vcc_lo, exec_lo, s16
	s_cbranch_vccnz .LBB103_3079
; %bb.3078:
	global_load_b32 v1, v[32:33], off
	s_wait_loadcnt 0x0
	v_trunc_f32_e32 v1, v1
	s_delay_alu instid0(VALU_DEP_1) | instskip(NEXT) | instid1(VALU_DEP_1)
	v_mul_f32_e64 v3, 0x2f800000, |v1|
	v_floor_f32_e32 v3, v3
	s_delay_alu instid0(VALU_DEP_1) | instskip(SKIP_1) | instid1(VALU_DEP_2)
	v_fma_f32 v3, 0xcf800000, v3, |v1|
	v_ashrrev_i32_e32 v1, 31, v1
	v_cvt_u32_f32_e32 v3, v3
	s_delay_alu instid0(VALU_DEP_1) | instskip(NEXT) | instid1(VALU_DEP_1)
	v_xor_b32_e32 v3, v3, v1
	v_sub_nc_u32_e32 v30, v3, v1
.LBB103_3079:
	s_mov_b32 s16, 0
.LBB103_3080:
	s_delay_alu instid0(SALU_CYCLE_1)
	s_and_not1_b32 vcc_lo, exec_lo, s16
	s_cbranch_vccnz .LBB103_3082
; %bb.3081:
	global_load_b32 v1, v[32:33], off
	s_wait_loadcnt 0x0
	v_cvt_f32_f16_e32 v1, v1
	s_delay_alu instid0(VALU_DEP_1)
	v_cvt_i32_f32_e32 v30, v1
.LBB103_3082:
	s_mov_b32 s16, 0
.LBB103_3083:
	s_delay_alu instid0(SALU_CYCLE_1)
	s_and_not1_b32 vcc_lo, exec_lo, s16
	s_cbranch_vccnz .LBB103_3094
; %bb.3084:
	s_cmp_lt_i32 s14, 6
	s_cbranch_scc1 .LBB103_3087
; %bb.3085:
	s_cmp_gt_i32 s14, 6
	s_cbranch_scc0 .LBB103_3088
; %bb.3086:
	s_wait_loadcnt 0x0
	global_load_b64 v[30:31], v[32:33], off
	s_mov_b32 s16, 0
	s_wait_loadcnt 0x0
	v_trunc_f64_e32 v[30:31], v[30:31]
	s_delay_alu instid0(VALU_DEP_1) | instskip(NEXT) | instid1(VALU_DEP_1)
	v_ldexp_f64 v[34:35], v[30:31], 0xffffffe0
	v_floor_f64_e32 v[34:35], v[34:35]
	s_delay_alu instid0(VALU_DEP_1) | instskip(NEXT) | instid1(VALU_DEP_1)
	v_fmamk_f64 v[30:31], v[34:35], 0xc1f00000, v[30:31]
	v_cvt_u32_f64_e32 v30, v[30:31]
	s_branch .LBB103_3089
.LBB103_3087:
	s_mov_b32 s16, -1
                                        ; implicit-def: $vgpr30
	s_branch .LBB103_3092
.LBB103_3088:
	s_mov_b32 s16, -1
                                        ; implicit-def: $vgpr30
.LBB103_3089:
	s_delay_alu instid0(SALU_CYCLE_1)
	s_and_not1_b32 vcc_lo, exec_lo, s16
	s_cbranch_vccnz .LBB103_3091
; %bb.3090:
	global_load_b32 v1, v[32:33], off
	s_wait_loadcnt 0x0
	v_trunc_f32_e32 v1, v1
	s_delay_alu instid0(VALU_DEP_1) | instskip(NEXT) | instid1(VALU_DEP_1)
	v_mul_f32_e64 v3, 0x2f800000, |v1|
	v_floor_f32_e32 v3, v3
	s_delay_alu instid0(VALU_DEP_1) | instskip(SKIP_1) | instid1(VALU_DEP_2)
	v_fma_f32 v3, 0xcf800000, v3, |v1|
	v_ashrrev_i32_e32 v1, 31, v1
	v_cvt_u32_f32_e32 v3, v3
	s_delay_alu instid0(VALU_DEP_1) | instskip(NEXT) | instid1(VALU_DEP_1)
	v_xor_b32_e32 v3, v3, v1
	v_sub_nc_u32_e32 v30, v3, v1
.LBB103_3091:
	s_mov_b32 s16, 0
.LBB103_3092:
	s_delay_alu instid0(SALU_CYCLE_1)
	s_and_not1_b32 vcc_lo, exec_lo, s16
	s_cbranch_vccnz .LBB103_3094
; %bb.3093:
	global_load_u16 v1, v[32:33], off
	s_wait_loadcnt 0x0
	v_cvt_f32_f16_e32 v1, v1
	s_delay_alu instid0(VALU_DEP_1)
	v_cvt_i32_f32_e32 v30, v1
.LBB103_3094:
	s_mov_b32 s16, 0
.LBB103_3095:
	s_delay_alu instid0(SALU_CYCLE_1)
	s_and_not1_b32 vcc_lo, exec_lo, s16
	s_cbranch_vccnz .LBB103_3115
; %bb.3096:
	s_cmp_lt_i32 s14, 2
	s_cbranch_scc1 .LBB103_3100
; %bb.3097:
	s_cmp_lt_i32 s14, 3
	s_cbranch_scc1 .LBB103_3101
; %bb.3098:
	s_cmp_gt_i32 s14, 3
	s_cbranch_scc0 .LBB103_3102
; %bb.3099:
	s_wait_loadcnt 0x0
	global_load_b64 v[30:31], v[32:33], off
	s_mov_b32 s16, 0
	s_branch .LBB103_3103
.LBB103_3100:
	s_mov_b32 s16, -1
                                        ; implicit-def: $vgpr30
	s_branch .LBB103_3109
.LBB103_3101:
	s_mov_b32 s16, -1
                                        ; implicit-def: $vgpr30
	s_branch .LBB103_3106
.LBB103_3102:
	s_mov_b32 s16, -1
                                        ; implicit-def: $vgpr30
.LBB103_3103:
	s_delay_alu instid0(SALU_CYCLE_1)
	s_and_not1_b32 vcc_lo, exec_lo, s16
	s_cbranch_vccnz .LBB103_3105
; %bb.3104:
	s_wait_loadcnt 0x0
	global_load_b32 v30, v[32:33], off
.LBB103_3105:
	s_mov_b32 s16, 0
.LBB103_3106:
	s_delay_alu instid0(SALU_CYCLE_1)
	s_and_not1_b32 vcc_lo, exec_lo, s16
	s_cbranch_vccnz .LBB103_3108
; %bb.3107:
	s_wait_loadcnt 0x0
	global_load_u16 v30, v[32:33], off
.LBB103_3108:
	s_mov_b32 s16, 0
.LBB103_3109:
	s_delay_alu instid0(SALU_CYCLE_1)
	s_and_not1_b32 vcc_lo, exec_lo, s16
	s_cbranch_vccnz .LBB103_3115
; %bb.3110:
	s_cmp_gt_i32 s14, 0
	s_mov_b32 s16, 0
	s_cbranch_scc0 .LBB103_3112
; %bb.3111:
	s_wait_loadcnt 0x0
	global_load_u8 v30, v[32:33], off
	s_branch .LBB103_3113
.LBB103_3112:
	s_mov_b32 s16, -1
                                        ; implicit-def: $vgpr30
.LBB103_3113:
	s_delay_alu instid0(SALU_CYCLE_1)
	s_and_not1_b32 vcc_lo, exec_lo, s16
	s_cbranch_vccnz .LBB103_3115
; %bb.3114:
	s_wait_loadcnt 0x0
	global_load_u8 v30, v[32:33], off
.LBB103_3115:
	s_mov_b32 s18, -1
.LBB103_3116:
	s_delay_alu instid0(SALU_CYCLE_1)
	s_and_not1_b32 vcc_lo, exec_lo, s18
	s_cbranch_vccnz .LBB103_4058
; %bb.3117:
	v_mov_b32_e32 v25, 0
	s_cmp_lt_i32 s15, 11
	s_wait_xcnt 0x0
	s_delay_alu instid0(VALU_DEP_1)
	v_add_nc_u64_e32 v[32:33], s[8:9], v[24:25]
	s_cbranch_scc1 .LBB103_3124
; %bb.3118:
	s_cmp_gt_i32 s15, 25
	s_mov_b32 s17, 0
	s_cbranch_scc0 .LBB103_3125
; %bb.3119:
	s_cmp_gt_i32 s15, 28
	s_cbranch_scc0 .LBB103_3126
; %bb.3120:
	s_cmp_gt_i32 s15, 43
	;; [unrolled: 3-line block ×3, first 2 shown]
	s_cbranch_scc0 .LBB103_3129
; %bb.3122:
	s_cmp_eq_u32 s15, 46
	s_mov_b32 s19, 0
	s_cbranch_scc0 .LBB103_3130
; %bb.3123:
	global_load_b32 v1, v[32:33], off
	s_mov_b32 s16, 0
	s_mov_b32 s18, -1
	s_wait_loadcnt 0x0
	v_lshlrev_b32_e32 v1, 16, v1
	s_delay_alu instid0(VALU_DEP_1) | instskip(NEXT) | instid1(VALU_DEP_1)
	v_trunc_f32_e32 v1, v1
	v_mul_f32_e64 v3, 0x2f800000, |v1|
	s_delay_alu instid0(VALU_DEP_1) | instskip(NEXT) | instid1(VALU_DEP_1)
	v_floor_f32_e32 v3, v3
	v_fma_f32 v3, 0xcf800000, v3, |v1|
	v_ashrrev_i32_e32 v1, 31, v1
	s_delay_alu instid0(VALU_DEP_2) | instskip(NEXT) | instid1(VALU_DEP_1)
	v_cvt_u32_f32_e32 v3, v3
	v_xor_b32_e32 v3, v3, v1
	s_delay_alu instid0(VALU_DEP_1)
	v_sub_nc_u32_e32 v24, v3, v1
	s_branch .LBB103_3132
.LBB103_3124:
	s_mov_b32 s16, -1
	s_mov_b32 s18, 0
                                        ; implicit-def: $vgpr24
	s_branch .LBB103_3194
.LBB103_3125:
	s_mov_b32 s19, -1
	s_mov_b32 s18, 0
	s_mov_b32 s16, 0
                                        ; implicit-def: $vgpr24
	s_branch .LBB103_3159
.LBB103_3126:
	s_mov_b32 s19, -1
	s_mov_b32 s18, 0
	s_mov_b32 s16, 0
                                        ; implicit-def: $vgpr24
	s_branch .LBB103_3142
.LBB103_3127:
	s_mov_b32 s19, -1
	s_mov_b32 s18, 0
	s_mov_b32 s16, 0
                                        ; implicit-def: $vgpr24
	s_branch .LBB103_3137
.LBB103_3128:
	s_or_b32 s12, s12, exec_lo
	s_trap 2
	s_cbranch_execz .LBB103_3065
	s_branch .LBB103_3066
.LBB103_3129:
	s_mov_b32 s19, -1
	s_mov_b32 s18, 0
	s_mov_b32 s16, 0
	s_branch .LBB103_3131
.LBB103_3130:
	s_mov_b32 s16, -1
	s_mov_b32 s18, 0
.LBB103_3131:
                                        ; implicit-def: $vgpr24
.LBB103_3132:
	s_and_b32 vcc_lo, exec_lo, s19
	s_cbranch_vccz .LBB103_3136
; %bb.3133:
	s_cmp_eq_u32 s15, 44
	s_cbranch_scc0 .LBB103_3135
; %bb.3134:
	global_load_u8 v1, v[32:33], off
	s_mov_b32 s16, 0
	s_mov_b32 s18, -1
	s_wait_loadcnt 0x0
	v_lshlrev_b32_e32 v3, 23, v1
	v_cmp_ne_u32_e32 vcc_lo, 0, v1
	s_delay_alu instid0(VALU_DEP_2) | instskip(NEXT) | instid1(VALU_DEP_1)
	v_trunc_f32_e32 v3, v3
	v_mul_f32_e64 v5, 0x2f800000, |v3|
	s_delay_alu instid0(VALU_DEP_1) | instskip(NEXT) | instid1(VALU_DEP_1)
	v_floor_f32_e32 v5, v5
	v_fma_f32 v5, 0xcf800000, v5, |v3|
	v_ashrrev_i32_e32 v3, 31, v3
	s_delay_alu instid0(VALU_DEP_2) | instskip(NEXT) | instid1(VALU_DEP_1)
	v_cvt_u32_f32_e32 v5, v5
	v_xor_b32_e32 v5, v5, v3
	s_delay_alu instid0(VALU_DEP_1) | instskip(NEXT) | instid1(VALU_DEP_1)
	v_sub_nc_u32_e32 v3, v5, v3
	v_cndmask_b32_e32 v24, 0, v3, vcc_lo
	s_branch .LBB103_3136
.LBB103_3135:
	s_mov_b32 s16, -1
                                        ; implicit-def: $vgpr24
.LBB103_3136:
	s_mov_b32 s19, 0
.LBB103_3137:
	s_delay_alu instid0(SALU_CYCLE_1)
	s_and_b32 vcc_lo, exec_lo, s19
	s_cbranch_vccz .LBB103_3141
; %bb.3138:
	s_cmp_eq_u32 s15, 29
	s_cbranch_scc0 .LBB103_3140
; %bb.3139:
	global_load_b64 v[24:25], v[32:33], off
	s_mov_b32 s16, 0
	s_mov_b32 s18, -1
	s_branch .LBB103_3141
.LBB103_3140:
	s_mov_b32 s16, -1
                                        ; implicit-def: $vgpr24
.LBB103_3141:
	s_mov_b32 s19, 0
.LBB103_3142:
	s_delay_alu instid0(SALU_CYCLE_1)
	s_and_b32 vcc_lo, exec_lo, s19
	s_cbranch_vccz .LBB103_3158
; %bb.3143:
	s_cmp_lt_i32 s15, 27
	s_cbranch_scc1 .LBB103_3146
; %bb.3144:
	s_cmp_gt_i32 s15, 27
	s_cbranch_scc0 .LBB103_3147
; %bb.3145:
	s_wait_loadcnt 0x0
	global_load_b32 v24, v[32:33], off
	s_mov_b32 s18, 0
	s_branch .LBB103_3148
.LBB103_3146:
	s_mov_b32 s18, -1
                                        ; implicit-def: $vgpr24
	s_branch .LBB103_3151
.LBB103_3147:
	s_mov_b32 s18, -1
                                        ; implicit-def: $vgpr24
.LBB103_3148:
	s_delay_alu instid0(SALU_CYCLE_1)
	s_and_not1_b32 vcc_lo, exec_lo, s18
	s_cbranch_vccnz .LBB103_3150
; %bb.3149:
	s_wait_loadcnt 0x0
	global_load_u16 v24, v[32:33], off
.LBB103_3150:
	s_mov_b32 s18, 0
.LBB103_3151:
	s_delay_alu instid0(SALU_CYCLE_1)
	s_and_not1_b32 vcc_lo, exec_lo, s18
	s_cbranch_vccnz .LBB103_3157
; %bb.3152:
	global_load_u8 v1, v[32:33], off
	s_mov_b32 s19, 0
	s_mov_b32 s18, exec_lo
	s_wait_loadcnt 0x0
	v_cmpx_lt_i16_e32 0x7f, v1
	s_xor_b32 s18, exec_lo, s18
	s_cbranch_execz .LBB103_3169
; %bb.3153:
	v_cmp_ne_u16_e32 vcc_lo, 0x80, v1
	s_and_b32 s19, vcc_lo, exec_lo
	s_and_not1_saveexec_b32 s18, s18
	s_cbranch_execnz .LBB103_3170
.LBB103_3154:
	s_or_b32 exec_lo, exec_lo, s18
	v_mov_b32_e32 v24, 0
	s_and_saveexec_b32 s18, s19
	s_cbranch_execz .LBB103_3156
.LBB103_3155:
	v_and_b32_e32 v3, 0xffff, v1
	s_delay_alu instid0(VALU_DEP_1) | instskip(SKIP_1) | instid1(VALU_DEP_2)
	v_dual_lshlrev_b32 v1, 24, v1 :: v_dual_bitop2_b32 v5, 7, v3 bitop3:0x40
	v_bfe_u32 v11, v3, 3, 4
	v_and_b32_e32 v1, 0x80000000, v1
	s_delay_alu instid0(VALU_DEP_3) | instskip(NEXT) | instid1(VALU_DEP_3)
	v_clz_i32_u32_e32 v7, v5
	v_cmp_eq_u32_e32 vcc_lo, 0, v11
	s_delay_alu instid0(VALU_DEP_2) | instskip(NEXT) | instid1(VALU_DEP_1)
	v_min_u32_e32 v7, 32, v7
	v_subrev_nc_u32_e32 v9, 28, v7
	v_sub_nc_u32_e32 v7, 29, v7
	s_delay_alu instid0(VALU_DEP_2) | instskip(NEXT) | instid1(VALU_DEP_2)
	v_lshlrev_b32_e32 v3, v9, v3
	v_cndmask_b32_e32 v7, v11, v7, vcc_lo
	s_delay_alu instid0(VALU_DEP_2) | instskip(NEXT) | instid1(VALU_DEP_1)
	v_and_b32_e32 v3, 7, v3
	v_cndmask_b32_e32 v3, v5, v3, vcc_lo
	s_delay_alu instid0(VALU_DEP_3) | instskip(NEXT) | instid1(VALU_DEP_2)
	v_lshl_add_u32 v5, v7, 23, 0x3b800000
	v_lshlrev_b32_e32 v3, 20, v3
	s_delay_alu instid0(VALU_DEP_1) | instskip(NEXT) | instid1(VALU_DEP_1)
	v_or3_b32 v1, v1, v5, v3
	v_trunc_f32_e32 v1, v1
	s_delay_alu instid0(VALU_DEP_1) | instskip(NEXT) | instid1(VALU_DEP_1)
	v_mul_f32_e64 v3, 0x2f800000, |v1|
	v_floor_f32_e32 v3, v3
	s_delay_alu instid0(VALU_DEP_1) | instskip(SKIP_1) | instid1(VALU_DEP_2)
	v_fma_f32 v3, 0xcf800000, v3, |v1|
	v_ashrrev_i32_e32 v1, 31, v1
	v_cvt_u32_f32_e32 v3, v3
	s_delay_alu instid0(VALU_DEP_1) | instskip(NEXT) | instid1(VALU_DEP_1)
	v_xor_b32_e32 v3, v3, v1
	v_sub_nc_u32_e32 v24, v3, v1
.LBB103_3156:
	s_or_b32 exec_lo, exec_lo, s18
.LBB103_3157:
	s_mov_b32 s18, -1
.LBB103_3158:
	s_mov_b32 s19, 0
.LBB103_3159:
	s_delay_alu instid0(SALU_CYCLE_1)
	s_and_b32 vcc_lo, exec_lo, s19
	s_cbranch_vccz .LBB103_3190
; %bb.3160:
	s_cmp_gt_i32 s15, 22
	s_cbranch_scc0 .LBB103_3168
; %bb.3161:
	s_cmp_lt_i32 s15, 24
	s_cbranch_scc1 .LBB103_3171
; %bb.3162:
	s_cmp_gt_i32 s15, 24
	s_cbranch_scc0 .LBB103_3172
; %bb.3163:
	global_load_u8 v1, v[32:33], off
	s_mov_b32 s18, 0
	s_mov_b32 s17, exec_lo
	s_wait_loadcnt 0x0
	v_cmpx_lt_i16_e32 0x7f, v1
	s_xor_b32 s17, exec_lo, s17
	s_cbranch_execz .LBB103_3184
; %bb.3164:
	v_cmp_ne_u16_e32 vcc_lo, 0x80, v1
	s_and_b32 s18, vcc_lo, exec_lo
	s_and_not1_saveexec_b32 s17, s17
	s_cbranch_execnz .LBB103_3185
.LBB103_3165:
	s_or_b32 exec_lo, exec_lo, s17
	v_mov_b32_e32 v24, 0
	s_and_saveexec_b32 s17, s18
	s_cbranch_execz .LBB103_3167
.LBB103_3166:
	v_and_b32_e32 v3, 0xffff, v1
	s_delay_alu instid0(VALU_DEP_1) | instskip(SKIP_1) | instid1(VALU_DEP_2)
	v_dual_lshlrev_b32 v1, 24, v1 :: v_dual_bitop2_b32 v5, 3, v3 bitop3:0x40
	v_bfe_u32 v11, v3, 2, 5
	v_and_b32_e32 v1, 0x80000000, v1
	s_delay_alu instid0(VALU_DEP_3) | instskip(NEXT) | instid1(VALU_DEP_3)
	v_clz_i32_u32_e32 v7, v5
	v_cmp_eq_u32_e32 vcc_lo, 0, v11
	s_delay_alu instid0(VALU_DEP_2) | instskip(NEXT) | instid1(VALU_DEP_1)
	v_min_u32_e32 v7, 32, v7
	v_subrev_nc_u32_e32 v9, 29, v7
	v_sub_nc_u32_e32 v7, 30, v7
	s_delay_alu instid0(VALU_DEP_2) | instskip(NEXT) | instid1(VALU_DEP_2)
	v_lshlrev_b32_e32 v3, v9, v3
	v_cndmask_b32_e32 v7, v11, v7, vcc_lo
	s_delay_alu instid0(VALU_DEP_2) | instskip(NEXT) | instid1(VALU_DEP_1)
	v_and_b32_e32 v3, 3, v3
	v_cndmask_b32_e32 v3, v5, v3, vcc_lo
	s_delay_alu instid0(VALU_DEP_3) | instskip(NEXT) | instid1(VALU_DEP_2)
	v_lshl_add_u32 v5, v7, 23, 0x37800000
	v_lshlrev_b32_e32 v3, 21, v3
	s_delay_alu instid0(VALU_DEP_1) | instskip(NEXT) | instid1(VALU_DEP_1)
	v_or3_b32 v1, v1, v5, v3
	v_trunc_f32_e32 v1, v1
	s_delay_alu instid0(VALU_DEP_1) | instskip(NEXT) | instid1(VALU_DEP_1)
	v_mul_f32_e64 v3, 0x2f800000, |v1|
	v_floor_f32_e32 v3, v3
	s_delay_alu instid0(VALU_DEP_1) | instskip(SKIP_1) | instid1(VALU_DEP_2)
	v_fma_f32 v3, 0xcf800000, v3, |v1|
	v_ashrrev_i32_e32 v1, 31, v1
	v_cvt_u32_f32_e32 v3, v3
	s_delay_alu instid0(VALU_DEP_1) | instskip(NEXT) | instid1(VALU_DEP_1)
	v_xor_b32_e32 v3, v3, v1
	v_sub_nc_u32_e32 v24, v3, v1
.LBB103_3167:
	s_or_b32 exec_lo, exec_lo, s17
	s_mov_b32 s17, 0
	s_branch .LBB103_3173
.LBB103_3168:
	s_mov_b32 s17, -1
                                        ; implicit-def: $vgpr24
	s_branch .LBB103_3179
.LBB103_3169:
	s_and_not1_saveexec_b32 s18, s18
	s_cbranch_execz .LBB103_3154
.LBB103_3170:
	v_cmp_ne_u16_e32 vcc_lo, 0, v1
	s_and_not1_b32 s19, s19, exec_lo
	s_and_b32 s20, vcc_lo, exec_lo
	s_delay_alu instid0(SALU_CYCLE_1)
	s_or_b32 s19, s19, s20
	s_or_b32 exec_lo, exec_lo, s18
	v_mov_b32_e32 v24, 0
	s_and_saveexec_b32 s18, s19
	s_cbranch_execnz .LBB103_3155
	s_branch .LBB103_3156
.LBB103_3171:
	s_mov_b32 s17, -1
                                        ; implicit-def: $vgpr24
	s_branch .LBB103_3176
.LBB103_3172:
	s_mov_b32 s17, -1
                                        ; implicit-def: $vgpr24
.LBB103_3173:
	s_delay_alu instid0(SALU_CYCLE_1)
	s_and_b32 vcc_lo, exec_lo, s17
	s_cbranch_vccz .LBB103_3175
; %bb.3174:
	global_load_u8 v1, v[32:33], off
	s_wait_loadcnt 0x0
	v_lshlrev_b32_e32 v1, 24, v1
	s_delay_alu instid0(VALU_DEP_1) | instskip(NEXT) | instid1(VALU_DEP_1)
	v_and_b32_e32 v3, 0x7f000000, v1
	v_clz_i32_u32_e32 v5, v3
	v_add_nc_u32_e32 v9, 0x1000000, v3
	v_cmp_ne_u32_e32 vcc_lo, 0, v3
	s_delay_alu instid0(VALU_DEP_3) | instskip(NEXT) | instid1(VALU_DEP_1)
	v_min_u32_e32 v5, 32, v5
	v_sub_nc_u32_e64 v5, v5, 4 clamp
	s_delay_alu instid0(VALU_DEP_1) | instskip(NEXT) | instid1(VALU_DEP_1)
	v_dual_lshlrev_b32 v7, v5, v3 :: v_dual_lshlrev_b32 v5, 23, v5
	v_lshrrev_b32_e32 v7, 4, v7
	s_delay_alu instid0(VALU_DEP_1) | instskip(SKIP_1) | instid1(VALU_DEP_2)
	v_sub_nc_u32_e32 v5, v7, v5
	v_ashrrev_i32_e32 v7, 8, v9
	v_add_nc_u32_e32 v5, 0x3c000000, v5
	s_delay_alu instid0(VALU_DEP_1) | instskip(NEXT) | instid1(VALU_DEP_1)
	v_and_or_b32 v5, 0x7f800000, v7, v5
	v_cndmask_b32_e32 v3, 0, v5, vcc_lo
	s_delay_alu instid0(VALU_DEP_1) | instskip(NEXT) | instid1(VALU_DEP_1)
	v_and_or_b32 v1, 0x80000000, v1, v3
	v_trunc_f32_e32 v1, v1
	s_delay_alu instid0(VALU_DEP_1) | instskip(NEXT) | instid1(VALU_DEP_1)
	v_mul_f32_e64 v3, 0x2f800000, |v1|
	v_floor_f32_e32 v3, v3
	s_delay_alu instid0(VALU_DEP_1) | instskip(SKIP_1) | instid1(VALU_DEP_2)
	v_fma_f32 v3, 0xcf800000, v3, |v1|
	v_ashrrev_i32_e32 v1, 31, v1
	v_cvt_u32_f32_e32 v3, v3
	s_delay_alu instid0(VALU_DEP_1) | instskip(NEXT) | instid1(VALU_DEP_1)
	v_xor_b32_e32 v3, v3, v1
	v_sub_nc_u32_e32 v24, v3, v1
.LBB103_3175:
	s_mov_b32 s17, 0
.LBB103_3176:
	s_delay_alu instid0(SALU_CYCLE_1)
	s_and_not1_b32 vcc_lo, exec_lo, s17
	s_cbranch_vccnz .LBB103_3178
; %bb.3177:
	global_load_u8 v1, v[32:33], off
	s_wait_loadcnt 0x0
	v_lshlrev_b32_e32 v3, 25, v1
	v_lshlrev_b16 v1, 8, v1
	s_delay_alu instid0(VALU_DEP_1) | instskip(SKIP_1) | instid1(VALU_DEP_2)
	v_and_or_b32 v7, 0x7f00, v1, 0.5
	v_bfe_i32 v1, v1, 0, 16
	v_add_f32_e32 v7, -0.5, v7
	v_lshrrev_b32_e32 v5, 4, v3
	v_cmp_gt_u32_e32 vcc_lo, 0x8000000, v3
	s_delay_alu instid0(VALU_DEP_2) | instskip(NEXT) | instid1(VALU_DEP_1)
	v_or_b32_e32 v5, 0x70000000, v5
	v_mul_f32_e32 v5, 0x7800000, v5
	s_delay_alu instid0(VALU_DEP_1) | instskip(NEXT) | instid1(VALU_DEP_1)
	v_cndmask_b32_e32 v3, v5, v7, vcc_lo
	v_and_or_b32 v1, 0x80000000, v1, v3
	s_delay_alu instid0(VALU_DEP_1) | instskip(NEXT) | instid1(VALU_DEP_1)
	v_trunc_f32_e32 v1, v1
	v_mul_f32_e64 v3, 0x2f800000, |v1|
	s_delay_alu instid0(VALU_DEP_1) | instskip(NEXT) | instid1(VALU_DEP_1)
	v_floor_f32_e32 v3, v3
	v_fma_f32 v3, 0xcf800000, v3, |v1|
	v_ashrrev_i32_e32 v1, 31, v1
	s_delay_alu instid0(VALU_DEP_2) | instskip(NEXT) | instid1(VALU_DEP_1)
	v_cvt_u32_f32_e32 v3, v3
	v_xor_b32_e32 v3, v3, v1
	s_delay_alu instid0(VALU_DEP_1)
	v_sub_nc_u32_e32 v24, v3, v1
.LBB103_3178:
	s_mov_b32 s17, 0
	s_mov_b32 s18, -1
.LBB103_3179:
	s_and_not1_b32 vcc_lo, exec_lo, s17
	s_mov_b32 s17, 0
	s_cbranch_vccnz .LBB103_3190
; %bb.3180:
	s_cmp_gt_i32 s15, 14
	s_cbranch_scc0 .LBB103_3183
; %bb.3181:
	s_cmp_eq_u32 s15, 15
	s_cbranch_scc0 .LBB103_3186
; %bb.3182:
	global_load_u16 v1, v[32:33], off
	s_mov_b32 s16, 0
	s_mov_b32 s18, -1
	s_wait_loadcnt 0x0
	v_lshlrev_b32_e32 v1, 16, v1
	s_delay_alu instid0(VALU_DEP_1) | instskip(NEXT) | instid1(VALU_DEP_1)
	v_trunc_f32_e32 v1, v1
	v_mul_f32_e64 v3, 0x2f800000, |v1|
	s_delay_alu instid0(VALU_DEP_1) | instskip(NEXT) | instid1(VALU_DEP_1)
	v_floor_f32_e32 v3, v3
	v_fma_f32 v3, 0xcf800000, v3, |v1|
	v_ashrrev_i32_e32 v1, 31, v1
	s_delay_alu instid0(VALU_DEP_2) | instskip(NEXT) | instid1(VALU_DEP_1)
	v_cvt_u32_f32_e32 v3, v3
	v_xor_b32_e32 v3, v3, v1
	s_delay_alu instid0(VALU_DEP_1)
	v_sub_nc_u32_e32 v24, v3, v1
	s_branch .LBB103_3188
.LBB103_3183:
	s_mov_b32 s17, -1
	s_branch .LBB103_3187
.LBB103_3184:
	s_and_not1_saveexec_b32 s17, s17
	s_cbranch_execz .LBB103_3165
.LBB103_3185:
	v_cmp_ne_u16_e32 vcc_lo, 0, v1
	s_and_not1_b32 s18, s18, exec_lo
	s_and_b32 s19, vcc_lo, exec_lo
	s_delay_alu instid0(SALU_CYCLE_1)
	s_or_b32 s18, s18, s19
	s_or_b32 exec_lo, exec_lo, s17
	v_mov_b32_e32 v24, 0
	s_and_saveexec_b32 s17, s18
	s_cbranch_execnz .LBB103_3166
	s_branch .LBB103_3167
.LBB103_3186:
	s_mov_b32 s16, -1
.LBB103_3187:
                                        ; implicit-def: $vgpr24
.LBB103_3188:
	s_and_b32 vcc_lo, exec_lo, s17
	s_mov_b32 s17, 0
	s_cbranch_vccz .LBB103_3190
; %bb.3189:
	s_cmp_lg_u32 s15, 11
	s_mov_b32 s17, -1
	s_cselect_b32 s16, -1, 0
.LBB103_3190:
	s_delay_alu instid0(SALU_CYCLE_1)
	s_and_b32 vcc_lo, exec_lo, s16
	s_cbranch_vccnz .LBB103_3255
; %bb.3191:
	s_and_not1_b32 vcc_lo, exec_lo, s17
	s_cbranch_vccnz .LBB103_3193
.LBB103_3192:
	global_load_u8 v1, v[32:33], off
	s_mov_b32 s18, -1
	s_wait_loadcnt 0x0
	v_cmp_ne_u16_e32 vcc_lo, 0, v1
	v_cndmask_b32_e64 v24, 0, 1, vcc_lo
.LBB103_3193:
	s_mov_b32 s16, 0
.LBB103_3194:
	s_delay_alu instid0(SALU_CYCLE_1)
	s_and_b32 vcc_lo, exec_lo, s16
	s_cbranch_vccz .LBB103_3243
; %bb.3195:
	s_cmp_lt_i32 s15, 5
	s_cbranch_scc1 .LBB103_3200
; %bb.3196:
	s_cmp_lt_i32 s15, 8
	s_cbranch_scc1 .LBB103_3201
	;; [unrolled: 3-line block ×3, first 2 shown]
; %bb.3198:
	s_cmp_gt_i32 s15, 9
	s_cbranch_scc0 .LBB103_3203
; %bb.3199:
	s_wait_loadcnt 0x0
	global_load_b64 v[24:25], v[32:33], off
	s_mov_b32 s16, 0
	s_wait_loadcnt 0x0
	v_trunc_f64_e32 v[24:25], v[24:25]
	s_delay_alu instid0(VALU_DEP_1) | instskip(NEXT) | instid1(VALU_DEP_1)
	v_ldexp_f64 v[34:35], v[24:25], 0xffffffe0
	v_floor_f64_e32 v[34:35], v[34:35]
	s_delay_alu instid0(VALU_DEP_1) | instskip(NEXT) | instid1(VALU_DEP_1)
	v_fmamk_f64 v[24:25], v[34:35], 0xc1f00000, v[24:25]
	v_cvt_u32_f64_e32 v24, v[24:25]
	s_branch .LBB103_3204
.LBB103_3200:
	s_mov_b32 s16, -1
                                        ; implicit-def: $vgpr24
	s_branch .LBB103_3222
.LBB103_3201:
	s_mov_b32 s16, -1
                                        ; implicit-def: $vgpr24
	s_branch .LBB103_3210
.LBB103_3202:
	s_mov_b32 s16, -1
                                        ; implicit-def: $vgpr24
	s_branch .LBB103_3207
.LBB103_3203:
	s_mov_b32 s16, -1
                                        ; implicit-def: $vgpr24
.LBB103_3204:
	s_delay_alu instid0(SALU_CYCLE_1)
	s_and_not1_b32 vcc_lo, exec_lo, s16
	s_cbranch_vccnz .LBB103_3206
; %bb.3205:
	global_load_b32 v1, v[32:33], off
	s_wait_loadcnt 0x0
	v_trunc_f32_e32 v1, v1
	s_delay_alu instid0(VALU_DEP_1) | instskip(NEXT) | instid1(VALU_DEP_1)
	v_mul_f32_e64 v3, 0x2f800000, |v1|
	v_floor_f32_e32 v3, v3
	s_delay_alu instid0(VALU_DEP_1) | instskip(SKIP_1) | instid1(VALU_DEP_2)
	v_fma_f32 v3, 0xcf800000, v3, |v1|
	v_ashrrev_i32_e32 v1, 31, v1
	v_cvt_u32_f32_e32 v3, v3
	s_delay_alu instid0(VALU_DEP_1) | instskip(NEXT) | instid1(VALU_DEP_1)
	v_xor_b32_e32 v3, v3, v1
	v_sub_nc_u32_e32 v24, v3, v1
.LBB103_3206:
	s_mov_b32 s16, 0
.LBB103_3207:
	s_delay_alu instid0(SALU_CYCLE_1)
	s_and_not1_b32 vcc_lo, exec_lo, s16
	s_cbranch_vccnz .LBB103_3209
; %bb.3208:
	global_load_b32 v1, v[32:33], off
	s_wait_loadcnt 0x0
	v_cvt_f32_f16_e32 v1, v1
	s_delay_alu instid0(VALU_DEP_1)
	v_cvt_i32_f32_e32 v24, v1
.LBB103_3209:
	s_mov_b32 s16, 0
.LBB103_3210:
	s_delay_alu instid0(SALU_CYCLE_1)
	s_and_not1_b32 vcc_lo, exec_lo, s16
	s_cbranch_vccnz .LBB103_3221
; %bb.3211:
	s_cmp_lt_i32 s15, 6
	s_cbranch_scc1 .LBB103_3214
; %bb.3212:
	s_cmp_gt_i32 s15, 6
	s_cbranch_scc0 .LBB103_3215
; %bb.3213:
	s_wait_loadcnt 0x0
	global_load_b64 v[24:25], v[32:33], off
	s_mov_b32 s16, 0
	s_wait_loadcnt 0x0
	v_trunc_f64_e32 v[24:25], v[24:25]
	s_delay_alu instid0(VALU_DEP_1) | instskip(NEXT) | instid1(VALU_DEP_1)
	v_ldexp_f64 v[34:35], v[24:25], 0xffffffe0
	v_floor_f64_e32 v[34:35], v[34:35]
	s_delay_alu instid0(VALU_DEP_1) | instskip(NEXT) | instid1(VALU_DEP_1)
	v_fmamk_f64 v[24:25], v[34:35], 0xc1f00000, v[24:25]
	v_cvt_u32_f64_e32 v24, v[24:25]
	s_branch .LBB103_3216
.LBB103_3214:
	s_mov_b32 s16, -1
                                        ; implicit-def: $vgpr24
	s_branch .LBB103_3219
.LBB103_3215:
	s_mov_b32 s16, -1
                                        ; implicit-def: $vgpr24
.LBB103_3216:
	s_delay_alu instid0(SALU_CYCLE_1)
	s_and_not1_b32 vcc_lo, exec_lo, s16
	s_cbranch_vccnz .LBB103_3218
; %bb.3217:
	global_load_b32 v1, v[32:33], off
	s_wait_loadcnt 0x0
	v_trunc_f32_e32 v1, v1
	s_delay_alu instid0(VALU_DEP_1) | instskip(NEXT) | instid1(VALU_DEP_1)
	v_mul_f32_e64 v3, 0x2f800000, |v1|
	v_floor_f32_e32 v3, v3
	s_delay_alu instid0(VALU_DEP_1) | instskip(SKIP_1) | instid1(VALU_DEP_2)
	v_fma_f32 v3, 0xcf800000, v3, |v1|
	v_ashrrev_i32_e32 v1, 31, v1
	v_cvt_u32_f32_e32 v3, v3
	s_delay_alu instid0(VALU_DEP_1) | instskip(NEXT) | instid1(VALU_DEP_1)
	v_xor_b32_e32 v3, v3, v1
	v_sub_nc_u32_e32 v24, v3, v1
.LBB103_3218:
	s_mov_b32 s16, 0
.LBB103_3219:
	s_delay_alu instid0(SALU_CYCLE_1)
	s_and_not1_b32 vcc_lo, exec_lo, s16
	s_cbranch_vccnz .LBB103_3221
; %bb.3220:
	global_load_u16 v1, v[32:33], off
	s_wait_loadcnt 0x0
	v_cvt_f32_f16_e32 v1, v1
	s_delay_alu instid0(VALU_DEP_1)
	v_cvt_i32_f32_e32 v24, v1
.LBB103_3221:
	s_mov_b32 s16, 0
.LBB103_3222:
	s_delay_alu instid0(SALU_CYCLE_1)
	s_and_not1_b32 vcc_lo, exec_lo, s16
	s_cbranch_vccnz .LBB103_3242
; %bb.3223:
	s_cmp_lt_i32 s15, 2
	s_cbranch_scc1 .LBB103_3227
; %bb.3224:
	s_cmp_lt_i32 s15, 3
	s_cbranch_scc1 .LBB103_3228
; %bb.3225:
	s_cmp_gt_i32 s15, 3
	s_cbranch_scc0 .LBB103_3229
; %bb.3226:
	s_wait_loadcnt 0x0
	global_load_b64 v[24:25], v[32:33], off
	s_mov_b32 s16, 0
	s_branch .LBB103_3230
.LBB103_3227:
	s_mov_b32 s16, -1
                                        ; implicit-def: $vgpr24
	s_branch .LBB103_3236
.LBB103_3228:
	s_mov_b32 s16, -1
                                        ; implicit-def: $vgpr24
	s_branch .LBB103_3233
.LBB103_3229:
	s_mov_b32 s16, -1
                                        ; implicit-def: $vgpr24
.LBB103_3230:
	s_delay_alu instid0(SALU_CYCLE_1)
	s_and_not1_b32 vcc_lo, exec_lo, s16
	s_cbranch_vccnz .LBB103_3232
; %bb.3231:
	s_wait_loadcnt 0x0
	global_load_b32 v24, v[32:33], off
.LBB103_3232:
	s_mov_b32 s16, 0
.LBB103_3233:
	s_delay_alu instid0(SALU_CYCLE_1)
	s_and_not1_b32 vcc_lo, exec_lo, s16
	s_cbranch_vccnz .LBB103_3235
; %bb.3234:
	s_wait_loadcnt 0x0
	global_load_u16 v24, v[32:33], off
.LBB103_3235:
	s_mov_b32 s16, 0
.LBB103_3236:
	s_delay_alu instid0(SALU_CYCLE_1)
	s_and_not1_b32 vcc_lo, exec_lo, s16
	s_cbranch_vccnz .LBB103_3242
; %bb.3237:
	s_cmp_gt_i32 s15, 0
	s_mov_b32 s16, 0
	s_cbranch_scc0 .LBB103_3239
; %bb.3238:
	s_wait_loadcnt 0x0
	global_load_u8 v24, v[32:33], off
	s_branch .LBB103_3240
.LBB103_3239:
	s_mov_b32 s16, -1
                                        ; implicit-def: $vgpr24
.LBB103_3240:
	s_delay_alu instid0(SALU_CYCLE_1)
	s_and_not1_b32 vcc_lo, exec_lo, s16
	s_cbranch_vccnz .LBB103_3242
; %bb.3241:
	s_wait_loadcnt 0x0
	global_load_u8 v24, v[32:33], off
.LBB103_3242:
	s_mov_b32 s18, -1
.LBB103_3243:
	s_delay_alu instid0(SALU_CYCLE_1)
	s_and_not1_b32 vcc_lo, exec_lo, s18
	s_cbranch_vccnz .LBB103_4058
; %bb.3244:
	v_mov_b32_e32 v21, 0
	s_cmp_lt_i32 s13, 11
	s_wait_xcnt 0x0
	s_delay_alu instid0(VALU_DEP_1)
	v_add_nc_u64_e32 v[32:33], s[6:7], v[20:21]
	s_cbranch_scc1 .LBB103_3251
; %bb.3245:
	s_cmp_gt_i32 s13, 25
	s_mov_b32 s7, 0
	s_cbranch_scc0 .LBB103_3252
; %bb.3246:
	s_cmp_gt_i32 s13, 28
	s_cbranch_scc0 .LBB103_3253
; %bb.3247:
	s_cmp_gt_i32 s13, 43
	;; [unrolled: 3-line block ×3, first 2 shown]
	s_cbranch_scc0 .LBB103_3256
; %bb.3249:
	s_cmp_eq_u32 s13, 46
	s_mov_b32 s17, 0
	s_cbranch_scc0 .LBB103_3257
; %bb.3250:
	global_load_b32 v1, v[32:33], off
	s_mov_b32 s6, 0
	s_mov_b32 s16, -1
	s_wait_loadcnt 0x0
	v_lshlrev_b32_e32 v1, 16, v1
	s_delay_alu instid0(VALU_DEP_1) | instskip(NEXT) | instid1(VALU_DEP_1)
	v_trunc_f32_e32 v1, v1
	v_mul_f32_e64 v3, 0x2f800000, |v1|
	s_delay_alu instid0(VALU_DEP_1) | instskip(NEXT) | instid1(VALU_DEP_1)
	v_floor_f32_e32 v3, v3
	v_fma_f32 v3, 0xcf800000, v3, |v1|
	v_ashrrev_i32_e32 v1, 31, v1
	s_delay_alu instid0(VALU_DEP_2) | instskip(NEXT) | instid1(VALU_DEP_1)
	v_cvt_u32_f32_e32 v3, v3
	v_xor_b32_e32 v3, v3, v1
	s_delay_alu instid0(VALU_DEP_1)
	v_sub_nc_u32_e32 v20, v3, v1
	s_branch .LBB103_3259
.LBB103_3251:
	s_mov_b32 s6, -1
	s_mov_b32 s16, 0
                                        ; implicit-def: $vgpr20
	s_branch .LBB103_3321
.LBB103_3252:
	s_mov_b32 s17, -1
	s_mov_b32 s16, 0
	s_mov_b32 s6, 0
                                        ; implicit-def: $vgpr20
	s_branch .LBB103_3286
.LBB103_3253:
	s_mov_b32 s17, -1
	s_mov_b32 s16, 0
	s_mov_b32 s6, 0
                                        ; implicit-def: $vgpr20
	s_branch .LBB103_3269
.LBB103_3254:
	s_mov_b32 s17, -1
	s_mov_b32 s16, 0
	s_mov_b32 s6, 0
                                        ; implicit-def: $vgpr20
	s_branch .LBB103_3264
.LBB103_3255:
	s_or_b32 s12, s12, exec_lo
	s_trap 2
	s_cbranch_execz .LBB103_3192
	s_branch .LBB103_3193
.LBB103_3256:
	s_mov_b32 s17, -1
	s_mov_b32 s16, 0
	s_mov_b32 s6, 0
	s_branch .LBB103_3258
.LBB103_3257:
	s_mov_b32 s6, -1
	s_mov_b32 s16, 0
.LBB103_3258:
                                        ; implicit-def: $vgpr20
.LBB103_3259:
	s_and_b32 vcc_lo, exec_lo, s17
	s_cbranch_vccz .LBB103_3263
; %bb.3260:
	s_cmp_eq_u32 s13, 44
	s_cbranch_scc0 .LBB103_3262
; %bb.3261:
	global_load_u8 v1, v[32:33], off
	s_mov_b32 s6, 0
	s_mov_b32 s16, -1
	s_wait_loadcnt 0x0
	v_lshlrev_b32_e32 v3, 23, v1
	v_cmp_ne_u32_e32 vcc_lo, 0, v1
	s_delay_alu instid0(VALU_DEP_2) | instskip(NEXT) | instid1(VALU_DEP_1)
	v_trunc_f32_e32 v3, v3
	v_mul_f32_e64 v5, 0x2f800000, |v3|
	s_delay_alu instid0(VALU_DEP_1) | instskip(NEXT) | instid1(VALU_DEP_1)
	v_floor_f32_e32 v5, v5
	v_fma_f32 v5, 0xcf800000, v5, |v3|
	v_ashrrev_i32_e32 v3, 31, v3
	s_delay_alu instid0(VALU_DEP_2) | instskip(NEXT) | instid1(VALU_DEP_1)
	v_cvt_u32_f32_e32 v5, v5
	v_xor_b32_e32 v5, v5, v3
	s_delay_alu instid0(VALU_DEP_1) | instskip(NEXT) | instid1(VALU_DEP_1)
	v_sub_nc_u32_e32 v3, v5, v3
	v_cndmask_b32_e32 v20, 0, v3, vcc_lo
	s_branch .LBB103_3263
.LBB103_3262:
	s_mov_b32 s6, -1
                                        ; implicit-def: $vgpr20
.LBB103_3263:
	s_mov_b32 s17, 0
.LBB103_3264:
	s_delay_alu instid0(SALU_CYCLE_1)
	s_and_b32 vcc_lo, exec_lo, s17
	s_cbranch_vccz .LBB103_3268
; %bb.3265:
	s_cmp_eq_u32 s13, 29
	s_cbranch_scc0 .LBB103_3267
; %bb.3266:
	global_load_b64 v[20:21], v[32:33], off
	s_mov_b32 s6, 0
	s_mov_b32 s16, -1
	s_branch .LBB103_3268
.LBB103_3267:
	s_mov_b32 s6, -1
                                        ; implicit-def: $vgpr20
.LBB103_3268:
	s_mov_b32 s17, 0
.LBB103_3269:
	s_delay_alu instid0(SALU_CYCLE_1)
	s_and_b32 vcc_lo, exec_lo, s17
	s_cbranch_vccz .LBB103_3285
; %bb.3270:
	s_cmp_lt_i32 s13, 27
	s_cbranch_scc1 .LBB103_3273
; %bb.3271:
	s_cmp_gt_i32 s13, 27
	s_cbranch_scc0 .LBB103_3274
; %bb.3272:
	s_wait_loadcnt 0x0
	global_load_b32 v20, v[32:33], off
	s_mov_b32 s16, 0
	s_branch .LBB103_3275
.LBB103_3273:
	s_mov_b32 s16, -1
                                        ; implicit-def: $vgpr20
	s_branch .LBB103_3278
.LBB103_3274:
	s_mov_b32 s16, -1
                                        ; implicit-def: $vgpr20
.LBB103_3275:
	s_delay_alu instid0(SALU_CYCLE_1)
	s_and_not1_b32 vcc_lo, exec_lo, s16
	s_cbranch_vccnz .LBB103_3277
; %bb.3276:
	s_wait_loadcnt 0x0
	global_load_u16 v20, v[32:33], off
.LBB103_3277:
	s_mov_b32 s16, 0
.LBB103_3278:
	s_delay_alu instid0(SALU_CYCLE_1)
	s_and_not1_b32 vcc_lo, exec_lo, s16
	s_cbranch_vccnz .LBB103_3284
; %bb.3279:
	global_load_u8 v1, v[32:33], off
	s_mov_b32 s17, 0
	s_mov_b32 s16, exec_lo
	s_wait_loadcnt 0x0
	v_cmpx_lt_i16_e32 0x7f, v1
	s_xor_b32 s16, exec_lo, s16
	s_cbranch_execz .LBB103_3296
; %bb.3280:
	v_cmp_ne_u16_e32 vcc_lo, 0x80, v1
	s_and_b32 s17, vcc_lo, exec_lo
	s_and_not1_saveexec_b32 s16, s16
	s_cbranch_execnz .LBB103_3297
.LBB103_3281:
	s_or_b32 exec_lo, exec_lo, s16
	v_mov_b32_e32 v20, 0
	s_and_saveexec_b32 s16, s17
	s_cbranch_execz .LBB103_3283
.LBB103_3282:
	v_and_b32_e32 v3, 0xffff, v1
	s_delay_alu instid0(VALU_DEP_1) | instskip(SKIP_1) | instid1(VALU_DEP_2)
	v_dual_lshlrev_b32 v1, 24, v1 :: v_dual_bitop2_b32 v5, 7, v3 bitop3:0x40
	v_bfe_u32 v11, v3, 3, 4
	v_and_b32_e32 v1, 0x80000000, v1
	s_delay_alu instid0(VALU_DEP_3) | instskip(NEXT) | instid1(VALU_DEP_3)
	v_clz_i32_u32_e32 v7, v5
	v_cmp_eq_u32_e32 vcc_lo, 0, v11
	s_delay_alu instid0(VALU_DEP_2) | instskip(NEXT) | instid1(VALU_DEP_1)
	v_min_u32_e32 v7, 32, v7
	v_subrev_nc_u32_e32 v9, 28, v7
	v_sub_nc_u32_e32 v7, 29, v7
	s_delay_alu instid0(VALU_DEP_2) | instskip(NEXT) | instid1(VALU_DEP_2)
	v_lshlrev_b32_e32 v3, v9, v3
	v_cndmask_b32_e32 v7, v11, v7, vcc_lo
	s_delay_alu instid0(VALU_DEP_2) | instskip(NEXT) | instid1(VALU_DEP_1)
	v_and_b32_e32 v3, 7, v3
	v_cndmask_b32_e32 v3, v5, v3, vcc_lo
	s_delay_alu instid0(VALU_DEP_3) | instskip(NEXT) | instid1(VALU_DEP_2)
	v_lshl_add_u32 v5, v7, 23, 0x3b800000
	v_lshlrev_b32_e32 v3, 20, v3
	s_delay_alu instid0(VALU_DEP_1) | instskip(NEXT) | instid1(VALU_DEP_1)
	v_or3_b32 v1, v1, v5, v3
	v_trunc_f32_e32 v1, v1
	s_delay_alu instid0(VALU_DEP_1) | instskip(NEXT) | instid1(VALU_DEP_1)
	v_mul_f32_e64 v3, 0x2f800000, |v1|
	v_floor_f32_e32 v3, v3
	s_delay_alu instid0(VALU_DEP_1) | instskip(SKIP_1) | instid1(VALU_DEP_2)
	v_fma_f32 v3, 0xcf800000, v3, |v1|
	v_ashrrev_i32_e32 v1, 31, v1
	v_cvt_u32_f32_e32 v3, v3
	s_delay_alu instid0(VALU_DEP_1) | instskip(NEXT) | instid1(VALU_DEP_1)
	v_xor_b32_e32 v3, v3, v1
	v_sub_nc_u32_e32 v20, v3, v1
.LBB103_3283:
	s_or_b32 exec_lo, exec_lo, s16
.LBB103_3284:
	s_mov_b32 s16, -1
.LBB103_3285:
	s_mov_b32 s17, 0
.LBB103_3286:
	s_delay_alu instid0(SALU_CYCLE_1)
	s_and_b32 vcc_lo, exec_lo, s17
	s_cbranch_vccz .LBB103_3317
; %bb.3287:
	s_cmp_gt_i32 s13, 22
	s_cbranch_scc0 .LBB103_3295
; %bb.3288:
	s_cmp_lt_i32 s13, 24
	s_cbranch_scc1 .LBB103_3298
; %bb.3289:
	s_cmp_gt_i32 s13, 24
	s_cbranch_scc0 .LBB103_3299
; %bb.3290:
	global_load_u8 v1, v[32:33], off
	s_mov_b32 s16, 0
	s_mov_b32 s7, exec_lo
	s_wait_loadcnt 0x0
	v_cmpx_lt_i16_e32 0x7f, v1
	s_xor_b32 s7, exec_lo, s7
	s_cbranch_execz .LBB103_3311
; %bb.3291:
	v_cmp_ne_u16_e32 vcc_lo, 0x80, v1
	s_and_b32 s16, vcc_lo, exec_lo
	s_and_not1_saveexec_b32 s7, s7
	s_cbranch_execnz .LBB103_3312
.LBB103_3292:
	s_or_b32 exec_lo, exec_lo, s7
	v_mov_b32_e32 v20, 0
	s_and_saveexec_b32 s7, s16
	s_cbranch_execz .LBB103_3294
.LBB103_3293:
	v_and_b32_e32 v3, 0xffff, v1
	s_delay_alu instid0(VALU_DEP_1) | instskip(SKIP_1) | instid1(VALU_DEP_2)
	v_dual_lshlrev_b32 v1, 24, v1 :: v_dual_bitop2_b32 v5, 3, v3 bitop3:0x40
	v_bfe_u32 v11, v3, 2, 5
	v_and_b32_e32 v1, 0x80000000, v1
	s_delay_alu instid0(VALU_DEP_3) | instskip(NEXT) | instid1(VALU_DEP_3)
	v_clz_i32_u32_e32 v7, v5
	v_cmp_eq_u32_e32 vcc_lo, 0, v11
	s_delay_alu instid0(VALU_DEP_2) | instskip(NEXT) | instid1(VALU_DEP_1)
	v_min_u32_e32 v7, 32, v7
	v_subrev_nc_u32_e32 v9, 29, v7
	v_sub_nc_u32_e32 v7, 30, v7
	s_delay_alu instid0(VALU_DEP_2) | instskip(NEXT) | instid1(VALU_DEP_2)
	v_lshlrev_b32_e32 v3, v9, v3
	v_cndmask_b32_e32 v7, v11, v7, vcc_lo
	s_delay_alu instid0(VALU_DEP_2) | instskip(NEXT) | instid1(VALU_DEP_1)
	v_and_b32_e32 v3, 3, v3
	v_cndmask_b32_e32 v3, v5, v3, vcc_lo
	s_delay_alu instid0(VALU_DEP_3) | instskip(NEXT) | instid1(VALU_DEP_2)
	v_lshl_add_u32 v5, v7, 23, 0x37800000
	v_lshlrev_b32_e32 v3, 21, v3
	s_delay_alu instid0(VALU_DEP_1) | instskip(NEXT) | instid1(VALU_DEP_1)
	v_or3_b32 v1, v1, v5, v3
	v_trunc_f32_e32 v1, v1
	s_delay_alu instid0(VALU_DEP_1) | instskip(NEXT) | instid1(VALU_DEP_1)
	v_mul_f32_e64 v3, 0x2f800000, |v1|
	v_floor_f32_e32 v3, v3
	s_delay_alu instid0(VALU_DEP_1) | instskip(SKIP_1) | instid1(VALU_DEP_2)
	v_fma_f32 v3, 0xcf800000, v3, |v1|
	v_ashrrev_i32_e32 v1, 31, v1
	v_cvt_u32_f32_e32 v3, v3
	s_delay_alu instid0(VALU_DEP_1) | instskip(NEXT) | instid1(VALU_DEP_1)
	v_xor_b32_e32 v3, v3, v1
	v_sub_nc_u32_e32 v20, v3, v1
.LBB103_3294:
	s_or_b32 exec_lo, exec_lo, s7
	s_mov_b32 s7, 0
	s_branch .LBB103_3300
.LBB103_3295:
	s_mov_b32 s7, -1
                                        ; implicit-def: $vgpr20
	s_branch .LBB103_3306
.LBB103_3296:
	s_and_not1_saveexec_b32 s16, s16
	s_cbranch_execz .LBB103_3281
.LBB103_3297:
	v_cmp_ne_u16_e32 vcc_lo, 0, v1
	s_and_not1_b32 s17, s17, exec_lo
	s_and_b32 s18, vcc_lo, exec_lo
	s_delay_alu instid0(SALU_CYCLE_1)
	s_or_b32 s17, s17, s18
	s_or_b32 exec_lo, exec_lo, s16
	v_mov_b32_e32 v20, 0
	s_and_saveexec_b32 s16, s17
	s_cbranch_execnz .LBB103_3282
	s_branch .LBB103_3283
.LBB103_3298:
	s_mov_b32 s7, -1
                                        ; implicit-def: $vgpr20
	s_branch .LBB103_3303
.LBB103_3299:
	s_mov_b32 s7, -1
                                        ; implicit-def: $vgpr20
.LBB103_3300:
	s_delay_alu instid0(SALU_CYCLE_1)
	s_and_b32 vcc_lo, exec_lo, s7
	s_cbranch_vccz .LBB103_3302
; %bb.3301:
	global_load_u8 v1, v[32:33], off
	s_wait_loadcnt 0x0
	v_lshlrev_b32_e32 v1, 24, v1
	s_delay_alu instid0(VALU_DEP_1) | instskip(NEXT) | instid1(VALU_DEP_1)
	v_and_b32_e32 v3, 0x7f000000, v1
	v_clz_i32_u32_e32 v5, v3
	v_add_nc_u32_e32 v9, 0x1000000, v3
	v_cmp_ne_u32_e32 vcc_lo, 0, v3
	s_delay_alu instid0(VALU_DEP_3) | instskip(NEXT) | instid1(VALU_DEP_1)
	v_min_u32_e32 v5, 32, v5
	v_sub_nc_u32_e64 v5, v5, 4 clamp
	s_delay_alu instid0(VALU_DEP_1) | instskip(NEXT) | instid1(VALU_DEP_1)
	v_dual_lshlrev_b32 v7, v5, v3 :: v_dual_lshlrev_b32 v5, 23, v5
	v_lshrrev_b32_e32 v7, 4, v7
	s_delay_alu instid0(VALU_DEP_1) | instskip(SKIP_1) | instid1(VALU_DEP_2)
	v_sub_nc_u32_e32 v5, v7, v5
	v_ashrrev_i32_e32 v7, 8, v9
	v_add_nc_u32_e32 v5, 0x3c000000, v5
	s_delay_alu instid0(VALU_DEP_1) | instskip(NEXT) | instid1(VALU_DEP_1)
	v_and_or_b32 v5, 0x7f800000, v7, v5
	v_cndmask_b32_e32 v3, 0, v5, vcc_lo
	s_delay_alu instid0(VALU_DEP_1) | instskip(NEXT) | instid1(VALU_DEP_1)
	v_and_or_b32 v1, 0x80000000, v1, v3
	v_trunc_f32_e32 v1, v1
	s_delay_alu instid0(VALU_DEP_1) | instskip(NEXT) | instid1(VALU_DEP_1)
	v_mul_f32_e64 v3, 0x2f800000, |v1|
	v_floor_f32_e32 v3, v3
	s_delay_alu instid0(VALU_DEP_1) | instskip(SKIP_1) | instid1(VALU_DEP_2)
	v_fma_f32 v3, 0xcf800000, v3, |v1|
	v_ashrrev_i32_e32 v1, 31, v1
	v_cvt_u32_f32_e32 v3, v3
	s_delay_alu instid0(VALU_DEP_1) | instskip(NEXT) | instid1(VALU_DEP_1)
	v_xor_b32_e32 v3, v3, v1
	v_sub_nc_u32_e32 v20, v3, v1
.LBB103_3302:
	s_mov_b32 s7, 0
.LBB103_3303:
	s_delay_alu instid0(SALU_CYCLE_1)
	s_and_not1_b32 vcc_lo, exec_lo, s7
	s_cbranch_vccnz .LBB103_3305
; %bb.3304:
	global_load_u8 v1, v[32:33], off
	s_wait_loadcnt 0x0
	v_lshlrev_b32_e32 v3, 25, v1
	v_lshlrev_b16 v1, 8, v1
	s_delay_alu instid0(VALU_DEP_1) | instskip(SKIP_1) | instid1(VALU_DEP_2)
	v_and_or_b32 v7, 0x7f00, v1, 0.5
	v_bfe_i32 v1, v1, 0, 16
	v_add_f32_e32 v7, -0.5, v7
	v_lshrrev_b32_e32 v5, 4, v3
	v_cmp_gt_u32_e32 vcc_lo, 0x8000000, v3
	s_delay_alu instid0(VALU_DEP_2) | instskip(NEXT) | instid1(VALU_DEP_1)
	v_or_b32_e32 v5, 0x70000000, v5
	v_mul_f32_e32 v5, 0x7800000, v5
	s_delay_alu instid0(VALU_DEP_1) | instskip(NEXT) | instid1(VALU_DEP_1)
	v_cndmask_b32_e32 v3, v5, v7, vcc_lo
	v_and_or_b32 v1, 0x80000000, v1, v3
	s_delay_alu instid0(VALU_DEP_1) | instskip(NEXT) | instid1(VALU_DEP_1)
	v_trunc_f32_e32 v1, v1
	v_mul_f32_e64 v3, 0x2f800000, |v1|
	s_delay_alu instid0(VALU_DEP_1) | instskip(NEXT) | instid1(VALU_DEP_1)
	v_floor_f32_e32 v3, v3
	v_fma_f32 v3, 0xcf800000, v3, |v1|
	v_ashrrev_i32_e32 v1, 31, v1
	s_delay_alu instid0(VALU_DEP_2) | instskip(NEXT) | instid1(VALU_DEP_1)
	v_cvt_u32_f32_e32 v3, v3
	v_xor_b32_e32 v3, v3, v1
	s_delay_alu instid0(VALU_DEP_1)
	v_sub_nc_u32_e32 v20, v3, v1
.LBB103_3305:
	s_mov_b32 s7, 0
	s_mov_b32 s16, -1
.LBB103_3306:
	s_and_not1_b32 vcc_lo, exec_lo, s7
	s_mov_b32 s7, 0
	s_cbranch_vccnz .LBB103_3317
; %bb.3307:
	s_cmp_gt_i32 s13, 14
	s_cbranch_scc0 .LBB103_3310
; %bb.3308:
	s_cmp_eq_u32 s13, 15
	s_cbranch_scc0 .LBB103_3313
; %bb.3309:
	global_load_u16 v1, v[32:33], off
	s_mov_b32 s6, 0
	s_mov_b32 s16, -1
	s_wait_loadcnt 0x0
	v_lshlrev_b32_e32 v1, 16, v1
	s_delay_alu instid0(VALU_DEP_1) | instskip(NEXT) | instid1(VALU_DEP_1)
	v_trunc_f32_e32 v1, v1
	v_mul_f32_e64 v3, 0x2f800000, |v1|
	s_delay_alu instid0(VALU_DEP_1) | instskip(NEXT) | instid1(VALU_DEP_1)
	v_floor_f32_e32 v3, v3
	v_fma_f32 v3, 0xcf800000, v3, |v1|
	v_ashrrev_i32_e32 v1, 31, v1
	s_delay_alu instid0(VALU_DEP_2) | instskip(NEXT) | instid1(VALU_DEP_1)
	v_cvt_u32_f32_e32 v3, v3
	v_xor_b32_e32 v3, v3, v1
	s_delay_alu instid0(VALU_DEP_1)
	v_sub_nc_u32_e32 v20, v3, v1
	s_branch .LBB103_3315
.LBB103_3310:
	s_mov_b32 s7, -1
	s_branch .LBB103_3314
.LBB103_3311:
	s_and_not1_saveexec_b32 s7, s7
	s_cbranch_execz .LBB103_3292
.LBB103_3312:
	v_cmp_ne_u16_e32 vcc_lo, 0, v1
	s_and_not1_b32 s16, s16, exec_lo
	s_and_b32 s17, vcc_lo, exec_lo
	s_delay_alu instid0(SALU_CYCLE_1)
	s_or_b32 s16, s16, s17
	s_or_b32 exec_lo, exec_lo, s7
	v_mov_b32_e32 v20, 0
	s_and_saveexec_b32 s7, s16
	s_cbranch_execnz .LBB103_3293
	s_branch .LBB103_3294
.LBB103_3313:
	s_mov_b32 s6, -1
.LBB103_3314:
                                        ; implicit-def: $vgpr20
.LBB103_3315:
	s_and_b32 vcc_lo, exec_lo, s7
	s_mov_b32 s7, 0
	s_cbranch_vccz .LBB103_3317
; %bb.3316:
	s_cmp_lg_u32 s13, 11
	s_mov_b32 s7, -1
	s_cselect_b32 s6, -1, 0
.LBB103_3317:
	s_delay_alu instid0(SALU_CYCLE_1)
	s_and_b32 vcc_lo, exec_lo, s6
	s_cbranch_vccnz .LBB103_3382
; %bb.3318:
	s_and_not1_b32 vcc_lo, exec_lo, s7
	s_cbranch_vccnz .LBB103_3320
.LBB103_3319:
	global_load_u8 v1, v[32:33], off
	s_mov_b32 s16, -1
	s_wait_loadcnt 0x0
	v_cmp_ne_u16_e32 vcc_lo, 0, v1
	v_cndmask_b32_e64 v20, 0, 1, vcc_lo
.LBB103_3320:
	s_mov_b32 s6, 0
.LBB103_3321:
	s_delay_alu instid0(SALU_CYCLE_1)
	s_and_b32 vcc_lo, exec_lo, s6
	s_cbranch_vccz .LBB103_3370
; %bb.3322:
	s_cmp_lt_i32 s13, 5
	s_cbranch_scc1 .LBB103_3327
; %bb.3323:
	s_cmp_lt_i32 s13, 8
	s_cbranch_scc1 .LBB103_3328
	;; [unrolled: 3-line block ×3, first 2 shown]
; %bb.3325:
	s_cmp_gt_i32 s13, 9
	s_cbranch_scc0 .LBB103_3330
; %bb.3326:
	s_wait_loadcnt 0x0
	global_load_b64 v[20:21], v[32:33], off
	s_mov_b32 s6, 0
	s_wait_loadcnt 0x0
	v_trunc_f64_e32 v[20:21], v[20:21]
	s_delay_alu instid0(VALU_DEP_1) | instskip(NEXT) | instid1(VALU_DEP_1)
	v_ldexp_f64 v[34:35], v[20:21], 0xffffffe0
	v_floor_f64_e32 v[34:35], v[34:35]
	s_delay_alu instid0(VALU_DEP_1) | instskip(NEXT) | instid1(VALU_DEP_1)
	v_fmamk_f64 v[20:21], v[34:35], 0xc1f00000, v[20:21]
	v_cvt_u32_f64_e32 v20, v[20:21]
	s_branch .LBB103_3331
.LBB103_3327:
	s_mov_b32 s6, -1
                                        ; implicit-def: $vgpr20
	s_branch .LBB103_3349
.LBB103_3328:
	s_mov_b32 s6, -1
                                        ; implicit-def: $vgpr20
	s_branch .LBB103_3337
.LBB103_3329:
	s_mov_b32 s6, -1
                                        ; implicit-def: $vgpr20
	s_branch .LBB103_3334
.LBB103_3330:
	s_mov_b32 s6, -1
                                        ; implicit-def: $vgpr20
.LBB103_3331:
	s_delay_alu instid0(SALU_CYCLE_1)
	s_and_not1_b32 vcc_lo, exec_lo, s6
	s_cbranch_vccnz .LBB103_3333
; %bb.3332:
	global_load_b32 v1, v[32:33], off
	s_wait_loadcnt 0x0
	v_trunc_f32_e32 v1, v1
	s_delay_alu instid0(VALU_DEP_1) | instskip(NEXT) | instid1(VALU_DEP_1)
	v_mul_f32_e64 v3, 0x2f800000, |v1|
	v_floor_f32_e32 v3, v3
	s_delay_alu instid0(VALU_DEP_1) | instskip(SKIP_1) | instid1(VALU_DEP_2)
	v_fma_f32 v3, 0xcf800000, v3, |v1|
	v_ashrrev_i32_e32 v1, 31, v1
	v_cvt_u32_f32_e32 v3, v3
	s_delay_alu instid0(VALU_DEP_1) | instskip(NEXT) | instid1(VALU_DEP_1)
	v_xor_b32_e32 v3, v3, v1
	v_sub_nc_u32_e32 v20, v3, v1
.LBB103_3333:
	s_mov_b32 s6, 0
.LBB103_3334:
	s_delay_alu instid0(SALU_CYCLE_1)
	s_and_not1_b32 vcc_lo, exec_lo, s6
	s_cbranch_vccnz .LBB103_3336
; %bb.3335:
	global_load_b32 v1, v[32:33], off
	s_wait_loadcnt 0x0
	v_cvt_f32_f16_e32 v1, v1
	s_delay_alu instid0(VALU_DEP_1)
	v_cvt_i32_f32_e32 v20, v1
.LBB103_3336:
	s_mov_b32 s6, 0
.LBB103_3337:
	s_delay_alu instid0(SALU_CYCLE_1)
	s_and_not1_b32 vcc_lo, exec_lo, s6
	s_cbranch_vccnz .LBB103_3348
; %bb.3338:
	s_cmp_lt_i32 s13, 6
	s_cbranch_scc1 .LBB103_3341
; %bb.3339:
	s_cmp_gt_i32 s13, 6
	s_cbranch_scc0 .LBB103_3342
; %bb.3340:
	s_wait_loadcnt 0x0
	global_load_b64 v[20:21], v[32:33], off
	s_mov_b32 s6, 0
	s_wait_loadcnt 0x0
	v_trunc_f64_e32 v[20:21], v[20:21]
	s_delay_alu instid0(VALU_DEP_1) | instskip(NEXT) | instid1(VALU_DEP_1)
	v_ldexp_f64 v[34:35], v[20:21], 0xffffffe0
	v_floor_f64_e32 v[34:35], v[34:35]
	s_delay_alu instid0(VALU_DEP_1) | instskip(NEXT) | instid1(VALU_DEP_1)
	v_fmamk_f64 v[20:21], v[34:35], 0xc1f00000, v[20:21]
	v_cvt_u32_f64_e32 v20, v[20:21]
	s_branch .LBB103_3343
.LBB103_3341:
	s_mov_b32 s6, -1
                                        ; implicit-def: $vgpr20
	s_branch .LBB103_3346
.LBB103_3342:
	s_mov_b32 s6, -1
                                        ; implicit-def: $vgpr20
.LBB103_3343:
	s_delay_alu instid0(SALU_CYCLE_1)
	s_and_not1_b32 vcc_lo, exec_lo, s6
	s_cbranch_vccnz .LBB103_3345
; %bb.3344:
	global_load_b32 v1, v[32:33], off
	s_wait_loadcnt 0x0
	v_trunc_f32_e32 v1, v1
	s_delay_alu instid0(VALU_DEP_1) | instskip(NEXT) | instid1(VALU_DEP_1)
	v_mul_f32_e64 v3, 0x2f800000, |v1|
	v_floor_f32_e32 v3, v3
	s_delay_alu instid0(VALU_DEP_1) | instskip(SKIP_1) | instid1(VALU_DEP_2)
	v_fma_f32 v3, 0xcf800000, v3, |v1|
	v_ashrrev_i32_e32 v1, 31, v1
	v_cvt_u32_f32_e32 v3, v3
	s_delay_alu instid0(VALU_DEP_1) | instskip(NEXT) | instid1(VALU_DEP_1)
	v_xor_b32_e32 v3, v3, v1
	v_sub_nc_u32_e32 v20, v3, v1
.LBB103_3345:
	s_mov_b32 s6, 0
.LBB103_3346:
	s_delay_alu instid0(SALU_CYCLE_1)
	s_and_not1_b32 vcc_lo, exec_lo, s6
	s_cbranch_vccnz .LBB103_3348
; %bb.3347:
	global_load_u16 v1, v[32:33], off
	s_wait_loadcnt 0x0
	v_cvt_f32_f16_e32 v1, v1
	s_delay_alu instid0(VALU_DEP_1)
	v_cvt_i32_f32_e32 v20, v1
.LBB103_3348:
	s_mov_b32 s6, 0
.LBB103_3349:
	s_delay_alu instid0(SALU_CYCLE_1)
	s_and_not1_b32 vcc_lo, exec_lo, s6
	s_cbranch_vccnz .LBB103_3369
; %bb.3350:
	s_cmp_lt_i32 s13, 2
	s_cbranch_scc1 .LBB103_3354
; %bb.3351:
	s_cmp_lt_i32 s13, 3
	s_cbranch_scc1 .LBB103_3355
; %bb.3352:
	s_cmp_gt_i32 s13, 3
	s_cbranch_scc0 .LBB103_3356
; %bb.3353:
	s_wait_loadcnt 0x0
	global_load_b64 v[20:21], v[32:33], off
	s_mov_b32 s6, 0
	s_branch .LBB103_3357
.LBB103_3354:
	s_mov_b32 s6, -1
                                        ; implicit-def: $vgpr20
	s_branch .LBB103_3363
.LBB103_3355:
	s_mov_b32 s6, -1
                                        ; implicit-def: $vgpr20
	s_branch .LBB103_3360
.LBB103_3356:
	s_mov_b32 s6, -1
                                        ; implicit-def: $vgpr20
.LBB103_3357:
	s_delay_alu instid0(SALU_CYCLE_1)
	s_and_not1_b32 vcc_lo, exec_lo, s6
	s_cbranch_vccnz .LBB103_3359
; %bb.3358:
	s_wait_loadcnt 0x0
	global_load_b32 v20, v[32:33], off
.LBB103_3359:
	s_mov_b32 s6, 0
.LBB103_3360:
	s_delay_alu instid0(SALU_CYCLE_1)
	s_and_not1_b32 vcc_lo, exec_lo, s6
	s_cbranch_vccnz .LBB103_3362
; %bb.3361:
	s_wait_loadcnt 0x0
	global_load_u16 v20, v[32:33], off
.LBB103_3362:
	s_mov_b32 s6, 0
.LBB103_3363:
	s_delay_alu instid0(SALU_CYCLE_1)
	s_and_not1_b32 vcc_lo, exec_lo, s6
	s_cbranch_vccnz .LBB103_3369
; %bb.3364:
	s_cmp_gt_i32 s13, 0
	s_mov_b32 s6, 0
	s_cbranch_scc0 .LBB103_3366
; %bb.3365:
	s_wait_loadcnt 0x0
	global_load_u8 v20, v[32:33], off
	s_branch .LBB103_3367
.LBB103_3366:
	s_mov_b32 s6, -1
                                        ; implicit-def: $vgpr20
.LBB103_3367:
	s_delay_alu instid0(SALU_CYCLE_1)
	s_and_not1_b32 vcc_lo, exec_lo, s6
	s_cbranch_vccnz .LBB103_3369
; %bb.3368:
	s_wait_loadcnt 0x0
	global_load_u8 v20, v[32:33], off
.LBB103_3369:
	s_mov_b32 s16, -1
.LBB103_3370:
	s_delay_alu instid0(SALU_CYCLE_1)
	s_and_not1_b32 vcc_lo, exec_lo, s16
	s_cbranch_vccnz .LBB103_4058
; %bb.3371:
	v_mov_b32_e32 v15, 0
	s_cmp_lt_i32 s14, 11
	s_wait_xcnt 0x0
	s_delay_alu instid0(VALU_DEP_1)
	v_add_nc_u64_e32 v[32:33], s[0:1], v[14:15]
	s_cbranch_scc1 .LBB103_3378
; %bb.3372:
	s_cmp_gt_i32 s14, 25
	s_mov_b32 s1, 0
	s_cbranch_scc0 .LBB103_3379
; %bb.3373:
	s_cmp_gt_i32 s14, 28
	s_cbranch_scc0 .LBB103_3380
; %bb.3374:
	s_cmp_gt_i32 s14, 43
	;; [unrolled: 3-line block ×3, first 2 shown]
	s_cbranch_scc0 .LBB103_3383
; %bb.3376:
	s_cmp_eq_u32 s14, 46
	s_mov_b32 s7, 0
	s_cbranch_scc0 .LBB103_3384
; %bb.3377:
	global_load_b32 v1, v[32:33], off
	s_mov_b32 s0, 0
	s_mov_b32 s6, -1
	s_wait_loadcnt 0x0
	v_lshlrev_b32_e32 v1, 16, v1
	s_delay_alu instid0(VALU_DEP_1) | instskip(NEXT) | instid1(VALU_DEP_1)
	v_trunc_f32_e32 v1, v1
	v_mul_f32_e64 v3, 0x2f800000, |v1|
	s_delay_alu instid0(VALU_DEP_1) | instskip(NEXT) | instid1(VALU_DEP_1)
	v_floor_f32_e32 v3, v3
	v_fma_f32 v3, 0xcf800000, v3, |v1|
	v_ashrrev_i32_e32 v1, 31, v1
	s_delay_alu instid0(VALU_DEP_2) | instskip(NEXT) | instid1(VALU_DEP_1)
	v_cvt_u32_f32_e32 v3, v3
	v_xor_b32_e32 v3, v3, v1
	s_delay_alu instid0(VALU_DEP_1)
	v_sub_nc_u32_e32 v14, v3, v1
	s_branch .LBB103_3386
.LBB103_3378:
	s_mov_b32 s0, -1
	s_mov_b32 s6, 0
                                        ; implicit-def: $vgpr14
	s_branch .LBB103_3448
.LBB103_3379:
	s_mov_b32 s7, -1
	s_mov_b32 s6, 0
	s_mov_b32 s0, 0
                                        ; implicit-def: $vgpr14
	s_branch .LBB103_3413
.LBB103_3380:
	s_mov_b32 s7, -1
	s_mov_b32 s6, 0
	s_mov_b32 s0, 0
                                        ; implicit-def: $vgpr14
	s_branch .LBB103_3396
.LBB103_3381:
	s_mov_b32 s7, -1
	s_mov_b32 s6, 0
	s_mov_b32 s0, 0
                                        ; implicit-def: $vgpr14
	s_branch .LBB103_3391
.LBB103_3382:
	s_or_b32 s12, s12, exec_lo
	s_trap 2
	s_cbranch_execz .LBB103_3319
	s_branch .LBB103_3320
.LBB103_3383:
	s_mov_b32 s7, -1
	s_mov_b32 s6, 0
	s_mov_b32 s0, 0
	s_branch .LBB103_3385
.LBB103_3384:
	s_mov_b32 s0, -1
	s_mov_b32 s6, 0
.LBB103_3385:
                                        ; implicit-def: $vgpr14
.LBB103_3386:
	s_and_b32 vcc_lo, exec_lo, s7
	s_cbranch_vccz .LBB103_3390
; %bb.3387:
	s_cmp_eq_u32 s14, 44
	s_cbranch_scc0 .LBB103_3389
; %bb.3388:
	global_load_u8 v1, v[32:33], off
	s_mov_b32 s0, 0
	s_mov_b32 s6, -1
	s_wait_loadcnt 0x0
	v_lshlrev_b32_e32 v3, 23, v1
	v_cmp_ne_u32_e32 vcc_lo, 0, v1
	s_delay_alu instid0(VALU_DEP_2) | instskip(NEXT) | instid1(VALU_DEP_1)
	v_trunc_f32_e32 v3, v3
	v_mul_f32_e64 v5, 0x2f800000, |v3|
	s_delay_alu instid0(VALU_DEP_1) | instskip(NEXT) | instid1(VALU_DEP_1)
	v_floor_f32_e32 v5, v5
	v_fma_f32 v5, 0xcf800000, v5, |v3|
	v_ashrrev_i32_e32 v3, 31, v3
	s_delay_alu instid0(VALU_DEP_2) | instskip(NEXT) | instid1(VALU_DEP_1)
	v_cvt_u32_f32_e32 v5, v5
	v_xor_b32_e32 v5, v5, v3
	s_delay_alu instid0(VALU_DEP_1) | instskip(NEXT) | instid1(VALU_DEP_1)
	v_sub_nc_u32_e32 v3, v5, v3
	v_cndmask_b32_e32 v14, 0, v3, vcc_lo
	s_branch .LBB103_3390
.LBB103_3389:
	s_mov_b32 s0, -1
                                        ; implicit-def: $vgpr14
.LBB103_3390:
	s_mov_b32 s7, 0
.LBB103_3391:
	s_delay_alu instid0(SALU_CYCLE_1)
	s_and_b32 vcc_lo, exec_lo, s7
	s_cbranch_vccz .LBB103_3395
; %bb.3392:
	s_cmp_eq_u32 s14, 29
	s_cbranch_scc0 .LBB103_3394
; %bb.3393:
	global_load_b64 v[14:15], v[32:33], off
	s_mov_b32 s0, 0
	s_mov_b32 s6, -1
	s_branch .LBB103_3395
.LBB103_3394:
	s_mov_b32 s0, -1
                                        ; implicit-def: $vgpr14
.LBB103_3395:
	s_mov_b32 s7, 0
.LBB103_3396:
	s_delay_alu instid0(SALU_CYCLE_1)
	s_and_b32 vcc_lo, exec_lo, s7
	s_cbranch_vccz .LBB103_3412
; %bb.3397:
	s_cmp_lt_i32 s14, 27
	s_cbranch_scc1 .LBB103_3400
; %bb.3398:
	s_cmp_gt_i32 s14, 27
	s_cbranch_scc0 .LBB103_3401
; %bb.3399:
	s_wait_loadcnt 0x0
	global_load_b32 v14, v[32:33], off
	s_mov_b32 s6, 0
	s_branch .LBB103_3402
.LBB103_3400:
	s_mov_b32 s6, -1
                                        ; implicit-def: $vgpr14
	s_branch .LBB103_3405
.LBB103_3401:
	s_mov_b32 s6, -1
                                        ; implicit-def: $vgpr14
.LBB103_3402:
	s_delay_alu instid0(SALU_CYCLE_1)
	s_and_not1_b32 vcc_lo, exec_lo, s6
	s_cbranch_vccnz .LBB103_3404
; %bb.3403:
	s_wait_loadcnt 0x0
	global_load_u16 v14, v[32:33], off
.LBB103_3404:
	s_mov_b32 s6, 0
.LBB103_3405:
	s_delay_alu instid0(SALU_CYCLE_1)
	s_and_not1_b32 vcc_lo, exec_lo, s6
	s_cbranch_vccnz .LBB103_3411
; %bb.3406:
	global_load_u8 v1, v[32:33], off
	s_mov_b32 s7, 0
	s_mov_b32 s6, exec_lo
	s_wait_loadcnt 0x0
	v_cmpx_lt_i16_e32 0x7f, v1
	s_xor_b32 s6, exec_lo, s6
	s_cbranch_execz .LBB103_3423
; %bb.3407:
	v_cmp_ne_u16_e32 vcc_lo, 0x80, v1
	s_and_b32 s7, vcc_lo, exec_lo
	s_and_not1_saveexec_b32 s6, s6
	s_cbranch_execnz .LBB103_3424
.LBB103_3408:
	s_or_b32 exec_lo, exec_lo, s6
	v_mov_b32_e32 v14, 0
	s_and_saveexec_b32 s6, s7
	s_cbranch_execz .LBB103_3410
.LBB103_3409:
	v_and_b32_e32 v3, 0xffff, v1
	s_delay_alu instid0(VALU_DEP_1) | instskip(SKIP_1) | instid1(VALU_DEP_2)
	v_dual_lshlrev_b32 v1, 24, v1 :: v_dual_bitop2_b32 v5, 7, v3 bitop3:0x40
	v_bfe_u32 v11, v3, 3, 4
	v_and_b32_e32 v1, 0x80000000, v1
	s_delay_alu instid0(VALU_DEP_3) | instskip(NEXT) | instid1(VALU_DEP_3)
	v_clz_i32_u32_e32 v7, v5
	v_cmp_eq_u32_e32 vcc_lo, 0, v11
	s_delay_alu instid0(VALU_DEP_2) | instskip(NEXT) | instid1(VALU_DEP_1)
	v_min_u32_e32 v7, 32, v7
	v_subrev_nc_u32_e32 v9, 28, v7
	v_sub_nc_u32_e32 v7, 29, v7
	s_delay_alu instid0(VALU_DEP_2) | instskip(NEXT) | instid1(VALU_DEP_2)
	v_lshlrev_b32_e32 v3, v9, v3
	v_cndmask_b32_e32 v7, v11, v7, vcc_lo
	s_delay_alu instid0(VALU_DEP_2) | instskip(NEXT) | instid1(VALU_DEP_1)
	v_and_b32_e32 v3, 7, v3
	v_cndmask_b32_e32 v3, v5, v3, vcc_lo
	s_delay_alu instid0(VALU_DEP_3) | instskip(NEXT) | instid1(VALU_DEP_2)
	v_lshl_add_u32 v5, v7, 23, 0x3b800000
	v_lshlrev_b32_e32 v3, 20, v3
	s_delay_alu instid0(VALU_DEP_1) | instskip(NEXT) | instid1(VALU_DEP_1)
	v_or3_b32 v1, v1, v5, v3
	v_trunc_f32_e32 v1, v1
	s_delay_alu instid0(VALU_DEP_1) | instskip(NEXT) | instid1(VALU_DEP_1)
	v_mul_f32_e64 v3, 0x2f800000, |v1|
	v_floor_f32_e32 v3, v3
	s_delay_alu instid0(VALU_DEP_1) | instskip(SKIP_1) | instid1(VALU_DEP_2)
	v_fma_f32 v3, 0xcf800000, v3, |v1|
	v_ashrrev_i32_e32 v1, 31, v1
	v_cvt_u32_f32_e32 v3, v3
	s_delay_alu instid0(VALU_DEP_1) | instskip(NEXT) | instid1(VALU_DEP_1)
	v_xor_b32_e32 v3, v3, v1
	v_sub_nc_u32_e32 v14, v3, v1
.LBB103_3410:
	s_or_b32 exec_lo, exec_lo, s6
.LBB103_3411:
	s_mov_b32 s6, -1
.LBB103_3412:
	s_mov_b32 s7, 0
.LBB103_3413:
	s_delay_alu instid0(SALU_CYCLE_1)
	s_and_b32 vcc_lo, exec_lo, s7
	s_cbranch_vccz .LBB103_3444
; %bb.3414:
	s_cmp_gt_i32 s14, 22
	s_cbranch_scc0 .LBB103_3422
; %bb.3415:
	s_cmp_lt_i32 s14, 24
	s_cbranch_scc1 .LBB103_3425
; %bb.3416:
	s_cmp_gt_i32 s14, 24
	s_cbranch_scc0 .LBB103_3426
; %bb.3417:
	global_load_u8 v1, v[32:33], off
	s_mov_b32 s6, 0
	s_mov_b32 s1, exec_lo
	s_wait_loadcnt 0x0
	v_cmpx_lt_i16_e32 0x7f, v1
	s_xor_b32 s1, exec_lo, s1
	s_cbranch_execz .LBB103_3438
; %bb.3418:
	v_cmp_ne_u16_e32 vcc_lo, 0x80, v1
	s_and_b32 s6, vcc_lo, exec_lo
	s_and_not1_saveexec_b32 s1, s1
	s_cbranch_execnz .LBB103_3439
.LBB103_3419:
	s_or_b32 exec_lo, exec_lo, s1
	v_mov_b32_e32 v14, 0
	s_and_saveexec_b32 s1, s6
	s_cbranch_execz .LBB103_3421
.LBB103_3420:
	v_and_b32_e32 v3, 0xffff, v1
	s_delay_alu instid0(VALU_DEP_1) | instskip(SKIP_1) | instid1(VALU_DEP_2)
	v_dual_lshlrev_b32 v1, 24, v1 :: v_dual_bitop2_b32 v5, 3, v3 bitop3:0x40
	v_bfe_u32 v11, v3, 2, 5
	v_and_b32_e32 v1, 0x80000000, v1
	s_delay_alu instid0(VALU_DEP_3) | instskip(NEXT) | instid1(VALU_DEP_3)
	v_clz_i32_u32_e32 v7, v5
	v_cmp_eq_u32_e32 vcc_lo, 0, v11
	s_delay_alu instid0(VALU_DEP_2) | instskip(NEXT) | instid1(VALU_DEP_1)
	v_min_u32_e32 v7, 32, v7
	v_subrev_nc_u32_e32 v9, 29, v7
	v_sub_nc_u32_e32 v7, 30, v7
	s_delay_alu instid0(VALU_DEP_2) | instskip(NEXT) | instid1(VALU_DEP_2)
	v_lshlrev_b32_e32 v3, v9, v3
	v_cndmask_b32_e32 v7, v11, v7, vcc_lo
	s_delay_alu instid0(VALU_DEP_2) | instskip(NEXT) | instid1(VALU_DEP_1)
	v_and_b32_e32 v3, 3, v3
	v_cndmask_b32_e32 v3, v5, v3, vcc_lo
	s_delay_alu instid0(VALU_DEP_3) | instskip(NEXT) | instid1(VALU_DEP_2)
	v_lshl_add_u32 v5, v7, 23, 0x37800000
	v_lshlrev_b32_e32 v3, 21, v3
	s_delay_alu instid0(VALU_DEP_1) | instskip(NEXT) | instid1(VALU_DEP_1)
	v_or3_b32 v1, v1, v5, v3
	v_trunc_f32_e32 v1, v1
	s_delay_alu instid0(VALU_DEP_1) | instskip(NEXT) | instid1(VALU_DEP_1)
	v_mul_f32_e64 v3, 0x2f800000, |v1|
	v_floor_f32_e32 v3, v3
	s_delay_alu instid0(VALU_DEP_1) | instskip(SKIP_1) | instid1(VALU_DEP_2)
	v_fma_f32 v3, 0xcf800000, v3, |v1|
	v_ashrrev_i32_e32 v1, 31, v1
	v_cvt_u32_f32_e32 v3, v3
	s_delay_alu instid0(VALU_DEP_1) | instskip(NEXT) | instid1(VALU_DEP_1)
	v_xor_b32_e32 v3, v3, v1
	v_sub_nc_u32_e32 v14, v3, v1
.LBB103_3421:
	s_or_b32 exec_lo, exec_lo, s1
	s_mov_b32 s1, 0
	s_branch .LBB103_3427
.LBB103_3422:
	s_mov_b32 s1, -1
                                        ; implicit-def: $vgpr14
	s_branch .LBB103_3433
.LBB103_3423:
	s_and_not1_saveexec_b32 s6, s6
	s_cbranch_execz .LBB103_3408
.LBB103_3424:
	v_cmp_ne_u16_e32 vcc_lo, 0, v1
	s_and_not1_b32 s7, s7, exec_lo
	s_and_b32 s13, vcc_lo, exec_lo
	s_delay_alu instid0(SALU_CYCLE_1)
	s_or_b32 s7, s7, s13
	s_or_b32 exec_lo, exec_lo, s6
	v_mov_b32_e32 v14, 0
	s_and_saveexec_b32 s6, s7
	s_cbranch_execnz .LBB103_3409
	s_branch .LBB103_3410
.LBB103_3425:
	s_mov_b32 s1, -1
                                        ; implicit-def: $vgpr14
	s_branch .LBB103_3430
.LBB103_3426:
	s_mov_b32 s1, -1
                                        ; implicit-def: $vgpr14
.LBB103_3427:
	s_delay_alu instid0(SALU_CYCLE_1)
	s_and_b32 vcc_lo, exec_lo, s1
	s_cbranch_vccz .LBB103_3429
; %bb.3428:
	global_load_u8 v1, v[32:33], off
	s_wait_loadcnt 0x0
	v_lshlrev_b32_e32 v1, 24, v1
	s_delay_alu instid0(VALU_DEP_1) | instskip(NEXT) | instid1(VALU_DEP_1)
	v_and_b32_e32 v3, 0x7f000000, v1
	v_clz_i32_u32_e32 v5, v3
	v_add_nc_u32_e32 v9, 0x1000000, v3
	v_cmp_ne_u32_e32 vcc_lo, 0, v3
	s_delay_alu instid0(VALU_DEP_3) | instskip(NEXT) | instid1(VALU_DEP_1)
	v_min_u32_e32 v5, 32, v5
	v_sub_nc_u32_e64 v5, v5, 4 clamp
	s_delay_alu instid0(VALU_DEP_1) | instskip(NEXT) | instid1(VALU_DEP_1)
	v_dual_lshlrev_b32 v7, v5, v3 :: v_dual_lshlrev_b32 v5, 23, v5
	v_lshrrev_b32_e32 v7, 4, v7
	s_delay_alu instid0(VALU_DEP_1) | instskip(SKIP_1) | instid1(VALU_DEP_2)
	v_sub_nc_u32_e32 v5, v7, v5
	v_ashrrev_i32_e32 v7, 8, v9
	v_add_nc_u32_e32 v5, 0x3c000000, v5
	s_delay_alu instid0(VALU_DEP_1) | instskip(NEXT) | instid1(VALU_DEP_1)
	v_and_or_b32 v5, 0x7f800000, v7, v5
	v_cndmask_b32_e32 v3, 0, v5, vcc_lo
	s_delay_alu instid0(VALU_DEP_1) | instskip(NEXT) | instid1(VALU_DEP_1)
	v_and_or_b32 v1, 0x80000000, v1, v3
	v_trunc_f32_e32 v1, v1
	s_delay_alu instid0(VALU_DEP_1) | instskip(NEXT) | instid1(VALU_DEP_1)
	v_mul_f32_e64 v3, 0x2f800000, |v1|
	v_floor_f32_e32 v3, v3
	s_delay_alu instid0(VALU_DEP_1) | instskip(SKIP_1) | instid1(VALU_DEP_2)
	v_fma_f32 v3, 0xcf800000, v3, |v1|
	v_ashrrev_i32_e32 v1, 31, v1
	v_cvt_u32_f32_e32 v3, v3
	s_delay_alu instid0(VALU_DEP_1) | instskip(NEXT) | instid1(VALU_DEP_1)
	v_xor_b32_e32 v3, v3, v1
	v_sub_nc_u32_e32 v14, v3, v1
.LBB103_3429:
	s_mov_b32 s1, 0
.LBB103_3430:
	s_delay_alu instid0(SALU_CYCLE_1)
	s_and_not1_b32 vcc_lo, exec_lo, s1
	s_cbranch_vccnz .LBB103_3432
; %bb.3431:
	global_load_u8 v1, v[32:33], off
	s_wait_loadcnt 0x0
	v_lshlrev_b32_e32 v3, 25, v1
	v_lshlrev_b16 v1, 8, v1
	s_delay_alu instid0(VALU_DEP_1) | instskip(SKIP_1) | instid1(VALU_DEP_2)
	v_and_or_b32 v7, 0x7f00, v1, 0.5
	v_bfe_i32 v1, v1, 0, 16
	v_add_f32_e32 v7, -0.5, v7
	v_lshrrev_b32_e32 v5, 4, v3
	v_cmp_gt_u32_e32 vcc_lo, 0x8000000, v3
	s_delay_alu instid0(VALU_DEP_2) | instskip(NEXT) | instid1(VALU_DEP_1)
	v_or_b32_e32 v5, 0x70000000, v5
	v_mul_f32_e32 v5, 0x7800000, v5
	s_delay_alu instid0(VALU_DEP_1) | instskip(NEXT) | instid1(VALU_DEP_1)
	v_cndmask_b32_e32 v3, v5, v7, vcc_lo
	v_and_or_b32 v1, 0x80000000, v1, v3
	s_delay_alu instid0(VALU_DEP_1) | instskip(NEXT) | instid1(VALU_DEP_1)
	v_trunc_f32_e32 v1, v1
	v_mul_f32_e64 v3, 0x2f800000, |v1|
	s_delay_alu instid0(VALU_DEP_1) | instskip(NEXT) | instid1(VALU_DEP_1)
	v_floor_f32_e32 v3, v3
	v_fma_f32 v3, 0xcf800000, v3, |v1|
	v_ashrrev_i32_e32 v1, 31, v1
	s_delay_alu instid0(VALU_DEP_2) | instskip(NEXT) | instid1(VALU_DEP_1)
	v_cvt_u32_f32_e32 v3, v3
	v_xor_b32_e32 v3, v3, v1
	s_delay_alu instid0(VALU_DEP_1)
	v_sub_nc_u32_e32 v14, v3, v1
.LBB103_3432:
	s_mov_b32 s1, 0
	s_mov_b32 s6, -1
.LBB103_3433:
	s_and_not1_b32 vcc_lo, exec_lo, s1
	s_mov_b32 s1, 0
	s_cbranch_vccnz .LBB103_3444
; %bb.3434:
	s_cmp_gt_i32 s14, 14
	s_cbranch_scc0 .LBB103_3437
; %bb.3435:
	s_cmp_eq_u32 s14, 15
	s_cbranch_scc0 .LBB103_3440
; %bb.3436:
	global_load_u16 v1, v[32:33], off
	s_mov_b32 s0, 0
	s_mov_b32 s6, -1
	s_wait_loadcnt 0x0
	v_lshlrev_b32_e32 v1, 16, v1
	s_delay_alu instid0(VALU_DEP_1) | instskip(NEXT) | instid1(VALU_DEP_1)
	v_trunc_f32_e32 v1, v1
	v_mul_f32_e64 v3, 0x2f800000, |v1|
	s_delay_alu instid0(VALU_DEP_1) | instskip(NEXT) | instid1(VALU_DEP_1)
	v_floor_f32_e32 v3, v3
	v_fma_f32 v3, 0xcf800000, v3, |v1|
	v_ashrrev_i32_e32 v1, 31, v1
	s_delay_alu instid0(VALU_DEP_2) | instskip(NEXT) | instid1(VALU_DEP_1)
	v_cvt_u32_f32_e32 v3, v3
	v_xor_b32_e32 v3, v3, v1
	s_delay_alu instid0(VALU_DEP_1)
	v_sub_nc_u32_e32 v14, v3, v1
	s_branch .LBB103_3442
.LBB103_3437:
	s_mov_b32 s1, -1
	s_branch .LBB103_3441
.LBB103_3438:
	s_and_not1_saveexec_b32 s1, s1
	s_cbranch_execz .LBB103_3419
.LBB103_3439:
	v_cmp_ne_u16_e32 vcc_lo, 0, v1
	s_and_not1_b32 s6, s6, exec_lo
	s_and_b32 s7, vcc_lo, exec_lo
	s_delay_alu instid0(SALU_CYCLE_1)
	s_or_b32 s6, s6, s7
	s_or_b32 exec_lo, exec_lo, s1
	v_mov_b32_e32 v14, 0
	s_and_saveexec_b32 s1, s6
	s_cbranch_execnz .LBB103_3420
	s_branch .LBB103_3421
.LBB103_3440:
	s_mov_b32 s0, -1
.LBB103_3441:
                                        ; implicit-def: $vgpr14
.LBB103_3442:
	s_and_b32 vcc_lo, exec_lo, s1
	s_mov_b32 s1, 0
	s_cbranch_vccz .LBB103_3444
; %bb.3443:
	s_cmp_lg_u32 s14, 11
	s_mov_b32 s1, -1
	s_cselect_b32 s0, -1, 0
.LBB103_3444:
	s_delay_alu instid0(SALU_CYCLE_1)
	s_and_b32 vcc_lo, exec_lo, s0
	s_cbranch_vccnz .LBB103_3509
; %bb.3445:
	s_and_not1_b32 vcc_lo, exec_lo, s1
	s_cbranch_vccnz .LBB103_3447
.LBB103_3446:
	global_load_u8 v1, v[32:33], off
	s_mov_b32 s6, -1
	s_wait_loadcnt 0x0
	v_cmp_ne_u16_e32 vcc_lo, 0, v1
	v_cndmask_b32_e64 v14, 0, 1, vcc_lo
.LBB103_3447:
	s_mov_b32 s0, 0
.LBB103_3448:
	s_delay_alu instid0(SALU_CYCLE_1)
	s_and_b32 vcc_lo, exec_lo, s0
	s_cbranch_vccz .LBB103_3497
; %bb.3449:
	s_cmp_lt_i32 s14, 5
	s_cbranch_scc1 .LBB103_3454
; %bb.3450:
	s_cmp_lt_i32 s14, 8
	s_cbranch_scc1 .LBB103_3455
	;; [unrolled: 3-line block ×3, first 2 shown]
; %bb.3452:
	s_cmp_gt_i32 s14, 9
	s_cbranch_scc0 .LBB103_3457
; %bb.3453:
	s_wait_loadcnt 0x0
	global_load_b64 v[14:15], v[32:33], off
	s_mov_b32 s0, 0
	s_wait_loadcnt 0x0
	v_trunc_f64_e32 v[14:15], v[14:15]
	s_delay_alu instid0(VALU_DEP_1) | instskip(NEXT) | instid1(VALU_DEP_1)
	v_ldexp_f64 v[34:35], v[14:15], 0xffffffe0
	v_floor_f64_e32 v[34:35], v[34:35]
	s_delay_alu instid0(VALU_DEP_1) | instskip(NEXT) | instid1(VALU_DEP_1)
	v_fmamk_f64 v[14:15], v[34:35], 0xc1f00000, v[14:15]
	v_cvt_u32_f64_e32 v14, v[14:15]
	s_branch .LBB103_3458
.LBB103_3454:
	s_mov_b32 s0, -1
                                        ; implicit-def: $vgpr14
	s_branch .LBB103_3476
.LBB103_3455:
	s_mov_b32 s0, -1
                                        ; implicit-def: $vgpr14
	s_branch .LBB103_3464
.LBB103_3456:
	s_mov_b32 s0, -1
                                        ; implicit-def: $vgpr14
	s_branch .LBB103_3461
.LBB103_3457:
	s_mov_b32 s0, -1
                                        ; implicit-def: $vgpr14
.LBB103_3458:
	s_delay_alu instid0(SALU_CYCLE_1)
	s_and_not1_b32 vcc_lo, exec_lo, s0
	s_cbranch_vccnz .LBB103_3460
; %bb.3459:
	global_load_b32 v1, v[32:33], off
	s_wait_loadcnt 0x0
	v_trunc_f32_e32 v1, v1
	s_delay_alu instid0(VALU_DEP_1) | instskip(NEXT) | instid1(VALU_DEP_1)
	v_mul_f32_e64 v3, 0x2f800000, |v1|
	v_floor_f32_e32 v3, v3
	s_delay_alu instid0(VALU_DEP_1) | instskip(SKIP_1) | instid1(VALU_DEP_2)
	v_fma_f32 v3, 0xcf800000, v3, |v1|
	v_ashrrev_i32_e32 v1, 31, v1
	v_cvt_u32_f32_e32 v3, v3
	s_delay_alu instid0(VALU_DEP_1) | instskip(NEXT) | instid1(VALU_DEP_1)
	v_xor_b32_e32 v3, v3, v1
	v_sub_nc_u32_e32 v14, v3, v1
.LBB103_3460:
	s_mov_b32 s0, 0
.LBB103_3461:
	s_delay_alu instid0(SALU_CYCLE_1)
	s_and_not1_b32 vcc_lo, exec_lo, s0
	s_cbranch_vccnz .LBB103_3463
; %bb.3462:
	global_load_b32 v1, v[32:33], off
	s_wait_loadcnt 0x0
	v_cvt_f32_f16_e32 v1, v1
	s_delay_alu instid0(VALU_DEP_1)
	v_cvt_i32_f32_e32 v14, v1
.LBB103_3463:
	s_mov_b32 s0, 0
.LBB103_3464:
	s_delay_alu instid0(SALU_CYCLE_1)
	s_and_not1_b32 vcc_lo, exec_lo, s0
	s_cbranch_vccnz .LBB103_3475
; %bb.3465:
	s_cmp_lt_i32 s14, 6
	s_cbranch_scc1 .LBB103_3468
; %bb.3466:
	s_cmp_gt_i32 s14, 6
	s_cbranch_scc0 .LBB103_3469
; %bb.3467:
	s_wait_loadcnt 0x0
	global_load_b64 v[14:15], v[32:33], off
	s_mov_b32 s0, 0
	s_wait_loadcnt 0x0
	v_trunc_f64_e32 v[14:15], v[14:15]
	s_delay_alu instid0(VALU_DEP_1) | instskip(NEXT) | instid1(VALU_DEP_1)
	v_ldexp_f64 v[34:35], v[14:15], 0xffffffe0
	v_floor_f64_e32 v[34:35], v[34:35]
	s_delay_alu instid0(VALU_DEP_1) | instskip(NEXT) | instid1(VALU_DEP_1)
	v_fmamk_f64 v[14:15], v[34:35], 0xc1f00000, v[14:15]
	v_cvt_u32_f64_e32 v14, v[14:15]
	s_branch .LBB103_3470
.LBB103_3468:
	s_mov_b32 s0, -1
                                        ; implicit-def: $vgpr14
	s_branch .LBB103_3473
.LBB103_3469:
	s_mov_b32 s0, -1
                                        ; implicit-def: $vgpr14
.LBB103_3470:
	s_delay_alu instid0(SALU_CYCLE_1)
	s_and_not1_b32 vcc_lo, exec_lo, s0
	s_cbranch_vccnz .LBB103_3472
; %bb.3471:
	global_load_b32 v1, v[32:33], off
	s_wait_loadcnt 0x0
	v_trunc_f32_e32 v1, v1
	s_delay_alu instid0(VALU_DEP_1) | instskip(NEXT) | instid1(VALU_DEP_1)
	v_mul_f32_e64 v3, 0x2f800000, |v1|
	v_floor_f32_e32 v3, v3
	s_delay_alu instid0(VALU_DEP_1) | instskip(SKIP_1) | instid1(VALU_DEP_2)
	v_fma_f32 v3, 0xcf800000, v3, |v1|
	v_ashrrev_i32_e32 v1, 31, v1
	v_cvt_u32_f32_e32 v3, v3
	s_delay_alu instid0(VALU_DEP_1) | instskip(NEXT) | instid1(VALU_DEP_1)
	v_xor_b32_e32 v3, v3, v1
	v_sub_nc_u32_e32 v14, v3, v1
.LBB103_3472:
	s_mov_b32 s0, 0
.LBB103_3473:
	s_delay_alu instid0(SALU_CYCLE_1)
	s_and_not1_b32 vcc_lo, exec_lo, s0
	s_cbranch_vccnz .LBB103_3475
; %bb.3474:
	global_load_u16 v1, v[32:33], off
	s_wait_loadcnt 0x0
	v_cvt_f32_f16_e32 v1, v1
	s_delay_alu instid0(VALU_DEP_1)
	v_cvt_i32_f32_e32 v14, v1
.LBB103_3475:
	s_mov_b32 s0, 0
.LBB103_3476:
	s_delay_alu instid0(SALU_CYCLE_1)
	s_and_not1_b32 vcc_lo, exec_lo, s0
	s_cbranch_vccnz .LBB103_3496
; %bb.3477:
	s_cmp_lt_i32 s14, 2
	s_cbranch_scc1 .LBB103_3481
; %bb.3478:
	s_cmp_lt_i32 s14, 3
	s_cbranch_scc1 .LBB103_3482
; %bb.3479:
	s_cmp_gt_i32 s14, 3
	s_cbranch_scc0 .LBB103_3483
; %bb.3480:
	s_wait_loadcnt 0x0
	global_load_b64 v[14:15], v[32:33], off
	s_mov_b32 s0, 0
	s_branch .LBB103_3484
.LBB103_3481:
	s_mov_b32 s0, -1
                                        ; implicit-def: $vgpr14
	s_branch .LBB103_3490
.LBB103_3482:
	s_mov_b32 s0, -1
                                        ; implicit-def: $vgpr14
	s_branch .LBB103_3487
.LBB103_3483:
	s_mov_b32 s0, -1
                                        ; implicit-def: $vgpr14
.LBB103_3484:
	s_delay_alu instid0(SALU_CYCLE_1)
	s_and_not1_b32 vcc_lo, exec_lo, s0
	s_cbranch_vccnz .LBB103_3486
; %bb.3485:
	s_wait_loadcnt 0x0
	global_load_b32 v14, v[32:33], off
.LBB103_3486:
	s_mov_b32 s0, 0
.LBB103_3487:
	s_delay_alu instid0(SALU_CYCLE_1)
	s_and_not1_b32 vcc_lo, exec_lo, s0
	s_cbranch_vccnz .LBB103_3489
; %bb.3488:
	s_wait_loadcnt 0x0
	global_load_u16 v14, v[32:33], off
.LBB103_3489:
	s_mov_b32 s0, 0
.LBB103_3490:
	s_delay_alu instid0(SALU_CYCLE_1)
	s_and_not1_b32 vcc_lo, exec_lo, s0
	s_cbranch_vccnz .LBB103_3496
; %bb.3491:
	s_cmp_gt_i32 s14, 0
	s_mov_b32 s0, 0
	s_cbranch_scc0 .LBB103_3493
; %bb.3492:
	s_wait_loadcnt 0x0
	global_load_u8 v14, v[32:33], off
	s_branch .LBB103_3494
.LBB103_3493:
	s_mov_b32 s0, -1
                                        ; implicit-def: $vgpr14
.LBB103_3494:
	s_delay_alu instid0(SALU_CYCLE_1)
	s_and_not1_b32 vcc_lo, exec_lo, s0
	s_cbranch_vccnz .LBB103_3496
; %bb.3495:
	s_wait_loadcnt 0x0
	global_load_u8 v14, v[32:33], off
.LBB103_3496:
	s_mov_b32 s6, -1
.LBB103_3497:
	s_delay_alu instid0(SALU_CYCLE_1)
	s_and_not1_b32 vcc_lo, exec_lo, s6
	s_cbranch_vccnz .LBB103_4058
; %bb.3498:
	v_mov_b32_e32 v11, 0
	s_cmp_lt_i32 s15, 11
	s_wait_xcnt 0x0
	s_delay_alu instid0(VALU_DEP_1)
	v_add_nc_u64_e32 v[32:33], s[8:9], v[10:11]
	s_cbranch_scc1 .LBB103_3505
; %bb.3499:
	s_cmp_gt_i32 s15, 25
	s_mov_b32 s1, 0
	s_cbranch_scc0 .LBB103_3506
; %bb.3500:
	s_cmp_gt_i32 s15, 28
	s_cbranch_scc0 .LBB103_3507
; %bb.3501:
	s_cmp_gt_i32 s15, 43
	;; [unrolled: 3-line block ×3, first 2 shown]
	s_cbranch_scc0 .LBB103_3510
; %bb.3503:
	s_cmp_eq_u32 s15, 46
	s_mov_b32 s7, 0
	s_cbranch_scc0 .LBB103_3511
; %bb.3504:
	global_load_b32 v1, v[32:33], off
	s_mov_b32 s0, 0
	s_mov_b32 s6, -1
	s_wait_loadcnt 0x0
	v_lshlrev_b32_e32 v1, 16, v1
	s_delay_alu instid0(VALU_DEP_1) | instskip(NEXT) | instid1(VALU_DEP_1)
	v_trunc_f32_e32 v1, v1
	v_mul_f32_e64 v3, 0x2f800000, |v1|
	s_delay_alu instid0(VALU_DEP_1) | instskip(NEXT) | instid1(VALU_DEP_1)
	v_floor_f32_e32 v3, v3
	v_fma_f32 v3, 0xcf800000, v3, |v1|
	v_ashrrev_i32_e32 v1, 31, v1
	s_delay_alu instid0(VALU_DEP_2) | instskip(NEXT) | instid1(VALU_DEP_1)
	v_cvt_u32_f32_e32 v3, v3
	v_xor_b32_e32 v3, v3, v1
	s_delay_alu instid0(VALU_DEP_1)
	v_sub_nc_u32_e32 v10, v3, v1
	s_branch .LBB103_3513
.LBB103_3505:
	s_mov_b32 s0, -1
	s_mov_b32 s6, 0
                                        ; implicit-def: $vgpr10
	s_branch .LBB103_3575
.LBB103_3506:
	s_mov_b32 s7, -1
	s_mov_b32 s6, 0
	s_mov_b32 s0, 0
                                        ; implicit-def: $vgpr10
	s_branch .LBB103_3540
.LBB103_3507:
	s_mov_b32 s7, -1
	s_mov_b32 s6, 0
	s_mov_b32 s0, 0
                                        ; implicit-def: $vgpr10
	s_branch .LBB103_3523
.LBB103_3508:
	s_mov_b32 s7, -1
	s_mov_b32 s6, 0
	s_mov_b32 s0, 0
                                        ; implicit-def: $vgpr10
	s_branch .LBB103_3518
.LBB103_3509:
	s_or_b32 s12, s12, exec_lo
	s_trap 2
	s_cbranch_execz .LBB103_3446
	s_branch .LBB103_3447
.LBB103_3510:
	s_mov_b32 s7, -1
	s_mov_b32 s6, 0
	s_mov_b32 s0, 0
	s_branch .LBB103_3512
.LBB103_3511:
	s_mov_b32 s0, -1
	s_mov_b32 s6, 0
.LBB103_3512:
                                        ; implicit-def: $vgpr10
.LBB103_3513:
	s_and_b32 vcc_lo, exec_lo, s7
	s_cbranch_vccz .LBB103_3517
; %bb.3514:
	s_cmp_eq_u32 s15, 44
	s_cbranch_scc0 .LBB103_3516
; %bb.3515:
	global_load_u8 v1, v[32:33], off
	s_mov_b32 s0, 0
	s_mov_b32 s6, -1
	s_wait_loadcnt 0x0
	v_lshlrev_b32_e32 v3, 23, v1
	v_cmp_ne_u32_e32 vcc_lo, 0, v1
	s_delay_alu instid0(VALU_DEP_2) | instskip(NEXT) | instid1(VALU_DEP_1)
	v_trunc_f32_e32 v3, v3
	v_mul_f32_e64 v5, 0x2f800000, |v3|
	s_delay_alu instid0(VALU_DEP_1) | instskip(NEXT) | instid1(VALU_DEP_1)
	v_floor_f32_e32 v5, v5
	v_fma_f32 v5, 0xcf800000, v5, |v3|
	v_ashrrev_i32_e32 v3, 31, v3
	s_delay_alu instid0(VALU_DEP_2) | instskip(NEXT) | instid1(VALU_DEP_1)
	v_cvt_u32_f32_e32 v5, v5
	v_xor_b32_e32 v5, v5, v3
	s_delay_alu instid0(VALU_DEP_1) | instskip(NEXT) | instid1(VALU_DEP_1)
	v_sub_nc_u32_e32 v3, v5, v3
	v_cndmask_b32_e32 v10, 0, v3, vcc_lo
	s_branch .LBB103_3517
.LBB103_3516:
	s_mov_b32 s0, -1
                                        ; implicit-def: $vgpr10
.LBB103_3517:
	s_mov_b32 s7, 0
.LBB103_3518:
	s_delay_alu instid0(SALU_CYCLE_1)
	s_and_b32 vcc_lo, exec_lo, s7
	s_cbranch_vccz .LBB103_3522
; %bb.3519:
	s_cmp_eq_u32 s15, 29
	s_cbranch_scc0 .LBB103_3521
; %bb.3520:
	global_load_b64 v[10:11], v[32:33], off
	s_mov_b32 s0, 0
	s_mov_b32 s6, -1
	s_branch .LBB103_3522
.LBB103_3521:
	s_mov_b32 s0, -1
                                        ; implicit-def: $vgpr10
.LBB103_3522:
	s_mov_b32 s7, 0
.LBB103_3523:
	s_delay_alu instid0(SALU_CYCLE_1)
	s_and_b32 vcc_lo, exec_lo, s7
	s_cbranch_vccz .LBB103_3539
; %bb.3524:
	s_cmp_lt_i32 s15, 27
	s_cbranch_scc1 .LBB103_3527
; %bb.3525:
	s_cmp_gt_i32 s15, 27
	s_cbranch_scc0 .LBB103_3528
; %bb.3526:
	s_wait_loadcnt 0x0
	global_load_b32 v10, v[32:33], off
	s_mov_b32 s6, 0
	s_branch .LBB103_3529
.LBB103_3527:
	s_mov_b32 s6, -1
                                        ; implicit-def: $vgpr10
	s_branch .LBB103_3532
.LBB103_3528:
	s_mov_b32 s6, -1
                                        ; implicit-def: $vgpr10
.LBB103_3529:
	s_delay_alu instid0(SALU_CYCLE_1)
	s_and_not1_b32 vcc_lo, exec_lo, s6
	s_cbranch_vccnz .LBB103_3531
; %bb.3530:
	s_wait_loadcnt 0x0
	global_load_u16 v10, v[32:33], off
.LBB103_3531:
	s_mov_b32 s6, 0
.LBB103_3532:
	s_delay_alu instid0(SALU_CYCLE_1)
	s_and_not1_b32 vcc_lo, exec_lo, s6
	s_cbranch_vccnz .LBB103_3538
; %bb.3533:
	global_load_u8 v1, v[32:33], off
	s_mov_b32 s7, 0
	s_mov_b32 s6, exec_lo
	s_wait_loadcnt 0x0
	v_cmpx_lt_i16_e32 0x7f, v1
	s_xor_b32 s6, exec_lo, s6
	s_cbranch_execz .LBB103_3550
; %bb.3534:
	v_cmp_ne_u16_e32 vcc_lo, 0x80, v1
	s_and_b32 s7, vcc_lo, exec_lo
	s_and_not1_saveexec_b32 s6, s6
	s_cbranch_execnz .LBB103_3551
.LBB103_3535:
	s_or_b32 exec_lo, exec_lo, s6
	v_mov_b32_e32 v10, 0
	s_and_saveexec_b32 s6, s7
	s_cbranch_execz .LBB103_3537
.LBB103_3536:
	v_and_b32_e32 v3, 0xffff, v1
	s_delay_alu instid0(VALU_DEP_1) | instskip(SKIP_1) | instid1(VALU_DEP_2)
	v_dual_lshlrev_b32 v1, 24, v1 :: v_dual_bitop2_b32 v5, 7, v3 bitop3:0x40
	v_bfe_u32 v10, v3, 3, 4
	v_and_b32_e32 v1, 0x80000000, v1
	s_delay_alu instid0(VALU_DEP_3) | instskip(NEXT) | instid1(VALU_DEP_3)
	v_clz_i32_u32_e32 v7, v5
	v_cmp_eq_u32_e32 vcc_lo, 0, v10
	s_delay_alu instid0(VALU_DEP_2) | instskip(NEXT) | instid1(VALU_DEP_1)
	v_min_u32_e32 v7, 32, v7
	v_subrev_nc_u32_e32 v9, 28, v7
	v_sub_nc_u32_e32 v7, 29, v7
	s_delay_alu instid0(VALU_DEP_2) | instskip(NEXT) | instid1(VALU_DEP_2)
	v_lshlrev_b32_e32 v3, v9, v3
	v_cndmask_b32_e32 v7, v10, v7, vcc_lo
	s_delay_alu instid0(VALU_DEP_2) | instskip(NEXT) | instid1(VALU_DEP_1)
	v_and_b32_e32 v3, 7, v3
	v_cndmask_b32_e32 v3, v5, v3, vcc_lo
	s_delay_alu instid0(VALU_DEP_3) | instskip(NEXT) | instid1(VALU_DEP_2)
	v_lshl_add_u32 v5, v7, 23, 0x3b800000
	v_lshlrev_b32_e32 v3, 20, v3
	s_delay_alu instid0(VALU_DEP_1) | instskip(NEXT) | instid1(VALU_DEP_1)
	v_or3_b32 v1, v1, v5, v3
	v_trunc_f32_e32 v1, v1
	s_delay_alu instid0(VALU_DEP_1) | instskip(NEXT) | instid1(VALU_DEP_1)
	v_mul_f32_e64 v3, 0x2f800000, |v1|
	v_floor_f32_e32 v3, v3
	s_delay_alu instid0(VALU_DEP_1) | instskip(SKIP_1) | instid1(VALU_DEP_2)
	v_fma_f32 v3, 0xcf800000, v3, |v1|
	v_ashrrev_i32_e32 v1, 31, v1
	v_cvt_u32_f32_e32 v3, v3
	s_delay_alu instid0(VALU_DEP_1) | instskip(NEXT) | instid1(VALU_DEP_1)
	v_xor_b32_e32 v3, v3, v1
	v_sub_nc_u32_e32 v10, v3, v1
.LBB103_3537:
	s_or_b32 exec_lo, exec_lo, s6
.LBB103_3538:
	s_mov_b32 s6, -1
.LBB103_3539:
	s_mov_b32 s7, 0
.LBB103_3540:
	s_delay_alu instid0(SALU_CYCLE_1)
	s_and_b32 vcc_lo, exec_lo, s7
	s_cbranch_vccz .LBB103_3571
; %bb.3541:
	s_cmp_gt_i32 s15, 22
	s_cbranch_scc0 .LBB103_3549
; %bb.3542:
	s_cmp_lt_i32 s15, 24
	s_cbranch_scc1 .LBB103_3552
; %bb.3543:
	s_cmp_gt_i32 s15, 24
	s_cbranch_scc0 .LBB103_3553
; %bb.3544:
	global_load_u8 v1, v[32:33], off
	s_mov_b32 s6, 0
	s_mov_b32 s1, exec_lo
	s_wait_loadcnt 0x0
	v_cmpx_lt_i16_e32 0x7f, v1
	s_xor_b32 s1, exec_lo, s1
	s_cbranch_execz .LBB103_3565
; %bb.3545:
	v_cmp_ne_u16_e32 vcc_lo, 0x80, v1
	s_and_b32 s6, vcc_lo, exec_lo
	s_and_not1_saveexec_b32 s1, s1
	s_cbranch_execnz .LBB103_3566
.LBB103_3546:
	s_or_b32 exec_lo, exec_lo, s1
	v_mov_b32_e32 v10, 0
	s_and_saveexec_b32 s1, s6
	s_cbranch_execz .LBB103_3548
.LBB103_3547:
	v_and_b32_e32 v3, 0xffff, v1
	s_delay_alu instid0(VALU_DEP_1) | instskip(SKIP_1) | instid1(VALU_DEP_2)
	v_dual_lshlrev_b32 v1, 24, v1 :: v_dual_bitop2_b32 v5, 3, v3 bitop3:0x40
	v_bfe_u32 v10, v3, 2, 5
	v_and_b32_e32 v1, 0x80000000, v1
	s_delay_alu instid0(VALU_DEP_3) | instskip(NEXT) | instid1(VALU_DEP_3)
	v_clz_i32_u32_e32 v7, v5
	v_cmp_eq_u32_e32 vcc_lo, 0, v10
	s_delay_alu instid0(VALU_DEP_2) | instskip(NEXT) | instid1(VALU_DEP_1)
	v_min_u32_e32 v7, 32, v7
	v_subrev_nc_u32_e32 v9, 29, v7
	v_sub_nc_u32_e32 v7, 30, v7
	s_delay_alu instid0(VALU_DEP_2) | instskip(NEXT) | instid1(VALU_DEP_2)
	v_lshlrev_b32_e32 v3, v9, v3
	v_cndmask_b32_e32 v7, v10, v7, vcc_lo
	s_delay_alu instid0(VALU_DEP_2) | instskip(NEXT) | instid1(VALU_DEP_1)
	v_and_b32_e32 v3, 3, v3
	v_cndmask_b32_e32 v3, v5, v3, vcc_lo
	s_delay_alu instid0(VALU_DEP_3) | instskip(NEXT) | instid1(VALU_DEP_2)
	v_lshl_add_u32 v5, v7, 23, 0x37800000
	v_lshlrev_b32_e32 v3, 21, v3
	s_delay_alu instid0(VALU_DEP_1) | instskip(NEXT) | instid1(VALU_DEP_1)
	v_or3_b32 v1, v1, v5, v3
	v_trunc_f32_e32 v1, v1
	s_delay_alu instid0(VALU_DEP_1) | instskip(NEXT) | instid1(VALU_DEP_1)
	v_mul_f32_e64 v3, 0x2f800000, |v1|
	v_floor_f32_e32 v3, v3
	s_delay_alu instid0(VALU_DEP_1) | instskip(SKIP_1) | instid1(VALU_DEP_2)
	v_fma_f32 v3, 0xcf800000, v3, |v1|
	v_ashrrev_i32_e32 v1, 31, v1
	v_cvt_u32_f32_e32 v3, v3
	s_delay_alu instid0(VALU_DEP_1) | instskip(NEXT) | instid1(VALU_DEP_1)
	v_xor_b32_e32 v3, v3, v1
	v_sub_nc_u32_e32 v10, v3, v1
.LBB103_3548:
	s_or_b32 exec_lo, exec_lo, s1
	s_mov_b32 s1, 0
	s_branch .LBB103_3554
.LBB103_3549:
	s_mov_b32 s1, -1
                                        ; implicit-def: $vgpr10
	s_branch .LBB103_3560
.LBB103_3550:
	s_and_not1_saveexec_b32 s6, s6
	s_cbranch_execz .LBB103_3535
.LBB103_3551:
	v_cmp_ne_u16_e32 vcc_lo, 0, v1
	s_and_not1_b32 s7, s7, exec_lo
	s_and_b32 s8, vcc_lo, exec_lo
	s_delay_alu instid0(SALU_CYCLE_1)
	s_or_b32 s7, s7, s8
	s_or_b32 exec_lo, exec_lo, s6
	v_mov_b32_e32 v10, 0
	s_and_saveexec_b32 s6, s7
	s_cbranch_execnz .LBB103_3536
	s_branch .LBB103_3537
.LBB103_3552:
	s_mov_b32 s1, -1
                                        ; implicit-def: $vgpr10
	s_branch .LBB103_3557
.LBB103_3553:
	s_mov_b32 s1, -1
                                        ; implicit-def: $vgpr10
.LBB103_3554:
	s_delay_alu instid0(SALU_CYCLE_1)
	s_and_b32 vcc_lo, exec_lo, s1
	s_cbranch_vccz .LBB103_3556
; %bb.3555:
	global_load_u8 v1, v[32:33], off
	s_wait_loadcnt 0x0
	v_lshlrev_b32_e32 v1, 24, v1
	s_delay_alu instid0(VALU_DEP_1) | instskip(NEXT) | instid1(VALU_DEP_1)
	v_and_b32_e32 v3, 0x7f000000, v1
	v_clz_i32_u32_e32 v5, v3
	v_add_nc_u32_e32 v9, 0x1000000, v3
	v_cmp_ne_u32_e32 vcc_lo, 0, v3
	s_delay_alu instid0(VALU_DEP_3) | instskip(NEXT) | instid1(VALU_DEP_1)
	v_min_u32_e32 v5, 32, v5
	v_sub_nc_u32_e64 v5, v5, 4 clamp
	s_delay_alu instid0(VALU_DEP_1) | instskip(NEXT) | instid1(VALU_DEP_1)
	v_dual_lshlrev_b32 v7, v5, v3 :: v_dual_lshlrev_b32 v5, 23, v5
	v_lshrrev_b32_e32 v7, 4, v7
	s_delay_alu instid0(VALU_DEP_1) | instskip(SKIP_1) | instid1(VALU_DEP_2)
	v_sub_nc_u32_e32 v5, v7, v5
	v_ashrrev_i32_e32 v7, 8, v9
	v_add_nc_u32_e32 v5, 0x3c000000, v5
	s_delay_alu instid0(VALU_DEP_1) | instskip(NEXT) | instid1(VALU_DEP_1)
	v_and_or_b32 v5, 0x7f800000, v7, v5
	v_cndmask_b32_e32 v3, 0, v5, vcc_lo
	s_delay_alu instid0(VALU_DEP_1) | instskip(NEXT) | instid1(VALU_DEP_1)
	v_and_or_b32 v1, 0x80000000, v1, v3
	v_trunc_f32_e32 v1, v1
	s_delay_alu instid0(VALU_DEP_1) | instskip(NEXT) | instid1(VALU_DEP_1)
	v_mul_f32_e64 v3, 0x2f800000, |v1|
	v_floor_f32_e32 v3, v3
	s_delay_alu instid0(VALU_DEP_1) | instskip(SKIP_1) | instid1(VALU_DEP_2)
	v_fma_f32 v3, 0xcf800000, v3, |v1|
	v_ashrrev_i32_e32 v1, 31, v1
	v_cvt_u32_f32_e32 v3, v3
	s_delay_alu instid0(VALU_DEP_1) | instskip(NEXT) | instid1(VALU_DEP_1)
	v_xor_b32_e32 v3, v3, v1
	v_sub_nc_u32_e32 v10, v3, v1
.LBB103_3556:
	s_mov_b32 s1, 0
.LBB103_3557:
	s_delay_alu instid0(SALU_CYCLE_1)
	s_and_not1_b32 vcc_lo, exec_lo, s1
	s_cbranch_vccnz .LBB103_3559
; %bb.3558:
	global_load_u8 v1, v[32:33], off
	s_wait_loadcnt 0x0
	v_lshlrev_b32_e32 v3, 25, v1
	v_lshlrev_b16 v1, 8, v1
	s_delay_alu instid0(VALU_DEP_1) | instskip(SKIP_1) | instid1(VALU_DEP_2)
	v_and_or_b32 v7, 0x7f00, v1, 0.5
	v_bfe_i32 v1, v1, 0, 16
	v_add_f32_e32 v7, -0.5, v7
	v_lshrrev_b32_e32 v5, 4, v3
	v_cmp_gt_u32_e32 vcc_lo, 0x8000000, v3
	s_delay_alu instid0(VALU_DEP_2) | instskip(NEXT) | instid1(VALU_DEP_1)
	v_or_b32_e32 v5, 0x70000000, v5
	v_mul_f32_e32 v5, 0x7800000, v5
	s_delay_alu instid0(VALU_DEP_1) | instskip(NEXT) | instid1(VALU_DEP_1)
	v_cndmask_b32_e32 v3, v5, v7, vcc_lo
	v_and_or_b32 v1, 0x80000000, v1, v3
	s_delay_alu instid0(VALU_DEP_1) | instskip(NEXT) | instid1(VALU_DEP_1)
	v_trunc_f32_e32 v1, v1
	v_mul_f32_e64 v3, 0x2f800000, |v1|
	s_delay_alu instid0(VALU_DEP_1) | instskip(NEXT) | instid1(VALU_DEP_1)
	v_floor_f32_e32 v3, v3
	v_fma_f32 v3, 0xcf800000, v3, |v1|
	v_ashrrev_i32_e32 v1, 31, v1
	s_delay_alu instid0(VALU_DEP_2) | instskip(NEXT) | instid1(VALU_DEP_1)
	v_cvt_u32_f32_e32 v3, v3
	v_xor_b32_e32 v3, v3, v1
	s_delay_alu instid0(VALU_DEP_1)
	v_sub_nc_u32_e32 v10, v3, v1
.LBB103_3559:
	s_mov_b32 s1, 0
	s_mov_b32 s6, -1
.LBB103_3560:
	s_and_not1_b32 vcc_lo, exec_lo, s1
	s_mov_b32 s1, 0
	s_cbranch_vccnz .LBB103_3571
; %bb.3561:
	s_cmp_gt_i32 s15, 14
	s_cbranch_scc0 .LBB103_3564
; %bb.3562:
	s_cmp_eq_u32 s15, 15
	s_cbranch_scc0 .LBB103_3567
; %bb.3563:
	global_load_u16 v1, v[32:33], off
	s_mov_b32 s0, 0
	s_mov_b32 s6, -1
	s_wait_loadcnt 0x0
	v_lshlrev_b32_e32 v1, 16, v1
	s_delay_alu instid0(VALU_DEP_1) | instskip(NEXT) | instid1(VALU_DEP_1)
	v_trunc_f32_e32 v1, v1
	v_mul_f32_e64 v3, 0x2f800000, |v1|
	s_delay_alu instid0(VALU_DEP_1) | instskip(NEXT) | instid1(VALU_DEP_1)
	v_floor_f32_e32 v3, v3
	v_fma_f32 v3, 0xcf800000, v3, |v1|
	v_ashrrev_i32_e32 v1, 31, v1
	s_delay_alu instid0(VALU_DEP_2) | instskip(NEXT) | instid1(VALU_DEP_1)
	v_cvt_u32_f32_e32 v3, v3
	v_xor_b32_e32 v3, v3, v1
	s_delay_alu instid0(VALU_DEP_1)
	v_sub_nc_u32_e32 v10, v3, v1
	s_branch .LBB103_3569
.LBB103_3564:
	s_mov_b32 s1, -1
	s_branch .LBB103_3568
.LBB103_3565:
	s_and_not1_saveexec_b32 s1, s1
	s_cbranch_execz .LBB103_3546
.LBB103_3566:
	v_cmp_ne_u16_e32 vcc_lo, 0, v1
	s_and_not1_b32 s6, s6, exec_lo
	s_and_b32 s7, vcc_lo, exec_lo
	s_delay_alu instid0(SALU_CYCLE_1)
	s_or_b32 s6, s6, s7
	s_or_b32 exec_lo, exec_lo, s1
	v_mov_b32_e32 v10, 0
	s_and_saveexec_b32 s1, s6
	s_cbranch_execnz .LBB103_3547
	s_branch .LBB103_3548
.LBB103_3567:
	s_mov_b32 s0, -1
.LBB103_3568:
                                        ; implicit-def: $vgpr10
.LBB103_3569:
	s_and_b32 vcc_lo, exec_lo, s1
	s_mov_b32 s1, 0
	s_cbranch_vccz .LBB103_3571
; %bb.3570:
	s_cmp_lg_u32 s15, 11
	s_mov_b32 s1, -1
	s_cselect_b32 s0, -1, 0
.LBB103_3571:
	s_delay_alu instid0(SALU_CYCLE_1)
	s_and_b32 vcc_lo, exec_lo, s0
	s_cbranch_vccnz .LBB103_4104
; %bb.3572:
	s_and_not1_b32 vcc_lo, exec_lo, s1
	s_cbranch_vccnz .LBB103_3574
.LBB103_3573:
	global_load_u8 v1, v[32:33], off
	s_mov_b32 s6, -1
	s_wait_loadcnt 0x0
	v_cmp_ne_u16_e32 vcc_lo, 0, v1
	v_cndmask_b32_e64 v10, 0, 1, vcc_lo
.LBB103_3574:
	s_mov_b32 s0, 0
.LBB103_3575:
	s_delay_alu instid0(SALU_CYCLE_1)
	s_and_b32 vcc_lo, exec_lo, s0
	s_cbranch_vccz .LBB103_3624
; %bb.3576:
	s_cmp_lt_i32 s15, 5
	s_cbranch_scc1 .LBB103_3581
; %bb.3577:
	s_cmp_lt_i32 s15, 8
	s_cbranch_scc1 .LBB103_3582
	;; [unrolled: 3-line block ×3, first 2 shown]
; %bb.3579:
	s_cmp_gt_i32 s15, 9
	s_cbranch_scc0 .LBB103_3584
; %bb.3580:
	s_wait_loadcnt 0x0
	global_load_b64 v[10:11], v[32:33], off
	s_mov_b32 s0, 0
	s_wait_loadcnt 0x0
	v_trunc_f64_e32 v[10:11], v[10:11]
	s_delay_alu instid0(VALU_DEP_1) | instskip(NEXT) | instid1(VALU_DEP_1)
	v_ldexp_f64 v[34:35], v[10:11], 0xffffffe0
	v_floor_f64_e32 v[34:35], v[34:35]
	s_delay_alu instid0(VALU_DEP_1) | instskip(NEXT) | instid1(VALU_DEP_1)
	v_fmamk_f64 v[10:11], v[34:35], 0xc1f00000, v[10:11]
	v_cvt_u32_f64_e32 v10, v[10:11]
	s_branch .LBB103_3585
.LBB103_3581:
	s_mov_b32 s0, -1
                                        ; implicit-def: $vgpr10
	s_branch .LBB103_3603
.LBB103_3582:
	s_mov_b32 s0, -1
                                        ; implicit-def: $vgpr10
	s_branch .LBB103_3591
.LBB103_3583:
	s_mov_b32 s0, -1
                                        ; implicit-def: $vgpr10
	s_branch .LBB103_3588
.LBB103_3584:
	s_mov_b32 s0, -1
                                        ; implicit-def: $vgpr10
.LBB103_3585:
	s_delay_alu instid0(SALU_CYCLE_1)
	s_and_not1_b32 vcc_lo, exec_lo, s0
	s_cbranch_vccnz .LBB103_3587
; %bb.3586:
	global_load_b32 v1, v[32:33], off
	s_wait_loadcnt 0x0
	v_trunc_f32_e32 v1, v1
	s_delay_alu instid0(VALU_DEP_1) | instskip(NEXT) | instid1(VALU_DEP_1)
	v_mul_f32_e64 v3, 0x2f800000, |v1|
	v_floor_f32_e32 v3, v3
	s_delay_alu instid0(VALU_DEP_1) | instskip(SKIP_1) | instid1(VALU_DEP_2)
	v_fma_f32 v3, 0xcf800000, v3, |v1|
	v_ashrrev_i32_e32 v1, 31, v1
	v_cvt_u32_f32_e32 v3, v3
	s_delay_alu instid0(VALU_DEP_1) | instskip(NEXT) | instid1(VALU_DEP_1)
	v_xor_b32_e32 v3, v3, v1
	v_sub_nc_u32_e32 v10, v3, v1
.LBB103_3587:
	s_mov_b32 s0, 0
.LBB103_3588:
	s_delay_alu instid0(SALU_CYCLE_1)
	s_and_not1_b32 vcc_lo, exec_lo, s0
	s_cbranch_vccnz .LBB103_3590
; %bb.3589:
	global_load_b32 v1, v[32:33], off
	s_wait_loadcnt 0x0
	v_cvt_f32_f16_e32 v1, v1
	s_delay_alu instid0(VALU_DEP_1)
	v_cvt_i32_f32_e32 v10, v1
.LBB103_3590:
	s_mov_b32 s0, 0
.LBB103_3591:
	s_delay_alu instid0(SALU_CYCLE_1)
	s_and_not1_b32 vcc_lo, exec_lo, s0
	s_cbranch_vccnz .LBB103_3602
; %bb.3592:
	s_cmp_lt_i32 s15, 6
	s_cbranch_scc1 .LBB103_3595
; %bb.3593:
	s_cmp_gt_i32 s15, 6
	s_cbranch_scc0 .LBB103_3596
; %bb.3594:
	s_wait_loadcnt 0x0
	global_load_b64 v[10:11], v[32:33], off
	s_mov_b32 s0, 0
	s_wait_loadcnt 0x0
	v_trunc_f64_e32 v[10:11], v[10:11]
	s_delay_alu instid0(VALU_DEP_1) | instskip(NEXT) | instid1(VALU_DEP_1)
	v_ldexp_f64 v[34:35], v[10:11], 0xffffffe0
	v_floor_f64_e32 v[34:35], v[34:35]
	s_delay_alu instid0(VALU_DEP_1) | instskip(NEXT) | instid1(VALU_DEP_1)
	v_fmamk_f64 v[10:11], v[34:35], 0xc1f00000, v[10:11]
	v_cvt_u32_f64_e32 v10, v[10:11]
	s_branch .LBB103_3597
.LBB103_3595:
	s_mov_b32 s0, -1
                                        ; implicit-def: $vgpr10
	s_branch .LBB103_3600
.LBB103_3596:
	s_mov_b32 s0, -1
                                        ; implicit-def: $vgpr10
.LBB103_3597:
	s_delay_alu instid0(SALU_CYCLE_1)
	s_and_not1_b32 vcc_lo, exec_lo, s0
	s_cbranch_vccnz .LBB103_3599
; %bb.3598:
	global_load_b32 v1, v[32:33], off
	s_wait_loadcnt 0x0
	v_trunc_f32_e32 v1, v1
	s_delay_alu instid0(VALU_DEP_1) | instskip(NEXT) | instid1(VALU_DEP_1)
	v_mul_f32_e64 v3, 0x2f800000, |v1|
	v_floor_f32_e32 v3, v3
	s_delay_alu instid0(VALU_DEP_1) | instskip(SKIP_1) | instid1(VALU_DEP_2)
	v_fma_f32 v3, 0xcf800000, v3, |v1|
	v_ashrrev_i32_e32 v1, 31, v1
	v_cvt_u32_f32_e32 v3, v3
	s_delay_alu instid0(VALU_DEP_1) | instskip(NEXT) | instid1(VALU_DEP_1)
	v_xor_b32_e32 v3, v3, v1
	v_sub_nc_u32_e32 v10, v3, v1
.LBB103_3599:
	s_mov_b32 s0, 0
.LBB103_3600:
	s_delay_alu instid0(SALU_CYCLE_1)
	s_and_not1_b32 vcc_lo, exec_lo, s0
	s_cbranch_vccnz .LBB103_3602
; %bb.3601:
	global_load_u16 v1, v[32:33], off
	s_wait_loadcnt 0x0
	v_cvt_f32_f16_e32 v1, v1
	s_delay_alu instid0(VALU_DEP_1)
	v_cvt_i32_f32_e32 v10, v1
.LBB103_3602:
	s_mov_b32 s0, 0
.LBB103_3603:
	s_delay_alu instid0(SALU_CYCLE_1)
	s_and_not1_b32 vcc_lo, exec_lo, s0
	s_cbranch_vccnz .LBB103_3623
; %bb.3604:
	s_cmp_lt_i32 s15, 2
	s_cbranch_scc1 .LBB103_3608
; %bb.3605:
	s_cmp_lt_i32 s15, 3
	s_cbranch_scc1 .LBB103_3609
; %bb.3606:
	s_cmp_gt_i32 s15, 3
	s_cbranch_scc0 .LBB103_3610
; %bb.3607:
	s_wait_loadcnt 0x0
	global_load_b64 v[10:11], v[32:33], off
	s_mov_b32 s0, 0
	s_branch .LBB103_3611
.LBB103_3608:
	s_mov_b32 s0, -1
                                        ; implicit-def: $vgpr10
	s_branch .LBB103_3617
.LBB103_3609:
	s_mov_b32 s0, -1
                                        ; implicit-def: $vgpr10
	s_branch .LBB103_3614
.LBB103_3610:
	s_mov_b32 s0, -1
                                        ; implicit-def: $vgpr10
.LBB103_3611:
	s_delay_alu instid0(SALU_CYCLE_1)
	s_and_not1_b32 vcc_lo, exec_lo, s0
	s_cbranch_vccnz .LBB103_3613
; %bb.3612:
	s_wait_loadcnt 0x0
	global_load_b32 v10, v[32:33], off
.LBB103_3613:
	s_mov_b32 s0, 0
.LBB103_3614:
	s_delay_alu instid0(SALU_CYCLE_1)
	s_and_not1_b32 vcc_lo, exec_lo, s0
	s_cbranch_vccnz .LBB103_3616
; %bb.3615:
	s_wait_loadcnt 0x0
	global_load_u16 v10, v[32:33], off
.LBB103_3616:
	s_mov_b32 s0, 0
.LBB103_3617:
	s_delay_alu instid0(SALU_CYCLE_1)
	s_and_not1_b32 vcc_lo, exec_lo, s0
	s_cbranch_vccnz .LBB103_3623
; %bb.3618:
	s_cmp_gt_i32 s15, 0
	s_mov_b32 s0, 0
	s_cbranch_scc0 .LBB103_3620
; %bb.3619:
	s_wait_loadcnt 0x0
	global_load_u8 v10, v[32:33], off
	s_branch .LBB103_3621
.LBB103_3620:
	s_mov_b32 s0, -1
                                        ; implicit-def: $vgpr10
.LBB103_3621:
	s_delay_alu instid0(SALU_CYCLE_1)
	s_and_not1_b32 vcc_lo, exec_lo, s0
	s_cbranch_vccnz .LBB103_3623
; %bb.3622:
	s_wait_loadcnt 0x0
	global_load_u8 v10, v[32:33], off
.LBB103_3623:
	s_mov_b32 s6, -1
.LBB103_3624:
	s_delay_alu instid0(SALU_CYCLE_1)
	s_and_not1_b32 vcc_lo, exec_lo, s6
	s_cbranch_vccnz .LBB103_4058
; %bb.3625:
	v_mov_b32_e32 v7, 0
	s_wait_loadcnt 0x0
	v_and_b32_e32 v3, 0xff, v12
	v_and_b32_e32 v5, 0xff, v8
	global_load_u8 v1, v7, s[2:3] offset:489
	s_wait_xcnt 0x0
	v_add_nc_u64_e32 v[6:7], s[4:5], v[6:7]
	v_max_u16 v3, v5, v3
	v_and_b32_e32 v5, 0xff, v16
	s_wait_loadcnt 0x0
	v_and_b32_e32 v8, 0xffff, v1
	v_readfirstlane_b32 s1, v1
	s_delay_alu instid0(VALU_DEP_3) | instskip(NEXT) | instid1(VALU_DEP_3)
	v_min_u16 v1, v3, v5
	v_cmp_gt_i32_e32 vcc_lo, 11, v8
	s_cbranch_vccnz .LBB103_3703
; %bb.3626:
	s_and_b32 s2, 0xffff, s1
	s_mov_b32 s7, -1
	s_mov_b32 s3, 0
	s_cmp_gt_i32 s2, 25
	s_mov_b32 s6, 0
	s_mov_b32 s0, 0
	s_cbranch_scc0 .LBB103_3659
; %bb.3627:
	s_cmp_gt_i32 s2, 28
	s_cbranch_scc0 .LBB103_3642
; %bb.3628:
	s_cmp_gt_i32 s2, 43
	;; [unrolled: 3-line block ×3, first 2 shown]
	s_cbranch_scc0 .LBB103_3632
; %bb.3630:
	s_mov_b32 s0, -1
	s_mov_b32 s7, 0
	s_cmp_eq_u32 s2, 46
	s_cbranch_scc0 .LBB103_3632
; %bb.3631:
	v_cvt_f32_ubyte0_e32 v3, v1
	s_mov_b32 s0, 0
	s_mov_b32 s6, -1
	s_delay_alu instid0(VALU_DEP_1) | instskip(NEXT) | instid1(VALU_DEP_1)
	v_bfe_u32 v5, v3, 16, 1
	v_add3_u32 v3, v3, v5, 0x7fff
	s_delay_alu instid0(VALU_DEP_1)
	v_lshrrev_b32_e32 v3, 16, v3
	global_store_b32 v[6:7], v3, off
.LBB103_3632:
	s_and_b32 vcc_lo, exec_lo, s7
	s_cbranch_vccz .LBB103_3637
; %bb.3633:
	s_cmp_eq_u32 s2, 44
	s_mov_b32 s0, -1
	s_cbranch_scc0 .LBB103_3637
; %bb.3634:
	v_cvt_f32_ubyte0_e32 v8, v1
	v_mov_b32_e32 v5, 0xff
	s_mov_b32 s6, exec_lo
	s_wait_xcnt 0x0
	s_delay_alu instid0(VALU_DEP_2) | instskip(NEXT) | instid1(VALU_DEP_1)
	v_lshrrev_b32_e32 v3, 23, v8
	v_cmpx_ne_u32_e32 0xff, v3
; %bb.3635:
	v_and_b32_e32 v5, 0x400000, v8
	v_and_or_b32 v8, 0x3fffff, v8, v3
	s_delay_alu instid0(VALU_DEP_2) | instskip(NEXT) | instid1(VALU_DEP_2)
	v_cmp_ne_u32_e32 vcc_lo, 0, v5
	v_cmp_ne_u32_e64 s0, 0, v8
	s_and_b32 s0, vcc_lo, s0
	s_delay_alu instid0(SALU_CYCLE_1) | instskip(NEXT) | instid1(VALU_DEP_1)
	v_cndmask_b32_e64 v5, 0, 1, s0
	v_add_nc_u32_e32 v5, v3, v5
; %bb.3636:
	s_or_b32 exec_lo, exec_lo, s6
	s_mov_b32 s0, 0
	s_mov_b32 s6, -1
	global_store_b8 v[6:7], v5, off
.LBB103_3637:
	s_mov_b32 s7, 0
.LBB103_3638:
	s_delay_alu instid0(SALU_CYCLE_1)
	s_and_b32 vcc_lo, exec_lo, s7
	s_cbranch_vccz .LBB103_3641
; %bb.3639:
	s_cmp_eq_u32 s2, 29
	s_mov_b32 s0, -1
	s_cbranch_scc0 .LBB103_3641
; %bb.3640:
	s_mov_b32 s0, 0
	v_and_b32_e32 v8, 0xffff, v1
	v_mov_b32_e32 v9, s0
	s_mov_b32 s6, -1
	global_store_b64 v[6:7], v[8:9], off
.LBB103_3641:
	s_mov_b32 s7, 0
.LBB103_3642:
	s_delay_alu instid0(SALU_CYCLE_1)
	s_and_b32 vcc_lo, exec_lo, s7
	s_cbranch_vccz .LBB103_3658
; %bb.3643:
	s_cmp_lt_i32 s2, 27
	s_mov_b32 s6, -1
	s_cbranch_scc1 .LBB103_3649
; %bb.3644:
	s_cmp_gt_i32 s2, 27
	s_cbranch_scc0 .LBB103_3646
; %bb.3645:
	s_wait_xcnt 0x0
	v_and_b32_e32 v3, 0xffff, v1
	s_mov_b32 s6, 0
	global_store_b32 v[6:7], v3, off
.LBB103_3646:
	s_and_not1_b32 vcc_lo, exec_lo, s6
	s_cbranch_vccnz .LBB103_3648
; %bb.3647:
	global_store_b16 v[6:7], v1, off
.LBB103_3648:
	s_mov_b32 s6, 0
.LBB103_3649:
	s_delay_alu instid0(SALU_CYCLE_1)
	s_and_not1_b32 vcc_lo, exec_lo, s6
	s_cbranch_vccnz .LBB103_3657
; %bb.3650:
	s_wait_xcnt 0x0
	v_cvt_f32_ubyte0_e32 v5, v1
	v_mov_b32_e32 v8, 0x80
	s_mov_b32 s6, exec_lo
	s_delay_alu instid0(VALU_DEP_2)
	v_cmpx_gt_u32_e32 0x43800000, v5
	s_cbranch_execz .LBB103_3656
; %bb.3651:
	s_mov_b32 s7, 0
	s_mov_b32 s8, exec_lo
                                        ; implicit-def: $vgpr3
	v_cmpx_lt_u32_e32 0x3bffffff, v5
	s_xor_b32 s8, exec_lo, s8
	s_cbranch_execz .LBB103_4105
; %bb.3652:
	v_bfe_u32 v3, v5, 20, 1
	s_mov_b32 s7, exec_lo
	s_delay_alu instid0(VALU_DEP_1) | instskip(NEXT) | instid1(VALU_DEP_1)
	v_add3_u32 v3, v5, v3, 0x487ffff
                                        ; implicit-def: $vgpr5
	v_lshrrev_b32_e32 v3, 20, v3
	s_and_not1_saveexec_b32 s8, s8
	s_cbranch_execnz .LBB103_4106
.LBB103_3653:
	s_or_b32 exec_lo, exec_lo, s8
	v_mov_b32_e32 v8, 0
	s_and_saveexec_b32 s8, s7
.LBB103_3654:
	v_mov_b32_e32 v8, v3
.LBB103_3655:
	s_or_b32 exec_lo, exec_lo, s8
.LBB103_3656:
	s_delay_alu instid0(SALU_CYCLE_1)
	s_or_b32 exec_lo, exec_lo, s6
	global_store_b8 v[6:7], v8, off
.LBB103_3657:
	s_mov_b32 s6, -1
.LBB103_3658:
	s_mov_b32 s7, 0
.LBB103_3659:
	s_delay_alu instid0(SALU_CYCLE_1)
	s_and_b32 vcc_lo, exec_lo, s7
	s_cbranch_vccz .LBB103_3699
; %bb.3660:
	s_cmp_gt_i32 s2, 22
	s_mov_b32 s3, -1
	s_cbranch_scc0 .LBB103_3692
; %bb.3661:
	s_cmp_lt_i32 s2, 24
	s_cbranch_scc1 .LBB103_3681
; %bb.3662:
	s_cmp_gt_i32 s2, 24
	s_cbranch_scc0 .LBB103_3670
; %bb.3663:
	s_wait_xcnt 0x0
	v_cvt_f32_ubyte0_e32 v5, v1
	v_mov_b32_e32 v8, 0x80
	s_mov_b32 s3, exec_lo
	s_delay_alu instid0(VALU_DEP_2)
	v_cmpx_gt_u32_e32 0x47800000, v5
	s_cbranch_execz .LBB103_3669
; %bb.3664:
	s_mov_b32 s6, 0
	s_mov_b32 s7, exec_lo
                                        ; implicit-def: $vgpr3
	v_cmpx_lt_u32_e32 0x37ffffff, v5
	s_xor_b32 s7, exec_lo, s7
	s_cbranch_execz .LBB103_4108
; %bb.3665:
	v_bfe_u32 v3, v5, 21, 1
	s_mov_b32 s6, exec_lo
	s_delay_alu instid0(VALU_DEP_1) | instskip(NEXT) | instid1(VALU_DEP_1)
	v_add3_u32 v3, v5, v3, 0x88fffff
                                        ; implicit-def: $vgpr5
	v_lshrrev_b32_e32 v3, 21, v3
	s_and_not1_saveexec_b32 s7, s7
	s_cbranch_execnz .LBB103_4109
.LBB103_3666:
	s_or_b32 exec_lo, exec_lo, s7
	v_mov_b32_e32 v8, 0
	s_and_saveexec_b32 s7, s6
.LBB103_3667:
	v_mov_b32_e32 v8, v3
.LBB103_3668:
	s_or_b32 exec_lo, exec_lo, s7
.LBB103_3669:
	s_delay_alu instid0(SALU_CYCLE_1)
	s_or_b32 exec_lo, exec_lo, s3
	s_mov_b32 s3, 0
	global_store_b8 v[6:7], v8, off
.LBB103_3670:
	s_and_b32 vcc_lo, exec_lo, s3
	s_cbranch_vccz .LBB103_3680
; %bb.3671:
	s_wait_xcnt 0x0
	v_cvt_f32_ubyte0_e32 v5, v1
	s_mov_b32 s3, exec_lo
                                        ; implicit-def: $vgpr3
	s_delay_alu instid0(VALU_DEP_1)
	v_cmpx_gt_u32_e32 0x43f00000, v5
	s_xor_b32 s3, exec_lo, s3
	s_cbranch_execz .LBB103_3677
; %bb.3672:
	s_mov_b32 s6, exec_lo
                                        ; implicit-def: $vgpr3
	v_cmpx_lt_u32_e32 0x3c7fffff, v5
	s_xor_b32 s6, exec_lo, s6
; %bb.3673:
	v_bfe_u32 v3, v5, 20, 1
	s_delay_alu instid0(VALU_DEP_1) | instskip(NEXT) | instid1(VALU_DEP_1)
	v_add3_u32 v3, v5, v3, 0x407ffff
	v_and_b32_e32 v5, 0xff00000, v3
	v_lshrrev_b32_e32 v3, 20, v3
	s_delay_alu instid0(VALU_DEP_2) | instskip(NEXT) | instid1(VALU_DEP_2)
	v_cmp_ne_u32_e32 vcc_lo, 0x7f00000, v5
                                        ; implicit-def: $vgpr5
	v_cndmask_b32_e32 v3, 0x7e, v3, vcc_lo
; %bb.3674:
	s_and_not1_saveexec_b32 s6, s6
; %bb.3675:
	v_add_f32_e32 v3, 0x46800000, v5
; %bb.3676:
	s_or_b32 exec_lo, exec_lo, s6
                                        ; implicit-def: $vgpr5
.LBB103_3677:
	s_and_not1_saveexec_b32 s3, s3
; %bb.3678:
	v_mov_b32_e32 v3, 0x7f
	v_cmp_lt_u32_e32 vcc_lo, 0x7f800000, v5
	s_delay_alu instid0(VALU_DEP_2)
	v_cndmask_b32_e32 v3, 0x7e, v3, vcc_lo
; %bb.3679:
	s_or_b32 exec_lo, exec_lo, s3
	global_store_b8 v[6:7], v3, off
.LBB103_3680:
	s_mov_b32 s3, 0
.LBB103_3681:
	s_delay_alu instid0(SALU_CYCLE_1)
	s_and_not1_b32 vcc_lo, exec_lo, s3
	s_cbranch_vccnz .LBB103_3691
; %bb.3682:
	s_wait_xcnt 0x0
	v_cvt_f32_ubyte0_e32 v5, v1
	s_mov_b32 s3, exec_lo
                                        ; implicit-def: $vgpr3
	s_delay_alu instid0(VALU_DEP_1)
	v_cmpx_gt_u32_e32 0x47800000, v5
	s_xor_b32 s3, exec_lo, s3
	s_cbranch_execz .LBB103_3688
; %bb.3683:
	s_mov_b32 s6, exec_lo
                                        ; implicit-def: $vgpr3
	v_cmpx_lt_u32_e32 0x387fffff, v5
	s_xor_b32 s6, exec_lo, s6
; %bb.3684:
	v_bfe_u32 v3, v5, 21, 1
	s_delay_alu instid0(VALU_DEP_1) | instskip(NEXT) | instid1(VALU_DEP_1)
	v_add3_u32 v3, v5, v3, 0x80fffff
                                        ; implicit-def: $vgpr5
	v_lshrrev_b32_e32 v3, 21, v3
; %bb.3685:
	s_and_not1_saveexec_b32 s6, s6
; %bb.3686:
	v_add_f32_e32 v3, 0x43000000, v5
; %bb.3687:
	s_or_b32 exec_lo, exec_lo, s6
                                        ; implicit-def: $vgpr5
.LBB103_3688:
	s_and_not1_saveexec_b32 s3, s3
; %bb.3689:
	v_mov_b32_e32 v3, 0x7f
	v_cmp_lt_u32_e32 vcc_lo, 0x7f800000, v5
	s_delay_alu instid0(VALU_DEP_2)
	v_cndmask_b32_e32 v3, 0x7c, v3, vcc_lo
; %bb.3690:
	s_or_b32 exec_lo, exec_lo, s3
	global_store_b8 v[6:7], v3, off
.LBB103_3691:
	s_mov_b32 s3, 0
	s_mov_b32 s6, -1
.LBB103_3692:
	s_and_not1_b32 vcc_lo, exec_lo, s3
	s_mov_b32 s3, 0
	s_cbranch_vccnz .LBB103_3699
; %bb.3693:
	s_cmp_gt_i32 s2, 14
	s_mov_b32 s3, -1
	s_cbranch_scc0 .LBB103_3697
; %bb.3694:
	s_cmp_eq_u32 s2, 15
	s_mov_b32 s0, -1
	s_cbranch_scc0 .LBB103_3696
; %bb.3695:
	s_wait_xcnt 0x0
	v_cvt_f32_ubyte0_e32 v3, v1
	s_mov_b32 s0, 0
	s_mov_b32 s6, -1
	s_delay_alu instid0(VALU_DEP_1) | instskip(NEXT) | instid1(VALU_DEP_1)
	v_bfe_u32 v5, v3, 16, 1
	v_add3_u32 v3, v3, v5, 0x7fff
	global_store_d16_hi_b16 v[6:7], v3, off
.LBB103_3696:
	s_mov_b32 s3, 0
.LBB103_3697:
	s_delay_alu instid0(SALU_CYCLE_1)
	s_and_b32 vcc_lo, exec_lo, s3
	s_mov_b32 s3, 0
	s_cbranch_vccz .LBB103_3699
; %bb.3698:
	s_cmp_lg_u32 s2, 11
	s_mov_b32 s3, -1
	s_cselect_b32 s0, -1, 0
.LBB103_3699:
	s_delay_alu instid0(SALU_CYCLE_1)
	s_and_b32 vcc_lo, exec_lo, s0
	s_cbranch_vccnz .LBB103_4107
; %bb.3700:
	s_and_not1_b32 vcc_lo, exec_lo, s3
	s_cbranch_vccnz .LBB103_3702
.LBB103_3701:
	v_cmp_ne_u16_e32 vcc_lo, 0, v1
	s_mov_b32 s6, -1
	s_wait_xcnt 0x0
	v_cndmask_b32_e64 v3, 0, 1, vcc_lo
	global_store_b8 v[6:7], v3, off
.LBB103_3702:
	s_mov_b32 s0, 0
	s_branch .LBB103_3704
.LBB103_3703:
	s_mov_b32 s0, -1
	s_mov_b32 s6, 0
.LBB103_3704:
	s_and_b32 vcc_lo, exec_lo, s0
	s_cbranch_vccz .LBB103_3743
; %bb.3705:
	s_and_b32 s0, 0xffff, s1
	s_mov_b32 s2, -1
	s_cmp_lt_i32 s0, 5
	s_cbranch_scc1 .LBB103_3726
; %bb.3706:
	s_cmp_lt_i32 s0, 8
	s_cbranch_scc1 .LBB103_3716
; %bb.3707:
	;; [unrolled: 3-line block ×3, first 2 shown]
	s_cmp_gt_i32 s0, 9
	s_cbranch_scc0 .LBB103_3710
; %bb.3709:
	s_wait_xcnt 0x0
	v_and_b32_e32 v3, 0xffff, v1
	v_mov_b32_e32 v34, 0
	s_mov_b32 s2, 0
	s_delay_alu instid0(VALU_DEP_2) | instskip(NEXT) | instid1(VALU_DEP_2)
	v_cvt_f64_u32_e32 v[32:33], v3
	v_mov_b32_e32 v35, v34
	global_store_b128 v[6:7], v[32:35], off
.LBB103_3710:
	s_and_not1_b32 vcc_lo, exec_lo, s2
	s_cbranch_vccnz .LBB103_3712
; %bb.3711:
	s_wait_xcnt 0x0
	v_cvt_f32_ubyte0_e32 v8, v1
	v_mov_b32_e32 v9, 0
	global_store_b64 v[6:7], v[8:9], off
.LBB103_3712:
	s_mov_b32 s2, 0
.LBB103_3713:
	s_delay_alu instid0(SALU_CYCLE_1)
	s_and_not1_b32 vcc_lo, exec_lo, s2
	s_cbranch_vccnz .LBB103_3715
; %bb.3714:
	s_wait_xcnt 0x0
	v_cvt_f16_u16_e32 v3, v1
	s_delay_alu instid0(VALU_DEP_1)
	v_and_b32_e32 v3, 0xffff, v3
	global_store_b32 v[6:7], v3, off
.LBB103_3715:
	s_mov_b32 s2, 0
.LBB103_3716:
	s_delay_alu instid0(SALU_CYCLE_1)
	s_and_not1_b32 vcc_lo, exec_lo, s2
	s_cbranch_vccnz .LBB103_3725
; %bb.3717:
	s_cmp_lt_i32 s0, 6
	s_mov_b32 s2, -1
	s_cbranch_scc1 .LBB103_3723
; %bb.3718:
	s_cmp_gt_i32 s0, 6
	s_cbranch_scc0 .LBB103_3720
; %bb.3719:
	s_wait_xcnt 0x0
	v_and_b32_e32 v3, 0xffff, v1
	s_mov_b32 s2, 0
	s_delay_alu instid0(VALU_DEP_1)
	v_cvt_f64_u32_e32 v[8:9], v3
	global_store_b64 v[6:7], v[8:9], off
.LBB103_3720:
	s_and_not1_b32 vcc_lo, exec_lo, s2
	s_cbranch_vccnz .LBB103_3722
; %bb.3721:
	s_wait_xcnt 0x0
	v_cvt_f32_ubyte0_e32 v3, v1
	global_store_b32 v[6:7], v3, off
.LBB103_3722:
	s_mov_b32 s2, 0
.LBB103_3723:
	s_delay_alu instid0(SALU_CYCLE_1)
	s_and_not1_b32 vcc_lo, exec_lo, s2
	s_cbranch_vccnz .LBB103_3725
; %bb.3724:
	s_wait_xcnt 0x0
	v_cvt_f16_u16_e32 v3, v1
	global_store_b16 v[6:7], v3, off
.LBB103_3725:
	s_mov_b32 s2, 0
.LBB103_3726:
	s_delay_alu instid0(SALU_CYCLE_1)
	s_and_not1_b32 vcc_lo, exec_lo, s2
	s_cbranch_vccnz .LBB103_3742
; %bb.3727:
	s_cmp_lt_i32 s0, 2
	s_mov_b32 s2, -1
	s_cbranch_scc1 .LBB103_3737
; %bb.3728:
	s_cmp_lt_i32 s0, 3
	s_cbranch_scc1 .LBB103_3734
; %bb.3729:
	s_wait_xcnt 0x0
	v_and_b32_e32 v8, 0xffff, v1
	s_cmp_gt_i32 s0, 3
	s_cbranch_scc0 .LBB103_3731
; %bb.3730:
	s_mov_b32 s2, 0
	s_delay_alu instid0(SALU_CYCLE_1)
	v_mov_b32_e32 v9, s2
	global_store_b64 v[6:7], v[8:9], off
.LBB103_3731:
	s_and_not1_b32 vcc_lo, exec_lo, s2
	s_cbranch_vccnz .LBB103_3733
; %bb.3732:
	global_store_b32 v[6:7], v8, off
.LBB103_3733:
	s_mov_b32 s2, 0
.LBB103_3734:
	s_delay_alu instid0(SALU_CYCLE_1)
	s_and_not1_b32 vcc_lo, exec_lo, s2
	s_cbranch_vccnz .LBB103_3736
; %bb.3735:
	global_store_b16 v[6:7], v1, off
.LBB103_3736:
	s_mov_b32 s2, 0
.LBB103_3737:
	s_delay_alu instid0(SALU_CYCLE_1)
	s_and_not1_b32 vcc_lo, exec_lo, s2
	s_cbranch_vccnz .LBB103_3742
; %bb.3738:
	s_cmp_gt_i32 s0, 0
	s_mov_b32 s0, -1
	s_cbranch_scc0 .LBB103_3740
; %bb.3739:
	s_mov_b32 s0, 0
	global_store_b8 v[6:7], v1, off
.LBB103_3740:
	s_and_not1_b32 vcc_lo, exec_lo, s0
	s_cbranch_vccnz .LBB103_3742
; %bb.3741:
	global_store_b8 v[6:7], v1, off
.LBB103_3742:
	s_mov_b32 s6, -1
.LBB103_3743:
	s_delay_alu instid0(SALU_CYCLE_1)
	s_and_not1_b32 vcc_lo, exec_lo, s6
	s_cbranch_vccnz .LBB103_4058
; %bb.3744:
	s_wait_xcnt 0x0
	v_and_b32_e32 v1, 0xff, v22
	v_and_b32_e32 v3, 0xff, v18
	v_mov_b32_e32 v5, 0
	v_and_b32_e32 v6, 0xff, v26
	s_and_b32 s2, 0xffff, s1
	s_delay_alu instid0(VALU_DEP_3) | instskip(NEXT) | instid1(VALU_DEP_3)
	v_max_u16 v1, v3, v1
	v_add_nc_u64_e32 v[4:5], s[4:5], v[4:5]
	s_cmp_lt_i32 s2, 11
	s_delay_alu instid0(VALU_DEP_2)
	v_min_u16 v1, v1, v6
	s_cbranch_scc1 .LBB103_3822
; %bb.3745:
	s_mov_b32 s7, -1
	s_mov_b32 s3, 0
	s_cmp_gt_i32 s2, 25
	s_mov_b32 s6, 0
	s_mov_b32 s0, 0
	s_cbranch_scc0 .LBB103_3778
; %bb.3746:
	s_cmp_gt_i32 s2, 28
	s_cbranch_scc0 .LBB103_3761
; %bb.3747:
	s_cmp_gt_i32 s2, 43
	;; [unrolled: 3-line block ×3, first 2 shown]
	s_cbranch_scc0 .LBB103_3751
; %bb.3749:
	s_mov_b32 s0, -1
	s_mov_b32 s7, 0
	s_cmp_eq_u32 s2, 46
	s_cbranch_scc0 .LBB103_3751
; %bb.3750:
	v_cvt_f32_ubyte0_e32 v3, v1
	s_mov_b32 s0, 0
	s_mov_b32 s6, -1
	s_delay_alu instid0(VALU_DEP_1) | instskip(NEXT) | instid1(VALU_DEP_1)
	v_bfe_u32 v6, v3, 16, 1
	v_add3_u32 v3, v3, v6, 0x7fff
	s_delay_alu instid0(VALU_DEP_1)
	v_lshrrev_b32_e32 v3, 16, v3
	global_store_b32 v[4:5], v3, off
.LBB103_3751:
	s_and_b32 vcc_lo, exec_lo, s7
	s_cbranch_vccz .LBB103_3756
; %bb.3752:
	s_cmp_eq_u32 s2, 44
	s_mov_b32 s0, -1
	s_cbranch_scc0 .LBB103_3756
; %bb.3753:
	v_cvt_f32_ubyte0_e32 v7, v1
	s_mov_b32 s6, exec_lo
	s_wait_xcnt 0x0
	s_delay_alu instid0(VALU_DEP_1) | instskip(NEXT) | instid1(VALU_DEP_1)
	v_dual_mov_b32 v6, 0xff :: v_dual_lshrrev_b32 v3, 23, v7
	v_cmpx_ne_u32_e32 0xff, v3
; %bb.3754:
	v_and_b32_e32 v6, 0x400000, v7
	v_and_or_b32 v7, 0x3fffff, v7, v3
	s_delay_alu instid0(VALU_DEP_2) | instskip(NEXT) | instid1(VALU_DEP_2)
	v_cmp_ne_u32_e32 vcc_lo, 0, v6
	v_cmp_ne_u32_e64 s0, 0, v7
	s_and_b32 s0, vcc_lo, s0
	s_delay_alu instid0(SALU_CYCLE_1) | instskip(NEXT) | instid1(VALU_DEP_1)
	v_cndmask_b32_e64 v6, 0, 1, s0
	v_add_nc_u32_e32 v6, v3, v6
; %bb.3755:
	s_or_b32 exec_lo, exec_lo, s6
	s_mov_b32 s0, 0
	s_mov_b32 s6, -1
	global_store_b8 v[4:5], v6, off
.LBB103_3756:
	s_mov_b32 s7, 0
.LBB103_3757:
	s_delay_alu instid0(SALU_CYCLE_1)
	s_and_b32 vcc_lo, exec_lo, s7
	s_cbranch_vccz .LBB103_3760
; %bb.3758:
	s_cmp_eq_u32 s2, 29
	s_mov_b32 s0, -1
	s_cbranch_scc0 .LBB103_3760
; %bb.3759:
	s_mov_b32 s0, 0
	s_wait_xcnt 0x0
	v_and_b32_e32 v6, 0xffff, v1
	v_mov_b32_e32 v7, s0
	s_mov_b32 s6, -1
	global_store_b64 v[4:5], v[6:7], off
.LBB103_3760:
	s_mov_b32 s7, 0
.LBB103_3761:
	s_delay_alu instid0(SALU_CYCLE_1)
	s_and_b32 vcc_lo, exec_lo, s7
	s_cbranch_vccz .LBB103_3777
; %bb.3762:
	s_cmp_lt_i32 s2, 27
	s_mov_b32 s6, -1
	s_cbranch_scc1 .LBB103_3768
; %bb.3763:
	s_cmp_gt_i32 s2, 27
	s_cbranch_scc0 .LBB103_3765
; %bb.3764:
	s_wait_xcnt 0x0
	v_and_b32_e32 v3, 0xffff, v1
	s_mov_b32 s6, 0
	global_store_b32 v[4:5], v3, off
.LBB103_3765:
	s_and_not1_b32 vcc_lo, exec_lo, s6
	s_cbranch_vccnz .LBB103_3767
; %bb.3766:
	global_store_b16 v[4:5], v1, off
.LBB103_3767:
	s_mov_b32 s6, 0
.LBB103_3768:
	s_delay_alu instid0(SALU_CYCLE_1)
	s_and_not1_b32 vcc_lo, exec_lo, s6
	s_cbranch_vccnz .LBB103_3776
; %bb.3769:
	s_wait_xcnt 0x0
	v_cvt_f32_ubyte0_e32 v6, v1
	v_mov_b32_e32 v7, 0x80
	s_mov_b32 s6, exec_lo
	s_delay_alu instid0(VALU_DEP_2)
	v_cmpx_gt_u32_e32 0x43800000, v6
	s_cbranch_execz .LBB103_3775
; %bb.3770:
	s_mov_b32 s7, 0
	s_mov_b32 s8, exec_lo
                                        ; implicit-def: $vgpr3
	v_cmpx_lt_u32_e32 0x3bffffff, v6
	s_xor_b32 s8, exec_lo, s8
	s_cbranch_execz .LBB103_4110
; %bb.3771:
	v_bfe_u32 v3, v6, 20, 1
	s_mov_b32 s7, exec_lo
	s_delay_alu instid0(VALU_DEP_1) | instskip(NEXT) | instid1(VALU_DEP_1)
	v_add3_u32 v3, v6, v3, 0x487ffff
                                        ; implicit-def: $vgpr6
	v_lshrrev_b32_e32 v3, 20, v3
	s_and_not1_saveexec_b32 s8, s8
	s_cbranch_execnz .LBB103_4111
.LBB103_3772:
	s_or_b32 exec_lo, exec_lo, s8
	v_mov_b32_e32 v7, 0
	s_and_saveexec_b32 s8, s7
.LBB103_3773:
	v_mov_b32_e32 v7, v3
.LBB103_3774:
	s_or_b32 exec_lo, exec_lo, s8
.LBB103_3775:
	s_delay_alu instid0(SALU_CYCLE_1)
	s_or_b32 exec_lo, exec_lo, s6
	global_store_b8 v[4:5], v7, off
.LBB103_3776:
	s_mov_b32 s6, -1
.LBB103_3777:
	s_mov_b32 s7, 0
.LBB103_3778:
	s_delay_alu instid0(SALU_CYCLE_1)
	s_and_b32 vcc_lo, exec_lo, s7
	s_cbranch_vccz .LBB103_3818
; %bb.3779:
	s_cmp_gt_i32 s2, 22
	s_mov_b32 s3, -1
	s_cbranch_scc0 .LBB103_3811
; %bb.3780:
	s_cmp_lt_i32 s2, 24
	s_cbranch_scc1 .LBB103_3800
; %bb.3781:
	s_cmp_gt_i32 s2, 24
	s_cbranch_scc0 .LBB103_3789
; %bb.3782:
	s_wait_xcnt 0x0
	v_cvt_f32_ubyte0_e32 v6, v1
	v_mov_b32_e32 v7, 0x80
	s_mov_b32 s3, exec_lo
	s_delay_alu instid0(VALU_DEP_2)
	v_cmpx_gt_u32_e32 0x47800000, v6
	s_cbranch_execz .LBB103_3788
; %bb.3783:
	s_mov_b32 s6, 0
	s_mov_b32 s7, exec_lo
                                        ; implicit-def: $vgpr3
	v_cmpx_lt_u32_e32 0x37ffffff, v6
	s_xor_b32 s7, exec_lo, s7
	s_cbranch_execz .LBB103_4113
; %bb.3784:
	v_bfe_u32 v3, v6, 21, 1
	s_mov_b32 s6, exec_lo
	s_delay_alu instid0(VALU_DEP_1) | instskip(NEXT) | instid1(VALU_DEP_1)
	v_add3_u32 v3, v6, v3, 0x88fffff
                                        ; implicit-def: $vgpr6
	v_lshrrev_b32_e32 v3, 21, v3
	s_and_not1_saveexec_b32 s7, s7
	s_cbranch_execnz .LBB103_4114
.LBB103_3785:
	s_or_b32 exec_lo, exec_lo, s7
	v_mov_b32_e32 v7, 0
	s_and_saveexec_b32 s7, s6
.LBB103_3786:
	v_mov_b32_e32 v7, v3
.LBB103_3787:
	s_or_b32 exec_lo, exec_lo, s7
.LBB103_3788:
	s_delay_alu instid0(SALU_CYCLE_1)
	s_or_b32 exec_lo, exec_lo, s3
	s_mov_b32 s3, 0
	global_store_b8 v[4:5], v7, off
.LBB103_3789:
	s_and_b32 vcc_lo, exec_lo, s3
	s_cbranch_vccz .LBB103_3799
; %bb.3790:
	s_wait_xcnt 0x0
	v_cvt_f32_ubyte0_e32 v6, v1
	s_mov_b32 s3, exec_lo
                                        ; implicit-def: $vgpr3
	s_delay_alu instid0(VALU_DEP_1)
	v_cmpx_gt_u32_e32 0x43f00000, v6
	s_xor_b32 s3, exec_lo, s3
	s_cbranch_execz .LBB103_3796
; %bb.3791:
	s_mov_b32 s6, exec_lo
                                        ; implicit-def: $vgpr3
	v_cmpx_lt_u32_e32 0x3c7fffff, v6
	s_xor_b32 s6, exec_lo, s6
; %bb.3792:
	v_bfe_u32 v3, v6, 20, 1
	s_delay_alu instid0(VALU_DEP_1) | instskip(NEXT) | instid1(VALU_DEP_1)
	v_add3_u32 v3, v6, v3, 0x407ffff
	v_and_b32_e32 v6, 0xff00000, v3
	v_lshrrev_b32_e32 v3, 20, v3
	s_delay_alu instid0(VALU_DEP_2) | instskip(NEXT) | instid1(VALU_DEP_2)
	v_cmp_ne_u32_e32 vcc_lo, 0x7f00000, v6
                                        ; implicit-def: $vgpr6
	v_cndmask_b32_e32 v3, 0x7e, v3, vcc_lo
; %bb.3793:
	s_and_not1_saveexec_b32 s6, s6
; %bb.3794:
	v_add_f32_e32 v3, 0x46800000, v6
; %bb.3795:
	s_or_b32 exec_lo, exec_lo, s6
                                        ; implicit-def: $vgpr6
.LBB103_3796:
	s_and_not1_saveexec_b32 s3, s3
; %bb.3797:
	v_mov_b32_e32 v3, 0x7f
	v_cmp_lt_u32_e32 vcc_lo, 0x7f800000, v6
	s_delay_alu instid0(VALU_DEP_2)
	v_cndmask_b32_e32 v3, 0x7e, v3, vcc_lo
; %bb.3798:
	s_or_b32 exec_lo, exec_lo, s3
	global_store_b8 v[4:5], v3, off
.LBB103_3799:
	s_mov_b32 s3, 0
.LBB103_3800:
	s_delay_alu instid0(SALU_CYCLE_1)
	s_and_not1_b32 vcc_lo, exec_lo, s3
	s_cbranch_vccnz .LBB103_3810
; %bb.3801:
	s_wait_xcnt 0x0
	v_cvt_f32_ubyte0_e32 v6, v1
	s_mov_b32 s3, exec_lo
                                        ; implicit-def: $vgpr3
	s_delay_alu instid0(VALU_DEP_1)
	v_cmpx_gt_u32_e32 0x47800000, v6
	s_xor_b32 s3, exec_lo, s3
	s_cbranch_execz .LBB103_3807
; %bb.3802:
	s_mov_b32 s6, exec_lo
                                        ; implicit-def: $vgpr3
	v_cmpx_lt_u32_e32 0x387fffff, v6
	s_xor_b32 s6, exec_lo, s6
; %bb.3803:
	v_bfe_u32 v3, v6, 21, 1
	s_delay_alu instid0(VALU_DEP_1) | instskip(NEXT) | instid1(VALU_DEP_1)
	v_add3_u32 v3, v6, v3, 0x80fffff
                                        ; implicit-def: $vgpr6
	v_lshrrev_b32_e32 v3, 21, v3
; %bb.3804:
	s_and_not1_saveexec_b32 s6, s6
; %bb.3805:
	v_add_f32_e32 v3, 0x43000000, v6
; %bb.3806:
	s_or_b32 exec_lo, exec_lo, s6
                                        ; implicit-def: $vgpr6
.LBB103_3807:
	s_and_not1_saveexec_b32 s3, s3
; %bb.3808:
	v_mov_b32_e32 v3, 0x7f
	v_cmp_lt_u32_e32 vcc_lo, 0x7f800000, v6
	s_delay_alu instid0(VALU_DEP_2)
	v_cndmask_b32_e32 v3, 0x7c, v3, vcc_lo
; %bb.3809:
	s_or_b32 exec_lo, exec_lo, s3
	global_store_b8 v[4:5], v3, off
.LBB103_3810:
	s_mov_b32 s3, 0
	s_mov_b32 s6, -1
.LBB103_3811:
	s_and_not1_b32 vcc_lo, exec_lo, s3
	s_mov_b32 s3, 0
	s_cbranch_vccnz .LBB103_3818
; %bb.3812:
	s_cmp_gt_i32 s2, 14
	s_mov_b32 s3, -1
	s_cbranch_scc0 .LBB103_3816
; %bb.3813:
	s_cmp_eq_u32 s2, 15
	s_mov_b32 s0, -1
	s_cbranch_scc0 .LBB103_3815
; %bb.3814:
	s_wait_xcnt 0x0
	v_cvt_f32_ubyte0_e32 v3, v1
	s_mov_b32 s0, 0
	s_mov_b32 s6, -1
	s_delay_alu instid0(VALU_DEP_1) | instskip(NEXT) | instid1(VALU_DEP_1)
	v_bfe_u32 v6, v3, 16, 1
	v_add3_u32 v3, v3, v6, 0x7fff
	global_store_d16_hi_b16 v[4:5], v3, off
.LBB103_3815:
	s_mov_b32 s3, 0
.LBB103_3816:
	s_delay_alu instid0(SALU_CYCLE_1)
	s_and_b32 vcc_lo, exec_lo, s3
	s_mov_b32 s3, 0
	s_cbranch_vccz .LBB103_3818
; %bb.3817:
	s_cmp_lg_u32 s2, 11
	s_mov_b32 s3, -1
	s_cselect_b32 s0, -1, 0
.LBB103_3818:
	s_delay_alu instid0(SALU_CYCLE_1)
	s_and_b32 vcc_lo, exec_lo, s0
	s_cbranch_vccnz .LBB103_4112
; %bb.3819:
	s_and_not1_b32 vcc_lo, exec_lo, s3
	s_cbranch_vccnz .LBB103_3821
.LBB103_3820:
	v_cmp_ne_u16_e32 vcc_lo, 0, v1
	s_mov_b32 s6, -1
	s_wait_xcnt 0x0
	v_cndmask_b32_e64 v3, 0, 1, vcc_lo
	global_store_b8 v[4:5], v3, off
.LBB103_3821:
	s_mov_b32 s0, 0
	s_branch .LBB103_3823
.LBB103_3822:
	s_mov_b32 s0, -1
	s_mov_b32 s6, 0
.LBB103_3823:
	s_and_b32 vcc_lo, exec_lo, s0
	s_cbranch_vccz .LBB103_3862
; %bb.3824:
	s_cmp_lt_i32 s2, 5
	s_mov_b32 s0, -1
	s_cbranch_scc1 .LBB103_3845
; %bb.3825:
	s_cmp_lt_i32 s2, 8
	s_cbranch_scc1 .LBB103_3835
; %bb.3826:
	s_cmp_lt_i32 s2, 9
	s_cbranch_scc1 .LBB103_3832
; %bb.3827:
	s_cmp_gt_i32 s2, 9
	s_cbranch_scc0 .LBB103_3829
; %bb.3828:
	s_wait_xcnt 0x0
	v_and_b32_e32 v3, 0xffff, v1
	v_mov_b32_e32 v8, 0
	s_mov_b32 s0, 0
	s_delay_alu instid0(VALU_DEP_2) | instskip(NEXT) | instid1(VALU_DEP_2)
	v_cvt_f64_u32_e32 v[6:7], v3
	v_mov_b32_e32 v9, v8
	global_store_b128 v[4:5], v[6:9], off
.LBB103_3829:
	s_and_not1_b32 vcc_lo, exec_lo, s0
	s_cbranch_vccnz .LBB103_3831
; %bb.3830:
	s_wait_xcnt 0x0
	v_cvt_f32_ubyte0_e32 v6, v1
	v_mov_b32_e32 v7, 0
	global_store_b64 v[4:5], v[6:7], off
.LBB103_3831:
	s_mov_b32 s0, 0
.LBB103_3832:
	s_delay_alu instid0(SALU_CYCLE_1)
	s_and_not1_b32 vcc_lo, exec_lo, s0
	s_cbranch_vccnz .LBB103_3834
; %bb.3833:
	s_wait_xcnt 0x0
	v_cvt_f16_u16_e32 v3, v1
	s_delay_alu instid0(VALU_DEP_1)
	v_and_b32_e32 v3, 0xffff, v3
	global_store_b32 v[4:5], v3, off
.LBB103_3834:
	s_mov_b32 s0, 0
.LBB103_3835:
	s_delay_alu instid0(SALU_CYCLE_1)
	s_and_not1_b32 vcc_lo, exec_lo, s0
	s_cbranch_vccnz .LBB103_3844
; %bb.3836:
	s_cmp_lt_i32 s2, 6
	s_mov_b32 s0, -1
	s_cbranch_scc1 .LBB103_3842
; %bb.3837:
	s_cmp_gt_i32 s2, 6
	s_cbranch_scc0 .LBB103_3839
; %bb.3838:
	s_wait_xcnt 0x0
	v_and_b32_e32 v3, 0xffff, v1
	s_mov_b32 s0, 0
	s_delay_alu instid0(VALU_DEP_1)
	v_cvt_f64_u32_e32 v[6:7], v3
	global_store_b64 v[4:5], v[6:7], off
.LBB103_3839:
	s_and_not1_b32 vcc_lo, exec_lo, s0
	s_cbranch_vccnz .LBB103_3841
; %bb.3840:
	s_wait_xcnt 0x0
	v_cvt_f32_ubyte0_e32 v3, v1
	global_store_b32 v[4:5], v3, off
.LBB103_3841:
	s_mov_b32 s0, 0
.LBB103_3842:
	s_delay_alu instid0(SALU_CYCLE_1)
	s_and_not1_b32 vcc_lo, exec_lo, s0
	s_cbranch_vccnz .LBB103_3844
; %bb.3843:
	s_wait_xcnt 0x0
	v_cvt_f16_u16_e32 v3, v1
	global_store_b16 v[4:5], v3, off
.LBB103_3844:
	s_mov_b32 s0, 0
.LBB103_3845:
	s_delay_alu instid0(SALU_CYCLE_1)
	s_and_not1_b32 vcc_lo, exec_lo, s0
	s_cbranch_vccnz .LBB103_3861
; %bb.3846:
	s_cmp_lt_i32 s2, 2
	s_mov_b32 s0, -1
	s_cbranch_scc1 .LBB103_3856
; %bb.3847:
	s_cmp_lt_i32 s2, 3
	s_cbranch_scc1 .LBB103_3853
; %bb.3848:
	s_cmp_gt_i32 s2, 3
	s_cbranch_scc0 .LBB103_3850
; %bb.3849:
	s_mov_b32 s0, 0
	s_wait_xcnt 0x0
	v_and_b32_e32 v6, 0xffff, v1
	v_mov_b32_e32 v7, s0
	global_store_b64 v[4:5], v[6:7], off
.LBB103_3850:
	s_and_not1_b32 vcc_lo, exec_lo, s0
	s_cbranch_vccnz .LBB103_3852
; %bb.3851:
	s_wait_xcnt 0x0
	v_and_b32_e32 v3, 0xffff, v1
	global_store_b32 v[4:5], v3, off
.LBB103_3852:
	s_mov_b32 s0, 0
.LBB103_3853:
	s_delay_alu instid0(SALU_CYCLE_1)
	s_and_not1_b32 vcc_lo, exec_lo, s0
	s_cbranch_vccnz .LBB103_3855
; %bb.3854:
	global_store_b16 v[4:5], v1, off
.LBB103_3855:
	s_mov_b32 s0, 0
.LBB103_3856:
	s_delay_alu instid0(SALU_CYCLE_1)
	s_and_not1_b32 vcc_lo, exec_lo, s0
	s_cbranch_vccnz .LBB103_3861
; %bb.3857:
	s_cmp_gt_i32 s2, 0
	s_mov_b32 s0, -1
	s_cbranch_scc0 .LBB103_3859
; %bb.3858:
	s_mov_b32 s0, 0
	global_store_b8 v[4:5], v1, off
.LBB103_3859:
	s_and_not1_b32 vcc_lo, exec_lo, s0
	s_cbranch_vccnz .LBB103_3861
; %bb.3860:
	global_store_b8 v[4:5], v1, off
.LBB103_3861:
	s_mov_b32 s6, -1
.LBB103_3862:
	s_delay_alu instid0(SALU_CYCLE_1)
	s_and_not1_b32 vcc_lo, exec_lo, s6
	s_cbranch_vccnz .LBB103_4058
; %bb.3863:
	s_wait_xcnt 0x0
	v_and_b32_e32 v1, 0xff, v30
	v_and_b32_e32 v4, 0xff, v28
	v_mov_b32_e32 v3, 0
	s_cmp_lt_i32 s2, 11
	s_delay_alu instid0(VALU_DEP_2) | instskip(SKIP_1) | instid1(VALU_DEP_3)
	v_max_u16 v1, v4, v1
	v_and_b32_e32 v4, 0xff, v24
	v_add_nc_u64_e32 v[2:3], s[4:5], v[2:3]
	s_delay_alu instid0(VALU_DEP_2)
	v_min_u16 v1, v1, v4
	s_cbranch_scc1 .LBB103_3941
; %bb.3864:
	s_mov_b32 s7, -1
	s_mov_b32 s3, 0
	s_cmp_gt_i32 s2, 25
	s_mov_b32 s6, 0
	s_mov_b32 s0, 0
	s_cbranch_scc0 .LBB103_3897
; %bb.3865:
	s_cmp_gt_i32 s2, 28
	s_cbranch_scc0 .LBB103_3880
; %bb.3866:
	s_cmp_gt_i32 s2, 43
	;; [unrolled: 3-line block ×3, first 2 shown]
	s_cbranch_scc0 .LBB103_3870
; %bb.3868:
	s_mov_b32 s0, -1
	s_mov_b32 s7, 0
	s_cmp_eq_u32 s2, 46
	s_cbranch_scc0 .LBB103_3870
; %bb.3869:
	v_cvt_f32_ubyte0_e32 v4, v1
	s_mov_b32 s0, 0
	s_mov_b32 s6, -1
	s_delay_alu instid0(VALU_DEP_1) | instskip(NEXT) | instid1(VALU_DEP_1)
	v_bfe_u32 v5, v4, 16, 1
	v_add3_u32 v4, v4, v5, 0x7fff
	s_delay_alu instid0(VALU_DEP_1)
	v_lshrrev_b32_e32 v4, 16, v4
	global_store_b32 v[2:3], v4, off
.LBB103_3870:
	s_and_b32 vcc_lo, exec_lo, s7
	s_cbranch_vccz .LBB103_3875
; %bb.3871:
	s_cmp_eq_u32 s2, 44
	s_mov_b32 s0, -1
	s_cbranch_scc0 .LBB103_3875
; %bb.3872:
	v_cvt_f32_ubyte0_e32 v6, v1
	s_mov_b32 s6, exec_lo
	s_wait_xcnt 0x0
	s_delay_alu instid0(VALU_DEP_1) | instskip(NEXT) | instid1(VALU_DEP_1)
	v_dual_mov_b32 v5, 0xff :: v_dual_lshrrev_b32 v4, 23, v6
	v_cmpx_ne_u32_e32 0xff, v4
; %bb.3873:
	v_and_b32_e32 v5, 0x400000, v6
	v_and_or_b32 v6, 0x3fffff, v6, v4
	s_delay_alu instid0(VALU_DEP_2) | instskip(NEXT) | instid1(VALU_DEP_2)
	v_cmp_ne_u32_e32 vcc_lo, 0, v5
	v_cmp_ne_u32_e64 s0, 0, v6
	s_and_b32 s0, vcc_lo, s0
	s_delay_alu instid0(SALU_CYCLE_1) | instskip(NEXT) | instid1(VALU_DEP_1)
	v_cndmask_b32_e64 v5, 0, 1, s0
	v_add_nc_u32_e32 v5, v4, v5
; %bb.3874:
	s_or_b32 exec_lo, exec_lo, s6
	s_mov_b32 s0, 0
	s_mov_b32 s6, -1
	global_store_b8 v[2:3], v5, off
.LBB103_3875:
	s_mov_b32 s7, 0
.LBB103_3876:
	s_delay_alu instid0(SALU_CYCLE_1)
	s_and_b32 vcc_lo, exec_lo, s7
	s_cbranch_vccz .LBB103_3879
; %bb.3877:
	s_cmp_eq_u32 s2, 29
	s_mov_b32 s0, -1
	s_cbranch_scc0 .LBB103_3879
; %bb.3878:
	s_mov_b32 s0, 0
	s_wait_xcnt 0x0
	v_and_b32_e32 v4, 0xffff, v1
	v_mov_b32_e32 v5, s0
	s_mov_b32 s6, -1
	global_store_b64 v[2:3], v[4:5], off
.LBB103_3879:
	s_mov_b32 s7, 0
.LBB103_3880:
	s_delay_alu instid0(SALU_CYCLE_1)
	s_and_b32 vcc_lo, exec_lo, s7
	s_cbranch_vccz .LBB103_3896
; %bb.3881:
	s_cmp_lt_i32 s2, 27
	s_mov_b32 s6, -1
	s_cbranch_scc1 .LBB103_3887
; %bb.3882:
	s_cmp_gt_i32 s2, 27
	s_cbranch_scc0 .LBB103_3884
; %bb.3883:
	s_wait_xcnt 0x0
	v_and_b32_e32 v4, 0xffff, v1
	s_mov_b32 s6, 0
	global_store_b32 v[2:3], v4, off
.LBB103_3884:
	s_and_not1_b32 vcc_lo, exec_lo, s6
	s_cbranch_vccnz .LBB103_3886
; %bb.3885:
	global_store_b16 v[2:3], v1, off
.LBB103_3886:
	s_mov_b32 s6, 0
.LBB103_3887:
	s_delay_alu instid0(SALU_CYCLE_1)
	s_and_not1_b32 vcc_lo, exec_lo, s6
	s_cbranch_vccnz .LBB103_3895
; %bb.3888:
	s_wait_xcnt 0x0
	v_cvt_f32_ubyte0_e32 v5, v1
	v_mov_b32_e32 v6, 0x80
	s_mov_b32 s6, exec_lo
	s_delay_alu instid0(VALU_DEP_2)
	v_cmpx_gt_u32_e32 0x43800000, v5
	s_cbranch_execz .LBB103_3894
; %bb.3889:
	s_mov_b32 s7, 0
	s_mov_b32 s8, exec_lo
                                        ; implicit-def: $vgpr4
	v_cmpx_lt_u32_e32 0x3bffffff, v5
	s_xor_b32 s8, exec_lo, s8
	s_cbranch_execz .LBB103_4115
; %bb.3890:
	v_bfe_u32 v4, v5, 20, 1
	s_mov_b32 s7, exec_lo
	s_delay_alu instid0(VALU_DEP_1) | instskip(NEXT) | instid1(VALU_DEP_1)
	v_add3_u32 v4, v5, v4, 0x487ffff
                                        ; implicit-def: $vgpr5
	v_lshrrev_b32_e32 v4, 20, v4
	s_and_not1_saveexec_b32 s8, s8
	s_cbranch_execnz .LBB103_4116
.LBB103_3891:
	s_or_b32 exec_lo, exec_lo, s8
	v_mov_b32_e32 v6, 0
	s_and_saveexec_b32 s8, s7
.LBB103_3892:
	v_mov_b32_e32 v6, v4
.LBB103_3893:
	s_or_b32 exec_lo, exec_lo, s8
.LBB103_3894:
	s_delay_alu instid0(SALU_CYCLE_1)
	s_or_b32 exec_lo, exec_lo, s6
	global_store_b8 v[2:3], v6, off
.LBB103_3895:
	s_mov_b32 s6, -1
.LBB103_3896:
	s_mov_b32 s7, 0
.LBB103_3897:
	s_delay_alu instid0(SALU_CYCLE_1)
	s_and_b32 vcc_lo, exec_lo, s7
	s_cbranch_vccz .LBB103_3937
; %bb.3898:
	s_cmp_gt_i32 s2, 22
	s_mov_b32 s3, -1
	s_cbranch_scc0 .LBB103_3930
; %bb.3899:
	s_cmp_lt_i32 s2, 24
	s_cbranch_scc1 .LBB103_3919
; %bb.3900:
	s_cmp_gt_i32 s2, 24
	s_cbranch_scc0 .LBB103_3908
; %bb.3901:
	s_wait_xcnt 0x0
	v_cvt_f32_ubyte0_e32 v5, v1
	v_mov_b32_e32 v6, 0x80
	s_mov_b32 s3, exec_lo
	s_delay_alu instid0(VALU_DEP_2)
	v_cmpx_gt_u32_e32 0x47800000, v5
	s_cbranch_execz .LBB103_3907
; %bb.3902:
	s_mov_b32 s6, 0
	s_mov_b32 s7, exec_lo
                                        ; implicit-def: $vgpr4
	v_cmpx_lt_u32_e32 0x37ffffff, v5
	s_xor_b32 s7, exec_lo, s7
	s_cbranch_execz .LBB103_4118
; %bb.3903:
	v_bfe_u32 v4, v5, 21, 1
	s_mov_b32 s6, exec_lo
	s_delay_alu instid0(VALU_DEP_1) | instskip(NEXT) | instid1(VALU_DEP_1)
	v_add3_u32 v4, v5, v4, 0x88fffff
                                        ; implicit-def: $vgpr5
	v_lshrrev_b32_e32 v4, 21, v4
	s_and_not1_saveexec_b32 s7, s7
	s_cbranch_execnz .LBB103_4119
.LBB103_3904:
	s_or_b32 exec_lo, exec_lo, s7
	v_mov_b32_e32 v6, 0
	s_and_saveexec_b32 s7, s6
.LBB103_3905:
	v_mov_b32_e32 v6, v4
.LBB103_3906:
	s_or_b32 exec_lo, exec_lo, s7
.LBB103_3907:
	s_delay_alu instid0(SALU_CYCLE_1)
	s_or_b32 exec_lo, exec_lo, s3
	s_mov_b32 s3, 0
	global_store_b8 v[2:3], v6, off
.LBB103_3908:
	s_and_b32 vcc_lo, exec_lo, s3
	s_cbranch_vccz .LBB103_3918
; %bb.3909:
	s_wait_xcnt 0x0
	v_cvt_f32_ubyte0_e32 v5, v1
	s_mov_b32 s3, exec_lo
                                        ; implicit-def: $vgpr4
	s_delay_alu instid0(VALU_DEP_1)
	v_cmpx_gt_u32_e32 0x43f00000, v5
	s_xor_b32 s3, exec_lo, s3
	s_cbranch_execz .LBB103_3915
; %bb.3910:
	s_mov_b32 s6, exec_lo
                                        ; implicit-def: $vgpr4
	v_cmpx_lt_u32_e32 0x3c7fffff, v5
	s_xor_b32 s6, exec_lo, s6
; %bb.3911:
	v_bfe_u32 v4, v5, 20, 1
	s_delay_alu instid0(VALU_DEP_1) | instskip(NEXT) | instid1(VALU_DEP_1)
	v_add3_u32 v4, v5, v4, 0x407ffff
	v_and_b32_e32 v5, 0xff00000, v4
	v_lshrrev_b32_e32 v4, 20, v4
	s_delay_alu instid0(VALU_DEP_2) | instskip(NEXT) | instid1(VALU_DEP_2)
	v_cmp_ne_u32_e32 vcc_lo, 0x7f00000, v5
                                        ; implicit-def: $vgpr5
	v_cndmask_b32_e32 v4, 0x7e, v4, vcc_lo
; %bb.3912:
	s_and_not1_saveexec_b32 s6, s6
; %bb.3913:
	v_add_f32_e32 v4, 0x46800000, v5
; %bb.3914:
	s_or_b32 exec_lo, exec_lo, s6
                                        ; implicit-def: $vgpr5
.LBB103_3915:
	s_and_not1_saveexec_b32 s3, s3
; %bb.3916:
	v_mov_b32_e32 v4, 0x7f
	v_cmp_lt_u32_e32 vcc_lo, 0x7f800000, v5
	s_delay_alu instid0(VALU_DEP_2)
	v_cndmask_b32_e32 v4, 0x7e, v4, vcc_lo
; %bb.3917:
	s_or_b32 exec_lo, exec_lo, s3
	global_store_b8 v[2:3], v4, off
.LBB103_3918:
	s_mov_b32 s3, 0
.LBB103_3919:
	s_delay_alu instid0(SALU_CYCLE_1)
	s_and_not1_b32 vcc_lo, exec_lo, s3
	s_cbranch_vccnz .LBB103_3929
; %bb.3920:
	s_wait_xcnt 0x0
	v_cvt_f32_ubyte0_e32 v5, v1
	s_mov_b32 s3, exec_lo
                                        ; implicit-def: $vgpr4
	s_delay_alu instid0(VALU_DEP_1)
	v_cmpx_gt_u32_e32 0x47800000, v5
	s_xor_b32 s3, exec_lo, s3
	s_cbranch_execz .LBB103_3926
; %bb.3921:
	s_mov_b32 s6, exec_lo
                                        ; implicit-def: $vgpr4
	v_cmpx_lt_u32_e32 0x387fffff, v5
	s_xor_b32 s6, exec_lo, s6
; %bb.3922:
	v_bfe_u32 v4, v5, 21, 1
	s_delay_alu instid0(VALU_DEP_1) | instskip(NEXT) | instid1(VALU_DEP_1)
	v_add3_u32 v4, v5, v4, 0x80fffff
                                        ; implicit-def: $vgpr5
	v_lshrrev_b32_e32 v4, 21, v4
; %bb.3923:
	s_and_not1_saveexec_b32 s6, s6
; %bb.3924:
	v_add_f32_e32 v4, 0x43000000, v5
; %bb.3925:
	s_or_b32 exec_lo, exec_lo, s6
                                        ; implicit-def: $vgpr5
.LBB103_3926:
	s_and_not1_saveexec_b32 s3, s3
; %bb.3927:
	v_mov_b32_e32 v4, 0x7f
	v_cmp_lt_u32_e32 vcc_lo, 0x7f800000, v5
	s_delay_alu instid0(VALU_DEP_2)
	v_cndmask_b32_e32 v4, 0x7c, v4, vcc_lo
; %bb.3928:
	s_or_b32 exec_lo, exec_lo, s3
	global_store_b8 v[2:3], v4, off
.LBB103_3929:
	s_mov_b32 s3, 0
	s_mov_b32 s6, -1
.LBB103_3930:
	s_and_not1_b32 vcc_lo, exec_lo, s3
	s_mov_b32 s3, 0
	s_cbranch_vccnz .LBB103_3937
; %bb.3931:
	s_cmp_gt_i32 s2, 14
	s_mov_b32 s3, -1
	s_cbranch_scc0 .LBB103_3935
; %bb.3932:
	s_cmp_eq_u32 s2, 15
	s_mov_b32 s0, -1
	s_cbranch_scc0 .LBB103_3934
; %bb.3933:
	s_wait_xcnt 0x0
	v_cvt_f32_ubyte0_e32 v4, v1
	s_mov_b32 s0, 0
	s_mov_b32 s6, -1
	s_delay_alu instid0(VALU_DEP_1) | instskip(NEXT) | instid1(VALU_DEP_1)
	v_bfe_u32 v5, v4, 16, 1
	v_add3_u32 v4, v4, v5, 0x7fff
	global_store_d16_hi_b16 v[2:3], v4, off
.LBB103_3934:
	s_mov_b32 s3, 0
.LBB103_3935:
	s_delay_alu instid0(SALU_CYCLE_1)
	s_and_b32 vcc_lo, exec_lo, s3
	s_mov_b32 s3, 0
	s_cbranch_vccz .LBB103_3937
; %bb.3936:
	s_cmp_lg_u32 s2, 11
	s_mov_b32 s3, -1
	s_cselect_b32 s0, -1, 0
.LBB103_3937:
	s_delay_alu instid0(SALU_CYCLE_1)
	s_and_b32 vcc_lo, exec_lo, s0
	s_cbranch_vccnz .LBB103_4117
; %bb.3938:
	s_and_not1_b32 vcc_lo, exec_lo, s3
	s_cbranch_vccnz .LBB103_3940
.LBB103_3939:
	v_cmp_ne_u16_e32 vcc_lo, 0, v1
	s_mov_b32 s6, -1
	s_wait_xcnt 0x0
	v_cndmask_b32_e64 v4, 0, 1, vcc_lo
	global_store_b8 v[2:3], v4, off
.LBB103_3940:
	s_mov_b32 s0, 0
	s_branch .LBB103_3942
.LBB103_3941:
	s_mov_b32 s0, -1
	s_mov_b32 s6, 0
.LBB103_3942:
	s_and_b32 vcc_lo, exec_lo, s0
	s_cbranch_vccz .LBB103_3981
; %bb.3943:
	s_cmp_lt_i32 s2, 5
	s_mov_b32 s0, -1
	s_cbranch_scc1 .LBB103_3964
; %bb.3944:
	s_cmp_lt_i32 s2, 8
	s_cbranch_scc1 .LBB103_3954
; %bb.3945:
	s_cmp_lt_i32 s2, 9
	s_cbranch_scc1 .LBB103_3951
; %bb.3946:
	s_cmp_gt_i32 s2, 9
	s_cbranch_scc0 .LBB103_3948
; %bb.3947:
	s_wait_xcnt 0x0
	v_and_b32_e32 v4, 0xffff, v1
	v_mov_b32_e32 v6, 0
	s_mov_b32 s0, 0
	s_delay_alu instid0(VALU_DEP_2) | instskip(NEXT) | instid1(VALU_DEP_2)
	v_cvt_f64_u32_e32 v[4:5], v4
	v_mov_b32_e32 v7, v6
	global_store_b128 v[2:3], v[4:7], off
.LBB103_3948:
	s_and_not1_b32 vcc_lo, exec_lo, s0
	s_cbranch_vccnz .LBB103_3950
; %bb.3949:
	s_wait_xcnt 0x0
	v_cvt_f32_ubyte0_e32 v4, v1
	v_mov_b32_e32 v5, 0
	global_store_b64 v[2:3], v[4:5], off
.LBB103_3950:
	s_mov_b32 s0, 0
.LBB103_3951:
	s_delay_alu instid0(SALU_CYCLE_1)
	s_and_not1_b32 vcc_lo, exec_lo, s0
	s_cbranch_vccnz .LBB103_3953
; %bb.3952:
	s_wait_xcnt 0x0
	v_cvt_f16_u16_e32 v4, v1
	s_delay_alu instid0(VALU_DEP_1)
	v_and_b32_e32 v4, 0xffff, v4
	global_store_b32 v[2:3], v4, off
.LBB103_3953:
	s_mov_b32 s0, 0
.LBB103_3954:
	s_delay_alu instid0(SALU_CYCLE_1)
	s_and_not1_b32 vcc_lo, exec_lo, s0
	s_cbranch_vccnz .LBB103_3963
; %bb.3955:
	s_cmp_lt_i32 s2, 6
	s_mov_b32 s0, -1
	s_cbranch_scc1 .LBB103_3961
; %bb.3956:
	s_cmp_gt_i32 s2, 6
	s_cbranch_scc0 .LBB103_3958
; %bb.3957:
	s_wait_xcnt 0x0
	v_and_b32_e32 v4, 0xffff, v1
	s_mov_b32 s0, 0
	s_delay_alu instid0(VALU_DEP_1)
	v_cvt_f64_u32_e32 v[4:5], v4
	global_store_b64 v[2:3], v[4:5], off
.LBB103_3958:
	s_and_not1_b32 vcc_lo, exec_lo, s0
	s_cbranch_vccnz .LBB103_3960
; %bb.3959:
	s_wait_xcnt 0x0
	v_cvt_f32_ubyte0_e32 v4, v1
	global_store_b32 v[2:3], v4, off
.LBB103_3960:
	s_mov_b32 s0, 0
.LBB103_3961:
	s_delay_alu instid0(SALU_CYCLE_1)
	s_and_not1_b32 vcc_lo, exec_lo, s0
	s_cbranch_vccnz .LBB103_3963
; %bb.3962:
	s_wait_xcnt 0x0
	v_cvt_f16_u16_e32 v4, v1
	global_store_b16 v[2:3], v4, off
.LBB103_3963:
	s_mov_b32 s0, 0
.LBB103_3964:
	s_delay_alu instid0(SALU_CYCLE_1)
	s_and_not1_b32 vcc_lo, exec_lo, s0
	s_cbranch_vccnz .LBB103_3980
; %bb.3965:
	s_cmp_lt_i32 s2, 2
	s_mov_b32 s0, -1
	s_cbranch_scc1 .LBB103_3975
; %bb.3966:
	s_cmp_lt_i32 s2, 3
	s_cbranch_scc1 .LBB103_3972
; %bb.3967:
	s_cmp_gt_i32 s2, 3
	s_cbranch_scc0 .LBB103_3969
; %bb.3968:
	s_mov_b32 s0, 0
	s_wait_xcnt 0x0
	v_and_b32_e32 v4, 0xffff, v1
	v_mov_b32_e32 v5, s0
	global_store_b64 v[2:3], v[4:5], off
.LBB103_3969:
	s_and_not1_b32 vcc_lo, exec_lo, s0
	s_cbranch_vccnz .LBB103_3971
; %bb.3970:
	s_wait_xcnt 0x0
	v_and_b32_e32 v4, 0xffff, v1
	global_store_b32 v[2:3], v4, off
.LBB103_3971:
	s_mov_b32 s0, 0
.LBB103_3972:
	s_delay_alu instid0(SALU_CYCLE_1)
	s_and_not1_b32 vcc_lo, exec_lo, s0
	s_cbranch_vccnz .LBB103_3974
; %bb.3973:
	global_store_b16 v[2:3], v1, off
.LBB103_3974:
	s_mov_b32 s0, 0
.LBB103_3975:
	s_delay_alu instid0(SALU_CYCLE_1)
	s_and_not1_b32 vcc_lo, exec_lo, s0
	s_cbranch_vccnz .LBB103_3980
; %bb.3976:
	s_cmp_gt_i32 s2, 0
	s_mov_b32 s0, -1
	s_cbranch_scc0 .LBB103_3978
; %bb.3977:
	s_mov_b32 s0, 0
	global_store_b8 v[2:3], v1, off
.LBB103_3978:
	s_and_not1_b32 vcc_lo, exec_lo, s0
	s_cbranch_vccnz .LBB103_3980
; %bb.3979:
	global_store_b8 v[2:3], v1, off
.LBB103_3980:
	s_mov_b32 s6, -1
.LBB103_3981:
	s_delay_alu instid0(SALU_CYCLE_1)
	s_and_not1_b32 vcc_lo, exec_lo, s6
	s_cbranch_vccnz .LBB103_4058
; %bb.3982:
	s_wait_xcnt 0x0
	v_and_b32_e32 v2, 0xff, v14
	v_and_b32_e32 v3, 0xff, v20
	v_mov_b32_e32 v1, 0
	v_and_b32_e32 v5, 0xff, v10
	s_cmp_lt_i32 s2, 11
	s_delay_alu instid0(VALU_DEP_3) | instskip(NEXT) | instid1(VALU_DEP_3)
	v_max_u16 v4, v3, v2
	v_add_nc_u64_e32 v[2:3], s[4:5], v[0:1]
	s_delay_alu instid0(VALU_DEP_2)
	v_min_u16 v1, v4, v5
	s_cbranch_scc1 .LBB103_4103
; %bb.3983:
	s_mov_b32 s4, -1
	s_mov_b32 s3, 0
	s_cmp_gt_i32 s2, 25
	s_mov_b32 s0, 0
	s_cbranch_scc0 .LBB103_4016
; %bb.3984:
	s_cmp_gt_i32 s2, 28
	s_cbranch_scc0 .LBB103_4000
; %bb.3985:
	s_cmp_gt_i32 s2, 43
	;; [unrolled: 3-line block ×3, first 2 shown]
	s_cbranch_scc0 .LBB103_3990
; %bb.3987:
	s_cmp_eq_u32 s2, 46
	s_mov_b32 s0, -1
	s_cbranch_scc0 .LBB103_3989
; %bb.3988:
	v_cvt_f32_ubyte0_e32 v0, v1
	s_mov_b32 s0, 0
	s_delay_alu instid0(VALU_DEP_1) | instskip(NEXT) | instid1(VALU_DEP_1)
	v_bfe_u32 v4, v0, 16, 1
	v_add3_u32 v0, v0, v4, 0x7fff
	s_delay_alu instid0(VALU_DEP_1)
	v_lshrrev_b32_e32 v0, 16, v0
	global_store_b32 v[2:3], v0, off
.LBB103_3989:
	s_mov_b32 s4, 0
.LBB103_3990:
	s_delay_alu instid0(SALU_CYCLE_1)
	s_and_b32 vcc_lo, exec_lo, s4
	s_cbranch_vccz .LBB103_3995
; %bb.3991:
	s_cmp_eq_u32 s2, 44
	s_mov_b32 s0, -1
	s_cbranch_scc0 .LBB103_3995
; %bb.3992:
	v_cvt_f32_ubyte0_e32 v5, v1
	v_mov_b32_e32 v4, 0xff
	s_mov_b32 s4, exec_lo
	s_wait_xcnt 0x0
	s_delay_alu instid0(VALU_DEP_2) | instskip(NEXT) | instid1(VALU_DEP_1)
	v_lshrrev_b32_e32 v0, 23, v5
	v_cmpx_ne_u32_e32 0xff, v0
; %bb.3993:
	v_and_b32_e32 v4, 0x400000, v5
	v_and_or_b32 v5, 0x3fffff, v5, v0
	s_delay_alu instid0(VALU_DEP_2) | instskip(NEXT) | instid1(VALU_DEP_2)
	v_cmp_ne_u32_e32 vcc_lo, 0, v4
	v_cmp_ne_u32_e64 s0, 0, v5
	s_and_b32 s0, vcc_lo, s0
	s_delay_alu instid0(SALU_CYCLE_1) | instskip(NEXT) | instid1(VALU_DEP_1)
	v_cndmask_b32_e64 v4, 0, 1, s0
	v_add_nc_u32_e32 v4, v0, v4
; %bb.3994:
	s_or_b32 exec_lo, exec_lo, s4
	s_mov_b32 s0, 0
	global_store_b8 v[2:3], v4, off
.LBB103_3995:
	s_mov_b32 s4, 0
.LBB103_3996:
	s_delay_alu instid0(SALU_CYCLE_1)
	s_and_b32 vcc_lo, exec_lo, s4
	s_cbranch_vccz .LBB103_3999
; %bb.3997:
	s_cmp_eq_u32 s2, 29
	s_mov_b32 s0, -1
	s_cbranch_scc0 .LBB103_3999
; %bb.3998:
	s_mov_b32 s0, 0
	s_wait_xcnt 0x0
	v_and_b32_e32 v4, 0xffff, v1
	v_mov_b32_e32 v5, s0
	global_store_b64 v[2:3], v[4:5], off
.LBB103_3999:
	s_mov_b32 s4, 0
.LBB103_4000:
	s_delay_alu instid0(SALU_CYCLE_1)
	s_and_b32 vcc_lo, exec_lo, s4
	s_cbranch_vccz .LBB103_4015
; %bb.4001:
	s_cmp_lt_i32 s2, 27
	s_mov_b32 s4, -1
	s_cbranch_scc1 .LBB103_4007
; %bb.4002:
	s_cmp_gt_i32 s2, 27
	s_cbranch_scc0 .LBB103_4004
; %bb.4003:
	s_wait_xcnt 0x0
	v_and_b32_e32 v0, 0xffff, v1
	s_mov_b32 s4, 0
	global_store_b32 v[2:3], v0, off
.LBB103_4004:
	s_and_not1_b32 vcc_lo, exec_lo, s4
	s_cbranch_vccnz .LBB103_4006
; %bb.4005:
	global_store_b16 v[2:3], v1, off
.LBB103_4006:
	s_mov_b32 s4, 0
.LBB103_4007:
	s_delay_alu instid0(SALU_CYCLE_1)
	s_and_not1_b32 vcc_lo, exec_lo, s4
	s_cbranch_vccnz .LBB103_4015
; %bb.4008:
	s_wait_xcnt 0x0
	v_cvt_f32_ubyte0_e32 v4, v1
	v_mov_b32_e32 v5, 0x80
	s_mov_b32 s4, exec_lo
	s_delay_alu instid0(VALU_DEP_2)
	v_cmpx_gt_u32_e32 0x43800000, v4
	s_cbranch_execz .LBB103_4014
; %bb.4009:
	s_mov_b32 s5, 0
	s_mov_b32 s6, exec_lo
                                        ; implicit-def: $vgpr0
	v_cmpx_lt_u32_e32 0x3bffffff, v4
	s_xor_b32 s6, exec_lo, s6
	s_cbranch_execz .LBB103_4120
; %bb.4010:
	v_bfe_u32 v0, v4, 20, 1
	s_mov_b32 s5, exec_lo
	s_delay_alu instid0(VALU_DEP_1) | instskip(NEXT) | instid1(VALU_DEP_1)
	v_add3_u32 v0, v4, v0, 0x487ffff
                                        ; implicit-def: $vgpr4
	v_lshrrev_b32_e32 v0, 20, v0
	s_and_not1_saveexec_b32 s6, s6
	s_cbranch_execnz .LBB103_4121
.LBB103_4011:
	s_or_b32 exec_lo, exec_lo, s6
	v_mov_b32_e32 v5, 0
	s_and_saveexec_b32 s6, s5
.LBB103_4012:
	v_mov_b32_e32 v5, v0
.LBB103_4013:
	s_or_b32 exec_lo, exec_lo, s6
.LBB103_4014:
	s_delay_alu instid0(SALU_CYCLE_1)
	s_or_b32 exec_lo, exec_lo, s4
	global_store_b8 v[2:3], v5, off
.LBB103_4015:
	s_mov_b32 s4, 0
.LBB103_4016:
	s_delay_alu instid0(SALU_CYCLE_1)
	s_and_b32 vcc_lo, exec_lo, s4
	s_cbranch_vccz .LBB103_4056
; %bb.4017:
	s_cmp_gt_i32 s2, 22
	s_mov_b32 s3, -1
	s_cbranch_scc0 .LBB103_4049
; %bb.4018:
	s_cmp_lt_i32 s2, 24
	s_cbranch_scc1 .LBB103_4038
; %bb.4019:
	s_cmp_gt_i32 s2, 24
	s_cbranch_scc0 .LBB103_4027
; %bb.4020:
	s_wait_xcnt 0x0
	v_cvt_f32_ubyte0_e32 v4, v1
	v_mov_b32_e32 v5, 0x80
	s_mov_b32 s3, exec_lo
	s_delay_alu instid0(VALU_DEP_2)
	v_cmpx_gt_u32_e32 0x47800000, v4
	s_cbranch_execz .LBB103_4026
; %bb.4021:
	s_mov_b32 s4, 0
	s_mov_b32 s5, exec_lo
                                        ; implicit-def: $vgpr0
	v_cmpx_lt_u32_e32 0x37ffffff, v4
	s_xor_b32 s5, exec_lo, s5
	s_cbranch_execz .LBB103_4123
; %bb.4022:
	v_bfe_u32 v0, v4, 21, 1
	s_mov_b32 s4, exec_lo
	s_delay_alu instid0(VALU_DEP_1) | instskip(NEXT) | instid1(VALU_DEP_1)
	v_add3_u32 v0, v4, v0, 0x88fffff
                                        ; implicit-def: $vgpr4
	v_lshrrev_b32_e32 v0, 21, v0
	s_and_not1_saveexec_b32 s5, s5
	s_cbranch_execnz .LBB103_4124
.LBB103_4023:
	s_or_b32 exec_lo, exec_lo, s5
	v_mov_b32_e32 v5, 0
	s_and_saveexec_b32 s5, s4
.LBB103_4024:
	v_mov_b32_e32 v5, v0
.LBB103_4025:
	s_or_b32 exec_lo, exec_lo, s5
.LBB103_4026:
	s_delay_alu instid0(SALU_CYCLE_1)
	s_or_b32 exec_lo, exec_lo, s3
	s_mov_b32 s3, 0
	global_store_b8 v[2:3], v5, off
.LBB103_4027:
	s_and_b32 vcc_lo, exec_lo, s3
	s_cbranch_vccz .LBB103_4037
; %bb.4028:
	s_wait_xcnt 0x0
	v_cvt_f32_ubyte0_e32 v4, v1
	s_mov_b32 s3, exec_lo
                                        ; implicit-def: $vgpr0
	s_delay_alu instid0(VALU_DEP_1)
	v_cmpx_gt_u32_e32 0x43f00000, v4
	s_xor_b32 s3, exec_lo, s3
	s_cbranch_execz .LBB103_4034
; %bb.4029:
	s_mov_b32 s4, exec_lo
                                        ; implicit-def: $vgpr0
	v_cmpx_lt_u32_e32 0x3c7fffff, v4
	s_xor_b32 s4, exec_lo, s4
; %bb.4030:
	v_bfe_u32 v0, v4, 20, 1
	s_delay_alu instid0(VALU_DEP_1) | instskip(NEXT) | instid1(VALU_DEP_1)
	v_add3_u32 v0, v4, v0, 0x407ffff
	v_and_b32_e32 v4, 0xff00000, v0
	v_lshrrev_b32_e32 v0, 20, v0
	s_delay_alu instid0(VALU_DEP_2) | instskip(NEXT) | instid1(VALU_DEP_2)
	v_cmp_ne_u32_e32 vcc_lo, 0x7f00000, v4
                                        ; implicit-def: $vgpr4
	v_cndmask_b32_e32 v0, 0x7e, v0, vcc_lo
; %bb.4031:
	s_and_not1_saveexec_b32 s4, s4
; %bb.4032:
	v_add_f32_e32 v0, 0x46800000, v4
; %bb.4033:
	s_or_b32 exec_lo, exec_lo, s4
                                        ; implicit-def: $vgpr4
.LBB103_4034:
	s_and_not1_saveexec_b32 s3, s3
; %bb.4035:
	v_mov_b32_e32 v0, 0x7f
	v_cmp_lt_u32_e32 vcc_lo, 0x7f800000, v4
	s_delay_alu instid0(VALU_DEP_2)
	v_cndmask_b32_e32 v0, 0x7e, v0, vcc_lo
; %bb.4036:
	s_or_b32 exec_lo, exec_lo, s3
	global_store_b8 v[2:3], v0, off
.LBB103_4037:
	s_mov_b32 s3, 0
.LBB103_4038:
	s_delay_alu instid0(SALU_CYCLE_1)
	s_and_not1_b32 vcc_lo, exec_lo, s3
	s_cbranch_vccnz .LBB103_4048
; %bb.4039:
	s_wait_xcnt 0x0
	v_cvt_f32_ubyte0_e32 v4, v1
	s_mov_b32 s3, exec_lo
                                        ; implicit-def: $vgpr0
	s_delay_alu instid0(VALU_DEP_1)
	v_cmpx_gt_u32_e32 0x47800000, v4
	s_xor_b32 s3, exec_lo, s3
	s_cbranch_execz .LBB103_4045
; %bb.4040:
	s_mov_b32 s4, exec_lo
                                        ; implicit-def: $vgpr0
	v_cmpx_lt_u32_e32 0x387fffff, v4
	s_xor_b32 s4, exec_lo, s4
; %bb.4041:
	v_bfe_u32 v0, v4, 21, 1
	s_delay_alu instid0(VALU_DEP_1) | instskip(NEXT) | instid1(VALU_DEP_1)
	v_add3_u32 v0, v4, v0, 0x80fffff
                                        ; implicit-def: $vgpr4
	v_lshrrev_b32_e32 v0, 21, v0
; %bb.4042:
	s_and_not1_saveexec_b32 s4, s4
; %bb.4043:
	v_add_f32_e32 v0, 0x43000000, v4
; %bb.4044:
	s_or_b32 exec_lo, exec_lo, s4
                                        ; implicit-def: $vgpr4
.LBB103_4045:
	s_and_not1_saveexec_b32 s3, s3
; %bb.4046:
	v_mov_b32_e32 v0, 0x7f
	v_cmp_lt_u32_e32 vcc_lo, 0x7f800000, v4
	s_delay_alu instid0(VALU_DEP_2)
	v_cndmask_b32_e32 v0, 0x7c, v0, vcc_lo
; %bb.4047:
	s_or_b32 exec_lo, exec_lo, s3
	global_store_b8 v[2:3], v0, off
.LBB103_4048:
	s_mov_b32 s3, 0
.LBB103_4049:
	s_delay_alu instid0(SALU_CYCLE_1)
	s_and_not1_b32 vcc_lo, exec_lo, s3
	s_mov_b32 s3, 0
	s_cbranch_vccnz .LBB103_4056
; %bb.4050:
	s_cmp_gt_i32 s2, 14
	s_mov_b32 s3, -1
	s_cbranch_scc0 .LBB103_4054
; %bb.4051:
	s_cmp_eq_u32 s2, 15
	s_mov_b32 s0, -1
	s_cbranch_scc0 .LBB103_4053
; %bb.4052:
	s_wait_xcnt 0x0
	v_cvt_f32_ubyte0_e32 v0, v1
	s_mov_b32 s0, 0
	s_delay_alu instid0(VALU_DEP_1) | instskip(NEXT) | instid1(VALU_DEP_1)
	v_bfe_u32 v4, v0, 16, 1
	v_add3_u32 v0, v0, v4, 0x7fff
	global_store_d16_hi_b16 v[2:3], v0, off
.LBB103_4053:
	s_mov_b32 s3, 0
.LBB103_4054:
	s_delay_alu instid0(SALU_CYCLE_1)
	s_and_b32 vcc_lo, exec_lo, s3
	s_mov_b32 s3, 0
	s_cbranch_vccz .LBB103_4056
; %bb.4055:
	s_cmp_lg_u32 s2, 11
	s_mov_b32 s3, -1
	s_cselect_b32 s0, -1, 0
.LBB103_4056:
	s_delay_alu instid0(SALU_CYCLE_1)
	s_and_b32 vcc_lo, exec_lo, s0
	s_cbranch_vccnz .LBB103_4122
.LBB103_4057:
	s_mov_b32 s0, 0
	s_branch .LBB103_4059
.LBB103_4058:
	s_mov_b32 s0, 0
	s_wait_xcnt 0x0
	s_mov_b32 s3, 0
                                        ; implicit-def: $vgpr2_vgpr3
                                        ; implicit-def: $sgpr1
                                        ; implicit-def: $vgpr1
.LBB103_4059:
	s_and_not1_b32 s2, s10, exec_lo
	s_and_b32 s4, s12, exec_lo
	s_and_b32 s0, s0, exec_lo
	;; [unrolled: 1-line block ×3, first 2 shown]
	s_or_b32 s10, s2, s4
.LBB103_4060:
	s_wait_xcnt 0x0
	s_or_b32 exec_lo, exec_lo, s11
	s_and_saveexec_b32 s2, s10
	s_cbranch_execz .LBB103_4063
; %bb.4061:
	; divergent unreachable
	s_or_b32 exec_lo, exec_lo, s2
	s_and_saveexec_b32 s2, s35
	s_delay_alu instid0(SALU_CYCLE_1)
	s_xor_b32 s2, exec_lo, s2
	s_cbranch_execnz .LBB103_4064
.LBB103_4062:
	s_or_b32 exec_lo, exec_lo, s2
	s_and_saveexec_b32 s2, s0
	s_cbranch_execnz .LBB103_4065
	s_branch .LBB103_4102
.LBB103_4063:
	s_or_b32 exec_lo, exec_lo, s2
	s_and_saveexec_b32 s2, s35
	s_delay_alu instid0(SALU_CYCLE_1)
	s_xor_b32 s2, exec_lo, s2
	s_cbranch_execz .LBB103_4062
.LBB103_4064:
	s_wait_loadcnt 0x0
	v_and_b32_e32 v0, 0xff, v1
	s_delay_alu instid0(VALU_DEP_1)
	v_cmp_ne_u16_e32 vcc_lo, 0, v0
	v_cndmask_b32_e64 v0, 0, 1, vcc_lo
	global_store_b8 v[2:3], v0, off
	s_wait_xcnt 0x0
	s_or_b32 exec_lo, exec_lo, s2
	s_and_saveexec_b32 s2, s0
	s_cbranch_execz .LBB103_4102
.LBB103_4065:
	s_sext_i32_i16 s2, s1
	s_mov_b32 s0, -1
	s_cmp_lt_i32 s2, 5
	s_cbranch_scc1 .LBB103_4086
; %bb.4066:
	s_cmp_lt_i32 s2, 8
	s_cbranch_scc1 .LBB103_4076
; %bb.4067:
	;; [unrolled: 3-line block ×3, first 2 shown]
	s_cmp_gt_i32 s2, 9
	s_cbranch_scc0 .LBB103_4070
; %bb.4069:
	s_wait_loadcnt 0x0
	v_and_b32_e32 v0, 0xff, v1
	v_mov_b32_e32 v6, 0
	s_mov_b32 s0, 0
	s_delay_alu instid0(VALU_DEP_2) | instskip(NEXT) | instid1(VALU_DEP_2)
	v_and_b32_e32 v0, 0xffff, v0
	v_mov_b32_e32 v7, v6
	s_delay_alu instid0(VALU_DEP_2)
	v_cvt_f64_u32_e32 v[4:5], v0
	global_store_b128 v[2:3], v[4:7], off
.LBB103_4070:
	s_and_not1_b32 vcc_lo, exec_lo, s0
	s_cbranch_vccnz .LBB103_4072
; %bb.4071:
	s_wait_loadcnt 0x0
	v_cvt_f32_ubyte0_e32 v4, v1
	v_mov_b32_e32 v5, 0
	global_store_b64 v[2:3], v[4:5], off
.LBB103_4072:
	s_mov_b32 s0, 0
.LBB103_4073:
	s_delay_alu instid0(SALU_CYCLE_1)
	s_and_not1_b32 vcc_lo, exec_lo, s0
	s_cbranch_vccnz .LBB103_4075
; %bb.4074:
	s_wait_loadcnt 0x0
	v_and_b32_e32 v0, 0xff, v1
	s_delay_alu instid0(VALU_DEP_1) | instskip(NEXT) | instid1(VALU_DEP_1)
	v_cvt_f16_u16_e32 v0, v0
	v_and_b32_e32 v0, 0xffff, v0
	global_store_b32 v[2:3], v0, off
.LBB103_4075:
	s_mov_b32 s0, 0
.LBB103_4076:
	s_delay_alu instid0(SALU_CYCLE_1)
	s_and_not1_b32 vcc_lo, exec_lo, s0
	s_cbranch_vccnz .LBB103_4085
; %bb.4077:
	s_sext_i32_i16 s2, s1
	s_mov_b32 s0, -1
	s_cmp_lt_i32 s2, 6
	s_cbranch_scc1 .LBB103_4083
; %bb.4078:
	s_cmp_gt_i32 s2, 6
	s_cbranch_scc0 .LBB103_4080
; %bb.4079:
	s_wait_loadcnt 0x0
	v_and_b32_e32 v0, 0xff, v1
	s_mov_b32 s0, 0
	s_delay_alu instid0(VALU_DEP_1) | instskip(NEXT) | instid1(VALU_DEP_1)
	v_and_b32_e32 v0, 0xffff, v0
	v_cvt_f64_u32_e32 v[4:5], v0
	global_store_b64 v[2:3], v[4:5], off
.LBB103_4080:
	s_and_not1_b32 vcc_lo, exec_lo, s0
	s_cbranch_vccnz .LBB103_4082
; %bb.4081:
	s_wait_loadcnt 0x0
	v_cvt_f32_ubyte0_e32 v0, v1
	global_store_b32 v[2:3], v0, off
.LBB103_4082:
	s_mov_b32 s0, 0
.LBB103_4083:
	s_delay_alu instid0(SALU_CYCLE_1)
	s_and_not1_b32 vcc_lo, exec_lo, s0
	s_cbranch_vccnz .LBB103_4085
; %bb.4084:
	s_wait_loadcnt 0x0
	v_and_b32_e32 v0, 0xff, v1
	s_delay_alu instid0(VALU_DEP_1)
	v_cvt_f16_u16_e32 v0, v0
	global_store_b16 v[2:3], v0, off
.LBB103_4085:
	s_mov_b32 s0, 0
.LBB103_4086:
	s_delay_alu instid0(SALU_CYCLE_1)
	s_and_not1_b32 vcc_lo, exec_lo, s0
	s_cbranch_vccnz .LBB103_4102
; %bb.4087:
	s_sext_i32_i16 s2, s1
	s_mov_b32 s0, -1
	s_cmp_lt_i32 s2, 2
	s_cbranch_scc1 .LBB103_4097
; %bb.4088:
	s_cmp_lt_i32 s2, 3
	s_cbranch_scc1 .LBB103_4094
; %bb.4089:
	s_cmp_gt_i32 s2, 3
	s_cbranch_scc0 .LBB103_4091
; %bb.4090:
	s_wait_loadcnt 0x0
	v_and_b32_e32 v4, 0xff, v1
	v_mov_b32_e32 v5, 0
	s_mov_b32 s0, 0
	global_store_b64 v[2:3], v[4:5], off
.LBB103_4091:
	s_and_not1_b32 vcc_lo, exec_lo, s0
	s_cbranch_vccnz .LBB103_4093
; %bb.4092:
	s_wait_loadcnt 0x0
	v_and_b32_e32 v0, 0xff, v1
	global_store_b32 v[2:3], v0, off
.LBB103_4093:
	s_mov_b32 s0, 0
.LBB103_4094:
	s_delay_alu instid0(SALU_CYCLE_1)
	s_and_not1_b32 vcc_lo, exec_lo, s0
	s_cbranch_vccnz .LBB103_4096
; %bb.4095:
	s_wait_loadcnt 0x0
	v_and_b32_e32 v0, 0xff, v1
	global_store_b16 v[2:3], v0, off
.LBB103_4096:
	s_mov_b32 s0, 0
.LBB103_4097:
	s_delay_alu instid0(SALU_CYCLE_1)
	s_and_not1_b32 vcc_lo, exec_lo, s0
	s_cbranch_vccnz .LBB103_4102
; %bb.4098:
	s_sext_i32_i16 s0, s1
	s_delay_alu instid0(SALU_CYCLE_1)
	s_cmp_gt_i32 s0, 0
	s_mov_b32 s0, -1
	s_cbranch_scc0 .LBB103_4100
; %bb.4099:
	s_mov_b32 s0, 0
	s_wait_loadcnt 0x0
	global_store_b8 v[2:3], v1, off
.LBB103_4100:
	s_and_not1_b32 vcc_lo, exec_lo, s0
	s_cbranch_vccnz .LBB103_4102
; %bb.4101:
	s_wait_loadcnt 0x0
	global_store_b8 v[2:3], v1, off
	s_endpgm
.LBB103_4102:
	s_endpgm
.LBB103_4103:
	s_mov_b32 s3, 0
	s_mov_b32 s0, -1
	s_branch .LBB103_4059
.LBB103_4104:
	s_or_b32 s12, s12, exec_lo
	s_trap 2
	s_cbranch_execz .LBB103_3573
	s_branch .LBB103_3574
.LBB103_4105:
	s_and_not1_saveexec_b32 s8, s8
	s_cbranch_execz .LBB103_3653
.LBB103_4106:
	v_add_f32_e32 v3, 0x46000000, v5
	s_and_not1_b32 s7, s7, exec_lo
	s_delay_alu instid0(VALU_DEP_1) | instskip(NEXT) | instid1(VALU_DEP_1)
	v_and_b32_e32 v3, 0xff, v3
	v_cmp_ne_u32_e32 vcc_lo, 0, v3
	s_and_b32 s9, vcc_lo, exec_lo
	s_delay_alu instid0(SALU_CYCLE_1)
	s_or_b32 s7, s7, s9
	s_or_b32 exec_lo, exec_lo, s8
	v_mov_b32_e32 v8, 0
	s_and_saveexec_b32 s8, s7
	s_cbranch_execnz .LBB103_3654
	s_branch .LBB103_3655
.LBB103_4107:
	s_or_b32 s12, s12, exec_lo
	s_trap 2
	s_cbranch_execz .LBB103_3701
	s_branch .LBB103_3702
.LBB103_4108:
	s_and_not1_saveexec_b32 s7, s7
	s_cbranch_execz .LBB103_3666
.LBB103_4109:
	v_add_f32_e32 v3, 0x42800000, v5
	s_and_not1_b32 s6, s6, exec_lo
	s_delay_alu instid0(VALU_DEP_1) | instskip(NEXT) | instid1(VALU_DEP_1)
	v_and_b32_e32 v3, 0xff, v3
	v_cmp_ne_u32_e32 vcc_lo, 0, v3
	s_and_b32 s8, vcc_lo, exec_lo
	s_delay_alu instid0(SALU_CYCLE_1)
	s_or_b32 s6, s6, s8
	s_or_b32 exec_lo, exec_lo, s7
	v_mov_b32_e32 v8, 0
	s_and_saveexec_b32 s7, s6
	s_cbranch_execnz .LBB103_3667
	s_branch .LBB103_3668
.LBB103_4110:
	s_and_not1_saveexec_b32 s8, s8
	s_cbranch_execz .LBB103_3772
.LBB103_4111:
	v_add_f32_e32 v3, 0x46000000, v6
	s_and_not1_b32 s7, s7, exec_lo
	s_delay_alu instid0(VALU_DEP_1) | instskip(NEXT) | instid1(VALU_DEP_1)
	v_and_b32_e32 v3, 0xff, v3
	v_cmp_ne_u32_e32 vcc_lo, 0, v3
	s_and_b32 s9, vcc_lo, exec_lo
	s_delay_alu instid0(SALU_CYCLE_1)
	s_or_b32 s7, s7, s9
	s_or_b32 exec_lo, exec_lo, s8
	v_mov_b32_e32 v7, 0
	s_and_saveexec_b32 s8, s7
	s_cbranch_execnz .LBB103_3773
	s_branch .LBB103_3774
.LBB103_4112:
	s_or_b32 s12, s12, exec_lo
	s_trap 2
	s_cbranch_execz .LBB103_3820
	s_branch .LBB103_3821
.LBB103_4113:
	s_and_not1_saveexec_b32 s7, s7
	s_cbranch_execz .LBB103_3785
.LBB103_4114:
	v_add_f32_e32 v3, 0x42800000, v6
	s_and_not1_b32 s6, s6, exec_lo
	s_delay_alu instid0(VALU_DEP_1) | instskip(NEXT) | instid1(VALU_DEP_1)
	v_and_b32_e32 v3, 0xff, v3
	v_cmp_ne_u32_e32 vcc_lo, 0, v3
	s_and_b32 s8, vcc_lo, exec_lo
	s_delay_alu instid0(SALU_CYCLE_1)
	s_or_b32 s6, s6, s8
	s_or_b32 exec_lo, exec_lo, s7
	v_mov_b32_e32 v7, 0
	s_and_saveexec_b32 s7, s6
	s_cbranch_execnz .LBB103_3786
	s_branch .LBB103_3787
.LBB103_4115:
	s_and_not1_saveexec_b32 s8, s8
	s_cbranch_execz .LBB103_3891
.LBB103_4116:
	v_add_f32_e32 v4, 0x46000000, v5
	s_and_not1_b32 s7, s7, exec_lo
	s_delay_alu instid0(VALU_DEP_1) | instskip(NEXT) | instid1(VALU_DEP_1)
	v_and_b32_e32 v4, 0xff, v4
	v_cmp_ne_u32_e32 vcc_lo, 0, v4
	s_and_b32 s9, vcc_lo, exec_lo
	s_delay_alu instid0(SALU_CYCLE_1)
	s_or_b32 s7, s7, s9
	s_or_b32 exec_lo, exec_lo, s8
	v_mov_b32_e32 v6, 0
	s_and_saveexec_b32 s8, s7
	s_cbranch_execnz .LBB103_3892
	s_branch .LBB103_3893
.LBB103_4117:
	s_or_b32 s12, s12, exec_lo
	s_trap 2
	s_cbranch_execz .LBB103_3939
	s_branch .LBB103_3940
.LBB103_4118:
	s_and_not1_saveexec_b32 s7, s7
	s_cbranch_execz .LBB103_3904
.LBB103_4119:
	v_add_f32_e32 v4, 0x42800000, v5
	s_and_not1_b32 s6, s6, exec_lo
	s_delay_alu instid0(VALU_DEP_1) | instskip(NEXT) | instid1(VALU_DEP_1)
	v_and_b32_e32 v4, 0xff, v4
	v_cmp_ne_u32_e32 vcc_lo, 0, v4
	s_and_b32 s8, vcc_lo, exec_lo
	s_delay_alu instid0(SALU_CYCLE_1)
	s_or_b32 s6, s6, s8
	s_or_b32 exec_lo, exec_lo, s7
	v_mov_b32_e32 v6, 0
	s_and_saveexec_b32 s7, s6
	s_cbranch_execnz .LBB103_3905
	s_branch .LBB103_3906
.LBB103_4120:
	s_and_not1_saveexec_b32 s6, s6
	s_cbranch_execz .LBB103_4011
.LBB103_4121:
	v_add_f32_e32 v0, 0x46000000, v4
	s_and_not1_b32 s5, s5, exec_lo
	s_delay_alu instid0(VALU_DEP_1) | instskip(NEXT) | instid1(VALU_DEP_1)
	v_and_b32_e32 v0, 0xff, v0
	v_cmp_ne_u32_e32 vcc_lo, 0, v0
	s_and_b32 s7, vcc_lo, exec_lo
	s_delay_alu instid0(SALU_CYCLE_1)
	s_or_b32 s5, s5, s7
	s_or_b32 exec_lo, exec_lo, s6
	v_mov_b32_e32 v5, 0
	s_and_saveexec_b32 s6, s5
	s_cbranch_execnz .LBB103_4012
	s_branch .LBB103_4013
.LBB103_4122:
	s_mov_b32 s3, 0
	s_or_b32 s12, s12, exec_lo
	s_trap 2
	s_branch .LBB103_4057
.LBB103_4123:
	s_and_not1_saveexec_b32 s5, s5
	s_cbranch_execz .LBB103_4023
.LBB103_4124:
	v_add_f32_e32 v0, 0x42800000, v4
	s_and_not1_b32 s4, s4, exec_lo
	s_delay_alu instid0(VALU_DEP_1) | instskip(NEXT) | instid1(VALU_DEP_1)
	v_and_b32_e32 v0, 0xff, v0
	v_cmp_ne_u32_e32 vcc_lo, 0, v0
	s_and_b32 s6, vcc_lo, exec_lo
	s_delay_alu instid0(SALU_CYCLE_1)
	s_or_b32 s4, s4, s6
	s_or_b32 exec_lo, exec_lo, s5
	v_mov_b32_e32 v5, 0
	s_and_saveexec_b32 s5, s4
	s_cbranch_execnz .LBB103_4024
	s_branch .LBB103_4025
	.section	.rodata,"a",@progbits
	.p2align	6, 0x0
	.amdhsa_kernel _ZN2at6native32elementwise_kernel_manual_unrollILi128ELi4EZNS0_15gpu_kernel_implIZZZNS0_12_GLOBAL__N_117clamp_kernel_implERNS_18TensorIteratorBaseEENKUlvE_clEvENKUlvE_clEvEUlhhhE_EEvS5_RKT_EUlibE0_EEviT1_
		.amdhsa_group_segment_fixed_size 0
		.amdhsa_private_segment_fixed_size 0
		.amdhsa_kernarg_size 504
		.amdhsa_user_sgpr_count 2
		.amdhsa_user_sgpr_dispatch_ptr 0
		.amdhsa_user_sgpr_queue_ptr 0
		.amdhsa_user_sgpr_kernarg_segment_ptr 1
		.amdhsa_user_sgpr_dispatch_id 0
		.amdhsa_user_sgpr_kernarg_preload_length 0
		.amdhsa_user_sgpr_kernarg_preload_offset 0
		.amdhsa_user_sgpr_private_segment_size 0
		.amdhsa_wavefront_size32 1
		.amdhsa_uses_dynamic_stack 0
		.amdhsa_enable_private_segment 0
		.amdhsa_system_sgpr_workgroup_id_x 1
		.amdhsa_system_sgpr_workgroup_id_y 0
		.amdhsa_system_sgpr_workgroup_id_z 0
		.amdhsa_system_sgpr_workgroup_info 0
		.amdhsa_system_vgpr_workitem_id 0
		.amdhsa_next_free_vgpr 36
		.amdhsa_next_free_sgpr 74
		.amdhsa_named_barrier_count 0
		.amdhsa_reserve_vcc 1
		.amdhsa_float_round_mode_32 0
		.amdhsa_float_round_mode_16_64 0
		.amdhsa_float_denorm_mode_32 3
		.amdhsa_float_denorm_mode_16_64 3
		.amdhsa_fp16_overflow 0
		.amdhsa_memory_ordered 1
		.amdhsa_forward_progress 1
		.amdhsa_inst_pref_size 255
		.amdhsa_round_robin_scheduling 0
		.amdhsa_exception_fp_ieee_invalid_op 0
		.amdhsa_exception_fp_denorm_src 0
		.amdhsa_exception_fp_ieee_div_zero 0
		.amdhsa_exception_fp_ieee_overflow 0
		.amdhsa_exception_fp_ieee_underflow 0
		.amdhsa_exception_fp_ieee_inexact 0
		.amdhsa_exception_int_div_zero 0
	.end_amdhsa_kernel
	.section	.text._ZN2at6native32elementwise_kernel_manual_unrollILi128ELi4EZNS0_15gpu_kernel_implIZZZNS0_12_GLOBAL__N_117clamp_kernel_implERNS_18TensorIteratorBaseEENKUlvE_clEvENKUlvE_clEvEUlhhhE_EEvS5_RKT_EUlibE0_EEviT1_,"axG",@progbits,_ZN2at6native32elementwise_kernel_manual_unrollILi128ELi4EZNS0_15gpu_kernel_implIZZZNS0_12_GLOBAL__N_117clamp_kernel_implERNS_18TensorIteratorBaseEENKUlvE_clEvENKUlvE_clEvEUlhhhE_EEvS5_RKT_EUlibE0_EEviT1_,comdat
.Lfunc_end103:
	.size	_ZN2at6native32elementwise_kernel_manual_unrollILi128ELi4EZNS0_15gpu_kernel_implIZZZNS0_12_GLOBAL__N_117clamp_kernel_implERNS_18TensorIteratorBaseEENKUlvE_clEvENKUlvE_clEvEUlhhhE_EEvS5_RKT_EUlibE0_EEviT1_, .Lfunc_end103-_ZN2at6native32elementwise_kernel_manual_unrollILi128ELi4EZNS0_15gpu_kernel_implIZZZNS0_12_GLOBAL__N_117clamp_kernel_implERNS_18TensorIteratorBaseEENKUlvE_clEvENKUlvE_clEvEUlhhhE_EEvS5_RKT_EUlibE0_EEviT1_
                                        ; -- End function
	.set _ZN2at6native32elementwise_kernel_manual_unrollILi128ELi4EZNS0_15gpu_kernel_implIZZZNS0_12_GLOBAL__N_117clamp_kernel_implERNS_18TensorIteratorBaseEENKUlvE_clEvENKUlvE_clEvEUlhhhE_EEvS5_RKT_EUlibE0_EEviT1_.num_vgpr, 36
	.set _ZN2at6native32elementwise_kernel_manual_unrollILi128ELi4EZNS0_15gpu_kernel_implIZZZNS0_12_GLOBAL__N_117clamp_kernel_implERNS_18TensorIteratorBaseEENKUlvE_clEvENKUlvE_clEvEUlhhhE_EEvS5_RKT_EUlibE0_EEviT1_.num_agpr, 0
	.set _ZN2at6native32elementwise_kernel_manual_unrollILi128ELi4EZNS0_15gpu_kernel_implIZZZNS0_12_GLOBAL__N_117clamp_kernel_implERNS_18TensorIteratorBaseEENKUlvE_clEvENKUlvE_clEvEUlhhhE_EEvS5_RKT_EUlibE0_EEviT1_.numbered_sgpr, 74
	.set _ZN2at6native32elementwise_kernel_manual_unrollILi128ELi4EZNS0_15gpu_kernel_implIZZZNS0_12_GLOBAL__N_117clamp_kernel_implERNS_18TensorIteratorBaseEENKUlvE_clEvENKUlvE_clEvEUlhhhE_EEvS5_RKT_EUlibE0_EEviT1_.num_named_barrier, 0
	.set _ZN2at6native32elementwise_kernel_manual_unrollILi128ELi4EZNS0_15gpu_kernel_implIZZZNS0_12_GLOBAL__N_117clamp_kernel_implERNS_18TensorIteratorBaseEENKUlvE_clEvENKUlvE_clEvEUlhhhE_EEvS5_RKT_EUlibE0_EEviT1_.private_seg_size, 0
	.set _ZN2at6native32elementwise_kernel_manual_unrollILi128ELi4EZNS0_15gpu_kernel_implIZZZNS0_12_GLOBAL__N_117clamp_kernel_implERNS_18TensorIteratorBaseEENKUlvE_clEvENKUlvE_clEvEUlhhhE_EEvS5_RKT_EUlibE0_EEviT1_.uses_vcc, 1
	.set _ZN2at6native32elementwise_kernel_manual_unrollILi128ELi4EZNS0_15gpu_kernel_implIZZZNS0_12_GLOBAL__N_117clamp_kernel_implERNS_18TensorIteratorBaseEENKUlvE_clEvENKUlvE_clEvEUlhhhE_EEvS5_RKT_EUlibE0_EEviT1_.uses_flat_scratch, 0
	.set _ZN2at6native32elementwise_kernel_manual_unrollILi128ELi4EZNS0_15gpu_kernel_implIZZZNS0_12_GLOBAL__N_117clamp_kernel_implERNS_18TensorIteratorBaseEENKUlvE_clEvENKUlvE_clEvEUlhhhE_EEvS5_RKT_EUlibE0_EEviT1_.has_dyn_sized_stack, 0
	.set _ZN2at6native32elementwise_kernel_manual_unrollILi128ELi4EZNS0_15gpu_kernel_implIZZZNS0_12_GLOBAL__N_117clamp_kernel_implERNS_18TensorIteratorBaseEENKUlvE_clEvENKUlvE_clEvEUlhhhE_EEvS5_RKT_EUlibE0_EEviT1_.has_recursion, 0
	.set _ZN2at6native32elementwise_kernel_manual_unrollILi128ELi4EZNS0_15gpu_kernel_implIZZZNS0_12_GLOBAL__N_117clamp_kernel_implERNS_18TensorIteratorBaseEENKUlvE_clEvENKUlvE_clEvEUlhhhE_EEvS5_RKT_EUlibE0_EEviT1_.has_indirect_call, 0
	.section	.AMDGPU.csdata,"",@progbits
; Kernel info:
; codeLenInByte = 86500
; TotalNumSgprs: 76
; NumVgprs: 36
; ScratchSize: 0
; MemoryBound: 1
; FloatMode: 240
; IeeeMode: 1
; LDSByteSize: 0 bytes/workgroup (compile time only)
; SGPRBlocks: 0
; VGPRBlocks: 2
; NumSGPRsForWavesPerEU: 76
; NumVGPRsForWavesPerEU: 36
; NamedBarCnt: 0
; Occupancy: 16
; WaveLimiterHint : 1
; COMPUTE_PGM_RSRC2:SCRATCH_EN: 0
; COMPUTE_PGM_RSRC2:USER_SGPR: 2
; COMPUTE_PGM_RSRC2:TRAP_HANDLER: 0
; COMPUTE_PGM_RSRC2:TGID_X_EN: 1
; COMPUTE_PGM_RSRC2:TGID_Y_EN: 0
; COMPUTE_PGM_RSRC2:TGID_Z_EN: 0
; COMPUTE_PGM_RSRC2:TIDIG_COMP_CNT: 0
	.section	.text._ZN2at6native29vectorized_elementwise_kernelILi16EZZZNS0_12_GLOBAL__N_117clamp_kernel_implERNS_18TensorIteratorBaseEENKUlvE_clEvENKUlvE0_clEvEUlaaaE_St5arrayIPcLm4EEEEviT0_T1_,"axG",@progbits,_ZN2at6native29vectorized_elementwise_kernelILi16EZZZNS0_12_GLOBAL__N_117clamp_kernel_implERNS_18TensorIteratorBaseEENKUlvE_clEvENKUlvE0_clEvEUlaaaE_St5arrayIPcLm4EEEEviT0_T1_,comdat
	.globl	_ZN2at6native29vectorized_elementwise_kernelILi16EZZZNS0_12_GLOBAL__N_117clamp_kernel_implERNS_18TensorIteratorBaseEENKUlvE_clEvENKUlvE0_clEvEUlaaaE_St5arrayIPcLm4EEEEviT0_T1_ ; -- Begin function _ZN2at6native29vectorized_elementwise_kernelILi16EZZZNS0_12_GLOBAL__N_117clamp_kernel_implERNS_18TensorIteratorBaseEENKUlvE_clEvENKUlvE0_clEvEUlaaaE_St5arrayIPcLm4EEEEviT0_T1_
	.p2align	8
	.type	_ZN2at6native29vectorized_elementwise_kernelILi16EZZZNS0_12_GLOBAL__N_117clamp_kernel_implERNS_18TensorIteratorBaseEENKUlvE_clEvENKUlvE0_clEvEUlaaaE_St5arrayIPcLm4EEEEviT0_T1_,@function
_ZN2at6native29vectorized_elementwise_kernelILi16EZZZNS0_12_GLOBAL__N_117clamp_kernel_implERNS_18TensorIteratorBaseEENKUlvE_clEvENKUlvE0_clEvEUlaaaE_St5arrayIPcLm4EEEEviT0_T1_: ; @_ZN2at6native29vectorized_elementwise_kernelILi16EZZZNS0_12_GLOBAL__N_117clamp_kernel_implERNS_18TensorIteratorBaseEENKUlvE_clEvENKUlvE0_clEvEUlaaaE_St5arrayIPcLm4EEEEviT0_T1_
; %bb.0:
	s_clause 0x1
	s_load_b32 s3, s[0:1], 0x0
	s_load_b256 s[4:11], s[0:1], 0x8
	s_wait_xcnt 0x0
	s_bfe_u32 s0, ttmp6, 0x4000c
	s_and_b32 s1, ttmp6, 15
	s_add_co_i32 s0, s0, 1
	s_getreg_b32 s2, hwreg(HW_REG_IB_STS2, 6, 4)
	s_mul_i32 s0, ttmp9, s0
	s_delay_alu instid0(SALU_CYCLE_1) | instskip(SKIP_2) | instid1(SALU_CYCLE_1)
	s_add_co_i32 s1, s1, s0
	s_cmp_eq_u32 s2, 0
	s_cselect_b32 s0, ttmp9, s1
	s_lshl_b32 s2, s0, 12
	s_mov_b32 s0, -1
	s_wait_kmcnt 0x0
	s_sub_co_i32 s1, s3, s2
	s_delay_alu instid0(SALU_CYCLE_1)
	s_cmp_gt_i32 s1, 0xfff
	s_cbranch_scc0 .LBB104_2
; %bb.1:
	s_ashr_i32 s3, s2, 31
	s_mov_b32 s0, 0
	s_add_nc_u64 s[12:13], s[6:7], s[2:3]
	global_load_b128 v[2:5], v0, s[12:13] scale_offset
	s_wait_xcnt 0x0
	s_add_nc_u64 s[12:13], s[8:9], s[2:3]
	global_load_b128 v[6:9], v0, s[12:13] scale_offset
	s_wait_xcnt 0x0
	;; [unrolled: 3-line block ×3, first 2 shown]
	s_add_nc_u64 s[12:13], s[4:5], s[2:3]
	s_wait_loadcnt 0x2
	v_bfe_i32 v1, v3, 0, 8
	v_ashrrev_i16 v14, 8, v3
	v_lshrrev_b32_e32 v3, 16, v3
	s_wait_loadcnt 0x1
	v_bfe_i32 v21, v7, 0, 8
	v_ashrrev_i16 v22, 8, v7
	v_lshrrev_b32_e32 v7, 16, v7
	v_bfe_i32 v15, v2, 0, 8
	v_ashrrev_i16 v16, 8, v2
	v_lshrrev_b32_e32 v2, 16, v2
	;; [unrolled: 3-line block ×3, first 2 shown]
	v_bfe_i32 v38, v3, 0, 8
	v_ashrrev_i16 v3, 8, v3
	v_bfe_i32 v42, v7, 0, 8
	v_ashrrev_i16 v7, 8, v7
	s_wait_loadcnt 0x0
	v_dual_lshrrev_b32 v29, 16, v10 :: v_dual_ashrrev_i32 v31, 24, v11
	v_dual_lshrrev_b32 v32, 16, v11 :: v_dual_lshrrev_b32 v34, 16, v12
	s_delay_alu instid0(VALU_DEP_3) | instskip(SKIP_2) | instid1(VALU_DEP_4)
	v_max_i16 v3, v3, v7
	v_max_i16 v7, v38, v42
	v_bfe_i32 v17, v5, 0, 8
	v_bfe_i32 v32, v32, 0, 8
	v_ashrrev_i16 v18, 8, v5
	v_min_i16 v3, v3, v31
	v_lshrrev_b32_e32 v5, 16, v5
	v_bfe_i32 v19, v4, 0, 8
	v_ashrrev_i16 v20, 8, v4
	v_lshrrev_b32_e32 v4, 16, v4
	v_bfe_i32 v25, v9, 0, 8
	v_ashrrev_i16 v26, 8, v9
	;; [unrolled: 3-line block ×3, first 2 shown]
	v_lshrrev_b32_e32 v8, 16, v8
	v_min_i16 v7, v7, v32
	v_lshlrev_b16 v3, 8, v3
	v_bfe_i32 v39, v2, 0, 8
	v_ashrrev_i16 v2, 8, v2
	v_bfe_i32 v40, v5, 0, 8
	v_ashrrev_i16 v5, 8, v5
	;; [unrolled: 2-line block ×6, first 2 shown]
	v_bitop3_b16 v3, v7, v3, 0xff bitop3:0xec
	v_lshrrev_b32_e32 v36, 16, v13
	v_ashrrev_i16 v30, 8, v10
	v_bfe_i32 v10, v10, 0, 8
	v_ashrrev_i16 v33, 8, v11
	v_bfe_i32 v11, v11, 0, 8
	v_ashrrev_i16 v35, 8, v12
	v_ashrrev_i16 v37, 8, v13
	;; [unrolled: 1-line block ×4, first 2 shown]
	v_max_i16 v16, v16, v24
	v_max_i16 v15, v15, v23
	;; [unrolled: 1-line block ×9, first 2 shown]
	v_lshlrev_b32_e32 v3, 16, v3
	v_ashrrev_i16 v48, 8, v36
	v_bfe_i32 v12, v12, 0, 8
	v_bfe_i32 v13, v13, 0, 8
	;; [unrolled: 1-line block ×5, first 2 shown]
	v_max_i16 v19, v19, v27
	v_max_i16 v17, v17, v25
	;; [unrolled: 1-line block ×3, first 2 shown]
	v_min_i16 v1, v1, v11
	v_min_i16 v11, v14, v33
	;; [unrolled: 1-line block ×4, first 2 shown]
	v_max_i16 v8, v41, v45
	v_max_i16 v9, v40, v44
	v_min_i16 v15, v18, v37
	v_min_i16 v16, v20, v35
	;; [unrolled: 1-line block ×7, first 2 shown]
	v_lshlrev_b16 v11, 8, v11
	v_lshlrev_b16 v14, 8, v14
	v_min_i16 v6, v6, v29
	v_lshlrev_b16 v15, 8, v15
	v_min_i16 v9, v9, v36
	;; [unrolled: 2-line block ×3, first 2 shown]
	v_lshlrev_b16 v2, 8, v2
	v_lshlrev_b16 v5, 8, v5
	;; [unrolled: 1-line block ×3, first 2 shown]
	v_bitop3_b16 v1, v1, v11, 0xff bitop3:0xec
	v_bitop3_b16 v10, v10, v14, 0xff bitop3:0xec
	v_bitop3_b16 v11, v13, v15, 0xff bitop3:0xec
	v_bitop3_b16 v12, v12, v16, 0xff bitop3:0xec
	v_bitop3_b16 v2, v6, v2, 0xff bitop3:0xec
	v_bitop3_b16 v5, v9, v5, 0xff bitop3:0xec
	v_bitop3_b16 v4, v8, v4, 0xff bitop3:0xec
	v_and_b32_e32 v1, 0xffff, v1
	v_and_b32_e32 v7, 0xffff, v10
	;; [unrolled: 1-line block ×4, first 2 shown]
	v_dual_lshlrev_b32 v2, 16, v2 :: v_dual_lshlrev_b32 v5, 16, v5
	v_dual_lshlrev_b32 v4, 16, v4 :: v_dual_bitop2_b32 v3, v1, v3 bitop3:0x54
	s_delay_alu instid0(VALU_DEP_2) | instskip(NEXT) | instid1(VALU_DEP_3)
	v_or_b32_e32 v2, v7, v2
	v_or_b32_e32 v5, v6, v5
	s_delay_alu instid0(VALU_DEP_3)
	v_or_b32_e32 v4, v8, v4
	global_store_b128 v0, v[2:5], s[12:13] scale_offset
.LBB104_2:
	s_and_not1_b32 vcc_lo, exec_lo, s0
	s_cbranch_vccnz .LBB104_23
; %bb.3:
	v_cmp_le_i32_e64 s0, s1, v0
	v_or_b32_e32 v1, 0x100, v0
	v_cmp_gt_i32_e32 vcc_lo, s1, v0
	s_wait_xcnt 0x0
	s_and_saveexec_b32 s3, s0
	s_delay_alu instid0(SALU_CYCLE_1)
	s_xor_b32 s0, exec_lo, s3
; %bb.4:
	v_or_b32_e32 v1, 0x100, v0
; %bb.5:
	s_or_saveexec_b32 s3, s0
	v_dual_mov_b32 v54, 0 :: v_dual_bitop2_b32 v10, s2, v0 bitop3:0x54
	v_dual_mov_b32 v53, 0 :: v_dual_mov_b32 v52, 0
	v_dual_mov_b32 v50, 0 :: v_dual_mov_b32 v51, 0
	;; [unrolled: 1-line block ×22, first 2 shown]
	v_mov_b32_e32 v42, 0
	s_xor_b32 exec_lo, exec_lo, s3
	s_cbranch_execnz .LBB104_24
; %bb.6:
	s_or_b32 exec_lo, exec_lo, s3
	s_and_saveexec_b32 s0, vcc_lo
	s_cbranch_execnz .LBB104_55
.LBB104_7:
	s_or_b32 exec_lo, exec_lo, s0
	s_delay_alu instid0(SALU_CYCLE_1)
	s_mov_b32 s0, exec_lo
	v_cmpx_gt_i32_e64 s1, v0
	s_cbranch_execnz .LBB104_56
.LBB104_8:
	s_or_b32 exec_lo, exec_lo, s0
	s_delay_alu instid0(SALU_CYCLE_1)
	s_mov_b32 s0, exec_lo
	v_cmpx_gt_i32_e64 s1, v0
	s_cbranch_execnz .LBB104_57
.LBB104_9:
	s_or_b32 exec_lo, exec_lo, s0
	s_delay_alu instid0(SALU_CYCLE_1)
	s_mov_b32 s0, exec_lo
	v_cmpx_gt_i32_e64 s1, v0
	s_cbranch_execnz .LBB104_58
.LBB104_10:
	s_or_b32 exec_lo, exec_lo, s0
	s_delay_alu instid0(SALU_CYCLE_1)
	s_mov_b32 s0, exec_lo
	v_cmpx_gt_i32_e64 s1, v0
	s_cbranch_execnz .LBB104_59
.LBB104_11:
	s_or_b32 exec_lo, exec_lo, s0
	s_delay_alu instid0(SALU_CYCLE_1)
	s_mov_b32 s0, exec_lo
	v_cmpx_gt_i32_e64 s1, v0
	s_cbranch_execnz .LBB104_60
.LBB104_12:
	s_or_b32 exec_lo, exec_lo, s0
	s_delay_alu instid0(SALU_CYCLE_1)
	s_mov_b32 s0, exec_lo
	v_cmpx_gt_i32_e64 s1, v0
	s_cbranch_execnz .LBB104_61
.LBB104_13:
	s_or_b32 exec_lo, exec_lo, s0
	s_delay_alu instid0(SALU_CYCLE_1)
	s_mov_b32 s0, exec_lo
	v_cmpx_gt_i32_e64 s1, v0
	s_cbranch_execnz .LBB104_62
.LBB104_14:
	s_or_b32 exec_lo, exec_lo, s0
	s_delay_alu instid0(SALU_CYCLE_1)
	s_mov_b32 s0, exec_lo
	v_cmpx_gt_i32_e64 s1, v0
	s_cbranch_execnz .LBB104_63
.LBB104_15:
	s_or_b32 exec_lo, exec_lo, s0
	s_delay_alu instid0(SALU_CYCLE_1)
	s_mov_b32 s0, exec_lo
	v_cmpx_gt_i32_e64 s1, v0
	s_cbranch_execnz .LBB104_64
.LBB104_16:
	s_or_b32 exec_lo, exec_lo, s0
	s_delay_alu instid0(SALU_CYCLE_1)
	s_mov_b32 s0, exec_lo
	v_cmpx_gt_i32_e64 s1, v0
	s_cbranch_execnz .LBB104_65
.LBB104_17:
	s_or_b32 exec_lo, exec_lo, s0
	s_delay_alu instid0(SALU_CYCLE_1)
	s_mov_b32 s0, exec_lo
	v_cmpx_gt_i32_e64 s1, v0
	s_cbranch_execnz .LBB104_66
.LBB104_18:
	s_or_b32 exec_lo, exec_lo, s0
	s_delay_alu instid0(SALU_CYCLE_1)
	s_mov_b32 s0, exec_lo
	v_cmpx_gt_i32_e64 s1, v0
	s_cbranch_execnz .LBB104_67
.LBB104_19:
	s_or_b32 exec_lo, exec_lo, s0
	s_delay_alu instid0(SALU_CYCLE_1)
	s_mov_b32 s0, exec_lo
	v_cmpx_gt_i32_e64 s1, v0
	s_cbranch_execnz .LBB104_68
.LBB104_20:
	s_or_b32 exec_lo, exec_lo, s0
	s_delay_alu instid0(SALU_CYCLE_1)
	s_mov_b32 s0, exec_lo
	v_cmpx_gt_i32_e64 s1, v0
	s_cbranch_execnz .LBB104_69
.LBB104_21:
	s_or_b32 exec_lo, exec_lo, s0
	s_delay_alu instid0(SALU_CYCLE_1)
	s_mov_b32 s0, exec_lo
	v_cmpx_gt_i32_e64 s1, v0
	s_cbranch_execz .LBB104_23
.LBB104_22:
	v_add_nc_u32_e32 v0, s2, v0
	global_store_b8 v0, v54, s[4:5]
.LBB104_23:
	s_endpgm
.LBB104_24:
	s_clause 0x2
	global_load_u8 v40, v10, s[6:7]
	global_load_u8 v43, v10, s[8:9]
	;; [unrolled: 1-line block ×3, first 2 shown]
	v_cmp_gt_u32_e64 s0, s1, v1
	v_dual_mov_b32 v35, 0 :: v_dual_mov_b32 v38, 0
	v_dual_mov_b32 v37, 0 :: v_dual_mov_b32 v3, 0
	;; [unrolled: 1-line block ×21, first 2 shown]
	v_mov_b32_e32 v54, 0
	s_wait_xcnt 0x0
	s_and_saveexec_b32 s12, s0
	s_cbranch_execz .LBB104_54
; %bb.25:
	v_dual_mov_b32 v3, 0 :: v_dual_add_nc_u32 v2, s2, v0
	v_or_b32_e32 v4, 0x200, v0
	v_dual_mov_b32 v33, 0 :: v_dual_mov_b32 v32, 0
	s_clause 0x2
	global_load_u8 v37, v2, s[6:7] offset:256
	global_load_u8 v38, v2, s[8:9] offset:256
	global_load_u8 v35, v2, s[10:11] offset:256
	v_mov_b32_e32 v26, 0
	v_cmp_gt_u32_e64 s0, s1, v4
	v_dual_mov_b32 v4, 0 :: v_dual_mov_b32 v27, 0
	v_dual_mov_b32 v15, 0 :: v_dual_mov_b32 v22, 0
	;; [unrolled: 1-line block ×18, first 2 shown]
	s_wait_xcnt 0x0
	s_and_saveexec_b32 s13, s0
	s_cbranch_execz .LBB104_53
; %bb.26:
	v_add_nc_u64_e32 v[4:5], s[6:7], v[2:3]
	v_add_nc_u64_e32 v[6:7], s[8:9], v[2:3]
	;; [unrolled: 1-line block ×3, first 2 shown]
	v_or_b32_e32 v11, 0x300, v0
	v_dual_mov_b32 v26, 0 :: v_dual_mov_b32 v27, 0
	v_dual_mov_b32 v15, 0 :: v_dual_mov_b32 v22, 0
	global_load_u8 v32, v[4:5], off offset:512
	global_load_u8 v33, v[6:7], off offset:512
	;; [unrolled: 1-line block ×3, first 2 shown]
	v_cmp_gt_u32_e64 s0, s1, v11
	v_dual_mov_b32 v23, 0 :: v_dual_mov_b32 v13, 0
	v_dual_mov_b32 v17, 0 :: v_dual_mov_b32 v19, 0
	;; [unrolled: 1-line block ×16, first 2 shown]
	s_wait_xcnt 0x0
	s_and_saveexec_b32 s6, s0
	s_cbranch_execz .LBB104_52
; %bb.27:
	global_load_u8 v27, v[4:5], off offset:768
	global_load_u8 v26, v[6:7], off offset:768
	global_load_u8 v3, v[8:9], off offset:768
	v_or_b32_e32 v11, 0x400, v0
	v_dual_mov_b32 v15, 0 :: v_dual_mov_b32 v22, 0
	v_dual_mov_b32 v23, 0 :: v_dual_mov_b32 v13, 0
	s_delay_alu instid0(VALU_DEP_3)
	v_cmp_gt_u32_e64 s0, s1, v11
	v_dual_mov_b32 v17, 0 :: v_dual_mov_b32 v19, 0
	v_dual_mov_b32 v11, 0 :: v_dual_mov_b32 v16, 0
	v_dual_mov_b32 v20, 0 :: v_dual_mov_b32 v12, 0
	v_dual_mov_b32 v18, 0 :: v_dual_mov_b32 v24, 0
	v_dual_mov_b32 v14, 0 :: v_dual_mov_b32 v25, 0
	v_dual_mov_b32 v28, 0 :: v_dual_mov_b32 v21, 0
	v_dual_mov_b32 v30, 0 :: v_dual_mov_b32 v31, 0
	v_dual_mov_b32 v29, 0 :: v_dual_mov_b32 v34, 0
	v_dual_mov_b32 v39, 0 :: v_dual_mov_b32 v36, 0
	v_dual_mov_b32 v41, 0 :: v_dual_mov_b32 v45, 0
	v_dual_mov_b32 v44, 0 :: v_dual_mov_b32 v46, 0
	v_dual_mov_b32 v48, 0 :: v_dual_mov_b32 v47, 0
	v_dual_mov_b32 v49, 0 :: v_dual_mov_b32 v51, 0
	v_dual_mov_b32 v50, 0 :: v_dual_mov_b32 v52, 0
	v_dual_mov_b32 v53, 0 :: v_dual_mov_b32 v54, 0
	s_wait_xcnt 0x0
	s_and_saveexec_b32 s7, s0
	s_cbranch_execz .LBB104_51
; %bb.28:
	global_load_u8 v23, v[4:5], off offset:1024
	global_load_u8 v22, v[6:7], off offset:1024
	global_load_u8 v15, v[8:9], off offset:1024
	v_or_b32_e32 v11, 0x500, v0
	v_dual_mov_b32 v13, 0 :: v_dual_mov_b32 v17, 0
	v_dual_mov_b32 v19, 0 :: v_dual_mov_b32 v16, 0
	v_mov_b32_e32 v20, 0
	s_delay_alu instid0(VALU_DEP_4)
	v_cmp_gt_u32_e64 s0, s1, v11
	v_dual_mov_b32 v11, 0 :: v_dual_mov_b32 v12, 0
	v_dual_mov_b32 v18, 0 :: v_dual_mov_b32 v24, 0
	;; [unrolled: 1-line block ×13, first 2 shown]
	s_wait_xcnt 0x0
	s_and_saveexec_b32 s8, s0
	s_cbranch_execz .LBB104_50
; %bb.29:
	global_load_u8 v19, v[4:5], off offset:1280
	global_load_u8 v17, v[6:7], off offset:1280
	;; [unrolled: 1-line block ×3, first 2 shown]
	v_or_b32_e32 v11, 0x600, v0
	v_dual_mov_b32 v20, 0 :: v_dual_mov_b32 v12, 0
	v_dual_mov_b32 v18, 0 :: v_dual_mov_b32 v24, 0
	s_delay_alu instid0(VALU_DEP_3)
	v_cmp_gt_u32_e64 s0, s1, v11
	v_dual_mov_b32 v11, 0 :: v_dual_mov_b32 v16, 0
	v_dual_mov_b32 v14, 0 :: v_dual_mov_b32 v25, 0
	;; [unrolled: 1-line block ×12, first 2 shown]
	s_wait_xcnt 0x0
	s_and_saveexec_b32 s9, s0
	s_cbranch_execz .LBB104_49
; %bb.30:
	global_load_u8 v20, v[4:5], off offset:1536
	global_load_u8 v16, v[6:7], off offset:1536
	;; [unrolled: 1-line block ×3, first 2 shown]
	v_or_b32_e32 v12, 0x700, v0
	v_dual_mov_b32 v24, 0 :: v_dual_mov_b32 v14, 0
	v_dual_mov_b32 v25, 0 :: v_dual_mov_b32 v28, 0
	s_delay_alu instid0(VALU_DEP_3)
	v_cmp_gt_u32_e64 s0, s1, v12
	v_dual_mov_b32 v12, 0 :: v_dual_mov_b32 v18, 0
	v_dual_mov_b32 v21, 0 :: v_dual_mov_b32 v30, 0
	;; [unrolled: 1-line block ×10, first 2 shown]
	v_mov_b32_e32 v54, 0
	s_wait_xcnt 0x0
	s_and_saveexec_b32 s10, s0
	s_cbranch_execz .LBB104_48
; %bb.31:
	global_load_u8 v24, v[4:5], off offset:1792
	global_load_u8 v18, v[6:7], off offset:1792
	;; [unrolled: 1-line block ×3, first 2 shown]
	v_or_b32_e32 v14, 0x800, v0
	v_dual_mov_b32 v28, 0 :: v_dual_mov_b32 v21, 0
	v_dual_mov_b32 v30, 0 :: v_dual_mov_b32 v31, 0
	s_delay_alu instid0(VALU_DEP_3)
	v_cmp_gt_u32_e64 s0, s1, v14
	v_dual_mov_b32 v14, 0 :: v_dual_mov_b32 v25, 0
	v_dual_mov_b32 v29, 0 :: v_dual_mov_b32 v34, 0
	;; [unrolled: 1-line block ×9, first 2 shown]
	s_wait_xcnt 0x0
	s_and_saveexec_b32 s11, s0
	s_cbranch_execz .LBB104_47
; %bb.32:
	global_load_u8 v28, v[4:5], off offset:2048
	global_load_u8 v25, v[6:7], off offset:2048
	;; [unrolled: 1-line block ×3, first 2 shown]
	v_or_b32_e32 v21, 0x900, v0
	v_dual_mov_b32 v31, 0 :: v_dual_mov_b32 v29, 0
	v_dual_mov_b32 v34, 0 :: v_dual_mov_b32 v39, 0
	s_delay_alu instid0(VALU_DEP_3)
	v_cmp_gt_u32_e64 s0, s1, v21
	v_dual_mov_b32 v21, 0 :: v_dual_mov_b32 v30, 0
	v_dual_mov_b32 v36, 0 :: v_dual_mov_b32 v41, 0
	;; [unrolled: 1-line block ×7, first 2 shown]
	v_mov_b32_e32 v54, 0
	s_wait_xcnt 0x0
	s_and_saveexec_b32 s14, s0
	s_cbranch_execz .LBB104_46
; %bb.33:
	global_load_u8 v31, v[4:5], off offset:2304
	global_load_u8 v30, v[6:7], off offset:2304
	global_load_u8 v21, v[8:9], off offset:2304
	v_or_b32_e32 v29, 0xa00, v0
	v_dual_mov_b32 v39, 0 :: v_dual_mov_b32 v36, 0
	v_dual_mov_b32 v41, 0 :: v_dual_mov_b32 v45, 0
	s_delay_alu instid0(VALU_DEP_3)
	v_cmp_gt_u32_e64 s0, s1, v29
	v_dual_mov_b32 v29, 0 :: v_dual_mov_b32 v34, 0
	v_dual_mov_b32 v44, 0 :: v_dual_mov_b32 v46, 0
	;; [unrolled: 1-line block ×6, first 2 shown]
	s_wait_xcnt 0x0
	s_and_saveexec_b32 s15, s0
	s_cbranch_execz .LBB104_45
; %bb.34:
	global_load_u8 v39, v[4:5], off offset:2560
	global_load_u8 v34, v[6:7], off offset:2560
	;; [unrolled: 1-line block ×3, first 2 shown]
	v_or_b32_e32 v36, 0xb00, v0
	v_dual_mov_b32 v45, 0 :: v_dual_mov_b32 v44, 0
	v_dual_mov_b32 v46, 0 :: v_dual_mov_b32 v48, 0
	s_delay_alu instid0(VALU_DEP_3)
	v_cmp_gt_u32_e64 s0, s1, v36
	v_dual_mov_b32 v36, 0 :: v_dual_mov_b32 v41, 0
	v_dual_mov_b32 v47, 0 :: v_dual_mov_b32 v49, 0
	;; [unrolled: 1-line block ×4, first 2 shown]
	v_mov_b32_e32 v54, 0
	s_wait_xcnt 0x0
	s_and_saveexec_b32 s16, s0
	s_cbranch_execz .LBB104_44
; %bb.35:
	global_load_u8 v45, v[4:5], off offset:2816
	global_load_u8 v41, v[6:7], off offset:2816
	;; [unrolled: 1-line block ×3, first 2 shown]
	v_or_b32_e32 v44, 0xc00, v0
	v_dual_mov_b32 v48, 0 :: v_dual_mov_b32 v47, 0
	v_dual_mov_b32 v49, 0 :: v_dual_mov_b32 v51, 0
	s_delay_alu instid0(VALU_DEP_3)
	v_cmp_gt_u32_e64 s0, s1, v44
	v_dual_mov_b32 v44, 0 :: v_dual_mov_b32 v46, 0
	v_dual_mov_b32 v50, 0 :: v_dual_mov_b32 v52, 0
	;; [unrolled: 1-line block ×3, first 2 shown]
	s_wait_xcnt 0x0
	s_and_saveexec_b32 s17, s0
	s_cbranch_execz .LBB104_43
; %bb.36:
	global_load_u8 v48, v[4:5], off offset:3072
	global_load_u8 v46, v[6:7], off offset:3072
	;; [unrolled: 1-line block ×3, first 2 shown]
	v_or_b32_e32 v47, 0xd00, v0
	v_dual_mov_b32 v51, 0 :: v_dual_mov_b32 v50, 0
	v_dual_mov_b32 v52, 0 :: v_dual_mov_b32 v53, 0
	s_delay_alu instid0(VALU_DEP_3)
	v_cmp_gt_u32_e64 s0, s1, v47
	v_dual_mov_b32 v47, 0 :: v_dual_mov_b32 v49, 0
	v_mov_b32_e32 v54, 0
	s_wait_xcnt 0x0
	s_and_saveexec_b32 s18, s0
	s_cbranch_execz .LBB104_42
; %bb.37:
	global_load_u8 v51, v[4:5], off offset:3328
	global_load_u8 v49, v[6:7], off offset:3328
	global_load_u8 v47, v[8:9], off offset:3328
	v_or_b32_e32 v50, 0xe00, v0
	v_dual_mov_b32 v53, 0 :: v_dual_mov_b32 v54, 0
	v_mov_b32_e32 v52, 0
	s_delay_alu instid0(VALU_DEP_3)
	v_cmp_gt_u32_e64 s0, s1, v50
	v_mov_b32_e32 v50, 0
	s_wait_xcnt 0x0
	s_and_saveexec_b32 s19, s0
	s_cbranch_execz .LBB104_41
; %bb.38:
	global_load_u8 v53, v[4:5], off offset:3584
	global_load_u8 v52, v[6:7], off offset:3584
	;; [unrolled: 1-line block ×3, first 2 shown]
	v_or_b32_e32 v54, 0xf00, v0
	s_delay_alu instid0(VALU_DEP_1)
	v_cmp_gt_u32_e64 s0, s1, v54
	v_mov_b32_e32 v54, 0
	s_wait_xcnt 0x0
	s_and_saveexec_b32 s20, s0
	s_cbranch_execz .LBB104_40
; %bb.39:
	global_load_i8 v54, v[4:5], off offset:3840
	global_load_i8 v55, v[6:7], off offset:3840
	;; [unrolled: 1-line block ×3, first 2 shown]
	s_wait_loadcnt 0x1
	s_wait_xcnt 0x2
	v_max_i16 v4, v54, v55
	s_wait_loadcnt 0x0
	s_delay_alu instid0(VALU_DEP_1)
	v_min_i16 v54, v4, v56
.LBB104_40:
	s_wait_xcnt 0x0
	s_or_b32 exec_lo, exec_lo, s20
.LBB104_41:
	s_delay_alu instid0(SALU_CYCLE_1)
	s_or_b32 exec_lo, exec_lo, s19
.LBB104_42:
	s_delay_alu instid0(SALU_CYCLE_1)
	s_or_b32 exec_lo, exec_lo, s18
.LBB104_43:
	s_delay_alu instid0(SALU_CYCLE_1)
	s_or_b32 exec_lo, exec_lo, s17
.LBB104_44:
	s_delay_alu instid0(SALU_CYCLE_1)
	s_or_b32 exec_lo, exec_lo, s16
.LBB104_45:
	s_delay_alu instid0(SALU_CYCLE_1)
	s_or_b32 exec_lo, exec_lo, s15
.LBB104_46:
	s_delay_alu instid0(SALU_CYCLE_1)
	s_or_b32 exec_lo, exec_lo, s14
.LBB104_47:
	s_delay_alu instid0(SALU_CYCLE_1)
	s_or_b32 exec_lo, exec_lo, s11
.LBB104_48:
	s_delay_alu instid0(SALU_CYCLE_1)
	s_or_b32 exec_lo, exec_lo, s10
.LBB104_49:
	s_delay_alu instid0(SALU_CYCLE_1)
	s_or_b32 exec_lo, exec_lo, s9
.LBB104_50:
	s_delay_alu instid0(SALU_CYCLE_1)
	s_or_b32 exec_lo, exec_lo, s8
.LBB104_51:
	s_delay_alu instid0(SALU_CYCLE_1)
	s_or_b32 exec_lo, exec_lo, s7
.LBB104_52:
	s_delay_alu instid0(SALU_CYCLE_1)
	s_or_b32 exec_lo, exec_lo, s6
	s_wait_loadcnt 0x0
	v_dual_mov_b32 v4, v3 :: v_dual_mov_b32 v3, v2
.LBB104_53:
	s_or_b32 exec_lo, exec_lo, s13
.LBB104_54:
	s_delay_alu instid0(SALU_CYCLE_1) | instskip(NEXT) | instid1(SALU_CYCLE_1)
	s_or_b32 exec_lo, exec_lo, s12
	s_or_b32 exec_lo, exec_lo, s3
	s_and_saveexec_b32 s0, vcc_lo
	s_cbranch_execz .LBB104_7
.LBB104_55:
	s_wait_loadcnt 0x1
	v_bfe_i32 v0, v43, 0, 8
	v_bfe_i32 v2, v40, 0, 8
	s_delay_alu instid0(VALU_DEP_1) | instskip(SKIP_2) | instid1(VALU_DEP_1)
	v_max_i16 v0, v2, v0
	s_wait_loadcnt 0x0
	v_bfe_i32 v2, v42, 0, 8
	v_min_i16 v2, v0, v2
	v_mov_b32_e32 v0, v1
	global_store_b8 v10, v2, s[4:5]
	s_wait_xcnt 0x0
	s_or_b32 exec_lo, exec_lo, s0
	s_delay_alu instid0(SALU_CYCLE_1)
	s_mov_b32 s0, exec_lo
	v_cmpx_gt_i32_e64 s1, v0
	s_cbranch_execz .LBB104_8
.LBB104_56:
	s_wait_loadcnt 0x1
	v_bfe_i32 v1, v38, 0, 8
	v_bfe_i32 v2, v37, 0, 8
	s_wait_loadcnt 0x0
	v_bfe_i32 v5, v35, 0, 8
	s_delay_alu instid0(VALU_DEP_2) | instskip(SKIP_2) | instid1(VALU_DEP_3)
	v_max_i16 v1, v2, v1
	v_add_nc_u32_e32 v2, s2, v0
	v_add_nc_u32_e32 v0, 0x100, v0
	v_min_i16 v1, v1, v5
	global_store_b8 v2, v1, s[4:5]
	s_wait_xcnt 0x0
	s_or_b32 exec_lo, exec_lo, s0
	s_delay_alu instid0(SALU_CYCLE_1)
	s_mov_b32 s0, exec_lo
	v_cmpx_gt_i32_e64 s1, v0
	s_cbranch_execz .LBB104_9
.LBB104_57:
	v_bfe_i32 v1, v33, 0, 8
	v_bfe_i32 v2, v32, 0, 8
	;; [unrolled: 1-line block ×3, first 2 shown]
	s_delay_alu instid0(VALU_DEP_2) | instskip(SKIP_2) | instid1(VALU_DEP_3)
	v_max_i16 v1, v2, v1
	v_add_nc_u32_e32 v2, s2, v0
	v_add_nc_u32_e32 v0, 0x100, v0
	v_min_i16 v1, v1, v3
	global_store_b8 v2, v1, s[4:5]
	s_wait_xcnt 0x0
	s_or_b32 exec_lo, exec_lo, s0
	s_delay_alu instid0(SALU_CYCLE_1)
	s_mov_b32 s0, exec_lo
	v_cmpx_gt_i32_e64 s1, v0
	s_cbranch_execz .LBB104_10
.LBB104_58:
	v_bfe_i32 v1, v26, 0, 8
	v_bfe_i32 v2, v27, 0, 8
	;; [unrolled: 1-line block ×3, first 2 shown]
	s_delay_alu instid0(VALU_DEP_2) | instskip(SKIP_2) | instid1(VALU_DEP_3)
	v_max_i16 v1, v2, v1
	v_add_nc_u32_e32 v2, s2, v0
	v_add_nc_u32_e32 v0, 0x100, v0
	v_min_i16 v1, v1, v3
	global_store_b8 v2, v1, s[4:5]
	s_wait_xcnt 0x0
	s_or_b32 exec_lo, exec_lo, s0
	s_delay_alu instid0(SALU_CYCLE_1)
	s_mov_b32 s0, exec_lo
	v_cmpx_gt_i32_e64 s1, v0
	s_cbranch_execz .LBB104_11
.LBB104_59:
	v_bfe_i32 v1, v22, 0, 8
	v_bfe_i32 v2, v23, 0, 8
	;; [unrolled: 1-line block ×3, first 2 shown]
	s_delay_alu instid0(VALU_DEP_2) | instskip(SKIP_2) | instid1(VALU_DEP_3)
	v_max_i16 v1, v2, v1
	v_add_nc_u32_e32 v2, s2, v0
	v_add_nc_u32_e32 v0, 0x100, v0
	v_min_i16 v1, v1, v3
	global_store_b8 v2, v1, s[4:5]
	s_wait_xcnt 0x0
	s_or_b32 exec_lo, exec_lo, s0
	s_delay_alu instid0(SALU_CYCLE_1)
	s_mov_b32 s0, exec_lo
	v_cmpx_gt_i32_e64 s1, v0
	s_cbranch_execz .LBB104_12
.LBB104_60:
	v_bfe_i32 v1, v17, 0, 8
	v_bfe_i32 v2, v19, 0, 8
	;; [unrolled: 1-line block ×3, first 2 shown]
	s_delay_alu instid0(VALU_DEP_2) | instskip(SKIP_2) | instid1(VALU_DEP_3)
	v_max_i16 v1, v2, v1
	v_add_nc_u32_e32 v2, s2, v0
	v_add_nc_u32_e32 v0, 0x100, v0
	v_min_i16 v1, v1, v3
	global_store_b8 v2, v1, s[4:5]
	s_wait_xcnt 0x0
	s_or_b32 exec_lo, exec_lo, s0
	s_delay_alu instid0(SALU_CYCLE_1)
	s_mov_b32 s0, exec_lo
	v_cmpx_gt_i32_e64 s1, v0
	s_cbranch_execz .LBB104_13
.LBB104_61:
	v_bfe_i32 v1, v16, 0, 8
	v_bfe_i32 v2, v20, 0, 8
	;; [unrolled: 1-line block ×3, first 2 shown]
	s_delay_alu instid0(VALU_DEP_2) | instskip(SKIP_2) | instid1(VALU_DEP_3)
	v_max_i16 v1, v2, v1
	v_add_nc_u32_e32 v2, s2, v0
	v_add_nc_u32_e32 v0, 0x100, v0
	v_min_i16 v1, v1, v3
	global_store_b8 v2, v1, s[4:5]
	s_wait_xcnt 0x0
	s_or_b32 exec_lo, exec_lo, s0
	s_delay_alu instid0(SALU_CYCLE_1)
	s_mov_b32 s0, exec_lo
	v_cmpx_gt_i32_e64 s1, v0
	s_cbranch_execz .LBB104_14
.LBB104_62:
	v_bfe_i32 v1, v18, 0, 8
	v_bfe_i32 v2, v24, 0, 8
	;; [unrolled: 1-line block ×3, first 2 shown]
	s_delay_alu instid0(VALU_DEP_2) | instskip(SKIP_2) | instid1(VALU_DEP_3)
	v_max_i16 v1, v2, v1
	v_add_nc_u32_e32 v2, s2, v0
	v_add_nc_u32_e32 v0, 0x100, v0
	v_min_i16 v1, v1, v3
	global_store_b8 v2, v1, s[4:5]
	s_wait_xcnt 0x0
	s_or_b32 exec_lo, exec_lo, s0
	s_delay_alu instid0(SALU_CYCLE_1)
	s_mov_b32 s0, exec_lo
	v_cmpx_gt_i32_e64 s1, v0
	s_cbranch_execz .LBB104_15
.LBB104_63:
	v_bfe_i32 v1, v25, 0, 8
	v_bfe_i32 v2, v28, 0, 8
	;; [unrolled: 1-line block ×3, first 2 shown]
	s_delay_alu instid0(VALU_DEP_2) | instskip(SKIP_2) | instid1(VALU_DEP_3)
	v_max_i16 v1, v2, v1
	v_add_nc_u32_e32 v2, s2, v0
	v_add_nc_u32_e32 v0, 0x100, v0
	v_min_i16 v1, v1, v3
	global_store_b8 v2, v1, s[4:5]
	s_wait_xcnt 0x0
	s_or_b32 exec_lo, exec_lo, s0
	s_delay_alu instid0(SALU_CYCLE_1)
	s_mov_b32 s0, exec_lo
	v_cmpx_gt_i32_e64 s1, v0
	s_cbranch_execz .LBB104_16
.LBB104_64:
	v_bfe_i32 v1, v30, 0, 8
	v_bfe_i32 v2, v31, 0, 8
	;; [unrolled: 1-line block ×3, first 2 shown]
	s_delay_alu instid0(VALU_DEP_2) | instskip(SKIP_2) | instid1(VALU_DEP_3)
	v_max_i16 v1, v2, v1
	v_add_nc_u32_e32 v2, s2, v0
	v_add_nc_u32_e32 v0, 0x100, v0
	v_min_i16 v1, v1, v3
	global_store_b8 v2, v1, s[4:5]
	s_wait_xcnt 0x0
	s_or_b32 exec_lo, exec_lo, s0
	s_delay_alu instid0(SALU_CYCLE_1)
	s_mov_b32 s0, exec_lo
	v_cmpx_gt_i32_e64 s1, v0
	s_cbranch_execz .LBB104_17
.LBB104_65:
	v_bfe_i32 v1, v34, 0, 8
	v_bfe_i32 v2, v39, 0, 8
	;; [unrolled: 1-line block ×3, first 2 shown]
	s_delay_alu instid0(VALU_DEP_2) | instskip(SKIP_2) | instid1(VALU_DEP_3)
	v_max_i16 v1, v2, v1
	v_add_nc_u32_e32 v2, s2, v0
	v_add_nc_u32_e32 v0, 0x100, v0
	v_min_i16 v1, v1, v3
	global_store_b8 v2, v1, s[4:5]
	s_wait_xcnt 0x0
	s_or_b32 exec_lo, exec_lo, s0
	s_delay_alu instid0(SALU_CYCLE_1)
	s_mov_b32 s0, exec_lo
	v_cmpx_gt_i32_e64 s1, v0
	s_cbranch_execz .LBB104_18
.LBB104_66:
	v_bfe_i32 v1, v41, 0, 8
	v_bfe_i32 v2, v45, 0, 8
	;; [unrolled: 1-line block ×3, first 2 shown]
	s_delay_alu instid0(VALU_DEP_2) | instskip(SKIP_2) | instid1(VALU_DEP_3)
	v_max_i16 v1, v2, v1
	v_add_nc_u32_e32 v2, s2, v0
	v_add_nc_u32_e32 v0, 0x100, v0
	v_min_i16 v1, v1, v3
	global_store_b8 v2, v1, s[4:5]
	s_wait_xcnt 0x0
	s_or_b32 exec_lo, exec_lo, s0
	s_delay_alu instid0(SALU_CYCLE_1)
	s_mov_b32 s0, exec_lo
	v_cmpx_gt_i32_e64 s1, v0
	s_cbranch_execz .LBB104_19
.LBB104_67:
	v_bfe_i32 v1, v46, 0, 8
	v_bfe_i32 v2, v48, 0, 8
	;; [unrolled: 1-line block ×3, first 2 shown]
	s_delay_alu instid0(VALU_DEP_2) | instskip(SKIP_2) | instid1(VALU_DEP_3)
	v_max_i16 v1, v2, v1
	v_add_nc_u32_e32 v2, s2, v0
	v_add_nc_u32_e32 v0, 0x100, v0
	v_min_i16 v1, v1, v3
	global_store_b8 v2, v1, s[4:5]
	s_wait_xcnt 0x0
	s_or_b32 exec_lo, exec_lo, s0
	s_delay_alu instid0(SALU_CYCLE_1)
	s_mov_b32 s0, exec_lo
	v_cmpx_gt_i32_e64 s1, v0
	s_cbranch_execz .LBB104_20
.LBB104_68:
	v_bfe_i32 v1, v49, 0, 8
	v_bfe_i32 v2, v51, 0, 8
	;; [unrolled: 1-line block ×3, first 2 shown]
	s_delay_alu instid0(VALU_DEP_2) | instskip(SKIP_2) | instid1(VALU_DEP_3)
	v_max_i16 v1, v2, v1
	v_add_nc_u32_e32 v2, s2, v0
	v_add_nc_u32_e32 v0, 0x100, v0
	v_min_i16 v1, v1, v3
	global_store_b8 v2, v1, s[4:5]
	s_wait_xcnt 0x0
	s_or_b32 exec_lo, exec_lo, s0
	s_delay_alu instid0(SALU_CYCLE_1)
	s_mov_b32 s0, exec_lo
	v_cmpx_gt_i32_e64 s1, v0
	s_cbranch_execz .LBB104_21
.LBB104_69:
	v_bfe_i32 v1, v52, 0, 8
	v_bfe_i32 v2, v53, 0, 8
	;; [unrolled: 1-line block ×3, first 2 shown]
	s_delay_alu instid0(VALU_DEP_2) | instskip(SKIP_2) | instid1(VALU_DEP_3)
	v_max_i16 v1, v2, v1
	v_add_nc_u32_e32 v2, s2, v0
	v_add_nc_u32_e32 v0, 0x100, v0
	v_min_i16 v1, v1, v3
	global_store_b8 v2, v1, s[4:5]
	s_wait_xcnt 0x0
	s_or_b32 exec_lo, exec_lo, s0
	s_delay_alu instid0(SALU_CYCLE_1)
	s_mov_b32 s0, exec_lo
	v_cmpx_gt_i32_e64 s1, v0
	s_cbranch_execnz .LBB104_22
	s_branch .LBB104_23
	.section	.rodata,"a",@progbits
	.p2align	6, 0x0
	.amdhsa_kernel _ZN2at6native29vectorized_elementwise_kernelILi16EZZZNS0_12_GLOBAL__N_117clamp_kernel_implERNS_18TensorIteratorBaseEENKUlvE_clEvENKUlvE0_clEvEUlaaaE_St5arrayIPcLm4EEEEviT0_T1_
		.amdhsa_group_segment_fixed_size 0
		.amdhsa_private_segment_fixed_size 0
		.amdhsa_kernarg_size 40
		.amdhsa_user_sgpr_count 2
		.amdhsa_user_sgpr_dispatch_ptr 0
		.amdhsa_user_sgpr_queue_ptr 0
		.amdhsa_user_sgpr_kernarg_segment_ptr 1
		.amdhsa_user_sgpr_dispatch_id 0
		.amdhsa_user_sgpr_kernarg_preload_length 0
		.amdhsa_user_sgpr_kernarg_preload_offset 0
		.amdhsa_user_sgpr_private_segment_size 0
		.amdhsa_wavefront_size32 1
		.amdhsa_uses_dynamic_stack 0
		.amdhsa_enable_private_segment 0
		.amdhsa_system_sgpr_workgroup_id_x 1
		.amdhsa_system_sgpr_workgroup_id_y 0
		.amdhsa_system_sgpr_workgroup_id_z 0
		.amdhsa_system_sgpr_workgroup_info 0
		.amdhsa_system_vgpr_workitem_id 0
		.amdhsa_next_free_vgpr 57
		.amdhsa_next_free_sgpr 21
		.amdhsa_named_barrier_count 0
		.amdhsa_reserve_vcc 1
		.amdhsa_float_round_mode_32 0
		.amdhsa_float_round_mode_16_64 0
		.amdhsa_float_denorm_mode_32 3
		.amdhsa_float_denorm_mode_16_64 3
		.amdhsa_fp16_overflow 0
		.amdhsa_memory_ordered 1
		.amdhsa_forward_progress 1
		.amdhsa_inst_pref_size 48
		.amdhsa_round_robin_scheduling 0
		.amdhsa_exception_fp_ieee_invalid_op 0
		.amdhsa_exception_fp_denorm_src 0
		.amdhsa_exception_fp_ieee_div_zero 0
		.amdhsa_exception_fp_ieee_overflow 0
		.amdhsa_exception_fp_ieee_underflow 0
		.amdhsa_exception_fp_ieee_inexact 0
		.amdhsa_exception_int_div_zero 0
	.end_amdhsa_kernel
	.section	.text._ZN2at6native29vectorized_elementwise_kernelILi16EZZZNS0_12_GLOBAL__N_117clamp_kernel_implERNS_18TensorIteratorBaseEENKUlvE_clEvENKUlvE0_clEvEUlaaaE_St5arrayIPcLm4EEEEviT0_T1_,"axG",@progbits,_ZN2at6native29vectorized_elementwise_kernelILi16EZZZNS0_12_GLOBAL__N_117clamp_kernel_implERNS_18TensorIteratorBaseEENKUlvE_clEvENKUlvE0_clEvEUlaaaE_St5arrayIPcLm4EEEEviT0_T1_,comdat
.Lfunc_end104:
	.size	_ZN2at6native29vectorized_elementwise_kernelILi16EZZZNS0_12_GLOBAL__N_117clamp_kernel_implERNS_18TensorIteratorBaseEENKUlvE_clEvENKUlvE0_clEvEUlaaaE_St5arrayIPcLm4EEEEviT0_T1_, .Lfunc_end104-_ZN2at6native29vectorized_elementwise_kernelILi16EZZZNS0_12_GLOBAL__N_117clamp_kernel_implERNS_18TensorIteratorBaseEENKUlvE_clEvENKUlvE0_clEvEUlaaaE_St5arrayIPcLm4EEEEviT0_T1_
                                        ; -- End function
	.set _ZN2at6native29vectorized_elementwise_kernelILi16EZZZNS0_12_GLOBAL__N_117clamp_kernel_implERNS_18TensorIteratorBaseEENKUlvE_clEvENKUlvE0_clEvEUlaaaE_St5arrayIPcLm4EEEEviT0_T1_.num_vgpr, 57
	.set _ZN2at6native29vectorized_elementwise_kernelILi16EZZZNS0_12_GLOBAL__N_117clamp_kernel_implERNS_18TensorIteratorBaseEENKUlvE_clEvENKUlvE0_clEvEUlaaaE_St5arrayIPcLm4EEEEviT0_T1_.num_agpr, 0
	.set _ZN2at6native29vectorized_elementwise_kernelILi16EZZZNS0_12_GLOBAL__N_117clamp_kernel_implERNS_18TensorIteratorBaseEENKUlvE_clEvENKUlvE0_clEvEUlaaaE_St5arrayIPcLm4EEEEviT0_T1_.numbered_sgpr, 21
	.set _ZN2at6native29vectorized_elementwise_kernelILi16EZZZNS0_12_GLOBAL__N_117clamp_kernel_implERNS_18TensorIteratorBaseEENKUlvE_clEvENKUlvE0_clEvEUlaaaE_St5arrayIPcLm4EEEEviT0_T1_.num_named_barrier, 0
	.set _ZN2at6native29vectorized_elementwise_kernelILi16EZZZNS0_12_GLOBAL__N_117clamp_kernel_implERNS_18TensorIteratorBaseEENKUlvE_clEvENKUlvE0_clEvEUlaaaE_St5arrayIPcLm4EEEEviT0_T1_.private_seg_size, 0
	.set _ZN2at6native29vectorized_elementwise_kernelILi16EZZZNS0_12_GLOBAL__N_117clamp_kernel_implERNS_18TensorIteratorBaseEENKUlvE_clEvENKUlvE0_clEvEUlaaaE_St5arrayIPcLm4EEEEviT0_T1_.uses_vcc, 1
	.set _ZN2at6native29vectorized_elementwise_kernelILi16EZZZNS0_12_GLOBAL__N_117clamp_kernel_implERNS_18TensorIteratorBaseEENKUlvE_clEvENKUlvE0_clEvEUlaaaE_St5arrayIPcLm4EEEEviT0_T1_.uses_flat_scratch, 0
	.set _ZN2at6native29vectorized_elementwise_kernelILi16EZZZNS0_12_GLOBAL__N_117clamp_kernel_implERNS_18TensorIteratorBaseEENKUlvE_clEvENKUlvE0_clEvEUlaaaE_St5arrayIPcLm4EEEEviT0_T1_.has_dyn_sized_stack, 0
	.set _ZN2at6native29vectorized_elementwise_kernelILi16EZZZNS0_12_GLOBAL__N_117clamp_kernel_implERNS_18TensorIteratorBaseEENKUlvE_clEvENKUlvE0_clEvEUlaaaE_St5arrayIPcLm4EEEEviT0_T1_.has_recursion, 0
	.set _ZN2at6native29vectorized_elementwise_kernelILi16EZZZNS0_12_GLOBAL__N_117clamp_kernel_implERNS_18TensorIteratorBaseEENKUlvE_clEvENKUlvE0_clEvEUlaaaE_St5arrayIPcLm4EEEEviT0_T1_.has_indirect_call, 0
	.section	.AMDGPU.csdata,"",@progbits
; Kernel info:
; codeLenInByte = 6096
; TotalNumSgprs: 23
; NumVgprs: 57
; ScratchSize: 0
; MemoryBound: 0
; FloatMode: 240
; IeeeMode: 1
; LDSByteSize: 0 bytes/workgroup (compile time only)
; SGPRBlocks: 0
; VGPRBlocks: 3
; NumSGPRsForWavesPerEU: 23
; NumVGPRsForWavesPerEU: 57
; NamedBarCnt: 0
; Occupancy: 16
; WaveLimiterHint : 0
; COMPUTE_PGM_RSRC2:SCRATCH_EN: 0
; COMPUTE_PGM_RSRC2:USER_SGPR: 2
; COMPUTE_PGM_RSRC2:TRAP_HANDLER: 0
; COMPUTE_PGM_RSRC2:TGID_X_EN: 1
; COMPUTE_PGM_RSRC2:TGID_Y_EN: 0
; COMPUTE_PGM_RSRC2:TGID_Z_EN: 0
; COMPUTE_PGM_RSRC2:TIDIG_COMP_CNT: 0
	.section	.text._ZN2at6native29vectorized_elementwise_kernelILi8EZZZNS0_12_GLOBAL__N_117clamp_kernel_implERNS_18TensorIteratorBaseEENKUlvE_clEvENKUlvE0_clEvEUlaaaE_St5arrayIPcLm4EEEEviT0_T1_,"axG",@progbits,_ZN2at6native29vectorized_elementwise_kernelILi8EZZZNS0_12_GLOBAL__N_117clamp_kernel_implERNS_18TensorIteratorBaseEENKUlvE_clEvENKUlvE0_clEvEUlaaaE_St5arrayIPcLm4EEEEviT0_T1_,comdat
	.globl	_ZN2at6native29vectorized_elementwise_kernelILi8EZZZNS0_12_GLOBAL__N_117clamp_kernel_implERNS_18TensorIteratorBaseEENKUlvE_clEvENKUlvE0_clEvEUlaaaE_St5arrayIPcLm4EEEEviT0_T1_ ; -- Begin function _ZN2at6native29vectorized_elementwise_kernelILi8EZZZNS0_12_GLOBAL__N_117clamp_kernel_implERNS_18TensorIteratorBaseEENKUlvE_clEvENKUlvE0_clEvEUlaaaE_St5arrayIPcLm4EEEEviT0_T1_
	.p2align	8
	.type	_ZN2at6native29vectorized_elementwise_kernelILi8EZZZNS0_12_GLOBAL__N_117clamp_kernel_implERNS_18TensorIteratorBaseEENKUlvE_clEvENKUlvE0_clEvEUlaaaE_St5arrayIPcLm4EEEEviT0_T1_,@function
_ZN2at6native29vectorized_elementwise_kernelILi8EZZZNS0_12_GLOBAL__N_117clamp_kernel_implERNS_18TensorIteratorBaseEENKUlvE_clEvENKUlvE0_clEvEUlaaaE_St5arrayIPcLm4EEEEviT0_T1_: ; @_ZN2at6native29vectorized_elementwise_kernelILi8EZZZNS0_12_GLOBAL__N_117clamp_kernel_implERNS_18TensorIteratorBaseEENKUlvE_clEvENKUlvE0_clEvEUlaaaE_St5arrayIPcLm4EEEEviT0_T1_
; %bb.0:
	s_clause 0x1
	s_load_b32 s3, s[0:1], 0x0
	s_load_b256 s[4:11], s[0:1], 0x8
	s_wait_xcnt 0x0
	s_bfe_u32 s0, ttmp6, 0x4000c
	s_and_b32 s1, ttmp6, 15
	s_add_co_i32 s0, s0, 1
	s_getreg_b32 s2, hwreg(HW_REG_IB_STS2, 6, 4)
	s_mul_i32 s0, ttmp9, s0
	s_delay_alu instid0(SALU_CYCLE_1) | instskip(SKIP_2) | instid1(SALU_CYCLE_1)
	s_add_co_i32 s1, s1, s0
	s_cmp_eq_u32 s2, 0
	s_cselect_b32 s0, ttmp9, s1
	s_lshl_b32 s2, s0, 12
	s_mov_b32 s0, -1
	s_wait_kmcnt 0x0
	s_sub_co_i32 s1, s3, s2
	s_delay_alu instid0(SALU_CYCLE_1)
	s_cmp_gt_i32 s1, 0xfff
	s_cbranch_scc0 .LBB105_2
; %bb.1:
	s_ashr_i32 s3, s2, 31
	s_mov_b32 s0, 0
	s_add_nc_u64 s[12:13], s[6:7], s[2:3]
	s_clause 0x1
	global_load_b64 v[2:3], v0, s[12:13] scale_offset
	global_load_b64 v[4:5], v0, s[12:13] offset:2048 scale_offset
	s_wait_xcnt 0x0
	s_add_nc_u64 s[12:13], s[8:9], s[2:3]
	s_clause 0x1
	global_load_b64 v[6:7], v0, s[12:13] scale_offset
	global_load_b64 v[8:9], v0, s[12:13] offset:2048 scale_offset
	s_wait_xcnt 0x0
	;; [unrolled: 5-line block ×3, first 2 shown]
	s_add_nc_u64 s[12:13], s[4:5], s[2:3]
	s_wait_loadcnt 0x5
	v_bfe_i32 v1, v2, 0, 8
	v_dual_lshrrev_b32 v14, 8, v2 :: v_dual_lshrrev_b32 v15, 16, v2
	v_dual_lshrrev_b32 v2, 24, v2 :: v_dual_lshrrev_b32 v17, 8, v3
	v_bfe_i32 v16, v3, 0, 8
	v_dual_lshrrev_b32 v18, 16, v3 :: v_dual_lshrrev_b32 v3, 24, v3
	s_wait_loadcnt 0x3
	v_bfe_i32 v25, v6, 0, 8
	v_dual_lshrrev_b32 v26, 8, v6 :: v_dual_lshrrev_b32 v27, 16, v6
	v_dual_lshrrev_b32 v6, 24, v6 :: v_dual_lshrrev_b32 v29, 8, v7
	v_bfe_i32 v28, v7, 0, 8
	v_dual_lshrrev_b32 v30, 16, v7 :: v_dual_lshrrev_b32 v7, 24, v7
	v_bfe_i32 v19, v4, 0, 8
	v_dual_lshrrev_b32 v20, 8, v4 :: v_dual_lshrrev_b32 v21, 16, v4
	v_lshrrev_b32_e32 v24, 16, v5
	s_wait_loadcnt 0x2
	v_bfe_i32 v31, v8, 0, 8
	v_dual_lshrrev_b32 v32, 8, v8 :: v_dual_lshrrev_b32 v33, 16, v8
	v_dual_lshrrev_b32 v36, 16, v9 :: v_dual_lshrrev_b32 v4, 24, v4
	v_lshrrev_b32_e32 v23, 8, v5
	v_bfe_i32 v22, v5, 0, 8
	v_dual_lshrrev_b32 v5, 24, v5 :: v_dual_lshrrev_b32 v8, 24, v8
	v_lshrrev_b32_e32 v35, 8, v9
	v_bfe_i32 v34, v9, 0, 8
	s_wait_loadcnt 0x1
	v_dual_lshrrev_b32 v9, 24, v9 :: v_dual_lshrrev_b32 v38, 8, v10
	v_lshrrev_b32_e32 v39, 16, v10
	v_bfe_i32 v40, v11, 0, 8
	v_lshrrev_b32_e32 v42, 16, v11
	v_bfe_i32 v14, v14, 0, 8
	v_bfe_i32 v15, v15, 0, 8
	;; [unrolled: 1-line block ×10, first 2 shown]
	v_max_i16 v16, v16, v28
	v_bfe_i32 v37, v10, 0, 8
	v_dual_lshrrev_b32 v10, 24, v10 :: v_dual_lshrrev_b32 v41, 8, v11
	v_lshrrev_b32_e32 v11, 24, v11
	s_wait_loadcnt 0x0
	v_bfe_i32 v43, v12, 0, 8
	v_dual_lshrrev_b32 v44, 8, v12 :: v_dual_lshrrev_b32 v45, 16, v12
	v_lshrrev_b32_e32 v48, 16, v13
	v_bfe_i32 v3, v3, 0, 8
	v_bfe_i32 v20, v20, 0, 8
	;; [unrolled: 1-line block ×8, first 2 shown]
	v_max_i16 v19, v19, v31
	v_dual_lshrrev_b32 v12, 24, v12 :: v_dual_lshrrev_b32 v47, 8, v13
	v_bfe_i32 v46, v13, 0, 8
	v_lshrrev_b32_e32 v13, 24, v13
	v_bfe_i32 v5, v5, 0, 8
	v_bfe_i32 v9, v9, 0, 8
	;; [unrolled: 1-line block ×5, first 2 shown]
	v_max_i16 v14, v14, v26
	v_max_i16 v15, v15, v27
	v_max_i16 v2, v2, v6
	v_min_i16 v6, v16, v40
	v_max_i16 v16, v17, v29
	v_max_i16 v17, v18, v30
	v_bfe_i32 v4, v4, 0, 8
	v_bfe_i32 v23, v23, 0, 8
	;; [unrolled: 1-line block ×10, first 2 shown]
	v_max_i16 v3, v3, v7
	v_min_i16 v7, v19, v43
	v_max_i16 v18, v20, v32
	v_max_i16 v19, v21, v33
	;; [unrolled: 1-line block ×4, first 2 shown]
	v_bfe_i32 v13, v13, 0, 8
	v_max_i16 v5, v5, v9
	v_min_i16 v9, v14, v38
	v_min_i16 v14, v15, v39
	;; [unrolled: 1-line block ×3, first 2 shown]
	v_bfe_i32 v12, v12, 0, 8
	v_bfe_i32 v47, v47, 0, 8
	v_max_i16 v4, v4, v8
	v_max_i16 v20, v23, v35
	v_min_i16 v2, v2, v10
	v_min_i16 v10, v16, v41
	;; [unrolled: 1-line block ×8, first 2 shown]
	v_and_b32_e32 v9, 0xff, v9
	v_and_b32_e32 v13, 0xff, v14
	;; [unrolled: 1-line block ×3, first 2 shown]
	v_max_i16 v22, v22, v34
	v_min_i16 v4, v4, v12
	v_min_i16 v12, v20, v47
	v_and_b32_e32 v11, 0xff, v11
	v_and_b32_e32 v15, 0xff, v16
	;; [unrolled: 1-line block ×3, first 2 shown]
	v_dual_lshlrev_b32 v2, 24, v2 :: v_dual_lshlrev_b32 v3, 24, v3
	v_and_b32_e32 v10, 0xff, v10
	v_perm_b32 v1, v9, v1, 0x6050400
	v_dual_lshlrev_b32 v9, 16, v13 :: v_dual_lshlrev_b32 v13, 16, v14
	v_min_i16 v8, v22, v46
	v_dual_lshlrev_b32 v4, 24, v4 :: v_dual_lshlrev_b32 v5, 24, v5
	v_and_b32_e32 v12, 0xff, v12
	v_perm_b32 v7, v11, v7, 0x6050400
	v_dual_lshlrev_b32 v11, 16, v16 :: v_dual_lshlrev_b32 v14, 16, v15
	v_and_b32_e32 v6, 0xff, v6
	v_dual_lshlrev_b32 v10, 8, v10 :: v_dual_bitop2_b32 v3, v3, v13 bitop3:0x54
	v_or3_b32 v1, v1, v9, v2
	v_and_b32_e32 v8, 0xff, v8
	v_dual_lshlrev_b32 v12, 8, v12 :: v_dual_bitop2_b32 v5, v5, v11 bitop3:0x54
	v_or3_b32 v4, v7, v14, v4
	v_or3_b32 v3, v6, v10, v3
	v_or3_b32 v2, v1, 0, 0
	s_delay_alu instid0(VALU_DEP_4) | instskip(NEXT) | instid1(VALU_DEP_4)
	v_or3_b32 v5, v8, v12, v5
	v_or3_b32 v4, v4, 0, 0
	s_clause 0x1
	global_store_b64 v0, v[2:3], s[12:13] scale_offset
	global_store_b64 v0, v[4:5], s[12:13] offset:2048 scale_offset
.LBB105_2:
	s_and_not1_b32 vcc_lo, exec_lo, s0
	s_cbranch_vccnz .LBB105_23
; %bb.3:
	v_cmp_le_i32_e64 s0, s1, v0
	v_or_b32_e32 v1, 0x100, v0
	v_cmp_gt_i32_e32 vcc_lo, s1, v0
	s_wait_xcnt 0x0
	s_and_saveexec_b32 s3, s0
	s_delay_alu instid0(SALU_CYCLE_1)
	s_xor_b32 s0, exec_lo, s3
; %bb.4:
	v_or_b32_e32 v1, 0x100, v0
; %bb.5:
	s_or_saveexec_b32 s3, s0
	v_dual_mov_b32 v54, 0 :: v_dual_bitop2_b32 v10, s2, v0 bitop3:0x54
	v_dual_mov_b32 v53, 0 :: v_dual_mov_b32 v52, 0
	v_dual_mov_b32 v50, 0 :: v_dual_mov_b32 v51, 0
	;; [unrolled: 1-line block ×22, first 2 shown]
	v_mov_b32_e32 v42, 0
	s_xor_b32 exec_lo, exec_lo, s3
	s_cbranch_execnz .LBB105_24
; %bb.6:
	s_or_b32 exec_lo, exec_lo, s3
	s_and_saveexec_b32 s0, vcc_lo
	s_cbranch_execnz .LBB105_55
.LBB105_7:
	s_or_b32 exec_lo, exec_lo, s0
	s_delay_alu instid0(SALU_CYCLE_1)
	s_mov_b32 s0, exec_lo
	v_cmpx_gt_i32_e64 s1, v0
	s_cbranch_execnz .LBB105_56
.LBB105_8:
	s_or_b32 exec_lo, exec_lo, s0
	s_delay_alu instid0(SALU_CYCLE_1)
	s_mov_b32 s0, exec_lo
	v_cmpx_gt_i32_e64 s1, v0
	s_cbranch_execnz .LBB105_57
.LBB105_9:
	s_or_b32 exec_lo, exec_lo, s0
	s_delay_alu instid0(SALU_CYCLE_1)
	s_mov_b32 s0, exec_lo
	v_cmpx_gt_i32_e64 s1, v0
	s_cbranch_execnz .LBB105_58
.LBB105_10:
	s_or_b32 exec_lo, exec_lo, s0
	s_delay_alu instid0(SALU_CYCLE_1)
	s_mov_b32 s0, exec_lo
	v_cmpx_gt_i32_e64 s1, v0
	s_cbranch_execnz .LBB105_59
.LBB105_11:
	s_or_b32 exec_lo, exec_lo, s0
	s_delay_alu instid0(SALU_CYCLE_1)
	s_mov_b32 s0, exec_lo
	v_cmpx_gt_i32_e64 s1, v0
	s_cbranch_execnz .LBB105_60
.LBB105_12:
	s_or_b32 exec_lo, exec_lo, s0
	s_delay_alu instid0(SALU_CYCLE_1)
	s_mov_b32 s0, exec_lo
	v_cmpx_gt_i32_e64 s1, v0
	s_cbranch_execnz .LBB105_61
.LBB105_13:
	s_or_b32 exec_lo, exec_lo, s0
	s_delay_alu instid0(SALU_CYCLE_1)
	s_mov_b32 s0, exec_lo
	v_cmpx_gt_i32_e64 s1, v0
	s_cbranch_execnz .LBB105_62
.LBB105_14:
	s_or_b32 exec_lo, exec_lo, s0
	s_delay_alu instid0(SALU_CYCLE_1)
	s_mov_b32 s0, exec_lo
	v_cmpx_gt_i32_e64 s1, v0
	s_cbranch_execnz .LBB105_63
.LBB105_15:
	s_or_b32 exec_lo, exec_lo, s0
	s_delay_alu instid0(SALU_CYCLE_1)
	s_mov_b32 s0, exec_lo
	v_cmpx_gt_i32_e64 s1, v0
	s_cbranch_execnz .LBB105_64
.LBB105_16:
	s_or_b32 exec_lo, exec_lo, s0
	s_delay_alu instid0(SALU_CYCLE_1)
	s_mov_b32 s0, exec_lo
	v_cmpx_gt_i32_e64 s1, v0
	s_cbranch_execnz .LBB105_65
.LBB105_17:
	s_or_b32 exec_lo, exec_lo, s0
	s_delay_alu instid0(SALU_CYCLE_1)
	s_mov_b32 s0, exec_lo
	v_cmpx_gt_i32_e64 s1, v0
	s_cbranch_execnz .LBB105_66
.LBB105_18:
	s_or_b32 exec_lo, exec_lo, s0
	s_delay_alu instid0(SALU_CYCLE_1)
	s_mov_b32 s0, exec_lo
	v_cmpx_gt_i32_e64 s1, v0
	s_cbranch_execnz .LBB105_67
.LBB105_19:
	s_or_b32 exec_lo, exec_lo, s0
	s_delay_alu instid0(SALU_CYCLE_1)
	s_mov_b32 s0, exec_lo
	v_cmpx_gt_i32_e64 s1, v0
	s_cbranch_execnz .LBB105_68
.LBB105_20:
	s_or_b32 exec_lo, exec_lo, s0
	s_delay_alu instid0(SALU_CYCLE_1)
	s_mov_b32 s0, exec_lo
	v_cmpx_gt_i32_e64 s1, v0
	s_cbranch_execnz .LBB105_69
.LBB105_21:
	s_or_b32 exec_lo, exec_lo, s0
	s_delay_alu instid0(SALU_CYCLE_1)
	s_mov_b32 s0, exec_lo
	v_cmpx_gt_i32_e64 s1, v0
	s_cbranch_execz .LBB105_23
.LBB105_22:
	v_add_nc_u32_e32 v0, s2, v0
	global_store_b8 v0, v54, s[4:5]
.LBB105_23:
	s_endpgm
.LBB105_24:
	s_clause 0x2
	global_load_u8 v40, v10, s[6:7]
	global_load_u8 v43, v10, s[8:9]
	;; [unrolled: 1-line block ×3, first 2 shown]
	v_cmp_gt_u32_e64 s0, s1, v1
	v_dual_mov_b32 v35, 0 :: v_dual_mov_b32 v38, 0
	v_dual_mov_b32 v37, 0 :: v_dual_mov_b32 v3, 0
	;; [unrolled: 1-line block ×21, first 2 shown]
	v_mov_b32_e32 v54, 0
	s_wait_xcnt 0x0
	s_and_saveexec_b32 s12, s0
	s_cbranch_execz .LBB105_54
; %bb.25:
	v_dual_mov_b32 v3, 0 :: v_dual_add_nc_u32 v2, s2, v0
	v_or_b32_e32 v4, 0x200, v0
	v_dual_mov_b32 v33, 0 :: v_dual_mov_b32 v32, 0
	s_clause 0x2
	global_load_u8 v37, v2, s[6:7] offset:256
	global_load_u8 v38, v2, s[8:9] offset:256
	;; [unrolled: 1-line block ×3, first 2 shown]
	v_mov_b32_e32 v26, 0
	v_cmp_gt_u32_e64 s0, s1, v4
	v_dual_mov_b32 v4, 0 :: v_dual_mov_b32 v27, 0
	v_dual_mov_b32 v15, 0 :: v_dual_mov_b32 v22, 0
	;; [unrolled: 1-line block ×18, first 2 shown]
	s_wait_xcnt 0x0
	s_and_saveexec_b32 s13, s0
	s_cbranch_execz .LBB105_53
; %bb.26:
	v_add_nc_u64_e32 v[4:5], s[6:7], v[2:3]
	v_add_nc_u64_e32 v[6:7], s[8:9], v[2:3]
	;; [unrolled: 1-line block ×3, first 2 shown]
	v_or_b32_e32 v11, 0x300, v0
	v_dual_mov_b32 v26, 0 :: v_dual_mov_b32 v27, 0
	v_dual_mov_b32 v15, 0 :: v_dual_mov_b32 v22, 0
	global_load_u8 v32, v[4:5], off offset:512
	global_load_u8 v33, v[6:7], off offset:512
	;; [unrolled: 1-line block ×3, first 2 shown]
	v_cmp_gt_u32_e64 s0, s1, v11
	v_dual_mov_b32 v23, 0 :: v_dual_mov_b32 v13, 0
	v_dual_mov_b32 v17, 0 :: v_dual_mov_b32 v19, 0
	v_dual_mov_b32 v11, 0 :: v_dual_mov_b32 v16, 0
	v_dual_mov_b32 v20, 0 :: v_dual_mov_b32 v12, 0
	v_dual_mov_b32 v18, 0 :: v_dual_mov_b32 v24, 0
	v_dual_mov_b32 v14, 0 :: v_dual_mov_b32 v25, 0
	v_dual_mov_b32 v28, 0 :: v_dual_mov_b32 v21, 0
	v_dual_mov_b32 v30, 0 :: v_dual_mov_b32 v31, 0
	v_dual_mov_b32 v29, 0 :: v_dual_mov_b32 v34, 0
	v_dual_mov_b32 v39, 0 :: v_dual_mov_b32 v36, 0
	v_dual_mov_b32 v41, 0 :: v_dual_mov_b32 v45, 0
	v_dual_mov_b32 v44, 0 :: v_dual_mov_b32 v46, 0
	v_dual_mov_b32 v48, 0 :: v_dual_mov_b32 v47, 0
	v_dual_mov_b32 v49, 0 :: v_dual_mov_b32 v51, 0
	v_dual_mov_b32 v50, 0 :: v_dual_mov_b32 v52, 0
	v_dual_mov_b32 v53, 0 :: v_dual_mov_b32 v54, 0
	s_wait_xcnt 0x0
	s_and_saveexec_b32 s6, s0
	s_cbranch_execz .LBB105_52
; %bb.27:
	global_load_u8 v27, v[4:5], off offset:768
	global_load_u8 v26, v[6:7], off offset:768
	;; [unrolled: 1-line block ×3, first 2 shown]
	v_or_b32_e32 v11, 0x400, v0
	v_dual_mov_b32 v15, 0 :: v_dual_mov_b32 v22, 0
	v_dual_mov_b32 v23, 0 :: v_dual_mov_b32 v13, 0
	s_delay_alu instid0(VALU_DEP_3)
	v_cmp_gt_u32_e64 s0, s1, v11
	v_dual_mov_b32 v17, 0 :: v_dual_mov_b32 v19, 0
	v_dual_mov_b32 v11, 0 :: v_dual_mov_b32 v16, 0
	;; [unrolled: 1-line block ×15, first 2 shown]
	s_wait_xcnt 0x0
	s_and_saveexec_b32 s7, s0
	s_cbranch_execz .LBB105_51
; %bb.28:
	global_load_u8 v23, v[4:5], off offset:1024
	global_load_u8 v22, v[6:7], off offset:1024
	;; [unrolled: 1-line block ×3, first 2 shown]
	v_or_b32_e32 v11, 0x500, v0
	v_dual_mov_b32 v13, 0 :: v_dual_mov_b32 v17, 0
	v_dual_mov_b32 v19, 0 :: v_dual_mov_b32 v16, 0
	v_mov_b32_e32 v20, 0
	s_delay_alu instid0(VALU_DEP_4)
	v_cmp_gt_u32_e64 s0, s1, v11
	v_dual_mov_b32 v11, 0 :: v_dual_mov_b32 v12, 0
	v_dual_mov_b32 v18, 0 :: v_dual_mov_b32 v24, 0
	;; [unrolled: 1-line block ×13, first 2 shown]
	s_wait_xcnt 0x0
	s_and_saveexec_b32 s8, s0
	s_cbranch_execz .LBB105_50
; %bb.29:
	global_load_u8 v19, v[4:5], off offset:1280
	global_load_u8 v17, v[6:7], off offset:1280
	;; [unrolled: 1-line block ×3, first 2 shown]
	v_or_b32_e32 v11, 0x600, v0
	v_dual_mov_b32 v20, 0 :: v_dual_mov_b32 v12, 0
	v_dual_mov_b32 v18, 0 :: v_dual_mov_b32 v24, 0
	s_delay_alu instid0(VALU_DEP_3)
	v_cmp_gt_u32_e64 s0, s1, v11
	v_dual_mov_b32 v11, 0 :: v_dual_mov_b32 v16, 0
	v_dual_mov_b32 v14, 0 :: v_dual_mov_b32 v25, 0
	;; [unrolled: 1-line block ×12, first 2 shown]
	s_wait_xcnt 0x0
	s_and_saveexec_b32 s9, s0
	s_cbranch_execz .LBB105_49
; %bb.30:
	global_load_u8 v20, v[4:5], off offset:1536
	global_load_u8 v16, v[6:7], off offset:1536
	;; [unrolled: 1-line block ×3, first 2 shown]
	v_or_b32_e32 v12, 0x700, v0
	v_dual_mov_b32 v24, 0 :: v_dual_mov_b32 v14, 0
	v_dual_mov_b32 v25, 0 :: v_dual_mov_b32 v28, 0
	s_delay_alu instid0(VALU_DEP_3)
	v_cmp_gt_u32_e64 s0, s1, v12
	v_dual_mov_b32 v12, 0 :: v_dual_mov_b32 v18, 0
	v_dual_mov_b32 v21, 0 :: v_dual_mov_b32 v30, 0
	v_dual_mov_b32 v31, 0 :: v_dual_mov_b32 v29, 0
	v_dual_mov_b32 v34, 0 :: v_dual_mov_b32 v39, 0
	v_dual_mov_b32 v36, 0 :: v_dual_mov_b32 v41, 0
	v_dual_mov_b32 v45, 0 :: v_dual_mov_b32 v44, 0
	v_dual_mov_b32 v46, 0 :: v_dual_mov_b32 v48, 0
	v_dual_mov_b32 v47, 0 :: v_dual_mov_b32 v49, 0
	v_dual_mov_b32 v51, 0 :: v_dual_mov_b32 v50, 0
	v_dual_mov_b32 v52, 0 :: v_dual_mov_b32 v53, 0
	v_mov_b32_e32 v54, 0
	s_wait_xcnt 0x0
	s_and_saveexec_b32 s10, s0
	s_cbranch_execz .LBB105_48
; %bb.31:
	global_load_u8 v24, v[4:5], off offset:1792
	global_load_u8 v18, v[6:7], off offset:1792
	;; [unrolled: 1-line block ×3, first 2 shown]
	v_or_b32_e32 v14, 0x800, v0
	v_dual_mov_b32 v28, 0 :: v_dual_mov_b32 v21, 0
	v_dual_mov_b32 v30, 0 :: v_dual_mov_b32 v31, 0
	s_delay_alu instid0(VALU_DEP_3)
	v_cmp_gt_u32_e64 s0, s1, v14
	v_dual_mov_b32 v14, 0 :: v_dual_mov_b32 v25, 0
	v_dual_mov_b32 v29, 0 :: v_dual_mov_b32 v34, 0
	;; [unrolled: 1-line block ×9, first 2 shown]
	s_wait_xcnt 0x0
	s_and_saveexec_b32 s11, s0
	s_cbranch_execz .LBB105_47
; %bb.32:
	global_load_u8 v28, v[4:5], off offset:2048
	global_load_u8 v25, v[6:7], off offset:2048
	;; [unrolled: 1-line block ×3, first 2 shown]
	v_or_b32_e32 v21, 0x900, v0
	v_dual_mov_b32 v31, 0 :: v_dual_mov_b32 v29, 0
	v_dual_mov_b32 v34, 0 :: v_dual_mov_b32 v39, 0
	s_delay_alu instid0(VALU_DEP_3)
	v_cmp_gt_u32_e64 s0, s1, v21
	v_dual_mov_b32 v21, 0 :: v_dual_mov_b32 v30, 0
	v_dual_mov_b32 v36, 0 :: v_dual_mov_b32 v41, 0
	;; [unrolled: 1-line block ×7, first 2 shown]
	v_mov_b32_e32 v54, 0
	s_wait_xcnt 0x0
	s_and_saveexec_b32 s14, s0
	s_cbranch_execz .LBB105_46
; %bb.33:
	global_load_u8 v31, v[4:5], off offset:2304
	global_load_u8 v30, v[6:7], off offset:2304
	;; [unrolled: 1-line block ×3, first 2 shown]
	v_or_b32_e32 v29, 0xa00, v0
	v_dual_mov_b32 v39, 0 :: v_dual_mov_b32 v36, 0
	v_dual_mov_b32 v41, 0 :: v_dual_mov_b32 v45, 0
	s_delay_alu instid0(VALU_DEP_3)
	v_cmp_gt_u32_e64 s0, s1, v29
	v_dual_mov_b32 v29, 0 :: v_dual_mov_b32 v34, 0
	v_dual_mov_b32 v44, 0 :: v_dual_mov_b32 v46, 0
	;; [unrolled: 1-line block ×6, first 2 shown]
	s_wait_xcnt 0x0
	s_and_saveexec_b32 s15, s0
	s_cbranch_execz .LBB105_45
; %bb.34:
	global_load_u8 v39, v[4:5], off offset:2560
	global_load_u8 v34, v[6:7], off offset:2560
	;; [unrolled: 1-line block ×3, first 2 shown]
	v_or_b32_e32 v36, 0xb00, v0
	v_dual_mov_b32 v45, 0 :: v_dual_mov_b32 v44, 0
	v_dual_mov_b32 v46, 0 :: v_dual_mov_b32 v48, 0
	s_delay_alu instid0(VALU_DEP_3)
	v_cmp_gt_u32_e64 s0, s1, v36
	v_dual_mov_b32 v36, 0 :: v_dual_mov_b32 v41, 0
	v_dual_mov_b32 v47, 0 :: v_dual_mov_b32 v49, 0
	;; [unrolled: 1-line block ×4, first 2 shown]
	v_mov_b32_e32 v54, 0
	s_wait_xcnt 0x0
	s_and_saveexec_b32 s16, s0
	s_cbranch_execz .LBB105_44
; %bb.35:
	global_load_u8 v45, v[4:5], off offset:2816
	global_load_u8 v41, v[6:7], off offset:2816
	;; [unrolled: 1-line block ×3, first 2 shown]
	v_or_b32_e32 v44, 0xc00, v0
	v_dual_mov_b32 v48, 0 :: v_dual_mov_b32 v47, 0
	v_dual_mov_b32 v49, 0 :: v_dual_mov_b32 v51, 0
	s_delay_alu instid0(VALU_DEP_3)
	v_cmp_gt_u32_e64 s0, s1, v44
	v_dual_mov_b32 v44, 0 :: v_dual_mov_b32 v46, 0
	v_dual_mov_b32 v50, 0 :: v_dual_mov_b32 v52, 0
	;; [unrolled: 1-line block ×3, first 2 shown]
	s_wait_xcnt 0x0
	s_and_saveexec_b32 s17, s0
	s_cbranch_execz .LBB105_43
; %bb.36:
	global_load_u8 v48, v[4:5], off offset:3072
	global_load_u8 v46, v[6:7], off offset:3072
	;; [unrolled: 1-line block ×3, first 2 shown]
	v_or_b32_e32 v47, 0xd00, v0
	v_dual_mov_b32 v51, 0 :: v_dual_mov_b32 v50, 0
	v_dual_mov_b32 v52, 0 :: v_dual_mov_b32 v53, 0
	s_delay_alu instid0(VALU_DEP_3)
	v_cmp_gt_u32_e64 s0, s1, v47
	v_dual_mov_b32 v47, 0 :: v_dual_mov_b32 v49, 0
	v_mov_b32_e32 v54, 0
	s_wait_xcnt 0x0
	s_and_saveexec_b32 s18, s0
	s_cbranch_execz .LBB105_42
; %bb.37:
	global_load_u8 v51, v[4:5], off offset:3328
	global_load_u8 v49, v[6:7], off offset:3328
	;; [unrolled: 1-line block ×3, first 2 shown]
	v_or_b32_e32 v50, 0xe00, v0
	v_dual_mov_b32 v53, 0 :: v_dual_mov_b32 v54, 0
	v_mov_b32_e32 v52, 0
	s_delay_alu instid0(VALU_DEP_3)
	v_cmp_gt_u32_e64 s0, s1, v50
	v_mov_b32_e32 v50, 0
	s_wait_xcnt 0x0
	s_and_saveexec_b32 s19, s0
	s_cbranch_execz .LBB105_41
; %bb.38:
	global_load_u8 v53, v[4:5], off offset:3584
	global_load_u8 v52, v[6:7], off offset:3584
	;; [unrolled: 1-line block ×3, first 2 shown]
	v_or_b32_e32 v54, 0xf00, v0
	s_delay_alu instid0(VALU_DEP_1)
	v_cmp_gt_u32_e64 s0, s1, v54
	v_mov_b32_e32 v54, 0
	s_wait_xcnt 0x0
	s_and_saveexec_b32 s20, s0
	s_cbranch_execz .LBB105_40
; %bb.39:
	global_load_i8 v54, v[4:5], off offset:3840
	global_load_i8 v55, v[6:7], off offset:3840
	;; [unrolled: 1-line block ×3, first 2 shown]
	s_wait_loadcnt 0x1
	s_wait_xcnt 0x2
	v_max_i16 v4, v54, v55
	s_wait_loadcnt 0x0
	s_delay_alu instid0(VALU_DEP_1)
	v_min_i16 v54, v4, v56
.LBB105_40:
	s_wait_xcnt 0x0
	s_or_b32 exec_lo, exec_lo, s20
.LBB105_41:
	s_delay_alu instid0(SALU_CYCLE_1)
	s_or_b32 exec_lo, exec_lo, s19
.LBB105_42:
	s_delay_alu instid0(SALU_CYCLE_1)
	s_or_b32 exec_lo, exec_lo, s18
.LBB105_43:
	s_delay_alu instid0(SALU_CYCLE_1)
	s_or_b32 exec_lo, exec_lo, s17
.LBB105_44:
	s_delay_alu instid0(SALU_CYCLE_1)
	s_or_b32 exec_lo, exec_lo, s16
.LBB105_45:
	s_delay_alu instid0(SALU_CYCLE_1)
	s_or_b32 exec_lo, exec_lo, s15
.LBB105_46:
	s_delay_alu instid0(SALU_CYCLE_1)
	s_or_b32 exec_lo, exec_lo, s14
.LBB105_47:
	s_delay_alu instid0(SALU_CYCLE_1)
	s_or_b32 exec_lo, exec_lo, s11
.LBB105_48:
	s_delay_alu instid0(SALU_CYCLE_1)
	s_or_b32 exec_lo, exec_lo, s10
.LBB105_49:
	s_delay_alu instid0(SALU_CYCLE_1)
	s_or_b32 exec_lo, exec_lo, s9
.LBB105_50:
	s_delay_alu instid0(SALU_CYCLE_1)
	s_or_b32 exec_lo, exec_lo, s8
.LBB105_51:
	s_delay_alu instid0(SALU_CYCLE_1)
	s_or_b32 exec_lo, exec_lo, s7
.LBB105_52:
	s_delay_alu instid0(SALU_CYCLE_1)
	s_or_b32 exec_lo, exec_lo, s6
	s_wait_loadcnt 0x0
	v_dual_mov_b32 v4, v3 :: v_dual_mov_b32 v3, v2
.LBB105_53:
	s_or_b32 exec_lo, exec_lo, s13
.LBB105_54:
	s_delay_alu instid0(SALU_CYCLE_1) | instskip(NEXT) | instid1(SALU_CYCLE_1)
	s_or_b32 exec_lo, exec_lo, s12
	s_or_b32 exec_lo, exec_lo, s3
	s_and_saveexec_b32 s0, vcc_lo
	s_cbranch_execz .LBB105_7
.LBB105_55:
	s_wait_loadcnt 0x1
	v_bfe_i32 v0, v43, 0, 8
	v_bfe_i32 v2, v40, 0, 8
	s_delay_alu instid0(VALU_DEP_1) | instskip(SKIP_2) | instid1(VALU_DEP_1)
	v_max_i16 v0, v2, v0
	s_wait_loadcnt 0x0
	v_bfe_i32 v2, v42, 0, 8
	v_min_i16 v2, v0, v2
	v_mov_b32_e32 v0, v1
	global_store_b8 v10, v2, s[4:5]
	s_wait_xcnt 0x0
	s_or_b32 exec_lo, exec_lo, s0
	s_delay_alu instid0(SALU_CYCLE_1)
	s_mov_b32 s0, exec_lo
	v_cmpx_gt_i32_e64 s1, v0
	s_cbranch_execz .LBB105_8
.LBB105_56:
	s_wait_loadcnt 0x1
	v_bfe_i32 v1, v38, 0, 8
	v_bfe_i32 v2, v37, 0, 8
	s_wait_loadcnt 0x0
	v_bfe_i32 v5, v35, 0, 8
	s_delay_alu instid0(VALU_DEP_2) | instskip(SKIP_2) | instid1(VALU_DEP_3)
	v_max_i16 v1, v2, v1
	v_add_nc_u32_e32 v2, s2, v0
	v_add_nc_u32_e32 v0, 0x100, v0
	v_min_i16 v1, v1, v5
	global_store_b8 v2, v1, s[4:5]
	s_wait_xcnt 0x0
	s_or_b32 exec_lo, exec_lo, s0
	s_delay_alu instid0(SALU_CYCLE_1)
	s_mov_b32 s0, exec_lo
	v_cmpx_gt_i32_e64 s1, v0
	s_cbranch_execz .LBB105_9
.LBB105_57:
	v_bfe_i32 v1, v33, 0, 8
	v_bfe_i32 v2, v32, 0, 8
	;; [unrolled: 1-line block ×3, first 2 shown]
	s_delay_alu instid0(VALU_DEP_2) | instskip(SKIP_2) | instid1(VALU_DEP_3)
	v_max_i16 v1, v2, v1
	v_add_nc_u32_e32 v2, s2, v0
	v_add_nc_u32_e32 v0, 0x100, v0
	v_min_i16 v1, v1, v3
	global_store_b8 v2, v1, s[4:5]
	s_wait_xcnt 0x0
	s_or_b32 exec_lo, exec_lo, s0
	s_delay_alu instid0(SALU_CYCLE_1)
	s_mov_b32 s0, exec_lo
	v_cmpx_gt_i32_e64 s1, v0
	s_cbranch_execz .LBB105_10
.LBB105_58:
	v_bfe_i32 v1, v26, 0, 8
	v_bfe_i32 v2, v27, 0, 8
	;; [unrolled: 1-line block ×3, first 2 shown]
	s_delay_alu instid0(VALU_DEP_2) | instskip(SKIP_2) | instid1(VALU_DEP_3)
	v_max_i16 v1, v2, v1
	v_add_nc_u32_e32 v2, s2, v0
	v_add_nc_u32_e32 v0, 0x100, v0
	v_min_i16 v1, v1, v3
	global_store_b8 v2, v1, s[4:5]
	s_wait_xcnt 0x0
	s_or_b32 exec_lo, exec_lo, s0
	s_delay_alu instid0(SALU_CYCLE_1)
	s_mov_b32 s0, exec_lo
	v_cmpx_gt_i32_e64 s1, v0
	s_cbranch_execz .LBB105_11
.LBB105_59:
	v_bfe_i32 v1, v22, 0, 8
	v_bfe_i32 v2, v23, 0, 8
	;; [unrolled: 1-line block ×3, first 2 shown]
	s_delay_alu instid0(VALU_DEP_2) | instskip(SKIP_2) | instid1(VALU_DEP_3)
	v_max_i16 v1, v2, v1
	v_add_nc_u32_e32 v2, s2, v0
	v_add_nc_u32_e32 v0, 0x100, v0
	v_min_i16 v1, v1, v3
	global_store_b8 v2, v1, s[4:5]
	s_wait_xcnt 0x0
	s_or_b32 exec_lo, exec_lo, s0
	s_delay_alu instid0(SALU_CYCLE_1)
	s_mov_b32 s0, exec_lo
	v_cmpx_gt_i32_e64 s1, v0
	s_cbranch_execz .LBB105_12
.LBB105_60:
	v_bfe_i32 v1, v17, 0, 8
	v_bfe_i32 v2, v19, 0, 8
	;; [unrolled: 1-line block ×3, first 2 shown]
	s_delay_alu instid0(VALU_DEP_2) | instskip(SKIP_2) | instid1(VALU_DEP_3)
	v_max_i16 v1, v2, v1
	v_add_nc_u32_e32 v2, s2, v0
	v_add_nc_u32_e32 v0, 0x100, v0
	v_min_i16 v1, v1, v3
	global_store_b8 v2, v1, s[4:5]
	s_wait_xcnt 0x0
	s_or_b32 exec_lo, exec_lo, s0
	s_delay_alu instid0(SALU_CYCLE_1)
	s_mov_b32 s0, exec_lo
	v_cmpx_gt_i32_e64 s1, v0
	s_cbranch_execz .LBB105_13
.LBB105_61:
	v_bfe_i32 v1, v16, 0, 8
	v_bfe_i32 v2, v20, 0, 8
	;; [unrolled: 1-line block ×3, first 2 shown]
	s_delay_alu instid0(VALU_DEP_2) | instskip(SKIP_2) | instid1(VALU_DEP_3)
	v_max_i16 v1, v2, v1
	v_add_nc_u32_e32 v2, s2, v0
	v_add_nc_u32_e32 v0, 0x100, v0
	v_min_i16 v1, v1, v3
	global_store_b8 v2, v1, s[4:5]
	s_wait_xcnt 0x0
	s_or_b32 exec_lo, exec_lo, s0
	s_delay_alu instid0(SALU_CYCLE_1)
	s_mov_b32 s0, exec_lo
	v_cmpx_gt_i32_e64 s1, v0
	s_cbranch_execz .LBB105_14
.LBB105_62:
	v_bfe_i32 v1, v18, 0, 8
	v_bfe_i32 v2, v24, 0, 8
	;; [unrolled: 1-line block ×3, first 2 shown]
	s_delay_alu instid0(VALU_DEP_2) | instskip(SKIP_2) | instid1(VALU_DEP_3)
	v_max_i16 v1, v2, v1
	v_add_nc_u32_e32 v2, s2, v0
	v_add_nc_u32_e32 v0, 0x100, v0
	v_min_i16 v1, v1, v3
	global_store_b8 v2, v1, s[4:5]
	s_wait_xcnt 0x0
	s_or_b32 exec_lo, exec_lo, s0
	s_delay_alu instid0(SALU_CYCLE_1)
	s_mov_b32 s0, exec_lo
	v_cmpx_gt_i32_e64 s1, v0
	s_cbranch_execz .LBB105_15
.LBB105_63:
	v_bfe_i32 v1, v25, 0, 8
	v_bfe_i32 v2, v28, 0, 8
	;; [unrolled: 1-line block ×3, first 2 shown]
	s_delay_alu instid0(VALU_DEP_2) | instskip(SKIP_2) | instid1(VALU_DEP_3)
	v_max_i16 v1, v2, v1
	v_add_nc_u32_e32 v2, s2, v0
	v_add_nc_u32_e32 v0, 0x100, v0
	v_min_i16 v1, v1, v3
	global_store_b8 v2, v1, s[4:5]
	s_wait_xcnt 0x0
	s_or_b32 exec_lo, exec_lo, s0
	s_delay_alu instid0(SALU_CYCLE_1)
	s_mov_b32 s0, exec_lo
	v_cmpx_gt_i32_e64 s1, v0
	s_cbranch_execz .LBB105_16
.LBB105_64:
	v_bfe_i32 v1, v30, 0, 8
	v_bfe_i32 v2, v31, 0, 8
	;; [unrolled: 1-line block ×3, first 2 shown]
	s_delay_alu instid0(VALU_DEP_2) | instskip(SKIP_2) | instid1(VALU_DEP_3)
	v_max_i16 v1, v2, v1
	v_add_nc_u32_e32 v2, s2, v0
	v_add_nc_u32_e32 v0, 0x100, v0
	v_min_i16 v1, v1, v3
	global_store_b8 v2, v1, s[4:5]
	s_wait_xcnt 0x0
	s_or_b32 exec_lo, exec_lo, s0
	s_delay_alu instid0(SALU_CYCLE_1)
	s_mov_b32 s0, exec_lo
	v_cmpx_gt_i32_e64 s1, v0
	s_cbranch_execz .LBB105_17
.LBB105_65:
	v_bfe_i32 v1, v34, 0, 8
	v_bfe_i32 v2, v39, 0, 8
	;; [unrolled: 1-line block ×3, first 2 shown]
	s_delay_alu instid0(VALU_DEP_2) | instskip(SKIP_2) | instid1(VALU_DEP_3)
	v_max_i16 v1, v2, v1
	v_add_nc_u32_e32 v2, s2, v0
	v_add_nc_u32_e32 v0, 0x100, v0
	v_min_i16 v1, v1, v3
	global_store_b8 v2, v1, s[4:5]
	s_wait_xcnt 0x0
	s_or_b32 exec_lo, exec_lo, s0
	s_delay_alu instid0(SALU_CYCLE_1)
	s_mov_b32 s0, exec_lo
	v_cmpx_gt_i32_e64 s1, v0
	s_cbranch_execz .LBB105_18
.LBB105_66:
	v_bfe_i32 v1, v41, 0, 8
	v_bfe_i32 v2, v45, 0, 8
	;; [unrolled: 1-line block ×3, first 2 shown]
	s_delay_alu instid0(VALU_DEP_2) | instskip(SKIP_2) | instid1(VALU_DEP_3)
	v_max_i16 v1, v2, v1
	v_add_nc_u32_e32 v2, s2, v0
	v_add_nc_u32_e32 v0, 0x100, v0
	v_min_i16 v1, v1, v3
	global_store_b8 v2, v1, s[4:5]
	s_wait_xcnt 0x0
	s_or_b32 exec_lo, exec_lo, s0
	s_delay_alu instid0(SALU_CYCLE_1)
	s_mov_b32 s0, exec_lo
	v_cmpx_gt_i32_e64 s1, v0
	s_cbranch_execz .LBB105_19
.LBB105_67:
	v_bfe_i32 v1, v46, 0, 8
	v_bfe_i32 v2, v48, 0, 8
	;; [unrolled: 1-line block ×3, first 2 shown]
	s_delay_alu instid0(VALU_DEP_2) | instskip(SKIP_2) | instid1(VALU_DEP_3)
	v_max_i16 v1, v2, v1
	v_add_nc_u32_e32 v2, s2, v0
	v_add_nc_u32_e32 v0, 0x100, v0
	v_min_i16 v1, v1, v3
	global_store_b8 v2, v1, s[4:5]
	s_wait_xcnt 0x0
	s_or_b32 exec_lo, exec_lo, s0
	s_delay_alu instid0(SALU_CYCLE_1)
	s_mov_b32 s0, exec_lo
	v_cmpx_gt_i32_e64 s1, v0
	s_cbranch_execz .LBB105_20
.LBB105_68:
	v_bfe_i32 v1, v49, 0, 8
	v_bfe_i32 v2, v51, 0, 8
	;; [unrolled: 1-line block ×3, first 2 shown]
	s_delay_alu instid0(VALU_DEP_2) | instskip(SKIP_2) | instid1(VALU_DEP_3)
	v_max_i16 v1, v2, v1
	v_add_nc_u32_e32 v2, s2, v0
	v_add_nc_u32_e32 v0, 0x100, v0
	v_min_i16 v1, v1, v3
	global_store_b8 v2, v1, s[4:5]
	s_wait_xcnt 0x0
	s_or_b32 exec_lo, exec_lo, s0
	s_delay_alu instid0(SALU_CYCLE_1)
	s_mov_b32 s0, exec_lo
	v_cmpx_gt_i32_e64 s1, v0
	s_cbranch_execz .LBB105_21
.LBB105_69:
	v_bfe_i32 v1, v52, 0, 8
	v_bfe_i32 v2, v53, 0, 8
	;; [unrolled: 1-line block ×3, first 2 shown]
	s_delay_alu instid0(VALU_DEP_2) | instskip(SKIP_2) | instid1(VALU_DEP_3)
	v_max_i16 v1, v2, v1
	v_add_nc_u32_e32 v2, s2, v0
	v_add_nc_u32_e32 v0, 0x100, v0
	v_min_i16 v1, v1, v3
	global_store_b8 v2, v1, s[4:5]
	s_wait_xcnt 0x0
	s_or_b32 exec_lo, exec_lo, s0
	s_delay_alu instid0(SALU_CYCLE_1)
	s_mov_b32 s0, exec_lo
	v_cmpx_gt_i32_e64 s1, v0
	s_cbranch_execnz .LBB105_22
	s_branch .LBB105_23
	.section	.rodata,"a",@progbits
	.p2align	6, 0x0
	.amdhsa_kernel _ZN2at6native29vectorized_elementwise_kernelILi8EZZZNS0_12_GLOBAL__N_117clamp_kernel_implERNS_18TensorIteratorBaseEENKUlvE_clEvENKUlvE0_clEvEUlaaaE_St5arrayIPcLm4EEEEviT0_T1_
		.amdhsa_group_segment_fixed_size 0
		.amdhsa_private_segment_fixed_size 0
		.amdhsa_kernarg_size 40
		.amdhsa_user_sgpr_count 2
		.amdhsa_user_sgpr_dispatch_ptr 0
		.amdhsa_user_sgpr_queue_ptr 0
		.amdhsa_user_sgpr_kernarg_segment_ptr 1
		.amdhsa_user_sgpr_dispatch_id 0
		.amdhsa_user_sgpr_kernarg_preload_length 0
		.amdhsa_user_sgpr_kernarg_preload_offset 0
		.amdhsa_user_sgpr_private_segment_size 0
		.amdhsa_wavefront_size32 1
		.amdhsa_uses_dynamic_stack 0
		.amdhsa_enable_private_segment 0
		.amdhsa_system_sgpr_workgroup_id_x 1
		.amdhsa_system_sgpr_workgroup_id_y 0
		.amdhsa_system_sgpr_workgroup_id_z 0
		.amdhsa_system_sgpr_workgroup_info 0
		.amdhsa_system_vgpr_workitem_id 0
		.amdhsa_next_free_vgpr 57
		.amdhsa_next_free_sgpr 21
		.amdhsa_named_barrier_count 0
		.amdhsa_reserve_vcc 1
		.amdhsa_float_round_mode_32 0
		.amdhsa_float_round_mode_16_64 0
		.amdhsa_float_denorm_mode_32 3
		.amdhsa_float_denorm_mode_16_64 3
		.amdhsa_fp16_overflow 0
		.amdhsa_memory_ordered 1
		.amdhsa_forward_progress 1
		.amdhsa_inst_pref_size 50
		.amdhsa_round_robin_scheduling 0
		.amdhsa_exception_fp_ieee_invalid_op 0
		.amdhsa_exception_fp_denorm_src 0
		.amdhsa_exception_fp_ieee_div_zero 0
		.amdhsa_exception_fp_ieee_overflow 0
		.amdhsa_exception_fp_ieee_underflow 0
		.amdhsa_exception_fp_ieee_inexact 0
		.amdhsa_exception_int_div_zero 0
	.end_amdhsa_kernel
	.section	.text._ZN2at6native29vectorized_elementwise_kernelILi8EZZZNS0_12_GLOBAL__N_117clamp_kernel_implERNS_18TensorIteratorBaseEENKUlvE_clEvENKUlvE0_clEvEUlaaaE_St5arrayIPcLm4EEEEviT0_T1_,"axG",@progbits,_ZN2at6native29vectorized_elementwise_kernelILi8EZZZNS0_12_GLOBAL__N_117clamp_kernel_implERNS_18TensorIteratorBaseEENKUlvE_clEvENKUlvE0_clEvEUlaaaE_St5arrayIPcLm4EEEEviT0_T1_,comdat
.Lfunc_end105:
	.size	_ZN2at6native29vectorized_elementwise_kernelILi8EZZZNS0_12_GLOBAL__N_117clamp_kernel_implERNS_18TensorIteratorBaseEENKUlvE_clEvENKUlvE0_clEvEUlaaaE_St5arrayIPcLm4EEEEviT0_T1_, .Lfunc_end105-_ZN2at6native29vectorized_elementwise_kernelILi8EZZZNS0_12_GLOBAL__N_117clamp_kernel_implERNS_18TensorIteratorBaseEENKUlvE_clEvENKUlvE0_clEvEUlaaaE_St5arrayIPcLm4EEEEviT0_T1_
                                        ; -- End function
	.set _ZN2at6native29vectorized_elementwise_kernelILi8EZZZNS0_12_GLOBAL__N_117clamp_kernel_implERNS_18TensorIteratorBaseEENKUlvE_clEvENKUlvE0_clEvEUlaaaE_St5arrayIPcLm4EEEEviT0_T1_.num_vgpr, 57
	.set _ZN2at6native29vectorized_elementwise_kernelILi8EZZZNS0_12_GLOBAL__N_117clamp_kernel_implERNS_18TensorIteratorBaseEENKUlvE_clEvENKUlvE0_clEvEUlaaaE_St5arrayIPcLm4EEEEviT0_T1_.num_agpr, 0
	.set _ZN2at6native29vectorized_elementwise_kernelILi8EZZZNS0_12_GLOBAL__N_117clamp_kernel_implERNS_18TensorIteratorBaseEENKUlvE_clEvENKUlvE0_clEvEUlaaaE_St5arrayIPcLm4EEEEviT0_T1_.numbered_sgpr, 21
	.set _ZN2at6native29vectorized_elementwise_kernelILi8EZZZNS0_12_GLOBAL__N_117clamp_kernel_implERNS_18TensorIteratorBaseEENKUlvE_clEvENKUlvE0_clEvEUlaaaE_St5arrayIPcLm4EEEEviT0_T1_.num_named_barrier, 0
	.set _ZN2at6native29vectorized_elementwise_kernelILi8EZZZNS0_12_GLOBAL__N_117clamp_kernel_implERNS_18TensorIteratorBaseEENKUlvE_clEvENKUlvE0_clEvEUlaaaE_St5arrayIPcLm4EEEEviT0_T1_.private_seg_size, 0
	.set _ZN2at6native29vectorized_elementwise_kernelILi8EZZZNS0_12_GLOBAL__N_117clamp_kernel_implERNS_18TensorIteratorBaseEENKUlvE_clEvENKUlvE0_clEvEUlaaaE_St5arrayIPcLm4EEEEviT0_T1_.uses_vcc, 1
	.set _ZN2at6native29vectorized_elementwise_kernelILi8EZZZNS0_12_GLOBAL__N_117clamp_kernel_implERNS_18TensorIteratorBaseEENKUlvE_clEvENKUlvE0_clEvEUlaaaE_St5arrayIPcLm4EEEEviT0_T1_.uses_flat_scratch, 0
	.set _ZN2at6native29vectorized_elementwise_kernelILi8EZZZNS0_12_GLOBAL__N_117clamp_kernel_implERNS_18TensorIteratorBaseEENKUlvE_clEvENKUlvE0_clEvEUlaaaE_St5arrayIPcLm4EEEEviT0_T1_.has_dyn_sized_stack, 0
	.set _ZN2at6native29vectorized_elementwise_kernelILi8EZZZNS0_12_GLOBAL__N_117clamp_kernel_implERNS_18TensorIteratorBaseEENKUlvE_clEvENKUlvE0_clEvEUlaaaE_St5arrayIPcLm4EEEEviT0_T1_.has_recursion, 0
	.set _ZN2at6native29vectorized_elementwise_kernelILi8EZZZNS0_12_GLOBAL__N_117clamp_kernel_implERNS_18TensorIteratorBaseEENKUlvE_clEvENKUlvE0_clEvEUlaaaE_St5arrayIPcLm4EEEEviT0_T1_.has_indirect_call, 0
	.section	.AMDGPU.csdata,"",@progbits
; Kernel info:
; codeLenInByte = 6300
; TotalNumSgprs: 23
; NumVgprs: 57
; ScratchSize: 0
; MemoryBound: 0
; FloatMode: 240
; IeeeMode: 1
; LDSByteSize: 0 bytes/workgroup (compile time only)
; SGPRBlocks: 0
; VGPRBlocks: 3
; NumSGPRsForWavesPerEU: 23
; NumVGPRsForWavesPerEU: 57
; NamedBarCnt: 0
; Occupancy: 16
; WaveLimiterHint : 1
; COMPUTE_PGM_RSRC2:SCRATCH_EN: 0
; COMPUTE_PGM_RSRC2:USER_SGPR: 2
; COMPUTE_PGM_RSRC2:TRAP_HANDLER: 0
; COMPUTE_PGM_RSRC2:TGID_X_EN: 1
; COMPUTE_PGM_RSRC2:TGID_Y_EN: 0
; COMPUTE_PGM_RSRC2:TGID_Z_EN: 0
; COMPUTE_PGM_RSRC2:TIDIG_COMP_CNT: 0
	.section	.text._ZN2at6native29vectorized_elementwise_kernelILi4EZZZNS0_12_GLOBAL__N_117clamp_kernel_implERNS_18TensorIteratorBaseEENKUlvE_clEvENKUlvE0_clEvEUlaaaE_St5arrayIPcLm4EEEEviT0_T1_,"axG",@progbits,_ZN2at6native29vectorized_elementwise_kernelILi4EZZZNS0_12_GLOBAL__N_117clamp_kernel_implERNS_18TensorIteratorBaseEENKUlvE_clEvENKUlvE0_clEvEUlaaaE_St5arrayIPcLm4EEEEviT0_T1_,comdat
	.globl	_ZN2at6native29vectorized_elementwise_kernelILi4EZZZNS0_12_GLOBAL__N_117clamp_kernel_implERNS_18TensorIteratorBaseEENKUlvE_clEvENKUlvE0_clEvEUlaaaE_St5arrayIPcLm4EEEEviT0_T1_ ; -- Begin function _ZN2at6native29vectorized_elementwise_kernelILi4EZZZNS0_12_GLOBAL__N_117clamp_kernel_implERNS_18TensorIteratorBaseEENKUlvE_clEvENKUlvE0_clEvEUlaaaE_St5arrayIPcLm4EEEEviT0_T1_
	.p2align	8
	.type	_ZN2at6native29vectorized_elementwise_kernelILi4EZZZNS0_12_GLOBAL__N_117clamp_kernel_implERNS_18TensorIteratorBaseEENKUlvE_clEvENKUlvE0_clEvEUlaaaE_St5arrayIPcLm4EEEEviT0_T1_,@function
_ZN2at6native29vectorized_elementwise_kernelILi4EZZZNS0_12_GLOBAL__N_117clamp_kernel_implERNS_18TensorIteratorBaseEENKUlvE_clEvENKUlvE0_clEvEUlaaaE_St5arrayIPcLm4EEEEviT0_T1_: ; @_ZN2at6native29vectorized_elementwise_kernelILi4EZZZNS0_12_GLOBAL__N_117clamp_kernel_implERNS_18TensorIteratorBaseEENKUlvE_clEvENKUlvE0_clEvEUlaaaE_St5arrayIPcLm4EEEEviT0_T1_
; %bb.0:
	s_clause 0x1
	s_load_b32 s3, s[0:1], 0x0
	s_load_b256 s[4:11], s[0:1], 0x8
	s_wait_xcnt 0x0
	s_bfe_u32 s0, ttmp6, 0x4000c
	s_and_b32 s1, ttmp6, 15
	s_add_co_i32 s0, s0, 1
	s_getreg_b32 s2, hwreg(HW_REG_IB_STS2, 6, 4)
	s_mul_i32 s0, ttmp9, s0
	s_delay_alu instid0(SALU_CYCLE_1) | instskip(SKIP_2) | instid1(SALU_CYCLE_1)
	s_add_co_i32 s1, s1, s0
	s_cmp_eq_u32 s2, 0
	s_cselect_b32 s0, ttmp9, s1
	s_lshl_b32 s2, s0, 12
	s_mov_b32 s0, -1
	s_wait_kmcnt 0x0
	s_sub_co_i32 s1, s3, s2
	s_delay_alu instid0(SALU_CYCLE_1)
	s_cmp_gt_i32 s1, 0xfff
	s_cbranch_scc0 .LBB106_2
; %bb.1:
	s_ashr_i32 s3, s2, 31
	s_mov_b32 s0, 0
	s_add_nc_u64 s[12:13], s[6:7], s[2:3]
	s_clause 0x3
	global_load_b32 v1, v0, s[12:13] scale_offset
	global_load_b32 v2, v0, s[12:13] offset:1024 scale_offset
	global_load_b32 v3, v0, s[12:13] offset:2048 scale_offset
	global_load_b32 v4, v0, s[12:13] offset:3072 scale_offset
	s_wait_xcnt 0x0
	s_add_nc_u64 s[12:13], s[8:9], s[2:3]
	s_clause 0x3
	global_load_b32 v5, v0, s[12:13] scale_offset
	global_load_b32 v6, v0, s[12:13] offset:1024 scale_offset
	global_load_b32 v7, v0, s[12:13] offset:2048 scale_offset
	global_load_b32 v8, v0, s[12:13] offset:3072 scale_offset
	s_wait_xcnt 0x0
	;; [unrolled: 7-line block ×3, first 2 shown]
	s_add_nc_u64 s[12:13], s[4:5], s[2:3]
	s_wait_loadcnt 0xb
	v_dual_lshrrev_b32 v14, 8, v1 :: v_dual_lshrrev_b32 v15, 16, v1
	v_bfe_i32 v13, v1, 0, 8
	s_wait_loadcnt 0x7
	v_dual_lshrrev_b32 v26, 8, v5 :: v_dual_lshrrev_b32 v27, 16, v5
	v_dual_lshrrev_b32 v1, 24, v1 :: v_dual_lshrrev_b32 v17, 8, v2
	v_bfe_i32 v16, v2, 0, 8
	v_dual_lshrrev_b32 v18, 16, v2 :: v_dual_lshrrev_b32 v2, 24, v2
	v_bfe_i32 v25, v5, 0, 8
	s_wait_loadcnt 0x6
	v_dual_lshrrev_b32 v5, 24, v5 :: v_dual_lshrrev_b32 v29, 8, v6
	v_bfe_i32 v28, v6, 0, 8
	v_dual_lshrrev_b32 v30, 16, v6 :: v_dual_lshrrev_b32 v6, 24, v6
	v_bfe_i32 v19, v3, 0, 8
	v_dual_lshrrev_b32 v20, 8, v3 :: v_dual_lshrrev_b32 v21, 16, v3
	s_wait_loadcnt 0x5
	v_bfe_i32 v31, v7, 0, 8
	v_dual_lshrrev_b32 v32, 8, v7 :: v_dual_lshrrev_b32 v33, 16, v7
	v_dual_lshrrev_b32 v3, 24, v3 :: v_dual_lshrrev_b32 v23, 8, v4
	;; [unrolled: 1-line block ×3, first 2 shown]
	s_wait_loadcnt 0x4
	v_dual_lshrrev_b32 v35, 8, v8 :: v_dual_lshrrev_b32 v36, 16, v8
	v_bfe_i32 v22, v4, 0, 8
	v_lshrrev_b32_e32 v4, 24, v4
	v_bfe_i32 v34, v8, 0, 8
	s_wait_loadcnt 0x3
	v_dual_lshrrev_b32 v8, 24, v8 :: v_dual_lshrrev_b32 v38, 8, v9
	v_lshrrev_b32_e32 v39, 16, v9
	v_bfe_i32 v14, v14, 0, 8
	v_bfe_i32 v15, v15, 0, 8
	;; [unrolled: 1-line block ×5, first 2 shown]
	s_wait_loadcnt 0x2
	v_dual_lshrrev_b32 v9, 24, v9 :: v_dual_lshrrev_b32 v41, 8, v10
	v_bfe_i32 v40, v10, 0, 8
	v_dual_lshrrev_b32 v42, 16, v10 :: v_dual_lshrrev_b32 v10, 24, v10
	v_bfe_i32 v1, v1, 0, 8
	v_bfe_i32 v17, v17, 0, 8
	;; [unrolled: 1-line block ×6, first 2 shown]
	v_max_i16 v16, v16, v28
	s_wait_loadcnt 0x1
	v_bfe_i32 v43, v11, 0, 8
	v_dual_lshrrev_b32 v44, 8, v11 :: v_dual_lshrrev_b32 v45, 16, v11
	v_bfe_i32 v2, v2, 0, 8
	v_bfe_i32 v20, v20, 0, 8
	v_bfe_i32 v21, v21, 0, 8
	v_bfe_i32 v6, v6, 0, 8
	v_bfe_i32 v32, v32, 0, 8
	v_bfe_i32 v33, v33, 0, 8
	v_max_i16 v19, v19, v31
	s_wait_loadcnt 0x0
	v_dual_lshrrev_b32 v11, 24, v11 :: v_dual_lshrrev_b32 v47, 8, v12
	v_lshrrev_b32_e32 v48, 16, v12
	v_bfe_i32 v3, v3, 0, 8
	v_bfe_i32 v23, v23, 0, 8
	;; [unrolled: 1-line block ×7, first 2 shown]
	v_lshrrev_b32_e32 v12, 24, v12
	v_bfe_i32 v4, v4, 0, 8
	v_bfe_i32 v8, v8, 0, 8
	;; [unrolled: 1-line block ×4, first 2 shown]
	v_max_i16 v14, v14, v26
	v_max_i16 v15, v15, v27
	v_bfe_i32 v9, v9, 0, 8
	v_bfe_i32 v41, v41, 0, 8
	;; [unrolled: 1-line block ×3, first 2 shown]
	v_max_i16 v1, v1, v5
	v_min_i16 v5, v16, v40
	v_max_i16 v16, v17, v29
	v_max_i16 v17, v18, v30
	v_bfe_i32 v10, v10, 0, 8
	v_bfe_i32 v44, v44, 0, 8
	;; [unrolled: 1-line block ×3, first 2 shown]
	v_max_i16 v2, v2, v6
	v_min_i16 v6, v19, v43
	v_max_i16 v18, v20, v32
	v_max_i16 v19, v21, v33
	v_bfe_i32 v11, v11, 0, 8
	v_bfe_i32 v47, v47, 0, 8
	;; [unrolled: 1-line block ×3, first 2 shown]
	v_max_i16 v3, v3, v7
	v_max_i16 v20, v23, v35
	;; [unrolled: 1-line block ×4, first 2 shown]
	v_bfe_i32 v12, v12, 0, 8
	v_max_i16 v4, v4, v8
	v_min_i16 v8, v14, v38
	v_min_i16 v14, v15, v39
	;; [unrolled: 1-line block ×8, first 2 shown]
	v_max_i16 v22, v22, v34
	v_min_i16 v3, v3, v11
	v_min_i16 v11, v20, v47
	;; [unrolled: 1-line block ×5, first 2 shown]
	v_and_b32_e32 v8, 0xff, v8
	v_and_b32_e32 v12, 0xff, v14
	;; [unrolled: 1-line block ×6, first 2 shown]
	v_min_i16 v7, v22, v46
	v_and_b32_e32 v11, 0xff, v11
	v_and_b32_e32 v16, 0xff, v17
	v_dual_lshlrev_b32 v1, 24, v1 :: v_dual_lshlrev_b32 v2, 24, v2
	v_perm_b32 v8, v8, v13, 0x6050400
	v_lshlrev_b32_e32 v12, 16, v12
	v_perm_b32 v5, v9, v5, 0x6050400
	v_dual_lshlrev_b32 v9, 16, v14 :: v_dual_lshlrev_b32 v3, 24, v3
	v_lshlrev_b32_e32 v4, 24, v4
	v_perm_b32 v6, v10, v6, 0x6050400
	v_lshlrev_b32_e32 v10, 16, v15
	v_perm_b32 v7, v11, v7, 0x6050400
	v_lshlrev_b32_e32 v11, 16, v16
	v_or3_b32 v1, v8, v12, v1
	v_or3_b32 v2, v5, v9, v2
	;; [unrolled: 1-line block ×3, first 2 shown]
	s_delay_alu instid0(VALU_DEP_4)
	v_or3_b32 v4, v7, v11, v4
	s_clause 0x3
	global_store_b32 v0, v1, s[12:13] scale_offset
	global_store_b32 v0, v2, s[12:13] offset:1024 scale_offset
	global_store_b32 v0, v3, s[12:13] offset:2048 scale_offset
	;; [unrolled: 1-line block ×3, first 2 shown]
.LBB106_2:
	s_and_not1_b32 vcc_lo, exec_lo, s0
	s_cbranch_vccnz .LBB106_23
; %bb.3:
	v_cmp_le_i32_e64 s0, s1, v0
	s_wait_xcnt 0x3
	v_or_b32_e32 v1, 0x100, v0
	v_cmp_gt_i32_e32 vcc_lo, s1, v0
	s_wait_xcnt 0x0
	s_and_saveexec_b32 s3, s0
	s_delay_alu instid0(SALU_CYCLE_1)
	s_xor_b32 s0, exec_lo, s3
; %bb.4:
	v_or_b32_e32 v1, 0x100, v0
; %bb.5:
	s_or_saveexec_b32 s3, s0
	v_dual_mov_b32 v54, 0 :: v_dual_bitop2_b32 v10, s2, v0 bitop3:0x54
	v_dual_mov_b32 v53, 0 :: v_dual_mov_b32 v52, 0
	v_dual_mov_b32 v50, 0 :: v_dual_mov_b32 v51, 0
	;; [unrolled: 1-line block ×22, first 2 shown]
	v_mov_b32_e32 v42, 0
	s_xor_b32 exec_lo, exec_lo, s3
	s_cbranch_execnz .LBB106_24
; %bb.6:
	s_or_b32 exec_lo, exec_lo, s3
	s_and_saveexec_b32 s0, vcc_lo
	s_cbranch_execnz .LBB106_55
.LBB106_7:
	s_or_b32 exec_lo, exec_lo, s0
	s_delay_alu instid0(SALU_CYCLE_1)
	s_mov_b32 s0, exec_lo
	v_cmpx_gt_i32_e64 s1, v0
	s_cbranch_execnz .LBB106_56
.LBB106_8:
	s_or_b32 exec_lo, exec_lo, s0
	s_delay_alu instid0(SALU_CYCLE_1)
	s_mov_b32 s0, exec_lo
	v_cmpx_gt_i32_e64 s1, v0
	s_cbranch_execnz .LBB106_57
.LBB106_9:
	s_or_b32 exec_lo, exec_lo, s0
	s_delay_alu instid0(SALU_CYCLE_1)
	s_mov_b32 s0, exec_lo
	v_cmpx_gt_i32_e64 s1, v0
	s_cbranch_execnz .LBB106_58
.LBB106_10:
	s_or_b32 exec_lo, exec_lo, s0
	s_delay_alu instid0(SALU_CYCLE_1)
	s_mov_b32 s0, exec_lo
	v_cmpx_gt_i32_e64 s1, v0
	s_cbranch_execnz .LBB106_59
.LBB106_11:
	s_or_b32 exec_lo, exec_lo, s0
	s_delay_alu instid0(SALU_CYCLE_1)
	s_mov_b32 s0, exec_lo
	v_cmpx_gt_i32_e64 s1, v0
	s_cbranch_execnz .LBB106_60
.LBB106_12:
	s_or_b32 exec_lo, exec_lo, s0
	s_delay_alu instid0(SALU_CYCLE_1)
	s_mov_b32 s0, exec_lo
	v_cmpx_gt_i32_e64 s1, v0
	s_cbranch_execnz .LBB106_61
.LBB106_13:
	s_or_b32 exec_lo, exec_lo, s0
	s_delay_alu instid0(SALU_CYCLE_1)
	s_mov_b32 s0, exec_lo
	v_cmpx_gt_i32_e64 s1, v0
	s_cbranch_execnz .LBB106_62
.LBB106_14:
	s_or_b32 exec_lo, exec_lo, s0
	s_delay_alu instid0(SALU_CYCLE_1)
	s_mov_b32 s0, exec_lo
	v_cmpx_gt_i32_e64 s1, v0
	s_cbranch_execnz .LBB106_63
.LBB106_15:
	s_or_b32 exec_lo, exec_lo, s0
	s_delay_alu instid0(SALU_CYCLE_1)
	s_mov_b32 s0, exec_lo
	v_cmpx_gt_i32_e64 s1, v0
	s_cbranch_execnz .LBB106_64
.LBB106_16:
	s_or_b32 exec_lo, exec_lo, s0
	s_delay_alu instid0(SALU_CYCLE_1)
	s_mov_b32 s0, exec_lo
	v_cmpx_gt_i32_e64 s1, v0
	s_cbranch_execnz .LBB106_65
.LBB106_17:
	s_or_b32 exec_lo, exec_lo, s0
	s_delay_alu instid0(SALU_CYCLE_1)
	s_mov_b32 s0, exec_lo
	v_cmpx_gt_i32_e64 s1, v0
	s_cbranch_execnz .LBB106_66
.LBB106_18:
	s_or_b32 exec_lo, exec_lo, s0
	s_delay_alu instid0(SALU_CYCLE_1)
	s_mov_b32 s0, exec_lo
	v_cmpx_gt_i32_e64 s1, v0
	s_cbranch_execnz .LBB106_67
.LBB106_19:
	s_or_b32 exec_lo, exec_lo, s0
	s_delay_alu instid0(SALU_CYCLE_1)
	s_mov_b32 s0, exec_lo
	v_cmpx_gt_i32_e64 s1, v0
	s_cbranch_execnz .LBB106_68
.LBB106_20:
	s_or_b32 exec_lo, exec_lo, s0
	s_delay_alu instid0(SALU_CYCLE_1)
	s_mov_b32 s0, exec_lo
	v_cmpx_gt_i32_e64 s1, v0
	s_cbranch_execnz .LBB106_69
.LBB106_21:
	s_or_b32 exec_lo, exec_lo, s0
	s_delay_alu instid0(SALU_CYCLE_1)
	s_mov_b32 s0, exec_lo
	v_cmpx_gt_i32_e64 s1, v0
	s_cbranch_execz .LBB106_23
.LBB106_22:
	v_add_nc_u32_e32 v0, s2, v0
	global_store_b8 v0, v54, s[4:5]
.LBB106_23:
	s_endpgm
.LBB106_24:
	s_clause 0x2
	global_load_u8 v40, v10, s[6:7]
	global_load_u8 v43, v10, s[8:9]
	;; [unrolled: 1-line block ×3, first 2 shown]
	v_cmp_gt_u32_e64 s0, s1, v1
	v_dual_mov_b32 v35, 0 :: v_dual_mov_b32 v38, 0
	v_dual_mov_b32 v37, 0 :: v_dual_mov_b32 v3, 0
	;; [unrolled: 1-line block ×21, first 2 shown]
	v_mov_b32_e32 v54, 0
	s_wait_xcnt 0x0
	s_and_saveexec_b32 s12, s0
	s_cbranch_execz .LBB106_54
; %bb.25:
	v_dual_mov_b32 v3, 0 :: v_dual_add_nc_u32 v2, s2, v0
	v_or_b32_e32 v4, 0x200, v0
	v_dual_mov_b32 v33, 0 :: v_dual_mov_b32 v32, 0
	s_clause 0x2
	global_load_u8 v37, v2, s[6:7] offset:256
	global_load_u8 v38, v2, s[8:9] offset:256
	;; [unrolled: 1-line block ×3, first 2 shown]
	v_mov_b32_e32 v26, 0
	v_cmp_gt_u32_e64 s0, s1, v4
	v_dual_mov_b32 v4, 0 :: v_dual_mov_b32 v27, 0
	v_dual_mov_b32 v15, 0 :: v_dual_mov_b32 v22, 0
	;; [unrolled: 1-line block ×18, first 2 shown]
	s_wait_xcnt 0x0
	s_and_saveexec_b32 s13, s0
	s_cbranch_execz .LBB106_53
; %bb.26:
	v_add_nc_u64_e32 v[4:5], s[6:7], v[2:3]
	v_add_nc_u64_e32 v[6:7], s[8:9], v[2:3]
	;; [unrolled: 1-line block ×3, first 2 shown]
	v_or_b32_e32 v11, 0x300, v0
	v_dual_mov_b32 v26, 0 :: v_dual_mov_b32 v27, 0
	v_dual_mov_b32 v15, 0 :: v_dual_mov_b32 v22, 0
	global_load_u8 v32, v[4:5], off offset:512
	global_load_u8 v33, v[6:7], off offset:512
	;; [unrolled: 1-line block ×3, first 2 shown]
	v_cmp_gt_u32_e64 s0, s1, v11
	v_dual_mov_b32 v23, 0 :: v_dual_mov_b32 v13, 0
	v_dual_mov_b32 v17, 0 :: v_dual_mov_b32 v19, 0
	v_dual_mov_b32 v11, 0 :: v_dual_mov_b32 v16, 0
	v_dual_mov_b32 v20, 0 :: v_dual_mov_b32 v12, 0
	v_dual_mov_b32 v18, 0 :: v_dual_mov_b32 v24, 0
	v_dual_mov_b32 v14, 0 :: v_dual_mov_b32 v25, 0
	v_dual_mov_b32 v28, 0 :: v_dual_mov_b32 v21, 0
	v_dual_mov_b32 v30, 0 :: v_dual_mov_b32 v31, 0
	v_dual_mov_b32 v29, 0 :: v_dual_mov_b32 v34, 0
	v_dual_mov_b32 v39, 0 :: v_dual_mov_b32 v36, 0
	v_dual_mov_b32 v41, 0 :: v_dual_mov_b32 v45, 0
	v_dual_mov_b32 v44, 0 :: v_dual_mov_b32 v46, 0
	v_dual_mov_b32 v48, 0 :: v_dual_mov_b32 v47, 0
	v_dual_mov_b32 v49, 0 :: v_dual_mov_b32 v51, 0
	v_dual_mov_b32 v50, 0 :: v_dual_mov_b32 v52, 0
	v_dual_mov_b32 v53, 0 :: v_dual_mov_b32 v54, 0
	s_wait_xcnt 0x0
	s_and_saveexec_b32 s6, s0
	s_cbranch_execz .LBB106_52
; %bb.27:
	global_load_u8 v27, v[4:5], off offset:768
	global_load_u8 v26, v[6:7], off offset:768
	;; [unrolled: 1-line block ×3, first 2 shown]
	v_or_b32_e32 v11, 0x400, v0
	v_dual_mov_b32 v15, 0 :: v_dual_mov_b32 v22, 0
	v_dual_mov_b32 v23, 0 :: v_dual_mov_b32 v13, 0
	s_delay_alu instid0(VALU_DEP_3)
	v_cmp_gt_u32_e64 s0, s1, v11
	v_dual_mov_b32 v17, 0 :: v_dual_mov_b32 v19, 0
	v_dual_mov_b32 v11, 0 :: v_dual_mov_b32 v16, 0
	v_dual_mov_b32 v20, 0 :: v_dual_mov_b32 v12, 0
	v_dual_mov_b32 v18, 0 :: v_dual_mov_b32 v24, 0
	v_dual_mov_b32 v14, 0 :: v_dual_mov_b32 v25, 0
	v_dual_mov_b32 v28, 0 :: v_dual_mov_b32 v21, 0
	v_dual_mov_b32 v30, 0 :: v_dual_mov_b32 v31, 0
	v_dual_mov_b32 v29, 0 :: v_dual_mov_b32 v34, 0
	v_dual_mov_b32 v39, 0 :: v_dual_mov_b32 v36, 0
	v_dual_mov_b32 v41, 0 :: v_dual_mov_b32 v45, 0
	v_dual_mov_b32 v44, 0 :: v_dual_mov_b32 v46, 0
	v_dual_mov_b32 v48, 0 :: v_dual_mov_b32 v47, 0
	v_dual_mov_b32 v49, 0 :: v_dual_mov_b32 v51, 0
	v_dual_mov_b32 v50, 0 :: v_dual_mov_b32 v52, 0
	v_dual_mov_b32 v53, 0 :: v_dual_mov_b32 v54, 0
	s_wait_xcnt 0x0
	s_and_saveexec_b32 s7, s0
	s_cbranch_execz .LBB106_51
; %bb.28:
	global_load_u8 v23, v[4:5], off offset:1024
	global_load_u8 v22, v[6:7], off offset:1024
	;; [unrolled: 1-line block ×3, first 2 shown]
	v_or_b32_e32 v11, 0x500, v0
	v_dual_mov_b32 v13, 0 :: v_dual_mov_b32 v17, 0
	v_dual_mov_b32 v19, 0 :: v_dual_mov_b32 v16, 0
	v_mov_b32_e32 v20, 0
	s_delay_alu instid0(VALU_DEP_4)
	v_cmp_gt_u32_e64 s0, s1, v11
	v_dual_mov_b32 v11, 0 :: v_dual_mov_b32 v12, 0
	v_dual_mov_b32 v18, 0 :: v_dual_mov_b32 v24, 0
	;; [unrolled: 1-line block ×13, first 2 shown]
	s_wait_xcnt 0x0
	s_and_saveexec_b32 s8, s0
	s_cbranch_execz .LBB106_50
; %bb.29:
	global_load_u8 v19, v[4:5], off offset:1280
	global_load_u8 v17, v[6:7], off offset:1280
	;; [unrolled: 1-line block ×3, first 2 shown]
	v_or_b32_e32 v11, 0x600, v0
	v_dual_mov_b32 v20, 0 :: v_dual_mov_b32 v12, 0
	v_dual_mov_b32 v18, 0 :: v_dual_mov_b32 v24, 0
	s_delay_alu instid0(VALU_DEP_3)
	v_cmp_gt_u32_e64 s0, s1, v11
	v_dual_mov_b32 v11, 0 :: v_dual_mov_b32 v16, 0
	v_dual_mov_b32 v14, 0 :: v_dual_mov_b32 v25, 0
	;; [unrolled: 1-line block ×12, first 2 shown]
	s_wait_xcnt 0x0
	s_and_saveexec_b32 s9, s0
	s_cbranch_execz .LBB106_49
; %bb.30:
	global_load_u8 v20, v[4:5], off offset:1536
	global_load_u8 v16, v[6:7], off offset:1536
	global_load_u8 v11, v[8:9], off offset:1536
	v_or_b32_e32 v12, 0x700, v0
	v_dual_mov_b32 v24, 0 :: v_dual_mov_b32 v14, 0
	v_dual_mov_b32 v25, 0 :: v_dual_mov_b32 v28, 0
	s_delay_alu instid0(VALU_DEP_3)
	v_cmp_gt_u32_e64 s0, s1, v12
	v_dual_mov_b32 v12, 0 :: v_dual_mov_b32 v18, 0
	v_dual_mov_b32 v21, 0 :: v_dual_mov_b32 v30, 0
	;; [unrolled: 1-line block ×10, first 2 shown]
	v_mov_b32_e32 v54, 0
	s_wait_xcnt 0x0
	s_and_saveexec_b32 s10, s0
	s_cbranch_execz .LBB106_48
; %bb.31:
	global_load_u8 v24, v[4:5], off offset:1792
	global_load_u8 v18, v[6:7], off offset:1792
	;; [unrolled: 1-line block ×3, first 2 shown]
	v_or_b32_e32 v14, 0x800, v0
	v_dual_mov_b32 v28, 0 :: v_dual_mov_b32 v21, 0
	v_dual_mov_b32 v30, 0 :: v_dual_mov_b32 v31, 0
	s_delay_alu instid0(VALU_DEP_3)
	v_cmp_gt_u32_e64 s0, s1, v14
	v_dual_mov_b32 v14, 0 :: v_dual_mov_b32 v25, 0
	v_dual_mov_b32 v29, 0 :: v_dual_mov_b32 v34, 0
	;; [unrolled: 1-line block ×9, first 2 shown]
	s_wait_xcnt 0x0
	s_and_saveexec_b32 s11, s0
	s_cbranch_execz .LBB106_47
; %bb.32:
	global_load_u8 v28, v[4:5], off offset:2048
	global_load_u8 v25, v[6:7], off offset:2048
	;; [unrolled: 1-line block ×3, first 2 shown]
	v_or_b32_e32 v21, 0x900, v0
	v_dual_mov_b32 v31, 0 :: v_dual_mov_b32 v29, 0
	v_dual_mov_b32 v34, 0 :: v_dual_mov_b32 v39, 0
	s_delay_alu instid0(VALU_DEP_3)
	v_cmp_gt_u32_e64 s0, s1, v21
	v_dual_mov_b32 v21, 0 :: v_dual_mov_b32 v30, 0
	v_dual_mov_b32 v36, 0 :: v_dual_mov_b32 v41, 0
	;; [unrolled: 1-line block ×7, first 2 shown]
	v_mov_b32_e32 v54, 0
	s_wait_xcnt 0x0
	s_and_saveexec_b32 s14, s0
	s_cbranch_execz .LBB106_46
; %bb.33:
	global_load_u8 v31, v[4:5], off offset:2304
	global_load_u8 v30, v[6:7], off offset:2304
	;; [unrolled: 1-line block ×3, first 2 shown]
	v_or_b32_e32 v29, 0xa00, v0
	v_dual_mov_b32 v39, 0 :: v_dual_mov_b32 v36, 0
	v_dual_mov_b32 v41, 0 :: v_dual_mov_b32 v45, 0
	s_delay_alu instid0(VALU_DEP_3)
	v_cmp_gt_u32_e64 s0, s1, v29
	v_dual_mov_b32 v29, 0 :: v_dual_mov_b32 v34, 0
	v_dual_mov_b32 v44, 0 :: v_dual_mov_b32 v46, 0
	;; [unrolled: 1-line block ×6, first 2 shown]
	s_wait_xcnt 0x0
	s_and_saveexec_b32 s15, s0
	s_cbranch_execz .LBB106_45
; %bb.34:
	global_load_u8 v39, v[4:5], off offset:2560
	global_load_u8 v34, v[6:7], off offset:2560
	;; [unrolled: 1-line block ×3, first 2 shown]
	v_or_b32_e32 v36, 0xb00, v0
	v_dual_mov_b32 v45, 0 :: v_dual_mov_b32 v44, 0
	v_dual_mov_b32 v46, 0 :: v_dual_mov_b32 v48, 0
	s_delay_alu instid0(VALU_DEP_3)
	v_cmp_gt_u32_e64 s0, s1, v36
	v_dual_mov_b32 v36, 0 :: v_dual_mov_b32 v41, 0
	v_dual_mov_b32 v47, 0 :: v_dual_mov_b32 v49, 0
	;; [unrolled: 1-line block ×4, first 2 shown]
	v_mov_b32_e32 v54, 0
	s_wait_xcnt 0x0
	s_and_saveexec_b32 s16, s0
	s_cbranch_execz .LBB106_44
; %bb.35:
	global_load_u8 v45, v[4:5], off offset:2816
	global_load_u8 v41, v[6:7], off offset:2816
	;; [unrolled: 1-line block ×3, first 2 shown]
	v_or_b32_e32 v44, 0xc00, v0
	v_dual_mov_b32 v48, 0 :: v_dual_mov_b32 v47, 0
	v_dual_mov_b32 v49, 0 :: v_dual_mov_b32 v51, 0
	s_delay_alu instid0(VALU_DEP_3)
	v_cmp_gt_u32_e64 s0, s1, v44
	v_dual_mov_b32 v44, 0 :: v_dual_mov_b32 v46, 0
	v_dual_mov_b32 v50, 0 :: v_dual_mov_b32 v52, 0
	;; [unrolled: 1-line block ×3, first 2 shown]
	s_wait_xcnt 0x0
	s_and_saveexec_b32 s17, s0
	s_cbranch_execz .LBB106_43
; %bb.36:
	global_load_u8 v48, v[4:5], off offset:3072
	global_load_u8 v46, v[6:7], off offset:3072
	;; [unrolled: 1-line block ×3, first 2 shown]
	v_or_b32_e32 v47, 0xd00, v0
	v_dual_mov_b32 v51, 0 :: v_dual_mov_b32 v50, 0
	v_dual_mov_b32 v52, 0 :: v_dual_mov_b32 v53, 0
	s_delay_alu instid0(VALU_DEP_3)
	v_cmp_gt_u32_e64 s0, s1, v47
	v_dual_mov_b32 v47, 0 :: v_dual_mov_b32 v49, 0
	v_mov_b32_e32 v54, 0
	s_wait_xcnt 0x0
	s_and_saveexec_b32 s18, s0
	s_cbranch_execz .LBB106_42
; %bb.37:
	global_load_u8 v51, v[4:5], off offset:3328
	global_load_u8 v49, v[6:7], off offset:3328
	;; [unrolled: 1-line block ×3, first 2 shown]
	v_or_b32_e32 v50, 0xe00, v0
	v_dual_mov_b32 v53, 0 :: v_dual_mov_b32 v54, 0
	v_mov_b32_e32 v52, 0
	s_delay_alu instid0(VALU_DEP_3)
	v_cmp_gt_u32_e64 s0, s1, v50
	v_mov_b32_e32 v50, 0
	s_wait_xcnt 0x0
	s_and_saveexec_b32 s19, s0
	s_cbranch_execz .LBB106_41
; %bb.38:
	global_load_u8 v53, v[4:5], off offset:3584
	global_load_u8 v52, v[6:7], off offset:3584
	;; [unrolled: 1-line block ×3, first 2 shown]
	v_or_b32_e32 v54, 0xf00, v0
	s_delay_alu instid0(VALU_DEP_1)
	v_cmp_gt_u32_e64 s0, s1, v54
	v_mov_b32_e32 v54, 0
	s_wait_xcnt 0x0
	s_and_saveexec_b32 s20, s0
	s_cbranch_execz .LBB106_40
; %bb.39:
	global_load_i8 v54, v[4:5], off offset:3840
	global_load_i8 v55, v[6:7], off offset:3840
	;; [unrolled: 1-line block ×3, first 2 shown]
	s_wait_loadcnt 0x1
	s_wait_xcnt 0x2
	v_max_i16 v4, v54, v55
	s_wait_loadcnt 0x0
	s_delay_alu instid0(VALU_DEP_1)
	v_min_i16 v54, v4, v56
.LBB106_40:
	s_wait_xcnt 0x0
	s_or_b32 exec_lo, exec_lo, s20
.LBB106_41:
	s_delay_alu instid0(SALU_CYCLE_1)
	s_or_b32 exec_lo, exec_lo, s19
.LBB106_42:
	s_delay_alu instid0(SALU_CYCLE_1)
	s_or_b32 exec_lo, exec_lo, s18
.LBB106_43:
	s_delay_alu instid0(SALU_CYCLE_1)
	s_or_b32 exec_lo, exec_lo, s17
.LBB106_44:
	s_delay_alu instid0(SALU_CYCLE_1)
	s_or_b32 exec_lo, exec_lo, s16
.LBB106_45:
	s_delay_alu instid0(SALU_CYCLE_1)
	s_or_b32 exec_lo, exec_lo, s15
.LBB106_46:
	s_delay_alu instid0(SALU_CYCLE_1)
	s_or_b32 exec_lo, exec_lo, s14
.LBB106_47:
	s_delay_alu instid0(SALU_CYCLE_1)
	s_or_b32 exec_lo, exec_lo, s11
.LBB106_48:
	s_delay_alu instid0(SALU_CYCLE_1)
	s_or_b32 exec_lo, exec_lo, s10
.LBB106_49:
	s_delay_alu instid0(SALU_CYCLE_1)
	s_or_b32 exec_lo, exec_lo, s9
.LBB106_50:
	s_delay_alu instid0(SALU_CYCLE_1)
	s_or_b32 exec_lo, exec_lo, s8
.LBB106_51:
	s_delay_alu instid0(SALU_CYCLE_1)
	s_or_b32 exec_lo, exec_lo, s7
.LBB106_52:
	s_delay_alu instid0(SALU_CYCLE_1)
	s_or_b32 exec_lo, exec_lo, s6
	s_wait_loadcnt 0x0
	v_dual_mov_b32 v4, v3 :: v_dual_mov_b32 v3, v2
.LBB106_53:
	s_or_b32 exec_lo, exec_lo, s13
.LBB106_54:
	s_delay_alu instid0(SALU_CYCLE_1) | instskip(NEXT) | instid1(SALU_CYCLE_1)
	s_or_b32 exec_lo, exec_lo, s12
	s_or_b32 exec_lo, exec_lo, s3
	s_and_saveexec_b32 s0, vcc_lo
	s_cbranch_execz .LBB106_7
.LBB106_55:
	s_wait_loadcnt 0x1
	v_bfe_i32 v0, v43, 0, 8
	v_bfe_i32 v2, v40, 0, 8
	s_delay_alu instid0(VALU_DEP_1) | instskip(SKIP_2) | instid1(VALU_DEP_1)
	v_max_i16 v0, v2, v0
	s_wait_loadcnt 0x0
	v_bfe_i32 v2, v42, 0, 8
	v_min_i16 v2, v0, v2
	v_mov_b32_e32 v0, v1
	global_store_b8 v10, v2, s[4:5]
	s_wait_xcnt 0x0
	s_or_b32 exec_lo, exec_lo, s0
	s_delay_alu instid0(SALU_CYCLE_1)
	s_mov_b32 s0, exec_lo
	v_cmpx_gt_i32_e64 s1, v0
	s_cbranch_execz .LBB106_8
.LBB106_56:
	s_wait_loadcnt 0x1
	v_bfe_i32 v1, v38, 0, 8
	v_bfe_i32 v2, v37, 0, 8
	s_wait_loadcnt 0x0
	v_bfe_i32 v5, v35, 0, 8
	s_delay_alu instid0(VALU_DEP_2) | instskip(SKIP_2) | instid1(VALU_DEP_3)
	v_max_i16 v1, v2, v1
	v_add_nc_u32_e32 v2, s2, v0
	v_add_nc_u32_e32 v0, 0x100, v0
	v_min_i16 v1, v1, v5
	global_store_b8 v2, v1, s[4:5]
	s_wait_xcnt 0x0
	s_or_b32 exec_lo, exec_lo, s0
	s_delay_alu instid0(SALU_CYCLE_1)
	s_mov_b32 s0, exec_lo
	v_cmpx_gt_i32_e64 s1, v0
	s_cbranch_execz .LBB106_9
.LBB106_57:
	v_bfe_i32 v1, v33, 0, 8
	v_bfe_i32 v2, v32, 0, 8
	;; [unrolled: 1-line block ×3, first 2 shown]
	s_delay_alu instid0(VALU_DEP_2) | instskip(SKIP_2) | instid1(VALU_DEP_3)
	v_max_i16 v1, v2, v1
	v_add_nc_u32_e32 v2, s2, v0
	v_add_nc_u32_e32 v0, 0x100, v0
	v_min_i16 v1, v1, v3
	global_store_b8 v2, v1, s[4:5]
	s_wait_xcnt 0x0
	s_or_b32 exec_lo, exec_lo, s0
	s_delay_alu instid0(SALU_CYCLE_1)
	s_mov_b32 s0, exec_lo
	v_cmpx_gt_i32_e64 s1, v0
	s_cbranch_execz .LBB106_10
.LBB106_58:
	v_bfe_i32 v1, v26, 0, 8
	v_bfe_i32 v2, v27, 0, 8
	;; [unrolled: 1-line block ×3, first 2 shown]
	s_delay_alu instid0(VALU_DEP_2) | instskip(SKIP_2) | instid1(VALU_DEP_3)
	v_max_i16 v1, v2, v1
	v_add_nc_u32_e32 v2, s2, v0
	v_add_nc_u32_e32 v0, 0x100, v0
	v_min_i16 v1, v1, v3
	global_store_b8 v2, v1, s[4:5]
	s_wait_xcnt 0x0
	s_or_b32 exec_lo, exec_lo, s0
	s_delay_alu instid0(SALU_CYCLE_1)
	s_mov_b32 s0, exec_lo
	v_cmpx_gt_i32_e64 s1, v0
	s_cbranch_execz .LBB106_11
.LBB106_59:
	v_bfe_i32 v1, v22, 0, 8
	v_bfe_i32 v2, v23, 0, 8
	;; [unrolled: 1-line block ×3, first 2 shown]
	s_delay_alu instid0(VALU_DEP_2) | instskip(SKIP_2) | instid1(VALU_DEP_3)
	v_max_i16 v1, v2, v1
	v_add_nc_u32_e32 v2, s2, v0
	v_add_nc_u32_e32 v0, 0x100, v0
	v_min_i16 v1, v1, v3
	global_store_b8 v2, v1, s[4:5]
	s_wait_xcnt 0x0
	s_or_b32 exec_lo, exec_lo, s0
	s_delay_alu instid0(SALU_CYCLE_1)
	s_mov_b32 s0, exec_lo
	v_cmpx_gt_i32_e64 s1, v0
	s_cbranch_execz .LBB106_12
.LBB106_60:
	v_bfe_i32 v1, v17, 0, 8
	v_bfe_i32 v2, v19, 0, 8
	v_bfe_i32 v3, v13, 0, 8
	s_delay_alu instid0(VALU_DEP_2) | instskip(SKIP_2) | instid1(VALU_DEP_3)
	v_max_i16 v1, v2, v1
	v_add_nc_u32_e32 v2, s2, v0
	v_add_nc_u32_e32 v0, 0x100, v0
	v_min_i16 v1, v1, v3
	global_store_b8 v2, v1, s[4:5]
	s_wait_xcnt 0x0
	s_or_b32 exec_lo, exec_lo, s0
	s_delay_alu instid0(SALU_CYCLE_1)
	s_mov_b32 s0, exec_lo
	v_cmpx_gt_i32_e64 s1, v0
	s_cbranch_execz .LBB106_13
.LBB106_61:
	v_bfe_i32 v1, v16, 0, 8
	v_bfe_i32 v2, v20, 0, 8
	;; [unrolled: 1-line block ×3, first 2 shown]
	s_delay_alu instid0(VALU_DEP_2) | instskip(SKIP_2) | instid1(VALU_DEP_3)
	v_max_i16 v1, v2, v1
	v_add_nc_u32_e32 v2, s2, v0
	v_add_nc_u32_e32 v0, 0x100, v0
	v_min_i16 v1, v1, v3
	global_store_b8 v2, v1, s[4:5]
	s_wait_xcnt 0x0
	s_or_b32 exec_lo, exec_lo, s0
	s_delay_alu instid0(SALU_CYCLE_1)
	s_mov_b32 s0, exec_lo
	v_cmpx_gt_i32_e64 s1, v0
	s_cbranch_execz .LBB106_14
.LBB106_62:
	v_bfe_i32 v1, v18, 0, 8
	v_bfe_i32 v2, v24, 0, 8
	;; [unrolled: 1-line block ×3, first 2 shown]
	s_delay_alu instid0(VALU_DEP_2) | instskip(SKIP_2) | instid1(VALU_DEP_3)
	v_max_i16 v1, v2, v1
	v_add_nc_u32_e32 v2, s2, v0
	v_add_nc_u32_e32 v0, 0x100, v0
	v_min_i16 v1, v1, v3
	global_store_b8 v2, v1, s[4:5]
	s_wait_xcnt 0x0
	s_or_b32 exec_lo, exec_lo, s0
	s_delay_alu instid0(SALU_CYCLE_1)
	s_mov_b32 s0, exec_lo
	v_cmpx_gt_i32_e64 s1, v0
	s_cbranch_execz .LBB106_15
.LBB106_63:
	v_bfe_i32 v1, v25, 0, 8
	v_bfe_i32 v2, v28, 0, 8
	;; [unrolled: 1-line block ×3, first 2 shown]
	s_delay_alu instid0(VALU_DEP_2) | instskip(SKIP_2) | instid1(VALU_DEP_3)
	v_max_i16 v1, v2, v1
	v_add_nc_u32_e32 v2, s2, v0
	v_add_nc_u32_e32 v0, 0x100, v0
	v_min_i16 v1, v1, v3
	global_store_b8 v2, v1, s[4:5]
	s_wait_xcnt 0x0
	s_or_b32 exec_lo, exec_lo, s0
	s_delay_alu instid0(SALU_CYCLE_1)
	s_mov_b32 s0, exec_lo
	v_cmpx_gt_i32_e64 s1, v0
	s_cbranch_execz .LBB106_16
.LBB106_64:
	v_bfe_i32 v1, v30, 0, 8
	v_bfe_i32 v2, v31, 0, 8
	;; [unrolled: 1-line block ×3, first 2 shown]
	s_delay_alu instid0(VALU_DEP_2) | instskip(SKIP_2) | instid1(VALU_DEP_3)
	v_max_i16 v1, v2, v1
	v_add_nc_u32_e32 v2, s2, v0
	v_add_nc_u32_e32 v0, 0x100, v0
	v_min_i16 v1, v1, v3
	global_store_b8 v2, v1, s[4:5]
	s_wait_xcnt 0x0
	s_or_b32 exec_lo, exec_lo, s0
	s_delay_alu instid0(SALU_CYCLE_1)
	s_mov_b32 s0, exec_lo
	v_cmpx_gt_i32_e64 s1, v0
	s_cbranch_execz .LBB106_17
.LBB106_65:
	v_bfe_i32 v1, v34, 0, 8
	v_bfe_i32 v2, v39, 0, 8
	;; [unrolled: 1-line block ×3, first 2 shown]
	s_delay_alu instid0(VALU_DEP_2) | instskip(SKIP_2) | instid1(VALU_DEP_3)
	v_max_i16 v1, v2, v1
	v_add_nc_u32_e32 v2, s2, v0
	v_add_nc_u32_e32 v0, 0x100, v0
	v_min_i16 v1, v1, v3
	global_store_b8 v2, v1, s[4:5]
	s_wait_xcnt 0x0
	s_or_b32 exec_lo, exec_lo, s0
	s_delay_alu instid0(SALU_CYCLE_1)
	s_mov_b32 s0, exec_lo
	v_cmpx_gt_i32_e64 s1, v0
	s_cbranch_execz .LBB106_18
.LBB106_66:
	v_bfe_i32 v1, v41, 0, 8
	v_bfe_i32 v2, v45, 0, 8
	;; [unrolled: 1-line block ×3, first 2 shown]
	s_delay_alu instid0(VALU_DEP_2) | instskip(SKIP_2) | instid1(VALU_DEP_3)
	v_max_i16 v1, v2, v1
	v_add_nc_u32_e32 v2, s2, v0
	v_add_nc_u32_e32 v0, 0x100, v0
	v_min_i16 v1, v1, v3
	global_store_b8 v2, v1, s[4:5]
	s_wait_xcnt 0x0
	s_or_b32 exec_lo, exec_lo, s0
	s_delay_alu instid0(SALU_CYCLE_1)
	s_mov_b32 s0, exec_lo
	v_cmpx_gt_i32_e64 s1, v0
	s_cbranch_execz .LBB106_19
.LBB106_67:
	v_bfe_i32 v1, v46, 0, 8
	v_bfe_i32 v2, v48, 0, 8
	;; [unrolled: 1-line block ×3, first 2 shown]
	s_delay_alu instid0(VALU_DEP_2) | instskip(SKIP_2) | instid1(VALU_DEP_3)
	v_max_i16 v1, v2, v1
	v_add_nc_u32_e32 v2, s2, v0
	v_add_nc_u32_e32 v0, 0x100, v0
	v_min_i16 v1, v1, v3
	global_store_b8 v2, v1, s[4:5]
	s_wait_xcnt 0x0
	s_or_b32 exec_lo, exec_lo, s0
	s_delay_alu instid0(SALU_CYCLE_1)
	s_mov_b32 s0, exec_lo
	v_cmpx_gt_i32_e64 s1, v0
	s_cbranch_execz .LBB106_20
.LBB106_68:
	v_bfe_i32 v1, v49, 0, 8
	v_bfe_i32 v2, v51, 0, 8
	;; [unrolled: 1-line block ×3, first 2 shown]
	s_delay_alu instid0(VALU_DEP_2) | instskip(SKIP_2) | instid1(VALU_DEP_3)
	v_max_i16 v1, v2, v1
	v_add_nc_u32_e32 v2, s2, v0
	v_add_nc_u32_e32 v0, 0x100, v0
	v_min_i16 v1, v1, v3
	global_store_b8 v2, v1, s[4:5]
	s_wait_xcnt 0x0
	s_or_b32 exec_lo, exec_lo, s0
	s_delay_alu instid0(SALU_CYCLE_1)
	s_mov_b32 s0, exec_lo
	v_cmpx_gt_i32_e64 s1, v0
	s_cbranch_execz .LBB106_21
.LBB106_69:
	v_bfe_i32 v1, v52, 0, 8
	v_bfe_i32 v2, v53, 0, 8
	;; [unrolled: 1-line block ×3, first 2 shown]
	s_delay_alu instid0(VALU_DEP_2) | instskip(SKIP_2) | instid1(VALU_DEP_3)
	v_max_i16 v1, v2, v1
	v_add_nc_u32_e32 v2, s2, v0
	v_add_nc_u32_e32 v0, 0x100, v0
	v_min_i16 v1, v1, v3
	global_store_b8 v2, v1, s[4:5]
	s_wait_xcnt 0x0
	s_or_b32 exec_lo, exec_lo, s0
	s_delay_alu instid0(SALU_CYCLE_1)
	s_mov_b32 s0, exec_lo
	v_cmpx_gt_i32_e64 s1, v0
	s_cbranch_execnz .LBB106_22
	s_branch .LBB106_23
	.section	.rodata,"a",@progbits
	.p2align	6, 0x0
	.amdhsa_kernel _ZN2at6native29vectorized_elementwise_kernelILi4EZZZNS0_12_GLOBAL__N_117clamp_kernel_implERNS_18TensorIteratorBaseEENKUlvE_clEvENKUlvE0_clEvEUlaaaE_St5arrayIPcLm4EEEEviT0_T1_
		.amdhsa_group_segment_fixed_size 0
		.amdhsa_private_segment_fixed_size 0
		.amdhsa_kernarg_size 40
		.amdhsa_user_sgpr_count 2
		.amdhsa_user_sgpr_dispatch_ptr 0
		.amdhsa_user_sgpr_queue_ptr 0
		.amdhsa_user_sgpr_kernarg_segment_ptr 1
		.amdhsa_user_sgpr_dispatch_id 0
		.amdhsa_user_sgpr_kernarg_preload_length 0
		.amdhsa_user_sgpr_kernarg_preload_offset 0
		.amdhsa_user_sgpr_private_segment_size 0
		.amdhsa_wavefront_size32 1
		.amdhsa_uses_dynamic_stack 0
		.amdhsa_enable_private_segment 0
		.amdhsa_system_sgpr_workgroup_id_x 1
		.amdhsa_system_sgpr_workgroup_id_y 0
		.amdhsa_system_sgpr_workgroup_id_z 0
		.amdhsa_system_sgpr_workgroup_info 0
		.amdhsa_system_vgpr_workitem_id 0
		.amdhsa_next_free_vgpr 57
		.amdhsa_next_free_sgpr 21
		.amdhsa_named_barrier_count 0
		.amdhsa_reserve_vcc 1
		.amdhsa_float_round_mode_32 0
		.amdhsa_float_round_mode_16_64 0
		.amdhsa_float_denorm_mode_32 3
		.amdhsa_float_denorm_mode_16_64 3
		.amdhsa_fp16_overflow 0
		.amdhsa_memory_ordered 1
		.amdhsa_forward_progress 1
		.amdhsa_inst_pref_size 50
		.amdhsa_round_robin_scheduling 0
		.amdhsa_exception_fp_ieee_invalid_op 0
		.amdhsa_exception_fp_denorm_src 0
		.amdhsa_exception_fp_ieee_div_zero 0
		.amdhsa_exception_fp_ieee_overflow 0
		.amdhsa_exception_fp_ieee_underflow 0
		.amdhsa_exception_fp_ieee_inexact 0
		.amdhsa_exception_int_div_zero 0
	.end_amdhsa_kernel
	.section	.text._ZN2at6native29vectorized_elementwise_kernelILi4EZZZNS0_12_GLOBAL__N_117clamp_kernel_implERNS_18TensorIteratorBaseEENKUlvE_clEvENKUlvE0_clEvEUlaaaE_St5arrayIPcLm4EEEEviT0_T1_,"axG",@progbits,_ZN2at6native29vectorized_elementwise_kernelILi4EZZZNS0_12_GLOBAL__N_117clamp_kernel_implERNS_18TensorIteratorBaseEENKUlvE_clEvENKUlvE0_clEvEUlaaaE_St5arrayIPcLm4EEEEviT0_T1_,comdat
.Lfunc_end106:
	.size	_ZN2at6native29vectorized_elementwise_kernelILi4EZZZNS0_12_GLOBAL__N_117clamp_kernel_implERNS_18TensorIteratorBaseEENKUlvE_clEvENKUlvE0_clEvEUlaaaE_St5arrayIPcLm4EEEEviT0_T1_, .Lfunc_end106-_ZN2at6native29vectorized_elementwise_kernelILi4EZZZNS0_12_GLOBAL__N_117clamp_kernel_implERNS_18TensorIteratorBaseEENKUlvE_clEvENKUlvE0_clEvEUlaaaE_St5arrayIPcLm4EEEEviT0_T1_
                                        ; -- End function
	.set _ZN2at6native29vectorized_elementwise_kernelILi4EZZZNS0_12_GLOBAL__N_117clamp_kernel_implERNS_18TensorIteratorBaseEENKUlvE_clEvENKUlvE0_clEvEUlaaaE_St5arrayIPcLm4EEEEviT0_T1_.num_vgpr, 57
	.set _ZN2at6native29vectorized_elementwise_kernelILi4EZZZNS0_12_GLOBAL__N_117clamp_kernel_implERNS_18TensorIteratorBaseEENKUlvE_clEvENKUlvE0_clEvEUlaaaE_St5arrayIPcLm4EEEEviT0_T1_.num_agpr, 0
	.set _ZN2at6native29vectorized_elementwise_kernelILi4EZZZNS0_12_GLOBAL__N_117clamp_kernel_implERNS_18TensorIteratorBaseEENKUlvE_clEvENKUlvE0_clEvEUlaaaE_St5arrayIPcLm4EEEEviT0_T1_.numbered_sgpr, 21
	.set _ZN2at6native29vectorized_elementwise_kernelILi4EZZZNS0_12_GLOBAL__N_117clamp_kernel_implERNS_18TensorIteratorBaseEENKUlvE_clEvENKUlvE0_clEvEUlaaaE_St5arrayIPcLm4EEEEviT0_T1_.num_named_barrier, 0
	.set _ZN2at6native29vectorized_elementwise_kernelILi4EZZZNS0_12_GLOBAL__N_117clamp_kernel_implERNS_18TensorIteratorBaseEENKUlvE_clEvENKUlvE0_clEvEUlaaaE_St5arrayIPcLm4EEEEviT0_T1_.private_seg_size, 0
	.set _ZN2at6native29vectorized_elementwise_kernelILi4EZZZNS0_12_GLOBAL__N_117clamp_kernel_implERNS_18TensorIteratorBaseEENKUlvE_clEvENKUlvE0_clEvEUlaaaE_St5arrayIPcLm4EEEEviT0_T1_.uses_vcc, 1
	.set _ZN2at6native29vectorized_elementwise_kernelILi4EZZZNS0_12_GLOBAL__N_117clamp_kernel_implERNS_18TensorIteratorBaseEENKUlvE_clEvENKUlvE0_clEvEUlaaaE_St5arrayIPcLm4EEEEviT0_T1_.uses_flat_scratch, 0
	.set _ZN2at6native29vectorized_elementwise_kernelILi4EZZZNS0_12_GLOBAL__N_117clamp_kernel_implERNS_18TensorIteratorBaseEENKUlvE_clEvENKUlvE0_clEvEUlaaaE_St5arrayIPcLm4EEEEviT0_T1_.has_dyn_sized_stack, 0
	.set _ZN2at6native29vectorized_elementwise_kernelILi4EZZZNS0_12_GLOBAL__N_117clamp_kernel_implERNS_18TensorIteratorBaseEENKUlvE_clEvENKUlvE0_clEvEUlaaaE_St5arrayIPcLm4EEEEviT0_T1_.has_recursion, 0
	.set _ZN2at6native29vectorized_elementwise_kernelILi4EZZZNS0_12_GLOBAL__N_117clamp_kernel_implERNS_18TensorIteratorBaseEENKUlvE_clEvENKUlvE0_clEvEUlaaaE_St5arrayIPcLm4EEEEviT0_T1_.has_indirect_call, 0
	.section	.AMDGPU.csdata,"",@progbits
; Kernel info:
; codeLenInByte = 6384
; TotalNumSgprs: 23
; NumVgprs: 57
; ScratchSize: 0
; MemoryBound: 0
; FloatMode: 240
; IeeeMode: 1
; LDSByteSize: 0 bytes/workgroup (compile time only)
; SGPRBlocks: 0
; VGPRBlocks: 3
; NumSGPRsForWavesPerEU: 23
; NumVGPRsForWavesPerEU: 57
; NamedBarCnt: 0
; Occupancy: 16
; WaveLimiterHint : 1
; COMPUTE_PGM_RSRC2:SCRATCH_EN: 0
; COMPUTE_PGM_RSRC2:USER_SGPR: 2
; COMPUTE_PGM_RSRC2:TRAP_HANDLER: 0
; COMPUTE_PGM_RSRC2:TGID_X_EN: 1
; COMPUTE_PGM_RSRC2:TGID_Y_EN: 0
; COMPUTE_PGM_RSRC2:TGID_Z_EN: 0
; COMPUTE_PGM_RSRC2:TIDIG_COMP_CNT: 0
	.section	.text._ZN2at6native29vectorized_elementwise_kernelILi2EZZZNS0_12_GLOBAL__N_117clamp_kernel_implERNS_18TensorIteratorBaseEENKUlvE_clEvENKUlvE0_clEvEUlaaaE_St5arrayIPcLm4EEEEviT0_T1_,"axG",@progbits,_ZN2at6native29vectorized_elementwise_kernelILi2EZZZNS0_12_GLOBAL__N_117clamp_kernel_implERNS_18TensorIteratorBaseEENKUlvE_clEvENKUlvE0_clEvEUlaaaE_St5arrayIPcLm4EEEEviT0_T1_,comdat
	.globl	_ZN2at6native29vectorized_elementwise_kernelILi2EZZZNS0_12_GLOBAL__N_117clamp_kernel_implERNS_18TensorIteratorBaseEENKUlvE_clEvENKUlvE0_clEvEUlaaaE_St5arrayIPcLm4EEEEviT0_T1_ ; -- Begin function _ZN2at6native29vectorized_elementwise_kernelILi2EZZZNS0_12_GLOBAL__N_117clamp_kernel_implERNS_18TensorIteratorBaseEENKUlvE_clEvENKUlvE0_clEvEUlaaaE_St5arrayIPcLm4EEEEviT0_T1_
	.p2align	8
	.type	_ZN2at6native29vectorized_elementwise_kernelILi2EZZZNS0_12_GLOBAL__N_117clamp_kernel_implERNS_18TensorIteratorBaseEENKUlvE_clEvENKUlvE0_clEvEUlaaaE_St5arrayIPcLm4EEEEviT0_T1_,@function
_ZN2at6native29vectorized_elementwise_kernelILi2EZZZNS0_12_GLOBAL__N_117clamp_kernel_implERNS_18TensorIteratorBaseEENKUlvE_clEvENKUlvE0_clEvEUlaaaE_St5arrayIPcLm4EEEEviT0_T1_: ; @_ZN2at6native29vectorized_elementwise_kernelILi2EZZZNS0_12_GLOBAL__N_117clamp_kernel_implERNS_18TensorIteratorBaseEENKUlvE_clEvENKUlvE0_clEvEUlaaaE_St5arrayIPcLm4EEEEviT0_T1_
; %bb.0:
	s_clause 0x1
	s_load_b32 s3, s[0:1], 0x0
	s_load_b256 s[4:11], s[0:1], 0x8
	s_wait_xcnt 0x0
	s_bfe_u32 s0, ttmp6, 0x4000c
	s_and_b32 s1, ttmp6, 15
	s_add_co_i32 s0, s0, 1
	s_getreg_b32 s2, hwreg(HW_REG_IB_STS2, 6, 4)
	s_mul_i32 s0, ttmp9, s0
	s_delay_alu instid0(SALU_CYCLE_1) | instskip(SKIP_2) | instid1(SALU_CYCLE_1)
	s_add_co_i32 s1, s1, s0
	s_cmp_eq_u32 s2, 0
	s_cselect_b32 s0, ttmp9, s1
	s_lshl_b32 s2, s0, 12
	s_mov_b32 s0, -1
	s_wait_kmcnt 0x0
	s_sub_co_i32 s1, s3, s2
	s_delay_alu instid0(SALU_CYCLE_1)
	s_cmp_gt_i32 s1, 0xfff
	s_cbranch_scc0 .LBB107_2
; %bb.1:
	s_ashr_i32 s3, s2, 31
	s_mov_b32 s0, 0
	s_add_nc_u64 s[12:13], s[6:7], s[2:3]
	s_add_nc_u64 s[14:15], s[8:9], s[2:3]
	s_clause 0xe
	global_load_u16 v1, v0, s[12:13] scale_offset
	global_load_u16 v2, v0, s[12:13] offset:512 scale_offset
	global_load_u16 v3, v0, s[12:13] offset:1024 scale_offset
	;; [unrolled: 1-line block ×7, first 2 shown]
	global_load_u16 v9, v0, s[14:15] scale_offset
	global_load_u16 v10, v0, s[14:15] offset:512 scale_offset
	global_load_u16 v11, v0, s[14:15] offset:1024 scale_offset
	;; [unrolled: 1-line block ×6, first 2 shown]
	s_wait_xcnt 0x7
	s_add_nc_u64 s[12:13], s[10:11], s[2:3]
	s_clause 0x8
	global_load_u16 v16, v0, s[14:15] offset:3584 scale_offset
	global_load_u16 v17, v0, s[12:13] scale_offset
	global_load_u16 v18, v0, s[12:13] offset:512 scale_offset
	global_load_u16 v19, v0, s[12:13] offset:1024 scale_offset
	;; [unrolled: 1-line block ×7, first 2 shown]
	s_wait_xcnt 0x0
	s_add_nc_u64 s[12:13], s[4:5], s[2:3]
	s_wait_loadcnt 0x10
	v_bfe_i32 v32, v8, 0, 8
	v_bfe_i32 v25, v1, 0, 8
	v_ashrrev_i16 v1, 8, v1
	s_wait_loadcnt 0xf
	v_bfe_i32 v33, v9, 0, 8
	v_ashrrev_i16 v9, 8, v9
	v_bfe_i32 v26, v2, 0, 8
	v_ashrrev_i16 v2, 8, v2
	s_wait_loadcnt 0xe
	v_bfe_i32 v34, v10, 0, 8
	v_ashrrev_i16 v10, 8, v10
	;; [unrolled: 5-line block ×5, first 2 shown]
	v_bfe_i32 v30, v6, 0, 8
	v_ashrrev_i16 v6, 8, v6
	v_bfe_i32 v31, v7, 0, 8
	v_ashrrev_i16 v7, 8, v7
	v_ashrrev_i16 v8, 8, v8
	s_wait_loadcnt 0xa
	v_bfe_i32 v38, v14, 0, 8
	v_ashrrev_i16 v14, 8, v14
	s_wait_loadcnt 0x9
	v_bfe_i32 v39, v15, 0, 8
	;; [unrolled: 3-line block ×4, first 2 shown]
	v_ashrrev_i16 v17, 8, v17
	v_max_i16 v1, v1, v9
	s_wait_loadcnt 0x6
	v_bfe_i32 v42, v18, 0, 8
	v_ashrrev_i16 v18, 8, v18
	v_max_i16 v2, v2, v10
	s_wait_loadcnt 0x5
	v_bfe_i32 v43, v19, 0, 8
	;; [unrolled: 4-line block ×5, first 2 shown]
	v_ashrrev_i16 v22, 8, v22
	s_wait_loadcnt 0x1
	v_bfe_i32 v47, v23, 0, 8
	v_ashrrev_i16 v23, 8, v23
	s_wait_loadcnt 0x0
	v_bfe_i32 v48, v24, 0, 8
	v_ashrrev_i16 v24, 8, v24
	v_max_i16 v25, v25, v33
	v_max_i16 v6, v6, v14
	;; [unrolled: 1-line block ×4, first 2 shown]
	v_min_i16 v1, v1, v17
	v_max_i16 v9, v26, v34
	v_min_i16 v2, v2, v18
	v_max_i16 v10, v27, v35
	;; [unrolled: 2-line block ×5, first 2 shown]
	v_max_i16 v14, v31, v39
	v_max_i16 v15, v32, v40
	v_min_i16 v16, v25, v41
	v_min_i16 v6, v6, v22
	;; [unrolled: 1-line block ×4, first 2 shown]
	v_lshlrev_b16 v1, 8, v1
	v_min_i16 v9, v9, v42
	v_lshlrev_b16 v2, 8, v2
	v_min_i16 v10, v10, v43
	;; [unrolled: 2-line block ×5, first 2 shown]
	v_min_i16 v14, v14, v47
	v_min_i16 v15, v15, v48
	v_lshlrev_b16 v6, 8, v6
	v_lshlrev_b16 v7, 8, v7
	;; [unrolled: 1-line block ×3, first 2 shown]
	v_bitop3_b16 v1, v1, v16, 0xff bitop3:0xf8
	v_bitop3_b16 v2, v2, v9, 0xff bitop3:0xf8
	;; [unrolled: 1-line block ×8, first 2 shown]
	s_clause 0x7
	global_store_b16 v0, v1, s[12:13] scale_offset
	global_store_b16 v0, v2, s[12:13] offset:512 scale_offset
	global_store_b16 v0, v3, s[12:13] offset:1024 scale_offset
	;; [unrolled: 1-line block ×7, first 2 shown]
.LBB107_2:
	s_and_not1_b32 vcc_lo, exec_lo, s0
	s_cbranch_vccnz .LBB107_23
; %bb.3:
	v_cmp_le_i32_e64 s0, s1, v0
	s_wait_xcnt 0x7
	v_or_b32_e32 v1, 0x100, v0
	v_cmp_gt_i32_e32 vcc_lo, s1, v0
	s_wait_xcnt 0x0
	s_and_saveexec_b32 s3, s0
	s_delay_alu instid0(SALU_CYCLE_1)
	s_xor_b32 s0, exec_lo, s3
; %bb.4:
	v_or_b32_e32 v1, 0x100, v0
; %bb.5:
	s_or_saveexec_b32 s3, s0
	v_dual_mov_b32 v54, 0 :: v_dual_bitop2_b32 v10, s2, v0 bitop3:0x54
	v_dual_mov_b32 v53, 0 :: v_dual_mov_b32 v52, 0
	v_dual_mov_b32 v50, 0 :: v_dual_mov_b32 v51, 0
	;; [unrolled: 1-line block ×22, first 2 shown]
	v_mov_b32_e32 v42, 0
	s_xor_b32 exec_lo, exec_lo, s3
	s_cbranch_execnz .LBB107_24
; %bb.6:
	s_or_b32 exec_lo, exec_lo, s3
	s_and_saveexec_b32 s0, vcc_lo
	s_cbranch_execnz .LBB107_55
.LBB107_7:
	s_or_b32 exec_lo, exec_lo, s0
	s_delay_alu instid0(SALU_CYCLE_1)
	s_mov_b32 s0, exec_lo
	v_cmpx_gt_i32_e64 s1, v0
	s_cbranch_execnz .LBB107_56
.LBB107_8:
	s_or_b32 exec_lo, exec_lo, s0
	s_delay_alu instid0(SALU_CYCLE_1)
	s_mov_b32 s0, exec_lo
	v_cmpx_gt_i32_e64 s1, v0
	s_cbranch_execnz .LBB107_57
.LBB107_9:
	s_or_b32 exec_lo, exec_lo, s0
	s_delay_alu instid0(SALU_CYCLE_1)
	s_mov_b32 s0, exec_lo
	v_cmpx_gt_i32_e64 s1, v0
	s_cbranch_execnz .LBB107_58
.LBB107_10:
	s_or_b32 exec_lo, exec_lo, s0
	s_delay_alu instid0(SALU_CYCLE_1)
	s_mov_b32 s0, exec_lo
	v_cmpx_gt_i32_e64 s1, v0
	s_cbranch_execnz .LBB107_59
.LBB107_11:
	s_or_b32 exec_lo, exec_lo, s0
	s_delay_alu instid0(SALU_CYCLE_1)
	s_mov_b32 s0, exec_lo
	v_cmpx_gt_i32_e64 s1, v0
	s_cbranch_execnz .LBB107_60
.LBB107_12:
	s_or_b32 exec_lo, exec_lo, s0
	s_delay_alu instid0(SALU_CYCLE_1)
	s_mov_b32 s0, exec_lo
	v_cmpx_gt_i32_e64 s1, v0
	s_cbranch_execnz .LBB107_61
.LBB107_13:
	s_or_b32 exec_lo, exec_lo, s0
	s_delay_alu instid0(SALU_CYCLE_1)
	s_mov_b32 s0, exec_lo
	v_cmpx_gt_i32_e64 s1, v0
	s_cbranch_execnz .LBB107_62
.LBB107_14:
	s_or_b32 exec_lo, exec_lo, s0
	s_delay_alu instid0(SALU_CYCLE_1)
	s_mov_b32 s0, exec_lo
	v_cmpx_gt_i32_e64 s1, v0
	s_cbranch_execnz .LBB107_63
.LBB107_15:
	s_or_b32 exec_lo, exec_lo, s0
	s_delay_alu instid0(SALU_CYCLE_1)
	s_mov_b32 s0, exec_lo
	v_cmpx_gt_i32_e64 s1, v0
	s_cbranch_execnz .LBB107_64
.LBB107_16:
	s_or_b32 exec_lo, exec_lo, s0
	s_delay_alu instid0(SALU_CYCLE_1)
	s_mov_b32 s0, exec_lo
	v_cmpx_gt_i32_e64 s1, v0
	s_cbranch_execnz .LBB107_65
.LBB107_17:
	s_or_b32 exec_lo, exec_lo, s0
	s_delay_alu instid0(SALU_CYCLE_1)
	s_mov_b32 s0, exec_lo
	v_cmpx_gt_i32_e64 s1, v0
	s_cbranch_execnz .LBB107_66
.LBB107_18:
	s_or_b32 exec_lo, exec_lo, s0
	s_delay_alu instid0(SALU_CYCLE_1)
	s_mov_b32 s0, exec_lo
	v_cmpx_gt_i32_e64 s1, v0
	s_cbranch_execnz .LBB107_67
.LBB107_19:
	s_or_b32 exec_lo, exec_lo, s0
	s_delay_alu instid0(SALU_CYCLE_1)
	s_mov_b32 s0, exec_lo
	v_cmpx_gt_i32_e64 s1, v0
	s_cbranch_execnz .LBB107_68
.LBB107_20:
	s_or_b32 exec_lo, exec_lo, s0
	s_delay_alu instid0(SALU_CYCLE_1)
	s_mov_b32 s0, exec_lo
	v_cmpx_gt_i32_e64 s1, v0
	s_cbranch_execnz .LBB107_69
.LBB107_21:
	s_or_b32 exec_lo, exec_lo, s0
	s_delay_alu instid0(SALU_CYCLE_1)
	s_mov_b32 s0, exec_lo
	v_cmpx_gt_i32_e64 s1, v0
	s_cbranch_execz .LBB107_23
.LBB107_22:
	v_add_nc_u32_e32 v0, s2, v0
	global_store_b8 v0, v54, s[4:5]
.LBB107_23:
	s_endpgm
.LBB107_24:
	s_clause 0x2
	global_load_u8 v40, v10, s[6:7]
	global_load_u8 v43, v10, s[8:9]
	;; [unrolled: 1-line block ×3, first 2 shown]
	v_cmp_gt_u32_e64 s0, s1, v1
	v_dual_mov_b32 v35, 0 :: v_dual_mov_b32 v38, 0
	v_dual_mov_b32 v37, 0 :: v_dual_mov_b32 v3, 0
	;; [unrolled: 1-line block ×21, first 2 shown]
	v_mov_b32_e32 v54, 0
	s_wait_xcnt 0x0
	s_and_saveexec_b32 s12, s0
	s_cbranch_execz .LBB107_54
; %bb.25:
	v_dual_mov_b32 v3, 0 :: v_dual_add_nc_u32 v2, s2, v0
	v_or_b32_e32 v4, 0x200, v0
	v_dual_mov_b32 v33, 0 :: v_dual_mov_b32 v32, 0
	s_clause 0x2
	global_load_u8 v37, v2, s[6:7] offset:256
	global_load_u8 v38, v2, s[8:9] offset:256
	;; [unrolled: 1-line block ×3, first 2 shown]
	v_mov_b32_e32 v26, 0
	v_cmp_gt_u32_e64 s0, s1, v4
	v_dual_mov_b32 v4, 0 :: v_dual_mov_b32 v27, 0
	v_dual_mov_b32 v15, 0 :: v_dual_mov_b32 v22, 0
	v_dual_mov_b32 v23, 0 :: v_dual_mov_b32 v13, 0
	v_dual_mov_b32 v17, 0 :: v_dual_mov_b32 v19, 0
	v_dual_mov_b32 v11, 0 :: v_dual_mov_b32 v16, 0
	v_dual_mov_b32 v20, 0 :: v_dual_mov_b32 v12, 0
	v_dual_mov_b32 v18, 0 :: v_dual_mov_b32 v24, 0
	v_dual_mov_b32 v14, 0 :: v_dual_mov_b32 v25, 0
	v_dual_mov_b32 v28, 0 :: v_dual_mov_b32 v21, 0
	v_dual_mov_b32 v30, 0 :: v_dual_mov_b32 v31, 0
	v_dual_mov_b32 v29, 0 :: v_dual_mov_b32 v34, 0
	v_dual_mov_b32 v39, 0 :: v_dual_mov_b32 v36, 0
	v_dual_mov_b32 v41, 0 :: v_dual_mov_b32 v45, 0
	v_dual_mov_b32 v44, 0 :: v_dual_mov_b32 v46, 0
	v_dual_mov_b32 v48, 0 :: v_dual_mov_b32 v47, 0
	v_dual_mov_b32 v49, 0 :: v_dual_mov_b32 v51, 0
	v_dual_mov_b32 v50, 0 :: v_dual_mov_b32 v52, 0
	v_dual_mov_b32 v53, 0 :: v_dual_mov_b32 v54, 0
	s_wait_xcnt 0x0
	s_and_saveexec_b32 s13, s0
	s_cbranch_execz .LBB107_53
; %bb.26:
	v_add_nc_u64_e32 v[4:5], s[6:7], v[2:3]
	v_add_nc_u64_e32 v[6:7], s[8:9], v[2:3]
	;; [unrolled: 1-line block ×3, first 2 shown]
	v_or_b32_e32 v11, 0x300, v0
	v_dual_mov_b32 v26, 0 :: v_dual_mov_b32 v27, 0
	v_dual_mov_b32 v15, 0 :: v_dual_mov_b32 v22, 0
	global_load_u8 v32, v[4:5], off offset:512
	global_load_u8 v33, v[6:7], off offset:512
	;; [unrolled: 1-line block ×3, first 2 shown]
	v_cmp_gt_u32_e64 s0, s1, v11
	v_dual_mov_b32 v23, 0 :: v_dual_mov_b32 v13, 0
	v_dual_mov_b32 v17, 0 :: v_dual_mov_b32 v19, 0
	;; [unrolled: 1-line block ×16, first 2 shown]
	s_wait_xcnt 0x0
	s_and_saveexec_b32 s6, s0
	s_cbranch_execz .LBB107_52
; %bb.27:
	global_load_u8 v27, v[4:5], off offset:768
	global_load_u8 v26, v[6:7], off offset:768
	;; [unrolled: 1-line block ×3, first 2 shown]
	v_or_b32_e32 v11, 0x400, v0
	v_dual_mov_b32 v15, 0 :: v_dual_mov_b32 v22, 0
	v_dual_mov_b32 v23, 0 :: v_dual_mov_b32 v13, 0
	s_delay_alu instid0(VALU_DEP_3)
	v_cmp_gt_u32_e64 s0, s1, v11
	v_dual_mov_b32 v17, 0 :: v_dual_mov_b32 v19, 0
	v_dual_mov_b32 v11, 0 :: v_dual_mov_b32 v16, 0
	;; [unrolled: 1-line block ×15, first 2 shown]
	s_wait_xcnt 0x0
	s_and_saveexec_b32 s7, s0
	s_cbranch_execz .LBB107_51
; %bb.28:
	global_load_u8 v23, v[4:5], off offset:1024
	global_load_u8 v22, v[6:7], off offset:1024
	;; [unrolled: 1-line block ×3, first 2 shown]
	v_or_b32_e32 v11, 0x500, v0
	v_dual_mov_b32 v13, 0 :: v_dual_mov_b32 v17, 0
	v_dual_mov_b32 v19, 0 :: v_dual_mov_b32 v16, 0
	v_mov_b32_e32 v20, 0
	s_delay_alu instid0(VALU_DEP_4)
	v_cmp_gt_u32_e64 s0, s1, v11
	v_dual_mov_b32 v11, 0 :: v_dual_mov_b32 v12, 0
	v_dual_mov_b32 v18, 0 :: v_dual_mov_b32 v24, 0
	;; [unrolled: 1-line block ×13, first 2 shown]
	s_wait_xcnt 0x0
	s_and_saveexec_b32 s8, s0
	s_cbranch_execz .LBB107_50
; %bb.29:
	global_load_u8 v19, v[4:5], off offset:1280
	global_load_u8 v17, v[6:7], off offset:1280
	;; [unrolled: 1-line block ×3, first 2 shown]
	v_or_b32_e32 v11, 0x600, v0
	v_dual_mov_b32 v20, 0 :: v_dual_mov_b32 v12, 0
	v_dual_mov_b32 v18, 0 :: v_dual_mov_b32 v24, 0
	s_delay_alu instid0(VALU_DEP_3)
	v_cmp_gt_u32_e64 s0, s1, v11
	v_dual_mov_b32 v11, 0 :: v_dual_mov_b32 v16, 0
	v_dual_mov_b32 v14, 0 :: v_dual_mov_b32 v25, 0
	;; [unrolled: 1-line block ×12, first 2 shown]
	s_wait_xcnt 0x0
	s_and_saveexec_b32 s9, s0
	s_cbranch_execz .LBB107_49
; %bb.30:
	global_load_u8 v20, v[4:5], off offset:1536
	global_load_u8 v16, v[6:7], off offset:1536
	;; [unrolled: 1-line block ×3, first 2 shown]
	v_or_b32_e32 v12, 0x700, v0
	v_dual_mov_b32 v24, 0 :: v_dual_mov_b32 v14, 0
	v_dual_mov_b32 v25, 0 :: v_dual_mov_b32 v28, 0
	s_delay_alu instid0(VALU_DEP_3)
	v_cmp_gt_u32_e64 s0, s1, v12
	v_dual_mov_b32 v12, 0 :: v_dual_mov_b32 v18, 0
	v_dual_mov_b32 v21, 0 :: v_dual_mov_b32 v30, 0
	;; [unrolled: 1-line block ×10, first 2 shown]
	v_mov_b32_e32 v54, 0
	s_wait_xcnt 0x0
	s_and_saveexec_b32 s10, s0
	s_cbranch_execz .LBB107_48
; %bb.31:
	global_load_u8 v24, v[4:5], off offset:1792
	global_load_u8 v18, v[6:7], off offset:1792
	;; [unrolled: 1-line block ×3, first 2 shown]
	v_or_b32_e32 v14, 0x800, v0
	v_dual_mov_b32 v28, 0 :: v_dual_mov_b32 v21, 0
	v_dual_mov_b32 v30, 0 :: v_dual_mov_b32 v31, 0
	s_delay_alu instid0(VALU_DEP_3)
	v_cmp_gt_u32_e64 s0, s1, v14
	v_dual_mov_b32 v14, 0 :: v_dual_mov_b32 v25, 0
	v_dual_mov_b32 v29, 0 :: v_dual_mov_b32 v34, 0
	;; [unrolled: 1-line block ×9, first 2 shown]
	s_wait_xcnt 0x0
	s_and_saveexec_b32 s11, s0
	s_cbranch_execz .LBB107_47
; %bb.32:
	global_load_u8 v28, v[4:5], off offset:2048
	global_load_u8 v25, v[6:7], off offset:2048
	;; [unrolled: 1-line block ×3, first 2 shown]
	v_or_b32_e32 v21, 0x900, v0
	v_dual_mov_b32 v31, 0 :: v_dual_mov_b32 v29, 0
	v_dual_mov_b32 v34, 0 :: v_dual_mov_b32 v39, 0
	s_delay_alu instid0(VALU_DEP_3)
	v_cmp_gt_u32_e64 s0, s1, v21
	v_dual_mov_b32 v21, 0 :: v_dual_mov_b32 v30, 0
	v_dual_mov_b32 v36, 0 :: v_dual_mov_b32 v41, 0
	;; [unrolled: 1-line block ×7, first 2 shown]
	v_mov_b32_e32 v54, 0
	s_wait_xcnt 0x0
	s_and_saveexec_b32 s14, s0
	s_cbranch_execz .LBB107_46
; %bb.33:
	global_load_u8 v31, v[4:5], off offset:2304
	global_load_u8 v30, v[6:7], off offset:2304
	;; [unrolled: 1-line block ×3, first 2 shown]
	v_or_b32_e32 v29, 0xa00, v0
	v_dual_mov_b32 v39, 0 :: v_dual_mov_b32 v36, 0
	v_dual_mov_b32 v41, 0 :: v_dual_mov_b32 v45, 0
	s_delay_alu instid0(VALU_DEP_3)
	v_cmp_gt_u32_e64 s0, s1, v29
	v_dual_mov_b32 v29, 0 :: v_dual_mov_b32 v34, 0
	v_dual_mov_b32 v44, 0 :: v_dual_mov_b32 v46, 0
	;; [unrolled: 1-line block ×6, first 2 shown]
	s_wait_xcnt 0x0
	s_and_saveexec_b32 s15, s0
	s_cbranch_execz .LBB107_45
; %bb.34:
	global_load_u8 v39, v[4:5], off offset:2560
	global_load_u8 v34, v[6:7], off offset:2560
	global_load_u8 v29, v[8:9], off offset:2560
	v_or_b32_e32 v36, 0xb00, v0
	v_dual_mov_b32 v45, 0 :: v_dual_mov_b32 v44, 0
	v_dual_mov_b32 v46, 0 :: v_dual_mov_b32 v48, 0
	s_delay_alu instid0(VALU_DEP_3)
	v_cmp_gt_u32_e64 s0, s1, v36
	v_dual_mov_b32 v36, 0 :: v_dual_mov_b32 v41, 0
	v_dual_mov_b32 v47, 0 :: v_dual_mov_b32 v49, 0
	;; [unrolled: 1-line block ×4, first 2 shown]
	v_mov_b32_e32 v54, 0
	s_wait_xcnt 0x0
	s_and_saveexec_b32 s16, s0
	s_cbranch_execz .LBB107_44
; %bb.35:
	global_load_u8 v45, v[4:5], off offset:2816
	global_load_u8 v41, v[6:7], off offset:2816
	;; [unrolled: 1-line block ×3, first 2 shown]
	v_or_b32_e32 v44, 0xc00, v0
	v_dual_mov_b32 v48, 0 :: v_dual_mov_b32 v47, 0
	v_dual_mov_b32 v49, 0 :: v_dual_mov_b32 v51, 0
	s_delay_alu instid0(VALU_DEP_3)
	v_cmp_gt_u32_e64 s0, s1, v44
	v_dual_mov_b32 v44, 0 :: v_dual_mov_b32 v46, 0
	v_dual_mov_b32 v50, 0 :: v_dual_mov_b32 v52, 0
	;; [unrolled: 1-line block ×3, first 2 shown]
	s_wait_xcnt 0x0
	s_and_saveexec_b32 s17, s0
	s_cbranch_execz .LBB107_43
; %bb.36:
	global_load_u8 v48, v[4:5], off offset:3072
	global_load_u8 v46, v[6:7], off offset:3072
	global_load_u8 v44, v[8:9], off offset:3072
	v_or_b32_e32 v47, 0xd00, v0
	v_dual_mov_b32 v51, 0 :: v_dual_mov_b32 v50, 0
	v_dual_mov_b32 v52, 0 :: v_dual_mov_b32 v53, 0
	s_delay_alu instid0(VALU_DEP_3)
	v_cmp_gt_u32_e64 s0, s1, v47
	v_dual_mov_b32 v47, 0 :: v_dual_mov_b32 v49, 0
	v_mov_b32_e32 v54, 0
	s_wait_xcnt 0x0
	s_and_saveexec_b32 s18, s0
	s_cbranch_execz .LBB107_42
; %bb.37:
	global_load_u8 v51, v[4:5], off offset:3328
	global_load_u8 v49, v[6:7], off offset:3328
	global_load_u8 v47, v[8:9], off offset:3328
	v_or_b32_e32 v50, 0xe00, v0
	v_dual_mov_b32 v53, 0 :: v_dual_mov_b32 v54, 0
	v_mov_b32_e32 v52, 0
	s_delay_alu instid0(VALU_DEP_3)
	v_cmp_gt_u32_e64 s0, s1, v50
	v_mov_b32_e32 v50, 0
	s_wait_xcnt 0x0
	s_and_saveexec_b32 s19, s0
	s_cbranch_execz .LBB107_41
; %bb.38:
	global_load_u8 v53, v[4:5], off offset:3584
	global_load_u8 v52, v[6:7], off offset:3584
	;; [unrolled: 1-line block ×3, first 2 shown]
	v_or_b32_e32 v54, 0xf00, v0
	s_delay_alu instid0(VALU_DEP_1)
	v_cmp_gt_u32_e64 s0, s1, v54
	v_mov_b32_e32 v54, 0
	s_wait_xcnt 0x0
	s_and_saveexec_b32 s20, s0
	s_cbranch_execz .LBB107_40
; %bb.39:
	global_load_i8 v54, v[4:5], off offset:3840
	global_load_i8 v55, v[6:7], off offset:3840
	;; [unrolled: 1-line block ×3, first 2 shown]
	s_wait_loadcnt 0x1
	s_wait_xcnt 0x2
	v_max_i16 v4, v54, v55
	s_wait_loadcnt 0x0
	s_delay_alu instid0(VALU_DEP_1)
	v_min_i16 v54, v4, v56
.LBB107_40:
	s_wait_xcnt 0x0
	s_or_b32 exec_lo, exec_lo, s20
.LBB107_41:
	s_delay_alu instid0(SALU_CYCLE_1)
	s_or_b32 exec_lo, exec_lo, s19
.LBB107_42:
	s_delay_alu instid0(SALU_CYCLE_1)
	s_or_b32 exec_lo, exec_lo, s18
.LBB107_43:
	s_delay_alu instid0(SALU_CYCLE_1)
	s_or_b32 exec_lo, exec_lo, s17
.LBB107_44:
	s_delay_alu instid0(SALU_CYCLE_1)
	s_or_b32 exec_lo, exec_lo, s16
.LBB107_45:
	s_delay_alu instid0(SALU_CYCLE_1)
	s_or_b32 exec_lo, exec_lo, s15
.LBB107_46:
	s_delay_alu instid0(SALU_CYCLE_1)
	s_or_b32 exec_lo, exec_lo, s14
.LBB107_47:
	s_delay_alu instid0(SALU_CYCLE_1)
	s_or_b32 exec_lo, exec_lo, s11
.LBB107_48:
	s_delay_alu instid0(SALU_CYCLE_1)
	s_or_b32 exec_lo, exec_lo, s10
.LBB107_49:
	s_delay_alu instid0(SALU_CYCLE_1)
	s_or_b32 exec_lo, exec_lo, s9
.LBB107_50:
	s_delay_alu instid0(SALU_CYCLE_1)
	s_or_b32 exec_lo, exec_lo, s8
.LBB107_51:
	s_delay_alu instid0(SALU_CYCLE_1)
	s_or_b32 exec_lo, exec_lo, s7
.LBB107_52:
	s_delay_alu instid0(SALU_CYCLE_1)
	s_or_b32 exec_lo, exec_lo, s6
	s_wait_loadcnt 0x0
	v_dual_mov_b32 v4, v3 :: v_dual_mov_b32 v3, v2
.LBB107_53:
	s_or_b32 exec_lo, exec_lo, s13
.LBB107_54:
	s_delay_alu instid0(SALU_CYCLE_1) | instskip(NEXT) | instid1(SALU_CYCLE_1)
	s_or_b32 exec_lo, exec_lo, s12
	s_or_b32 exec_lo, exec_lo, s3
	s_and_saveexec_b32 s0, vcc_lo
	s_cbranch_execz .LBB107_7
.LBB107_55:
	s_wait_loadcnt 0x1
	v_bfe_i32 v0, v43, 0, 8
	v_bfe_i32 v2, v40, 0, 8
	s_delay_alu instid0(VALU_DEP_1) | instskip(SKIP_2) | instid1(VALU_DEP_1)
	v_max_i16 v0, v2, v0
	s_wait_loadcnt 0x0
	v_bfe_i32 v2, v42, 0, 8
	v_min_i16 v2, v0, v2
	v_mov_b32_e32 v0, v1
	global_store_b8 v10, v2, s[4:5]
	s_wait_xcnt 0x0
	s_or_b32 exec_lo, exec_lo, s0
	s_delay_alu instid0(SALU_CYCLE_1)
	s_mov_b32 s0, exec_lo
	v_cmpx_gt_i32_e64 s1, v0
	s_cbranch_execz .LBB107_8
.LBB107_56:
	s_wait_loadcnt 0x1
	v_bfe_i32 v1, v38, 0, 8
	v_bfe_i32 v2, v37, 0, 8
	s_wait_loadcnt 0x0
	v_bfe_i32 v5, v35, 0, 8
	s_delay_alu instid0(VALU_DEP_2) | instskip(SKIP_2) | instid1(VALU_DEP_3)
	v_max_i16 v1, v2, v1
	v_add_nc_u32_e32 v2, s2, v0
	v_add_nc_u32_e32 v0, 0x100, v0
	v_min_i16 v1, v1, v5
	global_store_b8 v2, v1, s[4:5]
	s_wait_xcnt 0x0
	s_or_b32 exec_lo, exec_lo, s0
	s_delay_alu instid0(SALU_CYCLE_1)
	s_mov_b32 s0, exec_lo
	v_cmpx_gt_i32_e64 s1, v0
	s_cbranch_execz .LBB107_9
.LBB107_57:
	v_bfe_i32 v1, v33, 0, 8
	v_bfe_i32 v2, v32, 0, 8
	;; [unrolled: 1-line block ×3, first 2 shown]
	s_delay_alu instid0(VALU_DEP_2) | instskip(SKIP_2) | instid1(VALU_DEP_3)
	v_max_i16 v1, v2, v1
	v_add_nc_u32_e32 v2, s2, v0
	v_add_nc_u32_e32 v0, 0x100, v0
	v_min_i16 v1, v1, v3
	global_store_b8 v2, v1, s[4:5]
	s_wait_xcnt 0x0
	s_or_b32 exec_lo, exec_lo, s0
	s_delay_alu instid0(SALU_CYCLE_1)
	s_mov_b32 s0, exec_lo
	v_cmpx_gt_i32_e64 s1, v0
	s_cbranch_execz .LBB107_10
.LBB107_58:
	v_bfe_i32 v1, v26, 0, 8
	v_bfe_i32 v2, v27, 0, 8
	;; [unrolled: 1-line block ×3, first 2 shown]
	s_delay_alu instid0(VALU_DEP_2) | instskip(SKIP_2) | instid1(VALU_DEP_3)
	v_max_i16 v1, v2, v1
	v_add_nc_u32_e32 v2, s2, v0
	v_add_nc_u32_e32 v0, 0x100, v0
	v_min_i16 v1, v1, v3
	global_store_b8 v2, v1, s[4:5]
	s_wait_xcnt 0x0
	s_or_b32 exec_lo, exec_lo, s0
	s_delay_alu instid0(SALU_CYCLE_1)
	s_mov_b32 s0, exec_lo
	v_cmpx_gt_i32_e64 s1, v0
	s_cbranch_execz .LBB107_11
.LBB107_59:
	v_bfe_i32 v1, v22, 0, 8
	v_bfe_i32 v2, v23, 0, 8
	;; [unrolled: 1-line block ×3, first 2 shown]
	s_delay_alu instid0(VALU_DEP_2) | instskip(SKIP_2) | instid1(VALU_DEP_3)
	v_max_i16 v1, v2, v1
	v_add_nc_u32_e32 v2, s2, v0
	v_add_nc_u32_e32 v0, 0x100, v0
	v_min_i16 v1, v1, v3
	global_store_b8 v2, v1, s[4:5]
	s_wait_xcnt 0x0
	s_or_b32 exec_lo, exec_lo, s0
	s_delay_alu instid0(SALU_CYCLE_1)
	s_mov_b32 s0, exec_lo
	v_cmpx_gt_i32_e64 s1, v0
	s_cbranch_execz .LBB107_12
.LBB107_60:
	v_bfe_i32 v1, v17, 0, 8
	v_bfe_i32 v2, v19, 0, 8
	;; [unrolled: 1-line block ×3, first 2 shown]
	s_delay_alu instid0(VALU_DEP_2) | instskip(SKIP_2) | instid1(VALU_DEP_3)
	v_max_i16 v1, v2, v1
	v_add_nc_u32_e32 v2, s2, v0
	v_add_nc_u32_e32 v0, 0x100, v0
	v_min_i16 v1, v1, v3
	global_store_b8 v2, v1, s[4:5]
	s_wait_xcnt 0x0
	s_or_b32 exec_lo, exec_lo, s0
	s_delay_alu instid0(SALU_CYCLE_1)
	s_mov_b32 s0, exec_lo
	v_cmpx_gt_i32_e64 s1, v0
	s_cbranch_execz .LBB107_13
.LBB107_61:
	v_bfe_i32 v1, v16, 0, 8
	v_bfe_i32 v2, v20, 0, 8
	;; [unrolled: 1-line block ×3, first 2 shown]
	s_delay_alu instid0(VALU_DEP_2) | instskip(SKIP_2) | instid1(VALU_DEP_3)
	v_max_i16 v1, v2, v1
	v_add_nc_u32_e32 v2, s2, v0
	v_add_nc_u32_e32 v0, 0x100, v0
	v_min_i16 v1, v1, v3
	global_store_b8 v2, v1, s[4:5]
	s_wait_xcnt 0x0
	s_or_b32 exec_lo, exec_lo, s0
	s_delay_alu instid0(SALU_CYCLE_1)
	s_mov_b32 s0, exec_lo
	v_cmpx_gt_i32_e64 s1, v0
	s_cbranch_execz .LBB107_14
.LBB107_62:
	v_bfe_i32 v1, v18, 0, 8
	v_bfe_i32 v2, v24, 0, 8
	;; [unrolled: 1-line block ×3, first 2 shown]
	s_delay_alu instid0(VALU_DEP_2) | instskip(SKIP_2) | instid1(VALU_DEP_3)
	v_max_i16 v1, v2, v1
	v_add_nc_u32_e32 v2, s2, v0
	v_add_nc_u32_e32 v0, 0x100, v0
	v_min_i16 v1, v1, v3
	global_store_b8 v2, v1, s[4:5]
	s_wait_xcnt 0x0
	s_or_b32 exec_lo, exec_lo, s0
	s_delay_alu instid0(SALU_CYCLE_1)
	s_mov_b32 s0, exec_lo
	v_cmpx_gt_i32_e64 s1, v0
	s_cbranch_execz .LBB107_15
.LBB107_63:
	v_bfe_i32 v1, v25, 0, 8
	v_bfe_i32 v2, v28, 0, 8
	;; [unrolled: 1-line block ×3, first 2 shown]
	s_delay_alu instid0(VALU_DEP_2) | instskip(SKIP_2) | instid1(VALU_DEP_3)
	v_max_i16 v1, v2, v1
	v_add_nc_u32_e32 v2, s2, v0
	v_add_nc_u32_e32 v0, 0x100, v0
	v_min_i16 v1, v1, v3
	global_store_b8 v2, v1, s[4:5]
	s_wait_xcnt 0x0
	s_or_b32 exec_lo, exec_lo, s0
	s_delay_alu instid0(SALU_CYCLE_1)
	s_mov_b32 s0, exec_lo
	v_cmpx_gt_i32_e64 s1, v0
	s_cbranch_execz .LBB107_16
.LBB107_64:
	v_bfe_i32 v1, v30, 0, 8
	v_bfe_i32 v2, v31, 0, 8
	;; [unrolled: 1-line block ×3, first 2 shown]
	s_delay_alu instid0(VALU_DEP_2) | instskip(SKIP_2) | instid1(VALU_DEP_3)
	v_max_i16 v1, v2, v1
	v_add_nc_u32_e32 v2, s2, v0
	v_add_nc_u32_e32 v0, 0x100, v0
	v_min_i16 v1, v1, v3
	global_store_b8 v2, v1, s[4:5]
	s_wait_xcnt 0x0
	s_or_b32 exec_lo, exec_lo, s0
	s_delay_alu instid0(SALU_CYCLE_1)
	s_mov_b32 s0, exec_lo
	v_cmpx_gt_i32_e64 s1, v0
	s_cbranch_execz .LBB107_17
.LBB107_65:
	v_bfe_i32 v1, v34, 0, 8
	v_bfe_i32 v2, v39, 0, 8
	;; [unrolled: 1-line block ×3, first 2 shown]
	s_delay_alu instid0(VALU_DEP_2) | instskip(SKIP_2) | instid1(VALU_DEP_3)
	v_max_i16 v1, v2, v1
	v_add_nc_u32_e32 v2, s2, v0
	v_add_nc_u32_e32 v0, 0x100, v0
	v_min_i16 v1, v1, v3
	global_store_b8 v2, v1, s[4:5]
	s_wait_xcnt 0x0
	s_or_b32 exec_lo, exec_lo, s0
	s_delay_alu instid0(SALU_CYCLE_1)
	s_mov_b32 s0, exec_lo
	v_cmpx_gt_i32_e64 s1, v0
	s_cbranch_execz .LBB107_18
.LBB107_66:
	v_bfe_i32 v1, v41, 0, 8
	v_bfe_i32 v2, v45, 0, 8
	;; [unrolled: 1-line block ×3, first 2 shown]
	s_delay_alu instid0(VALU_DEP_2) | instskip(SKIP_2) | instid1(VALU_DEP_3)
	v_max_i16 v1, v2, v1
	v_add_nc_u32_e32 v2, s2, v0
	v_add_nc_u32_e32 v0, 0x100, v0
	v_min_i16 v1, v1, v3
	global_store_b8 v2, v1, s[4:5]
	s_wait_xcnt 0x0
	s_or_b32 exec_lo, exec_lo, s0
	s_delay_alu instid0(SALU_CYCLE_1)
	s_mov_b32 s0, exec_lo
	v_cmpx_gt_i32_e64 s1, v0
	s_cbranch_execz .LBB107_19
.LBB107_67:
	v_bfe_i32 v1, v46, 0, 8
	v_bfe_i32 v2, v48, 0, 8
	;; [unrolled: 1-line block ×3, first 2 shown]
	s_delay_alu instid0(VALU_DEP_2) | instskip(SKIP_2) | instid1(VALU_DEP_3)
	v_max_i16 v1, v2, v1
	v_add_nc_u32_e32 v2, s2, v0
	v_add_nc_u32_e32 v0, 0x100, v0
	v_min_i16 v1, v1, v3
	global_store_b8 v2, v1, s[4:5]
	s_wait_xcnt 0x0
	s_or_b32 exec_lo, exec_lo, s0
	s_delay_alu instid0(SALU_CYCLE_1)
	s_mov_b32 s0, exec_lo
	v_cmpx_gt_i32_e64 s1, v0
	s_cbranch_execz .LBB107_20
.LBB107_68:
	v_bfe_i32 v1, v49, 0, 8
	v_bfe_i32 v2, v51, 0, 8
	;; [unrolled: 1-line block ×3, first 2 shown]
	s_delay_alu instid0(VALU_DEP_2) | instskip(SKIP_2) | instid1(VALU_DEP_3)
	v_max_i16 v1, v2, v1
	v_add_nc_u32_e32 v2, s2, v0
	v_add_nc_u32_e32 v0, 0x100, v0
	v_min_i16 v1, v1, v3
	global_store_b8 v2, v1, s[4:5]
	s_wait_xcnt 0x0
	s_or_b32 exec_lo, exec_lo, s0
	s_delay_alu instid0(SALU_CYCLE_1)
	s_mov_b32 s0, exec_lo
	v_cmpx_gt_i32_e64 s1, v0
	s_cbranch_execz .LBB107_21
.LBB107_69:
	v_bfe_i32 v1, v52, 0, 8
	v_bfe_i32 v2, v53, 0, 8
	;; [unrolled: 1-line block ×3, first 2 shown]
	s_delay_alu instid0(VALU_DEP_2) | instskip(SKIP_2) | instid1(VALU_DEP_3)
	v_max_i16 v1, v2, v1
	v_add_nc_u32_e32 v2, s2, v0
	v_add_nc_u32_e32 v0, 0x100, v0
	v_min_i16 v1, v1, v3
	global_store_b8 v2, v1, s[4:5]
	s_wait_xcnt 0x0
	s_or_b32 exec_lo, exec_lo, s0
	s_delay_alu instid0(SALU_CYCLE_1)
	s_mov_b32 s0, exec_lo
	v_cmpx_gt_i32_e64 s1, v0
	s_cbranch_execnz .LBB107_22
	s_branch .LBB107_23
	.section	.rodata,"a",@progbits
	.p2align	6, 0x0
	.amdhsa_kernel _ZN2at6native29vectorized_elementwise_kernelILi2EZZZNS0_12_GLOBAL__N_117clamp_kernel_implERNS_18TensorIteratorBaseEENKUlvE_clEvENKUlvE0_clEvEUlaaaE_St5arrayIPcLm4EEEEviT0_T1_
		.amdhsa_group_segment_fixed_size 0
		.amdhsa_private_segment_fixed_size 0
		.amdhsa_kernarg_size 40
		.amdhsa_user_sgpr_count 2
		.amdhsa_user_sgpr_dispatch_ptr 0
		.amdhsa_user_sgpr_queue_ptr 0
		.amdhsa_user_sgpr_kernarg_segment_ptr 1
		.amdhsa_user_sgpr_dispatch_id 0
		.amdhsa_user_sgpr_kernarg_preload_length 0
		.amdhsa_user_sgpr_kernarg_preload_offset 0
		.amdhsa_user_sgpr_private_segment_size 0
		.amdhsa_wavefront_size32 1
		.amdhsa_uses_dynamic_stack 0
		.amdhsa_enable_private_segment 0
		.amdhsa_system_sgpr_workgroup_id_x 1
		.amdhsa_system_sgpr_workgroup_id_y 0
		.amdhsa_system_sgpr_workgroup_id_z 0
		.amdhsa_system_sgpr_workgroup_info 0
		.amdhsa_system_vgpr_workitem_id 0
		.amdhsa_next_free_vgpr 57
		.amdhsa_next_free_sgpr 21
		.amdhsa_named_barrier_count 0
		.amdhsa_reserve_vcc 1
		.amdhsa_float_round_mode_32 0
		.amdhsa_float_round_mode_16_64 0
		.amdhsa_float_denorm_mode_32 3
		.amdhsa_float_denorm_mode_16_64 3
		.amdhsa_fp16_overflow 0
		.amdhsa_memory_ordered 1
		.amdhsa_forward_progress 1
		.amdhsa_inst_pref_size 50
		.amdhsa_round_robin_scheduling 0
		.amdhsa_exception_fp_ieee_invalid_op 0
		.amdhsa_exception_fp_denorm_src 0
		.amdhsa_exception_fp_ieee_div_zero 0
		.amdhsa_exception_fp_ieee_overflow 0
		.amdhsa_exception_fp_ieee_underflow 0
		.amdhsa_exception_fp_ieee_inexact 0
		.amdhsa_exception_int_div_zero 0
	.end_amdhsa_kernel
	.section	.text._ZN2at6native29vectorized_elementwise_kernelILi2EZZZNS0_12_GLOBAL__N_117clamp_kernel_implERNS_18TensorIteratorBaseEENKUlvE_clEvENKUlvE0_clEvEUlaaaE_St5arrayIPcLm4EEEEviT0_T1_,"axG",@progbits,_ZN2at6native29vectorized_elementwise_kernelILi2EZZZNS0_12_GLOBAL__N_117clamp_kernel_implERNS_18TensorIteratorBaseEENKUlvE_clEvENKUlvE0_clEvEUlaaaE_St5arrayIPcLm4EEEEviT0_T1_,comdat
.Lfunc_end107:
	.size	_ZN2at6native29vectorized_elementwise_kernelILi2EZZZNS0_12_GLOBAL__N_117clamp_kernel_implERNS_18TensorIteratorBaseEENKUlvE_clEvENKUlvE0_clEvEUlaaaE_St5arrayIPcLm4EEEEviT0_T1_, .Lfunc_end107-_ZN2at6native29vectorized_elementwise_kernelILi2EZZZNS0_12_GLOBAL__N_117clamp_kernel_implERNS_18TensorIteratorBaseEENKUlvE_clEvENKUlvE0_clEvEUlaaaE_St5arrayIPcLm4EEEEviT0_T1_
                                        ; -- End function
	.set _ZN2at6native29vectorized_elementwise_kernelILi2EZZZNS0_12_GLOBAL__N_117clamp_kernel_implERNS_18TensorIteratorBaseEENKUlvE_clEvENKUlvE0_clEvEUlaaaE_St5arrayIPcLm4EEEEviT0_T1_.num_vgpr, 57
	.set _ZN2at6native29vectorized_elementwise_kernelILi2EZZZNS0_12_GLOBAL__N_117clamp_kernel_implERNS_18TensorIteratorBaseEENKUlvE_clEvENKUlvE0_clEvEUlaaaE_St5arrayIPcLm4EEEEviT0_T1_.num_agpr, 0
	.set _ZN2at6native29vectorized_elementwise_kernelILi2EZZZNS0_12_GLOBAL__N_117clamp_kernel_implERNS_18TensorIteratorBaseEENKUlvE_clEvENKUlvE0_clEvEUlaaaE_St5arrayIPcLm4EEEEviT0_T1_.numbered_sgpr, 21
	.set _ZN2at6native29vectorized_elementwise_kernelILi2EZZZNS0_12_GLOBAL__N_117clamp_kernel_implERNS_18TensorIteratorBaseEENKUlvE_clEvENKUlvE0_clEvEUlaaaE_St5arrayIPcLm4EEEEviT0_T1_.num_named_barrier, 0
	.set _ZN2at6native29vectorized_elementwise_kernelILi2EZZZNS0_12_GLOBAL__N_117clamp_kernel_implERNS_18TensorIteratorBaseEENKUlvE_clEvENKUlvE0_clEvEUlaaaE_St5arrayIPcLm4EEEEviT0_T1_.private_seg_size, 0
	.set _ZN2at6native29vectorized_elementwise_kernelILi2EZZZNS0_12_GLOBAL__N_117clamp_kernel_implERNS_18TensorIteratorBaseEENKUlvE_clEvENKUlvE0_clEvEUlaaaE_St5arrayIPcLm4EEEEviT0_T1_.uses_vcc, 1
	.set _ZN2at6native29vectorized_elementwise_kernelILi2EZZZNS0_12_GLOBAL__N_117clamp_kernel_implERNS_18TensorIteratorBaseEENKUlvE_clEvENKUlvE0_clEvEUlaaaE_St5arrayIPcLm4EEEEviT0_T1_.uses_flat_scratch, 0
	.set _ZN2at6native29vectorized_elementwise_kernelILi2EZZZNS0_12_GLOBAL__N_117clamp_kernel_implERNS_18TensorIteratorBaseEENKUlvE_clEvENKUlvE0_clEvEUlaaaE_St5arrayIPcLm4EEEEviT0_T1_.has_dyn_sized_stack, 0
	.set _ZN2at6native29vectorized_elementwise_kernelILi2EZZZNS0_12_GLOBAL__N_117clamp_kernel_implERNS_18TensorIteratorBaseEENKUlvE_clEvENKUlvE0_clEvEUlaaaE_St5arrayIPcLm4EEEEviT0_T1_.has_recursion, 0
	.set _ZN2at6native29vectorized_elementwise_kernelILi2EZZZNS0_12_GLOBAL__N_117clamp_kernel_implERNS_18TensorIteratorBaseEENKUlvE_clEvENKUlvE0_clEvEUlaaaE_St5arrayIPcLm4EEEEviT0_T1_.has_indirect_call, 0
	.section	.AMDGPU.csdata,"",@progbits
; Kernel info:
; codeLenInByte = 6364
; TotalNumSgprs: 23
; NumVgprs: 57
; ScratchSize: 0
; MemoryBound: 0
; FloatMode: 240
; IeeeMode: 1
; LDSByteSize: 0 bytes/workgroup (compile time only)
; SGPRBlocks: 0
; VGPRBlocks: 3
; NumSGPRsForWavesPerEU: 23
; NumVGPRsForWavesPerEU: 57
; NamedBarCnt: 0
; Occupancy: 16
; WaveLimiterHint : 1
; COMPUTE_PGM_RSRC2:SCRATCH_EN: 0
; COMPUTE_PGM_RSRC2:USER_SGPR: 2
; COMPUTE_PGM_RSRC2:TRAP_HANDLER: 0
; COMPUTE_PGM_RSRC2:TGID_X_EN: 1
; COMPUTE_PGM_RSRC2:TGID_Y_EN: 0
; COMPUTE_PGM_RSRC2:TGID_Z_EN: 0
; COMPUTE_PGM_RSRC2:TIDIG_COMP_CNT: 0
	.section	.text._ZN2at6native27unrolled_elementwise_kernelIZZZNS0_12_GLOBAL__N_117clamp_kernel_implERNS_18TensorIteratorBaseEENKUlvE_clEvENKUlvE0_clEvEUlaaaE_St5arrayIPcLm4EELi4E23TrivialOffsetCalculatorILi3EjESB_ILi1EjENS0_6memory15LoadWithoutCastENSE_16StoreWithoutCastEEEviT_T0_T2_T3_T4_T5_,"axG",@progbits,_ZN2at6native27unrolled_elementwise_kernelIZZZNS0_12_GLOBAL__N_117clamp_kernel_implERNS_18TensorIteratorBaseEENKUlvE_clEvENKUlvE0_clEvEUlaaaE_St5arrayIPcLm4EELi4E23TrivialOffsetCalculatorILi3EjESB_ILi1EjENS0_6memory15LoadWithoutCastENSE_16StoreWithoutCastEEEviT_T0_T2_T3_T4_T5_,comdat
	.globl	_ZN2at6native27unrolled_elementwise_kernelIZZZNS0_12_GLOBAL__N_117clamp_kernel_implERNS_18TensorIteratorBaseEENKUlvE_clEvENKUlvE0_clEvEUlaaaE_St5arrayIPcLm4EELi4E23TrivialOffsetCalculatorILi3EjESB_ILi1EjENS0_6memory15LoadWithoutCastENSE_16StoreWithoutCastEEEviT_T0_T2_T3_T4_T5_ ; -- Begin function _ZN2at6native27unrolled_elementwise_kernelIZZZNS0_12_GLOBAL__N_117clamp_kernel_implERNS_18TensorIteratorBaseEENKUlvE_clEvENKUlvE0_clEvEUlaaaE_St5arrayIPcLm4EELi4E23TrivialOffsetCalculatorILi3EjESB_ILi1EjENS0_6memory15LoadWithoutCastENSE_16StoreWithoutCastEEEviT_T0_T2_T3_T4_T5_
	.p2align	8
	.type	_ZN2at6native27unrolled_elementwise_kernelIZZZNS0_12_GLOBAL__N_117clamp_kernel_implERNS_18TensorIteratorBaseEENKUlvE_clEvENKUlvE0_clEvEUlaaaE_St5arrayIPcLm4EELi4E23TrivialOffsetCalculatorILi3EjESB_ILi1EjENS0_6memory15LoadWithoutCastENSE_16StoreWithoutCastEEEviT_T0_T2_T3_T4_T5_,@function
_ZN2at6native27unrolled_elementwise_kernelIZZZNS0_12_GLOBAL__N_117clamp_kernel_implERNS_18TensorIteratorBaseEENKUlvE_clEvENKUlvE0_clEvEUlaaaE_St5arrayIPcLm4EELi4E23TrivialOffsetCalculatorILi3EjESB_ILi1EjENS0_6memory15LoadWithoutCastENSE_16StoreWithoutCastEEEviT_T0_T2_T3_T4_T5_: ; @_ZN2at6native27unrolled_elementwise_kernelIZZZNS0_12_GLOBAL__N_117clamp_kernel_implERNS_18TensorIteratorBaseEENKUlvE_clEvENKUlvE0_clEvEUlaaaE_St5arrayIPcLm4EELi4E23TrivialOffsetCalculatorILi3EjESB_ILi1EjENS0_6memory15LoadWithoutCastENSE_16StoreWithoutCastEEEviT_T0_T2_T3_T4_T5_
; %bb.0:
	s_load_b32 s2, s[0:1], 0x0
	s_bfe_u32 s3, ttmp6, 0x4000c
	s_and_b32 s4, ttmp6, 15
	s_add_co_i32 s3, s3, 1
	s_getreg_b32 s5, hwreg(HW_REG_IB_STS2, 6, 4)
	s_mul_i32 s3, ttmp9, s3
	v_or_b32_e32 v1, 0x100, v0
	s_add_co_i32 s4, s4, s3
	s_cmp_eq_u32 s5, 0
	s_cselect_b32 s3, ttmp9, s4
	s_delay_alu instid0(SALU_CYCLE_1) | instskip(SKIP_2) | instid1(SALU_CYCLE_1)
	s_lshl_b32 s3, s3, 10
	s_wait_kmcnt 0x0
	s_sub_co_i32 s12, s2, s3
	v_cmp_le_i32_e64 s2, s12, v0
	v_cmp_gt_i32_e32 vcc_lo, s12, v0
	s_and_saveexec_b32 s4, s2
	s_delay_alu instid0(SALU_CYCLE_1)
	s_xor_b32 s2, exec_lo, s4
; %bb.1:
	v_or_b32_e32 v1, 0x100, v0
; %bb.2:
	s_or_saveexec_b32 s2, s2
	s_load_b256 s[4:11], s[0:1], 0x8
	v_dual_mov_b32 v2, 0 :: v_dual_bitop2_b32 v6, s3, v0 bitop3:0x54
	v_dual_mov_b32 v4, 0 :: v_dual_mov_b32 v5, 0
	v_dual_mov_b32 v3, 0 :: v_dual_mov_b32 v8, 0
	;; [unrolled: 1-line block ×4, first 2 shown]
	v_mov_b32_e32 v11, 0
	s_xor_b32 exec_lo, exec_lo, s2
	s_cbranch_execnz .LBB108_8
; %bb.3:
	s_or_b32 exec_lo, exec_lo, s2
	s_wait_xcnt 0x0
	s_and_saveexec_b32 s0, vcc_lo
	s_cbranch_execnz .LBB108_15
.LBB108_4:
	s_or_b32 exec_lo, exec_lo, s0
	s_delay_alu instid0(SALU_CYCLE_1)
	s_mov_b32 s0, exec_lo
	v_cmpx_gt_i32_e64 s12, v0
	s_cbranch_execnz .LBB108_16
.LBB108_5:
	s_or_b32 exec_lo, exec_lo, s0
	s_delay_alu instid0(SALU_CYCLE_1)
	s_mov_b32 s0, exec_lo
	v_cmpx_gt_i32_e64 s12, v0
	s_cbranch_execnz .LBB108_17
.LBB108_6:
	s_or_b32 exec_lo, exec_lo, s0
	s_delay_alu instid0(SALU_CYCLE_1)
	s_mov_b32 s0, exec_lo
	v_cmpx_gt_i32_e64 s12, v0
	s_cbranch_execnz .LBB108_18
.LBB108_7:
	s_endpgm
.LBB108_8:
	s_wait_kmcnt 0x0
	s_clause 0x2
	global_load_u8 v10, v6, s[6:7]
	global_load_u8 v12, v6, s[8:9]
	global_load_u8 v11, v6, s[10:11]
	v_dual_mov_b32 v7, 0 :: v_dual_mov_b32 v9, 0
	v_dual_mov_b32 v8, 0 :: v_dual_mov_b32 v3, 0
	;; [unrolled: 1-line block ×3, first 2 shown]
	v_mov_b32_e32 v2, 0
	s_mov_b32 s1, exec_lo
	s_wait_xcnt 0x0
	v_cmpx_gt_u32_e64 s12, v1
	s_cbranch_execz .LBB108_14
; %bb.9:
	v_dual_mov_b32 v3, 0 :: v_dual_add_nc_u32 v2, s3, v1
	v_or_b32_e32 v13, 0x200, v0
	v_dual_mov_b32 v5, 0 :: v_dual_mov_b32 v4, 0
	s_clause 0x2
	global_load_u8 v8, v2, s[6:7]
	global_load_u8 v9, v2, s[8:9]
	;; [unrolled: 1-line block ×3, first 2 shown]
	s_wait_xcnt 0x0
	v_mov_b32_e32 v2, 0
	s_mov_b32 s13, exec_lo
	v_cmpx_gt_u32_e64 s12, v13
	s_cbranch_execz .LBB108_13
; %bb.10:
	v_add_nc_u32_e32 v2, s3, v13
	v_or_b32_e32 v13, 0x300, v0
	s_mov_b32 s14, exec_lo
	s_clause 0x2
	global_load_u8 v4, v2, s[6:7]
	global_load_u8 v5, v2, s[8:9]
	;; [unrolled: 1-line block ×3, first 2 shown]
	s_wait_xcnt 0x0
	v_mov_b32_e32 v2, 0
	v_cmpx_gt_u32_e64 s12, v13
	s_cbranch_execz .LBB108_12
; %bb.11:
	v_add_nc_u32_e32 v2, s3, v13
	s_clause 0x2
	global_load_i8 v13, v2, s[6:7]
	global_load_i8 v14, v2, s[8:9]
	global_load_i8 v15, v2, s[10:11]
	s_wait_loadcnt 0x1
	s_wait_xcnt 0x0
	v_max_i16 v2, v13, v14
	s_wait_loadcnt 0x0
	s_delay_alu instid0(VALU_DEP_1)
	v_min_i16 v2, v2, v15
.LBB108_12:
	s_or_b32 exec_lo, exec_lo, s14
.LBB108_13:
	s_delay_alu instid0(SALU_CYCLE_1)
	s_or_b32 exec_lo, exec_lo, s13
.LBB108_14:
	s_delay_alu instid0(SALU_CYCLE_1) | instskip(NEXT) | instid1(SALU_CYCLE_1)
	s_or_b32 exec_lo, exec_lo, s1
	s_or_b32 exec_lo, exec_lo, s2
	s_and_saveexec_b32 s0, vcc_lo
	s_cbranch_execz .LBB108_4
.LBB108_15:
	s_wait_loadcnt 0x1
	v_bfe_i32 v0, v12, 0, 8
	v_bfe_i32 v10, v10, 0, 8
	s_delay_alu instid0(VALU_DEP_1) | instskip(SKIP_2) | instid1(VALU_DEP_1)
	v_max_i16 v0, v10, v0
	s_wait_loadcnt 0x0
	v_bfe_i32 v10, v11, 0, 8
	v_min_i16 v10, v0, v10
	v_mov_b32_e32 v0, v1
	s_wait_kmcnt 0x0
	global_store_b8 v6, v10, s[4:5]
	s_wait_xcnt 0x0
	s_or_b32 exec_lo, exec_lo, s0
	s_delay_alu instid0(SALU_CYCLE_1)
	s_mov_b32 s0, exec_lo
	v_cmpx_gt_i32_e64 s12, v0
	s_cbranch_execz .LBB108_5
.LBB108_16:
	s_wait_loadcnt 0x1
	v_bfe_i32 v1, v9, 0, 8
	v_bfe_i32 v6, v8, 0, 8
	s_wait_loadcnt 0x0
	v_bfe_i32 v7, v7, 0, 8
	s_delay_alu instid0(VALU_DEP_2) | instskip(SKIP_1) | instid1(VALU_DEP_2)
	v_max_i16 v1, v6, v1
	v_add_nc_u32_e32 v6, 0x100, v0
	v_min_i16 v1, v1, v7
	s_delay_alu instid0(VALU_DEP_2) | instskip(SKIP_4) | instid1(SALU_CYCLE_1)
	v_dual_mov_b32 v0, v6 :: v_dual_add_nc_u32 v7, s3, v0
	s_wait_kmcnt 0x0
	global_store_b8 v7, v1, s[4:5]
	s_wait_xcnt 0x0
	s_or_b32 exec_lo, exec_lo, s0
	s_mov_b32 s0, exec_lo
	v_cmpx_gt_i32_e64 s12, v0
	s_cbranch_execz .LBB108_6
.LBB108_17:
	s_wait_loadcnt 0x1
	v_bfe_i32 v1, v5, 0, 8
	v_bfe_i32 v4, v4, 0, 8
	s_wait_loadcnt 0x0
	v_bfe_i32 v3, v3, 0, 8
	s_delay_alu instid0(VALU_DEP_2) | instskip(SKIP_1) | instid1(VALU_DEP_2)
	v_max_i16 v1, v4, v1
	v_add_nc_u32_e32 v4, 0x100, v0
	v_min_i16 v1, v1, v3
	s_delay_alu instid0(VALU_DEP_2) | instskip(SKIP_4) | instid1(SALU_CYCLE_1)
	v_dual_mov_b32 v0, v4 :: v_dual_add_nc_u32 v3, s3, v0
	s_wait_kmcnt 0x0
	global_store_b8 v3, v1, s[4:5]
	s_wait_xcnt 0x0
	s_or_b32 exec_lo, exec_lo, s0
	s_mov_b32 s0, exec_lo
	v_cmpx_gt_i32_e64 s12, v0
	s_cbranch_execz .LBB108_7
.LBB108_18:
	v_add_nc_u32_e32 v0, s3, v0
	s_wait_kmcnt 0x0
	global_store_b8 v0, v2, s[4:5]
	s_endpgm
	.section	.rodata,"a",@progbits
	.p2align	6, 0x0
	.amdhsa_kernel _ZN2at6native27unrolled_elementwise_kernelIZZZNS0_12_GLOBAL__N_117clamp_kernel_implERNS_18TensorIteratorBaseEENKUlvE_clEvENKUlvE0_clEvEUlaaaE_St5arrayIPcLm4EELi4E23TrivialOffsetCalculatorILi3EjESB_ILi1EjENS0_6memory15LoadWithoutCastENSE_16StoreWithoutCastEEEviT_T0_T2_T3_T4_T5_
		.amdhsa_group_segment_fixed_size 0
		.amdhsa_private_segment_fixed_size 0
		.amdhsa_kernarg_size 44
		.amdhsa_user_sgpr_count 2
		.amdhsa_user_sgpr_dispatch_ptr 0
		.amdhsa_user_sgpr_queue_ptr 0
		.amdhsa_user_sgpr_kernarg_segment_ptr 1
		.amdhsa_user_sgpr_dispatch_id 0
		.amdhsa_user_sgpr_kernarg_preload_length 0
		.amdhsa_user_sgpr_kernarg_preload_offset 0
		.amdhsa_user_sgpr_private_segment_size 0
		.amdhsa_wavefront_size32 1
		.amdhsa_uses_dynamic_stack 0
		.amdhsa_enable_private_segment 0
		.amdhsa_system_sgpr_workgroup_id_x 1
		.amdhsa_system_sgpr_workgroup_id_y 0
		.amdhsa_system_sgpr_workgroup_id_z 0
		.amdhsa_system_sgpr_workgroup_info 0
		.amdhsa_system_vgpr_workitem_id 0
		.amdhsa_next_free_vgpr 16
		.amdhsa_next_free_sgpr 15
		.amdhsa_named_barrier_count 0
		.amdhsa_reserve_vcc 1
		.amdhsa_float_round_mode_32 0
		.amdhsa_float_round_mode_16_64 0
		.amdhsa_float_denorm_mode_32 3
		.amdhsa_float_denorm_mode_16_64 3
		.amdhsa_fp16_overflow 0
		.amdhsa_memory_ordered 1
		.amdhsa_forward_progress 1
		.amdhsa_inst_pref_size 8
		.amdhsa_round_robin_scheduling 0
		.amdhsa_exception_fp_ieee_invalid_op 0
		.amdhsa_exception_fp_denorm_src 0
		.amdhsa_exception_fp_ieee_div_zero 0
		.amdhsa_exception_fp_ieee_overflow 0
		.amdhsa_exception_fp_ieee_underflow 0
		.amdhsa_exception_fp_ieee_inexact 0
		.amdhsa_exception_int_div_zero 0
	.end_amdhsa_kernel
	.section	.text._ZN2at6native27unrolled_elementwise_kernelIZZZNS0_12_GLOBAL__N_117clamp_kernel_implERNS_18TensorIteratorBaseEENKUlvE_clEvENKUlvE0_clEvEUlaaaE_St5arrayIPcLm4EELi4E23TrivialOffsetCalculatorILi3EjESB_ILi1EjENS0_6memory15LoadWithoutCastENSE_16StoreWithoutCastEEEviT_T0_T2_T3_T4_T5_,"axG",@progbits,_ZN2at6native27unrolled_elementwise_kernelIZZZNS0_12_GLOBAL__N_117clamp_kernel_implERNS_18TensorIteratorBaseEENKUlvE_clEvENKUlvE0_clEvEUlaaaE_St5arrayIPcLm4EELi4E23TrivialOffsetCalculatorILi3EjESB_ILi1EjENS0_6memory15LoadWithoutCastENSE_16StoreWithoutCastEEEviT_T0_T2_T3_T4_T5_,comdat
.Lfunc_end108:
	.size	_ZN2at6native27unrolled_elementwise_kernelIZZZNS0_12_GLOBAL__N_117clamp_kernel_implERNS_18TensorIteratorBaseEENKUlvE_clEvENKUlvE0_clEvEUlaaaE_St5arrayIPcLm4EELi4E23TrivialOffsetCalculatorILi3EjESB_ILi1EjENS0_6memory15LoadWithoutCastENSE_16StoreWithoutCastEEEviT_T0_T2_T3_T4_T5_, .Lfunc_end108-_ZN2at6native27unrolled_elementwise_kernelIZZZNS0_12_GLOBAL__N_117clamp_kernel_implERNS_18TensorIteratorBaseEENKUlvE_clEvENKUlvE0_clEvEUlaaaE_St5arrayIPcLm4EELi4E23TrivialOffsetCalculatorILi3EjESB_ILi1EjENS0_6memory15LoadWithoutCastENSE_16StoreWithoutCastEEEviT_T0_T2_T3_T4_T5_
                                        ; -- End function
	.set _ZN2at6native27unrolled_elementwise_kernelIZZZNS0_12_GLOBAL__N_117clamp_kernel_implERNS_18TensorIteratorBaseEENKUlvE_clEvENKUlvE0_clEvEUlaaaE_St5arrayIPcLm4EELi4E23TrivialOffsetCalculatorILi3EjESB_ILi1EjENS0_6memory15LoadWithoutCastENSE_16StoreWithoutCastEEEviT_T0_T2_T3_T4_T5_.num_vgpr, 16
	.set _ZN2at6native27unrolled_elementwise_kernelIZZZNS0_12_GLOBAL__N_117clamp_kernel_implERNS_18TensorIteratorBaseEENKUlvE_clEvENKUlvE0_clEvEUlaaaE_St5arrayIPcLm4EELi4E23TrivialOffsetCalculatorILi3EjESB_ILi1EjENS0_6memory15LoadWithoutCastENSE_16StoreWithoutCastEEEviT_T0_T2_T3_T4_T5_.num_agpr, 0
	.set _ZN2at6native27unrolled_elementwise_kernelIZZZNS0_12_GLOBAL__N_117clamp_kernel_implERNS_18TensorIteratorBaseEENKUlvE_clEvENKUlvE0_clEvEUlaaaE_St5arrayIPcLm4EELi4E23TrivialOffsetCalculatorILi3EjESB_ILi1EjENS0_6memory15LoadWithoutCastENSE_16StoreWithoutCastEEEviT_T0_T2_T3_T4_T5_.numbered_sgpr, 15
	.set _ZN2at6native27unrolled_elementwise_kernelIZZZNS0_12_GLOBAL__N_117clamp_kernel_implERNS_18TensorIteratorBaseEENKUlvE_clEvENKUlvE0_clEvEUlaaaE_St5arrayIPcLm4EELi4E23TrivialOffsetCalculatorILi3EjESB_ILi1EjENS0_6memory15LoadWithoutCastENSE_16StoreWithoutCastEEEviT_T0_T2_T3_T4_T5_.num_named_barrier, 0
	.set _ZN2at6native27unrolled_elementwise_kernelIZZZNS0_12_GLOBAL__N_117clamp_kernel_implERNS_18TensorIteratorBaseEENKUlvE_clEvENKUlvE0_clEvEUlaaaE_St5arrayIPcLm4EELi4E23TrivialOffsetCalculatorILi3EjESB_ILi1EjENS0_6memory15LoadWithoutCastENSE_16StoreWithoutCastEEEviT_T0_T2_T3_T4_T5_.private_seg_size, 0
	.set _ZN2at6native27unrolled_elementwise_kernelIZZZNS0_12_GLOBAL__N_117clamp_kernel_implERNS_18TensorIteratorBaseEENKUlvE_clEvENKUlvE0_clEvEUlaaaE_St5arrayIPcLm4EELi4E23TrivialOffsetCalculatorILi3EjESB_ILi1EjENS0_6memory15LoadWithoutCastENSE_16StoreWithoutCastEEEviT_T0_T2_T3_T4_T5_.uses_vcc, 1
	.set _ZN2at6native27unrolled_elementwise_kernelIZZZNS0_12_GLOBAL__N_117clamp_kernel_implERNS_18TensorIteratorBaseEENKUlvE_clEvENKUlvE0_clEvEUlaaaE_St5arrayIPcLm4EELi4E23TrivialOffsetCalculatorILi3EjESB_ILi1EjENS0_6memory15LoadWithoutCastENSE_16StoreWithoutCastEEEviT_T0_T2_T3_T4_T5_.uses_flat_scratch, 0
	.set _ZN2at6native27unrolled_elementwise_kernelIZZZNS0_12_GLOBAL__N_117clamp_kernel_implERNS_18TensorIteratorBaseEENKUlvE_clEvENKUlvE0_clEvEUlaaaE_St5arrayIPcLm4EELi4E23TrivialOffsetCalculatorILi3EjESB_ILi1EjENS0_6memory15LoadWithoutCastENSE_16StoreWithoutCastEEEviT_T0_T2_T3_T4_T5_.has_dyn_sized_stack, 0
	.set _ZN2at6native27unrolled_elementwise_kernelIZZZNS0_12_GLOBAL__N_117clamp_kernel_implERNS_18TensorIteratorBaseEENKUlvE_clEvENKUlvE0_clEvEUlaaaE_St5arrayIPcLm4EELi4E23TrivialOffsetCalculatorILi3EjESB_ILi1EjENS0_6memory15LoadWithoutCastENSE_16StoreWithoutCastEEEviT_T0_T2_T3_T4_T5_.has_recursion, 0
	.set _ZN2at6native27unrolled_elementwise_kernelIZZZNS0_12_GLOBAL__N_117clamp_kernel_implERNS_18TensorIteratorBaseEENKUlvE_clEvENKUlvE0_clEvEUlaaaE_St5arrayIPcLm4EELi4E23TrivialOffsetCalculatorILi3EjESB_ILi1EjENS0_6memory15LoadWithoutCastENSE_16StoreWithoutCastEEEviT_T0_T2_T3_T4_T5_.has_indirect_call, 0
	.section	.AMDGPU.csdata,"",@progbits
; Kernel info:
; codeLenInByte = 984
; TotalNumSgprs: 17
; NumVgprs: 16
; ScratchSize: 0
; MemoryBound: 0
; FloatMode: 240
; IeeeMode: 1
; LDSByteSize: 0 bytes/workgroup (compile time only)
; SGPRBlocks: 0
; VGPRBlocks: 0
; NumSGPRsForWavesPerEU: 17
; NumVGPRsForWavesPerEU: 16
; NamedBarCnt: 0
; Occupancy: 16
; WaveLimiterHint : 0
; COMPUTE_PGM_RSRC2:SCRATCH_EN: 0
; COMPUTE_PGM_RSRC2:USER_SGPR: 2
; COMPUTE_PGM_RSRC2:TRAP_HANDLER: 0
; COMPUTE_PGM_RSRC2:TGID_X_EN: 1
; COMPUTE_PGM_RSRC2:TGID_Y_EN: 0
; COMPUTE_PGM_RSRC2:TGID_Z_EN: 0
; COMPUTE_PGM_RSRC2:TIDIG_COMP_CNT: 0
	.section	.text._ZN2at6native32elementwise_kernel_manual_unrollILi128ELi8EZNS0_22gpu_kernel_impl_nocastIZZZNS0_12_GLOBAL__N_117clamp_kernel_implERNS_18TensorIteratorBaseEENKUlvE_clEvENKUlvE0_clEvEUlaaaE_EEvS5_RKT_EUlibE_EEviT1_,"axG",@progbits,_ZN2at6native32elementwise_kernel_manual_unrollILi128ELi8EZNS0_22gpu_kernel_impl_nocastIZZZNS0_12_GLOBAL__N_117clamp_kernel_implERNS_18TensorIteratorBaseEENKUlvE_clEvENKUlvE0_clEvEUlaaaE_EEvS5_RKT_EUlibE_EEviT1_,comdat
	.globl	_ZN2at6native32elementwise_kernel_manual_unrollILi128ELi8EZNS0_22gpu_kernel_impl_nocastIZZZNS0_12_GLOBAL__N_117clamp_kernel_implERNS_18TensorIteratorBaseEENKUlvE_clEvENKUlvE0_clEvEUlaaaE_EEvS5_RKT_EUlibE_EEviT1_ ; -- Begin function _ZN2at6native32elementwise_kernel_manual_unrollILi128ELi8EZNS0_22gpu_kernel_impl_nocastIZZZNS0_12_GLOBAL__N_117clamp_kernel_implERNS_18TensorIteratorBaseEENKUlvE_clEvENKUlvE0_clEvEUlaaaE_EEvS5_RKT_EUlibE_EEviT1_
	.p2align	8
	.type	_ZN2at6native32elementwise_kernel_manual_unrollILi128ELi8EZNS0_22gpu_kernel_impl_nocastIZZZNS0_12_GLOBAL__N_117clamp_kernel_implERNS_18TensorIteratorBaseEENKUlvE_clEvENKUlvE0_clEvEUlaaaE_EEvS5_RKT_EUlibE_EEviT1_,@function
_ZN2at6native32elementwise_kernel_manual_unrollILi128ELi8EZNS0_22gpu_kernel_impl_nocastIZZZNS0_12_GLOBAL__N_117clamp_kernel_implERNS_18TensorIteratorBaseEENKUlvE_clEvENKUlvE0_clEvEUlaaaE_EEvS5_RKT_EUlibE_EEviT1_: ; @_ZN2at6native32elementwise_kernel_manual_unrollILi128ELi8EZNS0_22gpu_kernel_impl_nocastIZZZNS0_12_GLOBAL__N_117clamp_kernel_implERNS_18TensorIteratorBaseEENKUlvE_clEvENKUlvE0_clEvEUlaaaE_EEvS5_RKT_EUlibE_EEviT1_
; %bb.0:
	s_clause 0x1
	s_load_b32 s33, s[0:1], 0x8
	s_load_b32 s39, s[0:1], 0x0
	s_bfe_u32 s2, ttmp6, 0x4000c
	s_and_b32 s3, ttmp6, 15
	s_add_co_i32 s2, s2, 1
	s_getreg_b32 s4, hwreg(HW_REG_IB_STS2, 6, 4)
	s_mul_i32 s2, ttmp9, s2
	s_add_nc_u64 s[20:21], s[0:1], 8
	s_add_co_i32 s3, s3, s2
	s_cmp_eq_u32 s4, 0
	s_mov_b32 s25, 0
	s_cselect_b32 s2, ttmp9, s3
	s_wait_xcnt 0x0
	s_mov_b32 s0, exec_lo
	v_lshl_or_b32 v0, s2, 10, v0
	s_delay_alu instid0(VALU_DEP_1) | instskip(SKIP_2) | instid1(SALU_CYCLE_1)
	v_or_b32_e32 v5, 0x380, v0
	s_wait_kmcnt 0x0
	s_add_co_i32 s34, s33, -1
	s_cmp_gt_u32 s34, 1
	s_cselect_b32 s35, -1, 0
	v_cmpx_le_i32_e64 s39, v5
	s_xor_b32 s36, exec_lo, s0
	s_cbranch_execz .LBB109_106
; %bb.1:
	s_clause 0x3
	s_load_b128 s[16:19], s[20:21], 0x4
	s_load_b64 s[22:23], s[20:21], 0x14
	s_load_b256 s[8:15], s[20:21], 0xc4
	s_load_b256 s[0:7], s[20:21], 0x1c8
	s_cmp_lg_u32 s33, 0
	s_mov_b32 s27, s25
	s_cselect_b32 s40, -1, 0
	s_min_u32 s38, s34, 15
	s_cmp_gt_u32 s33, 1
	s_cselect_b32 s37, -1, 0
	s_wait_kmcnt 0x0
	s_mov_b32 s24, s17
	s_mov_b32 s26, s22
	s_mov_b32 s17, exec_lo
	v_cmpx_gt_i32_e64 s39, v0
	s_cbranch_execnz .LBB109_9
; %bb.2:
	s_or_b32 exec_lo, exec_lo, s17
	s_delay_alu instid0(SALU_CYCLE_1)
	s_mov_b32 s17, exec_lo
	v_cmpx_gt_i32_e64 s39, v0
	s_cbranch_execnz .LBB109_21
.LBB109_3:
	s_or_b32 exec_lo, exec_lo, s17
	s_delay_alu instid0(SALU_CYCLE_1)
	s_mov_b32 s17, exec_lo
	v_cmpx_gt_i32_e64 s39, v0
	s_cbranch_execnz .LBB109_33
.LBB109_4:
	s_or_b32 exec_lo, exec_lo, s17
	s_delay_alu instid0(SALU_CYCLE_1)
	s_mov_b32 s17, exec_lo
	v_cmpx_gt_i32_e64 s39, v0
	s_cbranch_execnz .LBB109_45
.LBB109_5:
	s_or_b32 exec_lo, exec_lo, s17
	s_delay_alu instid0(SALU_CYCLE_1)
	s_mov_b32 s17, exec_lo
	v_cmpx_gt_i32_e64 s39, v0
	s_cbranch_execnz .LBB109_57
.LBB109_6:
	s_or_b32 exec_lo, exec_lo, s17
	s_delay_alu instid0(SALU_CYCLE_1)
	s_mov_b32 s17, exec_lo
	v_cmpx_gt_i32_e64 s39, v0
	s_cbranch_execnz .LBB109_69
.LBB109_7:
	s_or_b32 exec_lo, exec_lo, s17
	s_delay_alu instid0(SALU_CYCLE_1)
	s_mov_b32 s17, exec_lo
	v_cmpx_gt_i32_e64 s39, v0
	s_cbranch_execnz .LBB109_81
.LBB109_8:
	s_or_b32 exec_lo, exec_lo, s17
	s_delay_alu instid0(SALU_CYCLE_1)
	s_mov_b32 s17, exec_lo
	v_cmpx_gt_i32_e64 s39, v0
	s_cbranch_execnz .LBB109_93
	s_branch .LBB109_105
.LBB109_9:
	s_and_not1_b32 vcc_lo, exec_lo, s35
	s_cbranch_vccnz .LBB109_15
; %bb.10:
	s_and_not1_b32 vcc_lo, exec_lo, s40
	s_cbranch_vccnz .LBB109_16
; %bb.11:
	v_dual_mov_b32 v5, 0 :: v_dual_mov_b32 v1, v0
	v_dual_mov_b32 v7, 0 :: v_dual_mov_b32 v4, 0
	v_mov_b32_e32 v6, 0
	s_add_co_i32 s22, s38, 1
	s_mov_b64 s[28:29], 0xffffffffffffffe0
	s_and_b32 s22, s22, 30
	s_add_nc_u64 s[28:29], s[20:21], s[28:29]
	s_mov_b64 s[30:31], s[20:21]
.LBB109_12:                             ; =>This Inner Loop Header: Depth=1
	s_clause 0x1
	s_load_b128 s[52:55], s[30:31], 0x4
	s_load_b64 s[42:43], s[30:31], 0x14
	s_load_b256 s[44:51], s[28:29], 0xe4
	s_add_co_i32 s22, s22, -2
	s_wait_xcnt 0x0
	s_add_nc_u64 s[30:31], s[30:31], 24
	s_cmp_lg_u32 s22, 0
	s_add_nc_u64 s[28:29], s[28:29], 32
	s_wait_kmcnt 0x0
	v_mul_hi_u32 v2, s53, v1
	s_delay_alu instid0(VALU_DEP_1) | instskip(NEXT) | instid1(VALU_DEP_1)
	v_add_nc_u32_e32 v2, v1, v2
	v_lshrrev_b32_e32 v2, s54, v2
	s_delay_alu instid0(VALU_DEP_1) | instskip(SKIP_1) | instid1(VALU_DEP_1)
	v_mul_hi_u32 v3, s42, v2
	v_mul_lo_u32 v8, v2, s52
	v_dual_add_nc_u32 v3, v2, v3 :: v_dual_sub_nc_u32 v8, v1, v8
	s_delay_alu instid0(VALU_DEP_1) | instskip(NEXT) | instid1(VALU_DEP_2)
	v_lshrrev_b32_e32 v1, s43, v3
	v_mad_u32 v6, v8, s45, v6
	v_mad_u32 v4, v8, s44, v4
	;; [unrolled: 1-line block ×4, first 2 shown]
	v_mul_lo_u32 v3, v1, s55
	s_delay_alu instid0(VALU_DEP_1) | instskip(NEXT) | instid1(VALU_DEP_1)
	v_sub_nc_u32_e32 v2, v2, v3
	v_mad_u32 v6, v2, s49, v6
	v_mad_u32 v4, v2, s48, v4
	;; [unrolled: 1-line block ×4, first 2 shown]
	s_cbranch_scc1 .LBB109_12
; %bb.13:
	s_bitcmp1_b32 s38, 0
	s_cselect_b32 s22, -1, 0
	s_delay_alu instid0(SALU_CYCLE_1)
	s_and_b32 vcc_lo, exec_lo, s22
	s_cbranch_vccnz .LBB109_17
; %bb.14:
	s_load_b96 s[48:50], s[30:31], 0x4
	s_load_b128 s[44:47], s[28:29], 0xe4
	s_wait_kmcnt 0x0
	v_mul_hi_u32 v2, s49, v1
	s_delay_alu instid0(VALU_DEP_1) | instskip(NEXT) | instid1(VALU_DEP_1)
	v_add_nc_u32_e32 v2, v1, v2
	v_lshrrev_b32_e32 v2, s50, v2
	s_delay_alu instid0(VALU_DEP_1) | instskip(NEXT) | instid1(VALU_DEP_1)
	v_mul_lo_u32 v2, v2, s48
	v_sub_nc_u32_e32 v1, v1, v2
	s_delay_alu instid0(VALU_DEP_1)
	v_mad_u32 v4, v1, s44, v4
	v_mad_u32 v6, v1, s45, v6
	;; [unrolled: 1-line block ×4, first 2 shown]
	s_cbranch_execz .LBB109_18
	s_branch .LBB109_20
.LBB109_15:
                                        ; implicit-def: $vgpr6
                                        ; implicit-def: $vgpr4
                                        ; implicit-def: $vgpr7
                                        ; implicit-def: $vgpr5
	s_branch .LBB109_18
.LBB109_16:
	v_dual_mov_b32 v6, 0 :: v_dual_mov_b32 v4, 0
	v_dual_mov_b32 v7, 0 :: v_dual_mov_b32 v5, 0
.LBB109_17:
	s_cbranch_execnz .LBB109_20
.LBB109_18:
	v_mov_b32_e32 v1, 0
	s_and_not1_b32 vcc_lo, exec_lo, s37
	s_delay_alu instid0(VALU_DEP_1) | instskip(NEXT) | instid1(VALU_DEP_1)
	v_mul_u64_e32 v[2:3], s[24:25], v[0:1]
	v_add_nc_u32_e32 v2, v0, v3
	s_delay_alu instid0(VALU_DEP_1) | instskip(NEXT) | instid1(VALU_DEP_1)
	v_lshrrev_b32_e32 v2, s18, v2
	v_mul_lo_u32 v3, v2, s16
	s_delay_alu instid0(VALU_DEP_1) | instskip(NEXT) | instid1(VALU_DEP_1)
	v_sub_nc_u32_e32 v3, v0, v3
	v_mul_lo_u32 v6, v3, s9
	v_mul_lo_u32 v4, v3, s8
	;; [unrolled: 1-line block ×4, first 2 shown]
	s_cbranch_vccnz .LBB109_20
; %bb.19:
	v_mov_b32_e32 v3, v1
	s_delay_alu instid0(VALU_DEP_1) | instskip(NEXT) | instid1(VALU_DEP_1)
	v_mul_u64_e32 v[8:9], s[26:27], v[2:3]
	v_add_nc_u32_e32 v1, v2, v9
	s_delay_alu instid0(VALU_DEP_1) | instskip(NEXT) | instid1(VALU_DEP_1)
	v_lshrrev_b32_e32 v1, s23, v1
	v_mul_lo_u32 v1, v1, s19
	s_delay_alu instid0(VALU_DEP_1) | instskip(NEXT) | instid1(VALU_DEP_1)
	v_sub_nc_u32_e32 v1, v2, v1
	v_mad_u32 v4, v1, s12, v4
	v_mad_u32 v6, v1, s13, v6
	;; [unrolled: 1-line block ×4, first 2 shown]
.LBB109_20:
	global_load_i8 v1, v6, s[2:3]
	global_load_i8 v2, v5, s[4:5]
	;; [unrolled: 1-line block ×3, first 2 shown]
	v_add_nc_u32_e32 v0, 0x80, v0
	s_wait_loadcnt 0x1
	v_max_i16 v1, v1, v2
	s_wait_loadcnt 0x0
	s_delay_alu instid0(VALU_DEP_1) | instskip(SKIP_3) | instid1(SALU_CYCLE_1)
	v_min_i16 v1, v1, v3
	global_store_b8 v4, v1, s[0:1]
	s_wait_xcnt 0x0
	s_or_b32 exec_lo, exec_lo, s17
	s_mov_b32 s17, exec_lo
	v_cmpx_gt_i32_e64 s39, v0
	s_cbranch_execz .LBB109_3
.LBB109_21:
	s_and_not1_b32 vcc_lo, exec_lo, s35
	s_cbranch_vccnz .LBB109_27
; %bb.22:
	s_and_not1_b32 vcc_lo, exec_lo, s40
	s_cbranch_vccnz .LBB109_28
; %bb.23:
	v_dual_mov_b32 v6, 0 :: v_dual_mov_b32 v1, v0
	v_dual_mov_b32 v7, 0 :: v_dual_mov_b32 v4, 0
	v_mov_b32_e32 v5, 0
	s_add_co_i32 s22, s38, 1
	s_mov_b64 s[28:29], 0xffffffffffffffe0
	s_and_b32 s22, s22, 30
	s_add_nc_u64 s[28:29], s[20:21], s[28:29]
	s_mov_b64 s[30:31], s[20:21]
.LBB109_24:                             ; =>This Inner Loop Header: Depth=1
	s_clause 0x1
	s_load_b128 s[52:55], s[30:31], 0x4
	s_load_b64 s[42:43], s[30:31], 0x14
	s_load_b256 s[44:51], s[28:29], 0xe4
	s_add_co_i32 s22, s22, -2
	s_wait_xcnt 0x0
	s_add_nc_u64 s[30:31], s[30:31], 24
	s_cmp_eq_u32 s22, 0
	s_add_nc_u64 s[28:29], s[28:29], 32
	s_wait_kmcnt 0x0
	v_mul_hi_u32 v2, s53, v1
	s_delay_alu instid0(VALU_DEP_1) | instskip(NEXT) | instid1(VALU_DEP_1)
	v_add_nc_u32_e32 v2, v1, v2
	v_lshrrev_b32_e32 v2, s54, v2
	s_delay_alu instid0(VALU_DEP_1) | instskip(SKIP_1) | instid1(VALU_DEP_1)
	v_mul_hi_u32 v3, s42, v2
	v_mul_lo_u32 v8, v2, s52
	v_dual_add_nc_u32 v3, v2, v3 :: v_dual_sub_nc_u32 v8, v1, v8
	s_delay_alu instid0(VALU_DEP_1) | instskip(NEXT) | instid1(VALU_DEP_2)
	v_lshrrev_b32_e32 v1, s43, v3
	v_mad_u32 v5, v8, s45, v5
	v_mad_u32 v4, v8, s44, v4
	;; [unrolled: 1-line block ×4, first 2 shown]
	v_mul_lo_u32 v3, v1, s55
	s_delay_alu instid0(VALU_DEP_1) | instskip(NEXT) | instid1(VALU_DEP_1)
	v_sub_nc_u32_e32 v2, v2, v3
	v_mad_u32 v5, v2, s49, v5
	v_mad_u32 v4, v2, s48, v4
	;; [unrolled: 1-line block ×4, first 2 shown]
	s_cbranch_scc0 .LBB109_24
; %bb.25:
	s_bitcmp1_b32 s38, 0
	s_cselect_b32 s22, -1, 0
	s_delay_alu instid0(SALU_CYCLE_1)
	s_and_b32 vcc_lo, exec_lo, s22
	s_cbranch_vccnz .LBB109_29
; %bb.26:
	s_load_b96 s[48:50], s[30:31], 0x4
	s_load_b128 s[44:47], s[28:29], 0xe4
	s_wait_kmcnt 0x0
	v_mul_hi_u32 v2, s49, v1
	s_delay_alu instid0(VALU_DEP_1) | instskip(NEXT) | instid1(VALU_DEP_1)
	v_add_nc_u32_e32 v2, v1, v2
	v_lshrrev_b32_e32 v2, s50, v2
	s_delay_alu instid0(VALU_DEP_1) | instskip(NEXT) | instid1(VALU_DEP_1)
	v_mul_lo_u32 v2, v2, s48
	v_sub_nc_u32_e32 v1, v1, v2
	s_delay_alu instid0(VALU_DEP_1)
	v_mad_u32 v4, v1, s44, v4
	v_mad_u32 v5, v1, s45, v5
	;; [unrolled: 1-line block ×4, first 2 shown]
	s_branch .LBB109_29
.LBB109_27:
                                        ; implicit-def: $vgpr5
                                        ; implicit-def: $vgpr4
                                        ; implicit-def: $vgpr7
                                        ; implicit-def: $vgpr6
	s_branch .LBB109_30
.LBB109_28:
	v_dual_mov_b32 v5, 0 :: v_dual_mov_b32 v4, 0
	v_dual_mov_b32 v7, 0 :: v_dual_mov_b32 v6, 0
.LBB109_29:
	s_cbranch_execnz .LBB109_32
.LBB109_30:
	v_mov_b32_e32 v1, 0
	s_and_not1_b32 vcc_lo, exec_lo, s37
	s_delay_alu instid0(VALU_DEP_1) | instskip(NEXT) | instid1(VALU_DEP_1)
	v_mul_u64_e32 v[2:3], s[24:25], v[0:1]
	v_add_nc_u32_e32 v2, v0, v3
	s_delay_alu instid0(VALU_DEP_1) | instskip(NEXT) | instid1(VALU_DEP_1)
	v_lshrrev_b32_e32 v2, s18, v2
	v_mul_lo_u32 v3, v2, s16
	s_delay_alu instid0(VALU_DEP_1) | instskip(NEXT) | instid1(VALU_DEP_1)
	v_sub_nc_u32_e32 v3, v0, v3
	v_mul_lo_u32 v5, v3, s9
	v_mul_lo_u32 v4, v3, s8
	;; [unrolled: 1-line block ×4, first 2 shown]
	s_cbranch_vccnz .LBB109_32
; %bb.31:
	v_mov_b32_e32 v3, v1
	s_delay_alu instid0(VALU_DEP_1) | instskip(NEXT) | instid1(VALU_DEP_1)
	v_mul_u64_e32 v[8:9], s[26:27], v[2:3]
	v_add_nc_u32_e32 v1, v2, v9
	s_delay_alu instid0(VALU_DEP_1) | instskip(NEXT) | instid1(VALU_DEP_1)
	v_lshrrev_b32_e32 v1, s23, v1
	v_mul_lo_u32 v1, v1, s19
	s_delay_alu instid0(VALU_DEP_1) | instskip(NEXT) | instid1(VALU_DEP_1)
	v_sub_nc_u32_e32 v1, v2, v1
	v_mad_u32 v4, v1, s12, v4
	v_mad_u32 v5, v1, s13, v5
	;; [unrolled: 1-line block ×4, first 2 shown]
.LBB109_32:
	global_load_i8 v1, v5, s[2:3]
	global_load_i8 v2, v6, s[4:5]
	;; [unrolled: 1-line block ×3, first 2 shown]
	v_add_nc_u32_e32 v0, 0x80, v0
	s_wait_loadcnt 0x1
	v_max_i16 v1, v1, v2
	s_wait_loadcnt 0x0
	s_delay_alu instid0(VALU_DEP_1) | instskip(SKIP_3) | instid1(SALU_CYCLE_1)
	v_min_i16 v1, v1, v3
	global_store_b8 v4, v1, s[0:1]
	s_wait_xcnt 0x0
	s_or_b32 exec_lo, exec_lo, s17
	s_mov_b32 s17, exec_lo
	v_cmpx_gt_i32_e64 s39, v0
	s_cbranch_execz .LBB109_4
.LBB109_33:
	s_and_not1_b32 vcc_lo, exec_lo, s35
	s_cbranch_vccnz .LBB109_39
; %bb.34:
	s_and_not1_b32 vcc_lo, exec_lo, s40
	s_cbranch_vccnz .LBB109_40
; %bb.35:
	v_dual_mov_b32 v6, 0 :: v_dual_mov_b32 v1, v0
	v_dual_mov_b32 v7, 0 :: v_dual_mov_b32 v4, 0
	v_mov_b32_e32 v5, 0
	s_add_co_i32 s22, s38, 1
	s_mov_b64 s[28:29], 0xffffffffffffffe0
	s_and_b32 s22, s22, 30
	s_add_nc_u64 s[28:29], s[20:21], s[28:29]
	s_mov_b64 s[30:31], s[20:21]
.LBB109_36:                             ; =>This Inner Loop Header: Depth=1
	s_clause 0x1
	s_load_b128 s[52:55], s[30:31], 0x4
	s_load_b64 s[42:43], s[30:31], 0x14
	s_load_b256 s[44:51], s[28:29], 0xe4
	s_add_co_i32 s22, s22, -2
	s_wait_xcnt 0x0
	s_add_nc_u64 s[30:31], s[30:31], 24
	s_cmp_eq_u32 s22, 0
	s_add_nc_u64 s[28:29], s[28:29], 32
	s_wait_kmcnt 0x0
	v_mul_hi_u32 v2, s53, v1
	s_delay_alu instid0(VALU_DEP_1) | instskip(NEXT) | instid1(VALU_DEP_1)
	v_add_nc_u32_e32 v2, v1, v2
	v_lshrrev_b32_e32 v2, s54, v2
	s_delay_alu instid0(VALU_DEP_1) | instskip(SKIP_1) | instid1(VALU_DEP_1)
	v_mul_hi_u32 v3, s42, v2
	v_mul_lo_u32 v8, v2, s52
	v_dual_add_nc_u32 v3, v2, v3 :: v_dual_sub_nc_u32 v8, v1, v8
	s_delay_alu instid0(VALU_DEP_1) | instskip(NEXT) | instid1(VALU_DEP_2)
	v_lshrrev_b32_e32 v1, s43, v3
	v_mad_u32 v5, v8, s45, v5
	v_mad_u32 v4, v8, s44, v4
	;; [unrolled: 1-line block ×4, first 2 shown]
	v_mul_lo_u32 v3, v1, s55
	s_delay_alu instid0(VALU_DEP_1) | instskip(NEXT) | instid1(VALU_DEP_1)
	v_sub_nc_u32_e32 v2, v2, v3
	v_mad_u32 v5, v2, s49, v5
	v_mad_u32 v4, v2, s48, v4
	;; [unrolled: 1-line block ×4, first 2 shown]
	s_cbranch_scc0 .LBB109_36
; %bb.37:
	s_bitcmp1_b32 s38, 0
	s_cselect_b32 s22, -1, 0
	s_delay_alu instid0(SALU_CYCLE_1)
	s_and_b32 vcc_lo, exec_lo, s22
	s_cbranch_vccnz .LBB109_41
; %bb.38:
	s_load_b96 s[48:50], s[30:31], 0x4
	s_load_b128 s[44:47], s[28:29], 0xe4
	s_wait_kmcnt 0x0
	v_mul_hi_u32 v2, s49, v1
	s_delay_alu instid0(VALU_DEP_1) | instskip(NEXT) | instid1(VALU_DEP_1)
	v_add_nc_u32_e32 v2, v1, v2
	v_lshrrev_b32_e32 v2, s50, v2
	s_delay_alu instid0(VALU_DEP_1) | instskip(NEXT) | instid1(VALU_DEP_1)
	v_mul_lo_u32 v2, v2, s48
	v_sub_nc_u32_e32 v1, v1, v2
	s_delay_alu instid0(VALU_DEP_1)
	v_mad_u32 v4, v1, s44, v4
	v_mad_u32 v5, v1, s45, v5
	;; [unrolled: 1-line block ×4, first 2 shown]
	s_branch .LBB109_41
.LBB109_39:
                                        ; implicit-def: $vgpr5
                                        ; implicit-def: $vgpr4
                                        ; implicit-def: $vgpr7
                                        ; implicit-def: $vgpr6
	s_branch .LBB109_42
.LBB109_40:
	v_dual_mov_b32 v5, 0 :: v_dual_mov_b32 v4, 0
	v_dual_mov_b32 v7, 0 :: v_dual_mov_b32 v6, 0
.LBB109_41:
	s_cbranch_execnz .LBB109_44
.LBB109_42:
	v_mov_b32_e32 v1, 0
	s_and_not1_b32 vcc_lo, exec_lo, s37
	s_delay_alu instid0(VALU_DEP_1) | instskip(NEXT) | instid1(VALU_DEP_1)
	v_mul_u64_e32 v[2:3], s[24:25], v[0:1]
	v_add_nc_u32_e32 v2, v0, v3
	s_delay_alu instid0(VALU_DEP_1) | instskip(NEXT) | instid1(VALU_DEP_1)
	v_lshrrev_b32_e32 v2, s18, v2
	v_mul_lo_u32 v3, v2, s16
	s_delay_alu instid0(VALU_DEP_1) | instskip(NEXT) | instid1(VALU_DEP_1)
	v_sub_nc_u32_e32 v3, v0, v3
	v_mul_lo_u32 v5, v3, s9
	v_mul_lo_u32 v4, v3, s8
	;; [unrolled: 1-line block ×4, first 2 shown]
	s_cbranch_vccnz .LBB109_44
; %bb.43:
	v_mov_b32_e32 v3, v1
	s_delay_alu instid0(VALU_DEP_1) | instskip(NEXT) | instid1(VALU_DEP_1)
	v_mul_u64_e32 v[8:9], s[26:27], v[2:3]
	v_add_nc_u32_e32 v1, v2, v9
	s_delay_alu instid0(VALU_DEP_1) | instskip(NEXT) | instid1(VALU_DEP_1)
	v_lshrrev_b32_e32 v1, s23, v1
	v_mul_lo_u32 v1, v1, s19
	s_delay_alu instid0(VALU_DEP_1) | instskip(NEXT) | instid1(VALU_DEP_1)
	v_sub_nc_u32_e32 v1, v2, v1
	v_mad_u32 v4, v1, s12, v4
	v_mad_u32 v5, v1, s13, v5
	;; [unrolled: 1-line block ×4, first 2 shown]
.LBB109_44:
	global_load_i8 v1, v5, s[2:3]
	global_load_i8 v2, v6, s[4:5]
	;; [unrolled: 1-line block ×3, first 2 shown]
	v_add_nc_u32_e32 v0, 0x80, v0
	s_wait_loadcnt 0x1
	v_max_i16 v1, v1, v2
	s_wait_loadcnt 0x0
	s_delay_alu instid0(VALU_DEP_1) | instskip(SKIP_3) | instid1(SALU_CYCLE_1)
	v_min_i16 v1, v1, v3
	global_store_b8 v4, v1, s[0:1]
	s_wait_xcnt 0x0
	s_or_b32 exec_lo, exec_lo, s17
	s_mov_b32 s17, exec_lo
	v_cmpx_gt_i32_e64 s39, v0
	s_cbranch_execz .LBB109_5
.LBB109_45:
	s_and_not1_b32 vcc_lo, exec_lo, s35
	s_cbranch_vccnz .LBB109_51
; %bb.46:
	s_and_not1_b32 vcc_lo, exec_lo, s40
	s_cbranch_vccnz .LBB109_52
; %bb.47:
	v_dual_mov_b32 v5, 0 :: v_dual_mov_b32 v1, v0
	v_dual_mov_b32 v7, 0 :: v_dual_mov_b32 v4, 0
	v_mov_b32_e32 v6, 0
	s_add_co_i32 s22, s38, 1
	s_mov_b64 s[28:29], 0xffffffffffffffe0
	s_and_b32 s22, s22, 30
	s_add_nc_u64 s[28:29], s[20:21], s[28:29]
	s_mov_b64 s[30:31], s[20:21]
.LBB109_48:                             ; =>This Inner Loop Header: Depth=1
	s_clause 0x1
	s_load_b128 s[52:55], s[30:31], 0x4
	s_load_b64 s[42:43], s[30:31], 0x14
	s_load_b256 s[44:51], s[28:29], 0xe4
	s_add_co_i32 s22, s22, -2
	s_wait_xcnt 0x0
	s_add_nc_u64 s[30:31], s[30:31], 24
	s_cmp_eq_u32 s22, 0
	s_add_nc_u64 s[28:29], s[28:29], 32
	s_wait_kmcnt 0x0
	v_mul_hi_u32 v2, s53, v1
	s_delay_alu instid0(VALU_DEP_1) | instskip(NEXT) | instid1(VALU_DEP_1)
	v_add_nc_u32_e32 v2, v1, v2
	v_lshrrev_b32_e32 v2, s54, v2
	s_delay_alu instid0(VALU_DEP_1) | instskip(SKIP_1) | instid1(VALU_DEP_1)
	v_mul_hi_u32 v3, s42, v2
	v_mul_lo_u32 v8, v2, s52
	v_dual_add_nc_u32 v3, v2, v3 :: v_dual_sub_nc_u32 v8, v1, v8
	s_delay_alu instid0(VALU_DEP_1) | instskip(NEXT) | instid1(VALU_DEP_2)
	v_lshrrev_b32_e32 v1, s43, v3
	v_mad_u32 v6, v8, s45, v6
	v_mad_u32 v4, v8, s44, v4
	;; [unrolled: 1-line block ×4, first 2 shown]
	v_mul_lo_u32 v3, v1, s55
	s_delay_alu instid0(VALU_DEP_1) | instskip(NEXT) | instid1(VALU_DEP_1)
	v_sub_nc_u32_e32 v2, v2, v3
	v_mad_u32 v6, v2, s49, v6
	v_mad_u32 v4, v2, s48, v4
	;; [unrolled: 1-line block ×4, first 2 shown]
	s_cbranch_scc0 .LBB109_48
; %bb.49:
	s_bitcmp1_b32 s38, 0
	s_cselect_b32 s22, -1, 0
	s_delay_alu instid0(SALU_CYCLE_1)
	s_and_b32 vcc_lo, exec_lo, s22
	s_cbranch_vccnz .LBB109_53
; %bb.50:
	s_load_b96 s[48:50], s[30:31], 0x4
	s_load_b128 s[44:47], s[28:29], 0xe4
	s_wait_kmcnt 0x0
	v_mul_hi_u32 v2, s49, v1
	s_delay_alu instid0(VALU_DEP_1) | instskip(NEXT) | instid1(VALU_DEP_1)
	v_add_nc_u32_e32 v2, v1, v2
	v_lshrrev_b32_e32 v2, s50, v2
	s_delay_alu instid0(VALU_DEP_1) | instskip(NEXT) | instid1(VALU_DEP_1)
	v_mul_lo_u32 v2, v2, s48
	v_sub_nc_u32_e32 v1, v1, v2
	s_delay_alu instid0(VALU_DEP_1)
	v_mad_u32 v4, v1, s44, v4
	v_mad_u32 v6, v1, s45, v6
	;; [unrolled: 1-line block ×4, first 2 shown]
	s_branch .LBB109_53
.LBB109_51:
                                        ; implicit-def: $vgpr6
                                        ; implicit-def: $vgpr4
                                        ; implicit-def: $vgpr7
                                        ; implicit-def: $vgpr5
	s_branch .LBB109_54
.LBB109_52:
	v_dual_mov_b32 v6, 0 :: v_dual_mov_b32 v4, 0
	v_dual_mov_b32 v7, 0 :: v_dual_mov_b32 v5, 0
.LBB109_53:
	s_cbranch_execnz .LBB109_56
.LBB109_54:
	v_mov_b32_e32 v1, 0
	s_and_not1_b32 vcc_lo, exec_lo, s37
	s_delay_alu instid0(VALU_DEP_1) | instskip(NEXT) | instid1(VALU_DEP_1)
	v_mul_u64_e32 v[2:3], s[24:25], v[0:1]
	v_add_nc_u32_e32 v2, v0, v3
	s_delay_alu instid0(VALU_DEP_1) | instskip(NEXT) | instid1(VALU_DEP_1)
	v_lshrrev_b32_e32 v2, s18, v2
	v_mul_lo_u32 v3, v2, s16
	s_delay_alu instid0(VALU_DEP_1) | instskip(NEXT) | instid1(VALU_DEP_1)
	v_sub_nc_u32_e32 v3, v0, v3
	v_mul_lo_u32 v6, v3, s9
	v_mul_lo_u32 v4, v3, s8
	;; [unrolled: 1-line block ×4, first 2 shown]
	s_cbranch_vccnz .LBB109_56
; %bb.55:
	v_mov_b32_e32 v3, v1
	s_delay_alu instid0(VALU_DEP_1) | instskip(NEXT) | instid1(VALU_DEP_1)
	v_mul_u64_e32 v[8:9], s[26:27], v[2:3]
	v_add_nc_u32_e32 v1, v2, v9
	s_delay_alu instid0(VALU_DEP_1) | instskip(NEXT) | instid1(VALU_DEP_1)
	v_lshrrev_b32_e32 v1, s23, v1
	v_mul_lo_u32 v1, v1, s19
	s_delay_alu instid0(VALU_DEP_1) | instskip(NEXT) | instid1(VALU_DEP_1)
	v_sub_nc_u32_e32 v1, v2, v1
	v_mad_u32 v4, v1, s12, v4
	v_mad_u32 v6, v1, s13, v6
	;; [unrolled: 1-line block ×4, first 2 shown]
.LBB109_56:
	global_load_i8 v1, v6, s[2:3]
	global_load_i8 v2, v5, s[4:5]
	;; [unrolled: 1-line block ×3, first 2 shown]
	v_add_nc_u32_e32 v0, 0x80, v0
	s_wait_loadcnt 0x1
	v_max_i16 v1, v1, v2
	s_wait_loadcnt 0x0
	s_delay_alu instid0(VALU_DEP_1) | instskip(SKIP_3) | instid1(SALU_CYCLE_1)
	v_min_i16 v1, v1, v3
	global_store_b8 v4, v1, s[0:1]
	s_wait_xcnt 0x0
	s_or_b32 exec_lo, exec_lo, s17
	s_mov_b32 s17, exec_lo
	v_cmpx_gt_i32_e64 s39, v0
	s_cbranch_execz .LBB109_6
.LBB109_57:
	s_and_not1_b32 vcc_lo, exec_lo, s35
	s_cbranch_vccnz .LBB109_63
; %bb.58:
	s_and_not1_b32 vcc_lo, exec_lo, s40
	s_cbranch_vccnz .LBB109_64
; %bb.59:
	v_dual_mov_b32 v6, 0 :: v_dual_mov_b32 v1, v0
	v_dual_mov_b32 v7, 0 :: v_dual_mov_b32 v4, 0
	v_mov_b32_e32 v5, 0
	s_add_co_i32 s22, s38, 1
	s_mov_b64 s[28:29], 0xffffffffffffffe0
	s_and_b32 s22, s22, 30
	s_add_nc_u64 s[28:29], s[20:21], s[28:29]
	s_mov_b64 s[30:31], s[20:21]
.LBB109_60:                             ; =>This Inner Loop Header: Depth=1
	s_clause 0x1
	s_load_b128 s[52:55], s[30:31], 0x4
	s_load_b64 s[42:43], s[30:31], 0x14
	s_load_b256 s[44:51], s[28:29], 0xe4
	s_add_co_i32 s22, s22, -2
	s_wait_xcnt 0x0
	s_add_nc_u64 s[30:31], s[30:31], 24
	s_cmp_eq_u32 s22, 0
	s_add_nc_u64 s[28:29], s[28:29], 32
	s_wait_kmcnt 0x0
	v_mul_hi_u32 v2, s53, v1
	s_delay_alu instid0(VALU_DEP_1) | instskip(NEXT) | instid1(VALU_DEP_1)
	v_add_nc_u32_e32 v2, v1, v2
	v_lshrrev_b32_e32 v2, s54, v2
	s_delay_alu instid0(VALU_DEP_1) | instskip(SKIP_1) | instid1(VALU_DEP_1)
	v_mul_hi_u32 v3, s42, v2
	v_mul_lo_u32 v8, v2, s52
	v_dual_add_nc_u32 v3, v2, v3 :: v_dual_sub_nc_u32 v8, v1, v8
	s_delay_alu instid0(VALU_DEP_1) | instskip(NEXT) | instid1(VALU_DEP_2)
	v_lshrrev_b32_e32 v1, s43, v3
	v_mad_u32 v5, v8, s45, v5
	v_mad_u32 v4, v8, s44, v4
	;; [unrolled: 1-line block ×4, first 2 shown]
	v_mul_lo_u32 v3, v1, s55
	s_delay_alu instid0(VALU_DEP_1) | instskip(NEXT) | instid1(VALU_DEP_1)
	v_sub_nc_u32_e32 v2, v2, v3
	v_mad_u32 v5, v2, s49, v5
	v_mad_u32 v4, v2, s48, v4
	;; [unrolled: 1-line block ×4, first 2 shown]
	s_cbranch_scc0 .LBB109_60
; %bb.61:
	s_bitcmp1_b32 s38, 0
	s_cselect_b32 s22, -1, 0
	s_delay_alu instid0(SALU_CYCLE_1)
	s_and_b32 vcc_lo, exec_lo, s22
	s_cbranch_vccnz .LBB109_65
; %bb.62:
	s_load_b96 s[48:50], s[30:31], 0x4
	s_load_b128 s[44:47], s[28:29], 0xe4
	s_wait_kmcnt 0x0
	v_mul_hi_u32 v2, s49, v1
	s_delay_alu instid0(VALU_DEP_1) | instskip(NEXT) | instid1(VALU_DEP_1)
	v_add_nc_u32_e32 v2, v1, v2
	v_lshrrev_b32_e32 v2, s50, v2
	s_delay_alu instid0(VALU_DEP_1) | instskip(NEXT) | instid1(VALU_DEP_1)
	v_mul_lo_u32 v2, v2, s48
	v_sub_nc_u32_e32 v1, v1, v2
	s_delay_alu instid0(VALU_DEP_1)
	v_mad_u32 v4, v1, s44, v4
	v_mad_u32 v5, v1, s45, v5
	;; [unrolled: 1-line block ×4, first 2 shown]
	s_branch .LBB109_65
.LBB109_63:
                                        ; implicit-def: $vgpr5
                                        ; implicit-def: $vgpr4
                                        ; implicit-def: $vgpr7
                                        ; implicit-def: $vgpr6
	s_branch .LBB109_66
.LBB109_64:
	v_dual_mov_b32 v5, 0 :: v_dual_mov_b32 v4, 0
	v_dual_mov_b32 v7, 0 :: v_dual_mov_b32 v6, 0
.LBB109_65:
	s_cbranch_execnz .LBB109_68
.LBB109_66:
	v_mov_b32_e32 v1, 0
	s_and_not1_b32 vcc_lo, exec_lo, s37
	s_delay_alu instid0(VALU_DEP_1) | instskip(NEXT) | instid1(VALU_DEP_1)
	v_mul_u64_e32 v[2:3], s[24:25], v[0:1]
	v_add_nc_u32_e32 v2, v0, v3
	s_delay_alu instid0(VALU_DEP_1) | instskip(NEXT) | instid1(VALU_DEP_1)
	v_lshrrev_b32_e32 v2, s18, v2
	v_mul_lo_u32 v3, v2, s16
	s_delay_alu instid0(VALU_DEP_1) | instskip(NEXT) | instid1(VALU_DEP_1)
	v_sub_nc_u32_e32 v3, v0, v3
	v_mul_lo_u32 v5, v3, s9
	v_mul_lo_u32 v4, v3, s8
	v_mul_lo_u32 v7, v3, s11
	v_mul_lo_u32 v6, v3, s10
	s_cbranch_vccnz .LBB109_68
; %bb.67:
	v_mov_b32_e32 v3, v1
	s_delay_alu instid0(VALU_DEP_1) | instskip(NEXT) | instid1(VALU_DEP_1)
	v_mul_u64_e32 v[8:9], s[26:27], v[2:3]
	v_add_nc_u32_e32 v1, v2, v9
	s_delay_alu instid0(VALU_DEP_1) | instskip(NEXT) | instid1(VALU_DEP_1)
	v_lshrrev_b32_e32 v1, s23, v1
	v_mul_lo_u32 v1, v1, s19
	s_delay_alu instid0(VALU_DEP_1) | instskip(NEXT) | instid1(VALU_DEP_1)
	v_sub_nc_u32_e32 v1, v2, v1
	v_mad_u32 v4, v1, s12, v4
	v_mad_u32 v5, v1, s13, v5
	;; [unrolled: 1-line block ×4, first 2 shown]
.LBB109_68:
	global_load_i8 v1, v5, s[2:3]
	global_load_i8 v2, v6, s[4:5]
	;; [unrolled: 1-line block ×3, first 2 shown]
	v_add_nc_u32_e32 v0, 0x80, v0
	s_wait_loadcnt 0x1
	v_max_i16 v1, v1, v2
	s_wait_loadcnt 0x0
	s_delay_alu instid0(VALU_DEP_1) | instskip(SKIP_3) | instid1(SALU_CYCLE_1)
	v_min_i16 v1, v1, v3
	global_store_b8 v4, v1, s[0:1]
	s_wait_xcnt 0x0
	s_or_b32 exec_lo, exec_lo, s17
	s_mov_b32 s17, exec_lo
	v_cmpx_gt_i32_e64 s39, v0
	s_cbranch_execz .LBB109_7
.LBB109_69:
	s_and_not1_b32 vcc_lo, exec_lo, s35
	s_cbranch_vccnz .LBB109_75
; %bb.70:
	s_and_not1_b32 vcc_lo, exec_lo, s40
	s_cbranch_vccnz .LBB109_76
; %bb.71:
	v_dual_mov_b32 v6, 0 :: v_dual_mov_b32 v1, v0
	v_dual_mov_b32 v7, 0 :: v_dual_mov_b32 v4, 0
	v_mov_b32_e32 v5, 0
	s_add_co_i32 s22, s38, 1
	s_mov_b64 s[28:29], 0xffffffffffffffe0
	s_and_b32 s22, s22, 30
	s_add_nc_u64 s[28:29], s[20:21], s[28:29]
	s_mov_b64 s[30:31], s[20:21]
.LBB109_72:                             ; =>This Inner Loop Header: Depth=1
	s_clause 0x1
	s_load_b128 s[52:55], s[30:31], 0x4
	s_load_b64 s[42:43], s[30:31], 0x14
	s_load_b256 s[44:51], s[28:29], 0xe4
	s_add_co_i32 s22, s22, -2
	s_wait_xcnt 0x0
	s_add_nc_u64 s[30:31], s[30:31], 24
	s_cmp_eq_u32 s22, 0
	s_add_nc_u64 s[28:29], s[28:29], 32
	s_wait_kmcnt 0x0
	v_mul_hi_u32 v2, s53, v1
	s_delay_alu instid0(VALU_DEP_1) | instskip(NEXT) | instid1(VALU_DEP_1)
	v_add_nc_u32_e32 v2, v1, v2
	v_lshrrev_b32_e32 v2, s54, v2
	s_delay_alu instid0(VALU_DEP_1) | instskip(SKIP_1) | instid1(VALU_DEP_1)
	v_mul_hi_u32 v3, s42, v2
	v_mul_lo_u32 v8, v2, s52
	v_dual_add_nc_u32 v3, v2, v3 :: v_dual_sub_nc_u32 v8, v1, v8
	s_delay_alu instid0(VALU_DEP_1) | instskip(NEXT) | instid1(VALU_DEP_2)
	v_lshrrev_b32_e32 v1, s43, v3
	v_mad_u32 v5, v8, s45, v5
	v_mad_u32 v4, v8, s44, v4
	;; [unrolled: 1-line block ×4, first 2 shown]
	v_mul_lo_u32 v3, v1, s55
	s_delay_alu instid0(VALU_DEP_1) | instskip(NEXT) | instid1(VALU_DEP_1)
	v_sub_nc_u32_e32 v2, v2, v3
	v_mad_u32 v5, v2, s49, v5
	v_mad_u32 v4, v2, s48, v4
	;; [unrolled: 1-line block ×4, first 2 shown]
	s_cbranch_scc0 .LBB109_72
; %bb.73:
	s_bitcmp1_b32 s38, 0
	s_cselect_b32 s22, -1, 0
	s_delay_alu instid0(SALU_CYCLE_1)
	s_and_b32 vcc_lo, exec_lo, s22
	s_cbranch_vccnz .LBB109_77
; %bb.74:
	s_load_b96 s[48:50], s[30:31], 0x4
	s_load_b128 s[44:47], s[28:29], 0xe4
	s_wait_kmcnt 0x0
	v_mul_hi_u32 v2, s49, v1
	s_delay_alu instid0(VALU_DEP_1) | instskip(NEXT) | instid1(VALU_DEP_1)
	v_add_nc_u32_e32 v2, v1, v2
	v_lshrrev_b32_e32 v2, s50, v2
	s_delay_alu instid0(VALU_DEP_1) | instskip(NEXT) | instid1(VALU_DEP_1)
	v_mul_lo_u32 v2, v2, s48
	v_sub_nc_u32_e32 v1, v1, v2
	s_delay_alu instid0(VALU_DEP_1)
	v_mad_u32 v4, v1, s44, v4
	v_mad_u32 v5, v1, s45, v5
	;; [unrolled: 1-line block ×4, first 2 shown]
	s_branch .LBB109_77
.LBB109_75:
                                        ; implicit-def: $vgpr5
                                        ; implicit-def: $vgpr4
                                        ; implicit-def: $vgpr7
                                        ; implicit-def: $vgpr6
	s_branch .LBB109_78
.LBB109_76:
	v_dual_mov_b32 v5, 0 :: v_dual_mov_b32 v4, 0
	v_dual_mov_b32 v7, 0 :: v_dual_mov_b32 v6, 0
.LBB109_77:
	s_cbranch_execnz .LBB109_80
.LBB109_78:
	v_mov_b32_e32 v1, 0
	s_and_not1_b32 vcc_lo, exec_lo, s37
	s_delay_alu instid0(VALU_DEP_1) | instskip(NEXT) | instid1(VALU_DEP_1)
	v_mul_u64_e32 v[2:3], s[24:25], v[0:1]
	v_add_nc_u32_e32 v2, v0, v3
	s_delay_alu instid0(VALU_DEP_1) | instskip(NEXT) | instid1(VALU_DEP_1)
	v_lshrrev_b32_e32 v2, s18, v2
	v_mul_lo_u32 v3, v2, s16
	s_delay_alu instid0(VALU_DEP_1) | instskip(NEXT) | instid1(VALU_DEP_1)
	v_sub_nc_u32_e32 v3, v0, v3
	v_mul_lo_u32 v5, v3, s9
	v_mul_lo_u32 v4, v3, s8
	;; [unrolled: 1-line block ×4, first 2 shown]
	s_cbranch_vccnz .LBB109_80
; %bb.79:
	v_mov_b32_e32 v3, v1
	s_delay_alu instid0(VALU_DEP_1) | instskip(NEXT) | instid1(VALU_DEP_1)
	v_mul_u64_e32 v[8:9], s[26:27], v[2:3]
	v_add_nc_u32_e32 v1, v2, v9
	s_delay_alu instid0(VALU_DEP_1) | instskip(NEXT) | instid1(VALU_DEP_1)
	v_lshrrev_b32_e32 v1, s23, v1
	v_mul_lo_u32 v1, v1, s19
	s_delay_alu instid0(VALU_DEP_1) | instskip(NEXT) | instid1(VALU_DEP_1)
	v_sub_nc_u32_e32 v1, v2, v1
	v_mad_u32 v4, v1, s12, v4
	v_mad_u32 v5, v1, s13, v5
	;; [unrolled: 1-line block ×4, first 2 shown]
.LBB109_80:
	global_load_i8 v1, v5, s[2:3]
	global_load_i8 v2, v6, s[4:5]
	;; [unrolled: 1-line block ×3, first 2 shown]
	v_add_nc_u32_e32 v0, 0x80, v0
	s_wait_loadcnt 0x1
	v_max_i16 v1, v1, v2
	s_wait_loadcnt 0x0
	s_delay_alu instid0(VALU_DEP_1) | instskip(SKIP_3) | instid1(SALU_CYCLE_1)
	v_min_i16 v1, v1, v3
	global_store_b8 v4, v1, s[0:1]
	s_wait_xcnt 0x0
	s_or_b32 exec_lo, exec_lo, s17
	s_mov_b32 s17, exec_lo
	v_cmpx_gt_i32_e64 s39, v0
	s_cbranch_execz .LBB109_8
.LBB109_81:
	s_and_not1_b32 vcc_lo, exec_lo, s35
	s_cbranch_vccnz .LBB109_87
; %bb.82:
	s_and_not1_b32 vcc_lo, exec_lo, s40
	s_cbranch_vccnz .LBB109_88
; %bb.83:
	v_dual_mov_b32 v5, 0 :: v_dual_mov_b32 v1, v0
	v_dual_mov_b32 v7, 0 :: v_dual_mov_b32 v4, 0
	v_mov_b32_e32 v6, 0
	s_add_co_i32 s22, s38, 1
	s_mov_b64 s[28:29], 0xffffffffffffffe0
	s_and_b32 s22, s22, 30
	s_add_nc_u64 s[28:29], s[20:21], s[28:29]
	s_mov_b64 s[30:31], s[20:21]
.LBB109_84:                             ; =>This Inner Loop Header: Depth=1
	s_clause 0x1
	s_load_b128 s[52:55], s[30:31], 0x4
	s_load_b64 s[42:43], s[30:31], 0x14
	s_load_b256 s[44:51], s[28:29], 0xe4
	s_add_co_i32 s22, s22, -2
	s_wait_xcnt 0x0
	s_add_nc_u64 s[30:31], s[30:31], 24
	s_cmp_eq_u32 s22, 0
	s_add_nc_u64 s[28:29], s[28:29], 32
	s_wait_kmcnt 0x0
	v_mul_hi_u32 v2, s53, v1
	s_delay_alu instid0(VALU_DEP_1) | instskip(NEXT) | instid1(VALU_DEP_1)
	v_add_nc_u32_e32 v2, v1, v2
	v_lshrrev_b32_e32 v2, s54, v2
	s_delay_alu instid0(VALU_DEP_1) | instskip(SKIP_1) | instid1(VALU_DEP_1)
	v_mul_hi_u32 v3, s42, v2
	v_mul_lo_u32 v8, v2, s52
	v_dual_add_nc_u32 v3, v2, v3 :: v_dual_sub_nc_u32 v8, v1, v8
	s_delay_alu instid0(VALU_DEP_1) | instskip(NEXT) | instid1(VALU_DEP_2)
	v_lshrrev_b32_e32 v1, s43, v3
	v_mad_u32 v6, v8, s45, v6
	v_mad_u32 v4, v8, s44, v4
	v_mad_u32 v7, v8, s47, v7
	v_mad_u32 v5, v8, s46, v5
	v_mul_lo_u32 v3, v1, s55
	s_delay_alu instid0(VALU_DEP_1) | instskip(NEXT) | instid1(VALU_DEP_1)
	v_sub_nc_u32_e32 v2, v2, v3
	v_mad_u32 v6, v2, s49, v6
	v_mad_u32 v4, v2, s48, v4
	;; [unrolled: 1-line block ×4, first 2 shown]
	s_cbranch_scc0 .LBB109_84
; %bb.85:
	s_bitcmp1_b32 s38, 0
	s_cselect_b32 s22, -1, 0
	s_delay_alu instid0(SALU_CYCLE_1)
	s_and_b32 vcc_lo, exec_lo, s22
	s_cbranch_vccnz .LBB109_89
; %bb.86:
	s_load_b96 s[48:50], s[30:31], 0x4
	s_load_b128 s[44:47], s[28:29], 0xe4
	s_wait_kmcnt 0x0
	v_mul_hi_u32 v2, s49, v1
	s_delay_alu instid0(VALU_DEP_1) | instskip(NEXT) | instid1(VALU_DEP_1)
	v_add_nc_u32_e32 v2, v1, v2
	v_lshrrev_b32_e32 v2, s50, v2
	s_delay_alu instid0(VALU_DEP_1) | instskip(NEXT) | instid1(VALU_DEP_1)
	v_mul_lo_u32 v2, v2, s48
	v_sub_nc_u32_e32 v1, v1, v2
	s_delay_alu instid0(VALU_DEP_1)
	v_mad_u32 v4, v1, s44, v4
	v_mad_u32 v6, v1, s45, v6
	;; [unrolled: 1-line block ×4, first 2 shown]
	s_branch .LBB109_89
.LBB109_87:
                                        ; implicit-def: $vgpr6
                                        ; implicit-def: $vgpr4
                                        ; implicit-def: $vgpr7
                                        ; implicit-def: $vgpr5
	s_branch .LBB109_90
.LBB109_88:
	v_dual_mov_b32 v6, 0 :: v_dual_mov_b32 v4, 0
	v_dual_mov_b32 v7, 0 :: v_dual_mov_b32 v5, 0
.LBB109_89:
	s_cbranch_execnz .LBB109_92
.LBB109_90:
	v_mov_b32_e32 v1, 0
	s_and_not1_b32 vcc_lo, exec_lo, s37
	s_delay_alu instid0(VALU_DEP_1) | instskip(NEXT) | instid1(VALU_DEP_1)
	v_mul_u64_e32 v[2:3], s[24:25], v[0:1]
	v_add_nc_u32_e32 v2, v0, v3
	s_delay_alu instid0(VALU_DEP_1) | instskip(NEXT) | instid1(VALU_DEP_1)
	v_lshrrev_b32_e32 v2, s18, v2
	v_mul_lo_u32 v3, v2, s16
	s_delay_alu instid0(VALU_DEP_1) | instskip(NEXT) | instid1(VALU_DEP_1)
	v_sub_nc_u32_e32 v3, v0, v3
	v_mul_lo_u32 v6, v3, s9
	v_mul_lo_u32 v4, v3, s8
	;; [unrolled: 1-line block ×4, first 2 shown]
	s_cbranch_vccnz .LBB109_92
; %bb.91:
	v_mov_b32_e32 v3, v1
	s_delay_alu instid0(VALU_DEP_1) | instskip(NEXT) | instid1(VALU_DEP_1)
	v_mul_u64_e32 v[8:9], s[26:27], v[2:3]
	v_add_nc_u32_e32 v1, v2, v9
	s_delay_alu instid0(VALU_DEP_1) | instskip(NEXT) | instid1(VALU_DEP_1)
	v_lshrrev_b32_e32 v1, s23, v1
	v_mul_lo_u32 v1, v1, s19
	s_delay_alu instid0(VALU_DEP_1) | instskip(NEXT) | instid1(VALU_DEP_1)
	v_sub_nc_u32_e32 v1, v2, v1
	v_mad_u32 v4, v1, s12, v4
	v_mad_u32 v6, v1, s13, v6
	;; [unrolled: 1-line block ×4, first 2 shown]
.LBB109_92:
	global_load_i8 v1, v6, s[2:3]
	global_load_i8 v2, v5, s[4:5]
	;; [unrolled: 1-line block ×3, first 2 shown]
	v_add_nc_u32_e32 v0, 0x80, v0
	s_wait_loadcnt 0x1
	v_max_i16 v1, v1, v2
	s_wait_loadcnt 0x0
	s_delay_alu instid0(VALU_DEP_1) | instskip(SKIP_3) | instid1(SALU_CYCLE_1)
	v_min_i16 v1, v1, v3
	global_store_b8 v4, v1, s[0:1]
	s_wait_xcnt 0x0
	s_or_b32 exec_lo, exec_lo, s17
	s_mov_b32 s17, exec_lo
	v_cmpx_gt_i32_e64 s39, v0
	s_cbranch_execz .LBB109_105
.LBB109_93:
	s_and_not1_b32 vcc_lo, exec_lo, s35
	s_cbranch_vccnz .LBB109_99
; %bb.94:
	s_and_not1_b32 vcc_lo, exec_lo, s40
	s_cbranch_vccnz .LBB109_100
; %bb.95:
	v_dual_mov_b32 v5, 0 :: v_dual_mov_b32 v1, v0
	v_dual_mov_b32 v7, 0 :: v_dual_mov_b32 v4, 0
	v_mov_b32_e32 v6, 0
	s_add_co_i32 s22, s38, 1
	s_mov_b64 s[28:29], 0xffffffffffffffe0
	s_and_b32 s22, s22, 30
	s_add_nc_u64 s[28:29], s[20:21], s[28:29]
	s_mov_b64 s[30:31], s[20:21]
.LBB109_96:                             ; =>This Inner Loop Header: Depth=1
	s_clause 0x1
	s_load_b128 s[48:51], s[30:31], 0x4
	s_load_b64 s[52:53], s[30:31], 0x14
	s_load_b256 s[40:47], s[28:29], 0xe4
	s_add_co_i32 s22, s22, -2
	s_wait_xcnt 0x0
	s_add_nc_u64 s[30:31], s[30:31], 24
	s_cmp_eq_u32 s22, 0
	s_add_nc_u64 s[28:29], s[28:29], 32
	s_wait_kmcnt 0x0
	v_mul_hi_u32 v2, s49, v1
	s_delay_alu instid0(VALU_DEP_1) | instskip(NEXT) | instid1(VALU_DEP_1)
	v_add_nc_u32_e32 v2, v1, v2
	v_lshrrev_b32_e32 v2, s50, v2
	s_delay_alu instid0(VALU_DEP_1) | instskip(SKIP_1) | instid1(VALU_DEP_1)
	v_mul_hi_u32 v3, s52, v2
	v_mul_lo_u32 v8, v2, s48
	v_dual_add_nc_u32 v3, v2, v3 :: v_dual_sub_nc_u32 v8, v1, v8
	s_delay_alu instid0(VALU_DEP_1) | instskip(NEXT) | instid1(VALU_DEP_2)
	v_lshrrev_b32_e32 v1, s53, v3
	v_mad_u32 v6, v8, s41, v6
	v_mad_u32 v4, v8, s40, v4
	;; [unrolled: 1-line block ×4, first 2 shown]
	v_mul_lo_u32 v3, v1, s51
	s_delay_alu instid0(VALU_DEP_1) | instskip(NEXT) | instid1(VALU_DEP_1)
	v_sub_nc_u32_e32 v2, v2, v3
	v_mad_u32 v6, v2, s45, v6
	v_mad_u32 v4, v2, s44, v4
	v_mad_u32 v7, v2, s47, v7
	v_mad_u32 v5, v2, s46, v5
	s_cbranch_scc0 .LBB109_96
; %bb.97:
	s_bitcmp1_b32 s38, 0
	s_cselect_b32 s22, -1, 0
	s_delay_alu instid0(SALU_CYCLE_1)
	s_and_b32 vcc_lo, exec_lo, s22
	s_cbranch_vccnz .LBB109_101
; %bb.98:
	s_load_b96 s[44:46], s[30:31], 0x4
	s_load_b128 s[40:43], s[28:29], 0xe4
	s_wait_kmcnt 0x0
	v_mul_hi_u32 v2, s45, v1
	s_delay_alu instid0(VALU_DEP_1) | instskip(NEXT) | instid1(VALU_DEP_1)
	v_add_nc_u32_e32 v2, v1, v2
	v_lshrrev_b32_e32 v2, s46, v2
	s_delay_alu instid0(VALU_DEP_1) | instskip(NEXT) | instid1(VALU_DEP_1)
	v_mul_lo_u32 v2, v2, s44
	v_sub_nc_u32_e32 v1, v1, v2
	s_delay_alu instid0(VALU_DEP_1)
	v_mad_u32 v4, v1, s40, v4
	v_mad_u32 v6, v1, s41, v6
	;; [unrolled: 1-line block ×4, first 2 shown]
	s_branch .LBB109_101
.LBB109_99:
                                        ; implicit-def: $vgpr6
                                        ; implicit-def: $vgpr4
                                        ; implicit-def: $vgpr7
                                        ; implicit-def: $vgpr5
	s_branch .LBB109_102
.LBB109_100:
	v_dual_mov_b32 v6, 0 :: v_dual_mov_b32 v4, 0
	v_dual_mov_b32 v7, 0 :: v_dual_mov_b32 v5, 0
.LBB109_101:
	s_cbranch_execnz .LBB109_104
.LBB109_102:
	v_mov_b32_e32 v1, 0
	s_and_not1_b32 vcc_lo, exec_lo, s37
	s_delay_alu instid0(VALU_DEP_1) | instskip(NEXT) | instid1(VALU_DEP_1)
	v_mul_u64_e32 v[2:3], s[24:25], v[0:1]
	v_add_nc_u32_e32 v2, v0, v3
	s_delay_alu instid0(VALU_DEP_1) | instskip(NEXT) | instid1(VALU_DEP_1)
	v_lshrrev_b32_e32 v2, s18, v2
	v_mul_lo_u32 v3, v2, s16
	s_delay_alu instid0(VALU_DEP_1) | instskip(NEXT) | instid1(VALU_DEP_1)
	v_sub_nc_u32_e32 v0, v0, v3
	v_mul_lo_u32 v6, v0, s9
	v_mul_lo_u32 v4, v0, s8
	v_mul_lo_u32 v7, v0, s11
	v_mul_lo_u32 v5, v0, s10
	s_cbranch_vccnz .LBB109_104
; %bb.103:
	v_mov_b32_e32 v3, v1
	s_delay_alu instid0(VALU_DEP_1) | instskip(NEXT) | instid1(VALU_DEP_1)
	v_mul_u64_e32 v[0:1], s[26:27], v[2:3]
	v_add_nc_u32_e32 v0, v2, v1
	s_delay_alu instid0(VALU_DEP_1) | instskip(NEXT) | instid1(VALU_DEP_1)
	v_lshrrev_b32_e32 v0, s23, v0
	v_mul_lo_u32 v0, v0, s19
	s_delay_alu instid0(VALU_DEP_1) | instskip(NEXT) | instid1(VALU_DEP_1)
	v_sub_nc_u32_e32 v0, v2, v0
	v_mad_u32 v4, v0, s12, v4
	v_mad_u32 v6, v0, s13, v6
	;; [unrolled: 1-line block ×4, first 2 shown]
.LBB109_104:
	global_load_i8 v0, v6, s[2:3]
	global_load_i8 v1, v5, s[4:5]
	;; [unrolled: 1-line block ×3, first 2 shown]
	s_wait_loadcnt 0x1
	v_max_i16 v0, v0, v1
	s_wait_loadcnt 0x0
	s_delay_alu instid0(VALU_DEP_1)
	v_min_i16 v0, v0, v2
	global_store_b8 v4, v0, s[0:1]
.LBB109_105:
	s_wait_xcnt 0x0
	s_or_b32 exec_lo, exec_lo, s17
                                        ; implicit-def: $vgpr5
                                        ; implicit-def: $vgpr0
.LBB109_106:
	s_and_not1_saveexec_b32 s0, s36
	s_cbranch_execz .LBB109_113
; %bb.107:
	v_cndmask_b32_e64 v10, 0, 1, s35
	s_and_not1_b32 vcc_lo, exec_lo, s35
	s_cbranch_vccnz .LBB109_114
; %bb.108:
	s_cmp_lg_u32 s33, 0
	s_mov_b32 s4, 0
	s_cbranch_scc0 .LBB109_118
; %bb.109:
	s_min_u32 s5, s34, 15
	v_dual_mov_b32 v4, 0 :: v_dual_mov_b32 v6, v0
	v_dual_mov_b32 v2, 0 :: v_dual_mov_b32 v1, 0
	v_mov_b32_e32 v3, 0
	s_add_co_i32 s2, s5, 1
	s_mov_b64 s[0:1], 0xffffffffffffffe0
	s_and_b32 s6, s2, 30
	s_add_nc_u64 s[0:1], s[20:21], s[0:1]
	s_mov_b64 s[2:3], s[20:21]
.LBB109_110:                            ; =>This Inner Loop Header: Depth=1
	s_clause 0x1
	s_load_b128 s[16:19], s[2:3], 0x4
	s_load_b64 s[22:23], s[2:3], 0x14
	s_load_b256 s[8:15], s[0:1], 0xe4
	s_add_co_i32 s6, s6, -2
	s_wait_xcnt 0x0
	s_add_nc_u64 s[2:3], s[2:3], 24
	s_cmp_lg_u32 s6, 0
	s_add_nc_u64 s[0:1], s[0:1], 32
	s_wait_kmcnt 0x0
	v_mul_hi_u32 v7, s17, v6
	s_delay_alu instid0(VALU_DEP_1) | instskip(NEXT) | instid1(VALU_DEP_1)
	v_add_nc_u32_e32 v7, v6, v7
	v_lshrrev_b32_e32 v7, s18, v7
	s_delay_alu instid0(VALU_DEP_1) | instskip(SKIP_1) | instid1(VALU_DEP_1)
	v_mul_hi_u32 v8, s22, v7
	v_mul_lo_u32 v9, v7, s16
	v_dual_add_nc_u32 v8, v7, v8 :: v_dual_sub_nc_u32 v9, v6, v9
	s_delay_alu instid0(VALU_DEP_1) | instskip(NEXT) | instid1(VALU_DEP_2)
	v_lshrrev_b32_e32 v6, s23, v8
	v_mad_u32 v3, v9, s9, v3
	v_mad_u32 v1, v9, s8, v1
	;; [unrolled: 1-line block ×4, first 2 shown]
	v_mul_lo_u32 v8, v6, s19
	s_delay_alu instid0(VALU_DEP_1) | instskip(NEXT) | instid1(VALU_DEP_1)
	v_sub_nc_u32_e32 v7, v7, v8
	v_mad_u32 v3, v7, s13, v3
	v_mad_u32 v1, v7, s12, v1
	;; [unrolled: 1-line block ×4, first 2 shown]
	s_cbranch_scc1 .LBB109_110
; %bb.111:
	s_bitcmp1_b32 s5, 0
	s_cselect_b32 s5, -1, 0
	s_delay_alu instid0(SALU_CYCLE_1)
	s_and_b32 vcc_lo, exec_lo, s5
	s_cbranch_vccnz .LBB109_115
; %bb.112:
	s_load_b96 s[12:14], s[2:3], 0x4
	s_load_b128 s[8:11], s[0:1], 0xe4
	s_wait_kmcnt 0x0
	v_mul_hi_u32 v7, s13, v6
	s_delay_alu instid0(VALU_DEP_1) | instskip(NEXT) | instid1(VALU_DEP_1)
	v_add_nc_u32_e32 v7, v6, v7
	v_lshrrev_b32_e32 v7, s14, v7
	s_delay_alu instid0(VALU_DEP_1) | instskip(NEXT) | instid1(VALU_DEP_1)
	v_mul_lo_u32 v7, v7, s12
	v_sub_nc_u32_e32 v6, v6, v7
	s_delay_alu instid0(VALU_DEP_1)
	v_mad_u32 v1, v6, s8, v1
	v_mad_u32 v3, v6, s9, v3
	;; [unrolled: 1-line block ×4, first 2 shown]
	s_and_not1_b32 vcc_lo, exec_lo, s4
	s_cbranch_vccz .LBB109_116
	s_branch .LBB109_119
.LBB109_113:
	s_endpgm
.LBB109_114:
	s_mov_b32 s4, -1
                                        ; implicit-def: $vgpr3
                                        ; implicit-def: $vgpr1
                                        ; implicit-def: $vgpr2
                                        ; implicit-def: $vgpr4
.LBB109_115:
	s_delay_alu instid0(SALU_CYCLE_1)
	s_and_not1_b32 vcc_lo, exec_lo, s4
	s_cbranch_vccnz .LBB109_119
.LBB109_116:
	s_clause 0x1
	s_load_b96 s[4:6], s[20:21], 0x4
	s_load_b128 s[0:3], s[20:21], 0xc4
	s_cmp_lt_u32 s33, 2
	s_wait_kmcnt 0x0
	v_mul_hi_u32 v1, s5, v0
	s_delay_alu instid0(VALU_DEP_1) | instskip(NEXT) | instid1(VALU_DEP_1)
	v_add_nc_u32_e32 v1, v0, v1
	v_lshrrev_b32_e32 v6, s6, v1
	s_delay_alu instid0(VALU_DEP_1) | instskip(NEXT) | instid1(VALU_DEP_1)
	v_mul_lo_u32 v1, v6, s4
	v_sub_nc_u32_e32 v4, v0, v1
	s_delay_alu instid0(VALU_DEP_1)
	v_mul_lo_u32 v3, v4, s1
	v_mul_lo_u32 v1, v4, s0
	;; [unrolled: 1-line block ×4, first 2 shown]
	s_cbranch_scc1 .LBB109_119
; %bb.117:
	s_clause 0x1
	s_load_b96 s[4:6], s[20:21], 0x10
	s_load_b128 s[0:3], s[20:21], 0xd4
	s_wait_kmcnt 0x0
	v_mul_hi_u32 v7, s5, v6
	s_delay_alu instid0(VALU_DEP_1) | instskip(NEXT) | instid1(VALU_DEP_1)
	v_add_nc_u32_e32 v7, v6, v7
	v_lshrrev_b32_e32 v7, s6, v7
	s_delay_alu instid0(VALU_DEP_1) | instskip(NEXT) | instid1(VALU_DEP_1)
	v_mul_lo_u32 v7, v7, s4
	v_sub_nc_u32_e32 v6, v6, v7
	s_delay_alu instid0(VALU_DEP_1)
	v_mad_u32 v1, v6, s0, v1
	v_mad_u32 v3, v6, s1, v3
	;; [unrolled: 1-line block ×4, first 2 shown]
	s_branch .LBB109_119
.LBB109_118:
	v_dual_mov_b32 v3, 0 :: v_dual_mov_b32 v1, 0
	v_dual_mov_b32 v2, 0 :: v_dual_mov_b32 v4, 0
	s_and_not1_b32 vcc_lo, exec_lo, s4
	s_cbranch_vccz .LBB109_116
.LBB109_119:
	v_cmp_ne_u32_e32 vcc_lo, 1, v10
	v_add_nc_u32_e32 v11, 0x80, v0
	s_cbranch_vccnz .LBB109_125
; %bb.120:
	s_cmp_lg_u32 s33, 0
	s_mov_b32 s4, 0
	s_cbranch_scc0 .LBB109_129
; %bb.121:
	s_min_u32 s5, s34, 15
	v_dual_mov_b32 v8, 0 :: v_dual_mov_b32 v12, v11
	v_dual_mov_b32 v7, 0 :: v_dual_mov_b32 v6, 0
	v_mov_b32_e32 v9, 0
	s_add_co_i32 s2, s5, 1
	s_mov_b64 s[0:1], 0xffffffffffffffe0
	s_and_b32 s6, s2, 30
	s_add_nc_u64 s[0:1], s[20:21], s[0:1]
	s_mov_b64 s[2:3], s[20:21]
.LBB109_122:                            ; =>This Inner Loop Header: Depth=1
	s_clause 0x1
	s_load_b128 s[16:19], s[2:3], 0x4
	s_load_b64 s[22:23], s[2:3], 0x14
	s_load_b256 s[8:15], s[0:1], 0xe4
	s_add_co_i32 s6, s6, -2
	s_wait_xcnt 0x0
	s_add_nc_u64 s[2:3], s[2:3], 24
	s_cmp_lg_u32 s6, 0
	s_add_nc_u64 s[0:1], s[0:1], 32
	s_wait_kmcnt 0x0
	v_mul_hi_u32 v13, s17, v12
	s_delay_alu instid0(VALU_DEP_1) | instskip(NEXT) | instid1(VALU_DEP_1)
	v_add_nc_u32_e32 v13, v12, v13
	v_lshrrev_b32_e32 v13, s18, v13
	s_delay_alu instid0(VALU_DEP_1) | instskip(SKIP_1) | instid1(VALU_DEP_1)
	v_mul_hi_u32 v14, s22, v13
	v_mul_lo_u32 v15, v13, s16
	v_dual_add_nc_u32 v14, v13, v14 :: v_dual_sub_nc_u32 v15, v12, v15
	s_delay_alu instid0(VALU_DEP_1) | instskip(NEXT) | instid1(VALU_DEP_2)
	v_lshrrev_b32_e32 v12, s23, v14
	v_mad_u32 v9, v15, s9, v9
	v_mad_u32 v6, v15, s8, v6
	v_mad_u32 v7, v15, s11, v7
	v_mad_u32 v8, v15, s10, v8
	v_mul_lo_u32 v14, v12, s19
	s_delay_alu instid0(VALU_DEP_1) | instskip(NEXT) | instid1(VALU_DEP_1)
	v_sub_nc_u32_e32 v13, v13, v14
	v_mad_u32 v9, v13, s13, v9
	v_mad_u32 v6, v13, s12, v6
	;; [unrolled: 1-line block ×4, first 2 shown]
	s_cbranch_scc1 .LBB109_122
; %bb.123:
	s_bitcmp1_b32 s5, 0
	s_cselect_b32 s5, -1, 0
	s_delay_alu instid0(SALU_CYCLE_1)
	s_and_b32 vcc_lo, exec_lo, s5
	s_cbranch_vccnz .LBB109_126
; %bb.124:
	s_load_b96 s[12:14], s[2:3], 0x4
	s_load_b128 s[8:11], s[0:1], 0xe4
	s_wait_kmcnt 0x0
	v_mul_hi_u32 v13, s13, v12
	s_delay_alu instid0(VALU_DEP_1) | instskip(NEXT) | instid1(VALU_DEP_1)
	v_add_nc_u32_e32 v13, v12, v13
	v_lshrrev_b32_e32 v13, s14, v13
	s_delay_alu instid0(VALU_DEP_1) | instskip(NEXT) | instid1(VALU_DEP_1)
	v_mul_lo_u32 v13, v13, s12
	v_sub_nc_u32_e32 v12, v12, v13
	s_delay_alu instid0(VALU_DEP_1)
	v_mad_u32 v6, v12, s8, v6
	v_mad_u32 v9, v12, s9, v9
	;; [unrolled: 1-line block ×4, first 2 shown]
	s_and_not1_b32 vcc_lo, exec_lo, s4
	s_cbranch_vccz .LBB109_127
	s_branch .LBB109_130
.LBB109_125:
	s_mov_b32 s4, -1
                                        ; implicit-def: $vgpr9
                                        ; implicit-def: $vgpr6
                                        ; implicit-def: $vgpr7
                                        ; implicit-def: $vgpr8
.LBB109_126:
	s_delay_alu instid0(SALU_CYCLE_1)
	s_and_not1_b32 vcc_lo, exec_lo, s4
	s_cbranch_vccnz .LBB109_130
.LBB109_127:
	s_clause 0x1
	s_load_b96 s[4:6], s[20:21], 0x4
	s_load_b128 s[0:3], s[20:21], 0xc4
	s_cmp_lt_u32 s33, 2
	s_wait_kmcnt 0x0
	v_mul_hi_u32 v6, s5, v11
	s_delay_alu instid0(VALU_DEP_1) | instskip(NEXT) | instid1(VALU_DEP_1)
	v_add_nc_u32_e32 v6, v11, v6
	v_lshrrev_b32_e32 v12, s6, v6
	s_delay_alu instid0(VALU_DEP_1) | instskip(NEXT) | instid1(VALU_DEP_1)
	v_mul_lo_u32 v6, v12, s4
	v_sub_nc_u32_e32 v8, v11, v6
	s_delay_alu instid0(VALU_DEP_1)
	v_mul_lo_u32 v9, v8, s1
	v_mul_lo_u32 v6, v8, s0
	;; [unrolled: 1-line block ×4, first 2 shown]
	s_cbranch_scc1 .LBB109_130
; %bb.128:
	s_clause 0x1
	s_load_b96 s[4:6], s[20:21], 0x10
	s_load_b128 s[0:3], s[20:21], 0xd4
	s_wait_kmcnt 0x0
	v_mul_hi_u32 v11, s5, v12
	s_delay_alu instid0(VALU_DEP_1) | instskip(NEXT) | instid1(VALU_DEP_1)
	v_add_nc_u32_e32 v11, v12, v11
	v_lshrrev_b32_e32 v11, s6, v11
	s_delay_alu instid0(VALU_DEP_1) | instskip(NEXT) | instid1(VALU_DEP_1)
	v_mul_lo_u32 v11, v11, s4
	v_sub_nc_u32_e32 v11, v12, v11
	s_delay_alu instid0(VALU_DEP_1)
	v_mad_u32 v6, v11, s0, v6
	v_mad_u32 v9, v11, s1, v9
	;; [unrolled: 1-line block ×4, first 2 shown]
	s_branch .LBB109_130
.LBB109_129:
	v_dual_mov_b32 v9, 0 :: v_dual_mov_b32 v6, 0
	v_dual_mov_b32 v7, 0 :: v_dual_mov_b32 v8, 0
	s_and_not1_b32 vcc_lo, exec_lo, s4
	s_cbranch_vccz .LBB109_127
.LBB109_130:
	v_cmp_ne_u32_e32 vcc_lo, 1, v10
	v_add_nc_u32_e32 v15, 0x100, v0
	s_cbranch_vccnz .LBB109_136
; %bb.131:
	s_cmp_lg_u32 s33, 0
	s_mov_b32 s4, 0
	s_cbranch_scc0 .LBB109_140
; %bb.132:
	s_min_u32 s5, s34, 15
	v_dual_mov_b32 v14, 0 :: v_dual_mov_b32 v16, v15
	v_dual_mov_b32 v12, 0 :: v_dual_mov_b32 v11, 0
	v_mov_b32_e32 v13, 0
	s_add_co_i32 s2, s5, 1
	s_mov_b64 s[0:1], 0xffffffffffffffe0
	s_and_b32 s6, s2, 30
	s_add_nc_u64 s[0:1], s[20:21], s[0:1]
	s_mov_b64 s[2:3], s[20:21]
.LBB109_133:                            ; =>This Inner Loop Header: Depth=1
	s_clause 0x1
	s_load_b128 s[16:19], s[2:3], 0x4
	s_load_b64 s[22:23], s[2:3], 0x14
	s_load_b256 s[8:15], s[0:1], 0xe4
	s_add_co_i32 s6, s6, -2
	s_wait_xcnt 0x0
	s_add_nc_u64 s[2:3], s[2:3], 24
	s_cmp_lg_u32 s6, 0
	s_add_nc_u64 s[0:1], s[0:1], 32
	s_wait_kmcnt 0x0
	v_mul_hi_u32 v17, s17, v16
	s_delay_alu instid0(VALU_DEP_1) | instskip(NEXT) | instid1(VALU_DEP_1)
	v_add_nc_u32_e32 v17, v16, v17
	v_lshrrev_b32_e32 v17, s18, v17
	s_delay_alu instid0(VALU_DEP_1) | instskip(SKIP_1) | instid1(VALU_DEP_1)
	v_mul_hi_u32 v18, s22, v17
	v_mul_lo_u32 v19, v17, s16
	v_dual_add_nc_u32 v18, v17, v18 :: v_dual_sub_nc_u32 v19, v16, v19
	s_delay_alu instid0(VALU_DEP_1) | instskip(NEXT) | instid1(VALU_DEP_2)
	v_lshrrev_b32_e32 v16, s23, v18
	v_mad_u32 v13, v19, s9, v13
	v_mad_u32 v11, v19, s8, v11
	;; [unrolled: 1-line block ×4, first 2 shown]
	v_mul_lo_u32 v18, v16, s19
	s_delay_alu instid0(VALU_DEP_1) | instskip(NEXT) | instid1(VALU_DEP_1)
	v_sub_nc_u32_e32 v17, v17, v18
	v_mad_u32 v13, v17, s13, v13
	v_mad_u32 v11, v17, s12, v11
	;; [unrolled: 1-line block ×4, first 2 shown]
	s_cbranch_scc1 .LBB109_133
; %bb.134:
	s_bitcmp1_b32 s5, 0
	s_cselect_b32 s5, -1, 0
	s_delay_alu instid0(SALU_CYCLE_1)
	s_and_b32 vcc_lo, exec_lo, s5
	s_cbranch_vccnz .LBB109_137
; %bb.135:
	s_load_b96 s[12:14], s[2:3], 0x4
	s_load_b128 s[8:11], s[0:1], 0xe4
	s_wait_kmcnt 0x0
	v_mul_hi_u32 v17, s13, v16
	s_delay_alu instid0(VALU_DEP_1) | instskip(NEXT) | instid1(VALU_DEP_1)
	v_add_nc_u32_e32 v17, v16, v17
	v_lshrrev_b32_e32 v17, s14, v17
	s_delay_alu instid0(VALU_DEP_1) | instskip(NEXT) | instid1(VALU_DEP_1)
	v_mul_lo_u32 v17, v17, s12
	v_sub_nc_u32_e32 v16, v16, v17
	s_delay_alu instid0(VALU_DEP_1)
	v_mad_u32 v11, v16, s8, v11
	v_mad_u32 v13, v16, s9, v13
	;; [unrolled: 1-line block ×4, first 2 shown]
	s_and_not1_b32 vcc_lo, exec_lo, s4
	s_cbranch_vccz .LBB109_138
	s_branch .LBB109_141
.LBB109_136:
	s_mov_b32 s4, -1
                                        ; implicit-def: $vgpr13
                                        ; implicit-def: $vgpr11
                                        ; implicit-def: $vgpr12
                                        ; implicit-def: $vgpr14
.LBB109_137:
	s_delay_alu instid0(SALU_CYCLE_1)
	s_and_not1_b32 vcc_lo, exec_lo, s4
	s_cbranch_vccnz .LBB109_141
.LBB109_138:
	s_clause 0x1
	s_load_b96 s[4:6], s[20:21], 0x4
	s_load_b128 s[0:3], s[20:21], 0xc4
	s_cmp_lt_u32 s33, 2
	s_wait_kmcnt 0x0
	v_mul_hi_u32 v11, s5, v15
	s_delay_alu instid0(VALU_DEP_1) | instskip(NEXT) | instid1(VALU_DEP_1)
	v_add_nc_u32_e32 v11, v15, v11
	v_lshrrev_b32_e32 v16, s6, v11
	s_delay_alu instid0(VALU_DEP_1) | instskip(NEXT) | instid1(VALU_DEP_1)
	v_mul_lo_u32 v11, v16, s4
	v_sub_nc_u32_e32 v14, v15, v11
	s_delay_alu instid0(VALU_DEP_1)
	v_mul_lo_u32 v13, v14, s1
	v_mul_lo_u32 v11, v14, s0
	;; [unrolled: 1-line block ×4, first 2 shown]
	s_cbranch_scc1 .LBB109_141
; %bb.139:
	s_clause 0x1
	s_load_b96 s[4:6], s[20:21], 0x10
	s_load_b128 s[0:3], s[20:21], 0xd4
	s_wait_kmcnt 0x0
	v_mul_hi_u32 v15, s5, v16
	s_delay_alu instid0(VALU_DEP_1) | instskip(NEXT) | instid1(VALU_DEP_1)
	v_add_nc_u32_e32 v15, v16, v15
	v_lshrrev_b32_e32 v15, s6, v15
	s_delay_alu instid0(VALU_DEP_1) | instskip(NEXT) | instid1(VALU_DEP_1)
	v_mul_lo_u32 v15, v15, s4
	v_sub_nc_u32_e32 v15, v16, v15
	s_delay_alu instid0(VALU_DEP_1)
	v_mad_u32 v11, v15, s0, v11
	v_mad_u32 v13, v15, s1, v13
	;; [unrolled: 1-line block ×4, first 2 shown]
	s_branch .LBB109_141
.LBB109_140:
	v_dual_mov_b32 v13, 0 :: v_dual_mov_b32 v11, 0
	v_dual_mov_b32 v12, 0 :: v_dual_mov_b32 v14, 0
	s_and_not1_b32 vcc_lo, exec_lo, s4
	s_cbranch_vccz .LBB109_138
.LBB109_141:
	v_cmp_ne_u32_e32 vcc_lo, 1, v10
	v_add_nc_u32_e32 v19, 0x180, v0
	s_cbranch_vccnz .LBB109_147
; %bb.142:
	s_cmp_lg_u32 s33, 0
	s_mov_b32 s4, 0
	s_cbranch_scc0 .LBB109_151
; %bb.143:
	s_min_u32 s5, s34, 15
	v_dual_mov_b32 v18, 0 :: v_dual_mov_b32 v20, v19
	v_dual_mov_b32 v16, 0 :: v_dual_mov_b32 v15, 0
	v_mov_b32_e32 v17, 0
	s_add_co_i32 s2, s5, 1
	s_mov_b64 s[0:1], 0xffffffffffffffe0
	s_and_b32 s6, s2, 30
	s_add_nc_u64 s[0:1], s[20:21], s[0:1]
	s_mov_b64 s[2:3], s[20:21]
.LBB109_144:                            ; =>This Inner Loop Header: Depth=1
	s_clause 0x1
	s_load_b128 s[16:19], s[2:3], 0x4
	s_load_b64 s[22:23], s[2:3], 0x14
	s_load_b256 s[8:15], s[0:1], 0xe4
	s_add_co_i32 s6, s6, -2
	s_wait_xcnt 0x0
	s_add_nc_u64 s[2:3], s[2:3], 24
	s_cmp_lg_u32 s6, 0
	s_add_nc_u64 s[0:1], s[0:1], 32
	s_wait_kmcnt 0x0
	v_mul_hi_u32 v21, s17, v20
	s_delay_alu instid0(VALU_DEP_1) | instskip(NEXT) | instid1(VALU_DEP_1)
	v_add_nc_u32_e32 v21, v20, v21
	v_lshrrev_b32_e32 v21, s18, v21
	s_delay_alu instid0(VALU_DEP_1) | instskip(SKIP_1) | instid1(VALU_DEP_1)
	v_mul_hi_u32 v22, s22, v21
	v_mul_lo_u32 v23, v21, s16
	v_dual_add_nc_u32 v22, v21, v22 :: v_dual_sub_nc_u32 v23, v20, v23
	s_delay_alu instid0(VALU_DEP_1) | instskip(NEXT) | instid1(VALU_DEP_2)
	v_lshrrev_b32_e32 v20, s23, v22
	v_mad_u32 v17, v23, s9, v17
	v_mad_u32 v15, v23, s8, v15
	;; [unrolled: 1-line block ×4, first 2 shown]
	v_mul_lo_u32 v22, v20, s19
	s_delay_alu instid0(VALU_DEP_1) | instskip(NEXT) | instid1(VALU_DEP_1)
	v_sub_nc_u32_e32 v21, v21, v22
	v_mad_u32 v17, v21, s13, v17
	v_mad_u32 v15, v21, s12, v15
	;; [unrolled: 1-line block ×4, first 2 shown]
	s_cbranch_scc1 .LBB109_144
; %bb.145:
	s_bitcmp1_b32 s5, 0
	s_cselect_b32 s5, -1, 0
	s_delay_alu instid0(SALU_CYCLE_1)
	s_and_b32 vcc_lo, exec_lo, s5
	s_cbranch_vccnz .LBB109_148
; %bb.146:
	s_load_b96 s[12:14], s[2:3], 0x4
	s_load_b128 s[8:11], s[0:1], 0xe4
	s_wait_kmcnt 0x0
	v_mul_hi_u32 v21, s13, v20
	s_delay_alu instid0(VALU_DEP_1) | instskip(NEXT) | instid1(VALU_DEP_1)
	v_add_nc_u32_e32 v21, v20, v21
	v_lshrrev_b32_e32 v21, s14, v21
	s_delay_alu instid0(VALU_DEP_1) | instskip(NEXT) | instid1(VALU_DEP_1)
	v_mul_lo_u32 v21, v21, s12
	v_sub_nc_u32_e32 v20, v20, v21
	s_delay_alu instid0(VALU_DEP_1)
	v_mad_u32 v15, v20, s8, v15
	v_mad_u32 v17, v20, s9, v17
	;; [unrolled: 1-line block ×4, first 2 shown]
	s_and_not1_b32 vcc_lo, exec_lo, s4
	s_cbranch_vccz .LBB109_149
	s_branch .LBB109_152
.LBB109_147:
	s_mov_b32 s4, -1
                                        ; implicit-def: $vgpr17
                                        ; implicit-def: $vgpr15
                                        ; implicit-def: $vgpr16
                                        ; implicit-def: $vgpr18
.LBB109_148:
	s_delay_alu instid0(SALU_CYCLE_1)
	s_and_not1_b32 vcc_lo, exec_lo, s4
	s_cbranch_vccnz .LBB109_152
.LBB109_149:
	s_clause 0x1
	s_load_b96 s[4:6], s[20:21], 0x4
	s_load_b128 s[0:3], s[20:21], 0xc4
	s_cmp_lt_u32 s33, 2
	s_wait_kmcnt 0x0
	v_mul_hi_u32 v15, s5, v19
	s_delay_alu instid0(VALU_DEP_1) | instskip(NEXT) | instid1(VALU_DEP_1)
	v_add_nc_u32_e32 v15, v19, v15
	v_lshrrev_b32_e32 v20, s6, v15
	s_delay_alu instid0(VALU_DEP_1) | instskip(NEXT) | instid1(VALU_DEP_1)
	v_mul_lo_u32 v15, v20, s4
	v_sub_nc_u32_e32 v18, v19, v15
	s_delay_alu instid0(VALU_DEP_1)
	v_mul_lo_u32 v17, v18, s1
	v_mul_lo_u32 v15, v18, s0
	v_mul_lo_u32 v16, v18, s3
	v_mul_lo_u32 v18, v18, s2
	s_cbranch_scc1 .LBB109_152
; %bb.150:
	s_clause 0x1
	s_load_b96 s[4:6], s[20:21], 0x10
	s_load_b128 s[0:3], s[20:21], 0xd4
	s_wait_kmcnt 0x0
	v_mul_hi_u32 v19, s5, v20
	s_delay_alu instid0(VALU_DEP_1) | instskip(NEXT) | instid1(VALU_DEP_1)
	v_add_nc_u32_e32 v19, v20, v19
	v_lshrrev_b32_e32 v19, s6, v19
	s_delay_alu instid0(VALU_DEP_1) | instskip(NEXT) | instid1(VALU_DEP_1)
	v_mul_lo_u32 v19, v19, s4
	v_sub_nc_u32_e32 v19, v20, v19
	s_delay_alu instid0(VALU_DEP_1)
	v_mad_u32 v15, v19, s0, v15
	v_mad_u32 v17, v19, s1, v17
	;; [unrolled: 1-line block ×4, first 2 shown]
	s_branch .LBB109_152
.LBB109_151:
	v_dual_mov_b32 v17, 0 :: v_dual_mov_b32 v15, 0
	v_dual_mov_b32 v16, 0 :: v_dual_mov_b32 v18, 0
	s_and_not1_b32 vcc_lo, exec_lo, s4
	s_cbranch_vccz .LBB109_149
.LBB109_152:
	v_cmp_ne_u32_e32 vcc_lo, 1, v10
	v_add_nc_u32_e32 v23, 0x200, v0
	s_cbranch_vccnz .LBB109_158
; %bb.153:
	s_cmp_lg_u32 s33, 0
	s_mov_b32 s4, 0
	s_cbranch_scc0 .LBB109_162
; %bb.154:
	s_min_u32 s5, s34, 15
	v_dual_mov_b32 v22, 0 :: v_dual_mov_b32 v24, v23
	v_dual_mov_b32 v20, 0 :: v_dual_mov_b32 v19, 0
	v_mov_b32_e32 v21, 0
	s_add_co_i32 s2, s5, 1
	s_mov_b64 s[0:1], 0xffffffffffffffe0
	s_and_b32 s6, s2, 30
	s_add_nc_u64 s[0:1], s[20:21], s[0:1]
	s_mov_b64 s[2:3], s[20:21]
.LBB109_155:                            ; =>This Inner Loop Header: Depth=1
	s_clause 0x1
	s_load_b128 s[16:19], s[2:3], 0x4
	s_load_b64 s[22:23], s[2:3], 0x14
	s_load_b256 s[8:15], s[0:1], 0xe4
	s_add_co_i32 s6, s6, -2
	s_wait_xcnt 0x0
	s_add_nc_u64 s[2:3], s[2:3], 24
	s_cmp_lg_u32 s6, 0
	s_add_nc_u64 s[0:1], s[0:1], 32
	s_wait_kmcnt 0x0
	v_mul_hi_u32 v25, s17, v24
	s_delay_alu instid0(VALU_DEP_1) | instskip(NEXT) | instid1(VALU_DEP_1)
	v_add_nc_u32_e32 v25, v24, v25
	v_lshrrev_b32_e32 v25, s18, v25
	s_delay_alu instid0(VALU_DEP_1) | instskip(SKIP_1) | instid1(VALU_DEP_1)
	v_mul_hi_u32 v26, s22, v25
	v_mul_lo_u32 v27, v25, s16
	v_dual_add_nc_u32 v26, v25, v26 :: v_dual_sub_nc_u32 v27, v24, v27
	s_delay_alu instid0(VALU_DEP_1) | instskip(NEXT) | instid1(VALU_DEP_2)
	v_lshrrev_b32_e32 v24, s23, v26
	v_mad_u32 v21, v27, s9, v21
	v_mad_u32 v19, v27, s8, v19
	;; [unrolled: 1-line block ×4, first 2 shown]
	v_mul_lo_u32 v26, v24, s19
	s_delay_alu instid0(VALU_DEP_1) | instskip(NEXT) | instid1(VALU_DEP_1)
	v_sub_nc_u32_e32 v25, v25, v26
	v_mad_u32 v21, v25, s13, v21
	v_mad_u32 v19, v25, s12, v19
	;; [unrolled: 1-line block ×4, first 2 shown]
	s_cbranch_scc1 .LBB109_155
; %bb.156:
	s_bitcmp1_b32 s5, 0
	s_cselect_b32 s5, -1, 0
	s_delay_alu instid0(SALU_CYCLE_1)
	s_and_b32 vcc_lo, exec_lo, s5
	s_cbranch_vccnz .LBB109_159
; %bb.157:
	s_load_b96 s[12:14], s[2:3], 0x4
	s_load_b128 s[8:11], s[0:1], 0xe4
	s_wait_kmcnt 0x0
	v_mul_hi_u32 v25, s13, v24
	s_delay_alu instid0(VALU_DEP_1) | instskip(NEXT) | instid1(VALU_DEP_1)
	v_add_nc_u32_e32 v25, v24, v25
	v_lshrrev_b32_e32 v25, s14, v25
	s_delay_alu instid0(VALU_DEP_1) | instskip(NEXT) | instid1(VALU_DEP_1)
	v_mul_lo_u32 v25, v25, s12
	v_sub_nc_u32_e32 v24, v24, v25
	s_delay_alu instid0(VALU_DEP_1)
	v_mad_u32 v19, v24, s8, v19
	v_mad_u32 v21, v24, s9, v21
	;; [unrolled: 1-line block ×4, first 2 shown]
	s_and_not1_b32 vcc_lo, exec_lo, s4
	s_cbranch_vccz .LBB109_160
	s_branch .LBB109_163
.LBB109_158:
	s_mov_b32 s4, -1
                                        ; implicit-def: $vgpr21
                                        ; implicit-def: $vgpr19
                                        ; implicit-def: $vgpr20
                                        ; implicit-def: $vgpr22
.LBB109_159:
	s_delay_alu instid0(SALU_CYCLE_1)
	s_and_not1_b32 vcc_lo, exec_lo, s4
	s_cbranch_vccnz .LBB109_163
.LBB109_160:
	s_clause 0x1
	s_load_b96 s[4:6], s[20:21], 0x4
	s_load_b128 s[0:3], s[20:21], 0xc4
	s_cmp_lt_u32 s33, 2
	s_wait_kmcnt 0x0
	v_mul_hi_u32 v19, s5, v23
	s_delay_alu instid0(VALU_DEP_1) | instskip(NEXT) | instid1(VALU_DEP_1)
	v_add_nc_u32_e32 v19, v23, v19
	v_lshrrev_b32_e32 v24, s6, v19
	s_delay_alu instid0(VALU_DEP_1) | instskip(NEXT) | instid1(VALU_DEP_1)
	v_mul_lo_u32 v19, v24, s4
	v_sub_nc_u32_e32 v22, v23, v19
	s_delay_alu instid0(VALU_DEP_1)
	v_mul_lo_u32 v21, v22, s1
	v_mul_lo_u32 v19, v22, s0
	;; [unrolled: 1-line block ×4, first 2 shown]
	s_cbranch_scc1 .LBB109_163
; %bb.161:
	s_clause 0x1
	s_load_b96 s[4:6], s[20:21], 0x10
	s_load_b128 s[0:3], s[20:21], 0xd4
	s_wait_kmcnt 0x0
	v_mul_hi_u32 v23, s5, v24
	s_delay_alu instid0(VALU_DEP_1) | instskip(NEXT) | instid1(VALU_DEP_1)
	v_add_nc_u32_e32 v23, v24, v23
	v_lshrrev_b32_e32 v23, s6, v23
	s_delay_alu instid0(VALU_DEP_1) | instskip(NEXT) | instid1(VALU_DEP_1)
	v_mul_lo_u32 v23, v23, s4
	v_sub_nc_u32_e32 v23, v24, v23
	s_delay_alu instid0(VALU_DEP_1)
	v_mad_u32 v19, v23, s0, v19
	v_mad_u32 v21, v23, s1, v21
	;; [unrolled: 1-line block ×4, first 2 shown]
	s_branch .LBB109_163
.LBB109_162:
	v_dual_mov_b32 v21, 0 :: v_dual_mov_b32 v19, 0
	v_dual_mov_b32 v20, 0 :: v_dual_mov_b32 v22, 0
	s_and_not1_b32 vcc_lo, exec_lo, s4
	s_cbranch_vccz .LBB109_160
.LBB109_163:
	v_cmp_ne_u32_e32 vcc_lo, 1, v10
	v_add_nc_u32_e32 v27, 0x280, v0
	s_cbranch_vccnz .LBB109_169
; %bb.164:
	s_cmp_lg_u32 s33, 0
	s_mov_b32 s4, 0
	s_cbranch_scc0 .LBB109_173
; %bb.165:
	s_min_u32 s5, s34, 15
	v_dual_mov_b32 v25, 0 :: v_dual_mov_b32 v28, v27
	v_dual_mov_b32 v24, 0 :: v_dual_mov_b32 v23, 0
	v_mov_b32_e32 v26, 0
	s_add_co_i32 s2, s5, 1
	s_mov_b64 s[0:1], 0xffffffffffffffe0
	s_and_b32 s6, s2, 30
	s_add_nc_u64 s[0:1], s[20:21], s[0:1]
	s_mov_b64 s[2:3], s[20:21]
.LBB109_166:                            ; =>This Inner Loop Header: Depth=1
	s_clause 0x1
	s_load_b128 s[16:19], s[2:3], 0x4
	s_load_b64 s[22:23], s[2:3], 0x14
	s_load_b256 s[8:15], s[0:1], 0xe4
	s_add_co_i32 s6, s6, -2
	s_wait_xcnt 0x0
	s_add_nc_u64 s[2:3], s[2:3], 24
	s_cmp_lg_u32 s6, 0
	s_add_nc_u64 s[0:1], s[0:1], 32
	s_wait_kmcnt 0x0
	v_mul_hi_u32 v29, s17, v28
	s_delay_alu instid0(VALU_DEP_1) | instskip(NEXT) | instid1(VALU_DEP_1)
	v_add_nc_u32_e32 v29, v28, v29
	v_lshrrev_b32_e32 v29, s18, v29
	s_delay_alu instid0(VALU_DEP_1) | instskip(SKIP_1) | instid1(VALU_DEP_1)
	v_mul_hi_u32 v30, s22, v29
	v_mul_lo_u32 v31, v29, s16
	v_dual_add_nc_u32 v30, v29, v30 :: v_dual_sub_nc_u32 v31, v28, v31
	s_delay_alu instid0(VALU_DEP_1) | instskip(NEXT) | instid1(VALU_DEP_2)
	v_lshrrev_b32_e32 v28, s23, v30
	v_mad_u32 v26, v31, s9, v26
	v_mad_u32 v23, v31, s8, v23
	;; [unrolled: 1-line block ×4, first 2 shown]
	v_mul_lo_u32 v30, v28, s19
	s_delay_alu instid0(VALU_DEP_1) | instskip(NEXT) | instid1(VALU_DEP_1)
	v_sub_nc_u32_e32 v29, v29, v30
	v_mad_u32 v26, v29, s13, v26
	v_mad_u32 v23, v29, s12, v23
	v_mad_u32 v24, v29, s15, v24
	v_mad_u32 v25, v29, s14, v25
	s_cbranch_scc1 .LBB109_166
; %bb.167:
	s_bitcmp1_b32 s5, 0
	s_cselect_b32 s5, -1, 0
	s_delay_alu instid0(SALU_CYCLE_1)
	s_and_b32 vcc_lo, exec_lo, s5
	s_cbranch_vccnz .LBB109_170
; %bb.168:
	s_load_b96 s[12:14], s[2:3], 0x4
	s_load_b128 s[8:11], s[0:1], 0xe4
	s_wait_kmcnt 0x0
	v_mul_hi_u32 v29, s13, v28
	s_delay_alu instid0(VALU_DEP_1) | instskip(NEXT) | instid1(VALU_DEP_1)
	v_add_nc_u32_e32 v29, v28, v29
	v_lshrrev_b32_e32 v29, s14, v29
	s_delay_alu instid0(VALU_DEP_1) | instskip(NEXT) | instid1(VALU_DEP_1)
	v_mul_lo_u32 v29, v29, s12
	v_sub_nc_u32_e32 v28, v28, v29
	s_delay_alu instid0(VALU_DEP_1)
	v_mad_u32 v23, v28, s8, v23
	v_mad_u32 v26, v28, s9, v26
	v_mad_u32 v25, v28, s10, v25
	v_mad_u32 v24, v28, s11, v24
	s_and_not1_b32 vcc_lo, exec_lo, s4
	s_cbranch_vccz .LBB109_171
	s_branch .LBB109_174
.LBB109_169:
	s_mov_b32 s4, -1
                                        ; implicit-def: $vgpr26
                                        ; implicit-def: $vgpr23
                                        ; implicit-def: $vgpr24
                                        ; implicit-def: $vgpr25
.LBB109_170:
	s_delay_alu instid0(SALU_CYCLE_1)
	s_and_not1_b32 vcc_lo, exec_lo, s4
	s_cbranch_vccnz .LBB109_174
.LBB109_171:
	s_clause 0x1
	s_load_b96 s[4:6], s[20:21], 0x4
	s_load_b128 s[0:3], s[20:21], 0xc4
	s_cmp_lt_u32 s33, 2
	s_wait_kmcnt 0x0
	v_mul_hi_u32 v23, s5, v27
	s_delay_alu instid0(VALU_DEP_1) | instskip(NEXT) | instid1(VALU_DEP_1)
	v_add_nc_u32_e32 v23, v27, v23
	v_lshrrev_b32_e32 v28, s6, v23
	s_delay_alu instid0(VALU_DEP_1) | instskip(NEXT) | instid1(VALU_DEP_1)
	v_mul_lo_u32 v23, v28, s4
	v_sub_nc_u32_e32 v25, v27, v23
	s_delay_alu instid0(VALU_DEP_1)
	v_mul_lo_u32 v26, v25, s1
	v_mul_lo_u32 v23, v25, s0
	;; [unrolled: 1-line block ×4, first 2 shown]
	s_cbranch_scc1 .LBB109_174
; %bb.172:
	s_clause 0x1
	s_load_b96 s[4:6], s[20:21], 0x10
	s_load_b128 s[0:3], s[20:21], 0xd4
	s_wait_kmcnt 0x0
	v_mul_hi_u32 v27, s5, v28
	s_delay_alu instid0(VALU_DEP_1) | instskip(NEXT) | instid1(VALU_DEP_1)
	v_add_nc_u32_e32 v27, v28, v27
	v_lshrrev_b32_e32 v27, s6, v27
	s_delay_alu instid0(VALU_DEP_1) | instskip(NEXT) | instid1(VALU_DEP_1)
	v_mul_lo_u32 v27, v27, s4
	v_sub_nc_u32_e32 v27, v28, v27
	s_delay_alu instid0(VALU_DEP_1)
	v_mad_u32 v23, v27, s0, v23
	v_mad_u32 v26, v27, s1, v26
	;; [unrolled: 1-line block ×4, first 2 shown]
	s_branch .LBB109_174
.LBB109_173:
	v_dual_mov_b32 v26, 0 :: v_dual_mov_b32 v23, 0
	v_dual_mov_b32 v24, 0 :: v_dual_mov_b32 v25, 0
	s_and_not1_b32 vcc_lo, exec_lo, s4
	s_cbranch_vccz .LBB109_171
.LBB109_174:
	v_cmp_ne_u32_e32 vcc_lo, 1, v10
	v_add_nc_u32_e32 v30, 0x300, v0
	s_cbranch_vccnz .LBB109_180
; %bb.175:
	s_cmp_lg_u32 s33, 0
	s_mov_b32 s4, 0
	s_cbranch_scc0 .LBB109_184
; %bb.176:
	s_min_u32 s5, s34, 15
	v_dual_mov_b32 v29, 0 :: v_dual_mov_b32 v31, v30
	v_dual_mov_b32 v27, 0 :: v_dual_mov_b32 v0, 0
	v_mov_b32_e32 v28, 0
	s_add_co_i32 s2, s5, 1
	s_mov_b64 s[0:1], 0xffffffffffffffe0
	s_and_b32 s6, s2, 30
	s_add_nc_u64 s[0:1], s[20:21], s[0:1]
	s_mov_b64 s[2:3], s[20:21]
.LBB109_177:                            ; =>This Inner Loop Header: Depth=1
	s_clause 0x1
	s_load_b128 s[16:19], s[2:3], 0x4
	s_load_b64 s[22:23], s[2:3], 0x14
	s_load_b256 s[8:15], s[0:1], 0xe4
	s_add_co_i32 s6, s6, -2
	s_wait_xcnt 0x0
	s_add_nc_u64 s[2:3], s[2:3], 24
	s_cmp_lg_u32 s6, 0
	s_add_nc_u64 s[0:1], s[0:1], 32
	s_wait_kmcnt 0x0
	v_mul_hi_u32 v32, s17, v31
	s_delay_alu instid0(VALU_DEP_1) | instskip(NEXT) | instid1(VALU_DEP_1)
	v_add_nc_u32_e32 v32, v31, v32
	v_lshrrev_b32_e32 v32, s18, v32
	s_delay_alu instid0(VALU_DEP_1) | instskip(SKIP_1) | instid1(VALU_DEP_1)
	v_mul_hi_u32 v33, s22, v32
	v_mul_lo_u32 v34, v32, s16
	v_dual_add_nc_u32 v33, v32, v33 :: v_dual_sub_nc_u32 v34, v31, v34
	s_delay_alu instid0(VALU_DEP_1) | instskip(NEXT) | instid1(VALU_DEP_2)
	v_lshrrev_b32_e32 v31, s23, v33
	v_mad_u32 v28, v34, s9, v28
	v_mad_u32 v0, v34, s8, v0
	;; [unrolled: 1-line block ×4, first 2 shown]
	v_mul_lo_u32 v33, v31, s19
	s_delay_alu instid0(VALU_DEP_1) | instskip(NEXT) | instid1(VALU_DEP_1)
	v_sub_nc_u32_e32 v32, v32, v33
	v_mad_u32 v28, v32, s13, v28
	v_mad_u32 v0, v32, s12, v0
	;; [unrolled: 1-line block ×4, first 2 shown]
	s_cbranch_scc1 .LBB109_177
; %bb.178:
	s_bitcmp1_b32 s5, 0
	s_cselect_b32 s5, -1, 0
	s_delay_alu instid0(SALU_CYCLE_1)
	s_and_b32 vcc_lo, exec_lo, s5
	s_cbranch_vccnz .LBB109_181
; %bb.179:
	s_load_b96 s[12:14], s[2:3], 0x4
	s_load_b128 s[8:11], s[0:1], 0xe4
	s_wait_kmcnt 0x0
	v_mul_hi_u32 v32, s13, v31
	s_delay_alu instid0(VALU_DEP_1) | instskip(NEXT) | instid1(VALU_DEP_1)
	v_add_nc_u32_e32 v32, v31, v32
	v_lshrrev_b32_e32 v32, s14, v32
	s_delay_alu instid0(VALU_DEP_1) | instskip(NEXT) | instid1(VALU_DEP_1)
	v_mul_lo_u32 v32, v32, s12
	v_sub_nc_u32_e32 v31, v31, v32
	s_delay_alu instid0(VALU_DEP_1)
	v_mad_u32 v0, v31, s8, v0
	v_mad_u32 v28, v31, s9, v28
	v_mad_u32 v29, v31, s10, v29
	v_mad_u32 v27, v31, s11, v27
	s_and_not1_b32 vcc_lo, exec_lo, s4
	s_cbranch_vccz .LBB109_182
	s_branch .LBB109_185
.LBB109_180:
	s_mov_b32 s4, -1
                                        ; implicit-def: $vgpr28
                                        ; implicit-def: $vgpr0
                                        ; implicit-def: $vgpr27
                                        ; implicit-def: $vgpr29
.LBB109_181:
	s_delay_alu instid0(SALU_CYCLE_1)
	s_and_not1_b32 vcc_lo, exec_lo, s4
	s_cbranch_vccnz .LBB109_185
.LBB109_182:
	s_clause 0x1
	s_load_b96 s[4:6], s[20:21], 0x4
	s_load_b128 s[0:3], s[20:21], 0xc4
	s_cmp_lt_u32 s33, 2
	s_wait_kmcnt 0x0
	v_mul_hi_u32 v0, s5, v30
	s_delay_alu instid0(VALU_DEP_1) | instskip(NEXT) | instid1(VALU_DEP_1)
	v_add_nc_u32_e32 v0, v30, v0
	v_lshrrev_b32_e32 v31, s6, v0
	s_delay_alu instid0(VALU_DEP_1) | instskip(NEXT) | instid1(VALU_DEP_1)
	v_mul_lo_u32 v0, v31, s4
	v_sub_nc_u32_e32 v29, v30, v0
	s_delay_alu instid0(VALU_DEP_1)
	v_mul_lo_u32 v28, v29, s1
	v_mul_lo_u32 v0, v29, s0
	;; [unrolled: 1-line block ×4, first 2 shown]
	s_cbranch_scc1 .LBB109_185
; %bb.183:
	s_clause 0x1
	s_load_b96 s[4:6], s[20:21], 0x10
	s_load_b128 s[0:3], s[20:21], 0xd4
	s_wait_kmcnt 0x0
	v_mul_hi_u32 v30, s5, v31
	s_delay_alu instid0(VALU_DEP_1) | instskip(NEXT) | instid1(VALU_DEP_1)
	v_add_nc_u32_e32 v30, v31, v30
	v_lshrrev_b32_e32 v30, s6, v30
	s_delay_alu instid0(VALU_DEP_1) | instskip(NEXT) | instid1(VALU_DEP_1)
	v_mul_lo_u32 v30, v30, s4
	v_sub_nc_u32_e32 v30, v31, v30
	s_delay_alu instid0(VALU_DEP_1)
	v_mad_u32 v0, v30, s0, v0
	v_mad_u32 v28, v30, s1, v28
	;; [unrolled: 1-line block ×4, first 2 shown]
	s_branch .LBB109_185
.LBB109_184:
	v_dual_mov_b32 v28, 0 :: v_dual_mov_b32 v0, 0
	v_dual_mov_b32 v27, 0 :: v_dual_mov_b32 v29, 0
	s_and_not1_b32 vcc_lo, exec_lo, s4
	s_cbranch_vccz .LBB109_182
.LBB109_185:
	v_cmp_ne_u32_e32 vcc_lo, 1, v10
	s_cbranch_vccnz .LBB109_191
; %bb.186:
	s_cmp_lg_u32 s33, 0
	s_mov_b32 s4, 0
	s_cbranch_scc0 .LBB109_195
; %bb.187:
	s_min_u32 s5, s34, 15
	v_dual_mov_b32 v31, 0 :: v_dual_mov_b32 v33, v5
	v_dual_mov_b32 v30, 0 :: v_dual_mov_b32 v10, 0
	v_mov_b32_e32 v32, 0
	s_add_co_i32 s2, s5, 1
	s_mov_b64 s[0:1], 0xffffffffffffffe0
	s_and_b32 s6, s2, 30
	s_add_nc_u64 s[0:1], s[20:21], s[0:1]
	s_mov_b64 s[2:3], s[20:21]
.LBB109_188:                            ; =>This Inner Loop Header: Depth=1
	s_clause 0x1
	s_load_b128 s[16:19], s[2:3], 0x4
	s_load_b64 s[22:23], s[2:3], 0x14
	s_load_b256 s[8:15], s[0:1], 0xe4
	s_add_co_i32 s6, s6, -2
	s_wait_xcnt 0x0
	s_add_nc_u64 s[2:3], s[2:3], 24
	s_cmp_lg_u32 s6, 0
	s_add_nc_u64 s[0:1], s[0:1], 32
	s_wait_kmcnt 0x0
	v_mul_hi_u32 v34, s17, v33
	s_delay_alu instid0(VALU_DEP_1) | instskip(NEXT) | instid1(VALU_DEP_1)
	v_add_nc_u32_e32 v34, v33, v34
	v_lshrrev_b32_e32 v34, s18, v34
	s_delay_alu instid0(VALU_DEP_1) | instskip(SKIP_1) | instid1(VALU_DEP_1)
	v_mul_hi_u32 v35, s22, v34
	v_mul_lo_u32 v36, v34, s16
	v_dual_add_nc_u32 v35, v34, v35 :: v_dual_sub_nc_u32 v36, v33, v36
	s_delay_alu instid0(VALU_DEP_1) | instskip(NEXT) | instid1(VALU_DEP_2)
	v_lshrrev_b32_e32 v33, s23, v35
	v_mad_u32 v32, v36, s9, v32
	v_mad_u32 v10, v36, s8, v10
	;; [unrolled: 1-line block ×4, first 2 shown]
	v_mul_lo_u32 v35, v33, s19
	s_delay_alu instid0(VALU_DEP_1) | instskip(NEXT) | instid1(VALU_DEP_1)
	v_sub_nc_u32_e32 v34, v34, v35
	v_mad_u32 v32, v34, s13, v32
	v_mad_u32 v10, v34, s12, v10
	v_mad_u32 v30, v34, s15, v30
	v_mad_u32 v31, v34, s14, v31
	s_cbranch_scc1 .LBB109_188
; %bb.189:
	s_bitcmp1_b32 s5, 0
	s_cselect_b32 s5, -1, 0
	s_delay_alu instid0(SALU_CYCLE_1)
	s_and_b32 vcc_lo, exec_lo, s5
	s_cbranch_vccnz .LBB109_192
; %bb.190:
	s_load_b96 s[12:14], s[2:3], 0x4
	s_load_b128 s[8:11], s[0:1], 0xe4
	s_wait_kmcnt 0x0
	v_mul_hi_u32 v34, s13, v33
	s_delay_alu instid0(VALU_DEP_1) | instskip(NEXT) | instid1(VALU_DEP_1)
	v_add_nc_u32_e32 v34, v33, v34
	v_lshrrev_b32_e32 v34, s14, v34
	s_delay_alu instid0(VALU_DEP_1) | instskip(NEXT) | instid1(VALU_DEP_1)
	v_mul_lo_u32 v34, v34, s12
	v_sub_nc_u32_e32 v33, v33, v34
	s_delay_alu instid0(VALU_DEP_1)
	v_mad_u32 v10, v33, s8, v10
	v_mad_u32 v32, v33, s9, v32
	;; [unrolled: 1-line block ×4, first 2 shown]
	s_and_not1_b32 vcc_lo, exec_lo, s4
	s_cbranch_vccz .LBB109_193
	s_branch .LBB109_196
.LBB109_191:
	s_mov_b32 s4, -1
                                        ; implicit-def: $vgpr32
                                        ; implicit-def: $vgpr10
                                        ; implicit-def: $vgpr30
                                        ; implicit-def: $vgpr31
.LBB109_192:
	s_delay_alu instid0(SALU_CYCLE_1)
	s_and_not1_b32 vcc_lo, exec_lo, s4
	s_cbranch_vccnz .LBB109_196
.LBB109_193:
	s_clause 0x1
	s_load_b96 s[4:6], s[20:21], 0x4
	s_load_b128 s[0:3], s[20:21], 0xc4
	s_cmp_lt_u32 s33, 2
	s_wait_kmcnt 0x0
	v_mul_hi_u32 v10, s5, v5
	s_delay_alu instid0(VALU_DEP_1) | instskip(NEXT) | instid1(VALU_DEP_1)
	v_add_nc_u32_e32 v10, v5, v10
	v_lshrrev_b32_e32 v33, s6, v10
	s_delay_alu instid0(VALU_DEP_1) | instskip(NEXT) | instid1(VALU_DEP_1)
	v_mul_lo_u32 v10, v33, s4
	v_sub_nc_u32_e32 v5, v5, v10
	s_delay_alu instid0(VALU_DEP_1)
	v_mul_lo_u32 v32, v5, s1
	v_mul_lo_u32 v10, v5, s0
	;; [unrolled: 1-line block ×4, first 2 shown]
	s_cbranch_scc1 .LBB109_196
; %bb.194:
	s_clause 0x1
	s_load_b96 s[4:6], s[20:21], 0x10
	s_load_b128 s[0:3], s[20:21], 0xd4
	s_wait_kmcnt 0x0
	v_mul_hi_u32 v5, s5, v33
	s_delay_alu instid0(VALU_DEP_1) | instskip(NEXT) | instid1(VALU_DEP_1)
	v_add_nc_u32_e32 v5, v33, v5
	v_lshrrev_b32_e32 v5, s6, v5
	s_delay_alu instid0(VALU_DEP_1) | instskip(NEXT) | instid1(VALU_DEP_1)
	v_mul_lo_u32 v5, v5, s4
	v_sub_nc_u32_e32 v5, v33, v5
	s_delay_alu instid0(VALU_DEP_1)
	v_mad_u32 v10, v5, s0, v10
	v_mad_u32 v32, v5, s1, v32
	;; [unrolled: 1-line block ×4, first 2 shown]
	s_branch .LBB109_196
.LBB109_195:
	v_dual_mov_b32 v32, 0 :: v_dual_mov_b32 v10, 0
	v_dual_mov_b32 v30, 0 :: v_dual_mov_b32 v31, 0
	s_and_not1_b32 vcc_lo, exec_lo, s4
	s_cbranch_vccz .LBB109_193
.LBB109_196:
	s_load_b256 s[0:7], s[20:21], 0x1c8
	s_wait_kmcnt 0x0
	global_load_i8 v5, v3, s[2:3]
	global_load_i8 v33, v4, s[4:5]
	;; [unrolled: 1-line block ×15, first 2 shown]
                                        ; kill: killed $vgpr29
                                        ; kill: killed $vgpr26
                                        ; kill: killed $vgpr14
                                        ; kill: killed $vgpr9
                                        ; kill: killed $vgpr28
                                        ; kill: killed $vgpr18
                                        ; kill: killed $vgpr13
                                        ; kill: killed $sgpr2_sgpr3
                                        ; kill: killed $vgpr32
                                        ; kill: killed $vgpr22
                                        ; kill: killed $vgpr17
                                        ; kill: killed $vgpr4
                                        ; kill: killed $vgpr25
                                        ; kill: killed $vgpr21
                                        ; kill: killed $vgpr8
                                        ; kill: killed $vgpr3
	global_load_i8 v3, v31, s[4:5]
	s_clause 0x7
	global_load_i8 v4, v2, s[6:7]
	global_load_i8 v8, v7, s[6:7]
	;; [unrolled: 1-line block ×8, first 2 shown]
	s_wait_loadcnt 0x16
	s_wait_xcnt 0x7
	v_max_i16 v2, v5, v33
	s_wait_loadcnt 0x14
	v_max_i16 v5, v34, v35
	s_wait_loadcnt 0x12
	s_wait_xcnt 0x6
	v_max_i16 v7, v36, v37
	s_wait_loadcnt 0x10
	s_wait_xcnt 0x5
	;; [unrolled: 3-line block ×4, first 2 shown]
	v_max_i16 v20, v42, v43
	s_wait_loadcnt 0xa
	v_max_i16 v22, v44, v45
	s_wait_loadcnt 0x8
	;; [unrolled: 2-line block ×3, first 2 shown]
	v_min_i16 v2, v2, v4
	s_wait_loadcnt 0x6
	v_min_i16 v4, v5, v8
	s_wait_loadcnt 0x5
	v_min_i16 v5, v7, v9
	s_wait_loadcnt 0x4
	v_min_i16 v7, v12, v13
	s_wait_loadcnt 0x3
	v_min_i16 v8, v16, v14
	s_wait_loadcnt 0x2
	v_min_i16 v9, v20, v17
	s_wait_loadcnt 0x1
	v_min_i16 v12, v22, v18
	s_wait_loadcnt 0x0
	v_min_i16 v3, v3, v21
	s_clause 0x7
	global_store_b8 v1, v2, s[0:1]
	global_store_b8 v6, v4, s[0:1]
	;; [unrolled: 1-line block ×8, first 2 shown]
	s_endpgm
	.section	.rodata,"a",@progbits
	.p2align	6, 0x0
	.amdhsa_kernel _ZN2at6native32elementwise_kernel_manual_unrollILi128ELi8EZNS0_22gpu_kernel_impl_nocastIZZZNS0_12_GLOBAL__N_117clamp_kernel_implERNS_18TensorIteratorBaseEENKUlvE_clEvENKUlvE0_clEvEUlaaaE_EEvS5_RKT_EUlibE_EEviT1_
		.amdhsa_group_segment_fixed_size 0
		.amdhsa_private_segment_fixed_size 0
		.amdhsa_kernarg_size 504
		.amdhsa_user_sgpr_count 2
		.amdhsa_user_sgpr_dispatch_ptr 0
		.amdhsa_user_sgpr_queue_ptr 0
		.amdhsa_user_sgpr_kernarg_segment_ptr 1
		.amdhsa_user_sgpr_dispatch_id 0
		.amdhsa_user_sgpr_kernarg_preload_length 0
		.amdhsa_user_sgpr_kernarg_preload_offset 0
		.amdhsa_user_sgpr_private_segment_size 0
		.amdhsa_wavefront_size32 1
		.amdhsa_uses_dynamic_stack 0
		.amdhsa_enable_private_segment 0
		.amdhsa_system_sgpr_workgroup_id_x 1
		.amdhsa_system_sgpr_workgroup_id_y 0
		.amdhsa_system_sgpr_workgroup_id_z 0
		.amdhsa_system_sgpr_workgroup_info 0
		.amdhsa_system_vgpr_workitem_id 0
		.amdhsa_next_free_vgpr 47
		.amdhsa_next_free_sgpr 56
		.amdhsa_named_barrier_count 0
		.amdhsa_reserve_vcc 1
		.amdhsa_float_round_mode_32 0
		.amdhsa_float_round_mode_16_64 0
		.amdhsa_float_denorm_mode_32 3
		.amdhsa_float_denorm_mode_16_64 3
		.amdhsa_fp16_overflow 0
		.amdhsa_memory_ordered 1
		.amdhsa_forward_progress 1
		.amdhsa_inst_pref_size 90
		.amdhsa_round_robin_scheduling 0
		.amdhsa_exception_fp_ieee_invalid_op 0
		.amdhsa_exception_fp_denorm_src 0
		.amdhsa_exception_fp_ieee_div_zero 0
		.amdhsa_exception_fp_ieee_overflow 0
		.amdhsa_exception_fp_ieee_underflow 0
		.amdhsa_exception_fp_ieee_inexact 0
		.amdhsa_exception_int_div_zero 0
	.end_amdhsa_kernel
	.section	.text._ZN2at6native32elementwise_kernel_manual_unrollILi128ELi8EZNS0_22gpu_kernel_impl_nocastIZZZNS0_12_GLOBAL__N_117clamp_kernel_implERNS_18TensorIteratorBaseEENKUlvE_clEvENKUlvE0_clEvEUlaaaE_EEvS5_RKT_EUlibE_EEviT1_,"axG",@progbits,_ZN2at6native32elementwise_kernel_manual_unrollILi128ELi8EZNS0_22gpu_kernel_impl_nocastIZZZNS0_12_GLOBAL__N_117clamp_kernel_implERNS_18TensorIteratorBaseEENKUlvE_clEvENKUlvE0_clEvEUlaaaE_EEvS5_RKT_EUlibE_EEviT1_,comdat
.Lfunc_end109:
	.size	_ZN2at6native32elementwise_kernel_manual_unrollILi128ELi8EZNS0_22gpu_kernel_impl_nocastIZZZNS0_12_GLOBAL__N_117clamp_kernel_implERNS_18TensorIteratorBaseEENKUlvE_clEvENKUlvE0_clEvEUlaaaE_EEvS5_RKT_EUlibE_EEviT1_, .Lfunc_end109-_ZN2at6native32elementwise_kernel_manual_unrollILi128ELi8EZNS0_22gpu_kernel_impl_nocastIZZZNS0_12_GLOBAL__N_117clamp_kernel_implERNS_18TensorIteratorBaseEENKUlvE_clEvENKUlvE0_clEvEUlaaaE_EEvS5_RKT_EUlibE_EEviT1_
                                        ; -- End function
	.set _ZN2at6native32elementwise_kernel_manual_unrollILi128ELi8EZNS0_22gpu_kernel_impl_nocastIZZZNS0_12_GLOBAL__N_117clamp_kernel_implERNS_18TensorIteratorBaseEENKUlvE_clEvENKUlvE0_clEvEUlaaaE_EEvS5_RKT_EUlibE_EEviT1_.num_vgpr, 47
	.set _ZN2at6native32elementwise_kernel_manual_unrollILi128ELi8EZNS0_22gpu_kernel_impl_nocastIZZZNS0_12_GLOBAL__N_117clamp_kernel_implERNS_18TensorIteratorBaseEENKUlvE_clEvENKUlvE0_clEvEUlaaaE_EEvS5_RKT_EUlibE_EEviT1_.num_agpr, 0
	.set _ZN2at6native32elementwise_kernel_manual_unrollILi128ELi8EZNS0_22gpu_kernel_impl_nocastIZZZNS0_12_GLOBAL__N_117clamp_kernel_implERNS_18TensorIteratorBaseEENKUlvE_clEvENKUlvE0_clEvEUlaaaE_EEvS5_RKT_EUlibE_EEviT1_.numbered_sgpr, 56
	.set _ZN2at6native32elementwise_kernel_manual_unrollILi128ELi8EZNS0_22gpu_kernel_impl_nocastIZZZNS0_12_GLOBAL__N_117clamp_kernel_implERNS_18TensorIteratorBaseEENKUlvE_clEvENKUlvE0_clEvEUlaaaE_EEvS5_RKT_EUlibE_EEviT1_.num_named_barrier, 0
	.set _ZN2at6native32elementwise_kernel_manual_unrollILi128ELi8EZNS0_22gpu_kernel_impl_nocastIZZZNS0_12_GLOBAL__N_117clamp_kernel_implERNS_18TensorIteratorBaseEENKUlvE_clEvENKUlvE0_clEvEUlaaaE_EEvS5_RKT_EUlibE_EEviT1_.private_seg_size, 0
	.set _ZN2at6native32elementwise_kernel_manual_unrollILi128ELi8EZNS0_22gpu_kernel_impl_nocastIZZZNS0_12_GLOBAL__N_117clamp_kernel_implERNS_18TensorIteratorBaseEENKUlvE_clEvENKUlvE0_clEvEUlaaaE_EEvS5_RKT_EUlibE_EEviT1_.uses_vcc, 1
	.set _ZN2at6native32elementwise_kernel_manual_unrollILi128ELi8EZNS0_22gpu_kernel_impl_nocastIZZZNS0_12_GLOBAL__N_117clamp_kernel_implERNS_18TensorIteratorBaseEENKUlvE_clEvENKUlvE0_clEvEUlaaaE_EEvS5_RKT_EUlibE_EEviT1_.uses_flat_scratch, 0
	.set _ZN2at6native32elementwise_kernel_manual_unrollILi128ELi8EZNS0_22gpu_kernel_impl_nocastIZZZNS0_12_GLOBAL__N_117clamp_kernel_implERNS_18TensorIteratorBaseEENKUlvE_clEvENKUlvE0_clEvEUlaaaE_EEvS5_RKT_EUlibE_EEviT1_.has_dyn_sized_stack, 0
	.set _ZN2at6native32elementwise_kernel_manual_unrollILi128ELi8EZNS0_22gpu_kernel_impl_nocastIZZZNS0_12_GLOBAL__N_117clamp_kernel_implERNS_18TensorIteratorBaseEENKUlvE_clEvENKUlvE0_clEvEUlaaaE_EEvS5_RKT_EUlibE_EEviT1_.has_recursion, 0
	.set _ZN2at6native32elementwise_kernel_manual_unrollILi128ELi8EZNS0_22gpu_kernel_impl_nocastIZZZNS0_12_GLOBAL__N_117clamp_kernel_implERNS_18TensorIteratorBaseEENKUlvE_clEvENKUlvE0_clEvEUlaaaE_EEvS5_RKT_EUlibE_EEviT1_.has_indirect_call, 0
	.section	.AMDGPU.csdata,"",@progbits
; Kernel info:
; codeLenInByte = 11480
; TotalNumSgprs: 58
; NumVgprs: 47
; ScratchSize: 0
; MemoryBound: 0
; FloatMode: 240
; IeeeMode: 1
; LDSByteSize: 0 bytes/workgroup (compile time only)
; SGPRBlocks: 0
; VGPRBlocks: 2
; NumSGPRsForWavesPerEU: 58
; NumVGPRsForWavesPerEU: 47
; NamedBarCnt: 0
; Occupancy: 16
; WaveLimiterHint : 1
; COMPUTE_PGM_RSRC2:SCRATCH_EN: 0
; COMPUTE_PGM_RSRC2:USER_SGPR: 2
; COMPUTE_PGM_RSRC2:TRAP_HANDLER: 0
; COMPUTE_PGM_RSRC2:TGID_X_EN: 1
; COMPUTE_PGM_RSRC2:TGID_Y_EN: 0
; COMPUTE_PGM_RSRC2:TGID_Z_EN: 0
; COMPUTE_PGM_RSRC2:TIDIG_COMP_CNT: 0
	.section	.text._ZN2at6native32elementwise_kernel_manual_unrollILi128ELi4EZNS0_15gpu_kernel_implIZZZNS0_12_GLOBAL__N_117clamp_kernel_implERNS_18TensorIteratorBaseEENKUlvE_clEvENKUlvE0_clEvEUlaaaE_EEvS5_RKT_EUlibE_EEviT1_,"axG",@progbits,_ZN2at6native32elementwise_kernel_manual_unrollILi128ELi4EZNS0_15gpu_kernel_implIZZZNS0_12_GLOBAL__N_117clamp_kernel_implERNS_18TensorIteratorBaseEENKUlvE_clEvENKUlvE0_clEvEUlaaaE_EEvS5_RKT_EUlibE_EEviT1_,comdat
	.globl	_ZN2at6native32elementwise_kernel_manual_unrollILi128ELi4EZNS0_15gpu_kernel_implIZZZNS0_12_GLOBAL__N_117clamp_kernel_implERNS_18TensorIteratorBaseEENKUlvE_clEvENKUlvE0_clEvEUlaaaE_EEvS5_RKT_EUlibE_EEviT1_ ; -- Begin function _ZN2at6native32elementwise_kernel_manual_unrollILi128ELi4EZNS0_15gpu_kernel_implIZZZNS0_12_GLOBAL__N_117clamp_kernel_implERNS_18TensorIteratorBaseEENKUlvE_clEvENKUlvE0_clEvEUlaaaE_EEvS5_RKT_EUlibE_EEviT1_
	.p2align	8
	.type	_ZN2at6native32elementwise_kernel_manual_unrollILi128ELi4EZNS0_15gpu_kernel_implIZZZNS0_12_GLOBAL__N_117clamp_kernel_implERNS_18TensorIteratorBaseEENKUlvE_clEvENKUlvE0_clEvEUlaaaE_EEvS5_RKT_EUlibE_EEviT1_,@function
_ZN2at6native32elementwise_kernel_manual_unrollILi128ELi4EZNS0_15gpu_kernel_implIZZZNS0_12_GLOBAL__N_117clamp_kernel_implERNS_18TensorIteratorBaseEENKUlvE_clEvENKUlvE0_clEvEUlaaaE_EEvS5_RKT_EUlibE_EEviT1_: ; @_ZN2at6native32elementwise_kernel_manual_unrollILi128ELi4EZNS0_15gpu_kernel_implIZZZNS0_12_GLOBAL__N_117clamp_kernel_implERNS_18TensorIteratorBaseEENKUlvE_clEvENKUlvE0_clEvEUlaaaE_EEvS5_RKT_EUlibE_EEviT1_
; %bb.0:
	v_mov_b32_e32 v1, 0
	s_bfe_u32 s3, ttmp6, 0x4000c
	s_clause 0x1
	s_load_b128 s[12:15], s[0:1], 0x28
	s_load_b256 s[4:11], s[0:1], 0x8
	s_add_co_i32 s3, s3, 1
	global_load_b32 v1, v1, s[0:1] offset:57
	s_load_b32 s20, s[0:1], 0x0
	s_and_b32 s16, ttmp6, 15
	s_wait_xcnt 0x0
	s_mul_i32 s0, ttmp9, s3
	s_getreg_b32 s18, hwreg(HW_REG_IB_STS2, 6, 4)
	s_add_co_i32 s16, s16, s0
	s_mov_b32 s19, 0
	s_wait_loadcnt 0x0
	v_readfirstlane_b32 s2, v1
	s_lshr_b32 s3, s2, 16
	s_lshr_b32 s17, s2, 8
	;; [unrolled: 1-line block ×3, first 2 shown]
	s_cmp_eq_u32 s18, 0
	s_cselect_b32 s0, ttmp9, s16
	s_mov_b32 s16, 0
	v_lshl_or_b32 v26, s0, 9, v0
	s_mov_b32 s0, exec_lo
	s_delay_alu instid0(VALU_DEP_1) | instskip(SKIP_1) | instid1(VALU_DEP_1)
	v_or_b32_e32 v0, 0x180, v26
	s_wait_kmcnt 0x0
	v_cmpx_le_i32_e64 s20, v0
	s_xor_b32 s18, exec_lo, s0
	s_cbranch_execz .LBB110_2015
; %bb.1:
	s_mov_b32 s28, -1
	s_mov_b32 s25, 0
	s_mov_b32 s23, 0
	;; [unrolled: 1-line block ×4, first 2 shown]
	s_mov_b32 s24, exec_lo
	v_cmpx_gt_i32_e64 s20, v26
	s_cbranch_execz .LBB110_500
; %bb.2:
	v_mul_lo_u32 v0, v26, s13
	s_and_b32 s0, s17, 0xff
	s_delay_alu instid0(SALU_CYCLE_1) | instskip(NEXT) | instid1(VALU_DEP_1)
	s_cmp_lt_i32 s0, 11
	v_ashrrev_i32_e32 v1, 31, v0
	s_delay_alu instid0(VALU_DEP_1)
	v_add_nc_u64_e32 v[2:3], s[6:7], v[0:1]
	s_cbranch_scc1 .LBB110_9
; %bb.3:
	s_and_b32 s19, 0xffff, s0
	s_delay_alu instid0(SALU_CYCLE_1)
	s_cmp_gt_i32 s19, 25
	s_cbranch_scc0 .LBB110_18
; %bb.4:
	s_cmp_gt_i32 s19, 28
	s_cbranch_scc0 .LBB110_28
; %bb.5:
	;; [unrolled: 3-line block ×4, first 2 shown]
	s_cmp_eq_u32 s19, 46
	s_cbranch_scc0 .LBB110_37
; %bb.8:
	global_load_b32 v0, v[2:3], off
	s_mov_b32 s21, -1
	s_wait_loadcnt 0x0
	v_lshlrev_b32_e32 v0, 16, v0
	s_delay_alu instid0(VALU_DEP_1)
	v_cvt_i32_f32_e32 v0, v0
	s_branch .LBB110_39
.LBB110_9:
                                        ; implicit-def: $vgpr0
	s_cbranch_execnz .LBB110_101
.LBB110_10:
	s_and_not1_b32 vcc_lo, exec_lo, s21
	s_cbranch_vccnz .LBB110_148
.LBB110_11:
	s_wait_xcnt 0x0
	v_mul_lo_u32 v2, v26, s14
	s_and_b32 s0, s3, 0xff
	s_delay_alu instid0(SALU_CYCLE_1) | instskip(NEXT) | instid1(VALU_DEP_1)
	s_cmp_lt_i32 s0, 11
	v_ashrrev_i32_e32 v3, 31, v2
	s_delay_alu instid0(VALU_DEP_1)
	v_add_nc_u64_e32 v[4:5], s[8:9], v[2:3]
	s_cbranch_scc1 .LBB110_19
; %bb.12:
	s_and_b32 s19, 0xffff, s0
	s_delay_alu instid0(SALU_CYCLE_1)
	s_cmp_gt_i32 s19, 25
	s_cbranch_scc0 .LBB110_29
; %bb.13:
	s_cmp_gt_i32 s19, 28
	s_cbranch_scc0 .LBB110_32
; %bb.14:
	;; [unrolled: 3-line block ×4, first 2 shown]
	s_cmp_eq_u32 s19, 46
	s_mov_b32 s26, 0
	s_cbranch_scc0 .LBB110_149
; %bb.17:
	s_wait_loadcnt 0x0
	global_load_b32 v1, v[4:5], off
	s_mov_b32 s21, -1
	s_mov_b32 s22, 0
	s_wait_loadcnt 0x0
	v_lshlrev_b32_e32 v1, 16, v1
	s_delay_alu instid0(VALU_DEP_1)
	v_cvt_i32_f32_e32 v2, v1
	s_branch .LBB110_151
.LBB110_18:
                                        ; implicit-def: $vgpr0
	s_cbranch_execnz .LBB110_68
	s_branch .LBB110_100
.LBB110_19:
	s_mov_b32 s22, 0
	s_mov_b32 s21, 0
                                        ; implicit-def: $vgpr2
	s_cbranch_execnz .LBB110_213
.LBB110_20:
	s_and_not1_b32 vcc_lo, exec_lo, s21
	s_cbranch_vccnz .LBB110_261
.LBB110_21:
	s_wait_xcnt 0x0
	v_mul_lo_u32 v4, v26, s15
	s_and_b32 s0, 0xffff, s1
	s_delay_alu instid0(SALU_CYCLE_1) | instskip(NEXT) | instid1(VALU_DEP_1)
	s_cmp_lt_i32 s0, 11
	v_ashrrev_i32_e32 v5, 31, v4
	s_delay_alu instid0(VALU_DEP_1)
	v_add_nc_u64_e32 v[4:5], s[10:11], v[4:5]
	s_cbranch_scc1 .LBB110_30
; %bb.22:
	s_cmp_gt_i32 s0, 25
	s_cbranch_scc0 .LBB110_33
; %bb.23:
	s_cmp_gt_i32 s0, 28
	s_cbranch_scc0 .LBB110_36
	;; [unrolled: 3-line block ×4, first 2 shown]
; %bb.26:
	s_cmp_eq_u32 s0, 46
	s_mov_b32 s26, 0
	s_cbranch_scc0 .LBB110_262
; %bb.27:
	s_wait_loadcnt 0x0
	global_load_b32 v1, v[4:5], off
	s_mov_b32 s19, -1
	s_mov_b32 s21, 0
	s_wait_loadcnt 0x0
	v_lshlrev_b32_e32 v1, 16, v1
	s_delay_alu instid0(VALU_DEP_1)
	v_cvt_i32_f32_e32 v6, v1
	s_branch .LBB110_264
.LBB110_28:
	s_mov_b32 s22, -1
                                        ; implicit-def: $vgpr0
	s_branch .LBB110_51
.LBB110_29:
	s_mov_b32 s26, -1
	s_mov_b32 s22, 0
	s_mov_b32 s21, 0
                                        ; implicit-def: $vgpr2
	s_branch .LBB110_179
.LBB110_30:
	s_mov_b32 s26, -1
	s_mov_b32 s21, 0
	s_mov_b32 s19, 0
                                        ; implicit-def: $vgpr6
	s_branch .LBB110_325
.LBB110_31:
	s_mov_b32 s22, -1
                                        ; implicit-def: $vgpr0
	s_branch .LBB110_46
.LBB110_32:
	s_mov_b32 s26, -1
	s_mov_b32 s22, 0
	s_mov_b32 s21, 0
                                        ; implicit-def: $vgpr2
	s_branch .LBB110_162
.LBB110_33:
	s_mov_b32 s26, -1
	s_mov_b32 s21, 0
	s_mov_b32 s19, 0
                                        ; implicit-def: $vgpr6
	s_branch .LBB110_291
.LBB110_34:
	s_mov_b32 s22, -1
	s_branch .LBB110_38
.LBB110_35:
	s_mov_b32 s26, -1
	s_mov_b32 s22, 0
	s_mov_b32 s21, 0
                                        ; implicit-def: $vgpr2
	s_branch .LBB110_157
.LBB110_36:
	s_mov_b32 s26, -1
	s_mov_b32 s21, 0
	s_mov_b32 s19, 0
                                        ; implicit-def: $vgpr6
	s_branch .LBB110_274
.LBB110_37:
	s_mov_b32 s23, -1
.LBB110_38:
                                        ; implicit-def: $vgpr0
.LBB110_39:
	s_and_b32 vcc_lo, exec_lo, s22
	s_cbranch_vccz .LBB110_45
; %bb.40:
	s_cmp_eq_u32 s19, 44
	s_cbranch_scc0 .LBB110_44
; %bb.41:
	global_load_u8 v0, v[2:3], off
	s_mov_b32 s23, 0
	s_mov_b32 s21, -1
	s_wait_loadcnt 0x0
	v_lshlrev_b32_e32 v1, 23, v0
	v_cmp_ne_u32_e32 vcc_lo, 0, v0
	s_delay_alu instid0(VALU_DEP_2) | instskip(NEXT) | instid1(VALU_DEP_1)
	v_cvt_i32_f32_e32 v1, v1
	v_cndmask_b32_e32 v0, 0, v1, vcc_lo
	s_branch .LBB110_45
.LBB110_42:
	s_mov_b32 s26, -1
	s_mov_b32 s22, 0
	s_branch .LBB110_150
.LBB110_43:
	s_mov_b32 s26, -1
	s_mov_b32 s21, 0
	s_mov_b32 s19, 0
                                        ; implicit-def: $vgpr6
	s_branch .LBB110_269
.LBB110_44:
	s_mov_b32 s23, -1
                                        ; implicit-def: $vgpr0
.LBB110_45:
	s_mov_b32 s22, 0
.LBB110_46:
	s_delay_alu instid0(SALU_CYCLE_1)
	s_and_b32 vcc_lo, exec_lo, s22
	s_cbranch_vccz .LBB110_50
; %bb.47:
	s_cmp_eq_u32 s19, 29
	s_cbranch_scc0 .LBB110_49
; %bb.48:
	global_load_b64 v[0:1], v[2:3], off
	s_mov_b32 s21, -1
	s_mov_b32 s23, 0
	s_branch .LBB110_50
.LBB110_49:
	s_mov_b32 s23, -1
                                        ; implicit-def: $vgpr0
.LBB110_50:
	s_mov_b32 s22, 0
.LBB110_51:
	s_delay_alu instid0(SALU_CYCLE_1)
	s_and_b32 vcc_lo, exec_lo, s22
	s_cbranch_vccz .LBB110_67
; %bb.52:
	s_cmp_lt_i32 s19, 27
	s_cbranch_scc1 .LBB110_55
; %bb.53:
	s_cmp_gt_i32 s19, 27
	s_cbranch_scc0 .LBB110_56
; %bb.54:
	s_wait_loadcnt 0x0
	global_load_b32 v0, v[2:3], off
	s_mov_b32 s21, 0
	s_branch .LBB110_57
.LBB110_55:
	s_mov_b32 s21, -1
                                        ; implicit-def: $vgpr0
	s_branch .LBB110_60
.LBB110_56:
	s_mov_b32 s21, -1
                                        ; implicit-def: $vgpr0
.LBB110_57:
	s_delay_alu instid0(SALU_CYCLE_1)
	s_and_not1_b32 vcc_lo, exec_lo, s21
	s_cbranch_vccnz .LBB110_59
; %bb.58:
	s_wait_loadcnt 0x0
	global_load_u16 v0, v[2:3], off
.LBB110_59:
	s_mov_b32 s21, 0
.LBB110_60:
	s_delay_alu instid0(SALU_CYCLE_1)
	s_and_not1_b32 vcc_lo, exec_lo, s21
	s_cbranch_vccnz .LBB110_66
; %bb.61:
	s_wait_loadcnt 0x0
	global_load_u8 v1, v[2:3], off
	s_mov_b32 s22, 0
	s_mov_b32 s21, exec_lo
	s_wait_loadcnt 0x0
	v_cmpx_lt_i16_e32 0x7f, v1
	s_xor_b32 s21, exec_lo, s21
	s_cbranch_execz .LBB110_77
; %bb.62:
	v_cmp_ne_u16_e32 vcc_lo, 0x80, v1
	s_and_b32 s22, vcc_lo, exec_lo
	s_and_not1_saveexec_b32 s21, s21
	s_cbranch_execnz .LBB110_78
.LBB110_63:
	s_or_b32 exec_lo, exec_lo, s21
	v_mov_b32_e32 v0, 0
	s_and_saveexec_b32 s21, s22
	s_cbranch_execz .LBB110_65
.LBB110_64:
	v_and_b32_e32 v0, 0xffff, v1
	s_delay_alu instid0(VALU_DEP_1) | instskip(SKIP_1) | instid1(VALU_DEP_2)
	v_and_b32_e32 v4, 7, v0
	v_bfe_u32 v7, v0, 3, 4
	v_clz_i32_u32_e32 v5, v4
	s_delay_alu instid0(VALU_DEP_2) | instskip(NEXT) | instid1(VALU_DEP_2)
	v_cmp_eq_u32_e32 vcc_lo, 0, v7
	v_min_u32_e32 v5, 32, v5
	s_delay_alu instid0(VALU_DEP_1) | instskip(NEXT) | instid1(VALU_DEP_1)
	v_subrev_nc_u32_e32 v6, 28, v5
	v_dual_lshlrev_b32 v0, v6, v0 :: v_dual_sub_nc_u32 v5, 29, v5
	s_delay_alu instid0(VALU_DEP_1) | instskip(NEXT) | instid1(VALU_DEP_1)
	v_dual_lshlrev_b32 v1, 24, v1 :: v_dual_bitop2_b32 v0, 7, v0 bitop3:0x40
	v_dual_cndmask_b32 v0, v4, v0 :: v_dual_cndmask_b32 v5, v7, v5
	s_delay_alu instid0(VALU_DEP_2) | instskip(NEXT) | instid1(VALU_DEP_2)
	v_and_b32_e32 v1, 0x80000000, v1
	v_lshlrev_b32_e32 v0, 20, v0
	s_delay_alu instid0(VALU_DEP_3) | instskip(NEXT) | instid1(VALU_DEP_1)
	v_lshl_add_u32 v4, v5, 23, 0x3b800000
	v_or3_b32 v0, v1, v4, v0
	s_delay_alu instid0(VALU_DEP_1)
	v_cvt_i32_f32_e32 v0, v0
.LBB110_65:
	s_or_b32 exec_lo, exec_lo, s21
.LBB110_66:
	s_mov_b32 s21, -1
.LBB110_67:
	s_branch .LBB110_100
.LBB110_68:
	s_cmp_gt_i32 s19, 22
	s_cbranch_scc0 .LBB110_76
; %bb.69:
	s_cmp_lt_i32 s19, 24
	s_cbranch_scc1 .LBB110_79
; %bb.70:
	s_cmp_gt_i32 s19, 24
	s_cbranch_scc0 .LBB110_80
; %bb.71:
	s_wait_loadcnt 0x0
	global_load_u8 v1, v[2:3], off
	s_mov_b32 s22, 0
	s_mov_b32 s21, exec_lo
	s_wait_loadcnt 0x0
	v_cmpx_lt_i16_e32 0x7f, v1
	s_xor_b32 s21, exec_lo, s21
	s_cbranch_execz .LBB110_92
; %bb.72:
	v_cmp_ne_u16_e32 vcc_lo, 0x80, v1
	s_and_b32 s22, vcc_lo, exec_lo
	s_and_not1_saveexec_b32 s21, s21
	s_cbranch_execnz .LBB110_93
.LBB110_73:
	s_or_b32 exec_lo, exec_lo, s21
	v_mov_b32_e32 v0, 0
	s_and_saveexec_b32 s21, s22
	s_cbranch_execz .LBB110_75
.LBB110_74:
	v_and_b32_e32 v0, 0xffff, v1
	s_delay_alu instid0(VALU_DEP_1) | instskip(SKIP_1) | instid1(VALU_DEP_2)
	v_and_b32_e32 v4, 3, v0
	v_bfe_u32 v7, v0, 2, 5
	v_clz_i32_u32_e32 v5, v4
	s_delay_alu instid0(VALU_DEP_2) | instskip(NEXT) | instid1(VALU_DEP_2)
	v_cmp_eq_u32_e32 vcc_lo, 0, v7
	v_min_u32_e32 v5, 32, v5
	s_delay_alu instid0(VALU_DEP_1) | instskip(NEXT) | instid1(VALU_DEP_1)
	v_subrev_nc_u32_e32 v6, 29, v5
	v_dual_lshlrev_b32 v0, v6, v0 :: v_dual_sub_nc_u32 v5, 30, v5
	s_delay_alu instid0(VALU_DEP_1) | instskip(NEXT) | instid1(VALU_DEP_1)
	v_dual_lshlrev_b32 v1, 24, v1 :: v_dual_bitop2_b32 v0, 3, v0 bitop3:0x40
	v_dual_cndmask_b32 v0, v4, v0 :: v_dual_cndmask_b32 v5, v7, v5
	s_delay_alu instid0(VALU_DEP_2) | instskip(NEXT) | instid1(VALU_DEP_2)
	v_and_b32_e32 v1, 0x80000000, v1
	v_lshlrev_b32_e32 v0, 21, v0
	s_delay_alu instid0(VALU_DEP_3) | instskip(NEXT) | instid1(VALU_DEP_1)
	v_lshl_add_u32 v4, v5, 23, 0x37800000
	v_or3_b32 v0, v1, v4, v0
	s_delay_alu instid0(VALU_DEP_1)
	v_cvt_i32_f32_e32 v0, v0
.LBB110_75:
	s_or_b32 exec_lo, exec_lo, s21
	s_mov_b32 s21, 0
	s_branch .LBB110_81
.LBB110_76:
	s_mov_b32 s22, -1
                                        ; implicit-def: $vgpr0
	s_branch .LBB110_87
.LBB110_77:
	s_and_not1_saveexec_b32 s21, s21
	s_cbranch_execz .LBB110_63
.LBB110_78:
	v_cmp_ne_u16_e32 vcc_lo, 0, v1
	s_and_not1_b32 s22, s22, exec_lo
	s_and_b32 s26, vcc_lo, exec_lo
	s_delay_alu instid0(SALU_CYCLE_1)
	s_or_b32 s22, s22, s26
	s_or_b32 exec_lo, exec_lo, s21
	v_mov_b32_e32 v0, 0
	s_and_saveexec_b32 s21, s22
	s_cbranch_execnz .LBB110_64
	s_branch .LBB110_65
.LBB110_79:
	s_mov_b32 s21, -1
                                        ; implicit-def: $vgpr0
	s_branch .LBB110_84
.LBB110_80:
	s_mov_b32 s21, -1
                                        ; implicit-def: $vgpr0
.LBB110_81:
	s_delay_alu instid0(SALU_CYCLE_1)
	s_and_b32 vcc_lo, exec_lo, s21
	s_cbranch_vccz .LBB110_83
; %bb.82:
	s_wait_loadcnt 0x0
	global_load_u8 v0, v[2:3], off
	s_wait_loadcnt 0x0
	v_lshlrev_b32_e32 v0, 24, v0
	s_delay_alu instid0(VALU_DEP_1) | instskip(NEXT) | instid1(VALU_DEP_1)
	v_and_b32_e32 v1, 0x7f000000, v0
	v_clz_i32_u32_e32 v4, v1
	v_cmp_ne_u32_e32 vcc_lo, 0, v1
	v_add_nc_u32_e32 v6, 0x1000000, v1
	s_delay_alu instid0(VALU_DEP_3) | instskip(NEXT) | instid1(VALU_DEP_1)
	v_min_u32_e32 v4, 32, v4
	v_sub_nc_u32_e64 v4, v4, 4 clamp
	s_delay_alu instid0(VALU_DEP_1) | instskip(NEXT) | instid1(VALU_DEP_1)
	v_dual_lshlrev_b32 v5, v4, v1 :: v_dual_lshlrev_b32 v4, 23, v4
	v_lshrrev_b32_e32 v5, 4, v5
	s_delay_alu instid0(VALU_DEP_1) | instskip(NEXT) | instid1(VALU_DEP_1)
	v_dual_sub_nc_u32 v4, v5, v4 :: v_dual_ashrrev_i32 v5, 8, v6
	v_add_nc_u32_e32 v4, 0x3c000000, v4
	s_delay_alu instid0(VALU_DEP_1) | instskip(NEXT) | instid1(VALU_DEP_1)
	v_and_or_b32 v4, 0x7f800000, v5, v4
	v_cndmask_b32_e32 v1, 0, v4, vcc_lo
	s_delay_alu instid0(VALU_DEP_1) | instskip(NEXT) | instid1(VALU_DEP_1)
	v_and_or_b32 v0, 0x80000000, v0, v1
	v_cvt_i32_f32_e32 v0, v0
.LBB110_83:
	s_mov_b32 s21, 0
.LBB110_84:
	s_delay_alu instid0(SALU_CYCLE_1)
	s_and_not1_b32 vcc_lo, exec_lo, s21
	s_cbranch_vccnz .LBB110_86
; %bb.85:
	s_wait_loadcnt 0x0
	global_load_u8 v0, v[2:3], off
	s_wait_loadcnt 0x0
	v_lshlrev_b32_e32 v1, 25, v0
	v_lshlrev_b16 v0, 8, v0
	s_delay_alu instid0(VALU_DEP_1) | instskip(SKIP_1) | instid1(VALU_DEP_2)
	v_and_or_b32 v5, 0x7f00, v0, 0.5
	v_bfe_i32 v0, v0, 0, 16
	v_add_f32_e32 v5, -0.5, v5
	v_lshrrev_b32_e32 v4, 4, v1
	v_cmp_gt_u32_e32 vcc_lo, 0x8000000, v1
	s_delay_alu instid0(VALU_DEP_2) | instskip(NEXT) | instid1(VALU_DEP_1)
	v_or_b32_e32 v4, 0x70000000, v4
	v_mul_f32_e32 v4, 0x7800000, v4
	s_delay_alu instid0(VALU_DEP_1) | instskip(NEXT) | instid1(VALU_DEP_1)
	v_cndmask_b32_e32 v1, v4, v5, vcc_lo
	v_and_or_b32 v0, 0x80000000, v0, v1
	s_delay_alu instid0(VALU_DEP_1)
	v_cvt_i32_f32_e32 v0, v0
.LBB110_86:
	s_mov_b32 s22, 0
	s_mov_b32 s21, -1
.LBB110_87:
	s_and_not1_b32 vcc_lo, exec_lo, s22
	s_cbranch_vccnz .LBB110_100
; %bb.88:
	s_cmp_gt_i32 s19, 14
	s_cbranch_scc0 .LBB110_91
; %bb.89:
	s_cmp_eq_u32 s19, 15
	s_cbranch_scc0 .LBB110_94
; %bb.90:
	s_wait_loadcnt 0x0
	global_load_u16 v0, v[2:3], off
	s_mov_b32 s21, -1
	s_mov_b32 s23, 0
	s_wait_loadcnt 0x0
	v_lshlrev_b32_e32 v0, 16, v0
	s_delay_alu instid0(VALU_DEP_1)
	v_cvt_i32_f32_e32 v0, v0
	s_branch .LBB110_95
.LBB110_91:
	s_mov_b32 s22, -1
                                        ; implicit-def: $vgpr0
	s_branch .LBB110_96
.LBB110_92:
	s_and_not1_saveexec_b32 s21, s21
	s_cbranch_execz .LBB110_73
.LBB110_93:
	v_cmp_ne_u16_e32 vcc_lo, 0, v1
	s_and_not1_b32 s22, s22, exec_lo
	s_and_b32 s26, vcc_lo, exec_lo
	s_delay_alu instid0(SALU_CYCLE_1)
	s_or_b32 s22, s22, s26
	s_or_b32 exec_lo, exec_lo, s21
	v_mov_b32_e32 v0, 0
	s_and_saveexec_b32 s21, s22
	s_cbranch_execnz .LBB110_74
	s_branch .LBB110_75
.LBB110_94:
	s_mov_b32 s23, -1
                                        ; implicit-def: $vgpr0
.LBB110_95:
	s_mov_b32 s22, 0
.LBB110_96:
	s_delay_alu instid0(SALU_CYCLE_1)
	s_and_b32 vcc_lo, exec_lo, s22
	s_cbranch_vccz .LBB110_100
; %bb.97:
	s_cmp_eq_u32 s19, 11
	s_cbranch_scc0 .LBB110_99
; %bb.98:
	s_wait_loadcnt 0x0
	global_load_u8 v0, v[2:3], off
	s_mov_b32 s23, 0
	s_mov_b32 s21, -1
	s_wait_loadcnt 0x0
	v_cmp_ne_u16_e32 vcc_lo, 0, v0
	v_cndmask_b32_e64 v0, 0, 1, vcc_lo
	s_branch .LBB110_100
.LBB110_99:
	s_mov_b32 s23, -1
                                        ; implicit-def: $vgpr0
.LBB110_100:
	s_branch .LBB110_10
.LBB110_101:
	s_and_b32 s0, 0xffff, s0
	s_delay_alu instid0(SALU_CYCLE_1)
	s_cmp_lt_i32 s0, 5
	s_cbranch_scc1 .LBB110_106
; %bb.102:
	s_cmp_lt_i32 s0, 8
	s_cbranch_scc1 .LBB110_107
; %bb.103:
	;; [unrolled: 3-line block ×3, first 2 shown]
	s_cmp_gt_i32 s0, 9
	s_cbranch_scc0 .LBB110_109
; %bb.105:
	s_wait_loadcnt 0x0
	global_load_b64 v[0:1], v[2:3], off
	s_mov_b32 s19, 0
	s_wait_loadcnt 0x0
	v_cvt_i32_f64_e32 v0, v[0:1]
	s_branch .LBB110_110
.LBB110_106:
                                        ; implicit-def: $vgpr0
	s_branch .LBB110_128
.LBB110_107:
	s_mov_b32 s19, -1
                                        ; implicit-def: $vgpr0
	s_branch .LBB110_116
.LBB110_108:
	s_mov_b32 s19, -1
                                        ; implicit-def: $vgpr0
	s_branch .LBB110_113
.LBB110_109:
	s_mov_b32 s19, -1
                                        ; implicit-def: $vgpr0
.LBB110_110:
	s_delay_alu instid0(SALU_CYCLE_1)
	s_and_not1_b32 vcc_lo, exec_lo, s19
	s_cbranch_vccnz .LBB110_112
; %bb.111:
	s_wait_loadcnt 0x0
	global_load_b32 v0, v[2:3], off
	s_wait_loadcnt 0x0
	v_cvt_i32_f32_e32 v0, v0
.LBB110_112:
	s_mov_b32 s19, 0
.LBB110_113:
	s_delay_alu instid0(SALU_CYCLE_1)
	s_and_not1_b32 vcc_lo, exec_lo, s19
	s_cbranch_vccnz .LBB110_115
; %bb.114:
	s_wait_loadcnt 0x0
	global_load_b32 v0, v[2:3], off
	s_wait_loadcnt 0x0
	v_cvt_i16_f16_e32 v0, v0
.LBB110_115:
	s_mov_b32 s19, 0
.LBB110_116:
	s_delay_alu instid0(SALU_CYCLE_1)
	s_and_not1_b32 vcc_lo, exec_lo, s19
	s_cbranch_vccnz .LBB110_127
; %bb.117:
	s_cmp_lt_i32 s0, 6
	s_cbranch_scc1 .LBB110_120
; %bb.118:
	s_cmp_gt_i32 s0, 6
	s_cbranch_scc0 .LBB110_121
; %bb.119:
	s_wait_loadcnt 0x0
	global_load_b64 v[0:1], v[2:3], off
	s_mov_b32 s19, 0
	s_wait_loadcnt 0x0
	v_cvt_i32_f64_e32 v0, v[0:1]
	s_branch .LBB110_122
.LBB110_120:
	s_mov_b32 s19, -1
                                        ; implicit-def: $vgpr0
	s_branch .LBB110_125
.LBB110_121:
	s_mov_b32 s19, -1
                                        ; implicit-def: $vgpr0
.LBB110_122:
	s_delay_alu instid0(SALU_CYCLE_1)
	s_and_not1_b32 vcc_lo, exec_lo, s19
	s_cbranch_vccnz .LBB110_124
; %bb.123:
	s_wait_loadcnt 0x0
	global_load_b32 v0, v[2:3], off
	s_wait_loadcnt 0x0
	v_cvt_i32_f32_e32 v0, v0
.LBB110_124:
	s_mov_b32 s19, 0
.LBB110_125:
	s_delay_alu instid0(SALU_CYCLE_1)
	s_and_not1_b32 vcc_lo, exec_lo, s19
	s_cbranch_vccnz .LBB110_127
; %bb.126:
	s_wait_loadcnt 0x0
	global_load_u16 v0, v[2:3], off
	s_wait_loadcnt 0x0
	v_cvt_i16_f16_e32 v0, v0
.LBB110_127:
	s_cbranch_execnz .LBB110_147
.LBB110_128:
	s_cmp_lt_i32 s0, 2
	s_cbranch_scc1 .LBB110_132
; %bb.129:
	s_cmp_lt_i32 s0, 3
	s_cbranch_scc1 .LBB110_133
; %bb.130:
	s_cmp_gt_i32 s0, 3
	s_cbranch_scc0 .LBB110_134
; %bb.131:
	s_wait_loadcnt 0x0
	global_load_b64 v[0:1], v[2:3], off
	s_mov_b32 s19, 0
	s_branch .LBB110_135
.LBB110_132:
	s_mov_b32 s19, -1
                                        ; implicit-def: $vgpr0
	s_branch .LBB110_141
.LBB110_133:
	s_mov_b32 s19, -1
                                        ; implicit-def: $vgpr0
	s_branch .LBB110_138
.LBB110_134:
	s_mov_b32 s19, -1
                                        ; implicit-def: $vgpr0
.LBB110_135:
	s_delay_alu instid0(SALU_CYCLE_1)
	s_and_not1_b32 vcc_lo, exec_lo, s19
	s_cbranch_vccnz .LBB110_137
; %bb.136:
	s_wait_loadcnt 0x0
	global_load_b32 v0, v[2:3], off
.LBB110_137:
	s_mov_b32 s19, 0
.LBB110_138:
	s_delay_alu instid0(SALU_CYCLE_1)
	s_and_not1_b32 vcc_lo, exec_lo, s19
	s_cbranch_vccnz .LBB110_140
; %bb.139:
	s_wait_loadcnt 0x0
	global_load_u16 v0, v[2:3], off
.LBB110_140:
	s_mov_b32 s19, 0
.LBB110_141:
	s_delay_alu instid0(SALU_CYCLE_1)
	s_and_not1_b32 vcc_lo, exec_lo, s19
	s_cbranch_vccnz .LBB110_147
; %bb.142:
	s_cmp_gt_i32 s0, 0
	s_mov_b32 s0, 0
	s_cbranch_scc0 .LBB110_144
; %bb.143:
	s_wait_loadcnt 0x0
	global_load_u8 v0, v[2:3], off
	s_branch .LBB110_145
.LBB110_144:
	s_mov_b32 s0, -1
                                        ; implicit-def: $vgpr0
.LBB110_145:
	s_delay_alu instid0(SALU_CYCLE_1)
	s_and_not1_b32 vcc_lo, exec_lo, s0
	s_cbranch_vccnz .LBB110_147
; %bb.146:
	s_wait_loadcnt 0x0
	global_load_u8 v0, v[2:3], off
.LBB110_147:
	s_branch .LBB110_11
.LBB110_148:
	s_mov_b32 s0, 0
	s_mov_b32 s21, 0
	;; [unrolled: 1-line block ×3, first 2 shown]
	s_branch .LBB110_498
.LBB110_149:
	s_mov_b32 s22, -1
.LBB110_150:
	s_mov_b32 s21, 0
                                        ; implicit-def: $vgpr2
.LBB110_151:
	s_and_b32 vcc_lo, exec_lo, s26
	s_cbranch_vccz .LBB110_156
; %bb.152:
	s_cmp_eq_u32 s19, 44
	s_cbranch_scc0 .LBB110_155
; %bb.153:
	s_wait_loadcnt 0x0
	global_load_u8 v1, v[4:5], off
	s_mov_b32 s22, 0
	s_mov_b32 s21, -1
	s_wait_loadcnt 0x0
	v_lshlrev_b32_e32 v2, 23, v1
	v_cmp_ne_u32_e32 vcc_lo, 0, v1
	s_delay_alu instid0(VALU_DEP_2) | instskip(NEXT) | instid1(VALU_DEP_1)
	v_cvt_i32_f32_e32 v2, v2
	v_cndmask_b32_e32 v2, 0, v2, vcc_lo
	s_branch .LBB110_156
.LBB110_154:
	s_mov_b32 s26, -1
	s_mov_b32 s21, 0
	s_branch .LBB110_263
.LBB110_155:
	s_mov_b32 s22, -1
                                        ; implicit-def: $vgpr2
.LBB110_156:
	s_mov_b32 s26, 0
.LBB110_157:
	s_delay_alu instid0(SALU_CYCLE_1)
	s_and_b32 vcc_lo, exec_lo, s26
	s_cbranch_vccz .LBB110_161
; %bb.158:
	s_cmp_eq_u32 s19, 29
	s_cbranch_scc0 .LBB110_160
; %bb.159:
	global_load_b64 v[2:3], v[4:5], off
	s_mov_b32 s21, -1
	s_mov_b32 s22, 0
	s_branch .LBB110_161
.LBB110_160:
	s_mov_b32 s22, -1
                                        ; implicit-def: $vgpr2
.LBB110_161:
	s_mov_b32 s26, 0
.LBB110_162:
	s_delay_alu instid0(SALU_CYCLE_1)
	s_and_b32 vcc_lo, exec_lo, s26
	s_cbranch_vccz .LBB110_178
; %bb.163:
	s_cmp_lt_i32 s19, 27
	s_cbranch_scc1 .LBB110_166
; %bb.164:
	s_cmp_gt_i32 s19, 27
	s_cbranch_scc0 .LBB110_167
; %bb.165:
	s_wait_loadcnt 0x0
	global_load_b32 v2, v[4:5], off
	s_mov_b32 s21, 0
	s_branch .LBB110_168
.LBB110_166:
	s_mov_b32 s21, -1
                                        ; implicit-def: $vgpr2
	s_branch .LBB110_171
.LBB110_167:
	s_mov_b32 s21, -1
                                        ; implicit-def: $vgpr2
.LBB110_168:
	s_delay_alu instid0(SALU_CYCLE_1)
	s_and_not1_b32 vcc_lo, exec_lo, s21
	s_cbranch_vccnz .LBB110_170
; %bb.169:
	s_wait_loadcnt 0x0
	global_load_u16 v2, v[4:5], off
.LBB110_170:
	s_mov_b32 s21, 0
.LBB110_171:
	s_delay_alu instid0(SALU_CYCLE_1)
	s_and_not1_b32 vcc_lo, exec_lo, s21
	s_cbranch_vccnz .LBB110_177
; %bb.172:
	s_wait_loadcnt 0x0
	global_load_u8 v1, v[4:5], off
	s_mov_b32 s26, 0
	s_mov_b32 s21, exec_lo
	s_wait_loadcnt 0x0
	v_cmpx_lt_i16_e32 0x7f, v1
	s_xor_b32 s21, exec_lo, s21
	s_cbranch_execz .LBB110_189
; %bb.173:
	v_cmp_ne_u16_e32 vcc_lo, 0x80, v1
	s_and_b32 s26, vcc_lo, exec_lo
	s_and_not1_saveexec_b32 s21, s21
	s_cbranch_execnz .LBB110_190
.LBB110_174:
	s_or_b32 exec_lo, exec_lo, s21
	v_mov_b32_e32 v2, 0
	s_and_saveexec_b32 s21, s26
	s_cbranch_execz .LBB110_176
.LBB110_175:
	v_and_b32_e32 v2, 0xffff, v1
	s_delay_alu instid0(VALU_DEP_1) | instskip(SKIP_1) | instid1(VALU_DEP_2)
	v_dual_lshlrev_b32 v1, 24, v1 :: v_dual_bitop2_b32 v3, 7, v2 bitop3:0x40
	v_bfe_u32 v8, v2, 3, 4
	v_and_b32_e32 v1, 0x80000000, v1
	s_delay_alu instid0(VALU_DEP_3) | instskip(NEXT) | instid1(VALU_DEP_3)
	v_clz_i32_u32_e32 v6, v3
	v_cmp_eq_u32_e32 vcc_lo, 0, v8
	s_delay_alu instid0(VALU_DEP_2) | instskip(NEXT) | instid1(VALU_DEP_1)
	v_min_u32_e32 v6, 32, v6
	v_subrev_nc_u32_e32 v7, 28, v6
	v_sub_nc_u32_e32 v6, 29, v6
	s_delay_alu instid0(VALU_DEP_2) | instskip(NEXT) | instid1(VALU_DEP_2)
	v_lshlrev_b32_e32 v2, v7, v2
	v_cndmask_b32_e32 v6, v8, v6, vcc_lo
	s_delay_alu instid0(VALU_DEP_2) | instskip(NEXT) | instid1(VALU_DEP_1)
	v_and_b32_e32 v2, 7, v2
	v_cndmask_b32_e32 v2, v3, v2, vcc_lo
	s_delay_alu instid0(VALU_DEP_3) | instskip(NEXT) | instid1(VALU_DEP_2)
	v_lshl_add_u32 v3, v6, 23, 0x3b800000
	v_lshlrev_b32_e32 v2, 20, v2
	s_delay_alu instid0(VALU_DEP_1) | instskip(NEXT) | instid1(VALU_DEP_1)
	v_or3_b32 v1, v1, v3, v2
	v_cvt_i32_f32_e32 v2, v1
.LBB110_176:
	s_or_b32 exec_lo, exec_lo, s21
.LBB110_177:
	s_mov_b32 s21, -1
.LBB110_178:
	s_mov_b32 s26, 0
.LBB110_179:
	s_delay_alu instid0(SALU_CYCLE_1)
	s_and_b32 vcc_lo, exec_lo, s26
	s_cbranch_vccz .LBB110_212
; %bb.180:
	s_cmp_gt_i32 s19, 22
	s_cbranch_scc0 .LBB110_188
; %bb.181:
	s_cmp_lt_i32 s19, 24
	s_cbranch_scc1 .LBB110_191
; %bb.182:
	s_cmp_gt_i32 s19, 24
	s_cbranch_scc0 .LBB110_192
; %bb.183:
	s_wait_loadcnt 0x0
	global_load_u8 v1, v[4:5], off
	s_mov_b32 s26, 0
	s_mov_b32 s21, exec_lo
	s_wait_loadcnt 0x0
	v_cmpx_lt_i16_e32 0x7f, v1
	s_xor_b32 s21, exec_lo, s21
	s_cbranch_execz .LBB110_204
; %bb.184:
	v_cmp_ne_u16_e32 vcc_lo, 0x80, v1
	s_and_b32 s26, vcc_lo, exec_lo
	s_and_not1_saveexec_b32 s21, s21
	s_cbranch_execnz .LBB110_205
.LBB110_185:
	s_or_b32 exec_lo, exec_lo, s21
	v_mov_b32_e32 v2, 0
	s_and_saveexec_b32 s21, s26
	s_cbranch_execz .LBB110_187
.LBB110_186:
	v_and_b32_e32 v2, 0xffff, v1
	s_delay_alu instid0(VALU_DEP_1) | instskip(SKIP_1) | instid1(VALU_DEP_2)
	v_dual_lshlrev_b32 v1, 24, v1 :: v_dual_bitop2_b32 v3, 3, v2 bitop3:0x40
	v_bfe_u32 v8, v2, 2, 5
	v_and_b32_e32 v1, 0x80000000, v1
	s_delay_alu instid0(VALU_DEP_3) | instskip(NEXT) | instid1(VALU_DEP_3)
	v_clz_i32_u32_e32 v6, v3
	v_cmp_eq_u32_e32 vcc_lo, 0, v8
	s_delay_alu instid0(VALU_DEP_2) | instskip(NEXT) | instid1(VALU_DEP_1)
	v_min_u32_e32 v6, 32, v6
	v_subrev_nc_u32_e32 v7, 29, v6
	v_sub_nc_u32_e32 v6, 30, v6
	s_delay_alu instid0(VALU_DEP_2) | instskip(NEXT) | instid1(VALU_DEP_2)
	v_lshlrev_b32_e32 v2, v7, v2
	v_cndmask_b32_e32 v6, v8, v6, vcc_lo
	s_delay_alu instid0(VALU_DEP_2) | instskip(NEXT) | instid1(VALU_DEP_1)
	v_and_b32_e32 v2, 3, v2
	v_cndmask_b32_e32 v2, v3, v2, vcc_lo
	s_delay_alu instid0(VALU_DEP_3) | instskip(NEXT) | instid1(VALU_DEP_2)
	v_lshl_add_u32 v3, v6, 23, 0x37800000
	v_lshlrev_b32_e32 v2, 21, v2
	s_delay_alu instid0(VALU_DEP_1) | instskip(NEXT) | instid1(VALU_DEP_1)
	v_or3_b32 v1, v1, v3, v2
	v_cvt_i32_f32_e32 v2, v1
.LBB110_187:
	s_or_b32 exec_lo, exec_lo, s21
	s_mov_b32 s21, 0
	s_branch .LBB110_193
.LBB110_188:
	s_mov_b32 s26, -1
                                        ; implicit-def: $vgpr2
	s_branch .LBB110_199
.LBB110_189:
	s_and_not1_saveexec_b32 s21, s21
	s_cbranch_execz .LBB110_174
.LBB110_190:
	v_cmp_ne_u16_e32 vcc_lo, 0, v1
	s_and_not1_b32 s26, s26, exec_lo
	s_and_b32 s27, vcc_lo, exec_lo
	s_delay_alu instid0(SALU_CYCLE_1)
	s_or_b32 s26, s26, s27
	s_or_b32 exec_lo, exec_lo, s21
	v_mov_b32_e32 v2, 0
	s_and_saveexec_b32 s21, s26
	s_cbranch_execnz .LBB110_175
	s_branch .LBB110_176
.LBB110_191:
	s_mov_b32 s21, -1
                                        ; implicit-def: $vgpr2
	s_branch .LBB110_196
.LBB110_192:
	s_mov_b32 s21, -1
                                        ; implicit-def: $vgpr2
.LBB110_193:
	s_delay_alu instid0(SALU_CYCLE_1)
	s_and_b32 vcc_lo, exec_lo, s21
	s_cbranch_vccz .LBB110_195
; %bb.194:
	s_wait_loadcnt 0x0
	global_load_u8 v1, v[4:5], off
	s_wait_loadcnt 0x0
	v_lshlrev_b32_e32 v1, 24, v1
	s_delay_alu instid0(VALU_DEP_1) | instskip(NEXT) | instid1(VALU_DEP_1)
	v_and_b32_e32 v2, 0x7f000000, v1
	v_clz_i32_u32_e32 v3, v2
	v_cmp_ne_u32_e32 vcc_lo, 0, v2
	v_add_nc_u32_e32 v7, 0x1000000, v2
	s_delay_alu instid0(VALU_DEP_3) | instskip(NEXT) | instid1(VALU_DEP_1)
	v_min_u32_e32 v3, 32, v3
	v_sub_nc_u32_e64 v3, v3, 4 clamp
	s_delay_alu instid0(VALU_DEP_1) | instskip(NEXT) | instid1(VALU_DEP_1)
	v_dual_lshlrev_b32 v6, v3, v2 :: v_dual_lshlrev_b32 v3, 23, v3
	v_lshrrev_b32_e32 v6, 4, v6
	s_delay_alu instid0(VALU_DEP_1) | instskip(SKIP_1) | instid1(VALU_DEP_2)
	v_sub_nc_u32_e32 v3, v6, v3
	v_ashrrev_i32_e32 v6, 8, v7
	v_add_nc_u32_e32 v3, 0x3c000000, v3
	s_delay_alu instid0(VALU_DEP_1) | instskip(NEXT) | instid1(VALU_DEP_1)
	v_and_or_b32 v3, 0x7f800000, v6, v3
	v_cndmask_b32_e32 v2, 0, v3, vcc_lo
	s_delay_alu instid0(VALU_DEP_1) | instskip(NEXT) | instid1(VALU_DEP_1)
	v_and_or_b32 v1, 0x80000000, v1, v2
	v_cvt_i32_f32_e32 v2, v1
.LBB110_195:
	s_mov_b32 s21, 0
.LBB110_196:
	s_delay_alu instid0(SALU_CYCLE_1)
	s_and_not1_b32 vcc_lo, exec_lo, s21
	s_cbranch_vccnz .LBB110_198
; %bb.197:
	s_wait_loadcnt 0x0
	global_load_u8 v1, v[4:5], off
	s_wait_loadcnt 0x0
	v_lshlrev_b32_e32 v2, 25, v1
	v_lshlrev_b16 v1, 8, v1
	s_delay_alu instid0(VALU_DEP_1) | instskip(SKIP_1) | instid1(VALU_DEP_2)
	v_and_or_b32 v6, 0x7f00, v1, 0.5
	v_bfe_i32 v1, v1, 0, 16
	v_add_f32_e32 v6, -0.5, v6
	v_lshrrev_b32_e32 v3, 4, v2
	v_cmp_gt_u32_e32 vcc_lo, 0x8000000, v2
	s_delay_alu instid0(VALU_DEP_2) | instskip(NEXT) | instid1(VALU_DEP_1)
	v_or_b32_e32 v3, 0x70000000, v3
	v_mul_f32_e32 v3, 0x7800000, v3
	s_delay_alu instid0(VALU_DEP_1) | instskip(NEXT) | instid1(VALU_DEP_1)
	v_cndmask_b32_e32 v2, v3, v6, vcc_lo
	v_and_or_b32 v1, 0x80000000, v1, v2
	s_delay_alu instid0(VALU_DEP_1)
	v_cvt_i32_f32_e32 v2, v1
.LBB110_198:
	s_mov_b32 s26, 0
	s_mov_b32 s21, -1
.LBB110_199:
	s_and_not1_b32 vcc_lo, exec_lo, s26
	s_cbranch_vccnz .LBB110_212
; %bb.200:
	s_cmp_gt_i32 s19, 14
	s_cbranch_scc0 .LBB110_203
; %bb.201:
	s_cmp_eq_u32 s19, 15
	s_cbranch_scc0 .LBB110_206
; %bb.202:
	s_wait_loadcnt 0x0
	global_load_u16 v1, v[4:5], off
	s_mov_b32 s21, -1
	s_mov_b32 s22, 0
	s_wait_loadcnt 0x0
	v_lshlrev_b32_e32 v1, 16, v1
	s_delay_alu instid0(VALU_DEP_1)
	v_cvt_i32_f32_e32 v2, v1
	s_branch .LBB110_207
.LBB110_203:
	s_mov_b32 s26, -1
                                        ; implicit-def: $vgpr2
	s_branch .LBB110_208
.LBB110_204:
	s_and_not1_saveexec_b32 s21, s21
	s_cbranch_execz .LBB110_185
.LBB110_205:
	v_cmp_ne_u16_e32 vcc_lo, 0, v1
	s_and_not1_b32 s26, s26, exec_lo
	s_and_b32 s27, vcc_lo, exec_lo
	s_delay_alu instid0(SALU_CYCLE_1)
	s_or_b32 s26, s26, s27
	s_or_b32 exec_lo, exec_lo, s21
	v_mov_b32_e32 v2, 0
	s_and_saveexec_b32 s21, s26
	s_cbranch_execnz .LBB110_186
	s_branch .LBB110_187
.LBB110_206:
	s_mov_b32 s22, -1
                                        ; implicit-def: $vgpr2
.LBB110_207:
	s_mov_b32 s26, 0
.LBB110_208:
	s_delay_alu instid0(SALU_CYCLE_1)
	s_and_b32 vcc_lo, exec_lo, s26
	s_cbranch_vccz .LBB110_212
; %bb.209:
	s_cmp_eq_u32 s19, 11
	s_cbranch_scc0 .LBB110_211
; %bb.210:
	s_wait_loadcnt 0x0
	global_load_u8 v1, v[4:5], off
	s_mov_b32 s22, 0
	s_mov_b32 s21, -1
	s_wait_loadcnt 0x0
	v_cmp_ne_u16_e32 vcc_lo, 0, v1
	v_cndmask_b32_e64 v2, 0, 1, vcc_lo
	s_branch .LBB110_212
.LBB110_211:
	s_mov_b32 s22, -1
                                        ; implicit-def: $vgpr2
.LBB110_212:
	s_branch .LBB110_20
.LBB110_213:
	s_and_b32 s0, 0xffff, s0
	s_delay_alu instid0(SALU_CYCLE_1)
	s_cmp_lt_i32 s0, 5
	s_cbranch_scc1 .LBB110_218
; %bb.214:
	s_cmp_lt_i32 s0, 8
	s_cbranch_scc1 .LBB110_219
; %bb.215:
	;; [unrolled: 3-line block ×3, first 2 shown]
	s_cmp_gt_i32 s0, 9
	s_cbranch_scc0 .LBB110_221
; %bb.217:
	s_wait_loadcnt 0x0
	global_load_b64 v[2:3], v[4:5], off
	s_mov_b32 s19, 0
	s_wait_loadcnt 0x0
	v_cvt_i32_f64_e32 v2, v[2:3]
	s_branch .LBB110_222
.LBB110_218:
	s_mov_b32 s19, -1
                                        ; implicit-def: $vgpr2
	s_branch .LBB110_240
.LBB110_219:
	s_mov_b32 s19, -1
                                        ; implicit-def: $vgpr2
	s_branch .LBB110_228
.LBB110_220:
	s_mov_b32 s19, -1
                                        ; implicit-def: $vgpr2
	s_branch .LBB110_225
.LBB110_221:
	s_mov_b32 s19, -1
                                        ; implicit-def: $vgpr2
.LBB110_222:
	s_delay_alu instid0(SALU_CYCLE_1)
	s_and_not1_b32 vcc_lo, exec_lo, s19
	s_cbranch_vccnz .LBB110_224
; %bb.223:
	s_wait_loadcnt 0x0
	global_load_b32 v1, v[4:5], off
	s_wait_loadcnt 0x0
	v_cvt_i32_f32_e32 v2, v1
.LBB110_224:
	s_mov_b32 s19, 0
.LBB110_225:
	s_delay_alu instid0(SALU_CYCLE_1)
	s_and_not1_b32 vcc_lo, exec_lo, s19
	s_cbranch_vccnz .LBB110_227
; %bb.226:
	s_wait_loadcnt 0x0
	global_load_b32 v1, v[4:5], off
	s_wait_loadcnt 0x0
	v_cvt_i16_f16_e32 v2, v1
.LBB110_227:
	s_mov_b32 s19, 0
.LBB110_228:
	s_delay_alu instid0(SALU_CYCLE_1)
	s_and_not1_b32 vcc_lo, exec_lo, s19
	s_cbranch_vccnz .LBB110_239
; %bb.229:
	s_cmp_lt_i32 s0, 6
	s_cbranch_scc1 .LBB110_232
; %bb.230:
	s_cmp_gt_i32 s0, 6
	s_cbranch_scc0 .LBB110_233
; %bb.231:
	s_wait_loadcnt 0x0
	global_load_b64 v[2:3], v[4:5], off
	s_mov_b32 s19, 0
	s_wait_loadcnt 0x0
	v_cvt_i32_f64_e32 v2, v[2:3]
	s_branch .LBB110_234
.LBB110_232:
	s_mov_b32 s19, -1
                                        ; implicit-def: $vgpr2
	s_branch .LBB110_237
.LBB110_233:
	s_mov_b32 s19, -1
                                        ; implicit-def: $vgpr2
.LBB110_234:
	s_delay_alu instid0(SALU_CYCLE_1)
	s_and_not1_b32 vcc_lo, exec_lo, s19
	s_cbranch_vccnz .LBB110_236
; %bb.235:
	s_wait_loadcnt 0x0
	global_load_b32 v1, v[4:5], off
	s_wait_loadcnt 0x0
	v_cvt_i32_f32_e32 v2, v1
.LBB110_236:
	s_mov_b32 s19, 0
.LBB110_237:
	s_delay_alu instid0(SALU_CYCLE_1)
	s_and_not1_b32 vcc_lo, exec_lo, s19
	s_cbranch_vccnz .LBB110_239
; %bb.238:
	s_wait_loadcnt 0x0
	global_load_u16 v1, v[4:5], off
	s_wait_loadcnt 0x0
	v_cvt_i16_f16_e32 v2, v1
.LBB110_239:
	s_mov_b32 s19, 0
.LBB110_240:
	s_delay_alu instid0(SALU_CYCLE_1)
	s_and_not1_b32 vcc_lo, exec_lo, s19
	s_cbranch_vccnz .LBB110_260
; %bb.241:
	s_cmp_lt_i32 s0, 2
	s_cbranch_scc1 .LBB110_245
; %bb.242:
	s_cmp_lt_i32 s0, 3
	s_cbranch_scc1 .LBB110_246
; %bb.243:
	s_cmp_gt_i32 s0, 3
	s_cbranch_scc0 .LBB110_247
; %bb.244:
	s_wait_loadcnt 0x0
	global_load_b64 v[2:3], v[4:5], off
	s_mov_b32 s19, 0
	s_branch .LBB110_248
.LBB110_245:
	s_mov_b32 s19, -1
                                        ; implicit-def: $vgpr2
	s_branch .LBB110_254
.LBB110_246:
	s_mov_b32 s19, -1
                                        ; implicit-def: $vgpr2
	s_branch .LBB110_251
.LBB110_247:
	s_mov_b32 s19, -1
                                        ; implicit-def: $vgpr2
.LBB110_248:
	s_delay_alu instid0(SALU_CYCLE_1)
	s_and_not1_b32 vcc_lo, exec_lo, s19
	s_cbranch_vccnz .LBB110_250
; %bb.249:
	s_wait_loadcnt 0x0
	global_load_b32 v2, v[4:5], off
.LBB110_250:
	s_mov_b32 s19, 0
.LBB110_251:
	s_delay_alu instid0(SALU_CYCLE_1)
	s_and_not1_b32 vcc_lo, exec_lo, s19
	s_cbranch_vccnz .LBB110_253
; %bb.252:
	s_wait_loadcnt 0x0
	global_load_u16 v2, v[4:5], off
.LBB110_253:
	s_mov_b32 s19, 0
.LBB110_254:
	s_delay_alu instid0(SALU_CYCLE_1)
	s_and_not1_b32 vcc_lo, exec_lo, s19
	s_cbranch_vccnz .LBB110_260
; %bb.255:
	s_cmp_gt_i32 s0, 0
	s_mov_b32 s0, 0
	s_cbranch_scc0 .LBB110_257
; %bb.256:
	s_wait_loadcnt 0x0
	global_load_u8 v2, v[4:5], off
	s_branch .LBB110_258
.LBB110_257:
	s_mov_b32 s0, -1
                                        ; implicit-def: $vgpr2
.LBB110_258:
	s_delay_alu instid0(SALU_CYCLE_1)
	s_and_not1_b32 vcc_lo, exec_lo, s0
	s_cbranch_vccnz .LBB110_260
; %bb.259:
	s_wait_loadcnt 0x0
	global_load_u8 v2, v[4:5], off
.LBB110_260:
	s_branch .LBB110_21
.LBB110_261:
	s_mov_b32 s0, 0
	s_mov_b32 s21, 0
	s_branch .LBB110_498
.LBB110_262:
	s_mov_b32 s21, -1
.LBB110_263:
	s_mov_b32 s19, 0
                                        ; implicit-def: $vgpr6
.LBB110_264:
	s_and_b32 vcc_lo, exec_lo, s26
	s_cbranch_vccz .LBB110_268
; %bb.265:
	s_cmp_eq_u32 s0, 44
	s_cbranch_scc0 .LBB110_267
; %bb.266:
	s_wait_loadcnt 0x0
	global_load_u8 v1, v[4:5], off
	s_mov_b32 s21, 0
	s_mov_b32 s19, -1
	s_wait_loadcnt 0x0
	v_lshlrev_b32_e32 v3, 23, v1
	v_cmp_ne_u32_e32 vcc_lo, 0, v1
	s_delay_alu instid0(VALU_DEP_2) | instskip(NEXT) | instid1(VALU_DEP_1)
	v_cvt_i32_f32_e32 v3, v3
	v_cndmask_b32_e32 v6, 0, v3, vcc_lo
	s_branch .LBB110_268
.LBB110_267:
	s_mov_b32 s21, -1
                                        ; implicit-def: $vgpr6
.LBB110_268:
	s_mov_b32 s26, 0
.LBB110_269:
	s_delay_alu instid0(SALU_CYCLE_1)
	s_and_b32 vcc_lo, exec_lo, s26
	s_cbranch_vccz .LBB110_273
; %bb.270:
	s_cmp_eq_u32 s0, 29
	s_cbranch_scc0 .LBB110_272
; %bb.271:
	global_load_b64 v[6:7], v[4:5], off
	s_mov_b32 s19, -1
	s_mov_b32 s21, 0
	s_branch .LBB110_273
.LBB110_272:
	s_mov_b32 s21, -1
                                        ; implicit-def: $vgpr6
.LBB110_273:
	s_mov_b32 s26, 0
.LBB110_274:
	s_delay_alu instid0(SALU_CYCLE_1)
	s_and_b32 vcc_lo, exec_lo, s26
	s_cbranch_vccz .LBB110_290
; %bb.275:
	s_cmp_lt_i32 s0, 27
	s_cbranch_scc1 .LBB110_278
; %bb.276:
	s_cmp_gt_i32 s0, 27
	s_cbranch_scc0 .LBB110_279
; %bb.277:
	s_wait_loadcnt 0x0
	global_load_b32 v6, v[4:5], off
	s_mov_b32 s19, 0
	s_branch .LBB110_280
.LBB110_278:
	s_mov_b32 s19, -1
                                        ; implicit-def: $vgpr6
	s_branch .LBB110_283
.LBB110_279:
	s_mov_b32 s19, -1
                                        ; implicit-def: $vgpr6
.LBB110_280:
	s_delay_alu instid0(SALU_CYCLE_1)
	s_and_not1_b32 vcc_lo, exec_lo, s19
	s_cbranch_vccnz .LBB110_282
; %bb.281:
	s_wait_loadcnt 0x0
	global_load_u16 v6, v[4:5], off
.LBB110_282:
	s_mov_b32 s19, 0
.LBB110_283:
	s_delay_alu instid0(SALU_CYCLE_1)
	s_and_not1_b32 vcc_lo, exec_lo, s19
	s_cbranch_vccnz .LBB110_289
; %bb.284:
	s_wait_loadcnt 0x0
	global_load_u8 v1, v[4:5], off
	s_mov_b32 s26, 0
	s_mov_b32 s19, exec_lo
	s_wait_loadcnt 0x0
	v_cmpx_lt_i16_e32 0x7f, v1
	s_xor_b32 s19, exec_lo, s19
	s_cbranch_execz .LBB110_301
; %bb.285:
	v_cmp_ne_u16_e32 vcc_lo, 0x80, v1
	s_and_b32 s26, vcc_lo, exec_lo
	s_and_not1_saveexec_b32 s19, s19
	s_cbranch_execnz .LBB110_302
.LBB110_286:
	s_or_b32 exec_lo, exec_lo, s19
	v_mov_b32_e32 v6, 0
	s_and_saveexec_b32 s19, s26
	s_cbranch_execz .LBB110_288
.LBB110_287:
	v_and_b32_e32 v3, 0xffff, v1
	s_delay_alu instid0(VALU_DEP_1) | instskip(SKIP_1) | instid1(VALU_DEP_2)
	v_dual_lshlrev_b32 v1, 24, v1 :: v_dual_bitop2_b32 v6, 7, v3 bitop3:0x40
	v_bfe_u32 v9, v3, 3, 4
	v_and_b32_e32 v1, 0x80000000, v1
	s_delay_alu instid0(VALU_DEP_3) | instskip(NEXT) | instid1(VALU_DEP_3)
	v_clz_i32_u32_e32 v7, v6
	v_cmp_eq_u32_e32 vcc_lo, 0, v9
	s_delay_alu instid0(VALU_DEP_2) | instskip(NEXT) | instid1(VALU_DEP_1)
	v_min_u32_e32 v7, 32, v7
	v_subrev_nc_u32_e32 v8, 28, v7
	v_sub_nc_u32_e32 v7, 29, v7
	s_delay_alu instid0(VALU_DEP_2) | instskip(NEXT) | instid1(VALU_DEP_2)
	v_lshlrev_b32_e32 v3, v8, v3
	v_cndmask_b32_e32 v7, v9, v7, vcc_lo
	s_delay_alu instid0(VALU_DEP_2) | instskip(NEXT) | instid1(VALU_DEP_1)
	v_and_b32_e32 v3, 7, v3
	v_cndmask_b32_e32 v3, v6, v3, vcc_lo
	s_delay_alu instid0(VALU_DEP_3) | instskip(NEXT) | instid1(VALU_DEP_2)
	v_lshl_add_u32 v6, v7, 23, 0x3b800000
	v_lshlrev_b32_e32 v3, 20, v3
	s_delay_alu instid0(VALU_DEP_1) | instskip(NEXT) | instid1(VALU_DEP_1)
	v_or3_b32 v1, v1, v6, v3
	v_cvt_i32_f32_e32 v6, v1
.LBB110_288:
	s_or_b32 exec_lo, exec_lo, s19
.LBB110_289:
	s_mov_b32 s19, -1
.LBB110_290:
	s_mov_b32 s26, 0
.LBB110_291:
	s_delay_alu instid0(SALU_CYCLE_1)
	s_and_b32 vcc_lo, exec_lo, s26
	s_cbranch_vccz .LBB110_324
; %bb.292:
	s_cmp_gt_i32 s0, 22
	s_cbranch_scc0 .LBB110_300
; %bb.293:
	s_cmp_lt_i32 s0, 24
	s_cbranch_scc1 .LBB110_303
; %bb.294:
	s_cmp_gt_i32 s0, 24
	s_cbranch_scc0 .LBB110_304
; %bb.295:
	s_wait_loadcnt 0x0
	global_load_u8 v1, v[4:5], off
	s_mov_b32 s26, 0
	s_mov_b32 s19, exec_lo
	s_wait_loadcnt 0x0
	v_cmpx_lt_i16_e32 0x7f, v1
	s_xor_b32 s19, exec_lo, s19
	s_cbranch_execz .LBB110_316
; %bb.296:
	v_cmp_ne_u16_e32 vcc_lo, 0x80, v1
	s_and_b32 s26, vcc_lo, exec_lo
	s_and_not1_saveexec_b32 s19, s19
	s_cbranch_execnz .LBB110_317
.LBB110_297:
	s_or_b32 exec_lo, exec_lo, s19
	v_mov_b32_e32 v6, 0
	s_and_saveexec_b32 s19, s26
	s_cbranch_execz .LBB110_299
.LBB110_298:
	v_and_b32_e32 v3, 0xffff, v1
	s_delay_alu instid0(VALU_DEP_1) | instskip(SKIP_1) | instid1(VALU_DEP_2)
	v_dual_lshlrev_b32 v1, 24, v1 :: v_dual_bitop2_b32 v6, 3, v3 bitop3:0x40
	v_bfe_u32 v9, v3, 2, 5
	v_and_b32_e32 v1, 0x80000000, v1
	s_delay_alu instid0(VALU_DEP_3) | instskip(NEXT) | instid1(VALU_DEP_3)
	v_clz_i32_u32_e32 v7, v6
	v_cmp_eq_u32_e32 vcc_lo, 0, v9
	s_delay_alu instid0(VALU_DEP_2) | instskip(NEXT) | instid1(VALU_DEP_1)
	v_min_u32_e32 v7, 32, v7
	v_subrev_nc_u32_e32 v8, 29, v7
	v_sub_nc_u32_e32 v7, 30, v7
	s_delay_alu instid0(VALU_DEP_2) | instskip(NEXT) | instid1(VALU_DEP_2)
	v_lshlrev_b32_e32 v3, v8, v3
	v_cndmask_b32_e32 v7, v9, v7, vcc_lo
	s_delay_alu instid0(VALU_DEP_2) | instskip(NEXT) | instid1(VALU_DEP_1)
	v_and_b32_e32 v3, 3, v3
	v_cndmask_b32_e32 v3, v6, v3, vcc_lo
	s_delay_alu instid0(VALU_DEP_3) | instskip(NEXT) | instid1(VALU_DEP_2)
	v_lshl_add_u32 v6, v7, 23, 0x37800000
	v_lshlrev_b32_e32 v3, 21, v3
	s_delay_alu instid0(VALU_DEP_1) | instskip(NEXT) | instid1(VALU_DEP_1)
	v_or3_b32 v1, v1, v6, v3
	v_cvt_i32_f32_e32 v6, v1
.LBB110_299:
	s_or_b32 exec_lo, exec_lo, s19
	s_mov_b32 s19, 0
	s_branch .LBB110_305
.LBB110_300:
	s_mov_b32 s26, -1
                                        ; implicit-def: $vgpr6
	s_branch .LBB110_311
.LBB110_301:
	s_and_not1_saveexec_b32 s19, s19
	s_cbranch_execz .LBB110_286
.LBB110_302:
	v_cmp_ne_u16_e32 vcc_lo, 0, v1
	s_and_not1_b32 s26, s26, exec_lo
	s_and_b32 s27, vcc_lo, exec_lo
	s_delay_alu instid0(SALU_CYCLE_1)
	s_or_b32 s26, s26, s27
	s_or_b32 exec_lo, exec_lo, s19
	v_mov_b32_e32 v6, 0
	s_and_saveexec_b32 s19, s26
	s_cbranch_execnz .LBB110_287
	s_branch .LBB110_288
.LBB110_303:
	s_mov_b32 s19, -1
                                        ; implicit-def: $vgpr6
	s_branch .LBB110_308
.LBB110_304:
	s_mov_b32 s19, -1
                                        ; implicit-def: $vgpr6
.LBB110_305:
	s_delay_alu instid0(SALU_CYCLE_1)
	s_and_b32 vcc_lo, exec_lo, s19
	s_cbranch_vccz .LBB110_307
; %bb.306:
	s_wait_loadcnt 0x0
	global_load_u8 v1, v[4:5], off
	s_wait_loadcnt 0x0
	v_lshlrev_b32_e32 v1, 24, v1
	s_delay_alu instid0(VALU_DEP_1) | instskip(NEXT) | instid1(VALU_DEP_1)
	v_and_b32_e32 v3, 0x7f000000, v1
	v_clz_i32_u32_e32 v6, v3
	v_cmp_ne_u32_e32 vcc_lo, 0, v3
	v_add_nc_u32_e32 v8, 0x1000000, v3
	s_delay_alu instid0(VALU_DEP_3) | instskip(NEXT) | instid1(VALU_DEP_1)
	v_min_u32_e32 v6, 32, v6
	v_sub_nc_u32_e64 v6, v6, 4 clamp
	s_delay_alu instid0(VALU_DEP_1) | instskip(NEXT) | instid1(VALU_DEP_1)
	v_dual_lshlrev_b32 v7, v6, v3 :: v_dual_lshlrev_b32 v6, 23, v6
	v_lshrrev_b32_e32 v7, 4, v7
	s_delay_alu instid0(VALU_DEP_1) | instskip(NEXT) | instid1(VALU_DEP_1)
	v_dual_sub_nc_u32 v6, v7, v6 :: v_dual_ashrrev_i32 v7, 8, v8
	v_add_nc_u32_e32 v6, 0x3c000000, v6
	s_delay_alu instid0(VALU_DEP_1) | instskip(NEXT) | instid1(VALU_DEP_1)
	v_and_or_b32 v6, 0x7f800000, v7, v6
	v_cndmask_b32_e32 v3, 0, v6, vcc_lo
	s_delay_alu instid0(VALU_DEP_1) | instskip(NEXT) | instid1(VALU_DEP_1)
	v_and_or_b32 v1, 0x80000000, v1, v3
	v_cvt_i32_f32_e32 v6, v1
.LBB110_307:
	s_mov_b32 s19, 0
.LBB110_308:
	s_delay_alu instid0(SALU_CYCLE_1)
	s_and_not1_b32 vcc_lo, exec_lo, s19
	s_cbranch_vccnz .LBB110_310
; %bb.309:
	s_wait_loadcnt 0x0
	global_load_u8 v1, v[4:5], off
	s_wait_loadcnt 0x0
	v_lshlrev_b32_e32 v3, 25, v1
	v_lshlrev_b16 v1, 8, v1
	s_delay_alu instid0(VALU_DEP_1) | instskip(SKIP_1) | instid1(VALU_DEP_2)
	v_and_or_b32 v7, 0x7f00, v1, 0.5
	v_bfe_i32 v1, v1, 0, 16
	v_add_f32_e32 v7, -0.5, v7
	v_lshrrev_b32_e32 v6, 4, v3
	v_cmp_gt_u32_e32 vcc_lo, 0x8000000, v3
	s_delay_alu instid0(VALU_DEP_2) | instskip(NEXT) | instid1(VALU_DEP_1)
	v_or_b32_e32 v6, 0x70000000, v6
	v_mul_f32_e32 v6, 0x7800000, v6
	s_delay_alu instid0(VALU_DEP_1) | instskip(NEXT) | instid1(VALU_DEP_1)
	v_cndmask_b32_e32 v3, v6, v7, vcc_lo
	v_and_or_b32 v1, 0x80000000, v1, v3
	s_delay_alu instid0(VALU_DEP_1)
	v_cvt_i32_f32_e32 v6, v1
.LBB110_310:
	s_mov_b32 s26, 0
	s_mov_b32 s19, -1
.LBB110_311:
	s_and_not1_b32 vcc_lo, exec_lo, s26
	s_cbranch_vccnz .LBB110_324
; %bb.312:
	s_cmp_gt_i32 s0, 14
	s_cbranch_scc0 .LBB110_315
; %bb.313:
	s_cmp_eq_u32 s0, 15
	s_cbranch_scc0 .LBB110_318
; %bb.314:
	s_wait_loadcnt 0x0
	global_load_u16 v1, v[4:5], off
	s_mov_b32 s19, -1
	s_mov_b32 s21, 0
	s_wait_loadcnt 0x0
	v_lshlrev_b32_e32 v1, 16, v1
	s_delay_alu instid0(VALU_DEP_1)
	v_cvt_i32_f32_e32 v6, v1
	s_branch .LBB110_319
.LBB110_315:
	s_mov_b32 s26, -1
                                        ; implicit-def: $vgpr6
	s_branch .LBB110_320
.LBB110_316:
	s_and_not1_saveexec_b32 s19, s19
	s_cbranch_execz .LBB110_297
.LBB110_317:
	v_cmp_ne_u16_e32 vcc_lo, 0, v1
	s_and_not1_b32 s26, s26, exec_lo
	s_and_b32 s27, vcc_lo, exec_lo
	s_delay_alu instid0(SALU_CYCLE_1)
	s_or_b32 s26, s26, s27
	s_or_b32 exec_lo, exec_lo, s19
	v_mov_b32_e32 v6, 0
	s_and_saveexec_b32 s19, s26
	s_cbranch_execnz .LBB110_298
	s_branch .LBB110_299
.LBB110_318:
	s_mov_b32 s21, -1
                                        ; implicit-def: $vgpr6
.LBB110_319:
	s_mov_b32 s26, 0
.LBB110_320:
	s_delay_alu instid0(SALU_CYCLE_1)
	s_and_b32 vcc_lo, exec_lo, s26
	s_cbranch_vccz .LBB110_324
; %bb.321:
	s_cmp_eq_u32 s0, 11
	s_cbranch_scc0 .LBB110_323
; %bb.322:
	s_wait_loadcnt 0x0
	global_load_u8 v1, v[4:5], off
	s_mov_b32 s21, 0
	s_mov_b32 s19, -1
	s_wait_loadcnt 0x0
	v_cmp_ne_u16_e32 vcc_lo, 0, v1
	v_cndmask_b32_e64 v6, 0, 1, vcc_lo
	s_branch .LBB110_324
.LBB110_323:
	s_mov_b32 s21, -1
                                        ; implicit-def: $vgpr6
.LBB110_324:
	s_mov_b32 s26, 0
.LBB110_325:
	s_delay_alu instid0(SALU_CYCLE_1)
	s_and_b32 vcc_lo, exec_lo, s26
	s_cbranch_vccz .LBB110_374
; %bb.326:
	s_cmp_lt_i32 s0, 5
	s_cbranch_scc1 .LBB110_331
; %bb.327:
	s_cmp_lt_i32 s0, 8
	s_cbranch_scc1 .LBB110_332
; %bb.328:
	s_cmp_lt_i32 s0, 9
	s_cbranch_scc1 .LBB110_333
; %bb.329:
	s_cmp_gt_i32 s0, 9
	s_cbranch_scc0 .LBB110_334
; %bb.330:
	s_wait_loadcnt 0x0
	global_load_b64 v[6:7], v[4:5], off
	s_mov_b32 s19, 0
	s_wait_loadcnt 0x0
	v_cvt_i32_f64_e32 v6, v[6:7]
	s_branch .LBB110_335
.LBB110_331:
	s_mov_b32 s19, -1
                                        ; implicit-def: $vgpr6
	s_branch .LBB110_353
.LBB110_332:
	s_mov_b32 s19, -1
                                        ; implicit-def: $vgpr6
	s_branch .LBB110_341
.LBB110_333:
	s_mov_b32 s19, -1
                                        ; implicit-def: $vgpr6
	s_branch .LBB110_338
.LBB110_334:
	s_mov_b32 s19, -1
                                        ; implicit-def: $vgpr6
.LBB110_335:
	s_delay_alu instid0(SALU_CYCLE_1)
	s_and_not1_b32 vcc_lo, exec_lo, s19
	s_cbranch_vccnz .LBB110_337
; %bb.336:
	s_wait_loadcnt 0x0
	global_load_b32 v1, v[4:5], off
	s_wait_loadcnt 0x0
	v_cvt_i32_f32_e32 v6, v1
.LBB110_337:
	s_mov_b32 s19, 0
.LBB110_338:
	s_delay_alu instid0(SALU_CYCLE_1)
	s_and_not1_b32 vcc_lo, exec_lo, s19
	s_cbranch_vccnz .LBB110_340
; %bb.339:
	s_wait_loadcnt 0x0
	global_load_b32 v1, v[4:5], off
	s_wait_loadcnt 0x0
	v_cvt_i16_f16_e32 v6, v1
.LBB110_340:
	s_mov_b32 s19, 0
.LBB110_341:
	s_delay_alu instid0(SALU_CYCLE_1)
	s_and_not1_b32 vcc_lo, exec_lo, s19
	s_cbranch_vccnz .LBB110_352
; %bb.342:
	s_cmp_lt_i32 s0, 6
	s_cbranch_scc1 .LBB110_345
; %bb.343:
	s_cmp_gt_i32 s0, 6
	s_cbranch_scc0 .LBB110_346
; %bb.344:
	s_wait_loadcnt 0x0
	global_load_b64 v[6:7], v[4:5], off
	s_mov_b32 s19, 0
	s_wait_loadcnt 0x0
	v_cvt_i32_f64_e32 v6, v[6:7]
	s_branch .LBB110_347
.LBB110_345:
	s_mov_b32 s19, -1
                                        ; implicit-def: $vgpr6
	s_branch .LBB110_350
.LBB110_346:
	s_mov_b32 s19, -1
                                        ; implicit-def: $vgpr6
.LBB110_347:
	s_delay_alu instid0(SALU_CYCLE_1)
	s_and_not1_b32 vcc_lo, exec_lo, s19
	s_cbranch_vccnz .LBB110_349
; %bb.348:
	s_wait_loadcnt 0x0
	global_load_b32 v1, v[4:5], off
	s_wait_loadcnt 0x0
	v_cvt_i32_f32_e32 v6, v1
.LBB110_349:
	s_mov_b32 s19, 0
.LBB110_350:
	s_delay_alu instid0(SALU_CYCLE_1)
	s_and_not1_b32 vcc_lo, exec_lo, s19
	s_cbranch_vccnz .LBB110_352
; %bb.351:
	s_wait_loadcnt 0x0
	global_load_u16 v1, v[4:5], off
	s_wait_loadcnt 0x0
	v_cvt_i16_f16_e32 v6, v1
.LBB110_352:
	s_mov_b32 s19, 0
.LBB110_353:
	s_delay_alu instid0(SALU_CYCLE_1)
	s_and_not1_b32 vcc_lo, exec_lo, s19
	s_cbranch_vccnz .LBB110_373
; %bb.354:
	s_cmp_lt_i32 s0, 2
	s_cbranch_scc1 .LBB110_358
; %bb.355:
	s_cmp_lt_i32 s0, 3
	s_cbranch_scc1 .LBB110_359
; %bb.356:
	s_cmp_gt_i32 s0, 3
	s_cbranch_scc0 .LBB110_360
; %bb.357:
	s_wait_loadcnt 0x0
	global_load_b64 v[6:7], v[4:5], off
	s_mov_b32 s19, 0
	s_branch .LBB110_361
.LBB110_358:
	s_mov_b32 s19, -1
                                        ; implicit-def: $vgpr6
	s_branch .LBB110_367
.LBB110_359:
	s_mov_b32 s19, -1
                                        ; implicit-def: $vgpr6
	s_branch .LBB110_364
.LBB110_360:
	s_mov_b32 s19, -1
                                        ; implicit-def: $vgpr6
.LBB110_361:
	s_delay_alu instid0(SALU_CYCLE_1)
	s_and_not1_b32 vcc_lo, exec_lo, s19
	s_cbranch_vccnz .LBB110_363
; %bb.362:
	s_wait_loadcnt 0x0
	global_load_b32 v6, v[4:5], off
.LBB110_363:
	s_mov_b32 s19, 0
.LBB110_364:
	s_delay_alu instid0(SALU_CYCLE_1)
	s_and_not1_b32 vcc_lo, exec_lo, s19
	s_cbranch_vccnz .LBB110_366
; %bb.365:
	s_wait_loadcnt 0x0
	global_load_u16 v6, v[4:5], off
.LBB110_366:
	s_mov_b32 s19, 0
.LBB110_367:
	s_delay_alu instid0(SALU_CYCLE_1)
	s_and_not1_b32 vcc_lo, exec_lo, s19
	s_cbranch_vccnz .LBB110_373
; %bb.368:
	s_cmp_gt_i32 s0, 0
	s_mov_b32 s0, 0
	s_cbranch_scc0 .LBB110_370
; %bb.369:
	s_wait_loadcnt 0x0
	global_load_u8 v6, v[4:5], off
	s_branch .LBB110_371
.LBB110_370:
	s_mov_b32 s0, -1
                                        ; implicit-def: $vgpr6
.LBB110_371:
	s_delay_alu instid0(SALU_CYCLE_1)
	s_and_not1_b32 vcc_lo, exec_lo, s0
	s_cbranch_vccnz .LBB110_373
; %bb.372:
	s_wait_loadcnt 0x0
	global_load_u8 v6, v[4:5], off
.LBB110_373:
	s_mov_b32 s19, -1
.LBB110_374:
	s_delay_alu instid0(SALU_CYCLE_1)
	s_and_not1_b32 vcc_lo, exec_lo, s19
	s_cbranch_vccnz .LBB110_382
; %bb.375:
	s_wait_xcnt 0x0
	v_mul_lo_u32 v4, v26, s12
	s_wait_loadcnt 0x0
	v_bfe_i32 v1, v2, 0, 8
	v_bfe_i32 v0, v0, 0, 8
	s_delay_alu instid0(VALU_DEP_4) | instskip(SKIP_1) | instid1(SALU_CYCLE_1)
	v_bfe_i32 v3, v6, 0, 8
	s_and_b32 s19, s2, 0xff
	s_cmp_lt_i32 s19, 11
	s_delay_alu instid0(VALU_DEP_2) | instskip(SKIP_1) | instid1(VALU_DEP_1)
	v_max_i16 v2, v0, v1
	v_ashrrev_i32_e32 v5, 31, v4
	v_add_nc_u64_e32 v[0:1], s[4:5], v[4:5]
	s_delay_alu instid0(VALU_DEP_3)
	v_min_i16 v4, v2, v3
	s_cbranch_scc1 .LBB110_383
; %bb.376:
	s_and_b32 s26, 0xffff, s19
	s_delay_alu instid0(SALU_CYCLE_1)
	s_cmp_gt_i32 s26, 25
	s_cbranch_scc0 .LBB110_384
; %bb.377:
	s_cmp_gt_i32 s26, 28
	s_cbranch_scc0 .LBB110_385
; %bb.378:
	;; [unrolled: 3-line block ×4, first 2 shown]
	s_mov_b32 s28, 0
	s_mov_b32 s0, -1
	s_cmp_eq_u32 s26, 46
	s_mov_b32 s27, 0
	s_cbranch_scc0 .LBB110_388
; %bb.381:
	v_bfe_i32 v2, v4, 0, 16
	s_mov_b32 s27, -1
	s_mov_b32 s0, 0
	s_delay_alu instid0(VALU_DEP_1) | instskip(NEXT) | instid1(VALU_DEP_1)
	v_cvt_f32_i32_e32 v2, v2
	v_bfe_u32 v3, v2, 16, 1
	s_delay_alu instid0(VALU_DEP_1) | instskip(NEXT) | instid1(VALU_DEP_1)
	v_add3_u32 v2, v2, v3, 0x7fff
	v_lshrrev_b32_e32 v2, 16, v2
	global_store_b32 v[0:1], v2, off
	s_branch .LBB110_388
.LBB110_382:
	s_mov_b32 s0, 0
	s_branch .LBB110_498
.LBB110_383:
	s_mov_b32 s26, -1
	s_mov_b32 s0, 0
	s_mov_b32 s27, 0
	s_branch .LBB110_457
.LBB110_384:
	s_mov_b32 s0, 0
	s_mov_b32 s27, 0
	s_branch .LBB110_415
.LBB110_385:
	s_mov_b32 s0, 0
	s_mov_b32 s27, 0
	s_branch .LBB110_398
.LBB110_386:
	s_mov_b32 s0, 0
	s_mov_b32 s27, 0
	s_branch .LBB110_394
.LBB110_387:
	s_mov_b32 s0, 0
	s_mov_b32 s27, 0
.LBB110_388:
	s_and_b32 vcc_lo, exec_lo, s28
	s_cbranch_vccz .LBB110_393
; %bb.389:
	s_cmp_eq_u32 s26, 44
	s_mov_b32 s0, -1
	s_cbranch_scc0 .LBB110_393
; %bb.390:
	s_wait_xcnt 0x0
	v_bfe_i32 v2, v4, 0, 16
	v_mov_b32_e32 v3, 0xff
	s_mov_b32 s27, exec_lo
	s_delay_alu instid0(VALU_DEP_2) | instskip(NEXT) | instid1(VALU_DEP_1)
	v_cvt_f32_i32_e32 v2, v2
	v_bfe_u32 v5, v2, 23, 8
	s_delay_alu instid0(VALU_DEP_1)
	v_cmpx_ne_u32_e32 0xff, v5
	s_cbranch_execz .LBB110_392
; %bb.391:
	v_and_b32_e32 v3, 0x400000, v2
	v_and_or_b32 v5, 0x3fffff, v2, v5
	v_lshrrev_b32_e32 v2, 23, v2
	s_delay_alu instid0(VALU_DEP_3) | instskip(NEXT) | instid1(VALU_DEP_3)
	v_cmp_ne_u32_e32 vcc_lo, 0, v3
	v_cmp_ne_u32_e64 s0, 0, v5
	s_and_b32 s0, vcc_lo, s0
	s_delay_alu instid0(SALU_CYCLE_1) | instskip(NEXT) | instid1(VALU_DEP_1)
	v_cndmask_b32_e64 v3, 0, 1, s0
	v_add_nc_u32_e32 v3, v2, v3
.LBB110_392:
	s_or_b32 exec_lo, exec_lo, s27
	s_mov_b32 s27, -1
	s_mov_b32 s0, 0
	global_store_b8 v[0:1], v3, off
.LBB110_393:
	s_mov_b32 s28, 0
.LBB110_394:
	s_delay_alu instid0(SALU_CYCLE_1)
	s_and_b32 vcc_lo, exec_lo, s28
	s_cbranch_vccz .LBB110_397
; %bb.395:
	s_cmp_eq_u32 s26, 29
	s_mov_b32 s0, -1
	s_cbranch_scc0 .LBB110_397
; %bb.396:
	s_wait_xcnt 0x0
	v_bfe_i32 v2, v4, 0, 16
	s_mov_b32 s0, 0
	s_mov_b32 s27, -1
	s_mov_b32 s28, 0
	s_delay_alu instid0(VALU_DEP_1)
	v_ashrrev_i32_e32 v3, 31, v2
	global_store_b64 v[0:1], v[2:3], off
	s_branch .LBB110_398
.LBB110_397:
	s_mov_b32 s28, 0
.LBB110_398:
	s_delay_alu instid0(SALU_CYCLE_1)
	s_and_b32 vcc_lo, exec_lo, s28
	s_cbranch_vccz .LBB110_414
; %bb.399:
	s_cmp_lt_i32 s26, 27
	s_mov_b32 s27, -1
	s_cbranch_scc1 .LBB110_405
; %bb.400:
	s_cmp_gt_i32 s26, 27
	s_cbranch_scc0 .LBB110_402
; %bb.401:
	s_wait_xcnt 0x0
	v_bfe_i32 v2, v4, 0, 16
	s_mov_b32 s27, 0
	global_store_b32 v[0:1], v2, off
.LBB110_402:
	s_and_not1_b32 vcc_lo, exec_lo, s27
	s_cbranch_vccnz .LBB110_404
; %bb.403:
	global_store_b16 v[0:1], v4, off
.LBB110_404:
	s_mov_b32 s27, 0
.LBB110_405:
	s_delay_alu instid0(SALU_CYCLE_1)
	s_and_not1_b32 vcc_lo, exec_lo, s27
	s_cbranch_vccnz .LBB110_413
; %bb.406:
	s_wait_xcnt 0x0
	v_bfe_i32 v2, v4, 0, 16
	v_mov_b32_e32 v5, 0x80
	s_mov_b32 s27, exec_lo
	s_delay_alu instid0(VALU_DEP_2) | instskip(NEXT) | instid1(VALU_DEP_1)
	v_cvt_f32_i32_e32 v2, v2
	v_and_b32_e32 v3, 0x7fffffff, v2
	s_delay_alu instid0(VALU_DEP_1)
	v_cmpx_gt_u32_e32 0x43800000, v3
	s_cbranch_execz .LBB110_412
; %bb.407:
	v_cmp_lt_u32_e32 vcc_lo, 0x3bffffff, v3
	s_mov_b32 s28, 0
                                        ; implicit-def: $vgpr3
	s_and_saveexec_b32 s29, vcc_lo
	s_delay_alu instid0(SALU_CYCLE_1)
	s_xor_b32 s29, exec_lo, s29
	s_cbranch_execz .LBB110_642
; %bb.408:
	v_bfe_u32 v3, v2, 20, 1
	s_mov_b32 s28, exec_lo
	s_delay_alu instid0(VALU_DEP_1) | instskip(NEXT) | instid1(VALU_DEP_1)
	v_add3_u32 v3, v2, v3, 0x487ffff
	v_lshrrev_b32_e32 v3, 20, v3
	s_and_not1_saveexec_b32 s29, s29
	s_cbranch_execnz .LBB110_643
.LBB110_409:
	s_or_b32 exec_lo, exec_lo, s29
	v_mov_b32_e32 v5, 0
	s_and_saveexec_b32 s29, s28
.LBB110_410:
	v_lshrrev_b32_e32 v2, 24, v2
	s_delay_alu instid0(VALU_DEP_1)
	v_and_or_b32 v5, 0x80, v2, v3
.LBB110_411:
	s_or_b32 exec_lo, exec_lo, s29
.LBB110_412:
	s_delay_alu instid0(SALU_CYCLE_1)
	s_or_b32 exec_lo, exec_lo, s27
	global_store_b8 v[0:1], v5, off
.LBB110_413:
	s_mov_b32 s27, -1
.LBB110_414:
	s_mov_b32 s28, 0
.LBB110_415:
	s_delay_alu instid0(SALU_CYCLE_1)
	s_and_b32 vcc_lo, exec_lo, s28
	s_cbranch_vccz .LBB110_456
; %bb.416:
	s_cmp_gt_i32 s26, 22
	s_mov_b32 s28, -1
	s_cbranch_scc0 .LBB110_448
; %bb.417:
	s_cmp_lt_i32 s26, 24
	s_mov_b32 s27, -1
	s_cbranch_scc1 .LBB110_437
; %bb.418:
	s_cmp_gt_i32 s26, 24
	s_cbranch_scc0 .LBB110_426
; %bb.419:
	s_wait_xcnt 0x0
	v_bfe_i32 v2, v4, 0, 16
	v_mov_b32_e32 v5, 0x80
	s_mov_b32 s27, exec_lo
	s_delay_alu instid0(VALU_DEP_2) | instskip(NEXT) | instid1(VALU_DEP_1)
	v_cvt_f32_i32_e32 v2, v2
	v_and_b32_e32 v3, 0x7fffffff, v2
	s_delay_alu instid0(VALU_DEP_1)
	v_cmpx_gt_u32_e32 0x47800000, v3
	s_cbranch_execz .LBB110_425
; %bb.420:
	v_cmp_lt_u32_e32 vcc_lo, 0x37ffffff, v3
	s_mov_b32 s28, 0
                                        ; implicit-def: $vgpr3
	s_and_saveexec_b32 s29, vcc_lo
	s_delay_alu instid0(SALU_CYCLE_1)
	s_xor_b32 s29, exec_lo, s29
	s_cbranch_execz .LBB110_770
; %bb.421:
	v_bfe_u32 v3, v2, 21, 1
	s_mov_b32 s28, exec_lo
	s_delay_alu instid0(VALU_DEP_1) | instskip(NEXT) | instid1(VALU_DEP_1)
	v_add3_u32 v3, v2, v3, 0x88fffff
	v_lshrrev_b32_e32 v3, 21, v3
	s_and_not1_saveexec_b32 s29, s29
	s_cbranch_execnz .LBB110_771
.LBB110_422:
	s_or_b32 exec_lo, exec_lo, s29
	v_mov_b32_e32 v5, 0
	s_and_saveexec_b32 s29, s28
.LBB110_423:
	v_lshrrev_b32_e32 v2, 24, v2
	s_delay_alu instid0(VALU_DEP_1)
	v_and_or_b32 v5, 0x80, v2, v3
.LBB110_424:
	s_or_b32 exec_lo, exec_lo, s29
.LBB110_425:
	s_delay_alu instid0(SALU_CYCLE_1)
	s_or_b32 exec_lo, exec_lo, s27
	s_mov_b32 s27, 0
	global_store_b8 v[0:1], v5, off
.LBB110_426:
	s_and_b32 vcc_lo, exec_lo, s27
	s_cbranch_vccz .LBB110_436
; %bb.427:
	s_wait_xcnt 0x0
	v_bfe_i32 v2, v4, 0, 16
	s_mov_b32 s27, exec_lo
                                        ; implicit-def: $vgpr3
	s_delay_alu instid0(VALU_DEP_1) | instskip(NEXT) | instid1(VALU_DEP_1)
	v_cvt_f32_i32_e32 v2, v2
	v_and_b32_e32 v5, 0x7fffffff, v2
	s_delay_alu instid0(VALU_DEP_1)
	v_cmpx_gt_u32_e32 0x43f00000, v5
	s_xor_b32 s27, exec_lo, s27
	s_cbranch_execz .LBB110_433
; %bb.428:
	s_mov_b32 s28, exec_lo
                                        ; implicit-def: $vgpr3
	v_cmpx_lt_u32_e32 0x3c7fffff, v5
	s_xor_b32 s28, exec_lo, s28
; %bb.429:
	v_bfe_u32 v3, v2, 20, 1
	s_delay_alu instid0(VALU_DEP_1) | instskip(NEXT) | instid1(VALU_DEP_1)
	v_add3_u32 v3, v2, v3, 0x407ffff
	v_and_b32_e32 v5, 0xff00000, v3
	v_lshrrev_b32_e32 v3, 20, v3
	s_delay_alu instid0(VALU_DEP_2) | instskip(NEXT) | instid1(VALU_DEP_2)
	v_cmp_ne_u32_e32 vcc_lo, 0x7f00000, v5
	v_cndmask_b32_e32 v3, 0x7e, v3, vcc_lo
; %bb.430:
	s_and_not1_saveexec_b32 s28, s28
; %bb.431:
	v_add_f32_e64 v3, 0x46800000, |v2|
; %bb.432:
	s_or_b32 exec_lo, exec_lo, s28
                                        ; implicit-def: $vgpr5
.LBB110_433:
	s_and_not1_saveexec_b32 s27, s27
; %bb.434:
	v_mov_b32_e32 v3, 0x7f
	v_cmp_lt_u32_e32 vcc_lo, 0x7f800000, v5
	s_delay_alu instid0(VALU_DEP_2)
	v_cndmask_b32_e32 v3, 0x7e, v3, vcc_lo
; %bb.435:
	s_or_b32 exec_lo, exec_lo, s27
	v_lshrrev_b32_e32 v2, 24, v2
	s_delay_alu instid0(VALU_DEP_1)
	v_and_or_b32 v2, 0x80, v2, v3
	global_store_b8 v[0:1], v2, off
.LBB110_436:
	s_mov_b32 s27, 0
.LBB110_437:
	s_delay_alu instid0(SALU_CYCLE_1)
	s_and_not1_b32 vcc_lo, exec_lo, s27
	s_cbranch_vccnz .LBB110_447
; %bb.438:
	s_wait_xcnt 0x0
	v_bfe_i32 v2, v4, 0, 16
	s_mov_b32 s27, exec_lo
                                        ; implicit-def: $vgpr3
	s_delay_alu instid0(VALU_DEP_1) | instskip(NEXT) | instid1(VALU_DEP_1)
	v_cvt_f32_i32_e32 v2, v2
	v_and_b32_e32 v5, 0x7fffffff, v2
	s_delay_alu instid0(VALU_DEP_1)
	v_cmpx_gt_u32_e32 0x47800000, v5
	s_xor_b32 s27, exec_lo, s27
	s_cbranch_execz .LBB110_444
; %bb.439:
	s_mov_b32 s28, exec_lo
                                        ; implicit-def: $vgpr3
	v_cmpx_lt_u32_e32 0x387fffff, v5
	s_xor_b32 s28, exec_lo, s28
; %bb.440:
	v_bfe_u32 v3, v2, 21, 1
	s_delay_alu instid0(VALU_DEP_1) | instskip(NEXT) | instid1(VALU_DEP_1)
	v_add3_u32 v3, v2, v3, 0x80fffff
	v_lshrrev_b32_e32 v3, 21, v3
; %bb.441:
	s_and_not1_saveexec_b32 s28, s28
; %bb.442:
	v_add_f32_e64 v3, 0x43000000, |v2|
; %bb.443:
	s_or_b32 exec_lo, exec_lo, s28
                                        ; implicit-def: $vgpr5
.LBB110_444:
	s_and_not1_saveexec_b32 s27, s27
; %bb.445:
	v_mov_b32_e32 v3, 0x7f
	v_cmp_lt_u32_e32 vcc_lo, 0x7f800000, v5
	s_delay_alu instid0(VALU_DEP_2)
	v_cndmask_b32_e32 v3, 0x7c, v3, vcc_lo
; %bb.446:
	s_or_b32 exec_lo, exec_lo, s27
	v_lshrrev_b32_e32 v2, 24, v2
	s_delay_alu instid0(VALU_DEP_1)
	v_and_or_b32 v2, 0x80, v2, v3
	global_store_b8 v[0:1], v2, off
.LBB110_447:
	s_mov_b32 s28, 0
	s_mov_b32 s27, -1
.LBB110_448:
	s_and_not1_b32 vcc_lo, exec_lo, s28
	s_cbranch_vccnz .LBB110_456
; %bb.449:
	s_cmp_gt_i32 s26, 14
	s_mov_b32 s28, -1
	s_cbranch_scc0 .LBB110_453
; %bb.450:
	s_cmp_eq_u32 s26, 15
	s_mov_b32 s0, -1
	s_cbranch_scc0 .LBB110_452
; %bb.451:
	s_wait_xcnt 0x0
	v_bfe_i32 v2, v4, 0, 16
	s_mov_b32 s27, -1
	s_mov_b32 s0, 0
	s_delay_alu instid0(VALU_DEP_1) | instskip(NEXT) | instid1(VALU_DEP_1)
	v_cvt_f32_i32_e32 v2, v2
	v_bfe_u32 v3, v2, 16, 1
	s_delay_alu instid0(VALU_DEP_1)
	v_add3_u32 v2, v2, v3, 0x7fff
	global_store_d16_hi_b16 v[0:1], v2, off
.LBB110_452:
	s_mov_b32 s28, 0
.LBB110_453:
	s_delay_alu instid0(SALU_CYCLE_1)
	s_and_b32 vcc_lo, exec_lo, s28
	s_cbranch_vccz .LBB110_456
; %bb.454:
	s_cmp_eq_u32 s26, 11
	s_mov_b32 s0, -1
	s_cbranch_scc0 .LBB110_456
; %bb.455:
	v_cmp_ne_u16_e32 vcc_lo, 0, v4
	s_mov_b32 s0, 0
	s_mov_b32 s27, -1
	s_wait_xcnt 0x0
	v_cndmask_b32_e64 v2, 0, 1, vcc_lo
	global_store_b8 v[0:1], v2, off
.LBB110_456:
	s_mov_b32 s26, 0
.LBB110_457:
	s_delay_alu instid0(SALU_CYCLE_1)
	s_and_b32 vcc_lo, exec_lo, s26
	s_cbranch_vccz .LBB110_496
; %bb.458:
	s_and_b32 s19, 0xffff, s19
	s_mov_b32 s26, -1
	s_cmp_lt_i32 s19, 5
	s_cbranch_scc1 .LBB110_479
; %bb.459:
	s_cmp_lt_i32 s19, 8
	s_cbranch_scc1 .LBB110_469
; %bb.460:
	;; [unrolled: 3-line block ×3, first 2 shown]
	s_cmp_gt_i32 s19, 9
	s_cbranch_scc0 .LBB110_463
; %bb.462:
	s_wait_xcnt 0x0
	v_bfe_i32 v2, v4, 0, 16
	v_mov_b32_e32 v8, 0
	s_mov_b32 s26, 0
	s_delay_alu instid0(VALU_DEP_2) | instskip(NEXT) | instid1(VALU_DEP_2)
	v_cvt_f64_i32_e32 v[6:7], v2
	v_mov_b32_e32 v9, v8
	global_store_b128 v[0:1], v[6:9], off
.LBB110_463:
	s_and_not1_b32 vcc_lo, exec_lo, s26
	s_cbranch_vccnz .LBB110_465
; %bb.464:
	s_wait_xcnt 0x0
	v_bfe_i32 v2, v4, 0, 16
	v_mov_b32_e32 v3, 0
	s_delay_alu instid0(VALU_DEP_2)
	v_cvt_f32_i32_e32 v2, v2
	global_store_b64 v[0:1], v[2:3], off
.LBB110_465:
	s_mov_b32 s26, 0
.LBB110_466:
	s_delay_alu instid0(SALU_CYCLE_1)
	s_and_not1_b32 vcc_lo, exec_lo, s26
	s_cbranch_vccnz .LBB110_468
; %bb.467:
	s_wait_xcnt 0x0
	v_cvt_f16_i16_e32 v2, v4
	s_delay_alu instid0(VALU_DEP_1)
	v_and_b32_e32 v2, 0xffff, v2
	global_store_b32 v[0:1], v2, off
.LBB110_468:
	s_mov_b32 s26, 0
.LBB110_469:
	s_delay_alu instid0(SALU_CYCLE_1)
	s_and_not1_b32 vcc_lo, exec_lo, s26
	s_cbranch_vccnz .LBB110_478
; %bb.470:
	s_cmp_lt_i32 s19, 6
	s_mov_b32 s26, -1
	s_cbranch_scc1 .LBB110_476
; %bb.471:
	s_cmp_gt_i32 s19, 6
	s_cbranch_scc0 .LBB110_473
; %bb.472:
	s_wait_xcnt 0x0
	v_bfe_i32 v2, v4, 0, 16
	s_mov_b32 s26, 0
	s_delay_alu instid0(VALU_DEP_1)
	v_cvt_f64_i32_e32 v[2:3], v2
	global_store_b64 v[0:1], v[2:3], off
.LBB110_473:
	s_and_not1_b32 vcc_lo, exec_lo, s26
	s_cbranch_vccnz .LBB110_475
; %bb.474:
	s_wait_xcnt 0x0
	v_bfe_i32 v2, v4, 0, 16
	s_delay_alu instid0(VALU_DEP_1)
	v_cvt_f32_i32_e32 v2, v2
	global_store_b32 v[0:1], v2, off
.LBB110_475:
	s_mov_b32 s26, 0
.LBB110_476:
	s_delay_alu instid0(SALU_CYCLE_1)
	s_and_not1_b32 vcc_lo, exec_lo, s26
	s_cbranch_vccnz .LBB110_478
; %bb.477:
	s_wait_xcnt 0x0
	v_cvt_f16_i16_e32 v2, v4
	global_store_b16 v[0:1], v2, off
.LBB110_478:
	s_mov_b32 s26, 0
.LBB110_479:
	s_delay_alu instid0(SALU_CYCLE_1)
	s_and_not1_b32 vcc_lo, exec_lo, s26
	s_cbranch_vccnz .LBB110_495
; %bb.480:
	s_cmp_lt_i32 s19, 2
	s_mov_b32 s26, -1
	s_cbranch_scc1 .LBB110_490
; %bb.481:
	s_cmp_lt_i32 s19, 3
	s_cbranch_scc1 .LBB110_487
; %bb.482:
	s_wait_xcnt 0x0
	v_bfe_i32 v2, v4, 0, 16
	s_cmp_gt_i32 s19, 3
	s_cbranch_scc0 .LBB110_484
; %bb.483:
	s_delay_alu instid0(VALU_DEP_1)
	v_ashrrev_i32_e32 v3, 31, v2
	s_mov_b32 s26, 0
	global_store_b64 v[0:1], v[2:3], off
.LBB110_484:
	s_and_not1_b32 vcc_lo, exec_lo, s26
	s_cbranch_vccnz .LBB110_486
; %bb.485:
	global_store_b32 v[0:1], v2, off
.LBB110_486:
	s_mov_b32 s26, 0
.LBB110_487:
	s_delay_alu instid0(SALU_CYCLE_1)
	s_and_not1_b32 vcc_lo, exec_lo, s26
	s_cbranch_vccnz .LBB110_489
; %bb.488:
	global_store_b16 v[0:1], v4, off
.LBB110_489:
	s_mov_b32 s26, 0
.LBB110_490:
	s_delay_alu instid0(SALU_CYCLE_1)
	s_and_not1_b32 vcc_lo, exec_lo, s26
	s_cbranch_vccnz .LBB110_495
; %bb.491:
	s_cmp_gt_i32 s19, 0
	s_mov_b32 s19, -1
	s_cbranch_scc0 .LBB110_493
; %bb.492:
	s_mov_b32 s19, 0
	global_store_b8 v[0:1], v4, off
.LBB110_493:
	s_and_not1_b32 vcc_lo, exec_lo, s19
	s_cbranch_vccnz .LBB110_495
; %bb.494:
	global_store_b8 v[0:1], v4, off
.LBB110_495:
	s_mov_b32 s27, -1
.LBB110_496:
	s_delay_alu instid0(SALU_CYCLE_1)
	s_and_not1_b32 vcc_lo, exec_lo, s27
	s_cbranch_vccnz .LBB110_498
; %bb.497:
	v_add_nc_u32_e32 v26, 0x80, v26
	s_mov_b32 s26, -1
	s_branch .LBB110_499
.LBB110_498:
	s_mov_b32 s26, 0
                                        ; implicit-def: $vgpr26
.LBB110_499:
	s_and_b32 s19, s0, exec_lo
	s_and_b32 s21, s21, exec_lo
	;; [unrolled: 1-line block ×4, first 2 shown]
	s_or_not1_b32 s28, s26, exec_lo
.LBB110_500:
	s_wait_xcnt 0x0
	s_or_b32 exec_lo, exec_lo, s24
	s_mov_b32 s27, 0
	s_mov_b32 s26, 0
                                        ; implicit-def: $sgpr0
                                        ; implicit-def: $vgpr2_vgpr3
                                        ; implicit-def: $vgpr0
	s_and_saveexec_b32 s24, s28
	s_cbranch_execz .LBB110_509
; %bb.501:
	s_mov_b32 s31, -1
	s_mov_b32 s25, s23
	s_mov_b32 s28, s22
	;; [unrolled: 1-line block ×4, first 2 shown]
	s_mov_b32 s29, exec_lo
	v_cmpx_gt_i32_e64 s20, v26
	s_cbranch_execz .LBB110_1011
; %bb.502:
	s_wait_loadcnt 0x0
	v_mul_lo_u32 v0, v26, s13
	s_and_b32 s0, s17, 0xff
	s_delay_alu instid0(SALU_CYCLE_1) | instskip(NEXT) | instid1(VALU_DEP_1)
	s_cmp_lt_i32 s0, 11
	v_ashrrev_i32_e32 v1, 31, v0
	s_delay_alu instid0(VALU_DEP_1)
	v_add_nc_u64_e32 v[2:3], s[6:7], v[0:1]
	s_cbranch_scc1 .LBB110_512
; %bb.503:
	s_and_b32 s26, 0xffff, s0
	s_delay_alu instid0(SALU_CYCLE_1)
	s_cmp_gt_i32 s26, 25
	s_cbranch_scc0 .LBB110_521
; %bb.504:
	s_cmp_gt_i32 s26, 28
	s_cbranch_scc0 .LBB110_523
; %bb.505:
	;; [unrolled: 3-line block ×4, first 2 shown]
	s_cmp_eq_u32 s26, 46
	s_mov_b32 s28, 0
	s_cbranch_scc0 .LBB110_529
; %bb.508:
	global_load_b32 v0, v[2:3], off
	s_mov_b32 s27, -1
	s_mov_b32 s25, 0
	s_wait_loadcnt 0x0
	v_lshlrev_b32_e32 v0, 16, v0
	s_delay_alu instid0(VALU_DEP_1)
	v_cvt_i32_f32_e32 v0, v0
	s_branch .LBB110_531
.LBB110_509:
	s_or_b32 exec_lo, exec_lo, s24
	s_mov_b32 s20, 0
	s_and_saveexec_b32 s24, s23
	s_cbranch_execnz .LBB110_1599
.LBB110_510:
	s_or_b32 exec_lo, exec_lo, s24
	s_and_saveexec_b32 s23, s25
	s_delay_alu instid0(SALU_CYCLE_1)
	s_xor_b32 s23, exec_lo, s23
	s_cbranch_execz .LBB110_1600
.LBB110_511:
	s_wait_loadcnt 0x0
	global_load_u8 v0, v[2:3], off
	s_or_b32 s26, s26, exec_lo
	s_wait_loadcnt 0x0
	v_cmp_ne_u16_e32 vcc_lo, 0, v0
	v_cndmask_b32_e64 v0, 0, 1, vcc_lo
	s_wait_xcnt 0x0
	s_or_b32 exec_lo, exec_lo, s23
	s_and_saveexec_b32 s23, s27
	s_cbranch_execz .LBB110_1646
	s_branch .LBB110_1601
.LBB110_512:
	s_mov_b32 s27, 0
	s_mov_b32 s25, s23
                                        ; implicit-def: $vgpr0
	s_cbranch_execnz .LBB110_593
.LBB110_513:
	s_and_not1_b32 vcc_lo, exec_lo, s27
	s_cbranch_vccnz .LBB110_641
.LBB110_514:
	s_wait_xcnt 0x0
	v_mul_lo_u32 v2, v26, s14
	s_and_b32 s0, s3, 0xff
	s_delay_alu instid0(SALU_CYCLE_1) | instskip(NEXT) | instid1(VALU_DEP_1)
	s_cmp_lt_i32 s0, 11
	v_ashrrev_i32_e32 v3, 31, v2
	s_delay_alu instid0(VALU_DEP_1)
	v_add_nc_u64_e32 v[4:5], s[8:9], v[2:3]
	s_cbranch_scc1 .LBB110_522
; %bb.515:
	s_and_b32 s26, 0xffff, s0
	s_delay_alu instid0(SALU_CYCLE_1)
	s_cmp_gt_i32 s26, 25
	s_cbranch_scc0 .LBB110_524
; %bb.516:
	s_cmp_gt_i32 s26, 28
	s_cbranch_scc0 .LBB110_526
; %bb.517:
	;; [unrolled: 3-line block ×4, first 2 shown]
	s_cmp_eq_u32 s26, 46
	s_mov_b32 s30, 0
	s_cbranch_scc0 .LBB110_644
; %bb.520:
	s_wait_loadcnt 0x0
	global_load_b32 v1, v[4:5], off
	s_mov_b32 s27, -1
	s_mov_b32 s28, 0
	s_wait_loadcnt 0x0
	v_lshlrev_b32_e32 v1, 16, v1
	s_delay_alu instid0(VALU_DEP_1)
	v_cvt_i32_f32_e32 v2, v1
	s_branch .LBB110_646
.LBB110_521:
	s_mov_b32 s28, -1
	s_mov_b32 s27, 0
	s_mov_b32 s25, s23
                                        ; implicit-def: $vgpr0
	s_branch .LBB110_559
.LBB110_522:
	s_mov_b32 s26, -1
	s_mov_b32 s27, 0
	s_mov_b32 s28, s22
                                        ; implicit-def: $vgpr2
	s_branch .LBB110_707
.LBB110_523:
	s_mov_b32 s28, -1
	s_mov_b32 s27, 0
	s_mov_b32 s25, s23
                                        ; implicit-def: $vgpr0
	s_branch .LBB110_542
.LBB110_524:
	s_mov_b32 s30, -1
	s_mov_b32 s27, 0
	s_mov_b32 s28, s22
                                        ; implicit-def: $vgpr2
	s_branch .LBB110_673
.LBB110_525:
	s_mov_b32 s28, -1
	s_mov_b32 s27, 0
	s_mov_b32 s25, s23
                                        ; implicit-def: $vgpr0
	s_branch .LBB110_537
.LBB110_526:
	s_mov_b32 s30, -1
	s_mov_b32 s27, 0
	s_mov_b32 s28, s22
                                        ; implicit-def: $vgpr2
	s_branch .LBB110_656
.LBB110_527:
	s_mov_b32 s28, -1
	s_mov_b32 s27, 0
	s_mov_b32 s25, s23
	s_branch .LBB110_530
.LBB110_528:
	s_mov_b32 s30, -1
	s_mov_b32 s27, 0
	s_mov_b32 s28, s22
                                        ; implicit-def: $vgpr2
	s_branch .LBB110_651
.LBB110_529:
	s_mov_b32 s25, -1
	s_mov_b32 s27, 0
.LBB110_530:
                                        ; implicit-def: $vgpr0
.LBB110_531:
	s_and_b32 vcc_lo, exec_lo, s28
	s_cbranch_vccz .LBB110_536
; %bb.532:
	s_cmp_eq_u32 s26, 44
	s_cbranch_scc0 .LBB110_535
; %bb.533:
	global_load_u8 v0, v[2:3], off
	s_mov_b32 s25, 0
	s_mov_b32 s27, -1
	s_wait_loadcnt 0x0
	v_lshlrev_b32_e32 v1, 23, v0
	v_cmp_ne_u32_e32 vcc_lo, 0, v0
	s_delay_alu instid0(VALU_DEP_2) | instskip(NEXT) | instid1(VALU_DEP_1)
	v_cvt_i32_f32_e32 v1, v1
	v_cndmask_b32_e32 v0, 0, v1, vcc_lo
	s_branch .LBB110_536
.LBB110_534:
	s_mov_b32 s30, -1
	s_mov_b32 s27, 0
	s_mov_b32 s28, s22
	s_branch .LBB110_645
.LBB110_535:
	s_mov_b32 s25, -1
                                        ; implicit-def: $vgpr0
.LBB110_536:
	s_mov_b32 s28, 0
.LBB110_537:
	s_delay_alu instid0(SALU_CYCLE_1)
	s_and_b32 vcc_lo, exec_lo, s28
	s_cbranch_vccz .LBB110_541
; %bb.538:
	s_cmp_eq_u32 s26, 29
	s_cbranch_scc0 .LBB110_540
; %bb.539:
	global_load_b64 v[0:1], v[2:3], off
	s_mov_b32 s27, -1
	s_mov_b32 s25, 0
	s_branch .LBB110_541
.LBB110_540:
	s_mov_b32 s25, -1
                                        ; implicit-def: $vgpr0
.LBB110_541:
	s_mov_b32 s28, 0
.LBB110_542:
	s_delay_alu instid0(SALU_CYCLE_1)
	s_and_b32 vcc_lo, exec_lo, s28
	s_cbranch_vccz .LBB110_558
; %bb.543:
	s_cmp_lt_i32 s26, 27
	s_cbranch_scc1 .LBB110_546
; %bb.544:
	s_cmp_gt_i32 s26, 27
	s_cbranch_scc0 .LBB110_547
; %bb.545:
	s_wait_loadcnt 0x0
	global_load_b32 v0, v[2:3], off
	s_mov_b32 s27, 0
	s_branch .LBB110_548
.LBB110_546:
	s_mov_b32 s27, -1
                                        ; implicit-def: $vgpr0
	s_branch .LBB110_551
.LBB110_547:
	s_mov_b32 s27, -1
                                        ; implicit-def: $vgpr0
.LBB110_548:
	s_delay_alu instid0(SALU_CYCLE_1)
	s_and_not1_b32 vcc_lo, exec_lo, s27
	s_cbranch_vccnz .LBB110_550
; %bb.549:
	s_wait_loadcnt 0x0
	global_load_u16 v0, v[2:3], off
.LBB110_550:
	s_mov_b32 s27, 0
.LBB110_551:
	s_delay_alu instid0(SALU_CYCLE_1)
	s_and_not1_b32 vcc_lo, exec_lo, s27
	s_cbranch_vccnz .LBB110_557
; %bb.552:
	s_wait_loadcnt 0x0
	global_load_u8 v1, v[2:3], off
	s_mov_b32 s28, 0
	s_mov_b32 s27, exec_lo
	s_wait_loadcnt 0x0
	v_cmpx_lt_i16_e32 0x7f, v1
	s_xor_b32 s27, exec_lo, s27
	s_cbranch_execz .LBB110_569
; %bb.553:
	v_cmp_ne_u16_e32 vcc_lo, 0x80, v1
	s_and_b32 s28, vcc_lo, exec_lo
	s_and_not1_saveexec_b32 s27, s27
	s_cbranch_execnz .LBB110_570
.LBB110_554:
	s_or_b32 exec_lo, exec_lo, s27
	v_mov_b32_e32 v0, 0
	s_and_saveexec_b32 s27, s28
	s_cbranch_execz .LBB110_556
.LBB110_555:
	v_and_b32_e32 v0, 0xffff, v1
	s_delay_alu instid0(VALU_DEP_1) | instskip(SKIP_1) | instid1(VALU_DEP_2)
	v_and_b32_e32 v4, 7, v0
	v_bfe_u32 v7, v0, 3, 4
	v_clz_i32_u32_e32 v5, v4
	s_delay_alu instid0(VALU_DEP_2) | instskip(NEXT) | instid1(VALU_DEP_2)
	v_cmp_eq_u32_e32 vcc_lo, 0, v7
	v_min_u32_e32 v5, 32, v5
	s_delay_alu instid0(VALU_DEP_1) | instskip(NEXT) | instid1(VALU_DEP_1)
	v_subrev_nc_u32_e32 v6, 28, v5
	v_dual_lshlrev_b32 v0, v6, v0 :: v_dual_sub_nc_u32 v5, 29, v5
	s_delay_alu instid0(VALU_DEP_1) | instskip(NEXT) | instid1(VALU_DEP_1)
	v_dual_lshlrev_b32 v1, 24, v1 :: v_dual_bitop2_b32 v0, 7, v0 bitop3:0x40
	v_dual_cndmask_b32 v0, v4, v0 :: v_dual_cndmask_b32 v5, v7, v5
	s_delay_alu instid0(VALU_DEP_2) | instskip(NEXT) | instid1(VALU_DEP_2)
	v_and_b32_e32 v1, 0x80000000, v1
	v_lshlrev_b32_e32 v0, 20, v0
	s_delay_alu instid0(VALU_DEP_3) | instskip(NEXT) | instid1(VALU_DEP_1)
	v_lshl_add_u32 v4, v5, 23, 0x3b800000
	v_or3_b32 v0, v1, v4, v0
	s_delay_alu instid0(VALU_DEP_1)
	v_cvt_i32_f32_e32 v0, v0
.LBB110_556:
	s_or_b32 exec_lo, exec_lo, s27
.LBB110_557:
	s_mov_b32 s27, -1
.LBB110_558:
	s_mov_b32 s28, 0
.LBB110_559:
	s_delay_alu instid0(SALU_CYCLE_1)
	s_and_b32 vcc_lo, exec_lo, s28
	s_cbranch_vccz .LBB110_592
; %bb.560:
	s_cmp_gt_i32 s26, 22
	s_cbranch_scc0 .LBB110_568
; %bb.561:
	s_cmp_lt_i32 s26, 24
	s_cbranch_scc1 .LBB110_571
; %bb.562:
	s_cmp_gt_i32 s26, 24
	s_cbranch_scc0 .LBB110_572
; %bb.563:
	s_wait_loadcnt 0x0
	global_load_u8 v1, v[2:3], off
	s_mov_b32 s28, 0
	s_mov_b32 s27, exec_lo
	s_wait_loadcnt 0x0
	v_cmpx_lt_i16_e32 0x7f, v1
	s_xor_b32 s27, exec_lo, s27
	s_cbranch_execz .LBB110_584
; %bb.564:
	v_cmp_ne_u16_e32 vcc_lo, 0x80, v1
	s_and_b32 s28, vcc_lo, exec_lo
	s_and_not1_saveexec_b32 s27, s27
	s_cbranch_execnz .LBB110_585
.LBB110_565:
	s_or_b32 exec_lo, exec_lo, s27
	v_mov_b32_e32 v0, 0
	s_and_saveexec_b32 s27, s28
	s_cbranch_execz .LBB110_567
.LBB110_566:
	v_and_b32_e32 v0, 0xffff, v1
	s_delay_alu instid0(VALU_DEP_1) | instskip(SKIP_1) | instid1(VALU_DEP_2)
	v_and_b32_e32 v4, 3, v0
	v_bfe_u32 v7, v0, 2, 5
	v_clz_i32_u32_e32 v5, v4
	s_delay_alu instid0(VALU_DEP_2) | instskip(NEXT) | instid1(VALU_DEP_2)
	v_cmp_eq_u32_e32 vcc_lo, 0, v7
	v_min_u32_e32 v5, 32, v5
	s_delay_alu instid0(VALU_DEP_1) | instskip(NEXT) | instid1(VALU_DEP_1)
	v_subrev_nc_u32_e32 v6, 29, v5
	v_dual_lshlrev_b32 v0, v6, v0 :: v_dual_sub_nc_u32 v5, 30, v5
	s_delay_alu instid0(VALU_DEP_1) | instskip(NEXT) | instid1(VALU_DEP_1)
	v_dual_lshlrev_b32 v1, 24, v1 :: v_dual_bitop2_b32 v0, 3, v0 bitop3:0x40
	v_dual_cndmask_b32 v0, v4, v0 :: v_dual_cndmask_b32 v5, v7, v5
	s_delay_alu instid0(VALU_DEP_2) | instskip(NEXT) | instid1(VALU_DEP_2)
	v_and_b32_e32 v1, 0x80000000, v1
	v_lshlrev_b32_e32 v0, 21, v0
	s_delay_alu instid0(VALU_DEP_3) | instskip(NEXT) | instid1(VALU_DEP_1)
	v_lshl_add_u32 v4, v5, 23, 0x37800000
	v_or3_b32 v0, v1, v4, v0
	s_delay_alu instid0(VALU_DEP_1)
	v_cvt_i32_f32_e32 v0, v0
.LBB110_567:
	s_or_b32 exec_lo, exec_lo, s27
	s_mov_b32 s27, 0
	s_branch .LBB110_573
.LBB110_568:
	s_mov_b32 s28, -1
                                        ; implicit-def: $vgpr0
	s_branch .LBB110_579
.LBB110_569:
	s_and_not1_saveexec_b32 s27, s27
	s_cbranch_execz .LBB110_554
.LBB110_570:
	v_cmp_ne_u16_e32 vcc_lo, 0, v1
	s_and_not1_b32 s28, s28, exec_lo
	s_and_b32 s30, vcc_lo, exec_lo
	s_delay_alu instid0(SALU_CYCLE_1)
	s_or_b32 s28, s28, s30
	s_or_b32 exec_lo, exec_lo, s27
	v_mov_b32_e32 v0, 0
	s_and_saveexec_b32 s27, s28
	s_cbranch_execnz .LBB110_555
	s_branch .LBB110_556
.LBB110_571:
	s_mov_b32 s27, -1
                                        ; implicit-def: $vgpr0
	s_branch .LBB110_576
.LBB110_572:
	s_mov_b32 s27, -1
                                        ; implicit-def: $vgpr0
.LBB110_573:
	s_delay_alu instid0(SALU_CYCLE_1)
	s_and_b32 vcc_lo, exec_lo, s27
	s_cbranch_vccz .LBB110_575
; %bb.574:
	s_wait_loadcnt 0x0
	global_load_u8 v0, v[2:3], off
	s_wait_loadcnt 0x0
	v_lshlrev_b32_e32 v0, 24, v0
	s_delay_alu instid0(VALU_DEP_1) | instskip(NEXT) | instid1(VALU_DEP_1)
	v_and_b32_e32 v1, 0x7f000000, v0
	v_clz_i32_u32_e32 v4, v1
	v_cmp_ne_u32_e32 vcc_lo, 0, v1
	v_add_nc_u32_e32 v6, 0x1000000, v1
	s_delay_alu instid0(VALU_DEP_3) | instskip(NEXT) | instid1(VALU_DEP_1)
	v_min_u32_e32 v4, 32, v4
	v_sub_nc_u32_e64 v4, v4, 4 clamp
	s_delay_alu instid0(VALU_DEP_1) | instskip(NEXT) | instid1(VALU_DEP_1)
	v_dual_lshlrev_b32 v5, v4, v1 :: v_dual_lshlrev_b32 v4, 23, v4
	v_lshrrev_b32_e32 v5, 4, v5
	s_delay_alu instid0(VALU_DEP_1) | instskip(NEXT) | instid1(VALU_DEP_1)
	v_dual_sub_nc_u32 v4, v5, v4 :: v_dual_ashrrev_i32 v5, 8, v6
	v_add_nc_u32_e32 v4, 0x3c000000, v4
	s_delay_alu instid0(VALU_DEP_1) | instskip(NEXT) | instid1(VALU_DEP_1)
	v_and_or_b32 v4, 0x7f800000, v5, v4
	v_cndmask_b32_e32 v1, 0, v4, vcc_lo
	s_delay_alu instid0(VALU_DEP_1) | instskip(NEXT) | instid1(VALU_DEP_1)
	v_and_or_b32 v0, 0x80000000, v0, v1
	v_cvt_i32_f32_e32 v0, v0
.LBB110_575:
	s_mov_b32 s27, 0
.LBB110_576:
	s_delay_alu instid0(SALU_CYCLE_1)
	s_and_not1_b32 vcc_lo, exec_lo, s27
	s_cbranch_vccnz .LBB110_578
; %bb.577:
	s_wait_loadcnt 0x0
	global_load_u8 v0, v[2:3], off
	s_wait_loadcnt 0x0
	v_lshlrev_b32_e32 v1, 25, v0
	v_lshlrev_b16 v0, 8, v0
	s_delay_alu instid0(VALU_DEP_1) | instskip(SKIP_1) | instid1(VALU_DEP_2)
	v_and_or_b32 v5, 0x7f00, v0, 0.5
	v_bfe_i32 v0, v0, 0, 16
	v_add_f32_e32 v5, -0.5, v5
	v_lshrrev_b32_e32 v4, 4, v1
	v_cmp_gt_u32_e32 vcc_lo, 0x8000000, v1
	s_delay_alu instid0(VALU_DEP_2) | instskip(NEXT) | instid1(VALU_DEP_1)
	v_or_b32_e32 v4, 0x70000000, v4
	v_mul_f32_e32 v4, 0x7800000, v4
	s_delay_alu instid0(VALU_DEP_1) | instskip(NEXT) | instid1(VALU_DEP_1)
	v_cndmask_b32_e32 v1, v4, v5, vcc_lo
	v_and_or_b32 v0, 0x80000000, v0, v1
	s_delay_alu instid0(VALU_DEP_1)
	v_cvt_i32_f32_e32 v0, v0
.LBB110_578:
	s_mov_b32 s28, 0
	s_mov_b32 s27, -1
.LBB110_579:
	s_and_not1_b32 vcc_lo, exec_lo, s28
	s_cbranch_vccnz .LBB110_592
; %bb.580:
	s_cmp_gt_i32 s26, 14
	s_cbranch_scc0 .LBB110_583
; %bb.581:
	s_cmp_eq_u32 s26, 15
	s_cbranch_scc0 .LBB110_586
; %bb.582:
	s_wait_loadcnt 0x0
	global_load_u16 v0, v[2:3], off
	s_mov_b32 s27, -1
	s_mov_b32 s25, 0
	s_wait_loadcnt 0x0
	v_lshlrev_b32_e32 v0, 16, v0
	s_delay_alu instid0(VALU_DEP_1)
	v_cvt_i32_f32_e32 v0, v0
	s_branch .LBB110_587
.LBB110_583:
	s_mov_b32 s28, -1
                                        ; implicit-def: $vgpr0
	s_branch .LBB110_588
.LBB110_584:
	s_and_not1_saveexec_b32 s27, s27
	s_cbranch_execz .LBB110_565
.LBB110_585:
	v_cmp_ne_u16_e32 vcc_lo, 0, v1
	s_and_not1_b32 s28, s28, exec_lo
	s_and_b32 s30, vcc_lo, exec_lo
	s_delay_alu instid0(SALU_CYCLE_1)
	s_or_b32 s28, s28, s30
	s_or_b32 exec_lo, exec_lo, s27
	v_mov_b32_e32 v0, 0
	s_and_saveexec_b32 s27, s28
	s_cbranch_execnz .LBB110_566
	s_branch .LBB110_567
.LBB110_586:
	s_mov_b32 s25, -1
                                        ; implicit-def: $vgpr0
.LBB110_587:
	s_mov_b32 s28, 0
.LBB110_588:
	s_delay_alu instid0(SALU_CYCLE_1)
	s_and_b32 vcc_lo, exec_lo, s28
	s_cbranch_vccz .LBB110_592
; %bb.589:
	s_cmp_eq_u32 s26, 11
	s_cbranch_scc0 .LBB110_591
; %bb.590:
	s_wait_loadcnt 0x0
	global_load_u8 v0, v[2:3], off
	s_mov_b32 s25, 0
	s_mov_b32 s27, -1
	s_wait_loadcnt 0x0
	v_cmp_ne_u16_e32 vcc_lo, 0, v0
	v_cndmask_b32_e64 v0, 0, 1, vcc_lo
	s_branch .LBB110_592
.LBB110_591:
	s_mov_b32 s25, -1
                                        ; implicit-def: $vgpr0
.LBB110_592:
	s_branch .LBB110_513
.LBB110_593:
	s_and_b32 s0, 0xffff, s0
	s_delay_alu instid0(SALU_CYCLE_1)
	s_cmp_lt_i32 s0, 5
	s_cbranch_scc1 .LBB110_598
; %bb.594:
	s_cmp_lt_i32 s0, 8
	s_cbranch_scc1 .LBB110_599
; %bb.595:
	;; [unrolled: 3-line block ×3, first 2 shown]
	s_cmp_gt_i32 s0, 9
	s_cbranch_scc0 .LBB110_601
; %bb.597:
	s_wait_loadcnt 0x0
	global_load_b64 v[0:1], v[2:3], off
	s_mov_b32 s26, 0
	s_wait_loadcnt 0x0
	v_cvt_i32_f64_e32 v0, v[0:1]
	s_branch .LBB110_602
.LBB110_598:
	s_mov_b32 s26, -1
                                        ; implicit-def: $vgpr0
	s_branch .LBB110_620
.LBB110_599:
	s_mov_b32 s26, -1
                                        ; implicit-def: $vgpr0
	s_branch .LBB110_608
.LBB110_600:
	s_mov_b32 s26, -1
                                        ; implicit-def: $vgpr0
	s_branch .LBB110_605
.LBB110_601:
	s_mov_b32 s26, -1
                                        ; implicit-def: $vgpr0
.LBB110_602:
	s_delay_alu instid0(SALU_CYCLE_1)
	s_and_not1_b32 vcc_lo, exec_lo, s26
	s_cbranch_vccnz .LBB110_604
; %bb.603:
	s_wait_loadcnt 0x0
	global_load_b32 v0, v[2:3], off
	s_wait_loadcnt 0x0
	v_cvt_i32_f32_e32 v0, v0
.LBB110_604:
	s_mov_b32 s26, 0
.LBB110_605:
	s_delay_alu instid0(SALU_CYCLE_1)
	s_and_not1_b32 vcc_lo, exec_lo, s26
	s_cbranch_vccnz .LBB110_607
; %bb.606:
	s_wait_loadcnt 0x0
	global_load_b32 v0, v[2:3], off
	s_wait_loadcnt 0x0
	v_cvt_i16_f16_e32 v0, v0
.LBB110_607:
	s_mov_b32 s26, 0
.LBB110_608:
	s_delay_alu instid0(SALU_CYCLE_1)
	s_and_not1_b32 vcc_lo, exec_lo, s26
	s_cbranch_vccnz .LBB110_619
; %bb.609:
	s_cmp_lt_i32 s0, 6
	s_cbranch_scc1 .LBB110_612
; %bb.610:
	s_cmp_gt_i32 s0, 6
	s_cbranch_scc0 .LBB110_613
; %bb.611:
	s_wait_loadcnt 0x0
	global_load_b64 v[0:1], v[2:3], off
	s_mov_b32 s26, 0
	s_wait_loadcnt 0x0
	v_cvt_i32_f64_e32 v0, v[0:1]
	s_branch .LBB110_614
.LBB110_612:
	s_mov_b32 s26, -1
                                        ; implicit-def: $vgpr0
	s_branch .LBB110_617
.LBB110_613:
	s_mov_b32 s26, -1
                                        ; implicit-def: $vgpr0
.LBB110_614:
	s_delay_alu instid0(SALU_CYCLE_1)
	s_and_not1_b32 vcc_lo, exec_lo, s26
	s_cbranch_vccnz .LBB110_616
; %bb.615:
	s_wait_loadcnt 0x0
	global_load_b32 v0, v[2:3], off
	s_wait_loadcnt 0x0
	v_cvt_i32_f32_e32 v0, v0
.LBB110_616:
	s_mov_b32 s26, 0
.LBB110_617:
	s_delay_alu instid0(SALU_CYCLE_1)
	s_and_not1_b32 vcc_lo, exec_lo, s26
	s_cbranch_vccnz .LBB110_619
; %bb.618:
	s_wait_loadcnt 0x0
	global_load_u16 v0, v[2:3], off
	s_wait_loadcnt 0x0
	v_cvt_i16_f16_e32 v0, v0
.LBB110_619:
	s_mov_b32 s26, 0
.LBB110_620:
	s_delay_alu instid0(SALU_CYCLE_1)
	s_and_not1_b32 vcc_lo, exec_lo, s26
	s_cbranch_vccnz .LBB110_640
; %bb.621:
	s_cmp_lt_i32 s0, 2
	s_cbranch_scc1 .LBB110_625
; %bb.622:
	s_cmp_lt_i32 s0, 3
	s_cbranch_scc1 .LBB110_626
; %bb.623:
	s_cmp_gt_i32 s0, 3
	s_cbranch_scc0 .LBB110_627
; %bb.624:
	s_wait_loadcnt 0x0
	global_load_b64 v[0:1], v[2:3], off
	s_mov_b32 s26, 0
	s_branch .LBB110_628
.LBB110_625:
	s_mov_b32 s26, -1
                                        ; implicit-def: $vgpr0
	s_branch .LBB110_634
.LBB110_626:
	s_mov_b32 s26, -1
                                        ; implicit-def: $vgpr0
	s_branch .LBB110_631
.LBB110_627:
	s_mov_b32 s26, -1
                                        ; implicit-def: $vgpr0
.LBB110_628:
	s_delay_alu instid0(SALU_CYCLE_1)
	s_and_not1_b32 vcc_lo, exec_lo, s26
	s_cbranch_vccnz .LBB110_630
; %bb.629:
	s_wait_loadcnt 0x0
	global_load_b32 v0, v[2:3], off
.LBB110_630:
	s_mov_b32 s26, 0
.LBB110_631:
	s_delay_alu instid0(SALU_CYCLE_1)
	s_and_not1_b32 vcc_lo, exec_lo, s26
	s_cbranch_vccnz .LBB110_633
; %bb.632:
	s_wait_loadcnt 0x0
	global_load_u16 v0, v[2:3], off
.LBB110_633:
	s_mov_b32 s26, 0
.LBB110_634:
	s_delay_alu instid0(SALU_CYCLE_1)
	s_and_not1_b32 vcc_lo, exec_lo, s26
	s_cbranch_vccnz .LBB110_640
; %bb.635:
	s_cmp_gt_i32 s0, 0
	s_mov_b32 s0, 0
	s_cbranch_scc0 .LBB110_637
; %bb.636:
	s_wait_loadcnt 0x0
	global_load_u8 v0, v[2:3], off
	s_branch .LBB110_638
.LBB110_637:
	s_mov_b32 s0, -1
                                        ; implicit-def: $vgpr0
.LBB110_638:
	s_delay_alu instid0(SALU_CYCLE_1)
	s_and_not1_b32 vcc_lo, exec_lo, s0
	s_cbranch_vccnz .LBB110_640
; %bb.639:
	s_wait_loadcnt 0x0
	global_load_u8 v0, v[2:3], off
.LBB110_640:
	s_branch .LBB110_514
.LBB110_641:
	s_mov_b32 s30, 0
	s_mov_b32 s0, s19
	;; [unrolled: 1-line block ×4, first 2 shown]
	s_branch .LBB110_1009
.LBB110_642:
	s_and_not1_saveexec_b32 s29, s29
	s_cbranch_execz .LBB110_409
.LBB110_643:
	v_add_f32_e64 v3, 0x46000000, |v2|
	s_and_not1_b32 s28, s28, exec_lo
	s_delay_alu instid0(VALU_DEP_1) | instskip(NEXT) | instid1(VALU_DEP_1)
	v_and_b32_e32 v3, 0xff, v3
	v_cmp_ne_u32_e32 vcc_lo, 0, v3
	s_and_b32 s30, vcc_lo, exec_lo
	s_delay_alu instid0(SALU_CYCLE_1)
	s_or_b32 s28, s28, s30
	s_or_b32 exec_lo, exec_lo, s29
	v_mov_b32_e32 v5, 0
	s_and_saveexec_b32 s29, s28
	s_cbranch_execnz .LBB110_410
	s_branch .LBB110_411
.LBB110_644:
	s_mov_b32 s28, -1
	s_mov_b32 s27, 0
.LBB110_645:
                                        ; implicit-def: $vgpr2
.LBB110_646:
	s_and_b32 vcc_lo, exec_lo, s30
	s_cbranch_vccz .LBB110_650
; %bb.647:
	s_cmp_eq_u32 s26, 44
	s_cbranch_scc0 .LBB110_649
; %bb.648:
	s_wait_loadcnt 0x0
	global_load_u8 v1, v[4:5], off
	s_mov_b32 s28, 0
	s_mov_b32 s27, -1
	s_wait_loadcnt 0x0
	v_lshlrev_b32_e32 v2, 23, v1
	v_cmp_ne_u32_e32 vcc_lo, 0, v1
	s_delay_alu instid0(VALU_DEP_2) | instskip(NEXT) | instid1(VALU_DEP_1)
	v_cvt_i32_f32_e32 v2, v2
	v_cndmask_b32_e32 v2, 0, v2, vcc_lo
	s_branch .LBB110_650
.LBB110_649:
	s_mov_b32 s28, -1
                                        ; implicit-def: $vgpr2
.LBB110_650:
	s_mov_b32 s30, 0
.LBB110_651:
	s_delay_alu instid0(SALU_CYCLE_1)
	s_and_b32 vcc_lo, exec_lo, s30
	s_cbranch_vccz .LBB110_655
; %bb.652:
	s_cmp_eq_u32 s26, 29
	s_cbranch_scc0 .LBB110_654
; %bb.653:
	global_load_b64 v[2:3], v[4:5], off
	s_mov_b32 s27, -1
	s_mov_b32 s28, 0
	s_branch .LBB110_655
.LBB110_654:
	s_mov_b32 s28, -1
                                        ; implicit-def: $vgpr2
.LBB110_655:
	s_mov_b32 s30, 0
.LBB110_656:
	s_delay_alu instid0(SALU_CYCLE_1)
	s_and_b32 vcc_lo, exec_lo, s30
	s_cbranch_vccz .LBB110_672
; %bb.657:
	s_cmp_lt_i32 s26, 27
	s_cbranch_scc1 .LBB110_660
; %bb.658:
	s_cmp_gt_i32 s26, 27
	s_cbranch_scc0 .LBB110_661
; %bb.659:
	s_wait_loadcnt 0x0
	global_load_b32 v2, v[4:5], off
	s_mov_b32 s27, 0
	s_branch .LBB110_662
.LBB110_660:
	s_mov_b32 s27, -1
                                        ; implicit-def: $vgpr2
	s_branch .LBB110_665
.LBB110_661:
	s_mov_b32 s27, -1
                                        ; implicit-def: $vgpr2
.LBB110_662:
	s_delay_alu instid0(SALU_CYCLE_1)
	s_and_not1_b32 vcc_lo, exec_lo, s27
	s_cbranch_vccnz .LBB110_664
; %bb.663:
	s_wait_loadcnt 0x0
	global_load_u16 v2, v[4:5], off
.LBB110_664:
	s_mov_b32 s27, 0
.LBB110_665:
	s_delay_alu instid0(SALU_CYCLE_1)
	s_and_not1_b32 vcc_lo, exec_lo, s27
	s_cbranch_vccnz .LBB110_671
; %bb.666:
	s_wait_loadcnt 0x0
	global_load_u8 v1, v[4:5], off
	s_mov_b32 s30, 0
	s_mov_b32 s27, exec_lo
	s_wait_loadcnt 0x0
	v_cmpx_lt_i16_e32 0x7f, v1
	s_xor_b32 s27, exec_lo, s27
	s_cbranch_execz .LBB110_683
; %bb.667:
	v_cmp_ne_u16_e32 vcc_lo, 0x80, v1
	s_and_b32 s30, vcc_lo, exec_lo
	s_and_not1_saveexec_b32 s27, s27
	s_cbranch_execnz .LBB110_684
.LBB110_668:
	s_or_b32 exec_lo, exec_lo, s27
	v_mov_b32_e32 v2, 0
	s_and_saveexec_b32 s27, s30
	s_cbranch_execz .LBB110_670
.LBB110_669:
	v_and_b32_e32 v2, 0xffff, v1
	s_delay_alu instid0(VALU_DEP_1) | instskip(SKIP_1) | instid1(VALU_DEP_2)
	v_dual_lshlrev_b32 v1, 24, v1 :: v_dual_bitop2_b32 v3, 7, v2 bitop3:0x40
	v_bfe_u32 v8, v2, 3, 4
	v_and_b32_e32 v1, 0x80000000, v1
	s_delay_alu instid0(VALU_DEP_3) | instskip(NEXT) | instid1(VALU_DEP_3)
	v_clz_i32_u32_e32 v6, v3
	v_cmp_eq_u32_e32 vcc_lo, 0, v8
	s_delay_alu instid0(VALU_DEP_2) | instskip(NEXT) | instid1(VALU_DEP_1)
	v_min_u32_e32 v6, 32, v6
	v_subrev_nc_u32_e32 v7, 28, v6
	v_sub_nc_u32_e32 v6, 29, v6
	s_delay_alu instid0(VALU_DEP_2) | instskip(NEXT) | instid1(VALU_DEP_2)
	v_lshlrev_b32_e32 v2, v7, v2
	v_cndmask_b32_e32 v6, v8, v6, vcc_lo
	s_delay_alu instid0(VALU_DEP_2) | instskip(NEXT) | instid1(VALU_DEP_1)
	v_and_b32_e32 v2, 7, v2
	v_cndmask_b32_e32 v2, v3, v2, vcc_lo
	s_delay_alu instid0(VALU_DEP_3) | instskip(NEXT) | instid1(VALU_DEP_2)
	v_lshl_add_u32 v3, v6, 23, 0x3b800000
	v_lshlrev_b32_e32 v2, 20, v2
	s_delay_alu instid0(VALU_DEP_1) | instskip(NEXT) | instid1(VALU_DEP_1)
	v_or3_b32 v1, v1, v3, v2
	v_cvt_i32_f32_e32 v2, v1
.LBB110_670:
	s_or_b32 exec_lo, exec_lo, s27
.LBB110_671:
	s_mov_b32 s27, -1
.LBB110_672:
	s_mov_b32 s30, 0
.LBB110_673:
	s_delay_alu instid0(SALU_CYCLE_1)
	s_and_b32 vcc_lo, exec_lo, s30
	s_cbranch_vccz .LBB110_706
; %bb.674:
	s_cmp_gt_i32 s26, 22
	s_cbranch_scc0 .LBB110_682
; %bb.675:
	s_cmp_lt_i32 s26, 24
	s_cbranch_scc1 .LBB110_685
; %bb.676:
	s_cmp_gt_i32 s26, 24
	s_cbranch_scc0 .LBB110_686
; %bb.677:
	s_wait_loadcnt 0x0
	global_load_u8 v1, v[4:5], off
	s_mov_b32 s30, 0
	s_mov_b32 s27, exec_lo
	s_wait_loadcnt 0x0
	v_cmpx_lt_i16_e32 0x7f, v1
	s_xor_b32 s27, exec_lo, s27
	s_cbranch_execz .LBB110_698
; %bb.678:
	v_cmp_ne_u16_e32 vcc_lo, 0x80, v1
	s_and_b32 s30, vcc_lo, exec_lo
	s_and_not1_saveexec_b32 s27, s27
	s_cbranch_execnz .LBB110_699
.LBB110_679:
	s_or_b32 exec_lo, exec_lo, s27
	v_mov_b32_e32 v2, 0
	s_and_saveexec_b32 s27, s30
	s_cbranch_execz .LBB110_681
.LBB110_680:
	v_and_b32_e32 v2, 0xffff, v1
	s_delay_alu instid0(VALU_DEP_1) | instskip(SKIP_1) | instid1(VALU_DEP_2)
	v_dual_lshlrev_b32 v1, 24, v1 :: v_dual_bitop2_b32 v3, 3, v2 bitop3:0x40
	v_bfe_u32 v8, v2, 2, 5
	v_and_b32_e32 v1, 0x80000000, v1
	s_delay_alu instid0(VALU_DEP_3) | instskip(NEXT) | instid1(VALU_DEP_3)
	v_clz_i32_u32_e32 v6, v3
	v_cmp_eq_u32_e32 vcc_lo, 0, v8
	s_delay_alu instid0(VALU_DEP_2) | instskip(NEXT) | instid1(VALU_DEP_1)
	v_min_u32_e32 v6, 32, v6
	v_subrev_nc_u32_e32 v7, 29, v6
	v_sub_nc_u32_e32 v6, 30, v6
	s_delay_alu instid0(VALU_DEP_2) | instskip(NEXT) | instid1(VALU_DEP_2)
	v_lshlrev_b32_e32 v2, v7, v2
	v_cndmask_b32_e32 v6, v8, v6, vcc_lo
	s_delay_alu instid0(VALU_DEP_2) | instskip(NEXT) | instid1(VALU_DEP_1)
	v_and_b32_e32 v2, 3, v2
	v_cndmask_b32_e32 v2, v3, v2, vcc_lo
	s_delay_alu instid0(VALU_DEP_3) | instskip(NEXT) | instid1(VALU_DEP_2)
	v_lshl_add_u32 v3, v6, 23, 0x37800000
	v_lshlrev_b32_e32 v2, 21, v2
	s_delay_alu instid0(VALU_DEP_1) | instskip(NEXT) | instid1(VALU_DEP_1)
	v_or3_b32 v1, v1, v3, v2
	v_cvt_i32_f32_e32 v2, v1
.LBB110_681:
	s_or_b32 exec_lo, exec_lo, s27
	s_mov_b32 s27, 0
	s_branch .LBB110_687
.LBB110_682:
	s_mov_b32 s30, -1
                                        ; implicit-def: $vgpr2
	s_branch .LBB110_693
.LBB110_683:
	s_and_not1_saveexec_b32 s27, s27
	s_cbranch_execz .LBB110_668
.LBB110_684:
	v_cmp_ne_u16_e32 vcc_lo, 0, v1
	s_and_not1_b32 s30, s30, exec_lo
	s_and_b32 s31, vcc_lo, exec_lo
	s_delay_alu instid0(SALU_CYCLE_1)
	s_or_b32 s30, s30, s31
	s_or_b32 exec_lo, exec_lo, s27
	v_mov_b32_e32 v2, 0
	s_and_saveexec_b32 s27, s30
	s_cbranch_execnz .LBB110_669
	s_branch .LBB110_670
.LBB110_685:
	s_mov_b32 s27, -1
                                        ; implicit-def: $vgpr2
	s_branch .LBB110_690
.LBB110_686:
	s_mov_b32 s27, -1
                                        ; implicit-def: $vgpr2
.LBB110_687:
	s_delay_alu instid0(SALU_CYCLE_1)
	s_and_b32 vcc_lo, exec_lo, s27
	s_cbranch_vccz .LBB110_689
; %bb.688:
	s_wait_loadcnt 0x0
	global_load_u8 v1, v[4:5], off
	s_wait_loadcnt 0x0
	v_lshlrev_b32_e32 v1, 24, v1
	s_delay_alu instid0(VALU_DEP_1) | instskip(NEXT) | instid1(VALU_DEP_1)
	v_and_b32_e32 v2, 0x7f000000, v1
	v_clz_i32_u32_e32 v3, v2
	v_cmp_ne_u32_e32 vcc_lo, 0, v2
	v_add_nc_u32_e32 v7, 0x1000000, v2
	s_delay_alu instid0(VALU_DEP_3) | instskip(NEXT) | instid1(VALU_DEP_1)
	v_min_u32_e32 v3, 32, v3
	v_sub_nc_u32_e64 v3, v3, 4 clamp
	s_delay_alu instid0(VALU_DEP_1) | instskip(NEXT) | instid1(VALU_DEP_1)
	v_dual_lshlrev_b32 v6, v3, v2 :: v_dual_lshlrev_b32 v3, 23, v3
	v_lshrrev_b32_e32 v6, 4, v6
	s_delay_alu instid0(VALU_DEP_1) | instskip(SKIP_1) | instid1(VALU_DEP_2)
	v_sub_nc_u32_e32 v3, v6, v3
	v_ashrrev_i32_e32 v6, 8, v7
	v_add_nc_u32_e32 v3, 0x3c000000, v3
	s_delay_alu instid0(VALU_DEP_1) | instskip(NEXT) | instid1(VALU_DEP_1)
	v_and_or_b32 v3, 0x7f800000, v6, v3
	v_cndmask_b32_e32 v2, 0, v3, vcc_lo
	s_delay_alu instid0(VALU_DEP_1) | instskip(NEXT) | instid1(VALU_DEP_1)
	v_and_or_b32 v1, 0x80000000, v1, v2
	v_cvt_i32_f32_e32 v2, v1
.LBB110_689:
	s_mov_b32 s27, 0
.LBB110_690:
	s_delay_alu instid0(SALU_CYCLE_1)
	s_and_not1_b32 vcc_lo, exec_lo, s27
	s_cbranch_vccnz .LBB110_692
; %bb.691:
	s_wait_loadcnt 0x0
	global_load_u8 v1, v[4:5], off
	s_wait_loadcnt 0x0
	v_lshlrev_b32_e32 v2, 25, v1
	v_lshlrev_b16 v1, 8, v1
	s_delay_alu instid0(VALU_DEP_1) | instskip(SKIP_1) | instid1(VALU_DEP_2)
	v_and_or_b32 v6, 0x7f00, v1, 0.5
	v_bfe_i32 v1, v1, 0, 16
	v_add_f32_e32 v6, -0.5, v6
	v_lshrrev_b32_e32 v3, 4, v2
	v_cmp_gt_u32_e32 vcc_lo, 0x8000000, v2
	s_delay_alu instid0(VALU_DEP_2) | instskip(NEXT) | instid1(VALU_DEP_1)
	v_or_b32_e32 v3, 0x70000000, v3
	v_mul_f32_e32 v3, 0x7800000, v3
	s_delay_alu instid0(VALU_DEP_1) | instskip(NEXT) | instid1(VALU_DEP_1)
	v_cndmask_b32_e32 v2, v3, v6, vcc_lo
	v_and_or_b32 v1, 0x80000000, v1, v2
	s_delay_alu instid0(VALU_DEP_1)
	v_cvt_i32_f32_e32 v2, v1
.LBB110_692:
	s_mov_b32 s30, 0
	s_mov_b32 s27, -1
.LBB110_693:
	s_and_not1_b32 vcc_lo, exec_lo, s30
	s_cbranch_vccnz .LBB110_706
; %bb.694:
	s_cmp_gt_i32 s26, 14
	s_cbranch_scc0 .LBB110_697
; %bb.695:
	s_cmp_eq_u32 s26, 15
	s_cbranch_scc0 .LBB110_700
; %bb.696:
	s_wait_loadcnt 0x0
	global_load_u16 v1, v[4:5], off
	s_mov_b32 s27, -1
	s_mov_b32 s28, 0
	s_wait_loadcnt 0x0
	v_lshlrev_b32_e32 v1, 16, v1
	s_delay_alu instid0(VALU_DEP_1)
	v_cvt_i32_f32_e32 v2, v1
	s_branch .LBB110_701
.LBB110_697:
	s_mov_b32 s30, -1
                                        ; implicit-def: $vgpr2
	s_branch .LBB110_702
.LBB110_698:
	s_and_not1_saveexec_b32 s27, s27
	s_cbranch_execz .LBB110_679
.LBB110_699:
	v_cmp_ne_u16_e32 vcc_lo, 0, v1
	s_and_not1_b32 s30, s30, exec_lo
	s_and_b32 s31, vcc_lo, exec_lo
	s_delay_alu instid0(SALU_CYCLE_1)
	s_or_b32 s30, s30, s31
	s_or_b32 exec_lo, exec_lo, s27
	v_mov_b32_e32 v2, 0
	s_and_saveexec_b32 s27, s30
	s_cbranch_execnz .LBB110_680
	s_branch .LBB110_681
.LBB110_700:
	s_mov_b32 s28, -1
                                        ; implicit-def: $vgpr2
.LBB110_701:
	s_mov_b32 s30, 0
.LBB110_702:
	s_delay_alu instid0(SALU_CYCLE_1)
	s_and_b32 vcc_lo, exec_lo, s30
	s_cbranch_vccz .LBB110_706
; %bb.703:
	s_cmp_eq_u32 s26, 11
	s_cbranch_scc0 .LBB110_705
; %bb.704:
	s_wait_loadcnt 0x0
	global_load_u8 v1, v[4:5], off
	s_mov_b32 s28, 0
	s_mov_b32 s27, -1
	s_wait_loadcnt 0x0
	v_cmp_ne_u16_e32 vcc_lo, 0, v1
	v_cndmask_b32_e64 v2, 0, 1, vcc_lo
	s_branch .LBB110_706
.LBB110_705:
	s_mov_b32 s28, -1
                                        ; implicit-def: $vgpr2
.LBB110_706:
	s_mov_b32 s26, 0
.LBB110_707:
	s_delay_alu instid0(SALU_CYCLE_1)
	s_and_b32 vcc_lo, exec_lo, s26
	s_cbranch_vccz .LBB110_756
; %bb.708:
	s_and_b32 s0, 0xffff, s0
	s_delay_alu instid0(SALU_CYCLE_1)
	s_cmp_lt_i32 s0, 5
	s_cbranch_scc1 .LBB110_713
; %bb.709:
	s_cmp_lt_i32 s0, 8
	s_cbranch_scc1 .LBB110_714
; %bb.710:
	;; [unrolled: 3-line block ×3, first 2 shown]
	s_cmp_gt_i32 s0, 9
	s_cbranch_scc0 .LBB110_716
; %bb.712:
	s_wait_loadcnt 0x0
	global_load_b64 v[2:3], v[4:5], off
	s_mov_b32 s26, 0
	s_wait_loadcnt 0x0
	v_cvt_i32_f64_e32 v2, v[2:3]
	s_branch .LBB110_717
.LBB110_713:
	s_mov_b32 s26, -1
                                        ; implicit-def: $vgpr2
	s_branch .LBB110_735
.LBB110_714:
	s_mov_b32 s26, -1
                                        ; implicit-def: $vgpr2
	s_branch .LBB110_723
.LBB110_715:
	s_mov_b32 s26, -1
                                        ; implicit-def: $vgpr2
	s_branch .LBB110_720
.LBB110_716:
	s_mov_b32 s26, -1
                                        ; implicit-def: $vgpr2
.LBB110_717:
	s_delay_alu instid0(SALU_CYCLE_1)
	s_and_not1_b32 vcc_lo, exec_lo, s26
	s_cbranch_vccnz .LBB110_719
; %bb.718:
	s_wait_loadcnt 0x0
	global_load_b32 v1, v[4:5], off
	s_wait_loadcnt 0x0
	v_cvt_i32_f32_e32 v2, v1
.LBB110_719:
	s_mov_b32 s26, 0
.LBB110_720:
	s_delay_alu instid0(SALU_CYCLE_1)
	s_and_not1_b32 vcc_lo, exec_lo, s26
	s_cbranch_vccnz .LBB110_722
; %bb.721:
	s_wait_loadcnt 0x0
	global_load_b32 v1, v[4:5], off
	s_wait_loadcnt 0x0
	v_cvt_i16_f16_e32 v2, v1
.LBB110_722:
	s_mov_b32 s26, 0
.LBB110_723:
	s_delay_alu instid0(SALU_CYCLE_1)
	s_and_not1_b32 vcc_lo, exec_lo, s26
	s_cbranch_vccnz .LBB110_734
; %bb.724:
	s_cmp_lt_i32 s0, 6
	s_cbranch_scc1 .LBB110_727
; %bb.725:
	s_cmp_gt_i32 s0, 6
	s_cbranch_scc0 .LBB110_728
; %bb.726:
	s_wait_loadcnt 0x0
	global_load_b64 v[2:3], v[4:5], off
	s_mov_b32 s26, 0
	s_wait_loadcnt 0x0
	v_cvt_i32_f64_e32 v2, v[2:3]
	s_branch .LBB110_729
.LBB110_727:
	s_mov_b32 s26, -1
                                        ; implicit-def: $vgpr2
	s_branch .LBB110_732
.LBB110_728:
	s_mov_b32 s26, -1
                                        ; implicit-def: $vgpr2
.LBB110_729:
	s_delay_alu instid0(SALU_CYCLE_1)
	s_and_not1_b32 vcc_lo, exec_lo, s26
	s_cbranch_vccnz .LBB110_731
; %bb.730:
	s_wait_loadcnt 0x0
	global_load_b32 v1, v[4:5], off
	s_wait_loadcnt 0x0
	v_cvt_i32_f32_e32 v2, v1
.LBB110_731:
	s_mov_b32 s26, 0
.LBB110_732:
	s_delay_alu instid0(SALU_CYCLE_1)
	s_and_not1_b32 vcc_lo, exec_lo, s26
	s_cbranch_vccnz .LBB110_734
; %bb.733:
	s_wait_loadcnt 0x0
	global_load_u16 v1, v[4:5], off
	s_wait_loadcnt 0x0
	v_cvt_i16_f16_e32 v2, v1
.LBB110_734:
	s_mov_b32 s26, 0
.LBB110_735:
	s_delay_alu instid0(SALU_CYCLE_1)
	s_and_not1_b32 vcc_lo, exec_lo, s26
	s_cbranch_vccnz .LBB110_755
; %bb.736:
	s_cmp_lt_i32 s0, 2
	s_cbranch_scc1 .LBB110_740
; %bb.737:
	s_cmp_lt_i32 s0, 3
	s_cbranch_scc1 .LBB110_741
; %bb.738:
	s_cmp_gt_i32 s0, 3
	s_cbranch_scc0 .LBB110_742
; %bb.739:
	s_wait_loadcnt 0x0
	global_load_b64 v[2:3], v[4:5], off
	s_mov_b32 s26, 0
	s_branch .LBB110_743
.LBB110_740:
	s_mov_b32 s26, -1
                                        ; implicit-def: $vgpr2
	s_branch .LBB110_749
.LBB110_741:
	s_mov_b32 s26, -1
                                        ; implicit-def: $vgpr2
	s_branch .LBB110_746
.LBB110_742:
	s_mov_b32 s26, -1
                                        ; implicit-def: $vgpr2
.LBB110_743:
	s_delay_alu instid0(SALU_CYCLE_1)
	s_and_not1_b32 vcc_lo, exec_lo, s26
	s_cbranch_vccnz .LBB110_745
; %bb.744:
	s_wait_loadcnt 0x0
	global_load_b32 v2, v[4:5], off
.LBB110_745:
	s_mov_b32 s26, 0
.LBB110_746:
	s_delay_alu instid0(SALU_CYCLE_1)
	s_and_not1_b32 vcc_lo, exec_lo, s26
	s_cbranch_vccnz .LBB110_748
; %bb.747:
	s_wait_loadcnt 0x0
	global_load_u16 v2, v[4:5], off
.LBB110_748:
	s_mov_b32 s26, 0
.LBB110_749:
	s_delay_alu instid0(SALU_CYCLE_1)
	s_and_not1_b32 vcc_lo, exec_lo, s26
	s_cbranch_vccnz .LBB110_755
; %bb.750:
	s_cmp_gt_i32 s0, 0
	s_mov_b32 s0, 0
	s_cbranch_scc0 .LBB110_752
; %bb.751:
	s_wait_loadcnt 0x0
	global_load_u8 v2, v[4:5], off
	s_branch .LBB110_753
.LBB110_752:
	s_mov_b32 s0, -1
                                        ; implicit-def: $vgpr2
.LBB110_753:
	s_delay_alu instid0(SALU_CYCLE_1)
	s_and_not1_b32 vcc_lo, exec_lo, s0
	s_cbranch_vccnz .LBB110_755
; %bb.754:
	s_wait_loadcnt 0x0
	global_load_u8 v2, v[4:5], off
.LBB110_755:
	s_mov_b32 s27, -1
.LBB110_756:
	s_delay_alu instid0(SALU_CYCLE_1)
	s_and_not1_b32 vcc_lo, exec_lo, s27
	s_cbranch_vccnz .LBB110_764
; %bb.757:
	s_wait_xcnt 0x0
	v_mul_lo_u32 v4, v26, s15
	s_and_b32 s0, 0xffff, s1
	s_delay_alu instid0(SALU_CYCLE_1) | instskip(NEXT) | instid1(VALU_DEP_1)
	s_cmp_lt_i32 s0, 11
	v_ashrrev_i32_e32 v5, 31, v4
	s_delay_alu instid0(VALU_DEP_1)
	v_add_nc_u64_e32 v[4:5], s[10:11], v[4:5]
	s_cbranch_scc1 .LBB110_765
; %bb.758:
	s_cmp_gt_i32 s0, 25
	s_cbranch_scc0 .LBB110_766
; %bb.759:
	s_cmp_gt_i32 s0, 28
	s_cbranch_scc0 .LBB110_767
	;; [unrolled: 3-line block ×4, first 2 shown]
; %bb.762:
	s_cmp_eq_u32 s0, 46
	s_mov_b32 s30, 0
	s_cbranch_scc0 .LBB110_772
; %bb.763:
	s_wait_loadcnt 0x0
	global_load_b32 v1, v[4:5], off
	s_mov_b32 s27, -1
	s_mov_b32 s26, 0
	s_wait_loadcnt 0x0
	v_lshlrev_b32_e32 v1, 16, v1
	s_delay_alu instid0(VALU_DEP_1)
	v_cvt_i32_f32_e32 v6, v1
	s_branch .LBB110_774
.LBB110_764:
	s_mov_b32 s30, 0
	s_mov_b32 s0, s19
	;; [unrolled: 1-line block ×3, first 2 shown]
	s_branch .LBB110_1009
.LBB110_765:
	s_mov_b32 s30, -1
	s_mov_b32 s27, 0
	s_mov_b32 s26, s21
                                        ; implicit-def: $vgpr6
	s_branch .LBB110_835
.LBB110_766:
	s_mov_b32 s30, -1
	s_mov_b32 s27, 0
	s_mov_b32 s26, s21
                                        ; implicit-def: $vgpr6
	s_branch .LBB110_801
.LBB110_767:
	s_mov_b32 s30, -1
	s_mov_b32 s27, 0
	s_mov_b32 s26, s21
                                        ; implicit-def: $vgpr6
	s_branch .LBB110_784
.LBB110_768:
	s_mov_b32 s30, -1
	s_mov_b32 s27, 0
	s_mov_b32 s26, s21
                                        ; implicit-def: $vgpr6
	s_branch .LBB110_779
.LBB110_769:
	s_mov_b32 s30, -1
	s_mov_b32 s27, 0
	s_mov_b32 s26, s21
	s_branch .LBB110_773
.LBB110_770:
	s_and_not1_saveexec_b32 s29, s29
	s_cbranch_execz .LBB110_422
.LBB110_771:
	v_add_f32_e64 v3, 0x42800000, |v2|
	s_and_not1_b32 s28, s28, exec_lo
	s_delay_alu instid0(VALU_DEP_1) | instskip(NEXT) | instid1(VALU_DEP_1)
	v_and_b32_e32 v3, 0xff, v3
	v_cmp_ne_u32_e32 vcc_lo, 0, v3
	s_and_b32 s30, vcc_lo, exec_lo
	s_delay_alu instid0(SALU_CYCLE_1)
	s_or_b32 s28, s28, s30
	s_or_b32 exec_lo, exec_lo, s29
	v_mov_b32_e32 v5, 0
	s_and_saveexec_b32 s29, s28
	s_cbranch_execnz .LBB110_423
	s_branch .LBB110_424
.LBB110_772:
	s_mov_b32 s26, -1
	s_mov_b32 s27, 0
.LBB110_773:
                                        ; implicit-def: $vgpr6
.LBB110_774:
	s_and_b32 vcc_lo, exec_lo, s30
	s_cbranch_vccz .LBB110_778
; %bb.775:
	s_cmp_eq_u32 s0, 44
	s_cbranch_scc0 .LBB110_777
; %bb.776:
	s_wait_loadcnt 0x0
	global_load_u8 v1, v[4:5], off
	s_mov_b32 s26, 0
	s_mov_b32 s27, -1
	s_wait_loadcnt 0x0
	v_lshlrev_b32_e32 v3, 23, v1
	v_cmp_ne_u32_e32 vcc_lo, 0, v1
	s_delay_alu instid0(VALU_DEP_2) | instskip(NEXT) | instid1(VALU_DEP_1)
	v_cvt_i32_f32_e32 v3, v3
	v_cndmask_b32_e32 v6, 0, v3, vcc_lo
	s_branch .LBB110_778
.LBB110_777:
	s_mov_b32 s26, -1
                                        ; implicit-def: $vgpr6
.LBB110_778:
	s_mov_b32 s30, 0
.LBB110_779:
	s_delay_alu instid0(SALU_CYCLE_1)
	s_and_b32 vcc_lo, exec_lo, s30
	s_cbranch_vccz .LBB110_783
; %bb.780:
	s_cmp_eq_u32 s0, 29
	s_cbranch_scc0 .LBB110_782
; %bb.781:
	global_load_b64 v[6:7], v[4:5], off
	s_mov_b32 s27, -1
	s_mov_b32 s26, 0
	s_branch .LBB110_783
.LBB110_782:
	s_mov_b32 s26, -1
                                        ; implicit-def: $vgpr6
.LBB110_783:
	s_mov_b32 s30, 0
.LBB110_784:
	s_delay_alu instid0(SALU_CYCLE_1)
	s_and_b32 vcc_lo, exec_lo, s30
	s_cbranch_vccz .LBB110_800
; %bb.785:
	s_cmp_lt_i32 s0, 27
	s_cbranch_scc1 .LBB110_788
; %bb.786:
	s_cmp_gt_i32 s0, 27
	s_cbranch_scc0 .LBB110_789
; %bb.787:
	s_wait_loadcnt 0x0
	global_load_b32 v6, v[4:5], off
	s_mov_b32 s27, 0
	s_branch .LBB110_790
.LBB110_788:
	s_mov_b32 s27, -1
                                        ; implicit-def: $vgpr6
	s_branch .LBB110_793
.LBB110_789:
	s_mov_b32 s27, -1
                                        ; implicit-def: $vgpr6
.LBB110_790:
	s_delay_alu instid0(SALU_CYCLE_1)
	s_and_not1_b32 vcc_lo, exec_lo, s27
	s_cbranch_vccnz .LBB110_792
; %bb.791:
	s_wait_loadcnt 0x0
	global_load_u16 v6, v[4:5], off
.LBB110_792:
	s_mov_b32 s27, 0
.LBB110_793:
	s_delay_alu instid0(SALU_CYCLE_1)
	s_and_not1_b32 vcc_lo, exec_lo, s27
	s_cbranch_vccnz .LBB110_799
; %bb.794:
	s_wait_loadcnt 0x0
	global_load_u8 v1, v[4:5], off
	s_mov_b32 s30, 0
	s_mov_b32 s27, exec_lo
	s_wait_loadcnt 0x0
	v_cmpx_lt_i16_e32 0x7f, v1
	s_xor_b32 s27, exec_lo, s27
	s_cbranch_execz .LBB110_811
; %bb.795:
	v_cmp_ne_u16_e32 vcc_lo, 0x80, v1
	s_and_b32 s30, vcc_lo, exec_lo
	s_and_not1_saveexec_b32 s27, s27
	s_cbranch_execnz .LBB110_812
.LBB110_796:
	s_or_b32 exec_lo, exec_lo, s27
	v_mov_b32_e32 v6, 0
	s_and_saveexec_b32 s27, s30
	s_cbranch_execz .LBB110_798
.LBB110_797:
	v_and_b32_e32 v3, 0xffff, v1
	s_delay_alu instid0(VALU_DEP_1) | instskip(SKIP_1) | instid1(VALU_DEP_2)
	v_dual_lshlrev_b32 v1, 24, v1 :: v_dual_bitop2_b32 v6, 7, v3 bitop3:0x40
	v_bfe_u32 v9, v3, 3, 4
	v_and_b32_e32 v1, 0x80000000, v1
	s_delay_alu instid0(VALU_DEP_3) | instskip(NEXT) | instid1(VALU_DEP_3)
	v_clz_i32_u32_e32 v7, v6
	v_cmp_eq_u32_e32 vcc_lo, 0, v9
	s_delay_alu instid0(VALU_DEP_2) | instskip(NEXT) | instid1(VALU_DEP_1)
	v_min_u32_e32 v7, 32, v7
	v_subrev_nc_u32_e32 v8, 28, v7
	v_sub_nc_u32_e32 v7, 29, v7
	s_delay_alu instid0(VALU_DEP_2) | instskip(NEXT) | instid1(VALU_DEP_2)
	v_lshlrev_b32_e32 v3, v8, v3
	v_cndmask_b32_e32 v7, v9, v7, vcc_lo
	s_delay_alu instid0(VALU_DEP_2) | instskip(NEXT) | instid1(VALU_DEP_1)
	v_and_b32_e32 v3, 7, v3
	v_cndmask_b32_e32 v3, v6, v3, vcc_lo
	s_delay_alu instid0(VALU_DEP_3) | instskip(NEXT) | instid1(VALU_DEP_2)
	v_lshl_add_u32 v6, v7, 23, 0x3b800000
	v_lshlrev_b32_e32 v3, 20, v3
	s_delay_alu instid0(VALU_DEP_1) | instskip(NEXT) | instid1(VALU_DEP_1)
	v_or3_b32 v1, v1, v6, v3
	v_cvt_i32_f32_e32 v6, v1
.LBB110_798:
	s_or_b32 exec_lo, exec_lo, s27
.LBB110_799:
	s_mov_b32 s27, -1
.LBB110_800:
	s_mov_b32 s30, 0
.LBB110_801:
	s_delay_alu instid0(SALU_CYCLE_1)
	s_and_b32 vcc_lo, exec_lo, s30
	s_cbranch_vccz .LBB110_834
; %bb.802:
	s_cmp_gt_i32 s0, 22
	s_cbranch_scc0 .LBB110_810
; %bb.803:
	s_cmp_lt_i32 s0, 24
	s_cbranch_scc1 .LBB110_813
; %bb.804:
	s_cmp_gt_i32 s0, 24
	s_cbranch_scc0 .LBB110_814
; %bb.805:
	s_wait_loadcnt 0x0
	global_load_u8 v1, v[4:5], off
	s_mov_b32 s30, 0
	s_mov_b32 s27, exec_lo
	s_wait_loadcnt 0x0
	v_cmpx_lt_i16_e32 0x7f, v1
	s_xor_b32 s27, exec_lo, s27
	s_cbranch_execz .LBB110_826
; %bb.806:
	v_cmp_ne_u16_e32 vcc_lo, 0x80, v1
	s_and_b32 s30, vcc_lo, exec_lo
	s_and_not1_saveexec_b32 s27, s27
	s_cbranch_execnz .LBB110_827
.LBB110_807:
	s_or_b32 exec_lo, exec_lo, s27
	v_mov_b32_e32 v6, 0
	s_and_saveexec_b32 s27, s30
	s_cbranch_execz .LBB110_809
.LBB110_808:
	v_and_b32_e32 v3, 0xffff, v1
	s_delay_alu instid0(VALU_DEP_1) | instskip(SKIP_1) | instid1(VALU_DEP_2)
	v_dual_lshlrev_b32 v1, 24, v1 :: v_dual_bitop2_b32 v6, 3, v3 bitop3:0x40
	v_bfe_u32 v9, v3, 2, 5
	v_and_b32_e32 v1, 0x80000000, v1
	s_delay_alu instid0(VALU_DEP_3) | instskip(NEXT) | instid1(VALU_DEP_3)
	v_clz_i32_u32_e32 v7, v6
	v_cmp_eq_u32_e32 vcc_lo, 0, v9
	s_delay_alu instid0(VALU_DEP_2) | instskip(NEXT) | instid1(VALU_DEP_1)
	v_min_u32_e32 v7, 32, v7
	v_subrev_nc_u32_e32 v8, 29, v7
	v_sub_nc_u32_e32 v7, 30, v7
	s_delay_alu instid0(VALU_DEP_2) | instskip(NEXT) | instid1(VALU_DEP_2)
	v_lshlrev_b32_e32 v3, v8, v3
	v_cndmask_b32_e32 v7, v9, v7, vcc_lo
	s_delay_alu instid0(VALU_DEP_2) | instskip(NEXT) | instid1(VALU_DEP_1)
	v_and_b32_e32 v3, 3, v3
	v_cndmask_b32_e32 v3, v6, v3, vcc_lo
	s_delay_alu instid0(VALU_DEP_3) | instskip(NEXT) | instid1(VALU_DEP_2)
	v_lshl_add_u32 v6, v7, 23, 0x37800000
	v_lshlrev_b32_e32 v3, 21, v3
	s_delay_alu instid0(VALU_DEP_1) | instskip(NEXT) | instid1(VALU_DEP_1)
	v_or3_b32 v1, v1, v6, v3
	v_cvt_i32_f32_e32 v6, v1
.LBB110_809:
	s_or_b32 exec_lo, exec_lo, s27
	s_mov_b32 s27, 0
	s_branch .LBB110_815
.LBB110_810:
	s_mov_b32 s30, -1
                                        ; implicit-def: $vgpr6
	s_branch .LBB110_821
.LBB110_811:
	s_and_not1_saveexec_b32 s27, s27
	s_cbranch_execz .LBB110_796
.LBB110_812:
	v_cmp_ne_u16_e32 vcc_lo, 0, v1
	s_and_not1_b32 s30, s30, exec_lo
	s_and_b32 s31, vcc_lo, exec_lo
	s_delay_alu instid0(SALU_CYCLE_1)
	s_or_b32 s30, s30, s31
	s_or_b32 exec_lo, exec_lo, s27
	v_mov_b32_e32 v6, 0
	s_and_saveexec_b32 s27, s30
	s_cbranch_execnz .LBB110_797
	s_branch .LBB110_798
.LBB110_813:
	s_mov_b32 s27, -1
                                        ; implicit-def: $vgpr6
	s_branch .LBB110_818
.LBB110_814:
	s_mov_b32 s27, -1
                                        ; implicit-def: $vgpr6
.LBB110_815:
	s_delay_alu instid0(SALU_CYCLE_1)
	s_and_b32 vcc_lo, exec_lo, s27
	s_cbranch_vccz .LBB110_817
; %bb.816:
	s_wait_loadcnt 0x0
	global_load_u8 v1, v[4:5], off
	s_wait_loadcnt 0x0
	v_lshlrev_b32_e32 v1, 24, v1
	s_delay_alu instid0(VALU_DEP_1) | instskip(NEXT) | instid1(VALU_DEP_1)
	v_and_b32_e32 v3, 0x7f000000, v1
	v_clz_i32_u32_e32 v6, v3
	v_cmp_ne_u32_e32 vcc_lo, 0, v3
	v_add_nc_u32_e32 v8, 0x1000000, v3
	s_delay_alu instid0(VALU_DEP_3) | instskip(NEXT) | instid1(VALU_DEP_1)
	v_min_u32_e32 v6, 32, v6
	v_sub_nc_u32_e64 v6, v6, 4 clamp
	s_delay_alu instid0(VALU_DEP_1) | instskip(NEXT) | instid1(VALU_DEP_1)
	v_dual_lshlrev_b32 v7, v6, v3 :: v_dual_lshlrev_b32 v6, 23, v6
	v_lshrrev_b32_e32 v7, 4, v7
	s_delay_alu instid0(VALU_DEP_1) | instskip(NEXT) | instid1(VALU_DEP_1)
	v_dual_sub_nc_u32 v6, v7, v6 :: v_dual_ashrrev_i32 v7, 8, v8
	v_add_nc_u32_e32 v6, 0x3c000000, v6
	s_delay_alu instid0(VALU_DEP_1) | instskip(NEXT) | instid1(VALU_DEP_1)
	v_and_or_b32 v6, 0x7f800000, v7, v6
	v_cndmask_b32_e32 v3, 0, v6, vcc_lo
	s_delay_alu instid0(VALU_DEP_1) | instskip(NEXT) | instid1(VALU_DEP_1)
	v_and_or_b32 v1, 0x80000000, v1, v3
	v_cvt_i32_f32_e32 v6, v1
.LBB110_817:
	s_mov_b32 s27, 0
.LBB110_818:
	s_delay_alu instid0(SALU_CYCLE_1)
	s_and_not1_b32 vcc_lo, exec_lo, s27
	s_cbranch_vccnz .LBB110_820
; %bb.819:
	s_wait_loadcnt 0x0
	global_load_u8 v1, v[4:5], off
	s_wait_loadcnt 0x0
	v_lshlrev_b32_e32 v3, 25, v1
	v_lshlrev_b16 v1, 8, v1
	s_delay_alu instid0(VALU_DEP_1) | instskip(SKIP_1) | instid1(VALU_DEP_2)
	v_and_or_b32 v7, 0x7f00, v1, 0.5
	v_bfe_i32 v1, v1, 0, 16
	v_add_f32_e32 v7, -0.5, v7
	v_lshrrev_b32_e32 v6, 4, v3
	v_cmp_gt_u32_e32 vcc_lo, 0x8000000, v3
	s_delay_alu instid0(VALU_DEP_2) | instskip(NEXT) | instid1(VALU_DEP_1)
	v_or_b32_e32 v6, 0x70000000, v6
	v_mul_f32_e32 v6, 0x7800000, v6
	s_delay_alu instid0(VALU_DEP_1) | instskip(NEXT) | instid1(VALU_DEP_1)
	v_cndmask_b32_e32 v3, v6, v7, vcc_lo
	v_and_or_b32 v1, 0x80000000, v1, v3
	s_delay_alu instid0(VALU_DEP_1)
	v_cvt_i32_f32_e32 v6, v1
.LBB110_820:
	s_mov_b32 s30, 0
	s_mov_b32 s27, -1
.LBB110_821:
	s_and_not1_b32 vcc_lo, exec_lo, s30
	s_cbranch_vccnz .LBB110_834
; %bb.822:
	s_cmp_gt_i32 s0, 14
	s_cbranch_scc0 .LBB110_825
; %bb.823:
	s_cmp_eq_u32 s0, 15
	s_cbranch_scc0 .LBB110_828
; %bb.824:
	s_wait_loadcnt 0x0
	global_load_u16 v1, v[4:5], off
	s_mov_b32 s27, -1
	s_mov_b32 s26, 0
	s_wait_loadcnt 0x0
	v_lshlrev_b32_e32 v1, 16, v1
	s_delay_alu instid0(VALU_DEP_1)
	v_cvt_i32_f32_e32 v6, v1
	s_branch .LBB110_829
.LBB110_825:
	s_mov_b32 s30, -1
                                        ; implicit-def: $vgpr6
	s_branch .LBB110_830
.LBB110_826:
	s_and_not1_saveexec_b32 s27, s27
	s_cbranch_execz .LBB110_807
.LBB110_827:
	v_cmp_ne_u16_e32 vcc_lo, 0, v1
	s_and_not1_b32 s30, s30, exec_lo
	s_and_b32 s31, vcc_lo, exec_lo
	s_delay_alu instid0(SALU_CYCLE_1)
	s_or_b32 s30, s30, s31
	s_or_b32 exec_lo, exec_lo, s27
	v_mov_b32_e32 v6, 0
	s_and_saveexec_b32 s27, s30
	s_cbranch_execnz .LBB110_808
	s_branch .LBB110_809
.LBB110_828:
	s_mov_b32 s26, -1
                                        ; implicit-def: $vgpr6
.LBB110_829:
	s_mov_b32 s30, 0
.LBB110_830:
	s_delay_alu instid0(SALU_CYCLE_1)
	s_and_b32 vcc_lo, exec_lo, s30
	s_cbranch_vccz .LBB110_834
; %bb.831:
	s_cmp_eq_u32 s0, 11
	s_cbranch_scc0 .LBB110_833
; %bb.832:
	s_wait_loadcnt 0x0
	global_load_u8 v1, v[4:5], off
	s_mov_b32 s26, 0
	s_mov_b32 s27, -1
	s_wait_loadcnt 0x0
	v_cmp_ne_u16_e32 vcc_lo, 0, v1
	v_cndmask_b32_e64 v6, 0, 1, vcc_lo
	s_branch .LBB110_834
.LBB110_833:
	s_mov_b32 s26, -1
                                        ; implicit-def: $vgpr6
.LBB110_834:
	s_mov_b32 s30, 0
.LBB110_835:
	s_delay_alu instid0(SALU_CYCLE_1)
	s_and_b32 vcc_lo, exec_lo, s30
	s_cbranch_vccz .LBB110_884
; %bb.836:
	s_cmp_lt_i32 s0, 5
	s_cbranch_scc1 .LBB110_841
; %bb.837:
	s_cmp_lt_i32 s0, 8
	s_cbranch_scc1 .LBB110_842
	;; [unrolled: 3-line block ×3, first 2 shown]
; %bb.839:
	s_cmp_gt_i32 s0, 9
	s_cbranch_scc0 .LBB110_844
; %bb.840:
	s_wait_loadcnt 0x0
	global_load_b64 v[6:7], v[4:5], off
	s_mov_b32 s27, 0
	s_wait_loadcnt 0x0
	v_cvt_i32_f64_e32 v6, v[6:7]
	s_branch .LBB110_845
.LBB110_841:
	s_mov_b32 s27, -1
                                        ; implicit-def: $vgpr6
	s_branch .LBB110_863
.LBB110_842:
	s_mov_b32 s27, -1
                                        ; implicit-def: $vgpr6
	s_branch .LBB110_851
.LBB110_843:
	s_mov_b32 s27, -1
                                        ; implicit-def: $vgpr6
	s_branch .LBB110_848
.LBB110_844:
	s_mov_b32 s27, -1
                                        ; implicit-def: $vgpr6
.LBB110_845:
	s_delay_alu instid0(SALU_CYCLE_1)
	s_and_not1_b32 vcc_lo, exec_lo, s27
	s_cbranch_vccnz .LBB110_847
; %bb.846:
	s_wait_loadcnt 0x0
	global_load_b32 v1, v[4:5], off
	s_wait_loadcnt 0x0
	v_cvt_i32_f32_e32 v6, v1
.LBB110_847:
	s_mov_b32 s27, 0
.LBB110_848:
	s_delay_alu instid0(SALU_CYCLE_1)
	s_and_not1_b32 vcc_lo, exec_lo, s27
	s_cbranch_vccnz .LBB110_850
; %bb.849:
	s_wait_loadcnt 0x0
	global_load_b32 v1, v[4:5], off
	s_wait_loadcnt 0x0
	v_cvt_i16_f16_e32 v6, v1
.LBB110_850:
	s_mov_b32 s27, 0
.LBB110_851:
	s_delay_alu instid0(SALU_CYCLE_1)
	s_and_not1_b32 vcc_lo, exec_lo, s27
	s_cbranch_vccnz .LBB110_862
; %bb.852:
	s_cmp_lt_i32 s0, 6
	s_cbranch_scc1 .LBB110_855
; %bb.853:
	s_cmp_gt_i32 s0, 6
	s_cbranch_scc0 .LBB110_856
; %bb.854:
	s_wait_loadcnt 0x0
	global_load_b64 v[6:7], v[4:5], off
	s_mov_b32 s27, 0
	s_wait_loadcnt 0x0
	v_cvt_i32_f64_e32 v6, v[6:7]
	s_branch .LBB110_857
.LBB110_855:
	s_mov_b32 s27, -1
                                        ; implicit-def: $vgpr6
	s_branch .LBB110_860
.LBB110_856:
	s_mov_b32 s27, -1
                                        ; implicit-def: $vgpr6
.LBB110_857:
	s_delay_alu instid0(SALU_CYCLE_1)
	s_and_not1_b32 vcc_lo, exec_lo, s27
	s_cbranch_vccnz .LBB110_859
; %bb.858:
	s_wait_loadcnt 0x0
	global_load_b32 v1, v[4:5], off
	s_wait_loadcnt 0x0
	v_cvt_i32_f32_e32 v6, v1
.LBB110_859:
	s_mov_b32 s27, 0
.LBB110_860:
	s_delay_alu instid0(SALU_CYCLE_1)
	s_and_not1_b32 vcc_lo, exec_lo, s27
	s_cbranch_vccnz .LBB110_862
; %bb.861:
	s_wait_loadcnt 0x0
	global_load_u16 v1, v[4:5], off
	s_wait_loadcnt 0x0
	v_cvt_i16_f16_e32 v6, v1
.LBB110_862:
	s_mov_b32 s27, 0
.LBB110_863:
	s_delay_alu instid0(SALU_CYCLE_1)
	s_and_not1_b32 vcc_lo, exec_lo, s27
	s_cbranch_vccnz .LBB110_883
; %bb.864:
	s_cmp_lt_i32 s0, 2
	s_cbranch_scc1 .LBB110_868
; %bb.865:
	s_cmp_lt_i32 s0, 3
	s_cbranch_scc1 .LBB110_869
; %bb.866:
	s_cmp_gt_i32 s0, 3
	s_cbranch_scc0 .LBB110_870
; %bb.867:
	s_wait_loadcnt 0x0
	global_load_b64 v[6:7], v[4:5], off
	s_mov_b32 s27, 0
	s_branch .LBB110_871
.LBB110_868:
	s_mov_b32 s27, -1
                                        ; implicit-def: $vgpr6
	s_branch .LBB110_877
.LBB110_869:
	s_mov_b32 s27, -1
                                        ; implicit-def: $vgpr6
	s_branch .LBB110_874
.LBB110_870:
	s_mov_b32 s27, -1
                                        ; implicit-def: $vgpr6
.LBB110_871:
	s_delay_alu instid0(SALU_CYCLE_1)
	s_and_not1_b32 vcc_lo, exec_lo, s27
	s_cbranch_vccnz .LBB110_873
; %bb.872:
	s_wait_loadcnt 0x0
	global_load_b32 v6, v[4:5], off
.LBB110_873:
	s_mov_b32 s27, 0
.LBB110_874:
	s_delay_alu instid0(SALU_CYCLE_1)
	s_and_not1_b32 vcc_lo, exec_lo, s27
	s_cbranch_vccnz .LBB110_876
; %bb.875:
	s_wait_loadcnt 0x0
	global_load_u16 v6, v[4:5], off
.LBB110_876:
	s_mov_b32 s27, 0
.LBB110_877:
	s_delay_alu instid0(SALU_CYCLE_1)
	s_and_not1_b32 vcc_lo, exec_lo, s27
	s_cbranch_vccnz .LBB110_883
; %bb.878:
	s_cmp_gt_i32 s0, 0
	s_mov_b32 s0, 0
	s_cbranch_scc0 .LBB110_880
; %bb.879:
	s_wait_loadcnt 0x0
	global_load_u8 v6, v[4:5], off
	s_branch .LBB110_881
.LBB110_880:
	s_mov_b32 s0, -1
                                        ; implicit-def: $vgpr6
.LBB110_881:
	s_delay_alu instid0(SALU_CYCLE_1)
	s_and_not1_b32 vcc_lo, exec_lo, s0
	s_cbranch_vccnz .LBB110_883
; %bb.882:
	s_wait_loadcnt 0x0
	global_load_u8 v6, v[4:5], off
.LBB110_883:
	s_mov_b32 s27, -1
.LBB110_884:
	s_delay_alu instid0(SALU_CYCLE_1)
	s_and_not1_b32 vcc_lo, exec_lo, s27
	s_cbranch_vccnz .LBB110_892
; %bb.885:
	s_wait_xcnt 0x0
	v_mul_lo_u32 v4, v26, s12
	s_wait_loadcnt 0x0
	v_bfe_i32 v1, v2, 0, 8
	v_bfe_i32 v0, v0, 0, 8
	s_delay_alu instid0(VALU_DEP_4) | instskip(SKIP_1) | instid1(SALU_CYCLE_1)
	v_bfe_i32 v3, v6, 0, 8
	s_and_b32 s27, s2, 0xff
	s_cmp_lt_i32 s27, 11
	s_delay_alu instid0(VALU_DEP_2) | instskip(SKIP_1) | instid1(VALU_DEP_1)
	v_max_i16 v2, v0, v1
	v_ashrrev_i32_e32 v5, 31, v4
	v_add_nc_u64_e32 v[0:1], s[4:5], v[4:5]
	s_delay_alu instid0(VALU_DEP_3)
	v_min_i16 v4, v2, v3
	s_cbranch_scc1 .LBB110_893
; %bb.886:
	s_and_b32 s30, 0xffff, s27
	s_delay_alu instid0(SALU_CYCLE_1)
	s_cmp_gt_i32 s30, 25
	s_cbranch_scc0 .LBB110_894
; %bb.887:
	s_cmp_gt_i32 s30, 28
	s_cbranch_scc0 .LBB110_895
; %bb.888:
	;; [unrolled: 3-line block ×4, first 2 shown]
	s_mov_b32 s33, 0
	s_mov_b32 s0, -1
	s_cmp_eq_u32 s30, 46
	s_mov_b32 s31, 0
	s_cbranch_scc0 .LBB110_898
; %bb.891:
	v_bfe_i32 v2, v4, 0, 16
	s_mov_b32 s31, -1
	s_mov_b32 s0, 0
	s_delay_alu instid0(VALU_DEP_1) | instskip(NEXT) | instid1(VALU_DEP_1)
	v_cvt_f32_i32_e32 v2, v2
	v_bfe_u32 v3, v2, 16, 1
	s_delay_alu instid0(VALU_DEP_1) | instskip(NEXT) | instid1(VALU_DEP_1)
	v_add3_u32 v2, v2, v3, 0x7fff
	v_lshrrev_b32_e32 v2, 16, v2
	global_store_b32 v[0:1], v2, off
	s_branch .LBB110_898
.LBB110_892:
	s_mov_b32 s30, 0
	s_mov_b32 s0, s19
	s_branch .LBB110_1009
.LBB110_893:
	s_mov_b32 s30, -1
	s_mov_b32 s31, 0
	s_mov_b32 s0, s19
	s_branch .LBB110_967
.LBB110_894:
	s_mov_b32 s33, -1
	s_mov_b32 s31, 0
	s_mov_b32 s0, s19
	s_branch .LBB110_925
.LBB110_895:
	s_mov_b32 s33, -1
	s_mov_b32 s31, 0
	s_mov_b32 s0, s19
	s_branch .LBB110_908
.LBB110_896:
	s_mov_b32 s33, -1
	s_mov_b32 s31, 0
	s_mov_b32 s0, s19
	s_branch .LBB110_904
.LBB110_897:
	s_mov_b32 s33, -1
	s_mov_b32 s31, 0
	s_mov_b32 s0, s19
.LBB110_898:
	s_and_b32 vcc_lo, exec_lo, s33
	s_cbranch_vccz .LBB110_903
; %bb.899:
	s_cmp_eq_u32 s30, 44
	s_mov_b32 s0, -1
	s_cbranch_scc0 .LBB110_903
; %bb.900:
	s_wait_xcnt 0x0
	v_bfe_i32 v2, v4, 0, 16
	v_mov_b32_e32 v3, 0xff
	s_mov_b32 s31, exec_lo
	s_delay_alu instid0(VALU_DEP_2) | instskip(NEXT) | instid1(VALU_DEP_1)
	v_cvt_f32_i32_e32 v2, v2
	v_bfe_u32 v5, v2, 23, 8
	s_delay_alu instid0(VALU_DEP_1)
	v_cmpx_ne_u32_e32 0xff, v5
	s_cbranch_execz .LBB110_902
; %bb.901:
	v_and_b32_e32 v3, 0x400000, v2
	v_and_or_b32 v5, 0x3fffff, v2, v5
	v_lshrrev_b32_e32 v2, 23, v2
	s_delay_alu instid0(VALU_DEP_3) | instskip(NEXT) | instid1(VALU_DEP_3)
	v_cmp_ne_u32_e32 vcc_lo, 0, v3
	v_cmp_ne_u32_e64 s0, 0, v5
	s_and_b32 s0, vcc_lo, s0
	s_delay_alu instid0(SALU_CYCLE_1) | instskip(NEXT) | instid1(VALU_DEP_1)
	v_cndmask_b32_e64 v3, 0, 1, s0
	v_add_nc_u32_e32 v3, v2, v3
.LBB110_902:
	s_or_b32 exec_lo, exec_lo, s31
	s_mov_b32 s31, -1
	s_mov_b32 s0, 0
	global_store_b8 v[0:1], v3, off
.LBB110_903:
	s_mov_b32 s33, 0
.LBB110_904:
	s_delay_alu instid0(SALU_CYCLE_1)
	s_and_b32 vcc_lo, exec_lo, s33
	s_cbranch_vccz .LBB110_907
; %bb.905:
	s_cmp_eq_u32 s30, 29
	s_mov_b32 s0, -1
	s_cbranch_scc0 .LBB110_907
; %bb.906:
	s_wait_xcnt 0x0
	v_bfe_i32 v2, v4, 0, 16
	s_mov_b32 s0, 0
	s_mov_b32 s31, -1
	s_mov_b32 s33, 0
	s_delay_alu instid0(VALU_DEP_1)
	v_ashrrev_i32_e32 v3, 31, v2
	global_store_b64 v[0:1], v[2:3], off
	s_branch .LBB110_908
.LBB110_907:
	s_mov_b32 s33, 0
.LBB110_908:
	s_delay_alu instid0(SALU_CYCLE_1)
	s_and_b32 vcc_lo, exec_lo, s33
	s_cbranch_vccz .LBB110_924
; %bb.909:
	s_cmp_lt_i32 s30, 27
	s_mov_b32 s31, -1
	s_cbranch_scc1 .LBB110_915
; %bb.910:
	s_cmp_gt_i32 s30, 27
	s_cbranch_scc0 .LBB110_912
; %bb.911:
	s_wait_xcnt 0x0
	v_bfe_i32 v2, v4, 0, 16
	s_mov_b32 s31, 0
	global_store_b32 v[0:1], v2, off
.LBB110_912:
	s_and_not1_b32 vcc_lo, exec_lo, s31
	s_cbranch_vccnz .LBB110_914
; %bb.913:
	global_store_b16 v[0:1], v4, off
.LBB110_914:
	s_mov_b32 s31, 0
.LBB110_915:
	s_delay_alu instid0(SALU_CYCLE_1)
	s_and_not1_b32 vcc_lo, exec_lo, s31
	s_cbranch_vccnz .LBB110_923
; %bb.916:
	s_wait_xcnt 0x0
	v_bfe_i32 v2, v4, 0, 16
	v_mov_b32_e32 v5, 0x80
	s_mov_b32 s31, exec_lo
	s_delay_alu instid0(VALU_DEP_2) | instskip(NEXT) | instid1(VALU_DEP_1)
	v_cvt_f32_i32_e32 v2, v2
	v_and_b32_e32 v3, 0x7fffffff, v2
	s_delay_alu instid0(VALU_DEP_1)
	v_cmpx_gt_u32_e32 0x43800000, v3
	s_cbranch_execz .LBB110_922
; %bb.917:
	v_cmp_lt_u32_e32 vcc_lo, 0x3bffffff, v3
	s_mov_b32 s33, 0
                                        ; implicit-def: $vgpr3
	s_and_saveexec_b32 s34, vcc_lo
	s_delay_alu instid0(SALU_CYCLE_1)
	s_xor_b32 s34, exec_lo, s34
	s_cbranch_execz .LBB110_1151
; %bb.918:
	v_bfe_u32 v3, v2, 20, 1
	s_mov_b32 s33, exec_lo
	s_delay_alu instid0(VALU_DEP_1) | instskip(NEXT) | instid1(VALU_DEP_1)
	v_add3_u32 v3, v2, v3, 0x487ffff
	v_lshrrev_b32_e32 v3, 20, v3
	s_and_not1_saveexec_b32 s34, s34
	s_cbranch_execnz .LBB110_1152
.LBB110_919:
	s_or_b32 exec_lo, exec_lo, s34
	v_mov_b32_e32 v5, 0
	s_and_saveexec_b32 s34, s33
.LBB110_920:
	v_lshrrev_b32_e32 v2, 24, v2
	s_delay_alu instid0(VALU_DEP_1)
	v_and_or_b32 v5, 0x80, v2, v3
.LBB110_921:
	s_or_b32 exec_lo, exec_lo, s34
.LBB110_922:
	s_delay_alu instid0(SALU_CYCLE_1)
	s_or_b32 exec_lo, exec_lo, s31
	global_store_b8 v[0:1], v5, off
.LBB110_923:
	s_mov_b32 s31, -1
.LBB110_924:
	s_mov_b32 s33, 0
.LBB110_925:
	s_delay_alu instid0(SALU_CYCLE_1)
	s_and_b32 vcc_lo, exec_lo, s33
	s_cbranch_vccz .LBB110_966
; %bb.926:
	s_cmp_gt_i32 s30, 22
	s_mov_b32 s33, -1
	s_cbranch_scc0 .LBB110_958
; %bb.927:
	s_cmp_lt_i32 s30, 24
	s_mov_b32 s31, -1
	s_cbranch_scc1 .LBB110_947
; %bb.928:
	s_cmp_gt_i32 s30, 24
	s_cbranch_scc0 .LBB110_936
; %bb.929:
	s_wait_xcnt 0x0
	v_bfe_i32 v2, v4, 0, 16
	v_mov_b32_e32 v5, 0x80
	s_mov_b32 s31, exec_lo
	s_delay_alu instid0(VALU_DEP_2) | instskip(NEXT) | instid1(VALU_DEP_1)
	v_cvt_f32_i32_e32 v2, v2
	v_and_b32_e32 v3, 0x7fffffff, v2
	s_delay_alu instid0(VALU_DEP_1)
	v_cmpx_gt_u32_e32 0x47800000, v3
	s_cbranch_execz .LBB110_935
; %bb.930:
	v_cmp_lt_u32_e32 vcc_lo, 0x37ffffff, v3
	s_mov_b32 s33, 0
                                        ; implicit-def: $vgpr3
	s_and_saveexec_b32 s34, vcc_lo
	s_delay_alu instid0(SALU_CYCLE_1)
	s_xor_b32 s34, exec_lo, s34
	s_cbranch_execz .LBB110_1279
; %bb.931:
	v_bfe_u32 v3, v2, 21, 1
	s_mov_b32 s33, exec_lo
	s_delay_alu instid0(VALU_DEP_1) | instskip(NEXT) | instid1(VALU_DEP_1)
	v_add3_u32 v3, v2, v3, 0x88fffff
	v_lshrrev_b32_e32 v3, 21, v3
	s_and_not1_saveexec_b32 s34, s34
	s_cbranch_execnz .LBB110_1280
.LBB110_932:
	s_or_b32 exec_lo, exec_lo, s34
	v_mov_b32_e32 v5, 0
	s_and_saveexec_b32 s34, s33
.LBB110_933:
	v_lshrrev_b32_e32 v2, 24, v2
	s_delay_alu instid0(VALU_DEP_1)
	v_and_or_b32 v5, 0x80, v2, v3
.LBB110_934:
	s_or_b32 exec_lo, exec_lo, s34
.LBB110_935:
	s_delay_alu instid0(SALU_CYCLE_1)
	s_or_b32 exec_lo, exec_lo, s31
	s_mov_b32 s31, 0
	global_store_b8 v[0:1], v5, off
.LBB110_936:
	s_and_b32 vcc_lo, exec_lo, s31
	s_cbranch_vccz .LBB110_946
; %bb.937:
	s_wait_xcnt 0x0
	v_bfe_i32 v2, v4, 0, 16
	s_mov_b32 s31, exec_lo
                                        ; implicit-def: $vgpr3
	s_delay_alu instid0(VALU_DEP_1) | instskip(NEXT) | instid1(VALU_DEP_1)
	v_cvt_f32_i32_e32 v2, v2
	v_and_b32_e32 v5, 0x7fffffff, v2
	s_delay_alu instid0(VALU_DEP_1)
	v_cmpx_gt_u32_e32 0x43f00000, v5
	s_xor_b32 s31, exec_lo, s31
	s_cbranch_execz .LBB110_943
; %bb.938:
	s_mov_b32 s33, exec_lo
                                        ; implicit-def: $vgpr3
	v_cmpx_lt_u32_e32 0x3c7fffff, v5
	s_xor_b32 s33, exec_lo, s33
; %bb.939:
	v_bfe_u32 v3, v2, 20, 1
	s_delay_alu instid0(VALU_DEP_1) | instskip(NEXT) | instid1(VALU_DEP_1)
	v_add3_u32 v3, v2, v3, 0x407ffff
	v_and_b32_e32 v5, 0xff00000, v3
	v_lshrrev_b32_e32 v3, 20, v3
	s_delay_alu instid0(VALU_DEP_2) | instskip(NEXT) | instid1(VALU_DEP_2)
	v_cmp_ne_u32_e32 vcc_lo, 0x7f00000, v5
	v_cndmask_b32_e32 v3, 0x7e, v3, vcc_lo
; %bb.940:
	s_and_not1_saveexec_b32 s33, s33
; %bb.941:
	v_add_f32_e64 v3, 0x46800000, |v2|
; %bb.942:
	s_or_b32 exec_lo, exec_lo, s33
                                        ; implicit-def: $vgpr5
.LBB110_943:
	s_and_not1_saveexec_b32 s31, s31
; %bb.944:
	v_mov_b32_e32 v3, 0x7f
	v_cmp_lt_u32_e32 vcc_lo, 0x7f800000, v5
	s_delay_alu instid0(VALU_DEP_2)
	v_cndmask_b32_e32 v3, 0x7e, v3, vcc_lo
; %bb.945:
	s_or_b32 exec_lo, exec_lo, s31
	v_lshrrev_b32_e32 v2, 24, v2
	s_delay_alu instid0(VALU_DEP_1)
	v_and_or_b32 v2, 0x80, v2, v3
	global_store_b8 v[0:1], v2, off
.LBB110_946:
	s_mov_b32 s31, 0
.LBB110_947:
	s_delay_alu instid0(SALU_CYCLE_1)
	s_and_not1_b32 vcc_lo, exec_lo, s31
	s_cbranch_vccnz .LBB110_957
; %bb.948:
	s_wait_xcnt 0x0
	v_bfe_i32 v2, v4, 0, 16
	s_mov_b32 s31, exec_lo
                                        ; implicit-def: $vgpr3
	s_delay_alu instid0(VALU_DEP_1) | instskip(NEXT) | instid1(VALU_DEP_1)
	v_cvt_f32_i32_e32 v2, v2
	v_and_b32_e32 v5, 0x7fffffff, v2
	s_delay_alu instid0(VALU_DEP_1)
	v_cmpx_gt_u32_e32 0x47800000, v5
	s_xor_b32 s31, exec_lo, s31
	s_cbranch_execz .LBB110_954
; %bb.949:
	s_mov_b32 s33, exec_lo
                                        ; implicit-def: $vgpr3
	v_cmpx_lt_u32_e32 0x387fffff, v5
	s_xor_b32 s33, exec_lo, s33
; %bb.950:
	v_bfe_u32 v3, v2, 21, 1
	s_delay_alu instid0(VALU_DEP_1) | instskip(NEXT) | instid1(VALU_DEP_1)
	v_add3_u32 v3, v2, v3, 0x80fffff
	v_lshrrev_b32_e32 v3, 21, v3
; %bb.951:
	s_and_not1_saveexec_b32 s33, s33
; %bb.952:
	v_add_f32_e64 v3, 0x43000000, |v2|
; %bb.953:
	s_or_b32 exec_lo, exec_lo, s33
                                        ; implicit-def: $vgpr5
.LBB110_954:
	s_and_not1_saveexec_b32 s31, s31
; %bb.955:
	v_mov_b32_e32 v3, 0x7f
	v_cmp_lt_u32_e32 vcc_lo, 0x7f800000, v5
	s_delay_alu instid0(VALU_DEP_2)
	v_cndmask_b32_e32 v3, 0x7c, v3, vcc_lo
; %bb.956:
	s_or_b32 exec_lo, exec_lo, s31
	v_lshrrev_b32_e32 v2, 24, v2
	s_delay_alu instid0(VALU_DEP_1)
	v_and_or_b32 v2, 0x80, v2, v3
	global_store_b8 v[0:1], v2, off
.LBB110_957:
	s_mov_b32 s33, 0
	s_mov_b32 s31, -1
.LBB110_958:
	s_and_not1_b32 vcc_lo, exec_lo, s33
	s_cbranch_vccnz .LBB110_966
; %bb.959:
	s_cmp_gt_i32 s30, 14
	s_mov_b32 s33, -1
	s_cbranch_scc0 .LBB110_963
; %bb.960:
	s_cmp_eq_u32 s30, 15
	s_mov_b32 s0, -1
	s_cbranch_scc0 .LBB110_962
; %bb.961:
	s_wait_xcnt 0x0
	v_bfe_i32 v2, v4, 0, 16
	s_mov_b32 s31, -1
	s_mov_b32 s0, 0
	s_delay_alu instid0(VALU_DEP_1) | instskip(NEXT) | instid1(VALU_DEP_1)
	v_cvt_f32_i32_e32 v2, v2
	v_bfe_u32 v3, v2, 16, 1
	s_delay_alu instid0(VALU_DEP_1)
	v_add3_u32 v2, v2, v3, 0x7fff
	global_store_d16_hi_b16 v[0:1], v2, off
.LBB110_962:
	s_mov_b32 s33, 0
.LBB110_963:
	s_delay_alu instid0(SALU_CYCLE_1)
	s_and_b32 vcc_lo, exec_lo, s33
	s_cbranch_vccz .LBB110_966
; %bb.964:
	s_cmp_eq_u32 s30, 11
	s_mov_b32 s0, -1
	s_cbranch_scc0 .LBB110_966
; %bb.965:
	v_cmp_ne_u16_e32 vcc_lo, 0, v4
	s_mov_b32 s0, 0
	s_mov_b32 s31, -1
	s_wait_xcnt 0x0
	v_cndmask_b32_e64 v2, 0, 1, vcc_lo
	global_store_b8 v[0:1], v2, off
.LBB110_966:
	s_mov_b32 s30, 0
.LBB110_967:
	s_delay_alu instid0(SALU_CYCLE_1)
	s_and_b32 vcc_lo, exec_lo, s30
	s_cbranch_vccz .LBB110_1006
; %bb.968:
	s_and_b32 s27, 0xffff, s27
	s_mov_b32 s30, -1
	s_cmp_lt_i32 s27, 5
	s_cbranch_scc1 .LBB110_989
; %bb.969:
	s_cmp_lt_i32 s27, 8
	s_cbranch_scc1 .LBB110_979
; %bb.970:
	;; [unrolled: 3-line block ×3, first 2 shown]
	s_cmp_gt_i32 s27, 9
	s_cbranch_scc0 .LBB110_973
; %bb.972:
	s_wait_xcnt 0x0
	v_bfe_i32 v2, v4, 0, 16
	v_mov_b32_e32 v8, 0
	s_mov_b32 s30, 0
	s_delay_alu instid0(VALU_DEP_2) | instskip(NEXT) | instid1(VALU_DEP_2)
	v_cvt_f64_i32_e32 v[6:7], v2
	v_mov_b32_e32 v9, v8
	global_store_b128 v[0:1], v[6:9], off
.LBB110_973:
	s_and_not1_b32 vcc_lo, exec_lo, s30
	s_cbranch_vccnz .LBB110_975
; %bb.974:
	s_wait_xcnt 0x0
	v_bfe_i32 v2, v4, 0, 16
	v_mov_b32_e32 v3, 0
	s_delay_alu instid0(VALU_DEP_2)
	v_cvt_f32_i32_e32 v2, v2
	global_store_b64 v[0:1], v[2:3], off
.LBB110_975:
	s_mov_b32 s30, 0
.LBB110_976:
	s_delay_alu instid0(SALU_CYCLE_1)
	s_and_not1_b32 vcc_lo, exec_lo, s30
	s_cbranch_vccnz .LBB110_978
; %bb.977:
	s_wait_xcnt 0x0
	v_cvt_f16_i16_e32 v2, v4
	s_delay_alu instid0(VALU_DEP_1)
	v_and_b32_e32 v2, 0xffff, v2
	global_store_b32 v[0:1], v2, off
.LBB110_978:
	s_mov_b32 s30, 0
.LBB110_979:
	s_delay_alu instid0(SALU_CYCLE_1)
	s_and_not1_b32 vcc_lo, exec_lo, s30
	s_cbranch_vccnz .LBB110_988
; %bb.980:
	s_cmp_lt_i32 s27, 6
	s_mov_b32 s30, -1
	s_cbranch_scc1 .LBB110_986
; %bb.981:
	s_cmp_gt_i32 s27, 6
	s_cbranch_scc0 .LBB110_983
; %bb.982:
	s_wait_xcnt 0x0
	v_bfe_i32 v2, v4, 0, 16
	s_mov_b32 s30, 0
	s_delay_alu instid0(VALU_DEP_1)
	v_cvt_f64_i32_e32 v[2:3], v2
	global_store_b64 v[0:1], v[2:3], off
.LBB110_983:
	s_and_not1_b32 vcc_lo, exec_lo, s30
	s_cbranch_vccnz .LBB110_985
; %bb.984:
	s_wait_xcnt 0x0
	v_bfe_i32 v2, v4, 0, 16
	s_delay_alu instid0(VALU_DEP_1)
	v_cvt_f32_i32_e32 v2, v2
	global_store_b32 v[0:1], v2, off
.LBB110_985:
	s_mov_b32 s30, 0
.LBB110_986:
	s_delay_alu instid0(SALU_CYCLE_1)
	s_and_not1_b32 vcc_lo, exec_lo, s30
	s_cbranch_vccnz .LBB110_988
; %bb.987:
	s_wait_xcnt 0x0
	v_cvt_f16_i16_e32 v2, v4
	global_store_b16 v[0:1], v2, off
.LBB110_988:
	s_mov_b32 s30, 0
.LBB110_989:
	s_delay_alu instid0(SALU_CYCLE_1)
	s_and_not1_b32 vcc_lo, exec_lo, s30
	s_cbranch_vccnz .LBB110_1005
; %bb.990:
	s_cmp_lt_i32 s27, 2
	s_mov_b32 s30, -1
	s_cbranch_scc1 .LBB110_1000
; %bb.991:
	s_cmp_lt_i32 s27, 3
	s_cbranch_scc1 .LBB110_997
; %bb.992:
	s_wait_xcnt 0x0
	v_bfe_i32 v2, v4, 0, 16
	s_cmp_gt_i32 s27, 3
	s_cbranch_scc0 .LBB110_994
; %bb.993:
	s_delay_alu instid0(VALU_DEP_1)
	v_ashrrev_i32_e32 v3, 31, v2
	s_mov_b32 s30, 0
	global_store_b64 v[0:1], v[2:3], off
.LBB110_994:
	s_and_not1_b32 vcc_lo, exec_lo, s30
	s_cbranch_vccnz .LBB110_996
; %bb.995:
	global_store_b32 v[0:1], v2, off
.LBB110_996:
	s_mov_b32 s30, 0
.LBB110_997:
	s_delay_alu instid0(SALU_CYCLE_1)
	s_and_not1_b32 vcc_lo, exec_lo, s30
	s_cbranch_vccnz .LBB110_999
; %bb.998:
	global_store_b16 v[0:1], v4, off
.LBB110_999:
	s_mov_b32 s30, 0
.LBB110_1000:
	s_delay_alu instid0(SALU_CYCLE_1)
	s_and_not1_b32 vcc_lo, exec_lo, s30
	s_cbranch_vccnz .LBB110_1005
; %bb.1001:
	s_cmp_gt_i32 s27, 0
	s_mov_b32 s27, -1
	s_cbranch_scc0 .LBB110_1003
; %bb.1002:
	s_mov_b32 s27, 0
	global_store_b8 v[0:1], v4, off
.LBB110_1003:
	s_and_not1_b32 vcc_lo, exec_lo, s27
	s_cbranch_vccnz .LBB110_1005
; %bb.1004:
	global_store_b8 v[0:1], v4, off
.LBB110_1005:
	s_mov_b32 s31, -1
.LBB110_1006:
	s_delay_alu instid0(SALU_CYCLE_1)
	s_and_not1_b32 vcc_lo, exec_lo, s31
	s_cbranch_vccnz .LBB110_1008
; %bb.1007:
	v_add_nc_u32_e32 v26, 0x80, v26
	s_mov_b32 s30, -1
	s_branch .LBB110_1010
.LBB110_1008:
	s_mov_b32 s30, 0
.LBB110_1009:
                                        ; implicit-def: $vgpr26
.LBB110_1010:
	s_and_not1_b32 s27, s19, exec_lo
	s_and_b32 s0, s0, exec_lo
	s_and_not1_b32 s31, s21, exec_lo
	s_and_b32 s33, s26, exec_lo
	s_or_b32 s26, s27, s0
	s_or_b32 s27, s31, s33
	s_and_not1_b32 s0, s22, exec_lo
	s_and_b32 s28, s28, exec_lo
	s_and_not1_b32 s31, s23, exec_lo
	s_and_b32 s25, s25, exec_lo
	s_or_b32 s28, s0, s28
	s_or_b32 s25, s31, s25
	s_or_not1_b32 s31, s30, exec_lo
.LBB110_1011:
	s_wait_xcnt 0x0
	s_or_b32 exec_lo, exec_lo, s29
	s_mov_b32 s30, 0
	s_mov_b32 s33, 0
	;; [unrolled: 1-line block ×3, first 2 shown]
                                        ; implicit-def: $sgpr0
                                        ; implicit-def: $vgpr2_vgpr3
                                        ; implicit-def: $vgpr0
	s_and_saveexec_b32 s29, s31
	s_cbranch_execz .LBB110_1598
; %bb.1012:
	s_mov_b32 s39, -1
	s_mov_b32 s31, s25
	s_mov_b32 s33, s28
	;; [unrolled: 1-line block ×4, first 2 shown]
	s_mov_b32 s30, exec_lo
	v_cmpx_gt_i32_e64 s20, v26
	s_cbranch_execz .LBB110_1520
; %bb.1013:
	s_wait_loadcnt 0x0
	v_mul_lo_u32 v0, v26, s13
	s_and_b32 s0, s17, 0xff
	s_delay_alu instid0(SALU_CYCLE_1) | instskip(NEXT) | instid1(VALU_DEP_1)
	s_cmp_lt_i32 s0, 11
	v_ashrrev_i32_e32 v1, 31, v0
	s_delay_alu instid0(VALU_DEP_1)
	v_add_nc_u64_e32 v[2:3], s[6:7], v[0:1]
	s_cbranch_scc1 .LBB110_1020
; %bb.1014:
	s_and_b32 s33, 0xffff, s0
	s_delay_alu instid0(SALU_CYCLE_1)
	s_cmp_gt_i32 s33, 25
	s_cbranch_scc0 .LBB110_1021
; %bb.1015:
	s_cmp_gt_i32 s33, 28
	s_cbranch_scc0 .LBB110_1022
; %bb.1016:
	;; [unrolled: 3-line block ×4, first 2 shown]
	s_cmp_eq_u32 s33, 46
	s_mov_b32 s35, 0
	s_cbranch_scc0 .LBB110_1025
; %bb.1019:
	global_load_b32 v0, v[2:3], off
	s_mov_b32 s34, -1
	s_mov_b32 s31, 0
	s_wait_loadcnt 0x0
	v_lshlrev_b32_e32 v0, 16, v0
	s_delay_alu instid0(VALU_DEP_1)
	v_cvt_i32_f32_e32 v0, v0
	s_branch .LBB110_1027
.LBB110_1020:
	s_mov_b32 s33, -1
	s_mov_b32 s34, 0
	s_mov_b32 s31, s25
                                        ; implicit-def: $vgpr0
	s_branch .LBB110_1088
.LBB110_1021:
	s_mov_b32 s35, -1
	s_mov_b32 s34, 0
	s_mov_b32 s31, s25
                                        ; implicit-def: $vgpr0
	s_branch .LBB110_1054
.LBB110_1022:
	s_mov_b32 s35, -1
	s_mov_b32 s34, 0
	s_mov_b32 s31, s25
                                        ; implicit-def: $vgpr0
	s_branch .LBB110_1037
.LBB110_1023:
	s_mov_b32 s35, -1
	s_mov_b32 s34, 0
	s_mov_b32 s31, s25
                                        ; implicit-def: $vgpr0
	s_branch .LBB110_1032
.LBB110_1024:
	s_mov_b32 s35, -1
	s_mov_b32 s34, 0
	s_mov_b32 s31, s25
	s_branch .LBB110_1026
.LBB110_1025:
	s_mov_b32 s31, -1
	s_mov_b32 s34, 0
.LBB110_1026:
                                        ; implicit-def: $vgpr0
.LBB110_1027:
	s_and_b32 vcc_lo, exec_lo, s35
	s_cbranch_vccz .LBB110_1031
; %bb.1028:
	s_cmp_eq_u32 s33, 44
	s_cbranch_scc0 .LBB110_1030
; %bb.1029:
	global_load_u8 v0, v[2:3], off
	s_mov_b32 s31, 0
	s_mov_b32 s34, -1
	s_wait_loadcnt 0x0
	v_lshlrev_b32_e32 v1, 23, v0
	v_cmp_ne_u32_e32 vcc_lo, 0, v0
	s_delay_alu instid0(VALU_DEP_2) | instskip(NEXT) | instid1(VALU_DEP_1)
	v_cvt_i32_f32_e32 v1, v1
	v_cndmask_b32_e32 v0, 0, v1, vcc_lo
	s_branch .LBB110_1031
.LBB110_1030:
	s_mov_b32 s31, -1
                                        ; implicit-def: $vgpr0
.LBB110_1031:
	s_mov_b32 s35, 0
.LBB110_1032:
	s_delay_alu instid0(SALU_CYCLE_1)
	s_and_b32 vcc_lo, exec_lo, s35
	s_cbranch_vccz .LBB110_1036
; %bb.1033:
	s_cmp_eq_u32 s33, 29
	s_cbranch_scc0 .LBB110_1035
; %bb.1034:
	global_load_b64 v[0:1], v[2:3], off
	s_mov_b32 s34, -1
	s_mov_b32 s31, 0
	s_branch .LBB110_1036
.LBB110_1035:
	s_mov_b32 s31, -1
                                        ; implicit-def: $vgpr0
.LBB110_1036:
	s_mov_b32 s35, 0
.LBB110_1037:
	s_delay_alu instid0(SALU_CYCLE_1)
	s_and_b32 vcc_lo, exec_lo, s35
	s_cbranch_vccz .LBB110_1053
; %bb.1038:
	s_cmp_lt_i32 s33, 27
	s_cbranch_scc1 .LBB110_1041
; %bb.1039:
	s_cmp_gt_i32 s33, 27
	s_cbranch_scc0 .LBB110_1042
; %bb.1040:
	s_wait_loadcnt 0x0
	global_load_b32 v0, v[2:3], off
	s_mov_b32 s34, 0
	s_branch .LBB110_1043
.LBB110_1041:
	s_mov_b32 s34, -1
                                        ; implicit-def: $vgpr0
	s_branch .LBB110_1046
.LBB110_1042:
	s_mov_b32 s34, -1
                                        ; implicit-def: $vgpr0
.LBB110_1043:
	s_delay_alu instid0(SALU_CYCLE_1)
	s_and_not1_b32 vcc_lo, exec_lo, s34
	s_cbranch_vccnz .LBB110_1045
; %bb.1044:
	s_wait_loadcnt 0x0
	global_load_u16 v0, v[2:3], off
.LBB110_1045:
	s_mov_b32 s34, 0
.LBB110_1046:
	s_delay_alu instid0(SALU_CYCLE_1)
	s_and_not1_b32 vcc_lo, exec_lo, s34
	s_cbranch_vccnz .LBB110_1052
; %bb.1047:
	s_wait_loadcnt 0x0
	global_load_u8 v1, v[2:3], off
	s_mov_b32 s35, 0
	s_mov_b32 s34, exec_lo
	s_wait_loadcnt 0x0
	v_cmpx_lt_i16_e32 0x7f, v1
	s_xor_b32 s34, exec_lo, s34
	s_cbranch_execz .LBB110_1064
; %bb.1048:
	v_cmp_ne_u16_e32 vcc_lo, 0x80, v1
	s_and_b32 s35, vcc_lo, exec_lo
	s_and_not1_saveexec_b32 s34, s34
	s_cbranch_execnz .LBB110_1065
.LBB110_1049:
	s_or_b32 exec_lo, exec_lo, s34
	v_mov_b32_e32 v0, 0
	s_and_saveexec_b32 s34, s35
	s_cbranch_execz .LBB110_1051
.LBB110_1050:
	v_and_b32_e32 v0, 0xffff, v1
	s_delay_alu instid0(VALU_DEP_1) | instskip(SKIP_1) | instid1(VALU_DEP_2)
	v_and_b32_e32 v4, 7, v0
	v_bfe_u32 v7, v0, 3, 4
	v_clz_i32_u32_e32 v5, v4
	s_delay_alu instid0(VALU_DEP_2) | instskip(NEXT) | instid1(VALU_DEP_2)
	v_cmp_eq_u32_e32 vcc_lo, 0, v7
	v_min_u32_e32 v5, 32, v5
	s_delay_alu instid0(VALU_DEP_1) | instskip(NEXT) | instid1(VALU_DEP_1)
	v_subrev_nc_u32_e32 v6, 28, v5
	v_dual_lshlrev_b32 v0, v6, v0 :: v_dual_sub_nc_u32 v5, 29, v5
	s_delay_alu instid0(VALU_DEP_1) | instskip(NEXT) | instid1(VALU_DEP_1)
	v_dual_lshlrev_b32 v1, 24, v1 :: v_dual_bitop2_b32 v0, 7, v0 bitop3:0x40
	v_dual_cndmask_b32 v0, v4, v0 :: v_dual_cndmask_b32 v5, v7, v5
	s_delay_alu instid0(VALU_DEP_2) | instskip(NEXT) | instid1(VALU_DEP_2)
	v_and_b32_e32 v1, 0x80000000, v1
	v_lshlrev_b32_e32 v0, 20, v0
	s_delay_alu instid0(VALU_DEP_3) | instskip(NEXT) | instid1(VALU_DEP_1)
	v_lshl_add_u32 v4, v5, 23, 0x3b800000
	v_or3_b32 v0, v1, v4, v0
	s_delay_alu instid0(VALU_DEP_1)
	v_cvt_i32_f32_e32 v0, v0
.LBB110_1051:
	s_or_b32 exec_lo, exec_lo, s34
.LBB110_1052:
	s_mov_b32 s34, -1
.LBB110_1053:
	s_mov_b32 s35, 0
.LBB110_1054:
	s_delay_alu instid0(SALU_CYCLE_1)
	s_and_b32 vcc_lo, exec_lo, s35
	s_cbranch_vccz .LBB110_1087
; %bb.1055:
	s_cmp_gt_i32 s33, 22
	s_cbranch_scc0 .LBB110_1063
; %bb.1056:
	s_cmp_lt_i32 s33, 24
	s_cbranch_scc1 .LBB110_1066
; %bb.1057:
	s_cmp_gt_i32 s33, 24
	s_cbranch_scc0 .LBB110_1067
; %bb.1058:
	s_wait_loadcnt 0x0
	global_load_u8 v1, v[2:3], off
	s_mov_b32 s35, 0
	s_mov_b32 s34, exec_lo
	s_wait_loadcnt 0x0
	v_cmpx_lt_i16_e32 0x7f, v1
	s_xor_b32 s34, exec_lo, s34
	s_cbranch_execz .LBB110_1079
; %bb.1059:
	v_cmp_ne_u16_e32 vcc_lo, 0x80, v1
	s_and_b32 s35, vcc_lo, exec_lo
	s_and_not1_saveexec_b32 s34, s34
	s_cbranch_execnz .LBB110_1080
.LBB110_1060:
	s_or_b32 exec_lo, exec_lo, s34
	v_mov_b32_e32 v0, 0
	s_and_saveexec_b32 s34, s35
	s_cbranch_execz .LBB110_1062
.LBB110_1061:
	v_and_b32_e32 v0, 0xffff, v1
	s_delay_alu instid0(VALU_DEP_1) | instskip(SKIP_1) | instid1(VALU_DEP_2)
	v_and_b32_e32 v4, 3, v0
	v_bfe_u32 v7, v0, 2, 5
	v_clz_i32_u32_e32 v5, v4
	s_delay_alu instid0(VALU_DEP_2) | instskip(NEXT) | instid1(VALU_DEP_2)
	v_cmp_eq_u32_e32 vcc_lo, 0, v7
	v_min_u32_e32 v5, 32, v5
	s_delay_alu instid0(VALU_DEP_1) | instskip(NEXT) | instid1(VALU_DEP_1)
	v_subrev_nc_u32_e32 v6, 29, v5
	v_dual_lshlrev_b32 v0, v6, v0 :: v_dual_sub_nc_u32 v5, 30, v5
	s_delay_alu instid0(VALU_DEP_1) | instskip(NEXT) | instid1(VALU_DEP_1)
	v_dual_lshlrev_b32 v1, 24, v1 :: v_dual_bitop2_b32 v0, 3, v0 bitop3:0x40
	v_dual_cndmask_b32 v0, v4, v0 :: v_dual_cndmask_b32 v5, v7, v5
	s_delay_alu instid0(VALU_DEP_2) | instskip(NEXT) | instid1(VALU_DEP_2)
	v_and_b32_e32 v1, 0x80000000, v1
	v_lshlrev_b32_e32 v0, 21, v0
	s_delay_alu instid0(VALU_DEP_3) | instskip(NEXT) | instid1(VALU_DEP_1)
	v_lshl_add_u32 v4, v5, 23, 0x37800000
	v_or3_b32 v0, v1, v4, v0
	s_delay_alu instid0(VALU_DEP_1)
	v_cvt_i32_f32_e32 v0, v0
.LBB110_1062:
	s_or_b32 exec_lo, exec_lo, s34
	s_mov_b32 s34, 0
	s_branch .LBB110_1068
.LBB110_1063:
	s_mov_b32 s35, -1
                                        ; implicit-def: $vgpr0
	s_branch .LBB110_1074
.LBB110_1064:
	s_and_not1_saveexec_b32 s34, s34
	s_cbranch_execz .LBB110_1049
.LBB110_1065:
	v_cmp_ne_u16_e32 vcc_lo, 0, v1
	s_and_not1_b32 s35, s35, exec_lo
	s_and_b32 s36, vcc_lo, exec_lo
	s_delay_alu instid0(SALU_CYCLE_1)
	s_or_b32 s35, s35, s36
	s_or_b32 exec_lo, exec_lo, s34
	v_mov_b32_e32 v0, 0
	s_and_saveexec_b32 s34, s35
	s_cbranch_execnz .LBB110_1050
	s_branch .LBB110_1051
.LBB110_1066:
	s_mov_b32 s34, -1
                                        ; implicit-def: $vgpr0
	s_branch .LBB110_1071
.LBB110_1067:
	s_mov_b32 s34, -1
                                        ; implicit-def: $vgpr0
.LBB110_1068:
	s_delay_alu instid0(SALU_CYCLE_1)
	s_and_b32 vcc_lo, exec_lo, s34
	s_cbranch_vccz .LBB110_1070
; %bb.1069:
	s_wait_loadcnt 0x0
	global_load_u8 v0, v[2:3], off
	s_wait_loadcnt 0x0
	v_lshlrev_b32_e32 v0, 24, v0
	s_delay_alu instid0(VALU_DEP_1) | instskip(NEXT) | instid1(VALU_DEP_1)
	v_and_b32_e32 v1, 0x7f000000, v0
	v_clz_i32_u32_e32 v4, v1
	v_cmp_ne_u32_e32 vcc_lo, 0, v1
	v_add_nc_u32_e32 v6, 0x1000000, v1
	s_delay_alu instid0(VALU_DEP_3) | instskip(NEXT) | instid1(VALU_DEP_1)
	v_min_u32_e32 v4, 32, v4
	v_sub_nc_u32_e64 v4, v4, 4 clamp
	s_delay_alu instid0(VALU_DEP_1) | instskip(NEXT) | instid1(VALU_DEP_1)
	v_dual_lshlrev_b32 v5, v4, v1 :: v_dual_lshlrev_b32 v4, 23, v4
	v_lshrrev_b32_e32 v5, 4, v5
	s_delay_alu instid0(VALU_DEP_1) | instskip(NEXT) | instid1(VALU_DEP_1)
	v_dual_sub_nc_u32 v4, v5, v4 :: v_dual_ashrrev_i32 v5, 8, v6
	v_add_nc_u32_e32 v4, 0x3c000000, v4
	s_delay_alu instid0(VALU_DEP_1) | instskip(NEXT) | instid1(VALU_DEP_1)
	v_and_or_b32 v4, 0x7f800000, v5, v4
	v_cndmask_b32_e32 v1, 0, v4, vcc_lo
	s_delay_alu instid0(VALU_DEP_1) | instskip(NEXT) | instid1(VALU_DEP_1)
	v_and_or_b32 v0, 0x80000000, v0, v1
	v_cvt_i32_f32_e32 v0, v0
.LBB110_1070:
	s_mov_b32 s34, 0
.LBB110_1071:
	s_delay_alu instid0(SALU_CYCLE_1)
	s_and_not1_b32 vcc_lo, exec_lo, s34
	s_cbranch_vccnz .LBB110_1073
; %bb.1072:
	s_wait_loadcnt 0x0
	global_load_u8 v0, v[2:3], off
	s_wait_loadcnt 0x0
	v_lshlrev_b32_e32 v1, 25, v0
	v_lshlrev_b16 v0, 8, v0
	s_delay_alu instid0(VALU_DEP_1) | instskip(SKIP_1) | instid1(VALU_DEP_2)
	v_and_or_b32 v5, 0x7f00, v0, 0.5
	v_bfe_i32 v0, v0, 0, 16
	v_add_f32_e32 v5, -0.5, v5
	v_lshrrev_b32_e32 v4, 4, v1
	v_cmp_gt_u32_e32 vcc_lo, 0x8000000, v1
	s_delay_alu instid0(VALU_DEP_2) | instskip(NEXT) | instid1(VALU_DEP_1)
	v_or_b32_e32 v4, 0x70000000, v4
	v_mul_f32_e32 v4, 0x7800000, v4
	s_delay_alu instid0(VALU_DEP_1) | instskip(NEXT) | instid1(VALU_DEP_1)
	v_cndmask_b32_e32 v1, v4, v5, vcc_lo
	v_and_or_b32 v0, 0x80000000, v0, v1
	s_delay_alu instid0(VALU_DEP_1)
	v_cvt_i32_f32_e32 v0, v0
.LBB110_1073:
	s_mov_b32 s35, 0
	s_mov_b32 s34, -1
.LBB110_1074:
	s_and_not1_b32 vcc_lo, exec_lo, s35
	s_cbranch_vccnz .LBB110_1087
; %bb.1075:
	s_cmp_gt_i32 s33, 14
	s_cbranch_scc0 .LBB110_1078
; %bb.1076:
	s_cmp_eq_u32 s33, 15
	s_cbranch_scc0 .LBB110_1081
; %bb.1077:
	s_wait_loadcnt 0x0
	global_load_u16 v0, v[2:3], off
	s_mov_b32 s34, -1
	s_mov_b32 s31, 0
	s_wait_loadcnt 0x0
	v_lshlrev_b32_e32 v0, 16, v0
	s_delay_alu instid0(VALU_DEP_1)
	v_cvt_i32_f32_e32 v0, v0
	s_branch .LBB110_1082
.LBB110_1078:
	s_mov_b32 s35, -1
                                        ; implicit-def: $vgpr0
	s_branch .LBB110_1083
.LBB110_1079:
	s_and_not1_saveexec_b32 s34, s34
	s_cbranch_execz .LBB110_1060
.LBB110_1080:
	v_cmp_ne_u16_e32 vcc_lo, 0, v1
	s_and_not1_b32 s35, s35, exec_lo
	s_and_b32 s36, vcc_lo, exec_lo
	s_delay_alu instid0(SALU_CYCLE_1)
	s_or_b32 s35, s35, s36
	s_or_b32 exec_lo, exec_lo, s34
	v_mov_b32_e32 v0, 0
	s_and_saveexec_b32 s34, s35
	s_cbranch_execnz .LBB110_1061
	s_branch .LBB110_1062
.LBB110_1081:
	s_mov_b32 s31, -1
                                        ; implicit-def: $vgpr0
.LBB110_1082:
	s_mov_b32 s35, 0
.LBB110_1083:
	s_delay_alu instid0(SALU_CYCLE_1)
	s_and_b32 vcc_lo, exec_lo, s35
	s_cbranch_vccz .LBB110_1087
; %bb.1084:
	s_cmp_eq_u32 s33, 11
	s_cbranch_scc0 .LBB110_1086
; %bb.1085:
	s_wait_loadcnt 0x0
	global_load_u8 v0, v[2:3], off
	s_mov_b32 s31, 0
	s_mov_b32 s34, -1
	s_wait_loadcnt 0x0
	v_cmp_ne_u16_e32 vcc_lo, 0, v0
	v_cndmask_b32_e64 v0, 0, 1, vcc_lo
	s_branch .LBB110_1087
.LBB110_1086:
	s_mov_b32 s31, -1
                                        ; implicit-def: $vgpr0
.LBB110_1087:
	s_mov_b32 s33, 0
.LBB110_1088:
	s_delay_alu instid0(SALU_CYCLE_1)
	s_and_b32 vcc_lo, exec_lo, s33
	s_cbranch_vccz .LBB110_1137
; %bb.1089:
	s_and_b32 s0, 0xffff, s0
	s_delay_alu instid0(SALU_CYCLE_1)
	s_cmp_lt_i32 s0, 5
	s_cbranch_scc1 .LBB110_1094
; %bb.1090:
	s_cmp_lt_i32 s0, 8
	s_cbranch_scc1 .LBB110_1095
; %bb.1091:
	;; [unrolled: 3-line block ×3, first 2 shown]
	s_cmp_gt_i32 s0, 9
	s_cbranch_scc0 .LBB110_1097
; %bb.1093:
	s_wait_loadcnt 0x0
	global_load_b64 v[0:1], v[2:3], off
	s_mov_b32 s33, 0
	s_wait_loadcnt 0x0
	v_cvt_i32_f64_e32 v0, v[0:1]
	s_branch .LBB110_1098
.LBB110_1094:
	s_mov_b32 s33, -1
                                        ; implicit-def: $vgpr0
	s_branch .LBB110_1116
.LBB110_1095:
	s_mov_b32 s33, -1
                                        ; implicit-def: $vgpr0
	s_branch .LBB110_1104
.LBB110_1096:
	s_mov_b32 s33, -1
                                        ; implicit-def: $vgpr0
	s_branch .LBB110_1101
.LBB110_1097:
	s_mov_b32 s33, -1
                                        ; implicit-def: $vgpr0
.LBB110_1098:
	s_delay_alu instid0(SALU_CYCLE_1)
	s_and_not1_b32 vcc_lo, exec_lo, s33
	s_cbranch_vccnz .LBB110_1100
; %bb.1099:
	s_wait_loadcnt 0x0
	global_load_b32 v0, v[2:3], off
	s_wait_loadcnt 0x0
	v_cvt_i32_f32_e32 v0, v0
.LBB110_1100:
	s_mov_b32 s33, 0
.LBB110_1101:
	s_delay_alu instid0(SALU_CYCLE_1)
	s_and_not1_b32 vcc_lo, exec_lo, s33
	s_cbranch_vccnz .LBB110_1103
; %bb.1102:
	s_wait_loadcnt 0x0
	global_load_b32 v0, v[2:3], off
	s_wait_loadcnt 0x0
	v_cvt_i16_f16_e32 v0, v0
.LBB110_1103:
	s_mov_b32 s33, 0
.LBB110_1104:
	s_delay_alu instid0(SALU_CYCLE_1)
	s_and_not1_b32 vcc_lo, exec_lo, s33
	s_cbranch_vccnz .LBB110_1115
; %bb.1105:
	s_cmp_lt_i32 s0, 6
	s_cbranch_scc1 .LBB110_1108
; %bb.1106:
	s_cmp_gt_i32 s0, 6
	s_cbranch_scc0 .LBB110_1109
; %bb.1107:
	s_wait_loadcnt 0x0
	global_load_b64 v[0:1], v[2:3], off
	s_mov_b32 s33, 0
	s_wait_loadcnt 0x0
	v_cvt_i32_f64_e32 v0, v[0:1]
	s_branch .LBB110_1110
.LBB110_1108:
	s_mov_b32 s33, -1
                                        ; implicit-def: $vgpr0
	s_branch .LBB110_1113
.LBB110_1109:
	s_mov_b32 s33, -1
                                        ; implicit-def: $vgpr0
.LBB110_1110:
	s_delay_alu instid0(SALU_CYCLE_1)
	s_and_not1_b32 vcc_lo, exec_lo, s33
	s_cbranch_vccnz .LBB110_1112
; %bb.1111:
	s_wait_loadcnt 0x0
	global_load_b32 v0, v[2:3], off
	s_wait_loadcnt 0x0
	v_cvt_i32_f32_e32 v0, v0
.LBB110_1112:
	s_mov_b32 s33, 0
.LBB110_1113:
	s_delay_alu instid0(SALU_CYCLE_1)
	s_and_not1_b32 vcc_lo, exec_lo, s33
	s_cbranch_vccnz .LBB110_1115
; %bb.1114:
	s_wait_loadcnt 0x0
	global_load_u16 v0, v[2:3], off
	s_wait_loadcnt 0x0
	v_cvt_i16_f16_e32 v0, v0
.LBB110_1115:
	s_mov_b32 s33, 0
.LBB110_1116:
	s_delay_alu instid0(SALU_CYCLE_1)
	s_and_not1_b32 vcc_lo, exec_lo, s33
	s_cbranch_vccnz .LBB110_1136
; %bb.1117:
	s_cmp_lt_i32 s0, 2
	s_cbranch_scc1 .LBB110_1121
; %bb.1118:
	s_cmp_lt_i32 s0, 3
	s_cbranch_scc1 .LBB110_1122
; %bb.1119:
	s_cmp_gt_i32 s0, 3
	s_cbranch_scc0 .LBB110_1123
; %bb.1120:
	s_wait_loadcnt 0x0
	global_load_b64 v[0:1], v[2:3], off
	s_mov_b32 s33, 0
	s_branch .LBB110_1124
.LBB110_1121:
	s_mov_b32 s33, -1
                                        ; implicit-def: $vgpr0
	s_branch .LBB110_1130
.LBB110_1122:
	s_mov_b32 s33, -1
                                        ; implicit-def: $vgpr0
	s_branch .LBB110_1127
.LBB110_1123:
	s_mov_b32 s33, -1
                                        ; implicit-def: $vgpr0
.LBB110_1124:
	s_delay_alu instid0(SALU_CYCLE_1)
	s_and_not1_b32 vcc_lo, exec_lo, s33
	s_cbranch_vccnz .LBB110_1126
; %bb.1125:
	s_wait_loadcnt 0x0
	global_load_b32 v0, v[2:3], off
.LBB110_1126:
	s_mov_b32 s33, 0
.LBB110_1127:
	s_delay_alu instid0(SALU_CYCLE_1)
	s_and_not1_b32 vcc_lo, exec_lo, s33
	s_cbranch_vccnz .LBB110_1129
; %bb.1128:
	s_wait_loadcnt 0x0
	global_load_u16 v0, v[2:3], off
.LBB110_1129:
	s_mov_b32 s33, 0
.LBB110_1130:
	s_delay_alu instid0(SALU_CYCLE_1)
	s_and_not1_b32 vcc_lo, exec_lo, s33
	s_cbranch_vccnz .LBB110_1136
; %bb.1131:
	s_cmp_gt_i32 s0, 0
	s_mov_b32 s0, 0
	s_cbranch_scc0 .LBB110_1133
; %bb.1132:
	s_wait_loadcnt 0x0
	global_load_u8 v0, v[2:3], off
	s_branch .LBB110_1134
.LBB110_1133:
	s_mov_b32 s0, -1
                                        ; implicit-def: $vgpr0
.LBB110_1134:
	s_delay_alu instid0(SALU_CYCLE_1)
	s_and_not1_b32 vcc_lo, exec_lo, s0
	s_cbranch_vccnz .LBB110_1136
; %bb.1135:
	s_wait_loadcnt 0x0
	global_load_u8 v0, v[2:3], off
.LBB110_1136:
	s_mov_b32 s34, -1
.LBB110_1137:
	s_delay_alu instid0(SALU_CYCLE_1)
	s_and_not1_b32 vcc_lo, exec_lo, s34
	s_cbranch_vccnz .LBB110_1145
; %bb.1138:
	s_wait_xcnt 0x0
	v_mul_lo_u32 v2, v26, s14
	s_and_b32 s0, s3, 0xff
	s_delay_alu instid0(SALU_CYCLE_1) | instskip(NEXT) | instid1(VALU_DEP_1)
	s_cmp_lt_i32 s0, 11
	v_ashrrev_i32_e32 v3, 31, v2
	s_delay_alu instid0(VALU_DEP_1)
	v_add_nc_u64_e32 v[4:5], s[8:9], v[2:3]
	s_cbranch_scc1 .LBB110_1146
; %bb.1139:
	s_and_b32 s34, 0xffff, s0
	s_delay_alu instid0(SALU_CYCLE_1)
	s_cmp_gt_i32 s34, 25
	s_cbranch_scc0 .LBB110_1147
; %bb.1140:
	s_cmp_gt_i32 s34, 28
	s_cbranch_scc0 .LBB110_1148
; %bb.1141:
	;; [unrolled: 3-line block ×4, first 2 shown]
	s_cmp_eq_u32 s34, 46
	s_mov_b32 s36, 0
	s_cbranch_scc0 .LBB110_1153
; %bb.1144:
	s_wait_loadcnt 0x0
	global_load_b32 v1, v[4:5], off
	s_mov_b32 s35, -1
	s_mov_b32 s33, 0
	s_wait_loadcnt 0x0
	v_lshlrev_b32_e32 v1, 16, v1
	s_delay_alu instid0(VALU_DEP_1)
	v_cvt_i32_f32_e32 v2, v1
	s_branch .LBB110_1155
.LBB110_1145:
	s_mov_b32 s36, 0
	s_mov_b32 s0, s26
	s_mov_b32 s34, s27
	s_mov_b32 s33, s28
	s_branch .LBB110_1518
.LBB110_1146:
	s_mov_b32 s34, -1
	s_mov_b32 s35, 0
	s_mov_b32 s33, s28
                                        ; implicit-def: $vgpr2
	s_branch .LBB110_1216
.LBB110_1147:
	s_mov_b32 s36, -1
	s_mov_b32 s35, 0
	s_mov_b32 s33, s28
                                        ; implicit-def: $vgpr2
	s_branch .LBB110_1182
.LBB110_1148:
	s_mov_b32 s36, -1
	s_mov_b32 s35, 0
	s_mov_b32 s33, s28
                                        ; implicit-def: $vgpr2
	s_branch .LBB110_1165
.LBB110_1149:
	s_mov_b32 s36, -1
	s_mov_b32 s35, 0
	s_mov_b32 s33, s28
                                        ; implicit-def: $vgpr2
	s_branch .LBB110_1160
.LBB110_1150:
	s_mov_b32 s36, -1
	s_mov_b32 s35, 0
	s_mov_b32 s33, s28
	s_branch .LBB110_1154
.LBB110_1151:
	s_and_not1_saveexec_b32 s34, s34
	s_cbranch_execz .LBB110_919
.LBB110_1152:
	v_add_f32_e64 v3, 0x46000000, |v2|
	s_and_not1_b32 s33, s33, exec_lo
	s_delay_alu instid0(VALU_DEP_1) | instskip(NEXT) | instid1(VALU_DEP_1)
	v_and_b32_e32 v3, 0xff, v3
	v_cmp_ne_u32_e32 vcc_lo, 0, v3
	s_and_b32 s35, vcc_lo, exec_lo
	s_delay_alu instid0(SALU_CYCLE_1)
	s_or_b32 s33, s33, s35
	s_or_b32 exec_lo, exec_lo, s34
	v_mov_b32_e32 v5, 0
	s_and_saveexec_b32 s34, s33
	s_cbranch_execnz .LBB110_920
	s_branch .LBB110_921
.LBB110_1153:
	s_mov_b32 s33, -1
	s_mov_b32 s35, 0
.LBB110_1154:
                                        ; implicit-def: $vgpr2
.LBB110_1155:
	s_and_b32 vcc_lo, exec_lo, s36
	s_cbranch_vccz .LBB110_1159
; %bb.1156:
	s_cmp_eq_u32 s34, 44
	s_cbranch_scc0 .LBB110_1158
; %bb.1157:
	s_wait_loadcnt 0x0
	global_load_u8 v1, v[4:5], off
	s_mov_b32 s33, 0
	s_mov_b32 s35, -1
	s_wait_loadcnt 0x0
	v_lshlrev_b32_e32 v2, 23, v1
	v_cmp_ne_u32_e32 vcc_lo, 0, v1
	s_delay_alu instid0(VALU_DEP_2) | instskip(NEXT) | instid1(VALU_DEP_1)
	v_cvt_i32_f32_e32 v2, v2
	v_cndmask_b32_e32 v2, 0, v2, vcc_lo
	s_branch .LBB110_1159
.LBB110_1158:
	s_mov_b32 s33, -1
                                        ; implicit-def: $vgpr2
.LBB110_1159:
	s_mov_b32 s36, 0
.LBB110_1160:
	s_delay_alu instid0(SALU_CYCLE_1)
	s_and_b32 vcc_lo, exec_lo, s36
	s_cbranch_vccz .LBB110_1164
; %bb.1161:
	s_cmp_eq_u32 s34, 29
	s_cbranch_scc0 .LBB110_1163
; %bb.1162:
	global_load_b64 v[2:3], v[4:5], off
	s_mov_b32 s35, -1
	s_mov_b32 s33, 0
	s_branch .LBB110_1164
.LBB110_1163:
	s_mov_b32 s33, -1
                                        ; implicit-def: $vgpr2
.LBB110_1164:
	s_mov_b32 s36, 0
.LBB110_1165:
	s_delay_alu instid0(SALU_CYCLE_1)
	s_and_b32 vcc_lo, exec_lo, s36
	s_cbranch_vccz .LBB110_1181
; %bb.1166:
	s_cmp_lt_i32 s34, 27
	s_cbranch_scc1 .LBB110_1169
; %bb.1167:
	s_cmp_gt_i32 s34, 27
	s_cbranch_scc0 .LBB110_1170
; %bb.1168:
	s_wait_loadcnt 0x0
	global_load_b32 v2, v[4:5], off
	s_mov_b32 s35, 0
	s_branch .LBB110_1171
.LBB110_1169:
	s_mov_b32 s35, -1
                                        ; implicit-def: $vgpr2
	s_branch .LBB110_1174
.LBB110_1170:
	s_mov_b32 s35, -1
                                        ; implicit-def: $vgpr2
.LBB110_1171:
	s_delay_alu instid0(SALU_CYCLE_1)
	s_and_not1_b32 vcc_lo, exec_lo, s35
	s_cbranch_vccnz .LBB110_1173
; %bb.1172:
	s_wait_loadcnt 0x0
	global_load_u16 v2, v[4:5], off
.LBB110_1173:
	s_mov_b32 s35, 0
.LBB110_1174:
	s_delay_alu instid0(SALU_CYCLE_1)
	s_and_not1_b32 vcc_lo, exec_lo, s35
	s_cbranch_vccnz .LBB110_1180
; %bb.1175:
	s_wait_loadcnt 0x0
	global_load_u8 v1, v[4:5], off
	s_mov_b32 s36, 0
	s_mov_b32 s35, exec_lo
	s_wait_loadcnt 0x0
	v_cmpx_lt_i16_e32 0x7f, v1
	s_xor_b32 s35, exec_lo, s35
	s_cbranch_execz .LBB110_1192
; %bb.1176:
	v_cmp_ne_u16_e32 vcc_lo, 0x80, v1
	s_and_b32 s36, vcc_lo, exec_lo
	s_and_not1_saveexec_b32 s35, s35
	s_cbranch_execnz .LBB110_1193
.LBB110_1177:
	s_or_b32 exec_lo, exec_lo, s35
	v_mov_b32_e32 v2, 0
	s_and_saveexec_b32 s35, s36
	s_cbranch_execz .LBB110_1179
.LBB110_1178:
	v_and_b32_e32 v2, 0xffff, v1
	s_delay_alu instid0(VALU_DEP_1) | instskip(SKIP_1) | instid1(VALU_DEP_2)
	v_dual_lshlrev_b32 v1, 24, v1 :: v_dual_bitop2_b32 v3, 7, v2 bitop3:0x40
	v_bfe_u32 v8, v2, 3, 4
	v_and_b32_e32 v1, 0x80000000, v1
	s_delay_alu instid0(VALU_DEP_3) | instskip(NEXT) | instid1(VALU_DEP_3)
	v_clz_i32_u32_e32 v6, v3
	v_cmp_eq_u32_e32 vcc_lo, 0, v8
	s_delay_alu instid0(VALU_DEP_2) | instskip(NEXT) | instid1(VALU_DEP_1)
	v_min_u32_e32 v6, 32, v6
	v_subrev_nc_u32_e32 v7, 28, v6
	v_sub_nc_u32_e32 v6, 29, v6
	s_delay_alu instid0(VALU_DEP_2) | instskip(NEXT) | instid1(VALU_DEP_2)
	v_lshlrev_b32_e32 v2, v7, v2
	v_cndmask_b32_e32 v6, v8, v6, vcc_lo
	s_delay_alu instid0(VALU_DEP_2) | instskip(NEXT) | instid1(VALU_DEP_1)
	v_and_b32_e32 v2, 7, v2
	v_cndmask_b32_e32 v2, v3, v2, vcc_lo
	s_delay_alu instid0(VALU_DEP_3) | instskip(NEXT) | instid1(VALU_DEP_2)
	v_lshl_add_u32 v3, v6, 23, 0x3b800000
	v_lshlrev_b32_e32 v2, 20, v2
	s_delay_alu instid0(VALU_DEP_1) | instskip(NEXT) | instid1(VALU_DEP_1)
	v_or3_b32 v1, v1, v3, v2
	v_cvt_i32_f32_e32 v2, v1
.LBB110_1179:
	s_or_b32 exec_lo, exec_lo, s35
.LBB110_1180:
	s_mov_b32 s35, -1
.LBB110_1181:
	s_mov_b32 s36, 0
.LBB110_1182:
	s_delay_alu instid0(SALU_CYCLE_1)
	s_and_b32 vcc_lo, exec_lo, s36
	s_cbranch_vccz .LBB110_1215
; %bb.1183:
	s_cmp_gt_i32 s34, 22
	s_cbranch_scc0 .LBB110_1191
; %bb.1184:
	s_cmp_lt_i32 s34, 24
	s_cbranch_scc1 .LBB110_1194
; %bb.1185:
	s_cmp_gt_i32 s34, 24
	s_cbranch_scc0 .LBB110_1195
; %bb.1186:
	s_wait_loadcnt 0x0
	global_load_u8 v1, v[4:5], off
	s_mov_b32 s36, 0
	s_mov_b32 s35, exec_lo
	s_wait_loadcnt 0x0
	v_cmpx_lt_i16_e32 0x7f, v1
	s_xor_b32 s35, exec_lo, s35
	s_cbranch_execz .LBB110_1207
; %bb.1187:
	v_cmp_ne_u16_e32 vcc_lo, 0x80, v1
	s_and_b32 s36, vcc_lo, exec_lo
	s_and_not1_saveexec_b32 s35, s35
	s_cbranch_execnz .LBB110_1208
.LBB110_1188:
	s_or_b32 exec_lo, exec_lo, s35
	v_mov_b32_e32 v2, 0
	s_and_saveexec_b32 s35, s36
	s_cbranch_execz .LBB110_1190
.LBB110_1189:
	v_and_b32_e32 v2, 0xffff, v1
	s_delay_alu instid0(VALU_DEP_1) | instskip(SKIP_1) | instid1(VALU_DEP_2)
	v_dual_lshlrev_b32 v1, 24, v1 :: v_dual_bitop2_b32 v3, 3, v2 bitop3:0x40
	v_bfe_u32 v8, v2, 2, 5
	v_and_b32_e32 v1, 0x80000000, v1
	s_delay_alu instid0(VALU_DEP_3) | instskip(NEXT) | instid1(VALU_DEP_3)
	v_clz_i32_u32_e32 v6, v3
	v_cmp_eq_u32_e32 vcc_lo, 0, v8
	s_delay_alu instid0(VALU_DEP_2) | instskip(NEXT) | instid1(VALU_DEP_1)
	v_min_u32_e32 v6, 32, v6
	v_subrev_nc_u32_e32 v7, 29, v6
	v_sub_nc_u32_e32 v6, 30, v6
	s_delay_alu instid0(VALU_DEP_2) | instskip(NEXT) | instid1(VALU_DEP_2)
	v_lshlrev_b32_e32 v2, v7, v2
	v_cndmask_b32_e32 v6, v8, v6, vcc_lo
	s_delay_alu instid0(VALU_DEP_2) | instskip(NEXT) | instid1(VALU_DEP_1)
	v_and_b32_e32 v2, 3, v2
	v_cndmask_b32_e32 v2, v3, v2, vcc_lo
	s_delay_alu instid0(VALU_DEP_3) | instskip(NEXT) | instid1(VALU_DEP_2)
	v_lshl_add_u32 v3, v6, 23, 0x37800000
	v_lshlrev_b32_e32 v2, 21, v2
	s_delay_alu instid0(VALU_DEP_1) | instskip(NEXT) | instid1(VALU_DEP_1)
	v_or3_b32 v1, v1, v3, v2
	v_cvt_i32_f32_e32 v2, v1
.LBB110_1190:
	s_or_b32 exec_lo, exec_lo, s35
	s_mov_b32 s35, 0
	s_branch .LBB110_1196
.LBB110_1191:
	s_mov_b32 s36, -1
                                        ; implicit-def: $vgpr2
	s_branch .LBB110_1202
.LBB110_1192:
	s_and_not1_saveexec_b32 s35, s35
	s_cbranch_execz .LBB110_1177
.LBB110_1193:
	v_cmp_ne_u16_e32 vcc_lo, 0, v1
	s_and_not1_b32 s36, s36, exec_lo
	s_and_b32 s37, vcc_lo, exec_lo
	s_delay_alu instid0(SALU_CYCLE_1)
	s_or_b32 s36, s36, s37
	s_or_b32 exec_lo, exec_lo, s35
	v_mov_b32_e32 v2, 0
	s_and_saveexec_b32 s35, s36
	s_cbranch_execnz .LBB110_1178
	s_branch .LBB110_1179
.LBB110_1194:
	s_mov_b32 s35, -1
                                        ; implicit-def: $vgpr2
	s_branch .LBB110_1199
.LBB110_1195:
	s_mov_b32 s35, -1
                                        ; implicit-def: $vgpr2
.LBB110_1196:
	s_delay_alu instid0(SALU_CYCLE_1)
	s_and_b32 vcc_lo, exec_lo, s35
	s_cbranch_vccz .LBB110_1198
; %bb.1197:
	s_wait_loadcnt 0x0
	global_load_u8 v1, v[4:5], off
	s_wait_loadcnt 0x0
	v_lshlrev_b32_e32 v1, 24, v1
	s_delay_alu instid0(VALU_DEP_1) | instskip(NEXT) | instid1(VALU_DEP_1)
	v_and_b32_e32 v2, 0x7f000000, v1
	v_clz_i32_u32_e32 v3, v2
	v_cmp_ne_u32_e32 vcc_lo, 0, v2
	v_add_nc_u32_e32 v7, 0x1000000, v2
	s_delay_alu instid0(VALU_DEP_3) | instskip(NEXT) | instid1(VALU_DEP_1)
	v_min_u32_e32 v3, 32, v3
	v_sub_nc_u32_e64 v3, v3, 4 clamp
	s_delay_alu instid0(VALU_DEP_1) | instskip(NEXT) | instid1(VALU_DEP_1)
	v_dual_lshlrev_b32 v6, v3, v2 :: v_dual_lshlrev_b32 v3, 23, v3
	v_lshrrev_b32_e32 v6, 4, v6
	s_delay_alu instid0(VALU_DEP_1) | instskip(SKIP_1) | instid1(VALU_DEP_2)
	v_sub_nc_u32_e32 v3, v6, v3
	v_ashrrev_i32_e32 v6, 8, v7
	v_add_nc_u32_e32 v3, 0x3c000000, v3
	s_delay_alu instid0(VALU_DEP_1) | instskip(NEXT) | instid1(VALU_DEP_1)
	v_and_or_b32 v3, 0x7f800000, v6, v3
	v_cndmask_b32_e32 v2, 0, v3, vcc_lo
	s_delay_alu instid0(VALU_DEP_1) | instskip(NEXT) | instid1(VALU_DEP_1)
	v_and_or_b32 v1, 0x80000000, v1, v2
	v_cvt_i32_f32_e32 v2, v1
.LBB110_1198:
	s_mov_b32 s35, 0
.LBB110_1199:
	s_delay_alu instid0(SALU_CYCLE_1)
	s_and_not1_b32 vcc_lo, exec_lo, s35
	s_cbranch_vccnz .LBB110_1201
; %bb.1200:
	s_wait_loadcnt 0x0
	global_load_u8 v1, v[4:5], off
	s_wait_loadcnt 0x0
	v_lshlrev_b32_e32 v2, 25, v1
	v_lshlrev_b16 v1, 8, v1
	s_delay_alu instid0(VALU_DEP_1) | instskip(SKIP_1) | instid1(VALU_DEP_2)
	v_and_or_b32 v6, 0x7f00, v1, 0.5
	v_bfe_i32 v1, v1, 0, 16
	v_add_f32_e32 v6, -0.5, v6
	v_lshrrev_b32_e32 v3, 4, v2
	v_cmp_gt_u32_e32 vcc_lo, 0x8000000, v2
	s_delay_alu instid0(VALU_DEP_2) | instskip(NEXT) | instid1(VALU_DEP_1)
	v_or_b32_e32 v3, 0x70000000, v3
	v_mul_f32_e32 v3, 0x7800000, v3
	s_delay_alu instid0(VALU_DEP_1) | instskip(NEXT) | instid1(VALU_DEP_1)
	v_cndmask_b32_e32 v2, v3, v6, vcc_lo
	v_and_or_b32 v1, 0x80000000, v1, v2
	s_delay_alu instid0(VALU_DEP_1)
	v_cvt_i32_f32_e32 v2, v1
.LBB110_1201:
	s_mov_b32 s36, 0
	s_mov_b32 s35, -1
.LBB110_1202:
	s_and_not1_b32 vcc_lo, exec_lo, s36
	s_cbranch_vccnz .LBB110_1215
; %bb.1203:
	s_cmp_gt_i32 s34, 14
	s_cbranch_scc0 .LBB110_1206
; %bb.1204:
	s_cmp_eq_u32 s34, 15
	s_cbranch_scc0 .LBB110_1209
; %bb.1205:
	s_wait_loadcnt 0x0
	global_load_u16 v1, v[4:5], off
	s_mov_b32 s35, -1
	s_mov_b32 s33, 0
	s_wait_loadcnt 0x0
	v_lshlrev_b32_e32 v1, 16, v1
	s_delay_alu instid0(VALU_DEP_1)
	v_cvt_i32_f32_e32 v2, v1
	s_branch .LBB110_1210
.LBB110_1206:
	s_mov_b32 s36, -1
                                        ; implicit-def: $vgpr2
	s_branch .LBB110_1211
.LBB110_1207:
	s_and_not1_saveexec_b32 s35, s35
	s_cbranch_execz .LBB110_1188
.LBB110_1208:
	v_cmp_ne_u16_e32 vcc_lo, 0, v1
	s_and_not1_b32 s36, s36, exec_lo
	s_and_b32 s37, vcc_lo, exec_lo
	s_delay_alu instid0(SALU_CYCLE_1)
	s_or_b32 s36, s36, s37
	s_or_b32 exec_lo, exec_lo, s35
	v_mov_b32_e32 v2, 0
	s_and_saveexec_b32 s35, s36
	s_cbranch_execnz .LBB110_1189
	s_branch .LBB110_1190
.LBB110_1209:
	s_mov_b32 s33, -1
                                        ; implicit-def: $vgpr2
.LBB110_1210:
	s_mov_b32 s36, 0
.LBB110_1211:
	s_delay_alu instid0(SALU_CYCLE_1)
	s_and_b32 vcc_lo, exec_lo, s36
	s_cbranch_vccz .LBB110_1215
; %bb.1212:
	s_cmp_eq_u32 s34, 11
	s_cbranch_scc0 .LBB110_1214
; %bb.1213:
	s_wait_loadcnt 0x0
	global_load_u8 v1, v[4:5], off
	s_mov_b32 s33, 0
	s_mov_b32 s35, -1
	s_wait_loadcnt 0x0
	v_cmp_ne_u16_e32 vcc_lo, 0, v1
	v_cndmask_b32_e64 v2, 0, 1, vcc_lo
	s_branch .LBB110_1215
.LBB110_1214:
	s_mov_b32 s33, -1
                                        ; implicit-def: $vgpr2
.LBB110_1215:
	s_mov_b32 s34, 0
.LBB110_1216:
	s_delay_alu instid0(SALU_CYCLE_1)
	s_and_b32 vcc_lo, exec_lo, s34
	s_cbranch_vccz .LBB110_1265
; %bb.1217:
	s_and_b32 s0, 0xffff, s0
	s_delay_alu instid0(SALU_CYCLE_1)
	s_cmp_lt_i32 s0, 5
	s_cbranch_scc1 .LBB110_1222
; %bb.1218:
	s_cmp_lt_i32 s0, 8
	s_cbranch_scc1 .LBB110_1223
; %bb.1219:
	;; [unrolled: 3-line block ×3, first 2 shown]
	s_cmp_gt_i32 s0, 9
	s_cbranch_scc0 .LBB110_1225
; %bb.1221:
	s_wait_loadcnt 0x0
	global_load_b64 v[2:3], v[4:5], off
	s_mov_b32 s34, 0
	s_wait_loadcnt 0x0
	v_cvt_i32_f64_e32 v2, v[2:3]
	s_branch .LBB110_1226
.LBB110_1222:
	s_mov_b32 s34, -1
                                        ; implicit-def: $vgpr2
	s_branch .LBB110_1244
.LBB110_1223:
	s_mov_b32 s34, -1
                                        ; implicit-def: $vgpr2
	s_branch .LBB110_1232
.LBB110_1224:
	s_mov_b32 s34, -1
                                        ; implicit-def: $vgpr2
	s_branch .LBB110_1229
.LBB110_1225:
	s_mov_b32 s34, -1
                                        ; implicit-def: $vgpr2
.LBB110_1226:
	s_delay_alu instid0(SALU_CYCLE_1)
	s_and_not1_b32 vcc_lo, exec_lo, s34
	s_cbranch_vccnz .LBB110_1228
; %bb.1227:
	s_wait_loadcnt 0x0
	global_load_b32 v1, v[4:5], off
	s_wait_loadcnt 0x0
	v_cvt_i32_f32_e32 v2, v1
.LBB110_1228:
	s_mov_b32 s34, 0
.LBB110_1229:
	s_delay_alu instid0(SALU_CYCLE_1)
	s_and_not1_b32 vcc_lo, exec_lo, s34
	s_cbranch_vccnz .LBB110_1231
; %bb.1230:
	s_wait_loadcnt 0x0
	global_load_b32 v1, v[4:5], off
	s_wait_loadcnt 0x0
	v_cvt_i16_f16_e32 v2, v1
.LBB110_1231:
	s_mov_b32 s34, 0
.LBB110_1232:
	s_delay_alu instid0(SALU_CYCLE_1)
	s_and_not1_b32 vcc_lo, exec_lo, s34
	s_cbranch_vccnz .LBB110_1243
; %bb.1233:
	s_cmp_lt_i32 s0, 6
	s_cbranch_scc1 .LBB110_1236
; %bb.1234:
	s_cmp_gt_i32 s0, 6
	s_cbranch_scc0 .LBB110_1237
; %bb.1235:
	s_wait_loadcnt 0x0
	global_load_b64 v[2:3], v[4:5], off
	s_mov_b32 s34, 0
	s_wait_loadcnt 0x0
	v_cvt_i32_f64_e32 v2, v[2:3]
	s_branch .LBB110_1238
.LBB110_1236:
	s_mov_b32 s34, -1
                                        ; implicit-def: $vgpr2
	s_branch .LBB110_1241
.LBB110_1237:
	s_mov_b32 s34, -1
                                        ; implicit-def: $vgpr2
.LBB110_1238:
	s_delay_alu instid0(SALU_CYCLE_1)
	s_and_not1_b32 vcc_lo, exec_lo, s34
	s_cbranch_vccnz .LBB110_1240
; %bb.1239:
	s_wait_loadcnt 0x0
	global_load_b32 v1, v[4:5], off
	s_wait_loadcnt 0x0
	v_cvt_i32_f32_e32 v2, v1
.LBB110_1240:
	s_mov_b32 s34, 0
.LBB110_1241:
	s_delay_alu instid0(SALU_CYCLE_1)
	s_and_not1_b32 vcc_lo, exec_lo, s34
	s_cbranch_vccnz .LBB110_1243
; %bb.1242:
	s_wait_loadcnt 0x0
	global_load_u16 v1, v[4:5], off
	s_wait_loadcnt 0x0
	v_cvt_i16_f16_e32 v2, v1
.LBB110_1243:
	s_mov_b32 s34, 0
.LBB110_1244:
	s_delay_alu instid0(SALU_CYCLE_1)
	s_and_not1_b32 vcc_lo, exec_lo, s34
	s_cbranch_vccnz .LBB110_1264
; %bb.1245:
	s_cmp_lt_i32 s0, 2
	s_cbranch_scc1 .LBB110_1249
; %bb.1246:
	s_cmp_lt_i32 s0, 3
	s_cbranch_scc1 .LBB110_1250
; %bb.1247:
	s_cmp_gt_i32 s0, 3
	s_cbranch_scc0 .LBB110_1251
; %bb.1248:
	s_wait_loadcnt 0x0
	global_load_b64 v[2:3], v[4:5], off
	s_mov_b32 s34, 0
	s_branch .LBB110_1252
.LBB110_1249:
	s_mov_b32 s34, -1
                                        ; implicit-def: $vgpr2
	s_branch .LBB110_1258
.LBB110_1250:
	s_mov_b32 s34, -1
                                        ; implicit-def: $vgpr2
	s_branch .LBB110_1255
.LBB110_1251:
	s_mov_b32 s34, -1
                                        ; implicit-def: $vgpr2
.LBB110_1252:
	s_delay_alu instid0(SALU_CYCLE_1)
	s_and_not1_b32 vcc_lo, exec_lo, s34
	s_cbranch_vccnz .LBB110_1254
; %bb.1253:
	s_wait_loadcnt 0x0
	global_load_b32 v2, v[4:5], off
.LBB110_1254:
	s_mov_b32 s34, 0
.LBB110_1255:
	s_delay_alu instid0(SALU_CYCLE_1)
	s_and_not1_b32 vcc_lo, exec_lo, s34
	s_cbranch_vccnz .LBB110_1257
; %bb.1256:
	s_wait_loadcnt 0x0
	global_load_u16 v2, v[4:5], off
.LBB110_1257:
	s_mov_b32 s34, 0
.LBB110_1258:
	s_delay_alu instid0(SALU_CYCLE_1)
	s_and_not1_b32 vcc_lo, exec_lo, s34
	s_cbranch_vccnz .LBB110_1264
; %bb.1259:
	s_cmp_gt_i32 s0, 0
	s_mov_b32 s0, 0
	s_cbranch_scc0 .LBB110_1261
; %bb.1260:
	s_wait_loadcnt 0x0
	global_load_u8 v2, v[4:5], off
	s_branch .LBB110_1262
.LBB110_1261:
	s_mov_b32 s0, -1
                                        ; implicit-def: $vgpr2
.LBB110_1262:
	s_delay_alu instid0(SALU_CYCLE_1)
	s_and_not1_b32 vcc_lo, exec_lo, s0
	s_cbranch_vccnz .LBB110_1264
; %bb.1263:
	s_wait_loadcnt 0x0
	global_load_u8 v2, v[4:5], off
.LBB110_1264:
	s_mov_b32 s35, -1
.LBB110_1265:
	s_delay_alu instid0(SALU_CYCLE_1)
	s_and_not1_b32 vcc_lo, exec_lo, s35
	s_cbranch_vccnz .LBB110_1273
; %bb.1266:
	s_wait_xcnt 0x0
	v_mul_lo_u32 v4, v26, s15
	s_and_b32 s0, 0xffff, s1
	s_delay_alu instid0(SALU_CYCLE_1) | instskip(NEXT) | instid1(VALU_DEP_1)
	s_cmp_lt_i32 s0, 11
	v_ashrrev_i32_e32 v5, 31, v4
	s_delay_alu instid0(VALU_DEP_1)
	v_add_nc_u64_e32 v[4:5], s[10:11], v[4:5]
	s_cbranch_scc1 .LBB110_1274
; %bb.1267:
	s_cmp_gt_i32 s0, 25
	s_cbranch_scc0 .LBB110_1275
; %bb.1268:
	s_cmp_gt_i32 s0, 28
	s_cbranch_scc0 .LBB110_1276
	;; [unrolled: 3-line block ×4, first 2 shown]
; %bb.1271:
	s_cmp_eq_u32 s0, 46
	s_mov_b32 s36, 0
	s_cbranch_scc0 .LBB110_1281
; %bb.1272:
	s_wait_loadcnt 0x0
	global_load_b32 v1, v[4:5], off
	s_mov_b32 s35, -1
	s_mov_b32 s34, 0
	s_wait_loadcnt 0x0
	v_lshlrev_b32_e32 v1, 16, v1
	s_delay_alu instid0(VALU_DEP_1)
	v_cvt_i32_f32_e32 v6, v1
	s_branch .LBB110_1283
.LBB110_1273:
	s_mov_b32 s36, 0
	s_mov_b32 s0, s26
	;; [unrolled: 1-line block ×3, first 2 shown]
	s_branch .LBB110_1518
.LBB110_1274:
	s_mov_b32 s36, -1
	s_mov_b32 s35, 0
	s_mov_b32 s34, s27
                                        ; implicit-def: $vgpr6
	s_branch .LBB110_1344
.LBB110_1275:
	s_mov_b32 s36, -1
	s_mov_b32 s35, 0
	s_mov_b32 s34, s27
                                        ; implicit-def: $vgpr6
	s_branch .LBB110_1310
.LBB110_1276:
	s_mov_b32 s36, -1
	s_mov_b32 s35, 0
	s_mov_b32 s34, s27
                                        ; implicit-def: $vgpr6
	s_branch .LBB110_1293
.LBB110_1277:
	s_mov_b32 s36, -1
	s_mov_b32 s35, 0
	s_mov_b32 s34, s27
                                        ; implicit-def: $vgpr6
	s_branch .LBB110_1288
.LBB110_1278:
	s_mov_b32 s36, -1
	s_mov_b32 s35, 0
	s_mov_b32 s34, s27
	s_branch .LBB110_1282
.LBB110_1279:
	s_and_not1_saveexec_b32 s34, s34
	s_cbranch_execz .LBB110_932
.LBB110_1280:
	v_add_f32_e64 v3, 0x42800000, |v2|
	s_and_not1_b32 s33, s33, exec_lo
	s_delay_alu instid0(VALU_DEP_1) | instskip(NEXT) | instid1(VALU_DEP_1)
	v_and_b32_e32 v3, 0xff, v3
	v_cmp_ne_u32_e32 vcc_lo, 0, v3
	s_and_b32 s35, vcc_lo, exec_lo
	s_delay_alu instid0(SALU_CYCLE_1)
	s_or_b32 s33, s33, s35
	s_or_b32 exec_lo, exec_lo, s34
	v_mov_b32_e32 v5, 0
	s_and_saveexec_b32 s34, s33
	s_cbranch_execnz .LBB110_933
	s_branch .LBB110_934
.LBB110_1281:
	s_mov_b32 s34, -1
	s_mov_b32 s35, 0
.LBB110_1282:
                                        ; implicit-def: $vgpr6
.LBB110_1283:
	s_and_b32 vcc_lo, exec_lo, s36
	s_cbranch_vccz .LBB110_1287
; %bb.1284:
	s_cmp_eq_u32 s0, 44
	s_cbranch_scc0 .LBB110_1286
; %bb.1285:
	s_wait_loadcnt 0x0
	global_load_u8 v1, v[4:5], off
	s_mov_b32 s34, 0
	s_mov_b32 s35, -1
	s_wait_loadcnt 0x0
	v_lshlrev_b32_e32 v3, 23, v1
	v_cmp_ne_u32_e32 vcc_lo, 0, v1
	s_delay_alu instid0(VALU_DEP_2) | instskip(NEXT) | instid1(VALU_DEP_1)
	v_cvt_i32_f32_e32 v3, v3
	v_cndmask_b32_e32 v6, 0, v3, vcc_lo
	s_branch .LBB110_1287
.LBB110_1286:
	s_mov_b32 s34, -1
                                        ; implicit-def: $vgpr6
.LBB110_1287:
	s_mov_b32 s36, 0
.LBB110_1288:
	s_delay_alu instid0(SALU_CYCLE_1)
	s_and_b32 vcc_lo, exec_lo, s36
	s_cbranch_vccz .LBB110_1292
; %bb.1289:
	s_cmp_eq_u32 s0, 29
	s_cbranch_scc0 .LBB110_1291
; %bb.1290:
	global_load_b64 v[6:7], v[4:5], off
	s_mov_b32 s35, -1
	s_mov_b32 s34, 0
	s_branch .LBB110_1292
.LBB110_1291:
	s_mov_b32 s34, -1
                                        ; implicit-def: $vgpr6
.LBB110_1292:
	s_mov_b32 s36, 0
.LBB110_1293:
	s_delay_alu instid0(SALU_CYCLE_1)
	s_and_b32 vcc_lo, exec_lo, s36
	s_cbranch_vccz .LBB110_1309
; %bb.1294:
	s_cmp_lt_i32 s0, 27
	s_cbranch_scc1 .LBB110_1297
; %bb.1295:
	s_cmp_gt_i32 s0, 27
	s_cbranch_scc0 .LBB110_1298
; %bb.1296:
	s_wait_loadcnt 0x0
	global_load_b32 v6, v[4:5], off
	s_mov_b32 s35, 0
	s_branch .LBB110_1299
.LBB110_1297:
	s_mov_b32 s35, -1
                                        ; implicit-def: $vgpr6
	s_branch .LBB110_1302
.LBB110_1298:
	s_mov_b32 s35, -1
                                        ; implicit-def: $vgpr6
.LBB110_1299:
	s_delay_alu instid0(SALU_CYCLE_1)
	s_and_not1_b32 vcc_lo, exec_lo, s35
	s_cbranch_vccnz .LBB110_1301
; %bb.1300:
	s_wait_loadcnt 0x0
	global_load_u16 v6, v[4:5], off
.LBB110_1301:
	s_mov_b32 s35, 0
.LBB110_1302:
	s_delay_alu instid0(SALU_CYCLE_1)
	s_and_not1_b32 vcc_lo, exec_lo, s35
	s_cbranch_vccnz .LBB110_1308
; %bb.1303:
	s_wait_loadcnt 0x0
	global_load_u8 v1, v[4:5], off
	s_mov_b32 s36, 0
	s_mov_b32 s35, exec_lo
	s_wait_loadcnt 0x0
	v_cmpx_lt_i16_e32 0x7f, v1
	s_xor_b32 s35, exec_lo, s35
	s_cbranch_execz .LBB110_1320
; %bb.1304:
	v_cmp_ne_u16_e32 vcc_lo, 0x80, v1
	s_and_b32 s36, vcc_lo, exec_lo
	s_and_not1_saveexec_b32 s35, s35
	s_cbranch_execnz .LBB110_1321
.LBB110_1305:
	s_or_b32 exec_lo, exec_lo, s35
	v_mov_b32_e32 v6, 0
	s_and_saveexec_b32 s35, s36
	s_cbranch_execz .LBB110_1307
.LBB110_1306:
	v_and_b32_e32 v3, 0xffff, v1
	s_delay_alu instid0(VALU_DEP_1) | instskip(SKIP_1) | instid1(VALU_DEP_2)
	v_dual_lshlrev_b32 v1, 24, v1 :: v_dual_bitop2_b32 v6, 7, v3 bitop3:0x40
	v_bfe_u32 v9, v3, 3, 4
	v_and_b32_e32 v1, 0x80000000, v1
	s_delay_alu instid0(VALU_DEP_3) | instskip(NEXT) | instid1(VALU_DEP_3)
	v_clz_i32_u32_e32 v7, v6
	v_cmp_eq_u32_e32 vcc_lo, 0, v9
	s_delay_alu instid0(VALU_DEP_2) | instskip(NEXT) | instid1(VALU_DEP_1)
	v_min_u32_e32 v7, 32, v7
	v_subrev_nc_u32_e32 v8, 28, v7
	v_sub_nc_u32_e32 v7, 29, v7
	s_delay_alu instid0(VALU_DEP_2) | instskip(NEXT) | instid1(VALU_DEP_2)
	v_lshlrev_b32_e32 v3, v8, v3
	v_cndmask_b32_e32 v7, v9, v7, vcc_lo
	s_delay_alu instid0(VALU_DEP_2) | instskip(NEXT) | instid1(VALU_DEP_1)
	v_and_b32_e32 v3, 7, v3
	v_cndmask_b32_e32 v3, v6, v3, vcc_lo
	s_delay_alu instid0(VALU_DEP_3) | instskip(NEXT) | instid1(VALU_DEP_2)
	v_lshl_add_u32 v6, v7, 23, 0x3b800000
	v_lshlrev_b32_e32 v3, 20, v3
	s_delay_alu instid0(VALU_DEP_1) | instskip(NEXT) | instid1(VALU_DEP_1)
	v_or3_b32 v1, v1, v6, v3
	v_cvt_i32_f32_e32 v6, v1
.LBB110_1307:
	s_or_b32 exec_lo, exec_lo, s35
.LBB110_1308:
	s_mov_b32 s35, -1
.LBB110_1309:
	s_mov_b32 s36, 0
.LBB110_1310:
	s_delay_alu instid0(SALU_CYCLE_1)
	s_and_b32 vcc_lo, exec_lo, s36
	s_cbranch_vccz .LBB110_1343
; %bb.1311:
	s_cmp_gt_i32 s0, 22
	s_cbranch_scc0 .LBB110_1319
; %bb.1312:
	s_cmp_lt_i32 s0, 24
	s_cbranch_scc1 .LBB110_1322
; %bb.1313:
	s_cmp_gt_i32 s0, 24
	s_cbranch_scc0 .LBB110_1323
; %bb.1314:
	s_wait_loadcnt 0x0
	global_load_u8 v1, v[4:5], off
	s_mov_b32 s36, 0
	s_mov_b32 s35, exec_lo
	s_wait_loadcnt 0x0
	v_cmpx_lt_i16_e32 0x7f, v1
	s_xor_b32 s35, exec_lo, s35
	s_cbranch_execz .LBB110_1335
; %bb.1315:
	v_cmp_ne_u16_e32 vcc_lo, 0x80, v1
	s_and_b32 s36, vcc_lo, exec_lo
	s_and_not1_saveexec_b32 s35, s35
	s_cbranch_execnz .LBB110_1336
.LBB110_1316:
	s_or_b32 exec_lo, exec_lo, s35
	v_mov_b32_e32 v6, 0
	s_and_saveexec_b32 s35, s36
	s_cbranch_execz .LBB110_1318
.LBB110_1317:
	v_and_b32_e32 v3, 0xffff, v1
	s_delay_alu instid0(VALU_DEP_1) | instskip(SKIP_1) | instid1(VALU_DEP_2)
	v_dual_lshlrev_b32 v1, 24, v1 :: v_dual_bitop2_b32 v6, 3, v3 bitop3:0x40
	v_bfe_u32 v9, v3, 2, 5
	v_and_b32_e32 v1, 0x80000000, v1
	s_delay_alu instid0(VALU_DEP_3) | instskip(NEXT) | instid1(VALU_DEP_3)
	v_clz_i32_u32_e32 v7, v6
	v_cmp_eq_u32_e32 vcc_lo, 0, v9
	s_delay_alu instid0(VALU_DEP_2) | instskip(NEXT) | instid1(VALU_DEP_1)
	v_min_u32_e32 v7, 32, v7
	v_subrev_nc_u32_e32 v8, 29, v7
	v_sub_nc_u32_e32 v7, 30, v7
	s_delay_alu instid0(VALU_DEP_2) | instskip(NEXT) | instid1(VALU_DEP_2)
	v_lshlrev_b32_e32 v3, v8, v3
	v_cndmask_b32_e32 v7, v9, v7, vcc_lo
	s_delay_alu instid0(VALU_DEP_2) | instskip(NEXT) | instid1(VALU_DEP_1)
	v_and_b32_e32 v3, 3, v3
	v_cndmask_b32_e32 v3, v6, v3, vcc_lo
	s_delay_alu instid0(VALU_DEP_3) | instskip(NEXT) | instid1(VALU_DEP_2)
	v_lshl_add_u32 v6, v7, 23, 0x37800000
	v_lshlrev_b32_e32 v3, 21, v3
	s_delay_alu instid0(VALU_DEP_1) | instskip(NEXT) | instid1(VALU_DEP_1)
	v_or3_b32 v1, v1, v6, v3
	v_cvt_i32_f32_e32 v6, v1
.LBB110_1318:
	s_or_b32 exec_lo, exec_lo, s35
	s_mov_b32 s35, 0
	s_branch .LBB110_1324
.LBB110_1319:
	s_mov_b32 s36, -1
                                        ; implicit-def: $vgpr6
	s_branch .LBB110_1330
.LBB110_1320:
	s_and_not1_saveexec_b32 s35, s35
	s_cbranch_execz .LBB110_1305
.LBB110_1321:
	v_cmp_ne_u16_e32 vcc_lo, 0, v1
	s_and_not1_b32 s36, s36, exec_lo
	s_and_b32 s37, vcc_lo, exec_lo
	s_delay_alu instid0(SALU_CYCLE_1)
	s_or_b32 s36, s36, s37
	s_or_b32 exec_lo, exec_lo, s35
	v_mov_b32_e32 v6, 0
	s_and_saveexec_b32 s35, s36
	s_cbranch_execnz .LBB110_1306
	s_branch .LBB110_1307
.LBB110_1322:
	s_mov_b32 s35, -1
                                        ; implicit-def: $vgpr6
	s_branch .LBB110_1327
.LBB110_1323:
	s_mov_b32 s35, -1
                                        ; implicit-def: $vgpr6
.LBB110_1324:
	s_delay_alu instid0(SALU_CYCLE_1)
	s_and_b32 vcc_lo, exec_lo, s35
	s_cbranch_vccz .LBB110_1326
; %bb.1325:
	s_wait_loadcnt 0x0
	global_load_u8 v1, v[4:5], off
	s_wait_loadcnt 0x0
	v_lshlrev_b32_e32 v1, 24, v1
	s_delay_alu instid0(VALU_DEP_1) | instskip(NEXT) | instid1(VALU_DEP_1)
	v_and_b32_e32 v3, 0x7f000000, v1
	v_clz_i32_u32_e32 v6, v3
	v_cmp_ne_u32_e32 vcc_lo, 0, v3
	v_add_nc_u32_e32 v8, 0x1000000, v3
	s_delay_alu instid0(VALU_DEP_3) | instskip(NEXT) | instid1(VALU_DEP_1)
	v_min_u32_e32 v6, 32, v6
	v_sub_nc_u32_e64 v6, v6, 4 clamp
	s_delay_alu instid0(VALU_DEP_1) | instskip(NEXT) | instid1(VALU_DEP_1)
	v_dual_lshlrev_b32 v7, v6, v3 :: v_dual_lshlrev_b32 v6, 23, v6
	v_lshrrev_b32_e32 v7, 4, v7
	s_delay_alu instid0(VALU_DEP_1) | instskip(NEXT) | instid1(VALU_DEP_1)
	v_dual_sub_nc_u32 v6, v7, v6 :: v_dual_ashrrev_i32 v7, 8, v8
	v_add_nc_u32_e32 v6, 0x3c000000, v6
	s_delay_alu instid0(VALU_DEP_1) | instskip(NEXT) | instid1(VALU_DEP_1)
	v_and_or_b32 v6, 0x7f800000, v7, v6
	v_cndmask_b32_e32 v3, 0, v6, vcc_lo
	s_delay_alu instid0(VALU_DEP_1) | instskip(NEXT) | instid1(VALU_DEP_1)
	v_and_or_b32 v1, 0x80000000, v1, v3
	v_cvt_i32_f32_e32 v6, v1
.LBB110_1326:
	s_mov_b32 s35, 0
.LBB110_1327:
	s_delay_alu instid0(SALU_CYCLE_1)
	s_and_not1_b32 vcc_lo, exec_lo, s35
	s_cbranch_vccnz .LBB110_1329
; %bb.1328:
	s_wait_loadcnt 0x0
	global_load_u8 v1, v[4:5], off
	s_wait_loadcnt 0x0
	v_lshlrev_b32_e32 v3, 25, v1
	v_lshlrev_b16 v1, 8, v1
	s_delay_alu instid0(VALU_DEP_1) | instskip(SKIP_1) | instid1(VALU_DEP_2)
	v_and_or_b32 v7, 0x7f00, v1, 0.5
	v_bfe_i32 v1, v1, 0, 16
	v_add_f32_e32 v7, -0.5, v7
	v_lshrrev_b32_e32 v6, 4, v3
	v_cmp_gt_u32_e32 vcc_lo, 0x8000000, v3
	s_delay_alu instid0(VALU_DEP_2) | instskip(NEXT) | instid1(VALU_DEP_1)
	v_or_b32_e32 v6, 0x70000000, v6
	v_mul_f32_e32 v6, 0x7800000, v6
	s_delay_alu instid0(VALU_DEP_1) | instskip(NEXT) | instid1(VALU_DEP_1)
	v_cndmask_b32_e32 v3, v6, v7, vcc_lo
	v_and_or_b32 v1, 0x80000000, v1, v3
	s_delay_alu instid0(VALU_DEP_1)
	v_cvt_i32_f32_e32 v6, v1
.LBB110_1329:
	s_mov_b32 s36, 0
	s_mov_b32 s35, -1
.LBB110_1330:
	s_and_not1_b32 vcc_lo, exec_lo, s36
	s_cbranch_vccnz .LBB110_1343
; %bb.1331:
	s_cmp_gt_i32 s0, 14
	s_cbranch_scc0 .LBB110_1334
; %bb.1332:
	s_cmp_eq_u32 s0, 15
	s_cbranch_scc0 .LBB110_1337
; %bb.1333:
	s_wait_loadcnt 0x0
	global_load_u16 v1, v[4:5], off
	s_mov_b32 s35, -1
	s_mov_b32 s34, 0
	s_wait_loadcnt 0x0
	v_lshlrev_b32_e32 v1, 16, v1
	s_delay_alu instid0(VALU_DEP_1)
	v_cvt_i32_f32_e32 v6, v1
	s_branch .LBB110_1338
.LBB110_1334:
	s_mov_b32 s36, -1
                                        ; implicit-def: $vgpr6
	s_branch .LBB110_1339
.LBB110_1335:
	s_and_not1_saveexec_b32 s35, s35
	s_cbranch_execz .LBB110_1316
.LBB110_1336:
	v_cmp_ne_u16_e32 vcc_lo, 0, v1
	s_and_not1_b32 s36, s36, exec_lo
	s_and_b32 s37, vcc_lo, exec_lo
	s_delay_alu instid0(SALU_CYCLE_1)
	s_or_b32 s36, s36, s37
	s_or_b32 exec_lo, exec_lo, s35
	v_mov_b32_e32 v6, 0
	s_and_saveexec_b32 s35, s36
	s_cbranch_execnz .LBB110_1317
	s_branch .LBB110_1318
.LBB110_1337:
	s_mov_b32 s34, -1
                                        ; implicit-def: $vgpr6
.LBB110_1338:
	s_mov_b32 s36, 0
.LBB110_1339:
	s_delay_alu instid0(SALU_CYCLE_1)
	s_and_b32 vcc_lo, exec_lo, s36
	s_cbranch_vccz .LBB110_1343
; %bb.1340:
	s_cmp_eq_u32 s0, 11
	s_cbranch_scc0 .LBB110_1342
; %bb.1341:
	s_wait_loadcnt 0x0
	global_load_u8 v1, v[4:5], off
	s_mov_b32 s34, 0
	s_mov_b32 s35, -1
	s_wait_loadcnt 0x0
	v_cmp_ne_u16_e32 vcc_lo, 0, v1
	v_cndmask_b32_e64 v6, 0, 1, vcc_lo
	s_branch .LBB110_1343
.LBB110_1342:
	s_mov_b32 s34, -1
                                        ; implicit-def: $vgpr6
.LBB110_1343:
	s_mov_b32 s36, 0
.LBB110_1344:
	s_delay_alu instid0(SALU_CYCLE_1)
	s_and_b32 vcc_lo, exec_lo, s36
	s_cbranch_vccz .LBB110_1393
; %bb.1345:
	s_cmp_lt_i32 s0, 5
	s_cbranch_scc1 .LBB110_1350
; %bb.1346:
	s_cmp_lt_i32 s0, 8
	s_cbranch_scc1 .LBB110_1351
	;; [unrolled: 3-line block ×3, first 2 shown]
; %bb.1348:
	s_cmp_gt_i32 s0, 9
	s_cbranch_scc0 .LBB110_1353
; %bb.1349:
	s_wait_loadcnt 0x0
	global_load_b64 v[6:7], v[4:5], off
	s_mov_b32 s35, 0
	s_wait_loadcnt 0x0
	v_cvt_i32_f64_e32 v6, v[6:7]
	s_branch .LBB110_1354
.LBB110_1350:
	s_mov_b32 s35, -1
                                        ; implicit-def: $vgpr6
	s_branch .LBB110_1372
.LBB110_1351:
	s_mov_b32 s35, -1
                                        ; implicit-def: $vgpr6
	s_branch .LBB110_1360
.LBB110_1352:
	s_mov_b32 s35, -1
                                        ; implicit-def: $vgpr6
	s_branch .LBB110_1357
.LBB110_1353:
	s_mov_b32 s35, -1
                                        ; implicit-def: $vgpr6
.LBB110_1354:
	s_delay_alu instid0(SALU_CYCLE_1)
	s_and_not1_b32 vcc_lo, exec_lo, s35
	s_cbranch_vccnz .LBB110_1356
; %bb.1355:
	s_wait_loadcnt 0x0
	global_load_b32 v1, v[4:5], off
	s_wait_loadcnt 0x0
	v_cvt_i32_f32_e32 v6, v1
.LBB110_1356:
	s_mov_b32 s35, 0
.LBB110_1357:
	s_delay_alu instid0(SALU_CYCLE_1)
	s_and_not1_b32 vcc_lo, exec_lo, s35
	s_cbranch_vccnz .LBB110_1359
; %bb.1358:
	s_wait_loadcnt 0x0
	global_load_b32 v1, v[4:5], off
	s_wait_loadcnt 0x0
	v_cvt_i16_f16_e32 v6, v1
.LBB110_1359:
	s_mov_b32 s35, 0
.LBB110_1360:
	s_delay_alu instid0(SALU_CYCLE_1)
	s_and_not1_b32 vcc_lo, exec_lo, s35
	s_cbranch_vccnz .LBB110_1371
; %bb.1361:
	s_cmp_lt_i32 s0, 6
	s_cbranch_scc1 .LBB110_1364
; %bb.1362:
	s_cmp_gt_i32 s0, 6
	s_cbranch_scc0 .LBB110_1365
; %bb.1363:
	s_wait_loadcnt 0x0
	global_load_b64 v[6:7], v[4:5], off
	s_mov_b32 s35, 0
	s_wait_loadcnt 0x0
	v_cvt_i32_f64_e32 v6, v[6:7]
	s_branch .LBB110_1366
.LBB110_1364:
	s_mov_b32 s35, -1
                                        ; implicit-def: $vgpr6
	s_branch .LBB110_1369
.LBB110_1365:
	s_mov_b32 s35, -1
                                        ; implicit-def: $vgpr6
.LBB110_1366:
	s_delay_alu instid0(SALU_CYCLE_1)
	s_and_not1_b32 vcc_lo, exec_lo, s35
	s_cbranch_vccnz .LBB110_1368
; %bb.1367:
	s_wait_loadcnt 0x0
	global_load_b32 v1, v[4:5], off
	s_wait_loadcnt 0x0
	v_cvt_i32_f32_e32 v6, v1
.LBB110_1368:
	s_mov_b32 s35, 0
.LBB110_1369:
	s_delay_alu instid0(SALU_CYCLE_1)
	s_and_not1_b32 vcc_lo, exec_lo, s35
	s_cbranch_vccnz .LBB110_1371
; %bb.1370:
	s_wait_loadcnt 0x0
	global_load_u16 v1, v[4:5], off
	s_wait_loadcnt 0x0
	v_cvt_i16_f16_e32 v6, v1
.LBB110_1371:
	s_mov_b32 s35, 0
.LBB110_1372:
	s_delay_alu instid0(SALU_CYCLE_1)
	s_and_not1_b32 vcc_lo, exec_lo, s35
	s_cbranch_vccnz .LBB110_1392
; %bb.1373:
	s_cmp_lt_i32 s0, 2
	s_cbranch_scc1 .LBB110_1377
; %bb.1374:
	s_cmp_lt_i32 s0, 3
	s_cbranch_scc1 .LBB110_1378
; %bb.1375:
	s_cmp_gt_i32 s0, 3
	s_cbranch_scc0 .LBB110_1379
; %bb.1376:
	s_wait_loadcnt 0x0
	global_load_b64 v[6:7], v[4:5], off
	s_mov_b32 s35, 0
	s_branch .LBB110_1380
.LBB110_1377:
	s_mov_b32 s35, -1
                                        ; implicit-def: $vgpr6
	s_branch .LBB110_1386
.LBB110_1378:
	s_mov_b32 s35, -1
                                        ; implicit-def: $vgpr6
	s_branch .LBB110_1383
.LBB110_1379:
	s_mov_b32 s35, -1
                                        ; implicit-def: $vgpr6
.LBB110_1380:
	s_delay_alu instid0(SALU_CYCLE_1)
	s_and_not1_b32 vcc_lo, exec_lo, s35
	s_cbranch_vccnz .LBB110_1382
; %bb.1381:
	s_wait_loadcnt 0x0
	global_load_b32 v6, v[4:5], off
.LBB110_1382:
	s_mov_b32 s35, 0
.LBB110_1383:
	s_delay_alu instid0(SALU_CYCLE_1)
	s_and_not1_b32 vcc_lo, exec_lo, s35
	s_cbranch_vccnz .LBB110_1385
; %bb.1384:
	s_wait_loadcnt 0x0
	global_load_u16 v6, v[4:5], off
.LBB110_1385:
	s_mov_b32 s35, 0
.LBB110_1386:
	s_delay_alu instid0(SALU_CYCLE_1)
	s_and_not1_b32 vcc_lo, exec_lo, s35
	s_cbranch_vccnz .LBB110_1392
; %bb.1387:
	s_cmp_gt_i32 s0, 0
	s_mov_b32 s0, 0
	s_cbranch_scc0 .LBB110_1389
; %bb.1388:
	s_wait_loadcnt 0x0
	global_load_u8 v6, v[4:5], off
	s_branch .LBB110_1390
.LBB110_1389:
	s_mov_b32 s0, -1
                                        ; implicit-def: $vgpr6
.LBB110_1390:
	s_delay_alu instid0(SALU_CYCLE_1)
	s_and_not1_b32 vcc_lo, exec_lo, s0
	s_cbranch_vccnz .LBB110_1392
; %bb.1391:
	s_wait_loadcnt 0x0
	global_load_u8 v6, v[4:5], off
.LBB110_1392:
	s_mov_b32 s35, -1
.LBB110_1393:
	s_delay_alu instid0(SALU_CYCLE_1)
	s_and_not1_b32 vcc_lo, exec_lo, s35
	s_cbranch_vccnz .LBB110_1401
; %bb.1394:
	s_wait_xcnt 0x0
	v_mul_lo_u32 v4, v26, s12
	s_wait_loadcnt 0x0
	v_bfe_i32 v1, v2, 0, 8
	v_bfe_i32 v0, v0, 0, 8
	s_delay_alu instid0(VALU_DEP_4) | instskip(SKIP_1) | instid1(SALU_CYCLE_1)
	v_bfe_i32 v3, v6, 0, 8
	s_and_b32 s35, s2, 0xff
	s_cmp_lt_i32 s35, 11
	s_delay_alu instid0(VALU_DEP_2) | instskip(SKIP_1) | instid1(VALU_DEP_1)
	v_max_i16 v2, v0, v1
	v_ashrrev_i32_e32 v5, 31, v4
	v_add_nc_u64_e32 v[0:1], s[4:5], v[4:5]
	s_delay_alu instid0(VALU_DEP_3)
	v_min_i16 v4, v2, v3
	s_cbranch_scc1 .LBB110_1402
; %bb.1395:
	s_and_b32 s36, 0xffff, s35
	s_delay_alu instid0(SALU_CYCLE_1)
	s_cmp_gt_i32 s36, 25
	s_cbranch_scc0 .LBB110_1403
; %bb.1396:
	s_cmp_gt_i32 s36, 28
	s_cbranch_scc0 .LBB110_1404
; %bb.1397:
	;; [unrolled: 3-line block ×4, first 2 shown]
	s_mov_b32 s38, 0
	s_mov_b32 s0, -1
	s_cmp_eq_u32 s36, 46
	s_mov_b32 s37, 0
	s_cbranch_scc0 .LBB110_1407
; %bb.1400:
	v_bfe_i32 v2, v4, 0, 16
	s_mov_b32 s37, -1
	s_mov_b32 s0, 0
	s_delay_alu instid0(VALU_DEP_1) | instskip(NEXT) | instid1(VALU_DEP_1)
	v_cvt_f32_i32_e32 v2, v2
	v_bfe_u32 v3, v2, 16, 1
	s_delay_alu instid0(VALU_DEP_1) | instskip(NEXT) | instid1(VALU_DEP_1)
	v_add3_u32 v2, v2, v3, 0x7fff
	v_lshrrev_b32_e32 v2, 16, v2
	global_store_b32 v[0:1], v2, off
	s_branch .LBB110_1407
.LBB110_1401:
	s_mov_b32 s36, 0
	s_mov_b32 s0, s26
	s_branch .LBB110_1518
.LBB110_1402:
	s_mov_b32 s36, -1
	s_mov_b32 s37, 0
	s_mov_b32 s0, s26
	s_branch .LBB110_1476
.LBB110_1403:
	s_mov_b32 s38, -1
	s_mov_b32 s37, 0
	s_mov_b32 s0, s26
	s_branch .LBB110_1434
.LBB110_1404:
	s_mov_b32 s38, -1
	s_mov_b32 s37, 0
	s_mov_b32 s0, s26
	s_branch .LBB110_1417
.LBB110_1405:
	s_mov_b32 s38, -1
	s_mov_b32 s37, 0
	s_mov_b32 s0, s26
	s_branch .LBB110_1413
.LBB110_1406:
	s_mov_b32 s38, -1
	s_mov_b32 s37, 0
	s_mov_b32 s0, s26
.LBB110_1407:
	s_and_b32 vcc_lo, exec_lo, s38
	s_cbranch_vccz .LBB110_1412
; %bb.1408:
	s_cmp_eq_u32 s36, 44
	s_mov_b32 s0, -1
	s_cbranch_scc0 .LBB110_1412
; %bb.1409:
	s_wait_xcnt 0x0
	v_bfe_i32 v2, v4, 0, 16
	v_mov_b32_e32 v3, 0xff
	s_mov_b32 s37, exec_lo
	s_delay_alu instid0(VALU_DEP_2) | instskip(NEXT) | instid1(VALU_DEP_1)
	v_cvt_f32_i32_e32 v2, v2
	v_bfe_u32 v5, v2, 23, 8
	s_delay_alu instid0(VALU_DEP_1)
	v_cmpx_ne_u32_e32 0xff, v5
	s_cbranch_execz .LBB110_1411
; %bb.1410:
	v_and_b32_e32 v3, 0x400000, v2
	v_and_or_b32 v5, 0x3fffff, v2, v5
	v_lshrrev_b32_e32 v2, 23, v2
	s_delay_alu instid0(VALU_DEP_3) | instskip(NEXT) | instid1(VALU_DEP_3)
	v_cmp_ne_u32_e32 vcc_lo, 0, v3
	v_cmp_ne_u32_e64 s0, 0, v5
	s_and_b32 s0, vcc_lo, s0
	s_delay_alu instid0(SALU_CYCLE_1) | instskip(NEXT) | instid1(VALU_DEP_1)
	v_cndmask_b32_e64 v3, 0, 1, s0
	v_add_nc_u32_e32 v3, v2, v3
.LBB110_1411:
	s_or_b32 exec_lo, exec_lo, s37
	s_mov_b32 s37, -1
	s_mov_b32 s0, 0
	global_store_b8 v[0:1], v3, off
.LBB110_1412:
	s_mov_b32 s38, 0
.LBB110_1413:
	s_delay_alu instid0(SALU_CYCLE_1)
	s_and_b32 vcc_lo, exec_lo, s38
	s_cbranch_vccz .LBB110_1416
; %bb.1414:
	s_cmp_eq_u32 s36, 29
	s_mov_b32 s0, -1
	s_cbranch_scc0 .LBB110_1416
; %bb.1415:
	s_wait_xcnt 0x0
	v_bfe_i32 v2, v4, 0, 16
	s_mov_b32 s0, 0
	s_mov_b32 s37, -1
	s_mov_b32 s38, 0
	s_delay_alu instid0(VALU_DEP_1)
	v_ashrrev_i32_e32 v3, 31, v2
	global_store_b64 v[0:1], v[2:3], off
	s_branch .LBB110_1417
.LBB110_1416:
	s_mov_b32 s38, 0
.LBB110_1417:
	s_delay_alu instid0(SALU_CYCLE_1)
	s_and_b32 vcc_lo, exec_lo, s38
	s_cbranch_vccz .LBB110_1433
; %bb.1418:
	s_cmp_lt_i32 s36, 27
	s_mov_b32 s37, -1
	s_cbranch_scc1 .LBB110_1424
; %bb.1419:
	s_cmp_gt_i32 s36, 27
	s_cbranch_scc0 .LBB110_1421
; %bb.1420:
	s_wait_xcnt 0x0
	v_bfe_i32 v2, v4, 0, 16
	s_mov_b32 s37, 0
	global_store_b32 v[0:1], v2, off
.LBB110_1421:
	s_and_not1_b32 vcc_lo, exec_lo, s37
	s_cbranch_vccnz .LBB110_1423
; %bb.1422:
	global_store_b16 v[0:1], v4, off
.LBB110_1423:
	s_mov_b32 s37, 0
.LBB110_1424:
	s_delay_alu instid0(SALU_CYCLE_1)
	s_and_not1_b32 vcc_lo, exec_lo, s37
	s_cbranch_vccnz .LBB110_1432
; %bb.1425:
	s_wait_xcnt 0x0
	v_bfe_i32 v2, v4, 0, 16
	v_mov_b32_e32 v5, 0x80
	s_mov_b32 s37, exec_lo
	s_delay_alu instid0(VALU_DEP_2) | instskip(NEXT) | instid1(VALU_DEP_1)
	v_cvt_f32_i32_e32 v2, v2
	v_and_b32_e32 v3, 0x7fffffff, v2
	s_delay_alu instid0(VALU_DEP_1)
	v_cmpx_gt_u32_e32 0x43800000, v3
	s_cbranch_execz .LBB110_1431
; %bb.1426:
	v_cmp_lt_u32_e32 vcc_lo, 0x3bffffff, v3
	s_mov_b32 s38, 0
                                        ; implicit-def: $vgpr3
	s_and_saveexec_b32 s39, vcc_lo
	s_delay_alu instid0(SALU_CYCLE_1)
	s_xor_b32 s39, exec_lo, s39
	s_cbranch_execz .LBB110_2655
; %bb.1427:
	v_bfe_u32 v3, v2, 20, 1
	s_mov_b32 s38, exec_lo
	s_delay_alu instid0(VALU_DEP_1) | instskip(NEXT) | instid1(VALU_DEP_1)
	v_add3_u32 v3, v2, v3, 0x487ffff
	v_lshrrev_b32_e32 v3, 20, v3
	s_and_not1_saveexec_b32 s39, s39
	s_cbranch_execnz .LBB110_2656
.LBB110_1428:
	s_or_b32 exec_lo, exec_lo, s39
	v_mov_b32_e32 v5, 0
	s_and_saveexec_b32 s39, s38
.LBB110_1429:
	v_lshrrev_b32_e32 v2, 24, v2
	s_delay_alu instid0(VALU_DEP_1)
	v_and_or_b32 v5, 0x80, v2, v3
.LBB110_1430:
	s_or_b32 exec_lo, exec_lo, s39
.LBB110_1431:
	s_delay_alu instid0(SALU_CYCLE_1)
	s_or_b32 exec_lo, exec_lo, s37
	global_store_b8 v[0:1], v5, off
.LBB110_1432:
	s_mov_b32 s37, -1
.LBB110_1433:
	s_mov_b32 s38, 0
.LBB110_1434:
	s_delay_alu instid0(SALU_CYCLE_1)
	s_and_b32 vcc_lo, exec_lo, s38
	s_cbranch_vccz .LBB110_1475
; %bb.1435:
	s_cmp_gt_i32 s36, 22
	s_mov_b32 s38, -1
	s_cbranch_scc0 .LBB110_1467
; %bb.1436:
	s_cmp_lt_i32 s36, 24
	s_mov_b32 s37, -1
	s_cbranch_scc1 .LBB110_1456
; %bb.1437:
	s_cmp_gt_i32 s36, 24
	s_cbranch_scc0 .LBB110_1445
; %bb.1438:
	s_wait_xcnt 0x0
	v_bfe_i32 v2, v4, 0, 16
	v_mov_b32_e32 v5, 0x80
	s_mov_b32 s37, exec_lo
	s_delay_alu instid0(VALU_DEP_2) | instskip(NEXT) | instid1(VALU_DEP_1)
	v_cvt_f32_i32_e32 v2, v2
	v_and_b32_e32 v3, 0x7fffffff, v2
	s_delay_alu instid0(VALU_DEP_1)
	v_cmpx_gt_u32_e32 0x47800000, v3
	s_cbranch_execz .LBB110_1444
; %bb.1439:
	v_cmp_lt_u32_e32 vcc_lo, 0x37ffffff, v3
	s_mov_b32 s38, 0
                                        ; implicit-def: $vgpr3
	s_and_saveexec_b32 s39, vcc_lo
	s_delay_alu instid0(SALU_CYCLE_1)
	s_xor_b32 s39, exec_lo, s39
	s_cbranch_execz .LBB110_2784
; %bb.1440:
	v_bfe_u32 v3, v2, 21, 1
	s_mov_b32 s38, exec_lo
	s_delay_alu instid0(VALU_DEP_1) | instskip(NEXT) | instid1(VALU_DEP_1)
	v_add3_u32 v3, v2, v3, 0x88fffff
	v_lshrrev_b32_e32 v3, 21, v3
	s_and_not1_saveexec_b32 s39, s39
	s_cbranch_execnz .LBB110_2785
.LBB110_1441:
	s_or_b32 exec_lo, exec_lo, s39
	v_mov_b32_e32 v5, 0
	s_and_saveexec_b32 s39, s38
.LBB110_1442:
	v_lshrrev_b32_e32 v2, 24, v2
	s_delay_alu instid0(VALU_DEP_1)
	v_and_or_b32 v5, 0x80, v2, v3
.LBB110_1443:
	s_or_b32 exec_lo, exec_lo, s39
.LBB110_1444:
	s_delay_alu instid0(SALU_CYCLE_1)
	s_or_b32 exec_lo, exec_lo, s37
	s_mov_b32 s37, 0
	global_store_b8 v[0:1], v5, off
.LBB110_1445:
	s_and_b32 vcc_lo, exec_lo, s37
	s_cbranch_vccz .LBB110_1455
; %bb.1446:
	s_wait_xcnt 0x0
	v_bfe_i32 v2, v4, 0, 16
	s_mov_b32 s37, exec_lo
                                        ; implicit-def: $vgpr3
	s_delay_alu instid0(VALU_DEP_1) | instskip(NEXT) | instid1(VALU_DEP_1)
	v_cvt_f32_i32_e32 v2, v2
	v_and_b32_e32 v5, 0x7fffffff, v2
	s_delay_alu instid0(VALU_DEP_1)
	v_cmpx_gt_u32_e32 0x43f00000, v5
	s_xor_b32 s37, exec_lo, s37
	s_cbranch_execz .LBB110_1452
; %bb.1447:
	s_mov_b32 s38, exec_lo
                                        ; implicit-def: $vgpr3
	v_cmpx_lt_u32_e32 0x3c7fffff, v5
	s_xor_b32 s38, exec_lo, s38
; %bb.1448:
	v_bfe_u32 v3, v2, 20, 1
	s_delay_alu instid0(VALU_DEP_1) | instskip(NEXT) | instid1(VALU_DEP_1)
	v_add3_u32 v3, v2, v3, 0x407ffff
	v_and_b32_e32 v5, 0xff00000, v3
	v_lshrrev_b32_e32 v3, 20, v3
	s_delay_alu instid0(VALU_DEP_2) | instskip(NEXT) | instid1(VALU_DEP_2)
	v_cmp_ne_u32_e32 vcc_lo, 0x7f00000, v5
	v_cndmask_b32_e32 v3, 0x7e, v3, vcc_lo
; %bb.1449:
	s_and_not1_saveexec_b32 s38, s38
; %bb.1450:
	v_add_f32_e64 v3, 0x46800000, |v2|
; %bb.1451:
	s_or_b32 exec_lo, exec_lo, s38
                                        ; implicit-def: $vgpr5
.LBB110_1452:
	s_and_not1_saveexec_b32 s37, s37
; %bb.1453:
	v_mov_b32_e32 v3, 0x7f
	v_cmp_lt_u32_e32 vcc_lo, 0x7f800000, v5
	s_delay_alu instid0(VALU_DEP_2)
	v_cndmask_b32_e32 v3, 0x7e, v3, vcc_lo
; %bb.1454:
	s_or_b32 exec_lo, exec_lo, s37
	v_lshrrev_b32_e32 v2, 24, v2
	s_delay_alu instid0(VALU_DEP_1)
	v_and_or_b32 v2, 0x80, v2, v3
	global_store_b8 v[0:1], v2, off
.LBB110_1455:
	s_mov_b32 s37, 0
.LBB110_1456:
	s_delay_alu instid0(SALU_CYCLE_1)
	s_and_not1_b32 vcc_lo, exec_lo, s37
	s_cbranch_vccnz .LBB110_1466
; %bb.1457:
	s_wait_xcnt 0x0
	v_bfe_i32 v2, v4, 0, 16
	s_mov_b32 s37, exec_lo
                                        ; implicit-def: $vgpr3
	s_delay_alu instid0(VALU_DEP_1) | instskip(NEXT) | instid1(VALU_DEP_1)
	v_cvt_f32_i32_e32 v2, v2
	v_and_b32_e32 v5, 0x7fffffff, v2
	s_delay_alu instid0(VALU_DEP_1)
	v_cmpx_gt_u32_e32 0x47800000, v5
	s_xor_b32 s37, exec_lo, s37
	s_cbranch_execz .LBB110_1463
; %bb.1458:
	s_mov_b32 s38, exec_lo
                                        ; implicit-def: $vgpr3
	v_cmpx_lt_u32_e32 0x387fffff, v5
	s_xor_b32 s38, exec_lo, s38
; %bb.1459:
	v_bfe_u32 v3, v2, 21, 1
	s_delay_alu instid0(VALU_DEP_1) | instskip(NEXT) | instid1(VALU_DEP_1)
	v_add3_u32 v3, v2, v3, 0x80fffff
	v_lshrrev_b32_e32 v3, 21, v3
; %bb.1460:
	s_and_not1_saveexec_b32 s38, s38
; %bb.1461:
	v_add_f32_e64 v3, 0x43000000, |v2|
; %bb.1462:
	s_or_b32 exec_lo, exec_lo, s38
                                        ; implicit-def: $vgpr5
.LBB110_1463:
	s_and_not1_saveexec_b32 s37, s37
; %bb.1464:
	v_mov_b32_e32 v3, 0x7f
	v_cmp_lt_u32_e32 vcc_lo, 0x7f800000, v5
	s_delay_alu instid0(VALU_DEP_2)
	v_cndmask_b32_e32 v3, 0x7c, v3, vcc_lo
; %bb.1465:
	s_or_b32 exec_lo, exec_lo, s37
	v_lshrrev_b32_e32 v2, 24, v2
	s_delay_alu instid0(VALU_DEP_1)
	v_and_or_b32 v2, 0x80, v2, v3
	global_store_b8 v[0:1], v2, off
.LBB110_1466:
	s_mov_b32 s38, 0
	s_mov_b32 s37, -1
.LBB110_1467:
	s_and_not1_b32 vcc_lo, exec_lo, s38
	s_cbranch_vccnz .LBB110_1475
; %bb.1468:
	s_cmp_gt_i32 s36, 14
	s_mov_b32 s38, -1
	s_cbranch_scc0 .LBB110_1472
; %bb.1469:
	s_cmp_eq_u32 s36, 15
	s_mov_b32 s0, -1
	s_cbranch_scc0 .LBB110_1471
; %bb.1470:
	s_wait_xcnt 0x0
	v_bfe_i32 v2, v4, 0, 16
	s_mov_b32 s37, -1
	s_mov_b32 s0, 0
	s_delay_alu instid0(VALU_DEP_1) | instskip(NEXT) | instid1(VALU_DEP_1)
	v_cvt_f32_i32_e32 v2, v2
	v_bfe_u32 v3, v2, 16, 1
	s_delay_alu instid0(VALU_DEP_1)
	v_add3_u32 v2, v2, v3, 0x7fff
	global_store_d16_hi_b16 v[0:1], v2, off
.LBB110_1471:
	s_mov_b32 s38, 0
.LBB110_1472:
	s_delay_alu instid0(SALU_CYCLE_1)
	s_and_b32 vcc_lo, exec_lo, s38
	s_cbranch_vccz .LBB110_1475
; %bb.1473:
	s_cmp_eq_u32 s36, 11
	s_mov_b32 s0, -1
	s_cbranch_scc0 .LBB110_1475
; %bb.1474:
	v_cmp_ne_u16_e32 vcc_lo, 0, v4
	s_mov_b32 s0, 0
	s_mov_b32 s37, -1
	s_wait_xcnt 0x0
	v_cndmask_b32_e64 v2, 0, 1, vcc_lo
	global_store_b8 v[0:1], v2, off
.LBB110_1475:
	s_mov_b32 s36, 0
.LBB110_1476:
	s_delay_alu instid0(SALU_CYCLE_1)
	s_and_b32 vcc_lo, exec_lo, s36
	s_cbranch_vccz .LBB110_1515
; %bb.1477:
	s_and_b32 s35, 0xffff, s35
	s_mov_b32 s36, -1
	s_cmp_lt_i32 s35, 5
	s_cbranch_scc1 .LBB110_1498
; %bb.1478:
	s_cmp_lt_i32 s35, 8
	s_cbranch_scc1 .LBB110_1488
; %bb.1479:
	;; [unrolled: 3-line block ×3, first 2 shown]
	s_cmp_gt_i32 s35, 9
	s_cbranch_scc0 .LBB110_1482
; %bb.1481:
	s_wait_xcnt 0x0
	v_bfe_i32 v2, v4, 0, 16
	v_mov_b32_e32 v8, 0
	s_mov_b32 s36, 0
	s_delay_alu instid0(VALU_DEP_2) | instskip(NEXT) | instid1(VALU_DEP_2)
	v_cvt_f64_i32_e32 v[6:7], v2
	v_mov_b32_e32 v9, v8
	global_store_b128 v[0:1], v[6:9], off
.LBB110_1482:
	s_and_not1_b32 vcc_lo, exec_lo, s36
	s_cbranch_vccnz .LBB110_1484
; %bb.1483:
	s_wait_xcnt 0x0
	v_bfe_i32 v2, v4, 0, 16
	v_mov_b32_e32 v3, 0
	s_delay_alu instid0(VALU_DEP_2)
	v_cvt_f32_i32_e32 v2, v2
	global_store_b64 v[0:1], v[2:3], off
.LBB110_1484:
	s_mov_b32 s36, 0
.LBB110_1485:
	s_delay_alu instid0(SALU_CYCLE_1)
	s_and_not1_b32 vcc_lo, exec_lo, s36
	s_cbranch_vccnz .LBB110_1487
; %bb.1486:
	s_wait_xcnt 0x0
	v_cvt_f16_i16_e32 v2, v4
	s_delay_alu instid0(VALU_DEP_1)
	v_and_b32_e32 v2, 0xffff, v2
	global_store_b32 v[0:1], v2, off
.LBB110_1487:
	s_mov_b32 s36, 0
.LBB110_1488:
	s_delay_alu instid0(SALU_CYCLE_1)
	s_and_not1_b32 vcc_lo, exec_lo, s36
	s_cbranch_vccnz .LBB110_1497
; %bb.1489:
	s_cmp_lt_i32 s35, 6
	s_mov_b32 s36, -1
	s_cbranch_scc1 .LBB110_1495
; %bb.1490:
	s_cmp_gt_i32 s35, 6
	s_cbranch_scc0 .LBB110_1492
; %bb.1491:
	s_wait_xcnt 0x0
	v_bfe_i32 v2, v4, 0, 16
	s_mov_b32 s36, 0
	s_delay_alu instid0(VALU_DEP_1)
	v_cvt_f64_i32_e32 v[2:3], v2
	global_store_b64 v[0:1], v[2:3], off
.LBB110_1492:
	s_and_not1_b32 vcc_lo, exec_lo, s36
	s_cbranch_vccnz .LBB110_1494
; %bb.1493:
	s_wait_xcnt 0x0
	v_bfe_i32 v2, v4, 0, 16
	s_delay_alu instid0(VALU_DEP_1)
	v_cvt_f32_i32_e32 v2, v2
	global_store_b32 v[0:1], v2, off
.LBB110_1494:
	s_mov_b32 s36, 0
.LBB110_1495:
	s_delay_alu instid0(SALU_CYCLE_1)
	s_and_not1_b32 vcc_lo, exec_lo, s36
	s_cbranch_vccnz .LBB110_1497
; %bb.1496:
	s_wait_xcnt 0x0
	v_cvt_f16_i16_e32 v2, v4
	global_store_b16 v[0:1], v2, off
.LBB110_1497:
	s_mov_b32 s36, 0
.LBB110_1498:
	s_delay_alu instid0(SALU_CYCLE_1)
	s_and_not1_b32 vcc_lo, exec_lo, s36
	s_cbranch_vccnz .LBB110_1514
; %bb.1499:
	s_cmp_lt_i32 s35, 2
	s_mov_b32 s36, -1
	s_cbranch_scc1 .LBB110_1509
; %bb.1500:
	s_cmp_lt_i32 s35, 3
	s_cbranch_scc1 .LBB110_1506
; %bb.1501:
	s_wait_xcnt 0x0
	v_bfe_i32 v2, v4, 0, 16
	s_cmp_gt_i32 s35, 3
	s_cbranch_scc0 .LBB110_1503
; %bb.1502:
	s_delay_alu instid0(VALU_DEP_1)
	v_ashrrev_i32_e32 v3, 31, v2
	s_mov_b32 s36, 0
	global_store_b64 v[0:1], v[2:3], off
.LBB110_1503:
	s_and_not1_b32 vcc_lo, exec_lo, s36
	s_cbranch_vccnz .LBB110_1505
; %bb.1504:
	global_store_b32 v[0:1], v2, off
.LBB110_1505:
	s_mov_b32 s36, 0
.LBB110_1506:
	s_delay_alu instid0(SALU_CYCLE_1)
	s_and_not1_b32 vcc_lo, exec_lo, s36
	s_cbranch_vccnz .LBB110_1508
; %bb.1507:
	global_store_b16 v[0:1], v4, off
.LBB110_1508:
	s_mov_b32 s36, 0
.LBB110_1509:
	s_delay_alu instid0(SALU_CYCLE_1)
	s_and_not1_b32 vcc_lo, exec_lo, s36
	s_cbranch_vccnz .LBB110_1514
; %bb.1510:
	s_cmp_gt_i32 s35, 0
	s_mov_b32 s35, -1
	s_cbranch_scc0 .LBB110_1512
; %bb.1511:
	s_mov_b32 s35, 0
	global_store_b8 v[0:1], v4, off
.LBB110_1512:
	s_and_not1_b32 vcc_lo, exec_lo, s35
	s_cbranch_vccnz .LBB110_1514
; %bb.1513:
	global_store_b8 v[0:1], v4, off
.LBB110_1514:
	s_mov_b32 s37, -1
.LBB110_1515:
	s_delay_alu instid0(SALU_CYCLE_1)
	s_and_not1_b32 vcc_lo, exec_lo, s37
	s_cbranch_vccnz .LBB110_1517
; %bb.1516:
	v_add_nc_u32_e32 v26, 0x80, v26
	s_mov_b32 s36, -1
	s_branch .LBB110_1519
.LBB110_1517:
	s_mov_b32 s36, 0
.LBB110_1518:
                                        ; implicit-def: $vgpr26
.LBB110_1519:
	s_and_not1_b32 s35, s26, exec_lo
	s_and_b32 s0, s0, exec_lo
	s_and_not1_b32 s37, s27, exec_lo
	s_and_b32 s34, s34, exec_lo
	s_or_b32 s35, s35, s0
	s_or_b32 s34, s37, s34
	s_and_not1_b32 s0, s28, exec_lo
	s_and_b32 s33, s33, exec_lo
	s_and_not1_b32 s37, s25, exec_lo
	s_and_b32 s31, s31, exec_lo
	s_or_b32 s33, s0, s33
	s_or_b32 s31, s37, s31
	s_or_not1_b32 s39, s36, exec_lo
.LBB110_1520:
	s_wait_xcnt 0x0
	s_or_b32 exec_lo, exec_lo, s30
	s_mov_b32 s36, 0
	s_mov_b32 s37, 0
	;; [unrolled: 1-line block ×3, first 2 shown]
                                        ; implicit-def: $sgpr0
                                        ; implicit-def: $vgpr2_vgpr3
                                        ; implicit-def: $vgpr0
	s_and_saveexec_b32 s30, s39
	s_cbranch_execz .LBB110_1597
; %bb.1521:
	v_cmp_gt_i32_e32 vcc_lo, s20, v26
	s_mov_b32 s40, s31
	s_mov_b32 s39, 0
	;; [unrolled: 1-line block ×3, first 2 shown]
                                        ; implicit-def: $sgpr0
                                        ; implicit-def: $vgpr2_vgpr3
                                        ; implicit-def: $vgpr0
	s_and_saveexec_b32 s20, vcc_lo
	s_cbranch_execz .LBB110_1596
; %bb.1522:
	s_wait_loadcnt 0x0
	v_mul_lo_u32 v0, v26, s13
	s_and_b32 s0, s17, 0xff
	s_delay_alu instid0(SALU_CYCLE_1) | instskip(NEXT) | instid1(VALU_DEP_1)
	s_cmp_lt_i32 s0, 11
	v_ashrrev_i32_e32 v1, 31, v0
	s_delay_alu instid0(VALU_DEP_1)
	v_add_nc_u64_e32 v[2:3], s[6:7], v[0:1]
	s_cbranch_scc1 .LBB110_1529
; %bb.1523:
	s_and_b32 s36, 0xffff, s0
	s_delay_alu instid0(SALU_CYCLE_1)
	s_cmp_gt_i32 s36, 25
	s_cbranch_scc0 .LBB110_1530
; %bb.1524:
	s_cmp_gt_i32 s36, 28
	s_cbranch_scc0 .LBB110_1531
; %bb.1525:
	;; [unrolled: 3-line block ×4, first 2 shown]
	s_cmp_eq_u32 s36, 46
	s_mov_b32 s40, 0
	s_cbranch_scc0 .LBB110_1534
; %bb.1528:
	global_load_b32 v0, v[2:3], off
	s_mov_b32 s39, -1
	s_wait_loadcnt 0x0
	v_lshlrev_b32_e32 v0, 16, v0
	s_delay_alu instid0(VALU_DEP_1)
	v_cvt_i32_f32_e32 v0, v0
	s_branch .LBB110_1536
.LBB110_1529:
	s_mov_b32 s36, -1
	s_mov_b32 s37, s31
                                        ; implicit-def: $vgpr0
	s_branch .LBB110_1595
.LBB110_1530:
	s_mov_b32 s40, -1
	s_mov_b32 s37, s31
                                        ; implicit-def: $vgpr0
	s_branch .LBB110_1563
.LBB110_1531:
	s_mov_b32 s40, -1
	s_mov_b32 s37, s31
                                        ; implicit-def: $vgpr0
	s_branch .LBB110_1546
.LBB110_1532:
	s_mov_b32 s40, -1
	s_mov_b32 s37, s31
                                        ; implicit-def: $vgpr0
	s_branch .LBB110_1541
.LBB110_1533:
	s_mov_b32 s40, -1
	s_mov_b32 s37, s31
	s_branch .LBB110_1535
.LBB110_1534:
	s_mov_b32 s37, -1
.LBB110_1535:
                                        ; implicit-def: $vgpr0
.LBB110_1536:
	s_and_b32 vcc_lo, exec_lo, s40
	s_cbranch_vccz .LBB110_1540
; %bb.1537:
	s_cmp_eq_u32 s36, 44
	s_cbranch_scc0 .LBB110_1539
; %bb.1538:
	global_load_u8 v0, v[2:3], off
	s_mov_b32 s37, 0
	s_mov_b32 s39, -1
	s_wait_loadcnt 0x0
	v_lshlrev_b32_e32 v1, 23, v0
	v_cmp_ne_u32_e32 vcc_lo, 0, v0
	s_delay_alu instid0(VALU_DEP_2) | instskip(NEXT) | instid1(VALU_DEP_1)
	v_cvt_i32_f32_e32 v1, v1
	v_cndmask_b32_e32 v0, 0, v1, vcc_lo
	s_branch .LBB110_1540
.LBB110_1539:
	s_mov_b32 s37, -1
                                        ; implicit-def: $vgpr0
.LBB110_1540:
	s_mov_b32 s40, 0
.LBB110_1541:
	s_delay_alu instid0(SALU_CYCLE_1)
	s_and_b32 vcc_lo, exec_lo, s40
	s_cbranch_vccz .LBB110_1545
; %bb.1542:
	s_cmp_eq_u32 s36, 29
	s_cbranch_scc0 .LBB110_1544
; %bb.1543:
	global_load_b64 v[0:1], v[2:3], off
	s_mov_b32 s37, 0
	s_mov_b32 s39, -1
	s_branch .LBB110_1545
.LBB110_1544:
	s_mov_b32 s37, -1
                                        ; implicit-def: $vgpr0
.LBB110_1545:
	s_mov_b32 s40, 0
.LBB110_1546:
	s_delay_alu instid0(SALU_CYCLE_1)
	s_and_b32 vcc_lo, exec_lo, s40
	s_cbranch_vccz .LBB110_1562
; %bb.1547:
	s_cmp_lt_i32 s36, 27
	s_cbranch_scc1 .LBB110_1550
; %bb.1548:
	s_cmp_gt_i32 s36, 27
	s_cbranch_scc0 .LBB110_1551
; %bb.1549:
	s_wait_loadcnt 0x0
	global_load_b32 v0, v[2:3], off
	s_mov_b32 s39, 0
	s_branch .LBB110_1552
.LBB110_1550:
	s_mov_b32 s39, -1
                                        ; implicit-def: $vgpr0
	s_branch .LBB110_1555
.LBB110_1551:
	s_mov_b32 s39, -1
                                        ; implicit-def: $vgpr0
.LBB110_1552:
	s_delay_alu instid0(SALU_CYCLE_1)
	s_and_not1_b32 vcc_lo, exec_lo, s39
	s_cbranch_vccnz .LBB110_1554
; %bb.1553:
	s_wait_loadcnt 0x0
	global_load_u16 v0, v[2:3], off
.LBB110_1554:
	s_mov_b32 s39, 0
.LBB110_1555:
	s_delay_alu instid0(SALU_CYCLE_1)
	s_and_not1_b32 vcc_lo, exec_lo, s39
	s_cbranch_vccnz .LBB110_1561
; %bb.1556:
	s_wait_loadcnt 0x0
	global_load_u8 v1, v[2:3], off
	s_mov_b32 s40, 0
	s_mov_b32 s39, exec_lo
	s_wait_loadcnt 0x0
	v_cmpx_lt_i16_e32 0x7f, v1
	s_xor_b32 s39, exec_lo, s39
	s_cbranch_execz .LBB110_1573
; %bb.1557:
	v_cmp_ne_u16_e32 vcc_lo, 0x80, v1
	s_and_b32 s40, vcc_lo, exec_lo
	s_and_not1_saveexec_b32 s39, s39
	s_cbranch_execnz .LBB110_1574
.LBB110_1558:
	s_or_b32 exec_lo, exec_lo, s39
	v_mov_b32_e32 v0, 0
	s_and_saveexec_b32 s39, s40
	s_cbranch_execz .LBB110_1560
.LBB110_1559:
	v_and_b32_e32 v0, 0xffff, v1
	s_delay_alu instid0(VALU_DEP_1) | instskip(SKIP_1) | instid1(VALU_DEP_2)
	v_and_b32_e32 v4, 7, v0
	v_bfe_u32 v7, v0, 3, 4
	v_clz_i32_u32_e32 v5, v4
	s_delay_alu instid0(VALU_DEP_2) | instskip(NEXT) | instid1(VALU_DEP_2)
	v_cmp_eq_u32_e32 vcc_lo, 0, v7
	v_min_u32_e32 v5, 32, v5
	s_delay_alu instid0(VALU_DEP_1) | instskip(NEXT) | instid1(VALU_DEP_1)
	v_subrev_nc_u32_e32 v6, 28, v5
	v_dual_lshlrev_b32 v0, v6, v0 :: v_dual_sub_nc_u32 v5, 29, v5
	s_delay_alu instid0(VALU_DEP_1) | instskip(NEXT) | instid1(VALU_DEP_1)
	v_dual_lshlrev_b32 v1, 24, v1 :: v_dual_bitop2_b32 v0, 7, v0 bitop3:0x40
	v_dual_cndmask_b32 v0, v4, v0 :: v_dual_cndmask_b32 v5, v7, v5
	s_delay_alu instid0(VALU_DEP_2) | instskip(NEXT) | instid1(VALU_DEP_2)
	v_and_b32_e32 v1, 0x80000000, v1
	v_lshlrev_b32_e32 v0, 20, v0
	s_delay_alu instid0(VALU_DEP_3) | instskip(NEXT) | instid1(VALU_DEP_1)
	v_lshl_add_u32 v4, v5, 23, 0x3b800000
	v_or3_b32 v0, v1, v4, v0
	s_delay_alu instid0(VALU_DEP_1)
	v_cvt_i32_f32_e32 v0, v0
.LBB110_1560:
	s_or_b32 exec_lo, exec_lo, s39
.LBB110_1561:
	s_mov_b32 s39, -1
.LBB110_1562:
	s_mov_b32 s40, 0
.LBB110_1563:
	s_delay_alu instid0(SALU_CYCLE_1)
	s_and_b32 vcc_lo, exec_lo, s40
	s_cbranch_vccz .LBB110_1594
; %bb.1564:
	s_cmp_gt_i32 s36, 22
	s_cbranch_scc0 .LBB110_1572
; %bb.1565:
	s_cmp_lt_i32 s36, 24
	s_cbranch_scc1 .LBB110_1575
; %bb.1566:
	s_cmp_gt_i32 s36, 24
	s_cbranch_scc0 .LBB110_1576
; %bb.1567:
	s_wait_loadcnt 0x0
	global_load_u8 v1, v[2:3], off
	s_mov_b32 s39, 0
	s_mov_b32 s38, exec_lo
	s_wait_loadcnt 0x0
	v_cmpx_lt_i16_e32 0x7f, v1
	s_xor_b32 s38, exec_lo, s38
	s_cbranch_execz .LBB110_1588
; %bb.1568:
	v_cmp_ne_u16_e32 vcc_lo, 0x80, v1
	s_and_b32 s39, vcc_lo, exec_lo
	s_and_not1_saveexec_b32 s38, s38
	s_cbranch_execnz .LBB110_1589
.LBB110_1569:
	s_or_b32 exec_lo, exec_lo, s38
	v_mov_b32_e32 v0, 0
	s_and_saveexec_b32 s38, s39
	s_cbranch_execz .LBB110_1571
.LBB110_1570:
	v_and_b32_e32 v0, 0xffff, v1
	s_delay_alu instid0(VALU_DEP_1) | instskip(SKIP_1) | instid1(VALU_DEP_2)
	v_and_b32_e32 v4, 3, v0
	v_bfe_u32 v7, v0, 2, 5
	v_clz_i32_u32_e32 v5, v4
	s_delay_alu instid0(VALU_DEP_2) | instskip(NEXT) | instid1(VALU_DEP_2)
	v_cmp_eq_u32_e32 vcc_lo, 0, v7
	v_min_u32_e32 v5, 32, v5
	s_delay_alu instid0(VALU_DEP_1) | instskip(NEXT) | instid1(VALU_DEP_1)
	v_subrev_nc_u32_e32 v6, 29, v5
	v_dual_lshlrev_b32 v0, v6, v0 :: v_dual_sub_nc_u32 v5, 30, v5
	s_delay_alu instid0(VALU_DEP_1) | instskip(NEXT) | instid1(VALU_DEP_1)
	v_dual_lshlrev_b32 v1, 24, v1 :: v_dual_bitop2_b32 v0, 3, v0 bitop3:0x40
	v_dual_cndmask_b32 v0, v4, v0 :: v_dual_cndmask_b32 v5, v7, v5
	s_delay_alu instid0(VALU_DEP_2) | instskip(NEXT) | instid1(VALU_DEP_2)
	v_and_b32_e32 v1, 0x80000000, v1
	v_lshlrev_b32_e32 v0, 21, v0
	s_delay_alu instid0(VALU_DEP_3) | instskip(NEXT) | instid1(VALU_DEP_1)
	v_lshl_add_u32 v4, v5, 23, 0x37800000
	v_or3_b32 v0, v1, v4, v0
	s_delay_alu instid0(VALU_DEP_1)
	v_cvt_i32_f32_e32 v0, v0
.LBB110_1571:
	s_or_b32 exec_lo, exec_lo, s38
	s_mov_b32 s38, 0
	s_branch .LBB110_1577
.LBB110_1572:
	s_mov_b32 s38, -1
                                        ; implicit-def: $vgpr0
	s_branch .LBB110_1583
.LBB110_1573:
	s_and_not1_saveexec_b32 s39, s39
	s_cbranch_execz .LBB110_1558
.LBB110_1574:
	v_cmp_ne_u16_e32 vcc_lo, 0, v1
	s_and_not1_b32 s40, s40, exec_lo
	s_and_b32 s41, vcc_lo, exec_lo
	s_delay_alu instid0(SALU_CYCLE_1)
	s_or_b32 s40, s40, s41
	s_or_b32 exec_lo, exec_lo, s39
	v_mov_b32_e32 v0, 0
	s_and_saveexec_b32 s39, s40
	s_cbranch_execnz .LBB110_1559
	s_branch .LBB110_1560
.LBB110_1575:
	s_mov_b32 s38, -1
                                        ; implicit-def: $vgpr0
	s_branch .LBB110_1580
.LBB110_1576:
	s_mov_b32 s38, -1
                                        ; implicit-def: $vgpr0
.LBB110_1577:
	s_delay_alu instid0(SALU_CYCLE_1)
	s_and_b32 vcc_lo, exec_lo, s38
	s_cbranch_vccz .LBB110_1579
; %bb.1578:
	s_wait_loadcnt 0x0
	global_load_u8 v0, v[2:3], off
	s_wait_loadcnt 0x0
	v_lshlrev_b32_e32 v0, 24, v0
	s_delay_alu instid0(VALU_DEP_1) | instskip(NEXT) | instid1(VALU_DEP_1)
	v_and_b32_e32 v1, 0x7f000000, v0
	v_clz_i32_u32_e32 v4, v1
	v_cmp_ne_u32_e32 vcc_lo, 0, v1
	v_add_nc_u32_e32 v6, 0x1000000, v1
	s_delay_alu instid0(VALU_DEP_3) | instskip(NEXT) | instid1(VALU_DEP_1)
	v_min_u32_e32 v4, 32, v4
	v_sub_nc_u32_e64 v4, v4, 4 clamp
	s_delay_alu instid0(VALU_DEP_1) | instskip(NEXT) | instid1(VALU_DEP_1)
	v_dual_lshlrev_b32 v5, v4, v1 :: v_dual_lshlrev_b32 v4, 23, v4
	v_lshrrev_b32_e32 v5, 4, v5
	s_delay_alu instid0(VALU_DEP_1) | instskip(NEXT) | instid1(VALU_DEP_1)
	v_dual_sub_nc_u32 v4, v5, v4 :: v_dual_ashrrev_i32 v5, 8, v6
	v_add_nc_u32_e32 v4, 0x3c000000, v4
	s_delay_alu instid0(VALU_DEP_1) | instskip(NEXT) | instid1(VALU_DEP_1)
	v_and_or_b32 v4, 0x7f800000, v5, v4
	v_cndmask_b32_e32 v1, 0, v4, vcc_lo
	s_delay_alu instid0(VALU_DEP_1) | instskip(NEXT) | instid1(VALU_DEP_1)
	v_and_or_b32 v0, 0x80000000, v0, v1
	v_cvt_i32_f32_e32 v0, v0
.LBB110_1579:
	s_mov_b32 s38, 0
.LBB110_1580:
	s_delay_alu instid0(SALU_CYCLE_1)
	s_and_not1_b32 vcc_lo, exec_lo, s38
	s_cbranch_vccnz .LBB110_1582
; %bb.1581:
	s_wait_loadcnt 0x0
	global_load_u8 v0, v[2:3], off
	s_wait_loadcnt 0x0
	v_lshlrev_b32_e32 v1, 25, v0
	v_lshlrev_b16 v0, 8, v0
	s_delay_alu instid0(VALU_DEP_1) | instskip(SKIP_1) | instid1(VALU_DEP_2)
	v_and_or_b32 v5, 0x7f00, v0, 0.5
	v_bfe_i32 v0, v0, 0, 16
	v_add_f32_e32 v5, -0.5, v5
	v_lshrrev_b32_e32 v4, 4, v1
	v_cmp_gt_u32_e32 vcc_lo, 0x8000000, v1
	s_delay_alu instid0(VALU_DEP_2) | instskip(NEXT) | instid1(VALU_DEP_1)
	v_or_b32_e32 v4, 0x70000000, v4
	v_mul_f32_e32 v4, 0x7800000, v4
	s_delay_alu instid0(VALU_DEP_1) | instskip(NEXT) | instid1(VALU_DEP_1)
	v_cndmask_b32_e32 v1, v4, v5, vcc_lo
	v_and_or_b32 v0, 0x80000000, v0, v1
	s_delay_alu instid0(VALU_DEP_1)
	v_cvt_i32_f32_e32 v0, v0
.LBB110_1582:
	s_mov_b32 s38, 0
	s_mov_b32 s39, -1
.LBB110_1583:
	s_and_not1_b32 vcc_lo, exec_lo, s38
	s_mov_b32 s38, 0
	s_cbranch_vccnz .LBB110_1594
; %bb.1584:
	s_cmp_gt_i32 s36, 14
	s_cbranch_scc0 .LBB110_1587
; %bb.1585:
	s_cmp_eq_u32 s36, 15
	s_cbranch_scc0 .LBB110_1590
; %bb.1586:
	s_wait_loadcnt 0x0
	global_load_u16 v0, v[2:3], off
	s_mov_b32 s37, 0
	s_mov_b32 s39, -1
	s_wait_loadcnt 0x0
	v_lshlrev_b32_e32 v0, 16, v0
	s_delay_alu instid0(VALU_DEP_1)
	v_cvt_i32_f32_e32 v0, v0
	s_branch .LBB110_1592
.LBB110_1587:
	s_mov_b32 s38, -1
	s_branch .LBB110_1591
.LBB110_1588:
	s_and_not1_saveexec_b32 s38, s38
	s_cbranch_execz .LBB110_1569
.LBB110_1589:
	v_cmp_ne_u16_e32 vcc_lo, 0, v1
	s_and_not1_b32 s39, s39, exec_lo
	s_and_b32 s40, vcc_lo, exec_lo
	s_delay_alu instid0(SALU_CYCLE_1)
	s_or_b32 s39, s39, s40
	s_or_b32 exec_lo, exec_lo, s38
	v_mov_b32_e32 v0, 0
	s_and_saveexec_b32 s38, s39
	s_cbranch_execnz .LBB110_1570
	s_branch .LBB110_1571
.LBB110_1590:
	s_mov_b32 s37, -1
.LBB110_1591:
                                        ; implicit-def: $vgpr0
.LBB110_1592:
	s_and_b32 vcc_lo, exec_lo, s38
	s_mov_b32 s38, 0
	s_cbranch_vccz .LBB110_1594
; %bb.1593:
	s_cmp_lg_u32 s36, 11
	s_mov_b32 s38, -1
	s_cselect_b32 s36, -1, 0
	s_and_not1_b32 s37, s37, exec_lo
	s_and_b32 s36, s36, exec_lo
	s_delay_alu instid0(SALU_CYCLE_1)
	s_or_b32 s37, s37, s36
.LBB110_1594:
	s_mov_b32 s36, 0
.LBB110_1595:
	s_and_not1_b32 s40, s31, exec_lo
	s_and_b32 s37, s37, exec_lo
	s_and_b32 s41, s39, exec_lo
	;; [unrolled: 1-line block ×4, first 2 shown]
	s_or_b32 s40, s40, s37
.LBB110_1596:
	s_wait_xcnt 0x0
	s_or_b32 exec_lo, exec_lo, s20
	s_delay_alu instid0(SALU_CYCLE_1)
	s_and_not1_b32 s20, s31, exec_lo
	s_and_b32 s31, s40, exec_lo
	s_and_b32 s38, s41, exec_lo
	s_and_b32 s37, s39, exec_lo
	s_and_b32 s36, s36, exec_lo
	s_or_b32 s31, s20, s31
.LBB110_1597:
	s_or_b32 exec_lo, exec_lo, s30
	s_delay_alu instid0(SALU_CYCLE_1)
	s_and_not1_b32 s20, s26, exec_lo
	s_and_b32 s26, s35, exec_lo
	s_and_not1_b32 s28, s28, exec_lo
	s_or_b32 s26, s20, s26
	s_and_not1_b32 s20, s27, exec_lo
	s_and_b32 s27, s34, exec_lo
	s_and_b32 s30, s33, exec_lo
	s_or_b32 s27, s20, s27
	s_and_not1_b32 s20, s25, exec_lo
	s_and_b32 s25, s31, exec_lo
	s_or_b32 s28, s28, s30
	s_and_b32 s34, s38, exec_lo
	s_and_b32 s33, s37, exec_lo
	;; [unrolled: 1-line block ×3, first 2 shown]
	s_or_b32 s25, s20, s25
.LBB110_1598:
	s_or_b32 exec_lo, exec_lo, s29
	s_delay_alu instid0(SALU_CYCLE_1)
	s_and_not1_b32 s19, s19, exec_lo
	s_and_b32 s20, s26, exec_lo
	s_and_not1_b32 s22, s22, exec_lo
	s_or_b32 s19, s19, s20
	s_and_not1_b32 s20, s21, exec_lo
	s_and_b32 s21, s27, exec_lo
	s_and_b32 s26, s28, exec_lo
	s_or_b32 s21, s20, s21
	s_and_not1_b32 s20, s23, exec_lo
	s_and_b32 s23, s25, exec_lo
	s_or_b32 s22, s22, s26
	s_and_b32 s26, s34, exec_lo
	s_and_b32 s27, s33, exec_lo
	;; [unrolled: 1-line block ×3, first 2 shown]
	s_or_b32 s23, s20, s23
	s_or_b32 exec_lo, exec_lo, s24
	s_mov_b32 s20, 0
	s_and_saveexec_b32 s24, s23
	s_cbranch_execz .LBB110_510
.LBB110_1599:
	s_mov_b32 s20, exec_lo
	s_and_not1_b32 s25, s25, exec_lo
	s_trap 2
	s_or_b32 exec_lo, exec_lo, s24
	s_and_saveexec_b32 s23, s25
	s_delay_alu instid0(SALU_CYCLE_1)
	s_xor_b32 s23, exec_lo, s23
	s_cbranch_execnz .LBB110_511
.LBB110_1600:
	s_or_b32 exec_lo, exec_lo, s23
	s_and_saveexec_b32 s23, s27
	s_cbranch_execz .LBB110_1646
.LBB110_1601:
	s_sext_i32_i16 s24, s0
	s_delay_alu instid0(SALU_CYCLE_1)
	s_cmp_lt_i32 s24, 5
	s_cbranch_scc1 .LBB110_1606
; %bb.1602:
	s_cmp_lt_i32 s24, 8
	s_cbranch_scc1 .LBB110_1607
; %bb.1603:
	;; [unrolled: 3-line block ×3, first 2 shown]
	s_cmp_gt_i32 s24, 9
	s_cbranch_scc0 .LBB110_1609
; %bb.1605:
	s_wait_loadcnt 0x0
	global_load_b64 v[0:1], v[2:3], off
	s_mov_b32 s24, 0
	s_wait_loadcnt 0x0
	v_cvt_i32_f64_e32 v0, v[0:1]
	s_branch .LBB110_1610
.LBB110_1606:
                                        ; implicit-def: $vgpr0
	s_branch .LBB110_1627
.LBB110_1607:
                                        ; implicit-def: $vgpr0
	s_branch .LBB110_1616
.LBB110_1608:
	s_mov_b32 s24, -1
                                        ; implicit-def: $vgpr0
	s_branch .LBB110_1613
.LBB110_1609:
	s_mov_b32 s24, -1
                                        ; implicit-def: $vgpr0
.LBB110_1610:
	s_delay_alu instid0(SALU_CYCLE_1)
	s_and_not1_b32 vcc_lo, exec_lo, s24
	s_cbranch_vccnz .LBB110_1612
; %bb.1611:
	s_wait_loadcnt 0x0
	global_load_b32 v0, v[2:3], off
	s_wait_loadcnt 0x0
	v_cvt_i32_f32_e32 v0, v0
.LBB110_1612:
	s_mov_b32 s24, 0
.LBB110_1613:
	s_delay_alu instid0(SALU_CYCLE_1)
	s_and_not1_b32 vcc_lo, exec_lo, s24
	s_cbranch_vccnz .LBB110_1615
; %bb.1614:
	s_wait_loadcnt 0x0
	global_load_b32 v0, v[2:3], off
	s_wait_loadcnt 0x0
	v_cvt_i16_f16_e32 v0, v0
.LBB110_1615:
	s_cbranch_execnz .LBB110_1626
.LBB110_1616:
	s_sext_i32_i16 s24, s0
	s_delay_alu instid0(SALU_CYCLE_1)
	s_cmp_lt_i32 s24, 6
	s_cbranch_scc1 .LBB110_1619
; %bb.1617:
	s_cmp_gt_i32 s24, 6
	s_cbranch_scc0 .LBB110_1620
; %bb.1618:
	s_wait_loadcnt 0x0
	global_load_b64 v[0:1], v[2:3], off
	s_mov_b32 s24, 0
	s_wait_loadcnt 0x0
	v_cvt_i32_f64_e32 v0, v[0:1]
	s_branch .LBB110_1621
.LBB110_1619:
	s_mov_b32 s24, -1
                                        ; implicit-def: $vgpr0
	s_branch .LBB110_1624
.LBB110_1620:
	s_mov_b32 s24, -1
                                        ; implicit-def: $vgpr0
.LBB110_1621:
	s_delay_alu instid0(SALU_CYCLE_1)
	s_and_not1_b32 vcc_lo, exec_lo, s24
	s_cbranch_vccnz .LBB110_1623
; %bb.1622:
	s_wait_loadcnt 0x0
	global_load_b32 v0, v[2:3], off
	s_wait_loadcnt 0x0
	v_cvt_i32_f32_e32 v0, v0
.LBB110_1623:
	s_mov_b32 s24, 0
.LBB110_1624:
	s_delay_alu instid0(SALU_CYCLE_1)
	s_and_not1_b32 vcc_lo, exec_lo, s24
	s_cbranch_vccnz .LBB110_1626
; %bb.1625:
	s_wait_loadcnt 0x0
	global_load_u16 v0, v[2:3], off
	s_wait_loadcnt 0x0
	v_cvt_i16_f16_e32 v0, v0
.LBB110_1626:
	s_cbranch_execnz .LBB110_1645
.LBB110_1627:
	s_sext_i32_i16 s24, s0
	s_delay_alu instid0(SALU_CYCLE_1)
	s_cmp_lt_i32 s24, 2
	s_cbranch_scc1 .LBB110_1631
; %bb.1628:
	s_cmp_lt_i32 s24, 3
	s_cbranch_scc1 .LBB110_1632
; %bb.1629:
	s_cmp_gt_i32 s24, 3
	s_cbranch_scc0 .LBB110_1633
; %bb.1630:
	s_wait_loadcnt 0x0
	global_load_b64 v[0:1], v[2:3], off
	s_mov_b32 s24, 0
	s_branch .LBB110_1634
.LBB110_1631:
                                        ; implicit-def: $vgpr0
	s_branch .LBB110_1640
.LBB110_1632:
	s_mov_b32 s24, -1
                                        ; implicit-def: $vgpr0
	s_branch .LBB110_1637
.LBB110_1633:
	s_mov_b32 s24, -1
                                        ; implicit-def: $vgpr0
.LBB110_1634:
	s_delay_alu instid0(SALU_CYCLE_1)
	s_and_not1_b32 vcc_lo, exec_lo, s24
	s_cbranch_vccnz .LBB110_1636
; %bb.1635:
	s_wait_loadcnt 0x0
	global_load_b32 v0, v[2:3], off
.LBB110_1636:
	s_mov_b32 s24, 0
.LBB110_1637:
	s_delay_alu instid0(SALU_CYCLE_1)
	s_and_not1_b32 vcc_lo, exec_lo, s24
	s_cbranch_vccnz .LBB110_1639
; %bb.1638:
	s_wait_loadcnt 0x0
	global_load_u16 v0, v[2:3], off
.LBB110_1639:
	s_cbranch_execnz .LBB110_1645
.LBB110_1640:
	s_sext_i32_i16 s0, s0
	s_delay_alu instid0(SALU_CYCLE_1)
	s_cmp_gt_i32 s0, 0
	s_mov_b32 s0, 0
	s_cbranch_scc0 .LBB110_1642
; %bb.1641:
	s_wait_loadcnt 0x0
	global_load_u8 v0, v[2:3], off
	s_branch .LBB110_1643
.LBB110_1642:
	s_mov_b32 s0, -1
                                        ; implicit-def: $vgpr0
.LBB110_1643:
	s_delay_alu instid0(SALU_CYCLE_1)
	s_and_not1_b32 vcc_lo, exec_lo, s0
	s_cbranch_vccnz .LBB110_1645
; %bb.1644:
	s_wait_loadcnt 0x0
	global_load_u8 v0, v[2:3], off
.LBB110_1645:
	s_or_b32 s26, s26, exec_lo
.LBB110_1646:
	s_wait_xcnt 0x0
	s_or_b32 exec_lo, exec_lo, s23
	s_mov_b32 s25, 0
	s_mov_b32 s27, 0
	s_mov_b32 s24, 0
                                        ; implicit-def: $sgpr0
                                        ; implicit-def: $vgpr4_vgpr5
                                        ; implicit-def: $vgpr2
	s_and_saveexec_b32 s23, s26
	s_cbranch_execz .LBB110_1654
; %bb.1647:
	s_wait_loadcnt 0x0
	v_mul_lo_u32 v2, v26, s14
	s_and_b32 s0, s3, 0xff
	s_delay_alu instid0(SALU_CYCLE_1) | instskip(NEXT) | instid1(VALU_DEP_1)
	s_cmp_lt_i32 s0, 11
	v_ashrrev_i32_e32 v3, 31, v2
	s_delay_alu instid0(VALU_DEP_1)
	v_add_nc_u64_e32 v[4:5], s[8:9], v[2:3]
	s_cbranch_scc1 .LBB110_1657
; %bb.1648:
	s_and_b32 s24, 0xffff, s0
	s_mov_b32 s26, 0
	s_cmp_gt_i32 s24, 25
	s_cbranch_scc0 .LBB110_1658
; %bb.1649:
	s_cmp_gt_i32 s24, 28
	s_cbranch_scc0 .LBB110_1659
; %bb.1650:
	s_cmp_gt_i32 s24, 43
	s_cbranch_scc0 .LBB110_1660
; %bb.1651:
	s_cmp_gt_i32 s24, 45
	s_cbranch_scc0 .LBB110_1661
; %bb.1652:
	s_cmp_eq_u32 s24, 46
	s_mov_b32 s28, 0
	s_cbranch_scc0 .LBB110_1662
; %bb.1653:
	global_load_b32 v1, v[4:5], off
	s_mov_b32 s27, -1
	s_wait_loadcnt 0x0
	v_lshlrev_b32_e32 v1, 16, v1
	s_delay_alu instid0(VALU_DEP_1)
	v_cvt_i32_f32_e32 v2, v1
	s_branch .LBB110_1664
.LBB110_1654:
	s_or_b32 exec_lo, exec_lo, s23
	s_and_saveexec_b32 s23, s22
	s_cbranch_execnz .LBB110_1723
.LBB110_1655:
	s_or_b32 exec_lo, exec_lo, s23
	s_and_saveexec_b32 s22, s25
	s_delay_alu instid0(SALU_CYCLE_1)
	s_xor_b32 s22, exec_lo, s22
	s_cbranch_execz .LBB110_1724
.LBB110_1656:
	s_wait_loadcnt 0x0
	global_load_u8 v1, v[4:5], off
	s_or_b32 s24, s24, exec_lo
	s_wait_loadcnt 0x0
	v_cmp_ne_u16_e32 vcc_lo, 0, v1
	v_cndmask_b32_e64 v2, 0, 1, vcc_lo
	s_wait_xcnt 0x0
	s_or_b32 exec_lo, exec_lo, s22
	s_and_saveexec_b32 s22, s27
	s_cbranch_execz .LBB110_1770
	s_branch .LBB110_1725
.LBB110_1657:
	s_mov_b32 s28, -1
	s_mov_b32 s26, 0
	s_mov_b32 s25, s22
                                        ; implicit-def: $vgpr2
	s_branch .LBB110_1722
.LBB110_1658:
	s_mov_b32 s25, s22
                                        ; implicit-def: $vgpr2
	s_cbranch_execnz .LBB110_1691
	s_branch .LBB110_1721
.LBB110_1659:
	s_mov_b32 s28, -1
	s_mov_b32 s25, s22
                                        ; implicit-def: $vgpr2
	s_branch .LBB110_1674
.LBB110_1660:
	s_mov_b32 s28, -1
	s_mov_b32 s25, s22
                                        ; implicit-def: $vgpr2
	s_branch .LBB110_1669
.LBB110_1661:
	s_mov_b32 s28, -1
	s_mov_b32 s25, s22
	s_branch .LBB110_1663
.LBB110_1662:
	s_mov_b32 s25, -1
.LBB110_1663:
                                        ; implicit-def: $vgpr2
.LBB110_1664:
	s_and_b32 vcc_lo, exec_lo, s28
	s_cbranch_vccz .LBB110_1668
; %bb.1665:
	s_cmp_eq_u32 s24, 44
	s_cbranch_scc0 .LBB110_1667
; %bb.1666:
	global_load_u8 v1, v[4:5], off
	s_mov_b32 s25, 0
	s_mov_b32 s27, -1
	s_wait_loadcnt 0x0
	v_lshlrev_b32_e32 v2, 23, v1
	v_cmp_ne_u32_e32 vcc_lo, 0, v1
	s_delay_alu instid0(VALU_DEP_2) | instskip(NEXT) | instid1(VALU_DEP_1)
	v_cvt_i32_f32_e32 v2, v2
	v_cndmask_b32_e32 v2, 0, v2, vcc_lo
	s_branch .LBB110_1668
.LBB110_1667:
	s_mov_b32 s25, -1
                                        ; implicit-def: $vgpr2
.LBB110_1668:
	s_mov_b32 s28, 0
.LBB110_1669:
	s_delay_alu instid0(SALU_CYCLE_1)
	s_and_b32 vcc_lo, exec_lo, s28
	s_cbranch_vccz .LBB110_1673
; %bb.1670:
	s_cmp_eq_u32 s24, 29
	s_cbranch_scc0 .LBB110_1672
; %bb.1671:
	global_load_b64 v[2:3], v[4:5], off
	s_mov_b32 s25, 0
	s_mov_b32 s27, -1
	s_branch .LBB110_1673
.LBB110_1672:
	s_mov_b32 s25, -1
                                        ; implicit-def: $vgpr2
.LBB110_1673:
	s_mov_b32 s28, 0
.LBB110_1674:
	s_delay_alu instid0(SALU_CYCLE_1)
	s_and_b32 vcc_lo, exec_lo, s28
	s_cbranch_vccz .LBB110_1690
; %bb.1675:
	s_cmp_lt_i32 s24, 27
	s_cbranch_scc1 .LBB110_1678
; %bb.1676:
	s_cmp_gt_i32 s24, 27
	s_cbranch_scc0 .LBB110_1679
; %bb.1677:
	s_wait_loadcnt 0x0
	global_load_b32 v2, v[4:5], off
	s_mov_b32 s27, 0
	s_branch .LBB110_1680
.LBB110_1678:
	s_mov_b32 s27, -1
                                        ; implicit-def: $vgpr2
	s_branch .LBB110_1683
.LBB110_1679:
	s_mov_b32 s27, -1
                                        ; implicit-def: $vgpr2
.LBB110_1680:
	s_delay_alu instid0(SALU_CYCLE_1)
	s_and_not1_b32 vcc_lo, exec_lo, s27
	s_cbranch_vccnz .LBB110_1682
; %bb.1681:
	s_wait_loadcnt 0x0
	global_load_u16 v2, v[4:5], off
.LBB110_1682:
	s_mov_b32 s27, 0
.LBB110_1683:
	s_delay_alu instid0(SALU_CYCLE_1)
	s_and_not1_b32 vcc_lo, exec_lo, s27
	s_cbranch_vccnz .LBB110_1689
; %bb.1684:
	global_load_u8 v1, v[4:5], off
	s_mov_b32 s28, 0
	s_mov_b32 s27, exec_lo
	s_wait_loadcnt 0x0
	v_cmpx_lt_i16_e32 0x7f, v1
	s_xor_b32 s27, exec_lo, s27
	s_cbranch_execz .LBB110_1700
; %bb.1685:
	v_cmp_ne_u16_e32 vcc_lo, 0x80, v1
	s_and_b32 s28, vcc_lo, exec_lo
	s_and_not1_saveexec_b32 s27, s27
	s_cbranch_execnz .LBB110_1701
.LBB110_1686:
	s_or_b32 exec_lo, exec_lo, s27
	v_mov_b32_e32 v2, 0
	s_and_saveexec_b32 s27, s28
	s_cbranch_execz .LBB110_1688
.LBB110_1687:
	v_and_b32_e32 v2, 0xffff, v1
	s_delay_alu instid0(VALU_DEP_1) | instskip(SKIP_1) | instid1(VALU_DEP_2)
	v_dual_lshlrev_b32 v1, 24, v1 :: v_dual_bitop2_b32 v3, 7, v2 bitop3:0x40
	v_bfe_u32 v8, v2, 3, 4
	v_and_b32_e32 v1, 0x80000000, v1
	s_delay_alu instid0(VALU_DEP_3) | instskip(NEXT) | instid1(VALU_DEP_3)
	v_clz_i32_u32_e32 v6, v3
	v_cmp_eq_u32_e32 vcc_lo, 0, v8
	s_delay_alu instid0(VALU_DEP_2) | instskip(NEXT) | instid1(VALU_DEP_1)
	v_min_u32_e32 v6, 32, v6
	v_subrev_nc_u32_e32 v7, 28, v6
	v_sub_nc_u32_e32 v6, 29, v6
	s_delay_alu instid0(VALU_DEP_2) | instskip(NEXT) | instid1(VALU_DEP_2)
	v_lshlrev_b32_e32 v2, v7, v2
	v_cndmask_b32_e32 v6, v8, v6, vcc_lo
	s_delay_alu instid0(VALU_DEP_2) | instskip(NEXT) | instid1(VALU_DEP_1)
	v_and_b32_e32 v2, 7, v2
	v_cndmask_b32_e32 v2, v3, v2, vcc_lo
	s_delay_alu instid0(VALU_DEP_3) | instskip(NEXT) | instid1(VALU_DEP_2)
	v_lshl_add_u32 v3, v6, 23, 0x3b800000
	v_lshlrev_b32_e32 v2, 20, v2
	s_delay_alu instid0(VALU_DEP_1) | instskip(NEXT) | instid1(VALU_DEP_1)
	v_or3_b32 v1, v1, v3, v2
	v_cvt_i32_f32_e32 v2, v1
.LBB110_1688:
	s_or_b32 exec_lo, exec_lo, s27
.LBB110_1689:
	s_mov_b32 s27, -1
.LBB110_1690:
	s_branch .LBB110_1721
.LBB110_1691:
	s_cmp_gt_i32 s24, 22
	s_cbranch_scc0 .LBB110_1699
; %bb.1692:
	s_cmp_lt_i32 s24, 24
	s_cbranch_scc1 .LBB110_1702
; %bb.1693:
	s_cmp_gt_i32 s24, 24
	s_cbranch_scc0 .LBB110_1703
; %bb.1694:
	global_load_u8 v1, v[4:5], off
	s_mov_b32 s27, 0
	s_mov_b32 s26, exec_lo
	s_wait_loadcnt 0x0
	v_cmpx_lt_i16_e32 0x7f, v1
	s_xor_b32 s26, exec_lo, s26
	s_cbranch_execz .LBB110_1715
; %bb.1695:
	v_cmp_ne_u16_e32 vcc_lo, 0x80, v1
	s_and_b32 s27, vcc_lo, exec_lo
	s_and_not1_saveexec_b32 s26, s26
	s_cbranch_execnz .LBB110_1716
.LBB110_1696:
	s_or_b32 exec_lo, exec_lo, s26
	v_mov_b32_e32 v2, 0
	s_and_saveexec_b32 s26, s27
	s_cbranch_execz .LBB110_1698
.LBB110_1697:
	v_and_b32_e32 v2, 0xffff, v1
	s_delay_alu instid0(VALU_DEP_1) | instskip(SKIP_1) | instid1(VALU_DEP_2)
	v_dual_lshlrev_b32 v1, 24, v1 :: v_dual_bitop2_b32 v3, 3, v2 bitop3:0x40
	v_bfe_u32 v8, v2, 2, 5
	v_and_b32_e32 v1, 0x80000000, v1
	s_delay_alu instid0(VALU_DEP_3) | instskip(NEXT) | instid1(VALU_DEP_3)
	v_clz_i32_u32_e32 v6, v3
	v_cmp_eq_u32_e32 vcc_lo, 0, v8
	s_delay_alu instid0(VALU_DEP_2) | instskip(NEXT) | instid1(VALU_DEP_1)
	v_min_u32_e32 v6, 32, v6
	v_subrev_nc_u32_e32 v7, 29, v6
	v_sub_nc_u32_e32 v6, 30, v6
	s_delay_alu instid0(VALU_DEP_2) | instskip(NEXT) | instid1(VALU_DEP_2)
	v_lshlrev_b32_e32 v2, v7, v2
	v_cndmask_b32_e32 v6, v8, v6, vcc_lo
	s_delay_alu instid0(VALU_DEP_2) | instskip(NEXT) | instid1(VALU_DEP_1)
	v_and_b32_e32 v2, 3, v2
	v_cndmask_b32_e32 v2, v3, v2, vcc_lo
	s_delay_alu instid0(VALU_DEP_3) | instskip(NEXT) | instid1(VALU_DEP_2)
	v_lshl_add_u32 v3, v6, 23, 0x37800000
	v_lshlrev_b32_e32 v2, 21, v2
	s_delay_alu instid0(VALU_DEP_1) | instskip(NEXT) | instid1(VALU_DEP_1)
	v_or3_b32 v1, v1, v3, v2
	v_cvt_i32_f32_e32 v2, v1
.LBB110_1698:
	s_or_b32 exec_lo, exec_lo, s26
	s_mov_b32 s26, 0
	s_branch .LBB110_1704
.LBB110_1699:
	s_mov_b32 s26, -1
                                        ; implicit-def: $vgpr2
	s_branch .LBB110_1710
.LBB110_1700:
	s_and_not1_saveexec_b32 s27, s27
	s_cbranch_execz .LBB110_1686
.LBB110_1701:
	v_cmp_ne_u16_e32 vcc_lo, 0, v1
	s_and_not1_b32 s28, s28, exec_lo
	s_and_b32 s29, vcc_lo, exec_lo
	s_delay_alu instid0(SALU_CYCLE_1)
	s_or_b32 s28, s28, s29
	s_or_b32 exec_lo, exec_lo, s27
	v_mov_b32_e32 v2, 0
	s_and_saveexec_b32 s27, s28
	s_cbranch_execnz .LBB110_1687
	s_branch .LBB110_1688
.LBB110_1702:
	s_mov_b32 s26, -1
                                        ; implicit-def: $vgpr2
	s_branch .LBB110_1707
.LBB110_1703:
	s_mov_b32 s26, -1
                                        ; implicit-def: $vgpr2
.LBB110_1704:
	s_delay_alu instid0(SALU_CYCLE_1)
	s_and_b32 vcc_lo, exec_lo, s26
	s_cbranch_vccz .LBB110_1706
; %bb.1705:
	global_load_u8 v1, v[4:5], off
	s_wait_loadcnt 0x0
	v_lshlrev_b32_e32 v1, 24, v1
	s_delay_alu instid0(VALU_DEP_1) | instskip(NEXT) | instid1(VALU_DEP_1)
	v_and_b32_e32 v2, 0x7f000000, v1
	v_clz_i32_u32_e32 v3, v2
	v_cmp_ne_u32_e32 vcc_lo, 0, v2
	v_add_nc_u32_e32 v7, 0x1000000, v2
	s_delay_alu instid0(VALU_DEP_3) | instskip(NEXT) | instid1(VALU_DEP_1)
	v_min_u32_e32 v3, 32, v3
	v_sub_nc_u32_e64 v3, v3, 4 clamp
	s_delay_alu instid0(VALU_DEP_1) | instskip(NEXT) | instid1(VALU_DEP_1)
	v_dual_lshlrev_b32 v6, v3, v2 :: v_dual_lshlrev_b32 v3, 23, v3
	v_lshrrev_b32_e32 v6, 4, v6
	s_delay_alu instid0(VALU_DEP_1) | instskip(SKIP_1) | instid1(VALU_DEP_2)
	v_sub_nc_u32_e32 v3, v6, v3
	v_ashrrev_i32_e32 v6, 8, v7
	v_add_nc_u32_e32 v3, 0x3c000000, v3
	s_delay_alu instid0(VALU_DEP_1) | instskip(NEXT) | instid1(VALU_DEP_1)
	v_and_or_b32 v3, 0x7f800000, v6, v3
	v_cndmask_b32_e32 v2, 0, v3, vcc_lo
	s_delay_alu instid0(VALU_DEP_1) | instskip(NEXT) | instid1(VALU_DEP_1)
	v_and_or_b32 v1, 0x80000000, v1, v2
	v_cvt_i32_f32_e32 v2, v1
.LBB110_1706:
	s_mov_b32 s26, 0
.LBB110_1707:
	s_delay_alu instid0(SALU_CYCLE_1)
	s_and_not1_b32 vcc_lo, exec_lo, s26
	s_cbranch_vccnz .LBB110_1709
; %bb.1708:
	global_load_u8 v1, v[4:5], off
	s_wait_loadcnt 0x0
	v_lshlrev_b32_e32 v2, 25, v1
	v_lshlrev_b16 v1, 8, v1
	s_delay_alu instid0(VALU_DEP_1) | instskip(SKIP_1) | instid1(VALU_DEP_2)
	v_and_or_b32 v6, 0x7f00, v1, 0.5
	v_bfe_i32 v1, v1, 0, 16
	v_add_f32_e32 v6, -0.5, v6
	v_lshrrev_b32_e32 v3, 4, v2
	v_cmp_gt_u32_e32 vcc_lo, 0x8000000, v2
	s_delay_alu instid0(VALU_DEP_2) | instskip(NEXT) | instid1(VALU_DEP_1)
	v_or_b32_e32 v3, 0x70000000, v3
	v_mul_f32_e32 v3, 0x7800000, v3
	s_delay_alu instid0(VALU_DEP_1) | instskip(NEXT) | instid1(VALU_DEP_1)
	v_cndmask_b32_e32 v2, v3, v6, vcc_lo
	v_and_or_b32 v1, 0x80000000, v1, v2
	s_delay_alu instid0(VALU_DEP_1)
	v_cvt_i32_f32_e32 v2, v1
.LBB110_1709:
	s_mov_b32 s26, 0
	s_mov_b32 s27, -1
.LBB110_1710:
	s_and_not1_b32 vcc_lo, exec_lo, s26
	s_mov_b32 s26, 0
	s_cbranch_vccnz .LBB110_1721
; %bb.1711:
	s_cmp_gt_i32 s24, 14
	s_cbranch_scc0 .LBB110_1714
; %bb.1712:
	s_cmp_eq_u32 s24, 15
	s_cbranch_scc0 .LBB110_1717
; %bb.1713:
	global_load_u16 v1, v[4:5], off
	s_mov_b32 s25, 0
	s_mov_b32 s27, -1
	s_wait_loadcnt 0x0
	v_lshlrev_b32_e32 v1, 16, v1
	s_delay_alu instid0(VALU_DEP_1)
	v_cvt_i32_f32_e32 v2, v1
	s_branch .LBB110_1719
.LBB110_1714:
	s_mov_b32 s26, -1
	s_branch .LBB110_1718
.LBB110_1715:
	s_and_not1_saveexec_b32 s26, s26
	s_cbranch_execz .LBB110_1696
.LBB110_1716:
	v_cmp_ne_u16_e32 vcc_lo, 0, v1
	s_and_not1_b32 s27, s27, exec_lo
	s_and_b32 s28, vcc_lo, exec_lo
	s_delay_alu instid0(SALU_CYCLE_1)
	s_or_b32 s27, s27, s28
	s_or_b32 exec_lo, exec_lo, s26
	v_mov_b32_e32 v2, 0
	s_and_saveexec_b32 s26, s27
	s_cbranch_execnz .LBB110_1697
	s_branch .LBB110_1698
.LBB110_1717:
	s_mov_b32 s25, -1
.LBB110_1718:
                                        ; implicit-def: $vgpr2
.LBB110_1719:
	s_and_b32 vcc_lo, exec_lo, s26
	s_mov_b32 s26, 0
	s_cbranch_vccz .LBB110_1721
; %bb.1720:
	s_cmp_lg_u32 s24, 11
	s_mov_b32 s26, -1
	s_cselect_b32 s24, -1, 0
	s_and_not1_b32 s25, s25, exec_lo
	s_and_b32 s24, s24, exec_lo
	s_delay_alu instid0(SALU_CYCLE_1)
	s_or_b32 s25, s25, s24
.LBB110_1721:
	s_mov_b32 s28, 0
.LBB110_1722:
	s_and_b32 s24, s27, exec_lo
	s_and_b32 s27, s28, exec_lo
	s_and_not1_b32 s22, s22, exec_lo
	s_and_b32 s28, s25, exec_lo
	s_and_b32 s25, s26, exec_lo
	s_or_b32 s22, s22, s28
	s_wait_xcnt 0x0
	s_or_b32 exec_lo, exec_lo, s23
	s_and_saveexec_b32 s23, s22
	s_cbranch_execz .LBB110_1655
.LBB110_1723:
	s_or_b32 s20, s20, exec_lo
	s_and_not1_b32 s25, s25, exec_lo
	s_trap 2
	s_or_b32 exec_lo, exec_lo, s23
	s_and_saveexec_b32 s22, s25
	s_delay_alu instid0(SALU_CYCLE_1)
	s_xor_b32 s22, exec_lo, s22
	s_cbranch_execnz .LBB110_1656
.LBB110_1724:
	s_or_b32 exec_lo, exec_lo, s22
	s_and_saveexec_b32 s22, s27
	s_cbranch_execz .LBB110_1770
.LBB110_1725:
	s_sext_i32_i16 s23, s0
	s_delay_alu instid0(SALU_CYCLE_1)
	s_cmp_lt_i32 s23, 5
	s_cbranch_scc1 .LBB110_1730
; %bb.1726:
	s_cmp_lt_i32 s23, 8
	s_cbranch_scc1 .LBB110_1731
; %bb.1727:
	;; [unrolled: 3-line block ×3, first 2 shown]
	s_cmp_gt_i32 s23, 9
	s_cbranch_scc0 .LBB110_1733
; %bb.1729:
	s_wait_loadcnt 0x0
	global_load_b64 v[2:3], v[4:5], off
	s_mov_b32 s23, 0
	s_wait_loadcnt 0x0
	v_cvt_i32_f64_e32 v2, v[2:3]
	s_branch .LBB110_1734
.LBB110_1730:
                                        ; implicit-def: $vgpr2
	s_branch .LBB110_1751
.LBB110_1731:
                                        ; implicit-def: $vgpr2
	s_branch .LBB110_1740
.LBB110_1732:
	s_mov_b32 s23, -1
                                        ; implicit-def: $vgpr2
	s_branch .LBB110_1737
.LBB110_1733:
	s_mov_b32 s23, -1
                                        ; implicit-def: $vgpr2
.LBB110_1734:
	s_delay_alu instid0(SALU_CYCLE_1)
	s_and_not1_b32 vcc_lo, exec_lo, s23
	s_cbranch_vccnz .LBB110_1736
; %bb.1735:
	s_wait_loadcnt 0x0
	global_load_b32 v1, v[4:5], off
	s_wait_loadcnt 0x0
	v_cvt_i32_f32_e32 v2, v1
.LBB110_1736:
	s_mov_b32 s23, 0
.LBB110_1737:
	s_delay_alu instid0(SALU_CYCLE_1)
	s_and_not1_b32 vcc_lo, exec_lo, s23
	s_cbranch_vccnz .LBB110_1739
; %bb.1738:
	s_wait_loadcnt 0x0
	global_load_b32 v1, v[4:5], off
	s_wait_loadcnt 0x0
	v_cvt_i16_f16_e32 v2, v1
.LBB110_1739:
	s_cbranch_execnz .LBB110_1750
.LBB110_1740:
	s_sext_i32_i16 s23, s0
	s_delay_alu instid0(SALU_CYCLE_1)
	s_cmp_lt_i32 s23, 6
	s_cbranch_scc1 .LBB110_1743
; %bb.1741:
	s_cmp_gt_i32 s23, 6
	s_cbranch_scc0 .LBB110_1744
; %bb.1742:
	s_wait_loadcnt 0x0
	global_load_b64 v[2:3], v[4:5], off
	s_mov_b32 s23, 0
	s_wait_loadcnt 0x0
	v_cvt_i32_f64_e32 v2, v[2:3]
	s_branch .LBB110_1745
.LBB110_1743:
	s_mov_b32 s23, -1
                                        ; implicit-def: $vgpr2
	s_branch .LBB110_1748
.LBB110_1744:
	s_mov_b32 s23, -1
                                        ; implicit-def: $vgpr2
.LBB110_1745:
	s_delay_alu instid0(SALU_CYCLE_1)
	s_and_not1_b32 vcc_lo, exec_lo, s23
	s_cbranch_vccnz .LBB110_1747
; %bb.1746:
	s_wait_loadcnt 0x0
	global_load_b32 v1, v[4:5], off
	s_wait_loadcnt 0x0
	v_cvt_i32_f32_e32 v2, v1
.LBB110_1747:
	s_mov_b32 s23, 0
.LBB110_1748:
	s_delay_alu instid0(SALU_CYCLE_1)
	s_and_not1_b32 vcc_lo, exec_lo, s23
	s_cbranch_vccnz .LBB110_1750
; %bb.1749:
	s_wait_loadcnt 0x0
	global_load_u16 v1, v[4:5], off
	s_wait_loadcnt 0x0
	v_cvt_i16_f16_e32 v2, v1
.LBB110_1750:
	s_cbranch_execnz .LBB110_1769
.LBB110_1751:
	s_sext_i32_i16 s23, s0
	s_delay_alu instid0(SALU_CYCLE_1)
	s_cmp_lt_i32 s23, 2
	s_cbranch_scc1 .LBB110_1755
; %bb.1752:
	s_cmp_lt_i32 s23, 3
	s_cbranch_scc1 .LBB110_1756
; %bb.1753:
	s_cmp_gt_i32 s23, 3
	s_cbranch_scc0 .LBB110_1757
; %bb.1754:
	s_wait_loadcnt 0x0
	global_load_b64 v[2:3], v[4:5], off
	s_mov_b32 s23, 0
	s_branch .LBB110_1758
.LBB110_1755:
                                        ; implicit-def: $vgpr2
	s_branch .LBB110_1764
.LBB110_1756:
	s_mov_b32 s23, -1
                                        ; implicit-def: $vgpr2
	s_branch .LBB110_1761
.LBB110_1757:
	s_mov_b32 s23, -1
                                        ; implicit-def: $vgpr2
.LBB110_1758:
	s_delay_alu instid0(SALU_CYCLE_1)
	s_and_not1_b32 vcc_lo, exec_lo, s23
	s_cbranch_vccnz .LBB110_1760
; %bb.1759:
	s_wait_loadcnt 0x0
	global_load_b32 v2, v[4:5], off
.LBB110_1760:
	s_mov_b32 s23, 0
.LBB110_1761:
	s_delay_alu instid0(SALU_CYCLE_1)
	s_and_not1_b32 vcc_lo, exec_lo, s23
	s_cbranch_vccnz .LBB110_1763
; %bb.1762:
	s_wait_loadcnt 0x0
	global_load_u16 v2, v[4:5], off
.LBB110_1763:
	s_cbranch_execnz .LBB110_1769
.LBB110_1764:
	s_sext_i32_i16 s0, s0
	s_delay_alu instid0(SALU_CYCLE_1)
	s_cmp_gt_i32 s0, 0
	s_mov_b32 s0, 0
	s_cbranch_scc0 .LBB110_1766
; %bb.1765:
	s_wait_loadcnt 0x0
	global_load_u8 v2, v[4:5], off
	s_branch .LBB110_1767
.LBB110_1766:
	s_mov_b32 s0, -1
                                        ; implicit-def: $vgpr2
.LBB110_1767:
	s_delay_alu instid0(SALU_CYCLE_1)
	s_and_not1_b32 vcc_lo, exec_lo, s0
	s_cbranch_vccnz .LBB110_1769
; %bb.1768:
	s_wait_loadcnt 0x0
	global_load_u8 v2, v[4:5], off
.LBB110_1769:
	s_or_b32 s24, s24, exec_lo
.LBB110_1770:
	s_wait_xcnt 0x0
	s_or_b32 exec_lo, exec_lo, s22
	s_mov_b32 s23, 0
	s_mov_b32 s22, 0
	;; [unrolled: 1-line block ×3, first 2 shown]
                                        ; implicit-def: $vgpr4_vgpr5
                                        ; implicit-def: $vgpr6
	s_and_saveexec_b32 s0, s24
	s_cbranch_execz .LBB110_1778
; %bb.1771:
	v_mul_lo_u32 v4, v26, s15
	s_and_b32 s22, 0xffff, s1
	s_delay_alu instid0(SALU_CYCLE_1) | instskip(NEXT) | instid1(VALU_DEP_1)
	s_cmp_lt_i32 s22, 11
	v_ashrrev_i32_e32 v5, 31, v4
	s_delay_alu instid0(VALU_DEP_1)
	v_add_nc_u64_e32 v[4:5], s[10:11], v[4:5]
	s_cbranch_scc1 .LBB110_1781
; %bb.1772:
	s_cmp_gt_i32 s22, 25
	s_mov_b32 s24, 0
	s_cbranch_scc0 .LBB110_1782
; %bb.1773:
	s_cmp_gt_i32 s22, 28
	s_cbranch_scc0 .LBB110_1783
; %bb.1774:
	s_cmp_gt_i32 s22, 43
	;; [unrolled: 3-line block ×3, first 2 shown]
	s_cbranch_scc0 .LBB110_1785
; %bb.1776:
	s_cmp_eq_u32 s22, 46
	s_mov_b32 s26, 0
	s_cbranch_scc0 .LBB110_1786
; %bb.1777:
	s_wait_loadcnt 0x0
	global_load_b32 v1, v[4:5], off
	s_mov_b32 s25, -1
	s_wait_loadcnt 0x0
	v_lshlrev_b32_e32 v1, 16, v1
	s_delay_alu instid0(VALU_DEP_1)
	v_cvt_i32_f32_e32 v6, v1
	s_branch .LBB110_1788
.LBB110_1778:
	s_or_b32 exec_lo, exec_lo, s0
	s_and_saveexec_b32 s0, s21
	s_cbranch_execnz .LBB110_1847
.LBB110_1779:
	s_or_b32 exec_lo, exec_lo, s0
	s_and_saveexec_b32 s0, s23
	s_delay_alu instid0(SALU_CYCLE_1)
	s_xor_b32 s0, exec_lo, s0
	s_cbranch_execz .LBB110_1848
.LBB110_1780:
	s_wait_loadcnt 0x0
	global_load_u8 v1, v[4:5], off
	s_or_b32 s25, s25, exec_lo
	s_wait_loadcnt 0x0
	v_cmp_ne_u16_e32 vcc_lo, 0, v1
	v_cndmask_b32_e64 v6, 0, 1, vcc_lo
	s_wait_xcnt 0x0
	s_or_b32 exec_lo, exec_lo, s0
	s_and_saveexec_b32 s0, s22
	s_cbranch_execz .LBB110_1894
	s_branch .LBB110_1849
.LBB110_1781:
	s_mov_b32 s22, -1
	s_mov_b32 s24, 0
	s_mov_b32 s23, s21
                                        ; implicit-def: $vgpr6
	s_branch .LBB110_1846
.LBB110_1782:
	s_mov_b32 s23, s21
                                        ; implicit-def: $vgpr6
	s_cbranch_execnz .LBB110_1815
	s_branch .LBB110_1845
.LBB110_1783:
	s_mov_b32 s26, -1
	s_mov_b32 s23, s21
                                        ; implicit-def: $vgpr6
	s_branch .LBB110_1798
.LBB110_1784:
	s_mov_b32 s26, -1
	s_mov_b32 s23, s21
                                        ; implicit-def: $vgpr6
	s_branch .LBB110_1793
.LBB110_1785:
	s_mov_b32 s26, -1
	s_mov_b32 s23, s21
	s_branch .LBB110_1787
.LBB110_1786:
	s_mov_b32 s23, -1
.LBB110_1787:
                                        ; implicit-def: $vgpr6
.LBB110_1788:
	s_and_b32 vcc_lo, exec_lo, s26
	s_cbranch_vccz .LBB110_1792
; %bb.1789:
	s_cmp_eq_u32 s22, 44
	s_cbranch_scc0 .LBB110_1791
; %bb.1790:
	s_wait_loadcnt 0x0
	global_load_u8 v1, v[4:5], off
	s_mov_b32 s23, 0
	s_mov_b32 s25, -1
	s_wait_loadcnt 0x0
	v_lshlrev_b32_e32 v3, 23, v1
	v_cmp_ne_u32_e32 vcc_lo, 0, v1
	s_delay_alu instid0(VALU_DEP_2) | instskip(NEXT) | instid1(VALU_DEP_1)
	v_cvt_i32_f32_e32 v3, v3
	v_cndmask_b32_e32 v6, 0, v3, vcc_lo
	s_branch .LBB110_1792
.LBB110_1791:
	s_mov_b32 s23, -1
                                        ; implicit-def: $vgpr6
.LBB110_1792:
	s_mov_b32 s26, 0
.LBB110_1793:
	s_delay_alu instid0(SALU_CYCLE_1)
	s_and_b32 vcc_lo, exec_lo, s26
	s_cbranch_vccz .LBB110_1797
; %bb.1794:
	s_cmp_eq_u32 s22, 29
	s_cbranch_scc0 .LBB110_1796
; %bb.1795:
	s_wait_loadcnt 0x0
	global_load_b64 v[6:7], v[4:5], off
	s_mov_b32 s23, 0
	s_mov_b32 s25, -1
	s_branch .LBB110_1797
.LBB110_1796:
	s_mov_b32 s23, -1
                                        ; implicit-def: $vgpr6
.LBB110_1797:
	s_mov_b32 s26, 0
.LBB110_1798:
	s_delay_alu instid0(SALU_CYCLE_1)
	s_and_b32 vcc_lo, exec_lo, s26
	s_cbranch_vccz .LBB110_1814
; %bb.1799:
	s_cmp_lt_i32 s22, 27
	s_cbranch_scc1 .LBB110_1802
; %bb.1800:
	s_cmp_gt_i32 s22, 27
	s_cbranch_scc0 .LBB110_1803
; %bb.1801:
	s_wait_loadcnt 0x0
	global_load_b32 v6, v[4:5], off
	s_mov_b32 s25, 0
	s_branch .LBB110_1804
.LBB110_1802:
	s_mov_b32 s25, -1
                                        ; implicit-def: $vgpr6
	s_branch .LBB110_1807
.LBB110_1803:
	s_mov_b32 s25, -1
                                        ; implicit-def: $vgpr6
.LBB110_1804:
	s_delay_alu instid0(SALU_CYCLE_1)
	s_and_not1_b32 vcc_lo, exec_lo, s25
	s_cbranch_vccnz .LBB110_1806
; %bb.1805:
	s_wait_loadcnt 0x0
	global_load_u16 v6, v[4:5], off
.LBB110_1806:
	s_mov_b32 s25, 0
.LBB110_1807:
	s_delay_alu instid0(SALU_CYCLE_1)
	s_and_not1_b32 vcc_lo, exec_lo, s25
	s_cbranch_vccnz .LBB110_1813
; %bb.1808:
	s_wait_loadcnt 0x0
	global_load_u8 v1, v[4:5], off
	s_mov_b32 s26, 0
	s_mov_b32 s25, exec_lo
	s_wait_loadcnt 0x0
	v_cmpx_lt_i16_e32 0x7f, v1
	s_xor_b32 s25, exec_lo, s25
	s_cbranch_execz .LBB110_1824
; %bb.1809:
	v_cmp_ne_u16_e32 vcc_lo, 0x80, v1
	s_and_b32 s26, vcc_lo, exec_lo
	s_and_not1_saveexec_b32 s25, s25
	s_cbranch_execnz .LBB110_1825
.LBB110_1810:
	s_or_b32 exec_lo, exec_lo, s25
	v_mov_b32_e32 v6, 0
	s_and_saveexec_b32 s25, s26
	s_cbranch_execz .LBB110_1812
.LBB110_1811:
	v_and_b32_e32 v3, 0xffff, v1
	s_delay_alu instid0(VALU_DEP_1) | instskip(SKIP_1) | instid1(VALU_DEP_2)
	v_dual_lshlrev_b32 v1, 24, v1 :: v_dual_bitop2_b32 v6, 7, v3 bitop3:0x40
	v_bfe_u32 v9, v3, 3, 4
	v_and_b32_e32 v1, 0x80000000, v1
	s_delay_alu instid0(VALU_DEP_3) | instskip(NEXT) | instid1(VALU_DEP_3)
	v_clz_i32_u32_e32 v7, v6
	v_cmp_eq_u32_e32 vcc_lo, 0, v9
	s_delay_alu instid0(VALU_DEP_2) | instskip(NEXT) | instid1(VALU_DEP_1)
	v_min_u32_e32 v7, 32, v7
	v_subrev_nc_u32_e32 v8, 28, v7
	v_sub_nc_u32_e32 v7, 29, v7
	s_delay_alu instid0(VALU_DEP_2) | instskip(NEXT) | instid1(VALU_DEP_2)
	v_lshlrev_b32_e32 v3, v8, v3
	v_cndmask_b32_e32 v7, v9, v7, vcc_lo
	s_delay_alu instid0(VALU_DEP_2) | instskip(NEXT) | instid1(VALU_DEP_1)
	v_and_b32_e32 v3, 7, v3
	v_cndmask_b32_e32 v3, v6, v3, vcc_lo
	s_delay_alu instid0(VALU_DEP_3) | instskip(NEXT) | instid1(VALU_DEP_2)
	v_lshl_add_u32 v6, v7, 23, 0x3b800000
	v_lshlrev_b32_e32 v3, 20, v3
	s_delay_alu instid0(VALU_DEP_1) | instskip(NEXT) | instid1(VALU_DEP_1)
	v_or3_b32 v1, v1, v6, v3
	v_cvt_i32_f32_e32 v6, v1
.LBB110_1812:
	s_or_b32 exec_lo, exec_lo, s25
.LBB110_1813:
	s_mov_b32 s25, -1
.LBB110_1814:
	s_branch .LBB110_1845
.LBB110_1815:
	s_cmp_gt_i32 s22, 22
	s_cbranch_scc0 .LBB110_1823
; %bb.1816:
	s_cmp_lt_i32 s22, 24
	s_cbranch_scc1 .LBB110_1826
; %bb.1817:
	s_cmp_gt_i32 s22, 24
	s_cbranch_scc0 .LBB110_1827
; %bb.1818:
	s_wait_loadcnt 0x0
	global_load_u8 v1, v[4:5], off
	s_mov_b32 s25, 0
	s_mov_b32 s24, exec_lo
	s_wait_loadcnt 0x0
	v_cmpx_lt_i16_e32 0x7f, v1
	s_xor_b32 s24, exec_lo, s24
	s_cbranch_execz .LBB110_1839
; %bb.1819:
	v_cmp_ne_u16_e32 vcc_lo, 0x80, v1
	s_and_b32 s25, vcc_lo, exec_lo
	s_and_not1_saveexec_b32 s24, s24
	s_cbranch_execnz .LBB110_1840
.LBB110_1820:
	s_or_b32 exec_lo, exec_lo, s24
	v_mov_b32_e32 v6, 0
	s_and_saveexec_b32 s24, s25
	s_cbranch_execz .LBB110_1822
.LBB110_1821:
	v_and_b32_e32 v3, 0xffff, v1
	s_delay_alu instid0(VALU_DEP_1) | instskip(SKIP_1) | instid1(VALU_DEP_2)
	v_dual_lshlrev_b32 v1, 24, v1 :: v_dual_bitop2_b32 v6, 3, v3 bitop3:0x40
	v_bfe_u32 v9, v3, 2, 5
	v_and_b32_e32 v1, 0x80000000, v1
	s_delay_alu instid0(VALU_DEP_3) | instskip(NEXT) | instid1(VALU_DEP_3)
	v_clz_i32_u32_e32 v7, v6
	v_cmp_eq_u32_e32 vcc_lo, 0, v9
	s_delay_alu instid0(VALU_DEP_2) | instskip(NEXT) | instid1(VALU_DEP_1)
	v_min_u32_e32 v7, 32, v7
	v_subrev_nc_u32_e32 v8, 29, v7
	v_sub_nc_u32_e32 v7, 30, v7
	s_delay_alu instid0(VALU_DEP_2) | instskip(NEXT) | instid1(VALU_DEP_2)
	v_lshlrev_b32_e32 v3, v8, v3
	v_cndmask_b32_e32 v7, v9, v7, vcc_lo
	s_delay_alu instid0(VALU_DEP_2) | instskip(NEXT) | instid1(VALU_DEP_1)
	v_and_b32_e32 v3, 3, v3
	v_cndmask_b32_e32 v3, v6, v3, vcc_lo
	s_delay_alu instid0(VALU_DEP_3) | instskip(NEXT) | instid1(VALU_DEP_2)
	v_lshl_add_u32 v6, v7, 23, 0x37800000
	v_lshlrev_b32_e32 v3, 21, v3
	s_delay_alu instid0(VALU_DEP_1) | instskip(NEXT) | instid1(VALU_DEP_1)
	v_or3_b32 v1, v1, v6, v3
	v_cvt_i32_f32_e32 v6, v1
.LBB110_1822:
	s_or_b32 exec_lo, exec_lo, s24
	s_mov_b32 s24, 0
	s_branch .LBB110_1828
.LBB110_1823:
	s_mov_b32 s24, -1
                                        ; implicit-def: $vgpr6
	s_branch .LBB110_1834
.LBB110_1824:
	s_and_not1_saveexec_b32 s25, s25
	s_cbranch_execz .LBB110_1810
.LBB110_1825:
	v_cmp_ne_u16_e32 vcc_lo, 0, v1
	s_and_not1_b32 s26, s26, exec_lo
	s_and_b32 s27, vcc_lo, exec_lo
	s_delay_alu instid0(SALU_CYCLE_1)
	s_or_b32 s26, s26, s27
	s_or_b32 exec_lo, exec_lo, s25
	v_mov_b32_e32 v6, 0
	s_and_saveexec_b32 s25, s26
	s_cbranch_execnz .LBB110_1811
	s_branch .LBB110_1812
.LBB110_1826:
	s_mov_b32 s24, -1
                                        ; implicit-def: $vgpr6
	s_branch .LBB110_1831
.LBB110_1827:
	s_mov_b32 s24, -1
                                        ; implicit-def: $vgpr6
.LBB110_1828:
	s_delay_alu instid0(SALU_CYCLE_1)
	s_and_b32 vcc_lo, exec_lo, s24
	s_cbranch_vccz .LBB110_1830
; %bb.1829:
	s_wait_loadcnt 0x0
	global_load_u8 v1, v[4:5], off
	s_wait_loadcnt 0x0
	v_lshlrev_b32_e32 v1, 24, v1
	s_delay_alu instid0(VALU_DEP_1) | instskip(NEXT) | instid1(VALU_DEP_1)
	v_and_b32_e32 v3, 0x7f000000, v1
	v_clz_i32_u32_e32 v6, v3
	v_cmp_ne_u32_e32 vcc_lo, 0, v3
	v_add_nc_u32_e32 v8, 0x1000000, v3
	s_delay_alu instid0(VALU_DEP_3) | instskip(NEXT) | instid1(VALU_DEP_1)
	v_min_u32_e32 v6, 32, v6
	v_sub_nc_u32_e64 v6, v6, 4 clamp
	s_delay_alu instid0(VALU_DEP_1) | instskip(NEXT) | instid1(VALU_DEP_1)
	v_dual_lshlrev_b32 v7, v6, v3 :: v_dual_lshlrev_b32 v6, 23, v6
	v_lshrrev_b32_e32 v7, 4, v7
	s_delay_alu instid0(VALU_DEP_1) | instskip(NEXT) | instid1(VALU_DEP_1)
	v_dual_sub_nc_u32 v6, v7, v6 :: v_dual_ashrrev_i32 v7, 8, v8
	v_add_nc_u32_e32 v6, 0x3c000000, v6
	s_delay_alu instid0(VALU_DEP_1) | instskip(NEXT) | instid1(VALU_DEP_1)
	v_and_or_b32 v6, 0x7f800000, v7, v6
	v_cndmask_b32_e32 v3, 0, v6, vcc_lo
	s_delay_alu instid0(VALU_DEP_1) | instskip(NEXT) | instid1(VALU_DEP_1)
	v_and_or_b32 v1, 0x80000000, v1, v3
	v_cvt_i32_f32_e32 v6, v1
.LBB110_1830:
	s_mov_b32 s24, 0
.LBB110_1831:
	s_delay_alu instid0(SALU_CYCLE_1)
	s_and_not1_b32 vcc_lo, exec_lo, s24
	s_cbranch_vccnz .LBB110_1833
; %bb.1832:
	s_wait_loadcnt 0x0
	global_load_u8 v1, v[4:5], off
	s_wait_loadcnt 0x0
	v_lshlrev_b32_e32 v3, 25, v1
	v_lshlrev_b16 v1, 8, v1
	s_delay_alu instid0(VALU_DEP_1) | instskip(SKIP_1) | instid1(VALU_DEP_2)
	v_and_or_b32 v7, 0x7f00, v1, 0.5
	v_bfe_i32 v1, v1, 0, 16
	v_add_f32_e32 v7, -0.5, v7
	v_lshrrev_b32_e32 v6, 4, v3
	v_cmp_gt_u32_e32 vcc_lo, 0x8000000, v3
	s_delay_alu instid0(VALU_DEP_2) | instskip(NEXT) | instid1(VALU_DEP_1)
	v_or_b32_e32 v6, 0x70000000, v6
	v_mul_f32_e32 v6, 0x7800000, v6
	s_delay_alu instid0(VALU_DEP_1) | instskip(NEXT) | instid1(VALU_DEP_1)
	v_cndmask_b32_e32 v3, v6, v7, vcc_lo
	v_and_or_b32 v1, 0x80000000, v1, v3
	s_delay_alu instid0(VALU_DEP_1)
	v_cvt_i32_f32_e32 v6, v1
.LBB110_1833:
	s_mov_b32 s24, 0
	s_mov_b32 s25, -1
.LBB110_1834:
	s_and_not1_b32 vcc_lo, exec_lo, s24
	s_mov_b32 s24, 0
	s_cbranch_vccnz .LBB110_1845
; %bb.1835:
	s_cmp_gt_i32 s22, 14
	s_cbranch_scc0 .LBB110_1838
; %bb.1836:
	s_cmp_eq_u32 s22, 15
	s_cbranch_scc0 .LBB110_1841
; %bb.1837:
	s_wait_loadcnt 0x0
	global_load_u16 v1, v[4:5], off
	s_mov_b32 s23, 0
	s_mov_b32 s25, -1
	s_wait_loadcnt 0x0
	v_lshlrev_b32_e32 v1, 16, v1
	s_delay_alu instid0(VALU_DEP_1)
	v_cvt_i32_f32_e32 v6, v1
	s_branch .LBB110_1843
.LBB110_1838:
	s_mov_b32 s24, -1
	s_branch .LBB110_1842
.LBB110_1839:
	s_and_not1_saveexec_b32 s24, s24
	s_cbranch_execz .LBB110_1820
.LBB110_1840:
	v_cmp_ne_u16_e32 vcc_lo, 0, v1
	s_and_not1_b32 s25, s25, exec_lo
	s_and_b32 s26, vcc_lo, exec_lo
	s_delay_alu instid0(SALU_CYCLE_1)
	s_or_b32 s25, s25, s26
	s_or_b32 exec_lo, exec_lo, s24
	v_mov_b32_e32 v6, 0
	s_and_saveexec_b32 s24, s25
	s_cbranch_execnz .LBB110_1821
	s_branch .LBB110_1822
.LBB110_1841:
	s_mov_b32 s23, -1
.LBB110_1842:
                                        ; implicit-def: $vgpr6
.LBB110_1843:
	s_and_b32 vcc_lo, exec_lo, s24
	s_mov_b32 s24, 0
	s_cbranch_vccz .LBB110_1845
; %bb.1844:
	s_cmp_lg_u32 s22, 11
	s_mov_b32 s24, -1
	s_cselect_b32 s22, -1, 0
	s_and_not1_b32 s23, s23, exec_lo
	s_and_b32 s22, s22, exec_lo
	s_delay_alu instid0(SALU_CYCLE_1)
	s_or_b32 s23, s23, s22
.LBB110_1845:
	s_mov_b32 s22, 0
.LBB110_1846:
	s_and_not1_b32 s21, s21, exec_lo
	s_and_b32 s26, s23, exec_lo
	s_and_b32 s25, s25, exec_lo
	;; [unrolled: 1-line block ×4, first 2 shown]
	s_or_b32 s21, s21, s26
	s_wait_xcnt 0x0
	s_or_b32 exec_lo, exec_lo, s0
	s_and_saveexec_b32 s0, s21
	s_cbranch_execz .LBB110_1779
.LBB110_1847:
	s_or_b32 s20, s20, exec_lo
	s_and_not1_b32 s23, s23, exec_lo
	s_trap 2
	s_or_b32 exec_lo, exec_lo, s0
	s_and_saveexec_b32 s0, s23
	s_delay_alu instid0(SALU_CYCLE_1)
	s_xor_b32 s0, exec_lo, s0
	s_cbranch_execnz .LBB110_1780
.LBB110_1848:
	s_or_b32 exec_lo, exec_lo, s0
	s_and_saveexec_b32 s0, s22
	s_cbranch_execz .LBB110_1894
.LBB110_1849:
	s_sext_i32_i16 s21, s1
	s_delay_alu instid0(SALU_CYCLE_1)
	s_cmp_lt_i32 s21, 5
	s_cbranch_scc1 .LBB110_1854
; %bb.1850:
	s_cmp_lt_i32 s21, 8
	s_cbranch_scc1 .LBB110_1855
; %bb.1851:
	;; [unrolled: 3-line block ×3, first 2 shown]
	s_cmp_gt_i32 s21, 9
	s_cbranch_scc0 .LBB110_1857
; %bb.1853:
	s_wait_loadcnt 0x0
	global_load_b64 v[6:7], v[4:5], off
	s_mov_b32 s21, 0
	s_wait_loadcnt 0x0
	v_cvt_i32_f64_e32 v6, v[6:7]
	s_branch .LBB110_1858
.LBB110_1854:
                                        ; implicit-def: $vgpr6
	s_branch .LBB110_1875
.LBB110_1855:
                                        ; implicit-def: $vgpr6
	s_branch .LBB110_1864
.LBB110_1856:
	s_mov_b32 s21, -1
                                        ; implicit-def: $vgpr6
	s_branch .LBB110_1861
.LBB110_1857:
	s_mov_b32 s21, -1
                                        ; implicit-def: $vgpr6
.LBB110_1858:
	s_delay_alu instid0(SALU_CYCLE_1)
	s_and_not1_b32 vcc_lo, exec_lo, s21
	s_cbranch_vccnz .LBB110_1860
; %bb.1859:
	s_wait_loadcnt 0x0
	global_load_b32 v1, v[4:5], off
	s_wait_loadcnt 0x0
	v_cvt_i32_f32_e32 v6, v1
.LBB110_1860:
	s_mov_b32 s21, 0
.LBB110_1861:
	s_delay_alu instid0(SALU_CYCLE_1)
	s_and_not1_b32 vcc_lo, exec_lo, s21
	s_cbranch_vccnz .LBB110_1863
; %bb.1862:
	s_wait_loadcnt 0x0
	global_load_b32 v1, v[4:5], off
	s_wait_loadcnt 0x0
	v_cvt_i16_f16_e32 v6, v1
.LBB110_1863:
	s_cbranch_execnz .LBB110_1874
.LBB110_1864:
	s_sext_i32_i16 s21, s1
	s_delay_alu instid0(SALU_CYCLE_1)
	s_cmp_lt_i32 s21, 6
	s_cbranch_scc1 .LBB110_1867
; %bb.1865:
	s_cmp_gt_i32 s21, 6
	s_cbranch_scc0 .LBB110_1868
; %bb.1866:
	s_wait_loadcnt 0x0
	global_load_b64 v[6:7], v[4:5], off
	s_mov_b32 s21, 0
	s_wait_loadcnt 0x0
	v_cvt_i32_f64_e32 v6, v[6:7]
	s_branch .LBB110_1869
.LBB110_1867:
	s_mov_b32 s21, -1
                                        ; implicit-def: $vgpr6
	s_branch .LBB110_1872
.LBB110_1868:
	s_mov_b32 s21, -1
                                        ; implicit-def: $vgpr6
.LBB110_1869:
	s_delay_alu instid0(SALU_CYCLE_1)
	s_and_not1_b32 vcc_lo, exec_lo, s21
	s_cbranch_vccnz .LBB110_1871
; %bb.1870:
	s_wait_loadcnt 0x0
	global_load_b32 v1, v[4:5], off
	s_wait_loadcnt 0x0
	v_cvt_i32_f32_e32 v6, v1
.LBB110_1871:
	s_mov_b32 s21, 0
.LBB110_1872:
	s_delay_alu instid0(SALU_CYCLE_1)
	s_and_not1_b32 vcc_lo, exec_lo, s21
	s_cbranch_vccnz .LBB110_1874
; %bb.1873:
	s_wait_loadcnt 0x0
	global_load_u16 v1, v[4:5], off
	s_wait_loadcnt 0x0
	v_cvt_i16_f16_e32 v6, v1
.LBB110_1874:
	s_cbranch_execnz .LBB110_1893
.LBB110_1875:
	s_sext_i32_i16 s21, s1
	s_delay_alu instid0(SALU_CYCLE_1)
	s_cmp_lt_i32 s21, 2
	s_cbranch_scc1 .LBB110_1879
; %bb.1876:
	s_cmp_lt_i32 s21, 3
	s_cbranch_scc1 .LBB110_1880
; %bb.1877:
	s_cmp_gt_i32 s21, 3
	s_cbranch_scc0 .LBB110_1881
; %bb.1878:
	s_wait_loadcnt 0x0
	global_load_b64 v[6:7], v[4:5], off
	s_mov_b32 s21, 0
	s_branch .LBB110_1882
.LBB110_1879:
                                        ; implicit-def: $vgpr6
	s_branch .LBB110_1888
.LBB110_1880:
	s_mov_b32 s21, -1
                                        ; implicit-def: $vgpr6
	s_branch .LBB110_1885
.LBB110_1881:
	s_mov_b32 s21, -1
                                        ; implicit-def: $vgpr6
.LBB110_1882:
	s_delay_alu instid0(SALU_CYCLE_1)
	s_and_not1_b32 vcc_lo, exec_lo, s21
	s_cbranch_vccnz .LBB110_1884
; %bb.1883:
	s_wait_loadcnt 0x0
	global_load_b32 v6, v[4:5], off
.LBB110_1884:
	s_mov_b32 s21, 0
.LBB110_1885:
	s_delay_alu instid0(SALU_CYCLE_1)
	s_and_not1_b32 vcc_lo, exec_lo, s21
	s_cbranch_vccnz .LBB110_1887
; %bb.1886:
	s_wait_loadcnt 0x0
	global_load_u16 v6, v[4:5], off
.LBB110_1887:
	s_cbranch_execnz .LBB110_1893
.LBB110_1888:
	s_sext_i32_i16 s21, s1
	s_delay_alu instid0(SALU_CYCLE_1)
	s_cmp_gt_i32 s21, 0
	s_mov_b32 s21, 0
	s_cbranch_scc0 .LBB110_1890
; %bb.1889:
	s_wait_loadcnt 0x0
	global_load_u8 v6, v[4:5], off
	s_branch .LBB110_1891
.LBB110_1890:
	s_mov_b32 s21, -1
                                        ; implicit-def: $vgpr6
.LBB110_1891:
	s_delay_alu instid0(SALU_CYCLE_1)
	s_and_not1_b32 vcc_lo, exec_lo, s21
	s_cbranch_vccnz .LBB110_1893
; %bb.1892:
	s_wait_loadcnt 0x0
	global_load_u8 v6, v[4:5], off
.LBB110_1893:
	s_or_b32 s25, s25, exec_lo
.LBB110_1894:
	s_wait_xcnt 0x0
	s_or_b32 exec_lo, exec_lo, s0
	s_mov_b32 s0, 0
	s_mov_b32 s23, 0
                                        ; implicit-def: $sgpr21
                                        ; implicit-def: $vgpr4_vgpr5
                                        ; implicit-def: $vgpr1
	s_and_saveexec_b32 s22, s25
	s_cbranch_execz .LBB110_1902
; %bb.1895:
	v_mul_lo_u32 v4, v26, s12
	s_wait_loadcnt 0x0
	v_bfe_i32 v1, v2, 0, 8
	v_bfe_i32 v0, v0, 0, 8
	s_and_b32 s21, s2, 0xff
	s_delay_alu instid0(SALU_CYCLE_1) | instskip(NEXT) | instid1(VALU_DEP_1)
	s_cmp_lt_i32 s21, 11
	v_max_i16 v0, v0, v1
	v_bfe_i32 v1, v6, 0, 8
	v_ashrrev_i32_e32 v5, 31, v4
	s_delay_alu instid0(VALU_DEP_2) | instskip(NEXT) | instid1(VALU_DEP_2)
	v_min_i16 v1, v0, v1
	v_add_nc_u64_e32 v[4:5], s[4:5], v[4:5]
	s_cbranch_scc1 .LBB110_1905
; %bb.1896:
	s_and_b32 s23, 0xffff, s21
	s_mov_b32 s24, -1
	s_cmp_gt_i32 s23, 25
	s_mov_b32 s0, s19
	s_cbranch_scc0 .LBB110_1933
; %bb.1897:
	s_cmp_gt_i32 s23, 28
	s_mov_b32 s0, s19
	s_cbranch_scc0 .LBB110_1917
; %bb.1898:
	;; [unrolled: 4-line block ×4, first 2 shown]
	s_cmp_eq_u32 s23, 46
	s_mov_b32 s0, -1
	s_cbranch_scc0 .LBB110_1906
; %bb.1901:
	v_bfe_i32 v0, v1, 0, 16
	s_mov_b32 s0, 0
	s_mov_b32 s24, 0
	s_delay_alu instid0(VALU_DEP_1) | instskip(NEXT) | instid1(VALU_DEP_1)
	v_cvt_f32_i32_e32 v0, v0
	v_bfe_u32 v2, v0, 16, 1
	s_delay_alu instid0(VALU_DEP_1) | instskip(NEXT) | instid1(VALU_DEP_1)
	v_add3_u32 v0, v0, v2, 0x7fff
	v_lshrrev_b32_e32 v0, 16, v0
	global_store_b32 v[4:5], v0, off
	s_branch .LBB110_1907
.LBB110_1902:
	s_or_b32 exec_lo, exec_lo, s22
	s_and_saveexec_b32 s22, s19
	s_cbranch_execnz .LBB110_1975
.LBB110_1903:
	s_or_b32 exec_lo, exec_lo, s22
	s_and_saveexec_b32 s19, s0
	s_delay_alu instid0(SALU_CYCLE_1)
	s_xor_b32 s0, exec_lo, s19
	s_cbranch_execz .LBB110_1976
.LBB110_1904:
	s_wait_loadcnt 0x0
	v_and_b32_e32 v0, 0xff, v1
	s_delay_alu instid0(VALU_DEP_1)
	v_cmp_ne_u16_e32 vcc_lo, 0, v0
	v_cndmask_b32_e64 v0, 0, 1, vcc_lo
	global_store_b8 v[4:5], v0, off
	s_wait_xcnt 0x0
	s_or_b32 exec_lo, exec_lo, s0
	s_and_saveexec_b32 s0, s23
	s_delay_alu instid0(SALU_CYCLE_1)
	s_xor_b32 s0, exec_lo, s0
	s_cbranch_execz .LBB110_2014
	s_branch .LBB110_1977
.LBB110_1905:
	s_mov_b32 s25, 0
	s_mov_b32 s24, -1
	s_mov_b32 s0, s19
	s_branch .LBB110_1974
.LBB110_1906:
	s_mov_b32 s24, 0
.LBB110_1907:
	s_delay_alu instid0(SALU_CYCLE_1)
	s_and_b32 vcc_lo, exec_lo, s24
	s_cbranch_vccz .LBB110_1912
; %bb.1908:
	s_cmp_eq_u32 s23, 44
	s_mov_b32 s0, -1
	s_cbranch_scc0 .LBB110_1912
; %bb.1909:
	s_wait_xcnt 0x0
	v_bfe_i32 v0, v1, 0, 16
	v_mov_b32_e32 v2, 0xff
	s_mov_b32 s24, exec_lo
	s_delay_alu instid0(VALU_DEP_2) | instskip(NEXT) | instid1(VALU_DEP_1)
	v_cvt_f32_i32_e32 v0, v0
	v_bfe_u32 v3, v0, 23, 8
	s_delay_alu instid0(VALU_DEP_1)
	v_cmpx_ne_u32_e32 0xff, v3
	s_cbranch_execz .LBB110_1911
; %bb.1910:
	v_and_b32_e32 v2, 0x400000, v0
	v_and_or_b32 v3, 0x3fffff, v0, v3
	v_lshrrev_b32_e32 v0, 23, v0
	s_delay_alu instid0(VALU_DEP_3) | instskip(NEXT) | instid1(VALU_DEP_3)
	v_cmp_ne_u32_e32 vcc_lo, 0, v2
	v_cmp_ne_u32_e64 s0, 0, v3
	s_and_b32 s0, vcc_lo, s0
	s_delay_alu instid0(SALU_CYCLE_1) | instskip(NEXT) | instid1(VALU_DEP_1)
	v_cndmask_b32_e64 v2, 0, 1, s0
	v_add_nc_u32_e32 v2, v0, v2
.LBB110_1911:
	s_or_b32 exec_lo, exec_lo, s24
	s_mov_b32 s0, 0
	global_store_b8 v[4:5], v2, off
.LBB110_1912:
	s_mov_b32 s24, 0
.LBB110_1913:
	s_delay_alu instid0(SALU_CYCLE_1)
	s_and_b32 vcc_lo, exec_lo, s24
	s_cbranch_vccz .LBB110_1916
; %bb.1914:
	s_cmp_eq_u32 s23, 29
	s_mov_b32 s0, -1
	s_cbranch_scc0 .LBB110_1916
; %bb.1915:
	s_wait_xcnt 0x0
	v_bfe_i32 v2, v1, 0, 16
	s_mov_b32 s0, 0
	s_mov_b32 s24, 0
	s_delay_alu instid0(VALU_DEP_1)
	v_ashrrev_i32_e32 v3, 31, v2
	global_store_b64 v[4:5], v[2:3], off
	s_branch .LBB110_1917
.LBB110_1916:
	s_mov_b32 s24, 0
.LBB110_1917:
	s_delay_alu instid0(SALU_CYCLE_1)
	s_and_b32 vcc_lo, exec_lo, s24
	s_cbranch_vccz .LBB110_1932
; %bb.1918:
	s_cmp_lt_i32 s23, 27
	s_mov_b32 s24, -1
	s_cbranch_scc1 .LBB110_1924
; %bb.1919:
	s_cmp_gt_i32 s23, 27
	s_cbranch_scc0 .LBB110_1921
; %bb.1920:
	s_wait_xcnt 0x0
	v_bfe_i32 v0, v1, 0, 16
	s_mov_b32 s24, 0
	global_store_b32 v[4:5], v0, off
.LBB110_1921:
	s_and_not1_b32 vcc_lo, exec_lo, s24
	s_cbranch_vccnz .LBB110_1923
; %bb.1922:
	global_store_b16 v[4:5], v1, off
.LBB110_1923:
	s_mov_b32 s24, 0
.LBB110_1924:
	s_delay_alu instid0(SALU_CYCLE_1)
	s_and_not1_b32 vcc_lo, exec_lo, s24
	s_cbranch_vccnz .LBB110_1932
; %bb.1925:
	s_wait_xcnt 0x0
	v_bfe_i32 v0, v1, 0, 16
	v_mov_b32_e32 v3, 0x80
	s_mov_b32 s24, exec_lo
	s_delay_alu instid0(VALU_DEP_2) | instskip(NEXT) | instid1(VALU_DEP_1)
	v_cvt_f32_i32_e32 v0, v0
	v_and_b32_e32 v2, 0x7fffffff, v0
	s_delay_alu instid0(VALU_DEP_1)
	v_cmpx_gt_u32_e32 0x43800000, v2
	s_cbranch_execz .LBB110_1931
; %bb.1926:
	v_cmp_lt_u32_e32 vcc_lo, 0x3bffffff, v2
	s_mov_b32 s25, 0
                                        ; implicit-def: $vgpr2
	s_and_saveexec_b32 s26, vcc_lo
	s_delay_alu instid0(SALU_CYCLE_1)
	s_xor_b32 s26, exec_lo, s26
	s_cbranch_execz .LBB110_2029
; %bb.1927:
	v_bfe_u32 v2, v0, 20, 1
	s_mov_b32 s25, exec_lo
	s_delay_alu instid0(VALU_DEP_1) | instskip(NEXT) | instid1(VALU_DEP_1)
	v_add3_u32 v2, v0, v2, 0x487ffff
	v_lshrrev_b32_e32 v2, 20, v2
	s_and_not1_saveexec_b32 s26, s26
	s_cbranch_execnz .LBB110_2030
.LBB110_1928:
	s_or_b32 exec_lo, exec_lo, s26
	v_mov_b32_e32 v3, 0
	s_and_saveexec_b32 s26, s25
.LBB110_1929:
	v_lshrrev_b32_e32 v0, 24, v0
	s_delay_alu instid0(VALU_DEP_1)
	v_and_or_b32 v3, 0x80, v0, v2
.LBB110_1930:
	s_or_b32 exec_lo, exec_lo, s26
.LBB110_1931:
	s_delay_alu instid0(SALU_CYCLE_1)
	s_or_b32 exec_lo, exec_lo, s24
	global_store_b8 v[4:5], v3, off
.LBB110_1932:
	s_mov_b32 s24, 0
.LBB110_1933:
	s_delay_alu instid0(SALU_CYCLE_1)
	s_and_b32 vcc_lo, exec_lo, s24
	s_mov_b32 s24, 0
	s_cbranch_vccz .LBB110_1973
; %bb.1934:
	s_cmp_gt_i32 s23, 22
	s_mov_b32 s25, -1
	s_cbranch_scc0 .LBB110_1966
; %bb.1935:
	s_cmp_lt_i32 s23, 24
	s_cbranch_scc1 .LBB110_1955
; %bb.1936:
	s_cmp_gt_i32 s23, 24
	s_cbranch_scc0 .LBB110_1944
; %bb.1937:
	s_wait_xcnt 0x0
	v_bfe_i32 v0, v1, 0, 16
	v_mov_b32_e32 v3, 0x80
	s_mov_b32 s25, exec_lo
	s_delay_alu instid0(VALU_DEP_2) | instskip(NEXT) | instid1(VALU_DEP_1)
	v_cvt_f32_i32_e32 v0, v0
	v_and_b32_e32 v2, 0x7fffffff, v0
	s_delay_alu instid0(VALU_DEP_1)
	v_cmpx_gt_u32_e32 0x47800000, v2
	s_cbranch_execz .LBB110_1943
; %bb.1938:
	v_cmp_lt_u32_e32 vcc_lo, 0x37ffffff, v2
	s_mov_b32 s26, 0
                                        ; implicit-def: $vgpr2
	s_and_saveexec_b32 s27, vcc_lo
	s_delay_alu instid0(SALU_CYCLE_1)
	s_xor_b32 s27, exec_lo, s27
	s_cbranch_execz .LBB110_2150
; %bb.1939:
	v_bfe_u32 v2, v0, 21, 1
	s_mov_b32 s26, exec_lo
	s_delay_alu instid0(VALU_DEP_1) | instskip(NEXT) | instid1(VALU_DEP_1)
	v_add3_u32 v2, v0, v2, 0x88fffff
	v_lshrrev_b32_e32 v2, 21, v2
	s_and_not1_saveexec_b32 s27, s27
	s_cbranch_execnz .LBB110_2151
.LBB110_1940:
	s_or_b32 exec_lo, exec_lo, s27
	v_mov_b32_e32 v3, 0
	s_and_saveexec_b32 s27, s26
.LBB110_1941:
	v_lshrrev_b32_e32 v0, 24, v0
	s_delay_alu instid0(VALU_DEP_1)
	v_and_or_b32 v3, 0x80, v0, v2
.LBB110_1942:
	s_or_b32 exec_lo, exec_lo, s27
.LBB110_1943:
	s_delay_alu instid0(SALU_CYCLE_1)
	s_or_b32 exec_lo, exec_lo, s25
	s_mov_b32 s25, 0
	global_store_b8 v[4:5], v3, off
.LBB110_1944:
	s_and_b32 vcc_lo, exec_lo, s25
	s_cbranch_vccz .LBB110_1954
; %bb.1945:
	s_wait_xcnt 0x0
	v_bfe_i32 v0, v1, 0, 16
	s_mov_b32 s25, exec_lo
                                        ; implicit-def: $vgpr2
	s_delay_alu instid0(VALU_DEP_1) | instskip(NEXT) | instid1(VALU_DEP_1)
	v_cvt_f32_i32_e32 v0, v0
	v_and_b32_e32 v3, 0x7fffffff, v0
	s_delay_alu instid0(VALU_DEP_1)
	v_cmpx_gt_u32_e32 0x43f00000, v3
	s_xor_b32 s25, exec_lo, s25
	s_cbranch_execz .LBB110_1951
; %bb.1946:
	s_mov_b32 s26, exec_lo
                                        ; implicit-def: $vgpr2
	v_cmpx_lt_u32_e32 0x3c7fffff, v3
	s_xor_b32 s26, exec_lo, s26
; %bb.1947:
	v_bfe_u32 v2, v0, 20, 1
	s_delay_alu instid0(VALU_DEP_1) | instskip(NEXT) | instid1(VALU_DEP_1)
	v_add3_u32 v2, v0, v2, 0x407ffff
	v_and_b32_e32 v3, 0xff00000, v2
	v_lshrrev_b32_e32 v2, 20, v2
	s_delay_alu instid0(VALU_DEP_2) | instskip(NEXT) | instid1(VALU_DEP_2)
	v_cmp_ne_u32_e32 vcc_lo, 0x7f00000, v3
	v_cndmask_b32_e32 v2, 0x7e, v2, vcc_lo
; %bb.1948:
	s_and_not1_saveexec_b32 s26, s26
; %bb.1949:
	v_add_f32_e64 v2, 0x46800000, |v0|
; %bb.1950:
	s_or_b32 exec_lo, exec_lo, s26
                                        ; implicit-def: $vgpr3
.LBB110_1951:
	s_and_not1_saveexec_b32 s25, s25
; %bb.1952:
	v_mov_b32_e32 v2, 0x7f
	v_cmp_lt_u32_e32 vcc_lo, 0x7f800000, v3
	s_delay_alu instid0(VALU_DEP_2)
	v_cndmask_b32_e32 v2, 0x7e, v2, vcc_lo
; %bb.1953:
	s_or_b32 exec_lo, exec_lo, s25
	v_lshrrev_b32_e32 v0, 24, v0
	s_delay_alu instid0(VALU_DEP_1)
	v_and_or_b32 v0, 0x80, v0, v2
	global_store_b8 v[4:5], v0, off
.LBB110_1954:
	s_mov_b32 s25, 0
.LBB110_1955:
	s_delay_alu instid0(SALU_CYCLE_1)
	s_and_not1_b32 vcc_lo, exec_lo, s25
	s_cbranch_vccnz .LBB110_1965
; %bb.1956:
	s_wait_xcnt 0x0
	v_bfe_i32 v0, v1, 0, 16
	s_mov_b32 s25, exec_lo
                                        ; implicit-def: $vgpr2
	s_delay_alu instid0(VALU_DEP_1) | instskip(NEXT) | instid1(VALU_DEP_1)
	v_cvt_f32_i32_e32 v0, v0
	v_and_b32_e32 v3, 0x7fffffff, v0
	s_delay_alu instid0(VALU_DEP_1)
	v_cmpx_gt_u32_e32 0x47800000, v3
	s_xor_b32 s25, exec_lo, s25
	s_cbranch_execz .LBB110_1962
; %bb.1957:
	s_mov_b32 s26, exec_lo
                                        ; implicit-def: $vgpr2
	v_cmpx_lt_u32_e32 0x387fffff, v3
	s_xor_b32 s26, exec_lo, s26
; %bb.1958:
	v_bfe_u32 v2, v0, 21, 1
	s_delay_alu instid0(VALU_DEP_1) | instskip(NEXT) | instid1(VALU_DEP_1)
	v_add3_u32 v2, v0, v2, 0x80fffff
	v_lshrrev_b32_e32 v2, 21, v2
; %bb.1959:
	s_and_not1_saveexec_b32 s26, s26
; %bb.1960:
	v_add_f32_e64 v2, 0x43000000, |v0|
; %bb.1961:
	s_or_b32 exec_lo, exec_lo, s26
                                        ; implicit-def: $vgpr3
.LBB110_1962:
	s_and_not1_saveexec_b32 s25, s25
; %bb.1963:
	v_mov_b32_e32 v2, 0x7f
	v_cmp_lt_u32_e32 vcc_lo, 0x7f800000, v3
	s_delay_alu instid0(VALU_DEP_2)
	v_cndmask_b32_e32 v2, 0x7c, v2, vcc_lo
; %bb.1964:
	s_or_b32 exec_lo, exec_lo, s25
	v_lshrrev_b32_e32 v0, 24, v0
	s_delay_alu instid0(VALU_DEP_1)
	v_and_or_b32 v0, 0x80, v0, v2
	global_store_b8 v[4:5], v0, off
.LBB110_1965:
	s_mov_b32 s25, 0
.LBB110_1966:
	s_delay_alu instid0(SALU_CYCLE_1)
	s_and_not1_b32 vcc_lo, exec_lo, s25
	s_mov_b32 s25, 0
	s_cbranch_vccnz .LBB110_1974
; %bb.1967:
	s_cmp_gt_i32 s23, 14
	s_mov_b32 s25, -1
	s_cbranch_scc0 .LBB110_1971
; %bb.1968:
	s_cmp_eq_u32 s23, 15
	s_mov_b32 s0, -1
	s_cbranch_scc0 .LBB110_1970
; %bb.1969:
	s_wait_xcnt 0x0
	v_bfe_i32 v0, v1, 0, 16
	s_mov_b32 s0, 0
	s_delay_alu instid0(VALU_DEP_1) | instskip(NEXT) | instid1(VALU_DEP_1)
	v_cvt_f32_i32_e32 v0, v0
	v_bfe_u32 v2, v0, 16, 1
	s_delay_alu instid0(VALU_DEP_1)
	v_add3_u32 v0, v0, v2, 0x7fff
	global_store_d16_hi_b16 v[4:5], v0, off
.LBB110_1970:
	s_mov_b32 s25, 0
.LBB110_1971:
	s_delay_alu instid0(SALU_CYCLE_1)
	s_and_b32 vcc_lo, exec_lo, s25
	s_mov_b32 s25, 0
	s_cbranch_vccz .LBB110_1974
; %bb.1972:
	s_cmp_lg_u32 s23, 11
	s_mov_b32 s25, -1
	s_cselect_b32 s23, -1, 0
	s_and_not1_b32 s0, s0, exec_lo
	s_and_b32 s23, s23, exec_lo
	s_delay_alu instid0(SALU_CYCLE_1)
	s_or_b32 s0, s0, s23
	s_branch .LBB110_1974
.LBB110_1973:
	s_mov_b32 s25, 0
.LBB110_1974:
	s_and_b32 s23, s24, exec_lo
	s_and_not1_b32 s19, s19, exec_lo
	s_and_b32 s24, s0, exec_lo
	s_and_b32 s0, s25, exec_lo
	s_or_b32 s19, s19, s24
	s_wait_xcnt 0x0
	s_or_b32 exec_lo, exec_lo, s22
	s_and_saveexec_b32 s22, s19
	s_cbranch_execz .LBB110_1903
.LBB110_1975:
	s_or_b32 s20, s20, exec_lo
	s_and_not1_b32 s0, s0, exec_lo
	s_trap 2
	s_or_b32 exec_lo, exec_lo, s22
	s_and_saveexec_b32 s19, s0
	s_delay_alu instid0(SALU_CYCLE_1)
	s_xor_b32 s0, exec_lo, s19
	s_cbranch_execnz .LBB110_1904
.LBB110_1976:
	s_or_b32 exec_lo, exec_lo, s0
	s_and_saveexec_b32 s0, s23
	s_delay_alu instid0(SALU_CYCLE_1)
	s_xor_b32 s0, exec_lo, s0
	s_cbranch_execz .LBB110_2014
.LBB110_1977:
	s_sext_i32_i16 s22, s21
	s_mov_b32 s19, -1
	s_cmp_lt_i32 s22, 5
	s_cbranch_scc1 .LBB110_1998
; %bb.1978:
	s_cmp_lt_i32 s22, 8
	s_cbranch_scc1 .LBB110_1988
; %bb.1979:
	;; [unrolled: 3-line block ×3, first 2 shown]
	s_cmp_gt_i32 s22, 9
	s_cbranch_scc0 .LBB110_1982
; %bb.1981:
	s_wait_loadcnt 0x0
	v_bfe_i32 v0, v1, 0, 8
	v_mov_b32_e32 v8, 0
	s_mov_b32 s19, 0
	s_delay_alu instid0(VALU_DEP_2) | instskip(NEXT) | instid1(VALU_DEP_2)
	v_bfe_i32 v0, v0, 0, 16
	v_mov_b32_e32 v9, v8
	s_delay_alu instid0(VALU_DEP_2)
	v_cvt_f64_i32_e32 v[6:7], v0
	global_store_b128 v[4:5], v[6:9], off
.LBB110_1982:
	s_and_not1_b32 vcc_lo, exec_lo, s19
	s_cbranch_vccnz .LBB110_1984
; %bb.1983:
	s_wait_loadcnt 0x0
	v_bfe_i32 v0, v1, 0, 8
	v_mov_b32_e32 v3, 0
	s_delay_alu instid0(VALU_DEP_2) | instskip(NEXT) | instid1(VALU_DEP_1)
	v_bfe_i32 v0, v0, 0, 16
	v_cvt_f32_i32_e32 v2, v0
	global_store_b64 v[4:5], v[2:3], off
.LBB110_1984:
	s_mov_b32 s19, 0
.LBB110_1985:
	s_delay_alu instid0(SALU_CYCLE_1)
	s_and_not1_b32 vcc_lo, exec_lo, s19
	s_cbranch_vccnz .LBB110_1987
; %bb.1986:
	s_wait_loadcnt 0x0
	v_bfe_i32 v0, v1, 0, 8
	s_delay_alu instid0(VALU_DEP_1) | instskip(NEXT) | instid1(VALU_DEP_1)
	v_cvt_f16_i16_e32 v0, v0
	v_and_b32_e32 v0, 0xffff, v0
	global_store_b32 v[4:5], v0, off
.LBB110_1987:
	s_mov_b32 s19, 0
.LBB110_1988:
	s_delay_alu instid0(SALU_CYCLE_1)
	s_and_not1_b32 vcc_lo, exec_lo, s19
	s_cbranch_vccnz .LBB110_1997
; %bb.1989:
	s_sext_i32_i16 s22, s21
	s_mov_b32 s19, -1
	s_cmp_lt_i32 s22, 6
	s_cbranch_scc1 .LBB110_1995
; %bb.1990:
	s_cmp_gt_i32 s22, 6
	s_cbranch_scc0 .LBB110_1992
; %bb.1991:
	s_wait_loadcnt 0x0
	v_bfe_i32 v0, v1, 0, 8
	s_mov_b32 s19, 0
	s_delay_alu instid0(VALU_DEP_1) | instskip(NEXT) | instid1(VALU_DEP_1)
	v_bfe_i32 v0, v0, 0, 16
	v_cvt_f64_i32_e32 v[2:3], v0
	global_store_b64 v[4:5], v[2:3], off
.LBB110_1992:
	s_and_not1_b32 vcc_lo, exec_lo, s19
	s_cbranch_vccnz .LBB110_1994
; %bb.1993:
	s_wait_loadcnt 0x0
	v_bfe_i32 v0, v1, 0, 8
	s_delay_alu instid0(VALU_DEP_1) | instskip(NEXT) | instid1(VALU_DEP_1)
	v_bfe_i32 v0, v0, 0, 16
	v_cvt_f32_i32_e32 v0, v0
	global_store_b32 v[4:5], v0, off
.LBB110_1994:
	s_mov_b32 s19, 0
.LBB110_1995:
	s_delay_alu instid0(SALU_CYCLE_1)
	s_and_not1_b32 vcc_lo, exec_lo, s19
	s_cbranch_vccnz .LBB110_1997
; %bb.1996:
	s_wait_loadcnt 0x0
	v_bfe_i32 v0, v1, 0, 8
	s_delay_alu instid0(VALU_DEP_1)
	v_cvt_f16_i16_e32 v0, v0
	global_store_b16 v[4:5], v0, off
.LBB110_1997:
	s_mov_b32 s19, 0
.LBB110_1998:
	s_delay_alu instid0(SALU_CYCLE_1)
	s_and_not1_b32 vcc_lo, exec_lo, s19
	s_cbranch_vccnz .LBB110_2014
; %bb.1999:
	s_sext_i32_i16 s22, s21
	s_mov_b32 s19, -1
	s_cmp_lt_i32 s22, 2
	s_cbranch_scc1 .LBB110_2009
; %bb.2000:
	s_cmp_lt_i32 s22, 3
	s_cbranch_scc1 .LBB110_2006
; %bb.2001:
	s_cmp_gt_i32 s22, 3
	s_cbranch_scc0 .LBB110_2003
; %bb.2002:
	s_wait_loadcnt 0x0
	v_bfe_i32 v2, v1, 0, 8
	s_mov_b32 s19, 0
	s_delay_alu instid0(VALU_DEP_1)
	v_ashrrev_i32_e32 v3, 31, v2
	global_store_b64 v[4:5], v[2:3], off
.LBB110_2003:
	s_and_not1_b32 vcc_lo, exec_lo, s19
	s_cbranch_vccnz .LBB110_2005
; %bb.2004:
	s_wait_loadcnt 0x0
	v_bfe_i32 v0, v1, 0, 8
	global_store_b32 v[4:5], v0, off
.LBB110_2005:
	s_mov_b32 s19, 0
.LBB110_2006:
	s_delay_alu instid0(SALU_CYCLE_1)
	s_and_not1_b32 vcc_lo, exec_lo, s19
	s_cbranch_vccnz .LBB110_2008
; %bb.2007:
	s_wait_loadcnt 0x0
	v_bfe_i32 v0, v1, 0, 8
	global_store_b16 v[4:5], v0, off
.LBB110_2008:
	s_mov_b32 s19, 0
.LBB110_2009:
	s_delay_alu instid0(SALU_CYCLE_1)
	s_and_not1_b32 vcc_lo, exec_lo, s19
	s_cbranch_vccnz .LBB110_2014
; %bb.2010:
	s_sext_i32_i16 s19, s21
	s_delay_alu instid0(SALU_CYCLE_1)
	s_cmp_gt_i32 s19, 0
	s_mov_b32 s19, -1
	s_cbranch_scc0 .LBB110_2012
; %bb.2011:
	s_mov_b32 s19, 0
	s_wait_loadcnt 0x0
	global_store_b8 v[4:5], v1, off
.LBB110_2012:
	s_and_not1_b32 vcc_lo, exec_lo, s19
	s_cbranch_vccnz .LBB110_2014
; %bb.2013:
	s_wait_loadcnt 0x0
	global_store_b8 v[4:5], v1, off
.LBB110_2014:
	s_wait_xcnt 0x0
	s_or_b32 exec_lo, exec_lo, s0
	s_delay_alu instid0(SALU_CYCLE_1)
	s_and_b32 s19, s20, exec_lo
                                        ; implicit-def: $vgpr26
.LBB110_2015:
	s_or_saveexec_b32 s18, s18
	s_mov_b32 s0, 0
                                        ; implicit-def: $sgpr20
                                        ; implicit-def: $vgpr0_vgpr1
                                        ; implicit-def: $vgpr4
	s_xor_b32 exec_lo, exec_lo, s18
	s_cbranch_execz .LBB110_3970
; %bb.2016:
	v_mul_lo_u32 v4, s13, v26
	s_and_b32 s17, s17, 0xff
	s_delay_alu instid0(SALU_CYCLE_1) | instskip(NEXT) | instid1(VALU_DEP_1)
	s_cmp_lt_i32 s17, 11
	v_ashrrev_i32_e32 v5, 31, v4
	s_wait_loadcnt 0x0
	s_delay_alu instid0(VALU_DEP_1)
	v_add_nc_u64_e32 v[2:3], s[6:7], v[4:5]
	s_cbranch_scc1 .LBB110_2023
; %bb.2017:
	s_and_b32 s0, 0xffff, s17
	s_mov_b32 s20, 0
	s_cmp_gt_i32 s0, 25
	s_cbranch_scc0 .LBB110_2025
; %bb.2018:
	s_cmp_gt_i32 s0, 28
	s_cbranch_scc0 .LBB110_2026
; %bb.2019:
	s_cmp_gt_i32 s0, 43
	s_cbranch_scc0 .LBB110_2027
; %bb.2020:
	s_cmp_gt_i32 s0, 45
	s_cbranch_scc0 .LBB110_2028
; %bb.2021:
	s_cmp_eq_u32 s0, 46
	s_mov_b32 s22, 0
	s_cbranch_scc0 .LBB110_2031
; %bb.2022:
	global_load_b32 v0, v[2:3], off
	s_mov_b32 s21, -1
	s_wait_loadcnt 0x0
	v_lshlrev_b32_e32 v0, 16, v0
	s_delay_alu instid0(VALU_DEP_1)
	v_cvt_i32_f32_e32 v0, v0
	s_branch .LBB110_2033
.LBB110_2023:
	s_mov_b32 s21, 0
	s_mov_b32 s16, s19
                                        ; implicit-def: $vgpr0
	s_cbranch_execnz .LBB110_2091
.LBB110_2024:
	s_and_not1_b32 vcc_lo, exec_lo, s21
	s_cbranch_vccz .LBB110_2136
	s_branch .LBB110_3968
.LBB110_2025:
	s_mov_b32 s21, 0
                                        ; implicit-def: $vgpr0
	s_cbranch_execnz .LBB110_2058
	s_branch .LBB110_2087
.LBB110_2026:
	s_mov_b32 s21, 0
                                        ; implicit-def: $vgpr0
	s_cbranch_execz .LBB110_2057
	s_branch .LBB110_2042
.LBB110_2027:
	s_mov_b32 s21, 0
                                        ; implicit-def: $vgpr0
	s_cbranch_execnz .LBB110_2038
	s_branch .LBB110_2041
.LBB110_2028:
	s_mov_b32 s22, -1
	s_branch .LBB110_2032
.LBB110_2029:
	s_and_not1_saveexec_b32 s26, s26
	s_cbranch_execz .LBB110_1928
.LBB110_2030:
	v_add_f32_e64 v2, 0x46000000, |v0|
	s_and_not1_b32 s25, s25, exec_lo
	s_delay_alu instid0(VALU_DEP_1) | instskip(NEXT) | instid1(VALU_DEP_1)
	v_and_b32_e32 v2, 0xff, v2
	v_cmp_ne_u32_e32 vcc_lo, 0, v2
	s_and_b32 s27, vcc_lo, exec_lo
	s_delay_alu instid0(SALU_CYCLE_1)
	s_or_b32 s25, s25, s27
	s_or_b32 exec_lo, exec_lo, s26
	v_mov_b32_e32 v3, 0
	s_and_saveexec_b32 s26, s25
	s_cbranch_execnz .LBB110_1929
	s_branch .LBB110_1930
.LBB110_2031:
	s_mov_b32 s16, -1
.LBB110_2032:
	s_mov_b32 s21, 0
                                        ; implicit-def: $vgpr0
.LBB110_2033:
	s_and_b32 vcc_lo, exec_lo, s22
	s_cbranch_vccz .LBB110_2036
; %bb.2034:
	s_cmp_eq_u32 s0, 44
	s_cbranch_scc0 .LBB110_2037
; %bb.2035:
	global_load_u8 v0, v[2:3], off
	s_mov_b32 s16, 0
	s_mov_b32 s21, -1
	s_wait_loadcnt 0x0
	v_lshlrev_b32_e32 v1, 23, v0
	v_cmp_ne_u32_e32 vcc_lo, 0, v0
	s_delay_alu instid0(VALU_DEP_2) | instskip(NEXT) | instid1(VALU_DEP_1)
	v_cvt_i32_f32_e32 v1, v1
	v_cndmask_b32_e32 v0, 0, v1, vcc_lo
.LBB110_2036:
	s_branch .LBB110_2041
.LBB110_2037:
	s_mov_b32 s16, -1
                                        ; implicit-def: $vgpr0
	s_branch .LBB110_2041
.LBB110_2038:
	s_cmp_eq_u32 s0, 29
	s_cbranch_scc0 .LBB110_2040
; %bb.2039:
	global_load_b64 v[0:1], v[2:3], off
	s_mov_b32 s16, 0
	s_mov_b32 s21, -1
	s_branch .LBB110_2041
.LBB110_2040:
	s_mov_b32 s16, -1
                                        ; implicit-def: $vgpr0
.LBB110_2041:
	s_branch .LBB110_2057
.LBB110_2042:
	s_cmp_lt_i32 s0, 27
	s_cbranch_scc1 .LBB110_2045
; %bb.2043:
	s_cmp_gt_i32 s0, 27
	s_cbranch_scc0 .LBB110_2046
; %bb.2044:
	s_wait_loadcnt 0x0
	global_load_b32 v0, v[2:3], off
	s_mov_b32 s21, 0
	s_branch .LBB110_2047
.LBB110_2045:
	s_mov_b32 s21, -1
                                        ; implicit-def: $vgpr0
	s_branch .LBB110_2050
.LBB110_2046:
	s_mov_b32 s21, -1
                                        ; implicit-def: $vgpr0
.LBB110_2047:
	s_delay_alu instid0(SALU_CYCLE_1)
	s_and_not1_b32 vcc_lo, exec_lo, s21
	s_cbranch_vccnz .LBB110_2049
; %bb.2048:
	s_wait_loadcnt 0x0
	global_load_u16 v0, v[2:3], off
.LBB110_2049:
	s_mov_b32 s21, 0
.LBB110_2050:
	s_delay_alu instid0(SALU_CYCLE_1)
	s_and_not1_b32 vcc_lo, exec_lo, s21
	s_cbranch_vccnz .LBB110_2056
; %bb.2051:
	s_wait_loadcnt 0x0
	global_load_u8 v1, v[2:3], off
	s_mov_b32 s22, 0
	s_mov_b32 s21, exec_lo
	s_wait_loadcnt 0x0
	v_cmpx_lt_i16_e32 0x7f, v1
	s_xor_b32 s21, exec_lo, s21
	s_cbranch_execz .LBB110_2067
; %bb.2052:
	v_cmp_ne_u16_e32 vcc_lo, 0x80, v1
	s_and_b32 s22, vcc_lo, exec_lo
	s_and_not1_saveexec_b32 s21, s21
	s_cbranch_execnz .LBB110_2068
.LBB110_2053:
	s_or_b32 exec_lo, exec_lo, s21
	v_mov_b32_e32 v0, 0
	s_and_saveexec_b32 s21, s22
	s_cbranch_execz .LBB110_2055
.LBB110_2054:
	v_and_b32_e32 v0, 0xffff, v1
	s_delay_alu instid0(VALU_DEP_1) | instskip(SKIP_1) | instid1(VALU_DEP_2)
	v_and_b32_e32 v5, 7, v0
	v_bfe_u32 v8, v0, 3, 4
	v_clz_i32_u32_e32 v6, v5
	s_delay_alu instid0(VALU_DEP_2) | instskip(NEXT) | instid1(VALU_DEP_2)
	v_cmp_eq_u32_e32 vcc_lo, 0, v8
	v_min_u32_e32 v6, 32, v6
	s_delay_alu instid0(VALU_DEP_1) | instskip(NEXT) | instid1(VALU_DEP_1)
	v_subrev_nc_u32_e32 v7, 28, v6
	v_dual_lshlrev_b32 v0, v7, v0 :: v_dual_sub_nc_u32 v6, 29, v6
	s_delay_alu instid0(VALU_DEP_1) | instskip(NEXT) | instid1(VALU_DEP_1)
	v_dual_lshlrev_b32 v1, 24, v1 :: v_dual_bitop2_b32 v0, 7, v0 bitop3:0x40
	v_dual_cndmask_b32 v6, v8, v6, vcc_lo :: v_dual_cndmask_b32 v0, v5, v0, vcc_lo
	s_delay_alu instid0(VALU_DEP_2) | instskip(NEXT) | instid1(VALU_DEP_2)
	v_and_b32_e32 v1, 0x80000000, v1
	v_lshl_add_u32 v5, v6, 23, 0x3b800000
	s_delay_alu instid0(VALU_DEP_3) | instskip(NEXT) | instid1(VALU_DEP_1)
	v_lshlrev_b32_e32 v0, 20, v0
	v_or3_b32 v0, v1, v5, v0
	s_delay_alu instid0(VALU_DEP_1)
	v_cvt_i32_f32_e32 v0, v0
.LBB110_2055:
	s_or_b32 exec_lo, exec_lo, s21
.LBB110_2056:
	s_mov_b32 s21, -1
.LBB110_2057:
	s_branch .LBB110_2087
.LBB110_2058:
	s_cmp_gt_i32 s0, 22
	s_cbranch_scc0 .LBB110_2066
; %bb.2059:
	s_cmp_lt_i32 s0, 24
	s_cbranch_scc1 .LBB110_2069
; %bb.2060:
	s_cmp_gt_i32 s0, 24
	s_cbranch_scc0 .LBB110_2070
; %bb.2061:
	s_wait_loadcnt 0x0
	global_load_u8 v1, v[2:3], off
	s_mov_b32 s21, 0
	s_mov_b32 s20, exec_lo
	s_wait_loadcnt 0x0
	v_cmpx_lt_i16_e32 0x7f, v1
	s_xor_b32 s20, exec_lo, s20
	s_cbranch_execz .LBB110_2081
; %bb.2062:
	v_cmp_ne_u16_e32 vcc_lo, 0x80, v1
	s_and_b32 s21, vcc_lo, exec_lo
	s_and_not1_saveexec_b32 s20, s20
	s_cbranch_execnz .LBB110_2082
.LBB110_2063:
	s_or_b32 exec_lo, exec_lo, s20
	v_mov_b32_e32 v0, 0
	s_and_saveexec_b32 s20, s21
	s_cbranch_execz .LBB110_2065
.LBB110_2064:
	v_and_b32_e32 v0, 0xffff, v1
	s_delay_alu instid0(VALU_DEP_1) | instskip(SKIP_1) | instid1(VALU_DEP_2)
	v_and_b32_e32 v5, 3, v0
	v_bfe_u32 v8, v0, 2, 5
	v_clz_i32_u32_e32 v6, v5
	s_delay_alu instid0(VALU_DEP_2) | instskip(NEXT) | instid1(VALU_DEP_2)
	v_cmp_eq_u32_e32 vcc_lo, 0, v8
	v_min_u32_e32 v6, 32, v6
	s_delay_alu instid0(VALU_DEP_1) | instskip(NEXT) | instid1(VALU_DEP_1)
	v_subrev_nc_u32_e32 v7, 29, v6
	v_dual_lshlrev_b32 v0, v7, v0 :: v_dual_sub_nc_u32 v6, 30, v6
	s_delay_alu instid0(VALU_DEP_1) | instskip(NEXT) | instid1(VALU_DEP_1)
	v_dual_lshlrev_b32 v1, 24, v1 :: v_dual_bitop2_b32 v0, 3, v0 bitop3:0x40
	v_dual_cndmask_b32 v6, v8, v6, vcc_lo :: v_dual_cndmask_b32 v0, v5, v0, vcc_lo
	s_delay_alu instid0(VALU_DEP_2) | instskip(NEXT) | instid1(VALU_DEP_2)
	v_and_b32_e32 v1, 0x80000000, v1
	v_lshl_add_u32 v5, v6, 23, 0x37800000
	s_delay_alu instid0(VALU_DEP_3) | instskip(NEXT) | instid1(VALU_DEP_1)
	v_lshlrev_b32_e32 v0, 21, v0
	v_or3_b32 v0, v1, v5, v0
	s_delay_alu instid0(VALU_DEP_1)
	v_cvt_i32_f32_e32 v0, v0
.LBB110_2065:
	s_or_b32 exec_lo, exec_lo, s20
	s_mov_b32 s20, 0
	s_branch .LBB110_2071
.LBB110_2066:
                                        ; implicit-def: $vgpr0
	s_mov_b32 s20, 0
	s_branch .LBB110_2077
.LBB110_2067:
	s_and_not1_saveexec_b32 s21, s21
	s_cbranch_execz .LBB110_2053
.LBB110_2068:
	v_cmp_ne_u16_e32 vcc_lo, 0, v1
	s_and_not1_b32 s22, s22, exec_lo
	s_and_b32 s23, vcc_lo, exec_lo
	s_delay_alu instid0(SALU_CYCLE_1)
	s_or_b32 s22, s22, s23
	s_or_b32 exec_lo, exec_lo, s21
	v_mov_b32_e32 v0, 0
	s_and_saveexec_b32 s21, s22
	s_cbranch_execnz .LBB110_2054
	s_branch .LBB110_2055
.LBB110_2069:
	s_mov_b32 s20, -1
                                        ; implicit-def: $vgpr0
	s_branch .LBB110_2074
.LBB110_2070:
	s_mov_b32 s20, -1
                                        ; implicit-def: $vgpr0
.LBB110_2071:
	s_delay_alu instid0(SALU_CYCLE_1)
	s_and_b32 vcc_lo, exec_lo, s20
	s_cbranch_vccz .LBB110_2073
; %bb.2072:
	s_wait_loadcnt 0x0
	global_load_u8 v0, v[2:3], off
	s_wait_loadcnt 0x0
	v_lshlrev_b32_e32 v0, 24, v0
	s_delay_alu instid0(VALU_DEP_1) | instskip(NEXT) | instid1(VALU_DEP_1)
	v_and_b32_e32 v1, 0x7f000000, v0
	v_clz_i32_u32_e32 v5, v1
	v_add_nc_u32_e32 v7, 0x1000000, v1
	v_cmp_ne_u32_e32 vcc_lo, 0, v1
	s_delay_alu instid0(VALU_DEP_3) | instskip(NEXT) | instid1(VALU_DEP_1)
	v_min_u32_e32 v5, 32, v5
	v_sub_nc_u32_e64 v5, v5, 4 clamp
	s_delay_alu instid0(VALU_DEP_1) | instskip(NEXT) | instid1(VALU_DEP_1)
	v_lshlrev_b32_e32 v6, v5, v1
	v_dual_lshlrev_b32 v5, 23, v5 :: v_dual_lshrrev_b32 v6, 4, v6
	s_delay_alu instid0(VALU_DEP_1) | instskip(NEXT) | instid1(VALU_DEP_1)
	v_dual_sub_nc_u32 v5, v6, v5 :: v_dual_ashrrev_i32 v6, 8, v7
	v_add_nc_u32_e32 v5, 0x3c000000, v5
	s_delay_alu instid0(VALU_DEP_1) | instskip(NEXT) | instid1(VALU_DEP_1)
	v_and_or_b32 v5, 0x7f800000, v6, v5
	v_cndmask_b32_e32 v1, 0, v5, vcc_lo
	s_delay_alu instid0(VALU_DEP_1) | instskip(NEXT) | instid1(VALU_DEP_1)
	v_and_or_b32 v0, 0x80000000, v0, v1
	v_cvt_i32_f32_e32 v0, v0
.LBB110_2073:
	s_mov_b32 s20, 0
.LBB110_2074:
	s_delay_alu instid0(SALU_CYCLE_1)
	s_and_not1_b32 vcc_lo, exec_lo, s20
	s_cbranch_vccnz .LBB110_2076
; %bb.2075:
	s_wait_loadcnt 0x0
	global_load_u8 v0, v[2:3], off
	s_wait_loadcnt 0x0
	v_lshlrev_b32_e32 v1, 25, v0
	v_lshlrev_b16 v0, 8, v0
	s_delay_alu instid0(VALU_DEP_1) | instskip(SKIP_1) | instid1(VALU_DEP_2)
	v_and_or_b32 v6, 0x7f00, v0, 0.5
	v_bfe_i32 v0, v0, 0, 16
	v_dual_add_f32 v6, -0.5, v6 :: v_dual_lshrrev_b32 v5, 4, v1
	v_cmp_gt_u32_e32 vcc_lo, 0x8000000, v1
	s_delay_alu instid0(VALU_DEP_2) | instskip(NEXT) | instid1(VALU_DEP_1)
	v_or_b32_e32 v5, 0x70000000, v5
	v_mul_f32_e32 v5, 0x7800000, v5
	s_delay_alu instid0(VALU_DEP_1) | instskip(NEXT) | instid1(VALU_DEP_1)
	v_cndmask_b32_e32 v1, v5, v6, vcc_lo
	v_and_or_b32 v0, 0x80000000, v0, v1
	s_delay_alu instid0(VALU_DEP_1)
	v_cvt_i32_f32_e32 v0, v0
.LBB110_2076:
	s_mov_b32 s21, -1
	s_mov_b32 s20, 0
	s_cbranch_execnz .LBB110_2087
.LBB110_2077:
	s_cmp_gt_i32 s0, 14
	s_cbranch_scc0 .LBB110_2080
; %bb.2078:
	s_cmp_eq_u32 s0, 15
	s_cbranch_scc0 .LBB110_2083
; %bb.2079:
	s_wait_loadcnt 0x0
	global_load_u16 v0, v[2:3], off
	s_mov_b32 s16, 0
	s_mov_b32 s21, -1
	s_wait_loadcnt 0x0
	v_lshlrev_b32_e32 v0, 16, v0
	s_delay_alu instid0(VALU_DEP_1)
	v_cvt_i32_f32_e32 v0, v0
	s_branch .LBB110_2085
.LBB110_2080:
	s_mov_b32 s20, -1
	s_branch .LBB110_2084
.LBB110_2081:
	s_and_not1_saveexec_b32 s20, s20
	s_cbranch_execz .LBB110_2063
.LBB110_2082:
	v_cmp_ne_u16_e32 vcc_lo, 0, v1
	s_and_not1_b32 s21, s21, exec_lo
	s_and_b32 s22, vcc_lo, exec_lo
	s_delay_alu instid0(SALU_CYCLE_1)
	s_or_b32 s21, s21, s22
	s_or_b32 exec_lo, exec_lo, s20
	v_mov_b32_e32 v0, 0
	s_and_saveexec_b32 s20, s21
	s_cbranch_execnz .LBB110_2064
	s_branch .LBB110_2065
.LBB110_2083:
	s_mov_b32 s16, -1
.LBB110_2084:
                                        ; implicit-def: $vgpr0
.LBB110_2085:
	s_and_b32 vcc_lo, exec_lo, s20
	s_mov_b32 s20, 0
	s_cbranch_vccz .LBB110_2087
; %bb.2086:
	s_cmp_lg_u32 s0, 11
	s_mov_b32 s20, -1
	s_cselect_b32 s16, -1, 0
.LBB110_2087:
	s_delay_alu instid0(SALU_CYCLE_1)
	s_and_b32 vcc_lo, exec_lo, s16
	s_mov_b32 s16, s19
	s_cbranch_vccnz .LBB110_2148
; %bb.2088:
	s_and_not1_b32 vcc_lo, exec_lo, s20
	s_cbranch_vccnz .LBB110_2090
.LBB110_2089:
	s_wait_loadcnt 0x0
	global_load_u8 v0, v[2:3], off
	s_mov_b32 s21, -1
	s_wait_loadcnt 0x0
	v_cmp_ne_u16_e32 vcc_lo, 0, v0
	v_cndmask_b32_e64 v0, 0, 1, vcc_lo
.LBB110_2090:
	s_branch .LBB110_2024
.LBB110_2091:
	s_and_b32 s0, 0xffff, s17
	s_delay_alu instid0(SALU_CYCLE_1)
	s_cmp_lt_i32 s0, 5
	s_cbranch_scc1 .LBB110_2096
; %bb.2092:
	s_cmp_lt_i32 s0, 8
	s_cbranch_scc1 .LBB110_2097
; %bb.2093:
	;; [unrolled: 3-line block ×3, first 2 shown]
	s_cmp_gt_i32 s0, 9
	s_cbranch_scc0 .LBB110_2099
; %bb.2095:
	s_wait_loadcnt 0x0
	global_load_b64 v[0:1], v[2:3], off
	s_mov_b32 s20, 0
	s_wait_loadcnt 0x0
	v_cvt_i32_f64_e32 v0, v[0:1]
	s_branch .LBB110_2100
.LBB110_2096:
                                        ; implicit-def: $vgpr0
	s_branch .LBB110_2117
.LBB110_2097:
                                        ; implicit-def: $vgpr0
	s_branch .LBB110_2106
.LBB110_2098:
	s_mov_b32 s20, -1
                                        ; implicit-def: $vgpr0
	s_branch .LBB110_2103
.LBB110_2099:
	s_mov_b32 s20, -1
                                        ; implicit-def: $vgpr0
.LBB110_2100:
	s_delay_alu instid0(SALU_CYCLE_1)
	s_and_not1_b32 vcc_lo, exec_lo, s20
	s_cbranch_vccnz .LBB110_2102
; %bb.2101:
	s_wait_loadcnt 0x0
	global_load_b32 v0, v[2:3], off
	s_wait_loadcnt 0x0
	v_cvt_i32_f32_e32 v0, v0
.LBB110_2102:
	s_mov_b32 s20, 0
.LBB110_2103:
	s_delay_alu instid0(SALU_CYCLE_1)
	s_and_not1_b32 vcc_lo, exec_lo, s20
	s_cbranch_vccnz .LBB110_2105
; %bb.2104:
	s_wait_loadcnt 0x0
	global_load_b32 v0, v[2:3], off
	s_wait_loadcnt 0x0
	v_cvt_i16_f16_e32 v0, v0
.LBB110_2105:
	s_cbranch_execnz .LBB110_2116
.LBB110_2106:
	s_cmp_lt_i32 s0, 6
	s_cbranch_scc1 .LBB110_2109
; %bb.2107:
	s_cmp_gt_i32 s0, 6
	s_cbranch_scc0 .LBB110_2110
; %bb.2108:
	s_wait_loadcnt 0x0
	global_load_b64 v[0:1], v[2:3], off
	s_mov_b32 s20, 0
	s_wait_loadcnt 0x0
	v_cvt_i32_f64_e32 v0, v[0:1]
	s_branch .LBB110_2111
.LBB110_2109:
	s_mov_b32 s20, -1
                                        ; implicit-def: $vgpr0
	s_branch .LBB110_2114
.LBB110_2110:
	s_mov_b32 s20, -1
                                        ; implicit-def: $vgpr0
.LBB110_2111:
	s_delay_alu instid0(SALU_CYCLE_1)
	s_and_not1_b32 vcc_lo, exec_lo, s20
	s_cbranch_vccnz .LBB110_2113
; %bb.2112:
	s_wait_loadcnt 0x0
	global_load_b32 v0, v[2:3], off
	s_wait_loadcnt 0x0
	v_cvt_i32_f32_e32 v0, v0
.LBB110_2113:
	s_mov_b32 s20, 0
.LBB110_2114:
	s_delay_alu instid0(SALU_CYCLE_1)
	s_and_not1_b32 vcc_lo, exec_lo, s20
	s_cbranch_vccnz .LBB110_2116
; %bb.2115:
	s_wait_loadcnt 0x0
	global_load_u16 v0, v[2:3], off
	s_wait_loadcnt 0x0
	v_cvt_i16_f16_e32 v0, v0
.LBB110_2116:
	s_cbranch_execnz .LBB110_2135
.LBB110_2117:
	s_cmp_lt_i32 s0, 2
	s_cbranch_scc1 .LBB110_2121
; %bb.2118:
	s_cmp_lt_i32 s0, 3
	s_cbranch_scc1 .LBB110_2122
; %bb.2119:
	s_cmp_gt_i32 s0, 3
	s_cbranch_scc0 .LBB110_2123
; %bb.2120:
	s_wait_loadcnt 0x0
	global_load_b64 v[0:1], v[2:3], off
	s_mov_b32 s20, 0
	s_branch .LBB110_2124
.LBB110_2121:
                                        ; implicit-def: $vgpr0
	s_branch .LBB110_2130
.LBB110_2122:
	s_mov_b32 s20, -1
                                        ; implicit-def: $vgpr0
	s_branch .LBB110_2127
.LBB110_2123:
	s_mov_b32 s20, -1
                                        ; implicit-def: $vgpr0
.LBB110_2124:
	s_delay_alu instid0(SALU_CYCLE_1)
	s_and_not1_b32 vcc_lo, exec_lo, s20
	s_cbranch_vccnz .LBB110_2126
; %bb.2125:
	s_wait_loadcnt 0x0
	global_load_b32 v0, v[2:3], off
.LBB110_2126:
	s_mov_b32 s20, 0
.LBB110_2127:
	s_delay_alu instid0(SALU_CYCLE_1)
	s_and_not1_b32 vcc_lo, exec_lo, s20
	s_cbranch_vccnz .LBB110_2129
; %bb.2128:
	s_wait_loadcnt 0x0
	global_load_u16 v0, v[2:3], off
.LBB110_2129:
	s_cbranch_execnz .LBB110_2135
.LBB110_2130:
	s_cmp_gt_i32 s0, 0
	s_mov_b32 s0, 0
	s_cbranch_scc0 .LBB110_2132
; %bb.2131:
	s_wait_loadcnt 0x0
	global_load_u8 v0, v[2:3], off
	s_branch .LBB110_2133
.LBB110_2132:
	s_mov_b32 s0, -1
                                        ; implicit-def: $vgpr0
.LBB110_2133:
	s_delay_alu instid0(SALU_CYCLE_1)
	s_and_not1_b32 vcc_lo, exec_lo, s0
	s_cbranch_vccnz .LBB110_2135
; %bb.2134:
	s_wait_loadcnt 0x0
	global_load_u8 v0, v[2:3], off
.LBB110_2135:
.LBB110_2136:
	v_mul_lo_u32 v8, s14, v26
	s_and_b32 s3, s3, 0xff
	s_delay_alu instid0(SALU_CYCLE_1) | instskip(NEXT) | instid1(VALU_DEP_1)
	s_cmp_lt_i32 s3, 11
	v_ashrrev_i32_e32 v9, 31, v8
	s_delay_alu instid0(VALU_DEP_1)
	v_add_nc_u64_e32 v[6:7], s[8:9], v[8:9]
	s_cbranch_scc1 .LBB110_2143
; %bb.2137:
	s_and_b32 s0, 0xffff, s3
	s_mov_b32 s21, 0
	s_cmp_gt_i32 s0, 25
	s_cbranch_scc0 .LBB110_2145
; %bb.2138:
	s_cmp_gt_i32 s0, 28
	s_cbranch_scc0 .LBB110_2146
; %bb.2139:
	;; [unrolled: 3-line block ×4, first 2 shown]
	s_cmp_eq_u32 s0, 46
	s_mov_b32 s23, 0
	s_cbranch_scc0 .LBB110_2152
; %bb.2142:
	s_wait_loadcnt 0x0
	global_load_b32 v1, v[6:7], off
	s_mov_b32 s20, 0
	s_mov_b32 s22, -1
	s_wait_loadcnt 0x0
	v_lshlrev_b32_e32 v1, 16, v1
	s_wait_xcnt 0x1
	s_delay_alu instid0(VALU_DEP_1)
	v_cvt_i32_f32_e32 v2, v1
	s_branch .LBB110_2154
.LBB110_2143:
	s_mov_b32 s22, 0
                                        ; implicit-def: $vgpr2
	s_cbranch_execnz .LBB110_2215
.LBB110_2144:
	s_and_not1_b32 vcc_lo, exec_lo, s22
	s_cbranch_vccnz .LBB110_3968
	s_branch .LBB110_2262
.LBB110_2145:
	s_mov_b32 s22, 0
	s_mov_b32 s20, 0
                                        ; implicit-def: $vgpr2
	s_cbranch_execnz .LBB110_2181
	s_branch .LBB110_2211
.LBB110_2146:
	s_mov_b32 s23, -1
	s_mov_b32 s22, 0
	s_mov_b32 s20, 0
                                        ; implicit-def: $vgpr2
	s_branch .LBB110_2164
.LBB110_2147:
	s_mov_b32 s23, -1
	s_mov_b32 s22, 0
	s_mov_b32 s20, 0
                                        ; implicit-def: $vgpr2
	s_branch .LBB110_2159
.LBB110_2148:
	s_or_b32 s16, s19, exec_lo
	s_trap 2
	s_cbranch_execz .LBB110_2089
	s_branch .LBB110_2090
.LBB110_2149:
	s_mov_b32 s23, -1
	s_mov_b32 s22, 0
	s_mov_b32 s20, 0
	s_branch .LBB110_2153
.LBB110_2150:
	s_and_not1_saveexec_b32 s27, s27
	s_cbranch_execz .LBB110_1940
.LBB110_2151:
	v_add_f32_e64 v2, 0x42800000, |v0|
	s_and_not1_b32 s26, s26, exec_lo
	s_delay_alu instid0(VALU_DEP_1) | instskip(NEXT) | instid1(VALU_DEP_1)
	v_and_b32_e32 v2, 0xff, v2
	v_cmp_ne_u32_e32 vcc_lo, 0, v2
	s_and_b32 s28, vcc_lo, exec_lo
	s_delay_alu instid0(SALU_CYCLE_1)
	s_or_b32 s26, s26, s28
	s_or_b32 exec_lo, exec_lo, s27
	v_mov_b32_e32 v3, 0
	s_and_saveexec_b32 s27, s26
	s_cbranch_execnz .LBB110_1941
	s_branch .LBB110_1942
.LBB110_2152:
	s_mov_b32 s20, -1
	s_mov_b32 s22, 0
.LBB110_2153:
                                        ; implicit-def: $vgpr2
.LBB110_2154:
	s_and_b32 vcc_lo, exec_lo, s23
	s_cbranch_vccz .LBB110_2158
; %bb.2155:
	s_cmp_eq_u32 s0, 44
	s_cbranch_scc0 .LBB110_2157
; %bb.2156:
	s_wait_loadcnt 0x0
	global_load_u8 v1, v[6:7], off
	s_mov_b32 s20, 0
	s_mov_b32 s22, -1
	s_wait_loadcnt 0x0
	s_wait_xcnt 0x1
	v_lshlrev_b32_e32 v2, 23, v1
	v_cmp_ne_u32_e32 vcc_lo, 0, v1
	s_delay_alu instid0(VALU_DEP_2) | instskip(NEXT) | instid1(VALU_DEP_1)
	v_cvt_i32_f32_e32 v2, v2
	v_cndmask_b32_e32 v2, 0, v2, vcc_lo
	s_branch .LBB110_2158
.LBB110_2157:
	s_mov_b32 s20, -1
                                        ; implicit-def: $vgpr2
.LBB110_2158:
	s_mov_b32 s23, 0
.LBB110_2159:
	s_delay_alu instid0(SALU_CYCLE_1)
	s_and_b32 vcc_lo, exec_lo, s23
	s_cbranch_vccz .LBB110_2163
; %bb.2160:
	s_cmp_eq_u32 s0, 29
	s_cbranch_scc0 .LBB110_2162
; %bb.2161:
	global_load_b64 v[2:3], v[6:7], off
	s_mov_b32 s20, 0
	s_mov_b32 s22, -1
	s_branch .LBB110_2163
.LBB110_2162:
	s_mov_b32 s20, -1
                                        ; implicit-def: $vgpr2
.LBB110_2163:
	s_mov_b32 s23, 0
.LBB110_2164:
	s_delay_alu instid0(SALU_CYCLE_1)
	s_and_b32 vcc_lo, exec_lo, s23
	s_cbranch_vccz .LBB110_2180
; %bb.2165:
	s_cmp_lt_i32 s0, 27
	s_cbranch_scc1 .LBB110_2168
; %bb.2166:
	s_cmp_gt_i32 s0, 27
	s_cbranch_scc0 .LBB110_2169
; %bb.2167:
	s_wait_loadcnt 0x0
	global_load_b32 v2, v[6:7], off
	s_mov_b32 s22, 0
	s_branch .LBB110_2170
.LBB110_2168:
	s_mov_b32 s22, -1
                                        ; implicit-def: $vgpr2
	s_branch .LBB110_2173
.LBB110_2169:
	s_mov_b32 s22, -1
                                        ; implicit-def: $vgpr2
.LBB110_2170:
	s_delay_alu instid0(SALU_CYCLE_1)
	s_and_not1_b32 vcc_lo, exec_lo, s22
	s_cbranch_vccnz .LBB110_2172
; %bb.2171:
	s_wait_loadcnt 0x0
	global_load_u16 v2, v[6:7], off
.LBB110_2172:
	s_mov_b32 s22, 0
.LBB110_2173:
	s_delay_alu instid0(SALU_CYCLE_1)
	s_and_not1_b32 vcc_lo, exec_lo, s22
	s_cbranch_vccnz .LBB110_2179
; %bb.2174:
	s_wait_loadcnt 0x0
	global_load_u8 v1, v[6:7], off
	s_mov_b32 s23, 0
	s_mov_b32 s22, exec_lo
	s_wait_loadcnt 0x0
	v_cmpx_lt_i16_e32 0x7f, v1
	s_xor_b32 s22, exec_lo, s22
	s_cbranch_execz .LBB110_2190
; %bb.2175:
	v_cmp_ne_u16_e32 vcc_lo, 0x80, v1
	s_and_b32 s23, vcc_lo, exec_lo
	s_and_not1_saveexec_b32 s22, s22
	s_cbranch_execnz .LBB110_2191
.LBB110_2176:
	s_or_b32 exec_lo, exec_lo, s22
	v_mov_b32_e32 v2, 0
	s_and_saveexec_b32 s22, s23
	s_cbranch_execz .LBB110_2178
.LBB110_2177:
	v_and_b32_e32 v2, 0xffff, v1
	s_delay_alu instid0(VALU_DEP_1) | instskip(SKIP_1) | instid1(VALU_DEP_2)
	v_and_b32_e32 v3, 7, v2
	v_bfe_u32 v10, v2, 3, 4
	v_clz_i32_u32_e32 v5, v3
	s_delay_alu instid0(VALU_DEP_2) | instskip(NEXT) | instid1(VALU_DEP_2)
	v_cmp_eq_u32_e32 vcc_lo, 0, v10
	v_min_u32_e32 v5, 32, v5
	s_delay_alu instid0(VALU_DEP_1) | instskip(NEXT) | instid1(VALU_DEP_1)
	v_subrev_nc_u32_e32 v9, 28, v5
	v_dual_lshlrev_b32 v2, v9, v2 :: v_dual_sub_nc_u32 v5, 29, v5
	s_delay_alu instid0(VALU_DEP_1) | instskip(NEXT) | instid1(VALU_DEP_1)
	v_dual_lshlrev_b32 v1, 24, v1 :: v_dual_bitop2_b32 v2, 7, v2 bitop3:0x40
	v_dual_cndmask_b32 v2, v3, v2 :: v_dual_cndmask_b32 v5, v10, v5
	s_delay_alu instid0(VALU_DEP_2) | instskip(NEXT) | instid1(VALU_DEP_2)
	v_and_b32_e32 v1, 0x80000000, v1
	v_lshlrev_b32_e32 v2, 20, v2
	s_delay_alu instid0(VALU_DEP_3) | instskip(NEXT) | instid1(VALU_DEP_1)
	v_lshl_add_u32 v3, v5, 23, 0x3b800000
	v_or3_b32 v1, v1, v3, v2
	s_delay_alu instid0(VALU_DEP_1)
	v_cvt_i32_f32_e32 v2, v1
.LBB110_2178:
	s_or_b32 exec_lo, exec_lo, s22
.LBB110_2179:
	s_mov_b32 s22, -1
.LBB110_2180:
	s_branch .LBB110_2211
.LBB110_2181:
	s_cmp_gt_i32 s0, 22
	s_cbranch_scc0 .LBB110_2189
; %bb.2182:
	s_cmp_lt_i32 s0, 24
	s_cbranch_scc1 .LBB110_2192
; %bb.2183:
	s_cmp_gt_i32 s0, 24
	s_cbranch_scc0 .LBB110_2193
; %bb.2184:
	s_wait_loadcnt 0x0
	global_load_u8 v1, v[6:7], off
	s_mov_b32 s22, 0
	s_mov_b32 s21, exec_lo
	s_wait_loadcnt 0x0
	v_cmpx_lt_i16_e32 0x7f, v1
	s_xor_b32 s21, exec_lo, s21
	s_cbranch_execz .LBB110_2205
; %bb.2185:
	v_cmp_ne_u16_e32 vcc_lo, 0x80, v1
	s_and_b32 s22, vcc_lo, exec_lo
	s_and_not1_saveexec_b32 s21, s21
	s_cbranch_execnz .LBB110_2206
.LBB110_2186:
	s_or_b32 exec_lo, exec_lo, s21
	v_mov_b32_e32 v2, 0
	s_and_saveexec_b32 s21, s22
	s_cbranch_execz .LBB110_2188
.LBB110_2187:
	v_and_b32_e32 v2, 0xffff, v1
	s_delay_alu instid0(VALU_DEP_1) | instskip(SKIP_1) | instid1(VALU_DEP_2)
	v_and_b32_e32 v3, 3, v2
	v_bfe_u32 v10, v2, 2, 5
	v_clz_i32_u32_e32 v5, v3
	s_delay_alu instid0(VALU_DEP_2) | instskip(NEXT) | instid1(VALU_DEP_2)
	v_cmp_eq_u32_e32 vcc_lo, 0, v10
	v_min_u32_e32 v5, 32, v5
	s_delay_alu instid0(VALU_DEP_1) | instskip(NEXT) | instid1(VALU_DEP_1)
	v_subrev_nc_u32_e32 v9, 29, v5
	v_dual_lshlrev_b32 v2, v9, v2 :: v_dual_sub_nc_u32 v5, 30, v5
	s_delay_alu instid0(VALU_DEP_1) | instskip(NEXT) | instid1(VALU_DEP_1)
	v_dual_lshlrev_b32 v1, 24, v1 :: v_dual_bitop2_b32 v2, 3, v2 bitop3:0x40
	v_dual_cndmask_b32 v2, v3, v2 :: v_dual_cndmask_b32 v5, v10, v5
	s_delay_alu instid0(VALU_DEP_2) | instskip(NEXT) | instid1(VALU_DEP_2)
	v_and_b32_e32 v1, 0x80000000, v1
	v_lshlrev_b32_e32 v2, 21, v2
	s_delay_alu instid0(VALU_DEP_3) | instskip(NEXT) | instid1(VALU_DEP_1)
	v_lshl_add_u32 v3, v5, 23, 0x37800000
	v_or3_b32 v1, v1, v3, v2
	s_delay_alu instid0(VALU_DEP_1)
	v_cvt_i32_f32_e32 v2, v1
.LBB110_2188:
	s_or_b32 exec_lo, exec_lo, s21
	s_mov_b32 s21, 0
	s_branch .LBB110_2194
.LBB110_2189:
	s_mov_b32 s21, -1
                                        ; implicit-def: $vgpr2
	s_branch .LBB110_2200
.LBB110_2190:
	s_and_not1_saveexec_b32 s22, s22
	s_cbranch_execz .LBB110_2176
.LBB110_2191:
	v_cmp_ne_u16_e32 vcc_lo, 0, v1
	s_and_not1_b32 s23, s23, exec_lo
	s_and_b32 s24, vcc_lo, exec_lo
	s_delay_alu instid0(SALU_CYCLE_1)
	s_or_b32 s23, s23, s24
	s_or_b32 exec_lo, exec_lo, s22
	v_mov_b32_e32 v2, 0
	s_and_saveexec_b32 s22, s23
	s_cbranch_execnz .LBB110_2177
	s_branch .LBB110_2178
.LBB110_2192:
	s_mov_b32 s21, -1
                                        ; implicit-def: $vgpr2
	s_branch .LBB110_2197
.LBB110_2193:
	s_mov_b32 s21, -1
                                        ; implicit-def: $vgpr2
.LBB110_2194:
	s_delay_alu instid0(SALU_CYCLE_1)
	s_and_b32 vcc_lo, exec_lo, s21
	s_cbranch_vccz .LBB110_2196
; %bb.2195:
	s_wait_loadcnt 0x0
	global_load_u8 v1, v[6:7], off
	s_wait_loadcnt 0x0
	v_lshlrev_b32_e32 v1, 24, v1
	s_wait_xcnt 0x1
	s_delay_alu instid0(VALU_DEP_1) | instskip(NEXT) | instid1(VALU_DEP_1)
	v_and_b32_e32 v2, 0x7f000000, v1
	v_clz_i32_u32_e32 v3, v2
	v_cmp_ne_u32_e32 vcc_lo, 0, v2
	v_add_nc_u32_e32 v9, 0x1000000, v2
	s_delay_alu instid0(VALU_DEP_3) | instskip(NEXT) | instid1(VALU_DEP_1)
	v_min_u32_e32 v3, 32, v3
	v_sub_nc_u32_e64 v3, v3, 4 clamp
	s_delay_alu instid0(VALU_DEP_1) | instskip(NEXT) | instid1(VALU_DEP_1)
	v_dual_lshlrev_b32 v5, v3, v2 :: v_dual_lshlrev_b32 v3, 23, v3
	v_lshrrev_b32_e32 v5, 4, v5
	s_delay_alu instid0(VALU_DEP_1) | instskip(NEXT) | instid1(VALU_DEP_1)
	v_dual_sub_nc_u32 v3, v5, v3 :: v_dual_ashrrev_i32 v5, 8, v9
	v_add_nc_u32_e32 v3, 0x3c000000, v3
	s_delay_alu instid0(VALU_DEP_1) | instskip(NEXT) | instid1(VALU_DEP_1)
	v_and_or_b32 v3, 0x7f800000, v5, v3
	v_cndmask_b32_e32 v2, 0, v3, vcc_lo
	s_delay_alu instid0(VALU_DEP_1) | instskip(NEXT) | instid1(VALU_DEP_1)
	v_and_or_b32 v1, 0x80000000, v1, v2
	v_cvt_i32_f32_e32 v2, v1
.LBB110_2196:
	s_mov_b32 s21, 0
.LBB110_2197:
	s_delay_alu instid0(SALU_CYCLE_1)
	s_and_not1_b32 vcc_lo, exec_lo, s21
	s_cbranch_vccnz .LBB110_2199
; %bb.2198:
	s_wait_loadcnt 0x0
	global_load_u8 v1, v[6:7], off
	s_wait_loadcnt 0x0
	s_wait_xcnt 0x1
	v_lshlrev_b32_e32 v2, 25, v1
	v_lshlrev_b16 v1, 8, v1
	s_delay_alu instid0(VALU_DEP_1) | instskip(NEXT) | instid1(VALU_DEP_3)
	v_and_or_b32 v5, 0x7f00, v1, 0.5
	v_lshrrev_b32_e32 v3, 4, v2
	v_bfe_i32 v1, v1, 0, 16
	s_delay_alu instid0(VALU_DEP_3) | instskip(NEXT) | instid1(VALU_DEP_3)
	v_add_f32_e32 v5, -0.5, v5
	v_or_b32_e32 v3, 0x70000000, v3
	s_delay_alu instid0(VALU_DEP_1) | instskip(SKIP_1) | instid1(VALU_DEP_2)
	v_mul_f32_e32 v3, 0x7800000, v3
	v_cmp_gt_u32_e32 vcc_lo, 0x8000000, v2
	v_cndmask_b32_e32 v2, v3, v5, vcc_lo
	s_delay_alu instid0(VALU_DEP_1) | instskip(NEXT) | instid1(VALU_DEP_1)
	v_and_or_b32 v1, 0x80000000, v1, v2
	v_cvt_i32_f32_e32 v2, v1
.LBB110_2199:
	s_mov_b32 s21, 0
	s_mov_b32 s22, -1
.LBB110_2200:
	s_and_not1_b32 vcc_lo, exec_lo, s21
	s_mov_b32 s21, 0
	s_cbranch_vccnz .LBB110_2211
; %bb.2201:
	s_cmp_gt_i32 s0, 14
	s_cbranch_scc0 .LBB110_2204
; %bb.2202:
	s_cmp_eq_u32 s0, 15
	s_cbranch_scc0 .LBB110_2207
; %bb.2203:
	s_wait_loadcnt 0x0
	global_load_u16 v1, v[6:7], off
	s_mov_b32 s20, 0
	s_mov_b32 s22, -1
	s_wait_loadcnt 0x0
	v_lshlrev_b32_e32 v1, 16, v1
	s_wait_xcnt 0x1
	s_delay_alu instid0(VALU_DEP_1)
	v_cvt_i32_f32_e32 v2, v1
	s_branch .LBB110_2209
.LBB110_2204:
	s_mov_b32 s21, -1
	s_branch .LBB110_2208
.LBB110_2205:
	s_and_not1_saveexec_b32 s21, s21
	s_cbranch_execz .LBB110_2186
.LBB110_2206:
	v_cmp_ne_u16_e32 vcc_lo, 0, v1
	s_and_not1_b32 s22, s22, exec_lo
	s_and_b32 s23, vcc_lo, exec_lo
	s_delay_alu instid0(SALU_CYCLE_1)
	s_or_b32 s22, s22, s23
	s_or_b32 exec_lo, exec_lo, s21
	v_mov_b32_e32 v2, 0
	s_and_saveexec_b32 s21, s22
	s_cbranch_execnz .LBB110_2187
	s_branch .LBB110_2188
.LBB110_2207:
	s_mov_b32 s20, -1
.LBB110_2208:
                                        ; implicit-def: $vgpr2
.LBB110_2209:
	s_and_b32 vcc_lo, exec_lo, s21
	s_mov_b32 s21, 0
	s_cbranch_vccz .LBB110_2211
; %bb.2210:
	s_cmp_lg_u32 s0, 11
	s_mov_b32 s21, -1
	s_cselect_b32 s20, -1, 0
.LBB110_2211:
	s_delay_alu instid0(SALU_CYCLE_1)
	s_and_b32 vcc_lo, exec_lo, s20
	s_cbranch_vccnz .LBB110_2274
; %bb.2212:
	s_and_not1_b32 vcc_lo, exec_lo, s21
	s_cbranch_vccnz .LBB110_2214
.LBB110_2213:
	s_wait_loadcnt 0x0
	global_load_u8 v1, v[6:7], off
	s_mov_b32 s22, -1
	s_wait_loadcnt 0x0
	v_cmp_ne_u16_e32 vcc_lo, 0, v1
	s_wait_xcnt 0x1
	v_cndmask_b32_e64 v2, 0, 1, vcc_lo
.LBB110_2214:
	s_branch .LBB110_2144
.LBB110_2215:
	s_and_b32 s0, 0xffff, s3
	s_delay_alu instid0(SALU_CYCLE_1)
	s_cmp_lt_i32 s0, 5
	s_cbranch_scc1 .LBB110_2220
; %bb.2216:
	s_cmp_lt_i32 s0, 8
	s_cbranch_scc1 .LBB110_2221
; %bb.2217:
	s_cmp_lt_i32 s0, 9
	s_cbranch_scc1 .LBB110_2222
; %bb.2218:
	s_cmp_gt_i32 s0, 9
	s_cbranch_scc0 .LBB110_2223
; %bb.2219:
	s_wait_loadcnt 0x0
	global_load_b64 v[2:3], v[6:7], off
	s_mov_b32 s20, 0
	s_wait_loadcnt 0x0
	v_cvt_i32_f64_e32 v2, v[2:3]
	s_branch .LBB110_2224
.LBB110_2220:
                                        ; implicit-def: $vgpr2
	s_branch .LBB110_2242
.LBB110_2221:
	s_mov_b32 s20, -1
                                        ; implicit-def: $vgpr2
	s_branch .LBB110_2230
.LBB110_2222:
	s_mov_b32 s20, -1
                                        ; implicit-def: $vgpr2
	s_branch .LBB110_2227
.LBB110_2223:
	s_mov_b32 s20, -1
                                        ; implicit-def: $vgpr2
.LBB110_2224:
	s_delay_alu instid0(SALU_CYCLE_1)
	s_and_not1_b32 vcc_lo, exec_lo, s20
	s_cbranch_vccnz .LBB110_2226
; %bb.2225:
	s_wait_loadcnt 0x0
	global_load_b32 v1, v[6:7], off
	s_wait_loadcnt 0x0
	s_wait_xcnt 0x1
	v_cvt_i32_f32_e32 v2, v1
.LBB110_2226:
	s_mov_b32 s20, 0
.LBB110_2227:
	s_delay_alu instid0(SALU_CYCLE_1)
	s_and_not1_b32 vcc_lo, exec_lo, s20
	s_cbranch_vccnz .LBB110_2229
; %bb.2228:
	s_wait_loadcnt 0x0
	global_load_b32 v1, v[6:7], off
	s_wait_loadcnt 0x0
	s_wait_xcnt 0x1
	v_cvt_i16_f16_e32 v2, v1
.LBB110_2229:
	s_mov_b32 s20, 0
.LBB110_2230:
	s_delay_alu instid0(SALU_CYCLE_1)
	s_and_not1_b32 vcc_lo, exec_lo, s20
	s_cbranch_vccnz .LBB110_2241
; %bb.2231:
	s_cmp_lt_i32 s0, 6
	s_cbranch_scc1 .LBB110_2234
; %bb.2232:
	s_cmp_gt_i32 s0, 6
	s_cbranch_scc0 .LBB110_2235
; %bb.2233:
	s_wait_loadcnt 0x0
	global_load_b64 v[2:3], v[6:7], off
	s_mov_b32 s20, 0
	s_wait_loadcnt 0x0
	v_cvt_i32_f64_e32 v2, v[2:3]
	s_branch .LBB110_2236
.LBB110_2234:
	s_mov_b32 s20, -1
                                        ; implicit-def: $vgpr2
	s_branch .LBB110_2239
.LBB110_2235:
	s_mov_b32 s20, -1
                                        ; implicit-def: $vgpr2
.LBB110_2236:
	s_delay_alu instid0(SALU_CYCLE_1)
	s_and_not1_b32 vcc_lo, exec_lo, s20
	s_cbranch_vccnz .LBB110_2238
; %bb.2237:
	s_wait_loadcnt 0x0
	global_load_b32 v1, v[6:7], off
	s_wait_loadcnt 0x0
	s_wait_xcnt 0x1
	v_cvt_i32_f32_e32 v2, v1
.LBB110_2238:
	s_mov_b32 s20, 0
.LBB110_2239:
	s_delay_alu instid0(SALU_CYCLE_1)
	s_and_not1_b32 vcc_lo, exec_lo, s20
	s_cbranch_vccnz .LBB110_2241
; %bb.2240:
	s_wait_loadcnt 0x0
	global_load_u16 v1, v[6:7], off
	s_wait_loadcnt 0x0
	s_wait_xcnt 0x1
	v_cvt_i16_f16_e32 v2, v1
.LBB110_2241:
	s_cbranch_execnz .LBB110_2261
.LBB110_2242:
	s_cmp_lt_i32 s0, 2
	s_cbranch_scc1 .LBB110_2246
; %bb.2243:
	s_cmp_lt_i32 s0, 3
	s_cbranch_scc1 .LBB110_2247
; %bb.2244:
	s_cmp_gt_i32 s0, 3
	s_cbranch_scc0 .LBB110_2248
; %bb.2245:
	s_wait_loadcnt 0x0
	global_load_b64 v[2:3], v[6:7], off
	s_mov_b32 s20, 0
	s_branch .LBB110_2249
.LBB110_2246:
	s_mov_b32 s20, -1
                                        ; implicit-def: $vgpr2
	s_branch .LBB110_2255
.LBB110_2247:
	s_mov_b32 s20, -1
                                        ; implicit-def: $vgpr2
	s_branch .LBB110_2252
.LBB110_2248:
	s_mov_b32 s20, -1
                                        ; implicit-def: $vgpr2
.LBB110_2249:
	s_delay_alu instid0(SALU_CYCLE_1)
	s_and_not1_b32 vcc_lo, exec_lo, s20
	s_cbranch_vccnz .LBB110_2251
; %bb.2250:
	s_wait_loadcnt 0x0
	global_load_b32 v2, v[6:7], off
.LBB110_2251:
	s_mov_b32 s20, 0
.LBB110_2252:
	s_delay_alu instid0(SALU_CYCLE_1)
	s_and_not1_b32 vcc_lo, exec_lo, s20
	s_cbranch_vccnz .LBB110_2254
; %bb.2253:
	s_wait_loadcnt 0x0
	global_load_u16 v2, v[6:7], off
.LBB110_2254:
	s_mov_b32 s20, 0
.LBB110_2255:
	s_delay_alu instid0(SALU_CYCLE_1)
	s_and_not1_b32 vcc_lo, exec_lo, s20
	s_cbranch_vccnz .LBB110_2261
; %bb.2256:
	s_cmp_gt_i32 s0, 0
	s_mov_b32 s0, 0
	s_cbranch_scc0 .LBB110_2258
; %bb.2257:
	s_wait_loadcnt 0x0
	global_load_u8 v2, v[6:7], off
	s_branch .LBB110_2259
.LBB110_2258:
	s_mov_b32 s0, -1
                                        ; implicit-def: $vgpr2
.LBB110_2259:
	s_delay_alu instid0(SALU_CYCLE_1)
	s_and_not1_b32 vcc_lo, exec_lo, s0
	s_cbranch_vccnz .LBB110_2261
; %bb.2260:
	s_wait_loadcnt 0x0
	global_load_u8 v2, v[6:7], off
.LBB110_2261:
.LBB110_2262:
	v_mul_lo_u32 v10, s15, v26
	s_and_b32 s0, 0xffff, s1
	s_delay_alu instid0(SALU_CYCLE_1) | instskip(NEXT) | instid1(VALU_DEP_1)
	s_cmp_lt_i32 s0, 11
	v_ashrrev_i32_e32 v11, 31, v10
	s_delay_alu instid0(VALU_DEP_1)
	v_add_nc_u64_e32 v[12:13], s[10:11], v[10:11]
	s_cbranch_scc1 .LBB110_2269
; %bb.2263:
	s_cmp_gt_i32 s0, 25
	s_mov_b32 s20, 0
	s_cbranch_scc0 .LBB110_2271
; %bb.2264:
	s_cmp_gt_i32 s0, 28
	s_cbranch_scc0 .LBB110_2272
; %bb.2265:
	s_cmp_gt_i32 s0, 43
	;; [unrolled: 3-line block ×3, first 2 shown]
	s_cbranch_scc0 .LBB110_2275
; %bb.2267:
	s_cmp_eq_u32 s0, 46
	s_mov_b32 s22, 0
	s_cbranch_scc0 .LBB110_2276
; %bb.2268:
	s_wait_loadcnt 0x0
	global_load_b32 v1, v[12:13], off
	s_mov_b32 s1, 0
	s_mov_b32 s21, -1
	s_wait_loadcnt 0x0
	v_lshlrev_b32_e32 v1, 16, v1
	s_wait_xcnt 0x1
	s_delay_alu instid0(VALU_DEP_1)
	v_cvt_i32_f32_e32 v6, v1
	s_branch .LBB110_2278
.LBB110_2269:
	s_mov_b32 s21, 0
                                        ; implicit-def: $vgpr6
	s_cbranch_execnz .LBB110_2340
.LBB110_2270:
	s_and_not1_b32 vcc_lo, exec_lo, s21
	s_cbranch_vccnz .LBB110_3968
	s_branch .LBB110_2388
.LBB110_2271:
	s_mov_b32 s22, -1
	s_mov_b32 s21, 0
	s_mov_b32 s1, 0
                                        ; implicit-def: $vgpr6
	s_branch .LBB110_2305
.LBB110_2272:
	s_mov_b32 s22, -1
	s_mov_b32 s21, 0
	s_mov_b32 s1, 0
                                        ; implicit-def: $vgpr6
	s_branch .LBB110_2288
.LBB110_2273:
	s_mov_b32 s22, -1
	s_mov_b32 s21, 0
	s_mov_b32 s1, 0
                                        ; implicit-def: $vgpr6
	s_branch .LBB110_2283
.LBB110_2274:
	s_or_b32 s16, s16, exec_lo
	s_trap 2
	s_cbranch_execz .LBB110_2213
	s_branch .LBB110_2214
.LBB110_2275:
	s_mov_b32 s22, -1
	s_mov_b32 s21, 0
	s_mov_b32 s1, 0
	s_branch .LBB110_2277
.LBB110_2276:
	s_mov_b32 s1, -1
	s_mov_b32 s21, 0
.LBB110_2277:
                                        ; implicit-def: $vgpr6
.LBB110_2278:
	s_and_b32 vcc_lo, exec_lo, s22
	s_cbranch_vccz .LBB110_2282
; %bb.2279:
	s_cmp_eq_u32 s0, 44
	s_cbranch_scc0 .LBB110_2281
; %bb.2280:
	s_wait_loadcnt 0x0
	global_load_u8 v1, v[12:13], off
	s_mov_b32 s1, 0
	s_mov_b32 s21, -1
	s_wait_loadcnt 0x0
	s_wait_xcnt 0x1
	v_lshlrev_b32_e32 v3, 23, v1
	v_cmp_ne_u32_e32 vcc_lo, 0, v1
	s_delay_alu instid0(VALU_DEP_2) | instskip(NEXT) | instid1(VALU_DEP_1)
	v_cvt_i32_f32_e32 v3, v3
	v_cndmask_b32_e32 v6, 0, v3, vcc_lo
	s_branch .LBB110_2282
.LBB110_2281:
	s_mov_b32 s1, -1
                                        ; implicit-def: $vgpr6
.LBB110_2282:
	s_mov_b32 s22, 0
.LBB110_2283:
	s_delay_alu instid0(SALU_CYCLE_1)
	s_and_b32 vcc_lo, exec_lo, s22
	s_cbranch_vccz .LBB110_2287
; %bb.2284:
	s_cmp_eq_u32 s0, 29
	s_cbranch_scc0 .LBB110_2286
; %bb.2285:
	global_load_b64 v[6:7], v[12:13], off
	s_mov_b32 s1, 0
	s_mov_b32 s21, -1
	s_branch .LBB110_2287
.LBB110_2286:
	s_mov_b32 s1, -1
                                        ; implicit-def: $vgpr6
.LBB110_2287:
	s_mov_b32 s22, 0
.LBB110_2288:
	s_delay_alu instid0(SALU_CYCLE_1)
	s_and_b32 vcc_lo, exec_lo, s22
	s_cbranch_vccz .LBB110_2304
; %bb.2289:
	s_cmp_lt_i32 s0, 27
	s_cbranch_scc1 .LBB110_2292
; %bb.2290:
	s_cmp_gt_i32 s0, 27
	s_cbranch_scc0 .LBB110_2293
; %bb.2291:
	s_wait_loadcnt 0x0
	global_load_b32 v6, v[12:13], off
	s_mov_b32 s21, 0
	s_branch .LBB110_2294
.LBB110_2292:
	s_mov_b32 s21, -1
                                        ; implicit-def: $vgpr6
	s_branch .LBB110_2297
.LBB110_2293:
	s_mov_b32 s21, -1
                                        ; implicit-def: $vgpr6
.LBB110_2294:
	s_delay_alu instid0(SALU_CYCLE_1)
	s_and_not1_b32 vcc_lo, exec_lo, s21
	s_cbranch_vccnz .LBB110_2296
; %bb.2295:
	s_wait_loadcnt 0x0
	global_load_u16 v6, v[12:13], off
.LBB110_2296:
	s_mov_b32 s21, 0
.LBB110_2297:
	s_delay_alu instid0(SALU_CYCLE_1)
	s_and_not1_b32 vcc_lo, exec_lo, s21
	s_cbranch_vccnz .LBB110_2303
; %bb.2298:
	s_wait_loadcnt 0x0
	global_load_u8 v1, v[12:13], off
	s_mov_b32 s22, 0
	s_mov_b32 s21, exec_lo
	s_wait_loadcnt 0x0
	v_cmpx_lt_i16_e32 0x7f, v1
	s_xor_b32 s21, exec_lo, s21
	s_cbranch_execz .LBB110_2315
; %bb.2299:
	v_cmp_ne_u16_e32 vcc_lo, 0x80, v1
	s_and_b32 s22, vcc_lo, exec_lo
	s_and_not1_saveexec_b32 s21, s21
	s_cbranch_execnz .LBB110_2316
.LBB110_2300:
	s_or_b32 exec_lo, exec_lo, s21
	v_mov_b32_e32 v6, 0
	s_and_saveexec_b32 s21, s22
	s_cbranch_execz .LBB110_2302
.LBB110_2301:
	v_and_b32_e32 v3, 0xffff, v1
	s_delay_alu instid0(VALU_DEP_1) | instskip(SKIP_1) | instid1(VALU_DEP_2)
	v_and_b32_e32 v5, 7, v3
	v_bfe_u32 v9, v3, 3, 4
	v_clz_i32_u32_e32 v6, v5
	s_delay_alu instid0(VALU_DEP_2) | instskip(NEXT) | instid1(VALU_DEP_2)
	v_cmp_eq_u32_e32 vcc_lo, 0, v9
	v_min_u32_e32 v6, 32, v6
	s_delay_alu instid0(VALU_DEP_1) | instskip(NEXT) | instid1(VALU_DEP_1)
	v_subrev_nc_u32_e32 v7, 28, v6
	v_dual_lshlrev_b32 v3, v7, v3 :: v_dual_sub_nc_u32 v6, 29, v6
	s_delay_alu instid0(VALU_DEP_1) | instskip(NEXT) | instid1(VALU_DEP_2)
	v_dual_lshlrev_b32 v1, 24, v1 :: v_dual_bitop2_b32 v3, 7, v3 bitop3:0x40
	v_cndmask_b32_e32 v6, v9, v6, vcc_lo
	s_delay_alu instid0(VALU_DEP_2) | instskip(NEXT) | instid1(VALU_DEP_3)
	v_cndmask_b32_e32 v3, v5, v3, vcc_lo
	v_and_b32_e32 v1, 0x80000000, v1
	s_delay_alu instid0(VALU_DEP_3) | instskip(NEXT) | instid1(VALU_DEP_3)
	v_lshl_add_u32 v5, v6, 23, 0x3b800000
	v_lshlrev_b32_e32 v3, 20, v3
	s_delay_alu instid0(VALU_DEP_1) | instskip(NEXT) | instid1(VALU_DEP_1)
	v_or3_b32 v1, v1, v5, v3
	v_cvt_i32_f32_e32 v6, v1
.LBB110_2302:
	s_or_b32 exec_lo, exec_lo, s21
.LBB110_2303:
	s_mov_b32 s21, -1
.LBB110_2304:
	s_mov_b32 s22, 0
.LBB110_2305:
	s_delay_alu instid0(SALU_CYCLE_1)
	s_and_b32 vcc_lo, exec_lo, s22
	s_cbranch_vccz .LBB110_2336
; %bb.2306:
	s_cmp_gt_i32 s0, 22
	s_cbranch_scc0 .LBB110_2314
; %bb.2307:
	s_cmp_lt_i32 s0, 24
	s_cbranch_scc1 .LBB110_2317
; %bb.2308:
	s_cmp_gt_i32 s0, 24
	s_cbranch_scc0 .LBB110_2318
; %bb.2309:
	s_wait_loadcnt 0x0
	global_load_u8 v1, v[12:13], off
	s_mov_b32 s21, 0
	s_mov_b32 s20, exec_lo
	s_wait_loadcnt 0x0
	v_cmpx_lt_i16_e32 0x7f, v1
	s_xor_b32 s20, exec_lo, s20
	s_cbranch_execz .LBB110_2330
; %bb.2310:
	v_cmp_ne_u16_e32 vcc_lo, 0x80, v1
	s_and_b32 s21, vcc_lo, exec_lo
	s_and_not1_saveexec_b32 s20, s20
	s_cbranch_execnz .LBB110_2331
.LBB110_2311:
	s_or_b32 exec_lo, exec_lo, s20
	v_mov_b32_e32 v6, 0
	s_and_saveexec_b32 s20, s21
	s_cbranch_execz .LBB110_2313
.LBB110_2312:
	v_and_b32_e32 v3, 0xffff, v1
	s_delay_alu instid0(VALU_DEP_1) | instskip(SKIP_1) | instid1(VALU_DEP_2)
	v_and_b32_e32 v5, 3, v3
	v_bfe_u32 v9, v3, 2, 5
	v_clz_i32_u32_e32 v6, v5
	s_delay_alu instid0(VALU_DEP_2) | instskip(NEXT) | instid1(VALU_DEP_2)
	v_cmp_eq_u32_e32 vcc_lo, 0, v9
	v_min_u32_e32 v6, 32, v6
	s_delay_alu instid0(VALU_DEP_1) | instskip(NEXT) | instid1(VALU_DEP_1)
	v_subrev_nc_u32_e32 v7, 29, v6
	v_dual_lshlrev_b32 v3, v7, v3 :: v_dual_sub_nc_u32 v6, 30, v6
	s_delay_alu instid0(VALU_DEP_1) | instskip(NEXT) | instid1(VALU_DEP_2)
	v_dual_lshlrev_b32 v1, 24, v1 :: v_dual_bitop2_b32 v3, 3, v3 bitop3:0x40
	v_cndmask_b32_e32 v6, v9, v6, vcc_lo
	s_delay_alu instid0(VALU_DEP_2) | instskip(NEXT) | instid1(VALU_DEP_3)
	v_cndmask_b32_e32 v3, v5, v3, vcc_lo
	v_and_b32_e32 v1, 0x80000000, v1
	s_delay_alu instid0(VALU_DEP_3) | instskip(NEXT) | instid1(VALU_DEP_3)
	v_lshl_add_u32 v5, v6, 23, 0x37800000
	v_lshlrev_b32_e32 v3, 21, v3
	s_delay_alu instid0(VALU_DEP_1) | instskip(NEXT) | instid1(VALU_DEP_1)
	v_or3_b32 v1, v1, v5, v3
	v_cvt_i32_f32_e32 v6, v1
.LBB110_2313:
	s_or_b32 exec_lo, exec_lo, s20
	s_mov_b32 s20, 0
	s_branch .LBB110_2319
.LBB110_2314:
	s_mov_b32 s20, -1
                                        ; implicit-def: $vgpr6
	s_branch .LBB110_2325
.LBB110_2315:
	s_and_not1_saveexec_b32 s21, s21
	s_cbranch_execz .LBB110_2300
.LBB110_2316:
	v_cmp_ne_u16_e32 vcc_lo, 0, v1
	s_and_not1_b32 s22, s22, exec_lo
	s_and_b32 s23, vcc_lo, exec_lo
	s_delay_alu instid0(SALU_CYCLE_1)
	s_or_b32 s22, s22, s23
	s_or_b32 exec_lo, exec_lo, s21
	v_mov_b32_e32 v6, 0
	s_and_saveexec_b32 s21, s22
	s_cbranch_execnz .LBB110_2301
	s_branch .LBB110_2302
.LBB110_2317:
	s_mov_b32 s20, -1
                                        ; implicit-def: $vgpr6
	s_branch .LBB110_2322
.LBB110_2318:
	s_mov_b32 s20, -1
                                        ; implicit-def: $vgpr6
.LBB110_2319:
	s_delay_alu instid0(SALU_CYCLE_1)
	s_and_b32 vcc_lo, exec_lo, s20
	s_cbranch_vccz .LBB110_2321
; %bb.2320:
	s_wait_loadcnt 0x0
	global_load_u8 v1, v[12:13], off
	s_wait_loadcnt 0x0
	v_lshlrev_b32_e32 v1, 24, v1
	s_wait_xcnt 0x1
	s_delay_alu instid0(VALU_DEP_1) | instskip(NEXT) | instid1(VALU_DEP_1)
	v_and_b32_e32 v3, 0x7f000000, v1
	v_clz_i32_u32_e32 v5, v3
	v_add_nc_u32_e32 v7, 0x1000000, v3
	v_cmp_ne_u32_e32 vcc_lo, 0, v3
	s_delay_alu instid0(VALU_DEP_3) | instskip(NEXT) | instid1(VALU_DEP_1)
	v_min_u32_e32 v5, 32, v5
	v_sub_nc_u32_e64 v5, v5, 4 clamp
	s_delay_alu instid0(VALU_DEP_1) | instskip(NEXT) | instid1(VALU_DEP_1)
	v_dual_lshlrev_b32 v6, v5, v3 :: v_dual_lshlrev_b32 v5, 23, v5
	v_lshrrev_b32_e32 v6, 4, v6
	s_delay_alu instid0(VALU_DEP_1) | instskip(NEXT) | instid1(VALU_DEP_1)
	v_dual_sub_nc_u32 v5, v6, v5 :: v_dual_ashrrev_i32 v6, 8, v7
	v_add_nc_u32_e32 v5, 0x3c000000, v5
	s_delay_alu instid0(VALU_DEP_1) | instskip(NEXT) | instid1(VALU_DEP_1)
	v_and_or_b32 v5, 0x7f800000, v6, v5
	v_cndmask_b32_e32 v3, 0, v5, vcc_lo
	s_delay_alu instid0(VALU_DEP_1) | instskip(NEXT) | instid1(VALU_DEP_1)
	v_and_or_b32 v1, 0x80000000, v1, v3
	v_cvt_i32_f32_e32 v6, v1
.LBB110_2321:
	s_mov_b32 s20, 0
.LBB110_2322:
	s_delay_alu instid0(SALU_CYCLE_1)
	s_and_not1_b32 vcc_lo, exec_lo, s20
	s_cbranch_vccnz .LBB110_2324
; %bb.2323:
	s_wait_loadcnt 0x0
	global_load_u8 v1, v[12:13], off
	s_wait_loadcnt 0x0
	s_wait_xcnt 0x1
	v_lshlrev_b32_e32 v3, 25, v1
	v_lshlrev_b16 v1, 8, v1
	s_delay_alu instid0(VALU_DEP_1) | instskip(SKIP_1) | instid1(VALU_DEP_2)
	v_and_or_b32 v6, 0x7f00, v1, 0.5
	v_bfe_i32 v1, v1, 0, 16
	v_dual_add_f32 v6, -0.5, v6 :: v_dual_lshrrev_b32 v5, 4, v3
	v_cmp_gt_u32_e32 vcc_lo, 0x8000000, v3
	s_delay_alu instid0(VALU_DEP_2) | instskip(NEXT) | instid1(VALU_DEP_1)
	v_or_b32_e32 v5, 0x70000000, v5
	v_mul_f32_e32 v5, 0x7800000, v5
	s_delay_alu instid0(VALU_DEP_1) | instskip(NEXT) | instid1(VALU_DEP_1)
	v_cndmask_b32_e32 v3, v5, v6, vcc_lo
	v_and_or_b32 v1, 0x80000000, v1, v3
	s_delay_alu instid0(VALU_DEP_1)
	v_cvt_i32_f32_e32 v6, v1
.LBB110_2324:
	s_mov_b32 s20, 0
	s_mov_b32 s21, -1
.LBB110_2325:
	s_and_not1_b32 vcc_lo, exec_lo, s20
	s_mov_b32 s20, 0
	s_cbranch_vccnz .LBB110_2336
; %bb.2326:
	s_cmp_gt_i32 s0, 14
	s_cbranch_scc0 .LBB110_2329
; %bb.2327:
	s_cmp_eq_u32 s0, 15
	s_cbranch_scc0 .LBB110_2332
; %bb.2328:
	s_wait_loadcnt 0x0
	global_load_u16 v1, v[12:13], off
	s_mov_b32 s1, 0
	s_mov_b32 s21, -1
	s_wait_loadcnt 0x0
	v_lshlrev_b32_e32 v1, 16, v1
	s_wait_xcnt 0x1
	s_delay_alu instid0(VALU_DEP_1)
	v_cvt_i32_f32_e32 v6, v1
	s_branch .LBB110_2334
.LBB110_2329:
	s_mov_b32 s20, -1
	s_branch .LBB110_2333
.LBB110_2330:
	s_and_not1_saveexec_b32 s20, s20
	s_cbranch_execz .LBB110_2311
.LBB110_2331:
	v_cmp_ne_u16_e32 vcc_lo, 0, v1
	s_and_not1_b32 s21, s21, exec_lo
	s_and_b32 s22, vcc_lo, exec_lo
	s_delay_alu instid0(SALU_CYCLE_1)
	s_or_b32 s21, s21, s22
	s_or_b32 exec_lo, exec_lo, s20
	v_mov_b32_e32 v6, 0
	s_and_saveexec_b32 s20, s21
	s_cbranch_execnz .LBB110_2312
	s_branch .LBB110_2313
.LBB110_2332:
	s_mov_b32 s1, -1
.LBB110_2333:
                                        ; implicit-def: $vgpr6
.LBB110_2334:
	s_and_b32 vcc_lo, exec_lo, s20
	s_mov_b32 s20, 0
	s_cbranch_vccz .LBB110_2336
; %bb.2335:
	s_cmp_lg_u32 s0, 11
	s_mov_b32 s20, -1
	s_cselect_b32 s1, -1, 0
.LBB110_2336:
	s_delay_alu instid0(SALU_CYCLE_1)
	s_and_b32 vcc_lo, exec_lo, s1
	s_cbranch_vccnz .LBB110_2399
; %bb.2337:
	s_and_not1_b32 vcc_lo, exec_lo, s20
	s_cbranch_vccnz .LBB110_2339
.LBB110_2338:
	s_wait_loadcnt 0x0
	global_load_u8 v1, v[12:13], off
	s_mov_b32 s21, -1
	s_wait_loadcnt 0x0
	v_cmp_ne_u16_e32 vcc_lo, 0, v1
	s_wait_xcnt 0x1
	v_cndmask_b32_e64 v6, 0, 1, vcc_lo
.LBB110_2339:
	s_branch .LBB110_2270
.LBB110_2340:
	s_cmp_lt_i32 s0, 5
	s_cbranch_scc1 .LBB110_2345
; %bb.2341:
	s_cmp_lt_i32 s0, 8
	s_cbranch_scc1 .LBB110_2346
; %bb.2342:
	;; [unrolled: 3-line block ×3, first 2 shown]
	s_cmp_gt_i32 s0, 9
	s_cbranch_scc0 .LBB110_2348
; %bb.2344:
	s_wait_loadcnt 0x0
	global_load_b64 v[6:7], v[12:13], off
	s_mov_b32 s1, 0
	s_wait_loadcnt 0x0
	v_cvt_i32_f64_e32 v6, v[6:7]
	s_branch .LBB110_2349
.LBB110_2345:
	s_mov_b32 s1, -1
                                        ; implicit-def: $vgpr6
	s_branch .LBB110_2367
.LBB110_2346:
	s_mov_b32 s1, -1
                                        ; implicit-def: $vgpr6
	s_branch .LBB110_2355
.LBB110_2347:
	s_mov_b32 s1, -1
                                        ; implicit-def: $vgpr6
	s_branch .LBB110_2352
.LBB110_2348:
	s_mov_b32 s1, -1
                                        ; implicit-def: $vgpr6
.LBB110_2349:
	s_delay_alu instid0(SALU_CYCLE_1)
	s_and_not1_b32 vcc_lo, exec_lo, s1
	s_cbranch_vccnz .LBB110_2351
; %bb.2350:
	s_wait_loadcnt 0x0
	global_load_b32 v1, v[12:13], off
	s_wait_loadcnt 0x0
	s_wait_xcnt 0x1
	v_cvt_i32_f32_e32 v6, v1
.LBB110_2351:
	s_mov_b32 s1, 0
.LBB110_2352:
	s_delay_alu instid0(SALU_CYCLE_1)
	s_and_not1_b32 vcc_lo, exec_lo, s1
	s_cbranch_vccnz .LBB110_2354
; %bb.2353:
	s_wait_loadcnt 0x0
	global_load_b32 v1, v[12:13], off
	s_wait_loadcnt 0x0
	s_wait_xcnt 0x1
	v_cvt_i16_f16_e32 v6, v1
.LBB110_2354:
	s_mov_b32 s1, 0
.LBB110_2355:
	s_delay_alu instid0(SALU_CYCLE_1)
	s_and_not1_b32 vcc_lo, exec_lo, s1
	s_cbranch_vccnz .LBB110_2366
; %bb.2356:
	s_cmp_lt_i32 s0, 6
	s_cbranch_scc1 .LBB110_2359
; %bb.2357:
	s_cmp_gt_i32 s0, 6
	s_cbranch_scc0 .LBB110_2360
; %bb.2358:
	s_wait_loadcnt 0x0
	global_load_b64 v[6:7], v[12:13], off
	s_mov_b32 s1, 0
	s_wait_loadcnt 0x0
	v_cvt_i32_f64_e32 v6, v[6:7]
	s_branch .LBB110_2361
.LBB110_2359:
	s_mov_b32 s1, -1
                                        ; implicit-def: $vgpr6
	s_branch .LBB110_2364
.LBB110_2360:
	s_mov_b32 s1, -1
                                        ; implicit-def: $vgpr6
.LBB110_2361:
	s_delay_alu instid0(SALU_CYCLE_1)
	s_and_not1_b32 vcc_lo, exec_lo, s1
	s_cbranch_vccnz .LBB110_2363
; %bb.2362:
	s_wait_loadcnt 0x0
	global_load_b32 v1, v[12:13], off
	s_wait_loadcnt 0x0
	s_wait_xcnt 0x1
	v_cvt_i32_f32_e32 v6, v1
.LBB110_2363:
	s_mov_b32 s1, 0
.LBB110_2364:
	s_delay_alu instid0(SALU_CYCLE_1)
	s_and_not1_b32 vcc_lo, exec_lo, s1
	s_cbranch_vccnz .LBB110_2366
; %bb.2365:
	s_wait_loadcnt 0x0
	global_load_u16 v1, v[12:13], off
	s_wait_loadcnt 0x0
	s_wait_xcnt 0x1
	v_cvt_i16_f16_e32 v6, v1
.LBB110_2366:
	s_mov_b32 s1, 0
.LBB110_2367:
	s_delay_alu instid0(SALU_CYCLE_1)
	s_and_not1_b32 vcc_lo, exec_lo, s1
	s_cbranch_vccnz .LBB110_2387
; %bb.2368:
	s_cmp_lt_i32 s0, 2
	s_cbranch_scc1 .LBB110_2372
; %bb.2369:
	s_cmp_lt_i32 s0, 3
	s_cbranch_scc1 .LBB110_2373
; %bb.2370:
	s_cmp_gt_i32 s0, 3
	s_cbranch_scc0 .LBB110_2374
; %bb.2371:
	s_wait_loadcnt 0x0
	global_load_b64 v[6:7], v[12:13], off
	s_mov_b32 s1, 0
	s_branch .LBB110_2375
.LBB110_2372:
	s_mov_b32 s1, -1
                                        ; implicit-def: $vgpr6
	s_branch .LBB110_2381
.LBB110_2373:
	s_mov_b32 s1, -1
                                        ; implicit-def: $vgpr6
	s_branch .LBB110_2378
.LBB110_2374:
	s_mov_b32 s1, -1
                                        ; implicit-def: $vgpr6
.LBB110_2375:
	s_delay_alu instid0(SALU_CYCLE_1)
	s_and_not1_b32 vcc_lo, exec_lo, s1
	s_cbranch_vccnz .LBB110_2377
; %bb.2376:
	s_wait_loadcnt 0x0
	global_load_b32 v6, v[12:13], off
.LBB110_2377:
	s_mov_b32 s1, 0
.LBB110_2378:
	s_delay_alu instid0(SALU_CYCLE_1)
	s_and_not1_b32 vcc_lo, exec_lo, s1
	s_cbranch_vccnz .LBB110_2380
; %bb.2379:
	s_wait_loadcnt 0x0
	global_load_u16 v6, v[12:13], off
.LBB110_2380:
	s_mov_b32 s1, 0
.LBB110_2381:
	s_delay_alu instid0(SALU_CYCLE_1)
	s_and_not1_b32 vcc_lo, exec_lo, s1
	s_cbranch_vccnz .LBB110_2387
; %bb.2382:
	s_cmp_gt_i32 s0, 0
	s_mov_b32 s1, 0
	s_cbranch_scc0 .LBB110_2384
; %bb.2383:
	s_wait_loadcnt 0x0
	global_load_u8 v6, v[12:13], off
	s_branch .LBB110_2385
.LBB110_2384:
	s_mov_b32 s1, -1
                                        ; implicit-def: $vgpr6
.LBB110_2385:
	s_delay_alu instid0(SALU_CYCLE_1)
	s_and_not1_b32 vcc_lo, exec_lo, s1
	s_cbranch_vccnz .LBB110_2387
; %bb.2386:
	s_wait_loadcnt 0x0
	global_load_u8 v6, v[12:13], off
.LBB110_2387:
.LBB110_2388:
	s_lshl_b32 s1, s13, 7
	s_cmp_lt_i32 s17, 11
	v_add_nc_u32_e32 v14, s1, v4
	s_delay_alu instid0(VALU_DEP_1) | instskip(SKIP_1) | instid1(VALU_DEP_1)
	v_ashrrev_i32_e32 v15, 31, v14
	s_wait_xcnt 0x0
	v_add_nc_u64_e32 v[12:13], s[6:7], v[14:15]
	s_cbranch_scc1 .LBB110_2395
; %bb.2389:
	s_and_b32 s13, 0xffff, s17
	s_mov_b32 s21, 0
	s_cmp_gt_i32 s13, 25
	s_cbranch_scc0 .LBB110_2396
; %bb.2390:
	s_cmp_gt_i32 s13, 28
	s_cbranch_scc0 .LBB110_2397
; %bb.2391:
	;; [unrolled: 3-line block ×4, first 2 shown]
	s_cmp_eq_u32 s13, 46
	s_mov_b32 s23, 0
	s_cbranch_scc0 .LBB110_2401
; %bb.2394:
	s_wait_loadcnt 0x0
	global_load_b32 v1, v[12:13], off
	s_mov_b32 s20, 0
	s_mov_b32 s22, -1
	s_wait_loadcnt 0x0
	v_lshlrev_b32_e32 v1, 16, v1
	s_delay_alu instid0(VALU_DEP_1)
	v_cvt_i32_f32_e32 v4, v1
	s_branch .LBB110_2403
.LBB110_2395:
	s_mov_b32 s13, -1
	s_mov_b32 s22, 0
                                        ; implicit-def: $vgpr4
	s_branch .LBB110_2465
.LBB110_2396:
	s_mov_b32 s23, -1
	s_mov_b32 s22, 0
	s_mov_b32 s20, 0
                                        ; implicit-def: $vgpr4
	s_branch .LBB110_2430
.LBB110_2397:
	s_mov_b32 s23, -1
	s_mov_b32 s22, 0
	s_mov_b32 s20, 0
                                        ; implicit-def: $vgpr4
	s_branch .LBB110_2413
.LBB110_2398:
	s_mov_b32 s23, -1
	s_mov_b32 s22, 0
	s_mov_b32 s20, 0
                                        ; implicit-def: $vgpr4
	s_branch .LBB110_2408
.LBB110_2399:
	s_or_b32 s16, s16, exec_lo
	s_trap 2
	s_cbranch_execz .LBB110_2338
	s_branch .LBB110_2339
.LBB110_2400:
	s_mov_b32 s23, -1
	s_mov_b32 s22, 0
	s_mov_b32 s20, 0
	s_branch .LBB110_2402
.LBB110_2401:
	s_mov_b32 s20, -1
	s_mov_b32 s22, 0
.LBB110_2402:
                                        ; implicit-def: $vgpr4
.LBB110_2403:
	s_and_b32 vcc_lo, exec_lo, s23
	s_cbranch_vccz .LBB110_2407
; %bb.2404:
	s_cmp_eq_u32 s13, 44
	s_cbranch_scc0 .LBB110_2406
; %bb.2405:
	s_wait_loadcnt 0x0
	global_load_u8 v1, v[12:13], off
	s_mov_b32 s20, 0
	s_mov_b32 s22, -1
	s_wait_loadcnt 0x0
	v_lshlrev_b32_e32 v3, 23, v1
	v_cmp_ne_u32_e32 vcc_lo, 0, v1
	s_delay_alu instid0(VALU_DEP_2) | instskip(NEXT) | instid1(VALU_DEP_1)
	v_cvt_i32_f32_e32 v3, v3
	v_cndmask_b32_e32 v4, 0, v3, vcc_lo
	s_branch .LBB110_2407
.LBB110_2406:
	s_mov_b32 s20, -1
                                        ; implicit-def: $vgpr4
.LBB110_2407:
	s_mov_b32 s23, 0
.LBB110_2408:
	s_delay_alu instid0(SALU_CYCLE_1)
	s_and_b32 vcc_lo, exec_lo, s23
	s_cbranch_vccz .LBB110_2412
; %bb.2409:
	s_cmp_eq_u32 s13, 29
	s_cbranch_scc0 .LBB110_2411
; %bb.2410:
	global_load_b64 v[4:5], v[12:13], off
	s_mov_b32 s20, 0
	s_mov_b32 s22, -1
	s_branch .LBB110_2412
.LBB110_2411:
	s_mov_b32 s20, -1
                                        ; implicit-def: $vgpr4
.LBB110_2412:
	s_mov_b32 s23, 0
.LBB110_2413:
	s_delay_alu instid0(SALU_CYCLE_1)
	s_and_b32 vcc_lo, exec_lo, s23
	s_cbranch_vccz .LBB110_2429
; %bb.2414:
	s_cmp_lt_i32 s13, 27
	s_cbranch_scc1 .LBB110_2417
; %bb.2415:
	s_cmp_gt_i32 s13, 27
	s_cbranch_scc0 .LBB110_2418
; %bb.2416:
	s_wait_loadcnt 0x0
	global_load_b32 v4, v[12:13], off
	s_mov_b32 s22, 0
	s_branch .LBB110_2419
.LBB110_2417:
	s_mov_b32 s22, -1
                                        ; implicit-def: $vgpr4
	s_branch .LBB110_2422
.LBB110_2418:
	s_mov_b32 s22, -1
                                        ; implicit-def: $vgpr4
.LBB110_2419:
	s_delay_alu instid0(SALU_CYCLE_1)
	s_and_not1_b32 vcc_lo, exec_lo, s22
	s_cbranch_vccnz .LBB110_2421
; %bb.2420:
	s_wait_loadcnt 0x0
	global_load_u16 v4, v[12:13], off
.LBB110_2421:
	s_mov_b32 s22, 0
.LBB110_2422:
	s_delay_alu instid0(SALU_CYCLE_1)
	s_and_not1_b32 vcc_lo, exec_lo, s22
	s_cbranch_vccnz .LBB110_2428
; %bb.2423:
	s_wait_loadcnt 0x0
	global_load_u8 v1, v[12:13], off
	s_mov_b32 s23, 0
	s_mov_b32 s22, exec_lo
	s_wait_loadcnt 0x0
	v_cmpx_lt_i16_e32 0x7f, v1
	s_xor_b32 s22, exec_lo, s22
	s_cbranch_execz .LBB110_2440
; %bb.2424:
	v_cmp_ne_u16_e32 vcc_lo, 0x80, v1
	s_and_b32 s23, vcc_lo, exec_lo
	s_and_not1_saveexec_b32 s22, s22
	s_cbranch_execnz .LBB110_2441
.LBB110_2425:
	s_or_b32 exec_lo, exec_lo, s22
	v_mov_b32_e32 v4, 0
	s_and_saveexec_b32 s22, s23
	s_cbranch_execz .LBB110_2427
.LBB110_2426:
	v_and_b32_e32 v3, 0xffff, v1
	s_delay_alu instid0(VALU_DEP_1) | instskip(SKIP_1) | instid1(VALU_DEP_2)
	v_and_b32_e32 v4, 7, v3
	v_bfe_u32 v9, v3, 3, 4
	v_clz_i32_u32_e32 v5, v4
	s_delay_alu instid0(VALU_DEP_2) | instskip(NEXT) | instid1(VALU_DEP_2)
	v_cmp_eq_u32_e32 vcc_lo, 0, v9
	v_min_u32_e32 v5, 32, v5
	s_delay_alu instid0(VALU_DEP_1) | instskip(NEXT) | instid1(VALU_DEP_1)
	v_subrev_nc_u32_e32 v7, 28, v5
	v_dual_lshlrev_b32 v3, v7, v3 :: v_dual_sub_nc_u32 v5, 29, v5
	s_delay_alu instid0(VALU_DEP_1) | instskip(NEXT) | instid1(VALU_DEP_1)
	v_dual_lshlrev_b32 v1, 24, v1 :: v_dual_bitop2_b32 v3, 7, v3 bitop3:0x40
	v_dual_cndmask_b32 v3, v4, v3, vcc_lo :: v_dual_cndmask_b32 v5, v9, v5, vcc_lo
	s_delay_alu instid0(VALU_DEP_2) | instskip(NEXT) | instid1(VALU_DEP_2)
	v_and_b32_e32 v1, 0x80000000, v1
	v_lshlrev_b32_e32 v3, 20, v3
	s_delay_alu instid0(VALU_DEP_3) | instskip(NEXT) | instid1(VALU_DEP_1)
	v_lshl_add_u32 v4, v5, 23, 0x3b800000
	v_or3_b32 v1, v1, v4, v3
	s_delay_alu instid0(VALU_DEP_1)
	v_cvt_i32_f32_e32 v4, v1
.LBB110_2427:
	s_or_b32 exec_lo, exec_lo, s22
.LBB110_2428:
	s_mov_b32 s22, -1
.LBB110_2429:
	s_mov_b32 s23, 0
.LBB110_2430:
	s_delay_alu instid0(SALU_CYCLE_1)
	s_and_b32 vcc_lo, exec_lo, s23
	s_cbranch_vccz .LBB110_2461
; %bb.2431:
	s_cmp_gt_i32 s13, 22
	s_cbranch_scc0 .LBB110_2439
; %bb.2432:
	s_cmp_lt_i32 s13, 24
	s_cbranch_scc1 .LBB110_2442
; %bb.2433:
	s_cmp_gt_i32 s13, 24
	s_cbranch_scc0 .LBB110_2443
; %bb.2434:
	s_wait_loadcnt 0x0
	global_load_u8 v1, v[12:13], off
	s_mov_b32 s22, 0
	s_mov_b32 s21, exec_lo
	s_wait_loadcnt 0x0
	v_cmpx_lt_i16_e32 0x7f, v1
	s_xor_b32 s21, exec_lo, s21
	s_cbranch_execz .LBB110_2455
; %bb.2435:
	v_cmp_ne_u16_e32 vcc_lo, 0x80, v1
	s_and_b32 s22, vcc_lo, exec_lo
	s_and_not1_saveexec_b32 s21, s21
	s_cbranch_execnz .LBB110_2456
.LBB110_2436:
	s_or_b32 exec_lo, exec_lo, s21
	v_mov_b32_e32 v4, 0
	s_and_saveexec_b32 s21, s22
	s_cbranch_execz .LBB110_2438
.LBB110_2437:
	v_and_b32_e32 v3, 0xffff, v1
	s_delay_alu instid0(VALU_DEP_1) | instskip(SKIP_1) | instid1(VALU_DEP_2)
	v_and_b32_e32 v4, 3, v3
	v_bfe_u32 v9, v3, 2, 5
	v_clz_i32_u32_e32 v5, v4
	s_delay_alu instid0(VALU_DEP_2) | instskip(NEXT) | instid1(VALU_DEP_2)
	v_cmp_eq_u32_e32 vcc_lo, 0, v9
	v_min_u32_e32 v5, 32, v5
	s_delay_alu instid0(VALU_DEP_1) | instskip(NEXT) | instid1(VALU_DEP_1)
	v_subrev_nc_u32_e32 v7, 29, v5
	v_dual_lshlrev_b32 v3, v7, v3 :: v_dual_sub_nc_u32 v5, 30, v5
	s_delay_alu instid0(VALU_DEP_1) | instskip(NEXT) | instid1(VALU_DEP_1)
	v_dual_lshlrev_b32 v1, 24, v1 :: v_dual_bitop2_b32 v3, 3, v3 bitop3:0x40
	v_dual_cndmask_b32 v3, v4, v3, vcc_lo :: v_dual_cndmask_b32 v5, v9, v5, vcc_lo
	s_delay_alu instid0(VALU_DEP_2) | instskip(NEXT) | instid1(VALU_DEP_2)
	v_and_b32_e32 v1, 0x80000000, v1
	v_lshlrev_b32_e32 v3, 21, v3
	s_delay_alu instid0(VALU_DEP_3) | instskip(NEXT) | instid1(VALU_DEP_1)
	v_lshl_add_u32 v4, v5, 23, 0x37800000
	v_or3_b32 v1, v1, v4, v3
	s_delay_alu instid0(VALU_DEP_1)
	v_cvt_i32_f32_e32 v4, v1
.LBB110_2438:
	s_or_b32 exec_lo, exec_lo, s21
	s_mov_b32 s21, 0
	s_branch .LBB110_2444
.LBB110_2439:
	s_mov_b32 s21, -1
                                        ; implicit-def: $vgpr4
	s_branch .LBB110_2450
.LBB110_2440:
	s_and_not1_saveexec_b32 s22, s22
	s_cbranch_execz .LBB110_2425
.LBB110_2441:
	v_cmp_ne_u16_e32 vcc_lo, 0, v1
	s_and_not1_b32 s23, s23, exec_lo
	s_and_b32 s24, vcc_lo, exec_lo
	s_delay_alu instid0(SALU_CYCLE_1)
	s_or_b32 s23, s23, s24
	s_or_b32 exec_lo, exec_lo, s22
	v_mov_b32_e32 v4, 0
	s_and_saveexec_b32 s22, s23
	s_cbranch_execnz .LBB110_2426
	s_branch .LBB110_2427
.LBB110_2442:
	s_mov_b32 s21, -1
                                        ; implicit-def: $vgpr4
	s_branch .LBB110_2447
.LBB110_2443:
	s_mov_b32 s21, -1
                                        ; implicit-def: $vgpr4
.LBB110_2444:
	s_delay_alu instid0(SALU_CYCLE_1)
	s_and_b32 vcc_lo, exec_lo, s21
	s_cbranch_vccz .LBB110_2446
; %bb.2445:
	s_wait_loadcnt 0x0
	global_load_u8 v1, v[12:13], off
	s_wait_loadcnt 0x0
	v_lshlrev_b32_e32 v1, 24, v1
	s_delay_alu instid0(VALU_DEP_1) | instskip(NEXT) | instid1(VALU_DEP_1)
	v_and_b32_e32 v3, 0x7f000000, v1
	v_clz_i32_u32_e32 v4, v3
	v_add_nc_u32_e32 v7, 0x1000000, v3
	v_cmp_ne_u32_e32 vcc_lo, 0, v3
	s_delay_alu instid0(VALU_DEP_3) | instskip(NEXT) | instid1(VALU_DEP_1)
	v_min_u32_e32 v4, 32, v4
	v_sub_nc_u32_e64 v4, v4, 4 clamp
	s_delay_alu instid0(VALU_DEP_1) | instskip(NEXT) | instid1(VALU_DEP_1)
	v_dual_lshlrev_b32 v5, v4, v3 :: v_dual_lshlrev_b32 v4, 23, v4
	v_lshrrev_b32_e32 v5, 4, v5
	s_delay_alu instid0(VALU_DEP_1) | instskip(NEXT) | instid1(VALU_DEP_1)
	v_dual_sub_nc_u32 v4, v5, v4 :: v_dual_ashrrev_i32 v5, 8, v7
	v_add_nc_u32_e32 v4, 0x3c000000, v4
	s_delay_alu instid0(VALU_DEP_1) | instskip(NEXT) | instid1(VALU_DEP_1)
	v_and_or_b32 v4, 0x7f800000, v5, v4
	v_cndmask_b32_e32 v3, 0, v4, vcc_lo
	s_delay_alu instid0(VALU_DEP_1) | instskip(NEXT) | instid1(VALU_DEP_1)
	v_and_or_b32 v1, 0x80000000, v1, v3
	v_cvt_i32_f32_e32 v4, v1
.LBB110_2446:
	s_mov_b32 s21, 0
.LBB110_2447:
	s_delay_alu instid0(SALU_CYCLE_1)
	s_and_not1_b32 vcc_lo, exec_lo, s21
	s_cbranch_vccnz .LBB110_2449
; %bb.2448:
	s_wait_loadcnt 0x0
	global_load_u8 v1, v[12:13], off
	s_wait_loadcnt 0x0
	v_lshlrev_b32_e32 v3, 25, v1
	v_lshlrev_b16 v1, 8, v1
	s_delay_alu instid0(VALU_DEP_1) | instskip(NEXT) | instid1(VALU_DEP_3)
	v_and_or_b32 v5, 0x7f00, v1, 0.5
	v_lshrrev_b32_e32 v4, 4, v3
	v_bfe_i32 v1, v1, 0, 16
	s_delay_alu instid0(VALU_DEP_3) | instskip(NEXT) | instid1(VALU_DEP_3)
	v_add_f32_e32 v5, -0.5, v5
	v_or_b32_e32 v4, 0x70000000, v4
	s_delay_alu instid0(VALU_DEP_1) | instskip(SKIP_1) | instid1(VALU_DEP_2)
	v_mul_f32_e32 v4, 0x7800000, v4
	v_cmp_gt_u32_e32 vcc_lo, 0x8000000, v3
	v_cndmask_b32_e32 v3, v4, v5, vcc_lo
	s_delay_alu instid0(VALU_DEP_1) | instskip(NEXT) | instid1(VALU_DEP_1)
	v_and_or_b32 v1, 0x80000000, v1, v3
	v_cvt_i32_f32_e32 v4, v1
.LBB110_2449:
	s_mov_b32 s21, 0
	s_mov_b32 s22, -1
.LBB110_2450:
	s_and_not1_b32 vcc_lo, exec_lo, s21
	s_mov_b32 s21, 0
	s_cbranch_vccnz .LBB110_2461
; %bb.2451:
	s_cmp_gt_i32 s13, 14
	s_cbranch_scc0 .LBB110_2454
; %bb.2452:
	s_cmp_eq_u32 s13, 15
	s_cbranch_scc0 .LBB110_2457
; %bb.2453:
	s_wait_loadcnt 0x0
	global_load_u16 v1, v[12:13], off
	s_mov_b32 s20, 0
	s_mov_b32 s22, -1
	s_wait_loadcnt 0x0
	v_lshlrev_b32_e32 v1, 16, v1
	s_delay_alu instid0(VALU_DEP_1)
	v_cvt_i32_f32_e32 v4, v1
	s_branch .LBB110_2459
.LBB110_2454:
	s_mov_b32 s21, -1
	s_branch .LBB110_2458
.LBB110_2455:
	s_and_not1_saveexec_b32 s21, s21
	s_cbranch_execz .LBB110_2436
.LBB110_2456:
	v_cmp_ne_u16_e32 vcc_lo, 0, v1
	s_and_not1_b32 s22, s22, exec_lo
	s_and_b32 s23, vcc_lo, exec_lo
	s_delay_alu instid0(SALU_CYCLE_1)
	s_or_b32 s22, s22, s23
	s_or_b32 exec_lo, exec_lo, s21
	v_mov_b32_e32 v4, 0
	s_and_saveexec_b32 s21, s22
	s_cbranch_execnz .LBB110_2437
	s_branch .LBB110_2438
.LBB110_2457:
	s_mov_b32 s20, -1
.LBB110_2458:
                                        ; implicit-def: $vgpr4
.LBB110_2459:
	s_and_b32 vcc_lo, exec_lo, s21
	s_mov_b32 s21, 0
	s_cbranch_vccz .LBB110_2461
; %bb.2460:
	s_cmp_lg_u32 s13, 11
	s_mov_b32 s21, -1
	s_cselect_b32 s20, -1, 0
.LBB110_2461:
	s_delay_alu instid0(SALU_CYCLE_1)
	s_and_b32 vcc_lo, exec_lo, s20
	s_cbranch_vccnz .LBB110_2526
; %bb.2462:
	s_and_not1_b32 vcc_lo, exec_lo, s21
	s_cbranch_vccnz .LBB110_2464
.LBB110_2463:
	s_wait_loadcnt 0x0
	global_load_u8 v1, v[12:13], off
	s_mov_b32 s22, -1
	s_wait_loadcnt 0x0
	v_cmp_ne_u16_e32 vcc_lo, 0, v1
	v_cndmask_b32_e64 v4, 0, 1, vcc_lo
.LBB110_2464:
	s_mov_b32 s13, 0
.LBB110_2465:
	s_delay_alu instid0(SALU_CYCLE_1)
	s_and_b32 vcc_lo, exec_lo, s13
	s_cbranch_vccz .LBB110_2514
; %bb.2466:
	s_and_b32 s13, 0xffff, s17
	s_delay_alu instid0(SALU_CYCLE_1)
	s_cmp_lt_i32 s13, 5
	s_cbranch_scc1 .LBB110_2471
; %bb.2467:
	s_cmp_lt_i32 s13, 8
	s_cbranch_scc1 .LBB110_2472
; %bb.2468:
	;; [unrolled: 3-line block ×3, first 2 shown]
	s_cmp_gt_i32 s13, 9
	s_cbranch_scc0 .LBB110_2474
; %bb.2470:
	s_wait_loadcnt 0x0
	global_load_b64 v[4:5], v[12:13], off
	s_mov_b32 s20, 0
	s_wait_loadcnt 0x0
	v_cvt_i32_f64_e32 v4, v[4:5]
	s_branch .LBB110_2475
.LBB110_2471:
	s_mov_b32 s20, -1
                                        ; implicit-def: $vgpr4
	s_branch .LBB110_2493
.LBB110_2472:
	s_mov_b32 s20, -1
                                        ; implicit-def: $vgpr4
	s_branch .LBB110_2481
.LBB110_2473:
	s_mov_b32 s20, -1
                                        ; implicit-def: $vgpr4
	s_branch .LBB110_2478
.LBB110_2474:
	s_mov_b32 s20, -1
                                        ; implicit-def: $vgpr4
.LBB110_2475:
	s_delay_alu instid0(SALU_CYCLE_1)
	s_and_not1_b32 vcc_lo, exec_lo, s20
	s_cbranch_vccnz .LBB110_2477
; %bb.2476:
	s_wait_loadcnt 0x0
	global_load_b32 v1, v[12:13], off
	s_wait_loadcnt 0x0
	v_cvt_i32_f32_e32 v4, v1
.LBB110_2477:
	s_mov_b32 s20, 0
.LBB110_2478:
	s_delay_alu instid0(SALU_CYCLE_1)
	s_and_not1_b32 vcc_lo, exec_lo, s20
	s_cbranch_vccnz .LBB110_2480
; %bb.2479:
	s_wait_loadcnt 0x0
	global_load_b32 v1, v[12:13], off
	s_wait_loadcnt 0x0
	v_cvt_i16_f16_e32 v4, v1
.LBB110_2480:
	s_mov_b32 s20, 0
.LBB110_2481:
	s_delay_alu instid0(SALU_CYCLE_1)
	s_and_not1_b32 vcc_lo, exec_lo, s20
	s_cbranch_vccnz .LBB110_2492
; %bb.2482:
	s_cmp_lt_i32 s13, 6
	s_cbranch_scc1 .LBB110_2485
; %bb.2483:
	s_cmp_gt_i32 s13, 6
	s_cbranch_scc0 .LBB110_2486
; %bb.2484:
	s_wait_loadcnt 0x0
	global_load_b64 v[4:5], v[12:13], off
	s_mov_b32 s20, 0
	s_wait_loadcnt 0x0
	v_cvt_i32_f64_e32 v4, v[4:5]
	s_branch .LBB110_2487
.LBB110_2485:
	s_mov_b32 s20, -1
                                        ; implicit-def: $vgpr4
	s_branch .LBB110_2490
.LBB110_2486:
	s_mov_b32 s20, -1
                                        ; implicit-def: $vgpr4
.LBB110_2487:
	s_delay_alu instid0(SALU_CYCLE_1)
	s_and_not1_b32 vcc_lo, exec_lo, s20
	s_cbranch_vccnz .LBB110_2489
; %bb.2488:
	s_wait_loadcnt 0x0
	global_load_b32 v1, v[12:13], off
	s_wait_loadcnt 0x0
	v_cvt_i32_f32_e32 v4, v1
.LBB110_2489:
	s_mov_b32 s20, 0
.LBB110_2490:
	s_delay_alu instid0(SALU_CYCLE_1)
	s_and_not1_b32 vcc_lo, exec_lo, s20
	s_cbranch_vccnz .LBB110_2492
; %bb.2491:
	s_wait_loadcnt 0x0
	global_load_u16 v1, v[12:13], off
	s_wait_loadcnt 0x0
	v_cvt_i16_f16_e32 v4, v1
.LBB110_2492:
	s_mov_b32 s20, 0
.LBB110_2493:
	s_delay_alu instid0(SALU_CYCLE_1)
	s_and_not1_b32 vcc_lo, exec_lo, s20
	s_cbranch_vccnz .LBB110_2513
; %bb.2494:
	s_cmp_lt_i32 s13, 2
	s_cbranch_scc1 .LBB110_2498
; %bb.2495:
	s_cmp_lt_i32 s13, 3
	s_cbranch_scc1 .LBB110_2499
; %bb.2496:
	s_cmp_gt_i32 s13, 3
	s_cbranch_scc0 .LBB110_2500
; %bb.2497:
	s_wait_loadcnt 0x0
	global_load_b64 v[4:5], v[12:13], off
	s_mov_b32 s20, 0
	s_branch .LBB110_2501
.LBB110_2498:
	s_mov_b32 s20, -1
                                        ; implicit-def: $vgpr4
	s_branch .LBB110_2507
.LBB110_2499:
	s_mov_b32 s20, -1
                                        ; implicit-def: $vgpr4
	s_branch .LBB110_2504
.LBB110_2500:
	s_mov_b32 s20, -1
                                        ; implicit-def: $vgpr4
.LBB110_2501:
	s_delay_alu instid0(SALU_CYCLE_1)
	s_and_not1_b32 vcc_lo, exec_lo, s20
	s_cbranch_vccnz .LBB110_2503
; %bb.2502:
	s_wait_loadcnt 0x0
	global_load_b32 v4, v[12:13], off
.LBB110_2503:
	s_mov_b32 s20, 0
.LBB110_2504:
	s_delay_alu instid0(SALU_CYCLE_1)
	s_and_not1_b32 vcc_lo, exec_lo, s20
	s_cbranch_vccnz .LBB110_2506
; %bb.2505:
	s_wait_loadcnt 0x0
	global_load_u16 v4, v[12:13], off
.LBB110_2506:
	s_mov_b32 s20, 0
.LBB110_2507:
	s_delay_alu instid0(SALU_CYCLE_1)
	s_and_not1_b32 vcc_lo, exec_lo, s20
	s_cbranch_vccnz .LBB110_2513
; %bb.2508:
	s_cmp_gt_i32 s13, 0
	s_mov_b32 s13, 0
	s_cbranch_scc0 .LBB110_2510
; %bb.2509:
	s_wait_loadcnt 0x0
	global_load_u8 v4, v[12:13], off
	s_branch .LBB110_2511
.LBB110_2510:
	s_mov_b32 s13, -1
                                        ; implicit-def: $vgpr4
.LBB110_2511:
	s_delay_alu instid0(SALU_CYCLE_1)
	s_and_not1_b32 vcc_lo, exec_lo, s13
	s_cbranch_vccnz .LBB110_2513
; %bb.2512:
	s_wait_loadcnt 0x0
	global_load_u8 v4, v[12:13], off
.LBB110_2513:
	s_mov_b32 s22, -1
.LBB110_2514:
	s_delay_alu instid0(SALU_CYCLE_1)
	s_and_not1_b32 vcc_lo, exec_lo, s22
	s_cbranch_vccnz .LBB110_3968
; %bb.2515:
	s_lshl_b32 s13, s14, 7
	s_cmp_lt_i32 s3, 11
	v_add_nc_u32_e32 v16, s13, v8
	s_delay_alu instid0(VALU_DEP_1) | instskip(SKIP_1) | instid1(VALU_DEP_1)
	v_ashrrev_i32_e32 v17, 31, v16
	s_wait_xcnt 0x0
	v_add_nc_u64_e32 v[12:13], s[8:9], v[16:17]
	s_cbranch_scc1 .LBB110_2522
; %bb.2516:
	s_and_b32 s14, 0xffff, s3
	s_mov_b32 s21, 0
	s_cmp_gt_i32 s14, 25
	s_cbranch_scc0 .LBB110_2523
; %bb.2517:
	s_cmp_gt_i32 s14, 28
	s_cbranch_scc0 .LBB110_2524
; %bb.2518:
	;; [unrolled: 3-line block ×4, first 2 shown]
	s_cmp_eq_u32 s14, 46
	s_mov_b32 s23, 0
	s_cbranch_scc0 .LBB110_2528
; %bb.2521:
	s_wait_loadcnt 0x0
	global_load_b32 v1, v[12:13], off
	s_mov_b32 s20, 0
	s_mov_b32 s22, -1
	s_wait_loadcnt 0x0
	v_lshlrev_b32_e32 v1, 16, v1
	s_delay_alu instid0(VALU_DEP_1)
	v_cvt_i32_f32_e32 v8, v1
	s_branch .LBB110_2530
.LBB110_2522:
	s_mov_b32 s14, -1
	s_mov_b32 s22, 0
                                        ; implicit-def: $vgpr8
	s_branch .LBB110_2592
.LBB110_2523:
	s_mov_b32 s23, -1
	s_mov_b32 s22, 0
	s_mov_b32 s20, 0
                                        ; implicit-def: $vgpr8
	s_branch .LBB110_2557
.LBB110_2524:
	s_mov_b32 s23, -1
	s_mov_b32 s22, 0
	s_mov_b32 s20, 0
                                        ; implicit-def: $vgpr8
	s_branch .LBB110_2540
.LBB110_2525:
	s_mov_b32 s23, -1
	s_mov_b32 s22, 0
	s_mov_b32 s20, 0
                                        ; implicit-def: $vgpr8
	s_branch .LBB110_2535
.LBB110_2526:
	s_or_b32 s16, s16, exec_lo
	s_trap 2
	s_cbranch_execz .LBB110_2463
	s_branch .LBB110_2464
.LBB110_2527:
	s_mov_b32 s23, -1
	s_mov_b32 s22, 0
	s_mov_b32 s20, 0
	s_branch .LBB110_2529
.LBB110_2528:
	s_mov_b32 s20, -1
	s_mov_b32 s22, 0
.LBB110_2529:
                                        ; implicit-def: $vgpr8
.LBB110_2530:
	s_and_b32 vcc_lo, exec_lo, s23
	s_cbranch_vccz .LBB110_2534
; %bb.2531:
	s_cmp_eq_u32 s14, 44
	s_cbranch_scc0 .LBB110_2533
; %bb.2532:
	s_wait_loadcnt 0x0
	global_load_u8 v1, v[12:13], off
	s_mov_b32 s20, 0
	s_mov_b32 s22, -1
	s_wait_loadcnt 0x0
	v_lshlrev_b32_e32 v3, 23, v1
	v_cmp_ne_u32_e32 vcc_lo, 0, v1
	s_delay_alu instid0(VALU_DEP_2) | instskip(NEXT) | instid1(VALU_DEP_1)
	v_cvt_i32_f32_e32 v3, v3
	v_cndmask_b32_e32 v8, 0, v3, vcc_lo
	s_branch .LBB110_2534
.LBB110_2533:
	s_mov_b32 s20, -1
                                        ; implicit-def: $vgpr8
.LBB110_2534:
	s_mov_b32 s23, 0
.LBB110_2535:
	s_delay_alu instid0(SALU_CYCLE_1)
	s_and_b32 vcc_lo, exec_lo, s23
	s_cbranch_vccz .LBB110_2539
; %bb.2536:
	s_cmp_eq_u32 s14, 29
	s_cbranch_scc0 .LBB110_2538
; %bb.2537:
	global_load_b64 v[8:9], v[12:13], off
	s_mov_b32 s20, 0
	s_mov_b32 s22, -1
	s_branch .LBB110_2539
.LBB110_2538:
	s_mov_b32 s20, -1
                                        ; implicit-def: $vgpr8
.LBB110_2539:
	s_mov_b32 s23, 0
.LBB110_2540:
	s_delay_alu instid0(SALU_CYCLE_1)
	s_and_b32 vcc_lo, exec_lo, s23
	s_cbranch_vccz .LBB110_2556
; %bb.2541:
	s_cmp_lt_i32 s14, 27
	s_cbranch_scc1 .LBB110_2544
; %bb.2542:
	s_cmp_gt_i32 s14, 27
	s_cbranch_scc0 .LBB110_2545
; %bb.2543:
	s_wait_loadcnt 0x0
	global_load_b32 v8, v[12:13], off
	s_mov_b32 s22, 0
	s_branch .LBB110_2546
.LBB110_2544:
	s_mov_b32 s22, -1
                                        ; implicit-def: $vgpr8
	s_branch .LBB110_2549
.LBB110_2545:
	s_mov_b32 s22, -1
                                        ; implicit-def: $vgpr8
.LBB110_2546:
	s_delay_alu instid0(SALU_CYCLE_1)
	s_and_not1_b32 vcc_lo, exec_lo, s22
	s_cbranch_vccnz .LBB110_2548
; %bb.2547:
	s_wait_loadcnt 0x0
	global_load_u16 v8, v[12:13], off
.LBB110_2548:
	s_mov_b32 s22, 0
.LBB110_2549:
	s_delay_alu instid0(SALU_CYCLE_1)
	s_and_not1_b32 vcc_lo, exec_lo, s22
	s_cbranch_vccnz .LBB110_2555
; %bb.2550:
	s_wait_loadcnt 0x0
	global_load_u8 v1, v[12:13], off
	s_mov_b32 s23, 0
	s_mov_b32 s22, exec_lo
	s_wait_loadcnt 0x0
	v_cmpx_lt_i16_e32 0x7f, v1
	s_xor_b32 s22, exec_lo, s22
	s_cbranch_execz .LBB110_2567
; %bb.2551:
	v_cmp_ne_u16_e32 vcc_lo, 0x80, v1
	s_and_b32 s23, vcc_lo, exec_lo
	s_and_not1_saveexec_b32 s22, s22
	s_cbranch_execnz .LBB110_2568
.LBB110_2552:
	s_or_b32 exec_lo, exec_lo, s22
	v_mov_b32_e32 v8, 0
	s_and_saveexec_b32 s22, s23
	s_cbranch_execz .LBB110_2554
.LBB110_2553:
	v_and_b32_e32 v3, 0xffff, v1
	s_delay_alu instid0(VALU_DEP_1) | instskip(SKIP_1) | instid1(VALU_DEP_2)
	v_dual_lshlrev_b32 v1, 24, v1 :: v_dual_bitop2_b32 v5, 7, v3 bitop3:0x40
	v_bfe_u32 v9, v3, 3, 4
	v_and_b32_e32 v1, 0x80000000, v1
	s_delay_alu instid0(VALU_DEP_3) | instskip(NEXT) | instid1(VALU_DEP_3)
	v_clz_i32_u32_e32 v7, v5
	v_cmp_eq_u32_e32 vcc_lo, 0, v9
	s_delay_alu instid0(VALU_DEP_2) | instskip(NEXT) | instid1(VALU_DEP_1)
	v_min_u32_e32 v7, 32, v7
	v_subrev_nc_u32_e32 v8, 28, v7
	v_sub_nc_u32_e32 v7, 29, v7
	s_delay_alu instid0(VALU_DEP_2) | instskip(NEXT) | instid1(VALU_DEP_2)
	v_lshlrev_b32_e32 v3, v8, v3
	v_cndmask_b32_e32 v7, v9, v7, vcc_lo
	s_delay_alu instid0(VALU_DEP_2) | instskip(NEXT) | instid1(VALU_DEP_1)
	v_and_b32_e32 v3, 7, v3
	v_cndmask_b32_e32 v3, v5, v3, vcc_lo
	s_delay_alu instid0(VALU_DEP_3) | instskip(NEXT) | instid1(VALU_DEP_2)
	v_lshl_add_u32 v5, v7, 23, 0x3b800000
	v_lshlrev_b32_e32 v3, 20, v3
	s_delay_alu instid0(VALU_DEP_1) | instskip(NEXT) | instid1(VALU_DEP_1)
	v_or3_b32 v1, v1, v5, v3
	v_cvt_i32_f32_e32 v8, v1
.LBB110_2554:
	s_or_b32 exec_lo, exec_lo, s22
.LBB110_2555:
	s_mov_b32 s22, -1
.LBB110_2556:
	s_mov_b32 s23, 0
.LBB110_2557:
	s_delay_alu instid0(SALU_CYCLE_1)
	s_and_b32 vcc_lo, exec_lo, s23
	s_cbranch_vccz .LBB110_2588
; %bb.2558:
	s_cmp_gt_i32 s14, 22
	s_cbranch_scc0 .LBB110_2566
; %bb.2559:
	s_cmp_lt_i32 s14, 24
	s_cbranch_scc1 .LBB110_2569
; %bb.2560:
	s_cmp_gt_i32 s14, 24
	s_cbranch_scc0 .LBB110_2570
; %bb.2561:
	s_wait_loadcnt 0x0
	global_load_u8 v1, v[12:13], off
	s_mov_b32 s22, 0
	s_mov_b32 s21, exec_lo
	s_wait_loadcnt 0x0
	v_cmpx_lt_i16_e32 0x7f, v1
	s_xor_b32 s21, exec_lo, s21
	s_cbranch_execz .LBB110_2582
; %bb.2562:
	v_cmp_ne_u16_e32 vcc_lo, 0x80, v1
	s_and_b32 s22, vcc_lo, exec_lo
	s_and_not1_saveexec_b32 s21, s21
	s_cbranch_execnz .LBB110_2583
.LBB110_2563:
	s_or_b32 exec_lo, exec_lo, s21
	v_mov_b32_e32 v8, 0
	s_and_saveexec_b32 s21, s22
	s_cbranch_execz .LBB110_2565
.LBB110_2564:
	v_and_b32_e32 v3, 0xffff, v1
	s_delay_alu instid0(VALU_DEP_1) | instskip(SKIP_1) | instid1(VALU_DEP_2)
	v_dual_lshlrev_b32 v1, 24, v1 :: v_dual_bitop2_b32 v5, 3, v3 bitop3:0x40
	v_bfe_u32 v9, v3, 2, 5
	v_and_b32_e32 v1, 0x80000000, v1
	s_delay_alu instid0(VALU_DEP_3) | instskip(NEXT) | instid1(VALU_DEP_3)
	v_clz_i32_u32_e32 v7, v5
	v_cmp_eq_u32_e32 vcc_lo, 0, v9
	s_delay_alu instid0(VALU_DEP_2) | instskip(NEXT) | instid1(VALU_DEP_1)
	v_min_u32_e32 v7, 32, v7
	v_subrev_nc_u32_e32 v8, 29, v7
	v_sub_nc_u32_e32 v7, 30, v7
	s_delay_alu instid0(VALU_DEP_2) | instskip(NEXT) | instid1(VALU_DEP_2)
	v_lshlrev_b32_e32 v3, v8, v3
	v_cndmask_b32_e32 v7, v9, v7, vcc_lo
	s_delay_alu instid0(VALU_DEP_2) | instskip(NEXT) | instid1(VALU_DEP_1)
	v_and_b32_e32 v3, 3, v3
	v_cndmask_b32_e32 v3, v5, v3, vcc_lo
	s_delay_alu instid0(VALU_DEP_3) | instskip(NEXT) | instid1(VALU_DEP_2)
	v_lshl_add_u32 v5, v7, 23, 0x37800000
	v_lshlrev_b32_e32 v3, 21, v3
	s_delay_alu instid0(VALU_DEP_1) | instskip(NEXT) | instid1(VALU_DEP_1)
	v_or3_b32 v1, v1, v5, v3
	v_cvt_i32_f32_e32 v8, v1
.LBB110_2565:
	s_or_b32 exec_lo, exec_lo, s21
	s_mov_b32 s21, 0
	s_branch .LBB110_2571
.LBB110_2566:
	s_mov_b32 s21, -1
                                        ; implicit-def: $vgpr8
	s_branch .LBB110_2577
.LBB110_2567:
	s_and_not1_saveexec_b32 s22, s22
	s_cbranch_execz .LBB110_2552
.LBB110_2568:
	v_cmp_ne_u16_e32 vcc_lo, 0, v1
	s_and_not1_b32 s23, s23, exec_lo
	s_and_b32 s24, vcc_lo, exec_lo
	s_delay_alu instid0(SALU_CYCLE_1)
	s_or_b32 s23, s23, s24
	s_or_b32 exec_lo, exec_lo, s22
	v_mov_b32_e32 v8, 0
	s_and_saveexec_b32 s22, s23
	s_cbranch_execnz .LBB110_2553
	s_branch .LBB110_2554
.LBB110_2569:
	s_mov_b32 s21, -1
                                        ; implicit-def: $vgpr8
	s_branch .LBB110_2574
.LBB110_2570:
	s_mov_b32 s21, -1
                                        ; implicit-def: $vgpr8
.LBB110_2571:
	s_delay_alu instid0(SALU_CYCLE_1)
	s_and_b32 vcc_lo, exec_lo, s21
	s_cbranch_vccz .LBB110_2573
; %bb.2572:
	s_wait_loadcnt 0x0
	global_load_u8 v1, v[12:13], off
	s_wait_loadcnt 0x0
	v_lshlrev_b32_e32 v1, 24, v1
	s_delay_alu instid0(VALU_DEP_1) | instskip(NEXT) | instid1(VALU_DEP_1)
	v_and_b32_e32 v3, 0x7f000000, v1
	v_clz_i32_u32_e32 v5, v3
	v_cmp_ne_u32_e32 vcc_lo, 0, v3
	v_add_nc_u32_e32 v8, 0x1000000, v3
	s_delay_alu instid0(VALU_DEP_3) | instskip(NEXT) | instid1(VALU_DEP_1)
	v_min_u32_e32 v5, 32, v5
	v_sub_nc_u32_e64 v5, v5, 4 clamp
	s_delay_alu instid0(VALU_DEP_1) | instskip(NEXT) | instid1(VALU_DEP_1)
	v_dual_lshlrev_b32 v7, v5, v3 :: v_dual_lshlrev_b32 v5, 23, v5
	v_lshrrev_b32_e32 v7, 4, v7
	s_delay_alu instid0(VALU_DEP_1) | instskip(NEXT) | instid1(VALU_DEP_1)
	v_dual_sub_nc_u32 v5, v7, v5 :: v_dual_ashrrev_i32 v7, 8, v8
	v_add_nc_u32_e32 v5, 0x3c000000, v5
	s_delay_alu instid0(VALU_DEP_1) | instskip(NEXT) | instid1(VALU_DEP_1)
	v_and_or_b32 v5, 0x7f800000, v7, v5
	v_cndmask_b32_e32 v3, 0, v5, vcc_lo
	s_delay_alu instid0(VALU_DEP_1) | instskip(NEXT) | instid1(VALU_DEP_1)
	v_and_or_b32 v1, 0x80000000, v1, v3
	v_cvt_i32_f32_e32 v8, v1
.LBB110_2573:
	s_mov_b32 s21, 0
.LBB110_2574:
	s_delay_alu instid0(SALU_CYCLE_1)
	s_and_not1_b32 vcc_lo, exec_lo, s21
	s_cbranch_vccnz .LBB110_2576
; %bb.2575:
	s_wait_loadcnt 0x0
	global_load_u8 v1, v[12:13], off
	s_wait_loadcnt 0x0
	v_lshlrev_b32_e32 v3, 25, v1
	v_lshlrev_b16 v1, 8, v1
	s_delay_alu instid0(VALU_DEP_1) | instskip(SKIP_1) | instid1(VALU_DEP_2)
	v_and_or_b32 v7, 0x7f00, v1, 0.5
	v_bfe_i32 v1, v1, 0, 16
	v_add_f32_e32 v7, -0.5, v7
	v_lshrrev_b32_e32 v5, 4, v3
	v_cmp_gt_u32_e32 vcc_lo, 0x8000000, v3
	s_delay_alu instid0(VALU_DEP_2) | instskip(NEXT) | instid1(VALU_DEP_1)
	v_or_b32_e32 v5, 0x70000000, v5
	v_mul_f32_e32 v5, 0x7800000, v5
	s_delay_alu instid0(VALU_DEP_1) | instskip(NEXT) | instid1(VALU_DEP_1)
	v_cndmask_b32_e32 v3, v5, v7, vcc_lo
	v_and_or_b32 v1, 0x80000000, v1, v3
	s_delay_alu instid0(VALU_DEP_1)
	v_cvt_i32_f32_e32 v8, v1
.LBB110_2576:
	s_mov_b32 s21, 0
	s_mov_b32 s22, -1
.LBB110_2577:
	s_and_not1_b32 vcc_lo, exec_lo, s21
	s_mov_b32 s21, 0
	s_cbranch_vccnz .LBB110_2588
; %bb.2578:
	s_cmp_gt_i32 s14, 14
	s_cbranch_scc0 .LBB110_2581
; %bb.2579:
	s_cmp_eq_u32 s14, 15
	s_cbranch_scc0 .LBB110_2584
; %bb.2580:
	s_wait_loadcnt 0x0
	global_load_u16 v1, v[12:13], off
	s_mov_b32 s20, 0
	s_mov_b32 s22, -1
	s_wait_loadcnt 0x0
	v_lshlrev_b32_e32 v1, 16, v1
	s_delay_alu instid0(VALU_DEP_1)
	v_cvt_i32_f32_e32 v8, v1
	s_branch .LBB110_2586
.LBB110_2581:
	s_mov_b32 s21, -1
	s_branch .LBB110_2585
.LBB110_2582:
	s_and_not1_saveexec_b32 s21, s21
	s_cbranch_execz .LBB110_2563
.LBB110_2583:
	v_cmp_ne_u16_e32 vcc_lo, 0, v1
	s_and_not1_b32 s22, s22, exec_lo
	s_and_b32 s23, vcc_lo, exec_lo
	s_delay_alu instid0(SALU_CYCLE_1)
	s_or_b32 s22, s22, s23
	s_or_b32 exec_lo, exec_lo, s21
	v_mov_b32_e32 v8, 0
	s_and_saveexec_b32 s21, s22
	s_cbranch_execnz .LBB110_2564
	s_branch .LBB110_2565
.LBB110_2584:
	s_mov_b32 s20, -1
.LBB110_2585:
                                        ; implicit-def: $vgpr8
.LBB110_2586:
	s_and_b32 vcc_lo, exec_lo, s21
	s_mov_b32 s21, 0
	s_cbranch_vccz .LBB110_2588
; %bb.2587:
	s_cmp_lg_u32 s14, 11
	s_mov_b32 s21, -1
	s_cselect_b32 s20, -1, 0
.LBB110_2588:
	s_delay_alu instid0(SALU_CYCLE_1)
	s_and_b32 vcc_lo, exec_lo, s20
	s_cbranch_vccnz .LBB110_2653
; %bb.2589:
	s_and_not1_b32 vcc_lo, exec_lo, s21
	s_cbranch_vccnz .LBB110_2591
.LBB110_2590:
	s_wait_loadcnt 0x0
	global_load_u8 v1, v[12:13], off
	s_mov_b32 s22, -1
	s_wait_loadcnt 0x0
	v_cmp_ne_u16_e32 vcc_lo, 0, v1
	v_cndmask_b32_e64 v8, 0, 1, vcc_lo
.LBB110_2591:
	s_mov_b32 s14, 0
.LBB110_2592:
	s_delay_alu instid0(SALU_CYCLE_1)
	s_and_b32 vcc_lo, exec_lo, s14
	s_cbranch_vccz .LBB110_2641
; %bb.2593:
	s_and_b32 s14, 0xffff, s3
	s_delay_alu instid0(SALU_CYCLE_1)
	s_cmp_lt_i32 s14, 5
	s_cbranch_scc1 .LBB110_2598
; %bb.2594:
	s_cmp_lt_i32 s14, 8
	s_cbranch_scc1 .LBB110_2599
; %bb.2595:
	;; [unrolled: 3-line block ×3, first 2 shown]
	s_cmp_gt_i32 s14, 9
	s_cbranch_scc0 .LBB110_2601
; %bb.2597:
	s_wait_loadcnt 0x0
	global_load_b64 v[8:9], v[12:13], off
	s_mov_b32 s20, 0
	s_wait_loadcnt 0x0
	v_cvt_i32_f64_e32 v8, v[8:9]
	s_branch .LBB110_2602
.LBB110_2598:
	s_mov_b32 s20, -1
                                        ; implicit-def: $vgpr8
	s_branch .LBB110_2620
.LBB110_2599:
	s_mov_b32 s20, -1
                                        ; implicit-def: $vgpr8
	s_branch .LBB110_2608
.LBB110_2600:
	s_mov_b32 s20, -1
                                        ; implicit-def: $vgpr8
	s_branch .LBB110_2605
.LBB110_2601:
	s_mov_b32 s20, -1
                                        ; implicit-def: $vgpr8
.LBB110_2602:
	s_delay_alu instid0(SALU_CYCLE_1)
	s_and_not1_b32 vcc_lo, exec_lo, s20
	s_cbranch_vccnz .LBB110_2604
; %bb.2603:
	s_wait_loadcnt 0x0
	global_load_b32 v1, v[12:13], off
	s_wait_loadcnt 0x0
	v_cvt_i32_f32_e32 v8, v1
.LBB110_2604:
	s_mov_b32 s20, 0
.LBB110_2605:
	s_delay_alu instid0(SALU_CYCLE_1)
	s_and_not1_b32 vcc_lo, exec_lo, s20
	s_cbranch_vccnz .LBB110_2607
; %bb.2606:
	s_wait_loadcnt 0x0
	global_load_b32 v1, v[12:13], off
	s_wait_loadcnt 0x0
	v_cvt_i16_f16_e32 v8, v1
.LBB110_2607:
	s_mov_b32 s20, 0
.LBB110_2608:
	s_delay_alu instid0(SALU_CYCLE_1)
	s_and_not1_b32 vcc_lo, exec_lo, s20
	s_cbranch_vccnz .LBB110_2619
; %bb.2609:
	s_cmp_lt_i32 s14, 6
	s_cbranch_scc1 .LBB110_2612
; %bb.2610:
	s_cmp_gt_i32 s14, 6
	s_cbranch_scc0 .LBB110_2613
; %bb.2611:
	s_wait_loadcnt 0x0
	global_load_b64 v[8:9], v[12:13], off
	s_mov_b32 s20, 0
	s_wait_loadcnt 0x0
	v_cvt_i32_f64_e32 v8, v[8:9]
	s_branch .LBB110_2614
.LBB110_2612:
	s_mov_b32 s20, -1
                                        ; implicit-def: $vgpr8
	s_branch .LBB110_2617
.LBB110_2613:
	s_mov_b32 s20, -1
                                        ; implicit-def: $vgpr8
.LBB110_2614:
	s_delay_alu instid0(SALU_CYCLE_1)
	s_and_not1_b32 vcc_lo, exec_lo, s20
	s_cbranch_vccnz .LBB110_2616
; %bb.2615:
	s_wait_loadcnt 0x0
	global_load_b32 v1, v[12:13], off
	s_wait_loadcnt 0x0
	v_cvt_i32_f32_e32 v8, v1
.LBB110_2616:
	s_mov_b32 s20, 0
.LBB110_2617:
	s_delay_alu instid0(SALU_CYCLE_1)
	s_and_not1_b32 vcc_lo, exec_lo, s20
	s_cbranch_vccnz .LBB110_2619
; %bb.2618:
	s_wait_loadcnt 0x0
	global_load_u16 v1, v[12:13], off
	s_wait_loadcnt 0x0
	v_cvt_i16_f16_e32 v8, v1
.LBB110_2619:
	s_mov_b32 s20, 0
.LBB110_2620:
	s_delay_alu instid0(SALU_CYCLE_1)
	s_and_not1_b32 vcc_lo, exec_lo, s20
	s_cbranch_vccnz .LBB110_2640
; %bb.2621:
	s_cmp_lt_i32 s14, 2
	s_cbranch_scc1 .LBB110_2625
; %bb.2622:
	s_cmp_lt_i32 s14, 3
	s_cbranch_scc1 .LBB110_2626
; %bb.2623:
	s_cmp_gt_i32 s14, 3
	s_cbranch_scc0 .LBB110_2627
; %bb.2624:
	s_wait_loadcnt 0x0
	global_load_b64 v[8:9], v[12:13], off
	s_mov_b32 s20, 0
	s_branch .LBB110_2628
.LBB110_2625:
	s_mov_b32 s20, -1
                                        ; implicit-def: $vgpr8
	s_branch .LBB110_2634
.LBB110_2626:
	s_mov_b32 s20, -1
                                        ; implicit-def: $vgpr8
	s_branch .LBB110_2631
.LBB110_2627:
	s_mov_b32 s20, -1
                                        ; implicit-def: $vgpr8
.LBB110_2628:
	s_delay_alu instid0(SALU_CYCLE_1)
	s_and_not1_b32 vcc_lo, exec_lo, s20
	s_cbranch_vccnz .LBB110_2630
; %bb.2629:
	s_wait_loadcnt 0x0
	global_load_b32 v8, v[12:13], off
.LBB110_2630:
	s_mov_b32 s20, 0
.LBB110_2631:
	s_delay_alu instid0(SALU_CYCLE_1)
	s_and_not1_b32 vcc_lo, exec_lo, s20
	s_cbranch_vccnz .LBB110_2633
; %bb.2632:
	s_wait_loadcnt 0x0
	global_load_u16 v8, v[12:13], off
.LBB110_2633:
	s_mov_b32 s20, 0
.LBB110_2634:
	s_delay_alu instid0(SALU_CYCLE_1)
	s_and_not1_b32 vcc_lo, exec_lo, s20
	s_cbranch_vccnz .LBB110_2640
; %bb.2635:
	s_cmp_gt_i32 s14, 0
	s_mov_b32 s14, 0
	s_cbranch_scc0 .LBB110_2637
; %bb.2636:
	s_wait_loadcnt 0x0
	global_load_u8 v8, v[12:13], off
	s_branch .LBB110_2638
.LBB110_2637:
	s_mov_b32 s14, -1
                                        ; implicit-def: $vgpr8
.LBB110_2638:
	s_delay_alu instid0(SALU_CYCLE_1)
	s_and_not1_b32 vcc_lo, exec_lo, s14
	s_cbranch_vccnz .LBB110_2640
; %bb.2639:
	s_wait_loadcnt 0x0
	global_load_u8 v8, v[12:13], off
.LBB110_2640:
	s_mov_b32 s22, -1
.LBB110_2641:
	s_delay_alu instid0(SALU_CYCLE_1)
	s_and_not1_b32 vcc_lo, exec_lo, s22
	s_cbranch_vccnz .LBB110_3968
; %bb.2642:
	s_lshl_b32 s14, s15, 7
	s_cmp_lt_i32 s0, 11
	v_add_nc_u32_e32 v18, s14, v10
	s_delay_alu instid0(VALU_DEP_1) | instskip(NEXT) | instid1(VALU_DEP_1)
	v_ashrrev_i32_e32 v19, 31, v18
	v_add_nc_u64_e32 v[10:11], s[10:11], v[18:19]
	s_cbranch_scc1 .LBB110_2649
; %bb.2643:
	s_cmp_gt_i32 s0, 25
	s_mov_b32 s20, 0
	s_cbranch_scc0 .LBB110_2650
; %bb.2644:
	s_cmp_gt_i32 s0, 28
	s_cbranch_scc0 .LBB110_2651
; %bb.2645:
	s_cmp_gt_i32 s0, 43
	;; [unrolled: 3-line block ×3, first 2 shown]
	s_cbranch_scc0 .LBB110_2654
; %bb.2647:
	s_cmp_eq_u32 s0, 46
	s_mov_b32 s22, 0
	s_cbranch_scc0 .LBB110_2657
; %bb.2648:
	s_wait_loadcnt 0x0
	global_load_b32 v1, v[10:11], off
	s_mov_b32 s15, 0
	s_mov_b32 s21, -1
	s_wait_loadcnt 0x0
	v_lshlrev_b32_e32 v1, 16, v1
	s_wait_xcnt 0x1
	s_delay_alu instid0(VALU_DEP_1)
	v_cvt_i32_f32_e32 v12, v1
	s_branch .LBB110_2659
.LBB110_2649:
	s_mov_b32 s15, -1
	s_mov_b32 s21, 0
                                        ; implicit-def: $vgpr12
	s_branch .LBB110_2721
.LBB110_2650:
	s_mov_b32 s22, -1
	s_mov_b32 s21, 0
	s_mov_b32 s15, 0
                                        ; implicit-def: $vgpr12
	s_branch .LBB110_2686
.LBB110_2651:
	s_mov_b32 s22, -1
	s_mov_b32 s21, 0
	s_mov_b32 s15, 0
                                        ; implicit-def: $vgpr12
	s_branch .LBB110_2669
.LBB110_2652:
	s_mov_b32 s22, -1
	s_mov_b32 s21, 0
	s_mov_b32 s15, 0
                                        ; implicit-def: $vgpr12
	s_branch .LBB110_2664
.LBB110_2653:
	s_or_b32 s16, s16, exec_lo
	s_trap 2
	s_cbranch_execz .LBB110_2590
	s_branch .LBB110_2591
.LBB110_2654:
	s_mov_b32 s22, -1
	s_mov_b32 s21, 0
	s_mov_b32 s15, 0
	s_branch .LBB110_2658
.LBB110_2655:
	s_and_not1_saveexec_b32 s39, s39
	s_cbranch_execz .LBB110_1428
.LBB110_2656:
	v_add_f32_e64 v3, 0x46000000, |v2|
	s_and_not1_b32 s38, s38, exec_lo
	s_delay_alu instid0(VALU_DEP_1) | instskip(NEXT) | instid1(VALU_DEP_1)
	v_and_b32_e32 v3, 0xff, v3
	v_cmp_ne_u32_e32 vcc_lo, 0, v3
	s_and_b32 s40, vcc_lo, exec_lo
	s_delay_alu instid0(SALU_CYCLE_1)
	s_or_b32 s38, s38, s40
	s_or_b32 exec_lo, exec_lo, s39
	v_mov_b32_e32 v5, 0
	s_and_saveexec_b32 s39, s38
	s_cbranch_execnz .LBB110_1429
	s_branch .LBB110_1430
.LBB110_2657:
	s_mov_b32 s15, -1
	s_mov_b32 s21, 0
.LBB110_2658:
                                        ; implicit-def: $vgpr12
.LBB110_2659:
	s_and_b32 vcc_lo, exec_lo, s22
	s_cbranch_vccz .LBB110_2663
; %bb.2660:
	s_cmp_eq_u32 s0, 44
	s_cbranch_scc0 .LBB110_2662
; %bb.2661:
	s_wait_loadcnt 0x0
	global_load_u8 v1, v[10:11], off
	s_mov_b32 s15, 0
	s_mov_b32 s21, -1
	s_wait_loadcnt 0x0
	v_lshlrev_b32_e32 v3, 23, v1
	v_cmp_ne_u32_e32 vcc_lo, 0, v1
	s_delay_alu instid0(VALU_DEP_2) | instskip(SKIP_1) | instid1(VALU_DEP_1)
	v_cvt_i32_f32_e32 v3, v3
	s_wait_xcnt 0x1
	v_cndmask_b32_e32 v12, 0, v3, vcc_lo
	s_branch .LBB110_2663
.LBB110_2662:
	s_mov_b32 s15, -1
                                        ; implicit-def: $vgpr12
.LBB110_2663:
	s_mov_b32 s22, 0
.LBB110_2664:
	s_delay_alu instid0(SALU_CYCLE_1)
	s_and_b32 vcc_lo, exec_lo, s22
	s_cbranch_vccz .LBB110_2668
; %bb.2665:
	s_cmp_eq_u32 s0, 29
	s_cbranch_scc0 .LBB110_2667
; %bb.2666:
	global_load_b64 v[12:13], v[10:11], off
	s_mov_b32 s15, 0
	s_mov_b32 s21, -1
	s_branch .LBB110_2668
.LBB110_2667:
	s_mov_b32 s15, -1
                                        ; implicit-def: $vgpr12
.LBB110_2668:
	s_mov_b32 s22, 0
.LBB110_2669:
	s_delay_alu instid0(SALU_CYCLE_1)
	s_and_b32 vcc_lo, exec_lo, s22
	s_cbranch_vccz .LBB110_2685
; %bb.2670:
	s_cmp_lt_i32 s0, 27
	s_cbranch_scc1 .LBB110_2673
; %bb.2671:
	s_cmp_gt_i32 s0, 27
	s_cbranch_scc0 .LBB110_2674
; %bb.2672:
	s_wait_loadcnt 0x0
	global_load_b32 v12, v[10:11], off
	s_mov_b32 s21, 0
	s_branch .LBB110_2675
.LBB110_2673:
	s_mov_b32 s21, -1
                                        ; implicit-def: $vgpr12
	s_branch .LBB110_2678
.LBB110_2674:
	s_mov_b32 s21, -1
                                        ; implicit-def: $vgpr12
.LBB110_2675:
	s_delay_alu instid0(SALU_CYCLE_1)
	s_and_not1_b32 vcc_lo, exec_lo, s21
	s_cbranch_vccnz .LBB110_2677
; %bb.2676:
	s_wait_loadcnt 0x0
	global_load_u16 v12, v[10:11], off
.LBB110_2677:
	s_mov_b32 s21, 0
.LBB110_2678:
	s_delay_alu instid0(SALU_CYCLE_1)
	s_and_not1_b32 vcc_lo, exec_lo, s21
	s_cbranch_vccnz .LBB110_2684
; %bb.2679:
	s_wait_loadcnt 0x0
	global_load_u8 v1, v[10:11], off
	s_mov_b32 s22, 0
	s_mov_b32 s21, exec_lo
	s_wait_loadcnt 0x0
	v_cmpx_lt_i16_e32 0x7f, v1
	s_xor_b32 s21, exec_lo, s21
	s_cbranch_execz .LBB110_2696
; %bb.2680:
	v_cmp_ne_u16_e32 vcc_lo, 0x80, v1
	s_and_b32 s22, vcc_lo, exec_lo
	s_and_not1_saveexec_b32 s21, s21
	s_cbranch_execnz .LBB110_2697
.LBB110_2681:
	s_or_b32 exec_lo, exec_lo, s21
	v_mov_b32_e32 v12, 0
	s_and_saveexec_b32 s21, s22
	s_cbranch_execz .LBB110_2683
.LBB110_2682:
	v_and_b32_e32 v3, 0xffff, v1
	s_delay_alu instid0(VALU_DEP_1) | instskip(SKIP_1) | instid1(VALU_DEP_2)
	v_dual_lshlrev_b32 v1, 24, v1 :: v_dual_bitop2_b32 v5, 7, v3 bitop3:0x40
	v_bfe_u32 v12, v3, 3, 4
	v_and_b32_e32 v1, 0x80000000, v1
	s_delay_alu instid0(VALU_DEP_3) | instskip(NEXT) | instid1(VALU_DEP_3)
	v_clz_i32_u32_e32 v7, v5
	v_cmp_eq_u32_e32 vcc_lo, 0, v12
	s_delay_alu instid0(VALU_DEP_2) | instskip(NEXT) | instid1(VALU_DEP_1)
	v_min_u32_e32 v7, 32, v7
	v_subrev_nc_u32_e32 v9, 28, v7
	v_sub_nc_u32_e32 v7, 29, v7
	s_delay_alu instid0(VALU_DEP_2) | instskip(NEXT) | instid1(VALU_DEP_2)
	v_lshlrev_b32_e32 v3, v9, v3
	v_cndmask_b32_e32 v7, v12, v7, vcc_lo
	s_delay_alu instid0(VALU_DEP_2) | instskip(NEXT) | instid1(VALU_DEP_1)
	v_and_b32_e32 v3, 7, v3
	v_cndmask_b32_e32 v3, v5, v3, vcc_lo
	s_delay_alu instid0(VALU_DEP_3) | instskip(NEXT) | instid1(VALU_DEP_2)
	v_lshl_add_u32 v5, v7, 23, 0x3b800000
	v_lshlrev_b32_e32 v3, 20, v3
	s_delay_alu instid0(VALU_DEP_1) | instskip(NEXT) | instid1(VALU_DEP_1)
	v_or3_b32 v1, v1, v5, v3
	v_cvt_i32_f32_e32 v12, v1
.LBB110_2683:
	s_or_b32 exec_lo, exec_lo, s21
.LBB110_2684:
	s_mov_b32 s21, -1
.LBB110_2685:
	s_mov_b32 s22, 0
.LBB110_2686:
	s_delay_alu instid0(SALU_CYCLE_1)
	s_and_b32 vcc_lo, exec_lo, s22
	s_cbranch_vccz .LBB110_2717
; %bb.2687:
	s_cmp_gt_i32 s0, 22
	s_cbranch_scc0 .LBB110_2695
; %bb.2688:
	s_cmp_lt_i32 s0, 24
	s_cbranch_scc1 .LBB110_2698
; %bb.2689:
	s_cmp_gt_i32 s0, 24
	s_cbranch_scc0 .LBB110_2699
; %bb.2690:
	s_wait_loadcnt 0x0
	global_load_u8 v1, v[10:11], off
	s_mov_b32 s21, 0
	s_mov_b32 s20, exec_lo
	s_wait_loadcnt 0x0
	v_cmpx_lt_i16_e32 0x7f, v1
	s_xor_b32 s20, exec_lo, s20
	s_cbranch_execz .LBB110_2711
; %bb.2691:
	v_cmp_ne_u16_e32 vcc_lo, 0x80, v1
	s_and_b32 s21, vcc_lo, exec_lo
	s_and_not1_saveexec_b32 s20, s20
	s_cbranch_execnz .LBB110_2712
.LBB110_2692:
	s_or_b32 exec_lo, exec_lo, s20
	v_mov_b32_e32 v12, 0
	s_and_saveexec_b32 s20, s21
	s_cbranch_execz .LBB110_2694
.LBB110_2693:
	v_and_b32_e32 v3, 0xffff, v1
	s_delay_alu instid0(VALU_DEP_1) | instskip(SKIP_1) | instid1(VALU_DEP_2)
	v_dual_lshlrev_b32 v1, 24, v1 :: v_dual_bitop2_b32 v5, 3, v3 bitop3:0x40
	v_bfe_u32 v12, v3, 2, 5
	v_and_b32_e32 v1, 0x80000000, v1
	s_delay_alu instid0(VALU_DEP_3) | instskip(NEXT) | instid1(VALU_DEP_3)
	v_clz_i32_u32_e32 v7, v5
	v_cmp_eq_u32_e32 vcc_lo, 0, v12
	s_delay_alu instid0(VALU_DEP_2) | instskip(NEXT) | instid1(VALU_DEP_1)
	v_min_u32_e32 v7, 32, v7
	v_subrev_nc_u32_e32 v9, 29, v7
	v_sub_nc_u32_e32 v7, 30, v7
	s_delay_alu instid0(VALU_DEP_2) | instskip(NEXT) | instid1(VALU_DEP_2)
	v_lshlrev_b32_e32 v3, v9, v3
	v_cndmask_b32_e32 v7, v12, v7, vcc_lo
	s_delay_alu instid0(VALU_DEP_2) | instskip(NEXT) | instid1(VALU_DEP_1)
	v_and_b32_e32 v3, 3, v3
	v_cndmask_b32_e32 v3, v5, v3, vcc_lo
	s_delay_alu instid0(VALU_DEP_3) | instskip(NEXT) | instid1(VALU_DEP_2)
	v_lshl_add_u32 v5, v7, 23, 0x37800000
	v_lshlrev_b32_e32 v3, 21, v3
	s_delay_alu instid0(VALU_DEP_1) | instskip(NEXT) | instid1(VALU_DEP_1)
	v_or3_b32 v1, v1, v5, v3
	v_cvt_i32_f32_e32 v12, v1
.LBB110_2694:
	s_or_b32 exec_lo, exec_lo, s20
	s_mov_b32 s20, 0
	s_branch .LBB110_2700
.LBB110_2695:
	s_mov_b32 s20, -1
                                        ; implicit-def: $vgpr12
	s_branch .LBB110_2706
.LBB110_2696:
	s_and_not1_saveexec_b32 s21, s21
	s_cbranch_execz .LBB110_2681
.LBB110_2697:
	v_cmp_ne_u16_e32 vcc_lo, 0, v1
	s_and_not1_b32 s22, s22, exec_lo
	s_and_b32 s23, vcc_lo, exec_lo
	s_delay_alu instid0(SALU_CYCLE_1)
	s_or_b32 s22, s22, s23
	s_or_b32 exec_lo, exec_lo, s21
	v_mov_b32_e32 v12, 0
	s_and_saveexec_b32 s21, s22
	s_cbranch_execnz .LBB110_2682
	s_branch .LBB110_2683
.LBB110_2698:
	s_mov_b32 s20, -1
                                        ; implicit-def: $vgpr12
	s_branch .LBB110_2703
.LBB110_2699:
	s_mov_b32 s20, -1
                                        ; implicit-def: $vgpr12
.LBB110_2700:
	s_delay_alu instid0(SALU_CYCLE_1)
	s_and_b32 vcc_lo, exec_lo, s20
	s_cbranch_vccz .LBB110_2702
; %bb.2701:
	s_wait_loadcnt 0x0
	global_load_u8 v1, v[10:11], off
	s_wait_loadcnt 0x0
	v_lshlrev_b32_e32 v1, 24, v1
	s_delay_alu instid0(VALU_DEP_1) | instskip(NEXT) | instid1(VALU_DEP_1)
	v_and_b32_e32 v3, 0x7f000000, v1
	v_clz_i32_u32_e32 v5, v3
	v_add_nc_u32_e32 v9, 0x1000000, v3
	v_cmp_ne_u32_e32 vcc_lo, 0, v3
	s_delay_alu instid0(VALU_DEP_3) | instskip(NEXT) | instid1(VALU_DEP_1)
	v_min_u32_e32 v5, 32, v5
	v_sub_nc_u32_e64 v5, v5, 4 clamp
	s_delay_alu instid0(VALU_DEP_1) | instskip(NEXT) | instid1(VALU_DEP_1)
	v_dual_lshlrev_b32 v7, v5, v3 :: v_dual_lshlrev_b32 v5, 23, v5
	v_lshrrev_b32_e32 v7, 4, v7
	s_delay_alu instid0(VALU_DEP_1) | instskip(SKIP_1) | instid1(VALU_DEP_2)
	v_sub_nc_u32_e32 v5, v7, v5
	v_ashrrev_i32_e32 v7, 8, v9
	v_add_nc_u32_e32 v5, 0x3c000000, v5
	s_delay_alu instid0(VALU_DEP_1) | instskip(NEXT) | instid1(VALU_DEP_1)
	v_and_or_b32 v5, 0x7f800000, v7, v5
	v_cndmask_b32_e32 v3, 0, v5, vcc_lo
	s_delay_alu instid0(VALU_DEP_1) | instskip(SKIP_1) | instid1(VALU_DEP_1)
	v_and_or_b32 v1, 0x80000000, v1, v3
	s_wait_xcnt 0x1
	v_cvt_i32_f32_e32 v12, v1
.LBB110_2702:
	s_mov_b32 s20, 0
.LBB110_2703:
	s_delay_alu instid0(SALU_CYCLE_1)
	s_and_not1_b32 vcc_lo, exec_lo, s20
	s_cbranch_vccnz .LBB110_2705
; %bb.2704:
	s_wait_loadcnt 0x0
	global_load_u8 v1, v[10:11], off
	s_wait_loadcnt 0x0
	v_lshlrev_b32_e32 v3, 25, v1
	v_lshlrev_b16 v1, 8, v1
	s_delay_alu instid0(VALU_DEP_1) | instskip(SKIP_1) | instid1(VALU_DEP_2)
	v_and_or_b32 v7, 0x7f00, v1, 0.5
	v_bfe_i32 v1, v1, 0, 16
	v_add_f32_e32 v7, -0.5, v7
	v_lshrrev_b32_e32 v5, 4, v3
	v_cmp_gt_u32_e32 vcc_lo, 0x8000000, v3
	s_delay_alu instid0(VALU_DEP_2) | instskip(NEXT) | instid1(VALU_DEP_1)
	v_or_b32_e32 v5, 0x70000000, v5
	v_mul_f32_e32 v5, 0x7800000, v5
	s_delay_alu instid0(VALU_DEP_1) | instskip(NEXT) | instid1(VALU_DEP_1)
	v_cndmask_b32_e32 v3, v5, v7, vcc_lo
	v_and_or_b32 v1, 0x80000000, v1, v3
	s_wait_xcnt 0x1
	s_delay_alu instid0(VALU_DEP_1)
	v_cvt_i32_f32_e32 v12, v1
.LBB110_2705:
	s_mov_b32 s20, 0
	s_mov_b32 s21, -1
.LBB110_2706:
	s_and_not1_b32 vcc_lo, exec_lo, s20
	s_mov_b32 s20, 0
	s_cbranch_vccnz .LBB110_2717
; %bb.2707:
	s_cmp_gt_i32 s0, 14
	s_cbranch_scc0 .LBB110_2710
; %bb.2708:
	s_cmp_eq_u32 s0, 15
	s_cbranch_scc0 .LBB110_2713
; %bb.2709:
	s_wait_loadcnt 0x0
	global_load_u16 v1, v[10:11], off
	s_mov_b32 s15, 0
	s_mov_b32 s21, -1
	s_wait_loadcnt 0x0
	v_lshlrev_b32_e32 v1, 16, v1
	s_wait_xcnt 0x1
	s_delay_alu instid0(VALU_DEP_1)
	v_cvt_i32_f32_e32 v12, v1
	s_branch .LBB110_2715
.LBB110_2710:
	s_mov_b32 s20, -1
	s_branch .LBB110_2714
.LBB110_2711:
	s_and_not1_saveexec_b32 s20, s20
	s_cbranch_execz .LBB110_2692
.LBB110_2712:
	v_cmp_ne_u16_e32 vcc_lo, 0, v1
	s_and_not1_b32 s21, s21, exec_lo
	s_and_b32 s22, vcc_lo, exec_lo
	s_delay_alu instid0(SALU_CYCLE_1)
	s_or_b32 s21, s21, s22
	s_or_b32 exec_lo, exec_lo, s20
	v_mov_b32_e32 v12, 0
	s_and_saveexec_b32 s20, s21
	s_cbranch_execnz .LBB110_2693
	s_branch .LBB110_2694
.LBB110_2713:
	s_mov_b32 s15, -1
.LBB110_2714:
                                        ; implicit-def: $vgpr12
.LBB110_2715:
	s_and_b32 vcc_lo, exec_lo, s20
	s_mov_b32 s20, 0
	s_cbranch_vccz .LBB110_2717
; %bb.2716:
	s_cmp_lg_u32 s0, 11
	s_mov_b32 s20, -1
	s_cselect_b32 s15, -1, 0
.LBB110_2717:
	s_delay_alu instid0(SALU_CYCLE_1)
	s_and_b32 vcc_lo, exec_lo, s15
	s_cbranch_vccnz .LBB110_2782
; %bb.2718:
	s_and_not1_b32 vcc_lo, exec_lo, s20
	s_cbranch_vccnz .LBB110_2720
.LBB110_2719:
	s_wait_loadcnt 0x0
	global_load_u8 v1, v[10:11], off
	s_mov_b32 s21, -1
	s_wait_loadcnt 0x0
	v_cmp_ne_u16_e32 vcc_lo, 0, v1
	s_wait_xcnt 0x1
	v_cndmask_b32_e64 v12, 0, 1, vcc_lo
.LBB110_2720:
	s_mov_b32 s15, 0
.LBB110_2721:
	s_delay_alu instid0(SALU_CYCLE_1)
	s_and_b32 vcc_lo, exec_lo, s15
	s_cbranch_vccz .LBB110_2770
; %bb.2722:
	s_cmp_lt_i32 s0, 5
	s_cbranch_scc1 .LBB110_2727
; %bb.2723:
	s_cmp_lt_i32 s0, 8
	s_cbranch_scc1 .LBB110_2728
	;; [unrolled: 3-line block ×3, first 2 shown]
; %bb.2725:
	s_cmp_gt_i32 s0, 9
	s_cbranch_scc0 .LBB110_2730
; %bb.2726:
	s_wait_loadcnt 0x0
	global_load_b64 v[12:13], v[10:11], off
	s_mov_b32 s15, 0
	s_wait_loadcnt 0x0
	v_cvt_i32_f64_e32 v12, v[12:13]
	s_branch .LBB110_2731
.LBB110_2727:
	s_mov_b32 s15, -1
                                        ; implicit-def: $vgpr12
	s_branch .LBB110_2749
.LBB110_2728:
	s_mov_b32 s15, -1
                                        ; implicit-def: $vgpr12
	s_branch .LBB110_2737
.LBB110_2729:
	s_mov_b32 s15, -1
                                        ; implicit-def: $vgpr12
	s_branch .LBB110_2734
.LBB110_2730:
	s_mov_b32 s15, -1
                                        ; implicit-def: $vgpr12
.LBB110_2731:
	s_delay_alu instid0(SALU_CYCLE_1)
	s_and_not1_b32 vcc_lo, exec_lo, s15
	s_cbranch_vccnz .LBB110_2733
; %bb.2732:
	s_wait_loadcnt 0x0
	global_load_b32 v1, v[10:11], off
	s_wait_loadcnt 0x0
	s_wait_xcnt 0x1
	v_cvt_i32_f32_e32 v12, v1
.LBB110_2733:
	s_mov_b32 s15, 0
.LBB110_2734:
	s_delay_alu instid0(SALU_CYCLE_1)
	s_and_not1_b32 vcc_lo, exec_lo, s15
	s_cbranch_vccnz .LBB110_2736
; %bb.2735:
	s_wait_loadcnt 0x0
	global_load_b32 v1, v[10:11], off
	s_wait_loadcnt 0x0
	s_wait_xcnt 0x1
	v_cvt_i16_f16_e32 v12, v1
.LBB110_2736:
	s_mov_b32 s15, 0
.LBB110_2737:
	s_delay_alu instid0(SALU_CYCLE_1)
	s_and_not1_b32 vcc_lo, exec_lo, s15
	s_cbranch_vccnz .LBB110_2748
; %bb.2738:
	s_cmp_lt_i32 s0, 6
	s_cbranch_scc1 .LBB110_2741
; %bb.2739:
	s_cmp_gt_i32 s0, 6
	s_cbranch_scc0 .LBB110_2742
; %bb.2740:
	s_wait_loadcnt 0x0
	global_load_b64 v[12:13], v[10:11], off
	s_mov_b32 s15, 0
	s_wait_loadcnt 0x0
	v_cvt_i32_f64_e32 v12, v[12:13]
	s_branch .LBB110_2743
.LBB110_2741:
	s_mov_b32 s15, -1
                                        ; implicit-def: $vgpr12
	s_branch .LBB110_2746
.LBB110_2742:
	s_mov_b32 s15, -1
                                        ; implicit-def: $vgpr12
.LBB110_2743:
	s_delay_alu instid0(SALU_CYCLE_1)
	s_and_not1_b32 vcc_lo, exec_lo, s15
	s_cbranch_vccnz .LBB110_2745
; %bb.2744:
	s_wait_loadcnt 0x0
	global_load_b32 v1, v[10:11], off
	s_wait_loadcnt 0x0
	s_wait_xcnt 0x1
	v_cvt_i32_f32_e32 v12, v1
.LBB110_2745:
	s_mov_b32 s15, 0
.LBB110_2746:
	s_delay_alu instid0(SALU_CYCLE_1)
	s_and_not1_b32 vcc_lo, exec_lo, s15
	s_cbranch_vccnz .LBB110_2748
; %bb.2747:
	s_wait_loadcnt 0x0
	global_load_u16 v1, v[10:11], off
	s_wait_loadcnt 0x0
	s_wait_xcnt 0x1
	v_cvt_i16_f16_e32 v12, v1
.LBB110_2748:
	s_mov_b32 s15, 0
.LBB110_2749:
	s_delay_alu instid0(SALU_CYCLE_1)
	s_and_not1_b32 vcc_lo, exec_lo, s15
	s_cbranch_vccnz .LBB110_2769
; %bb.2750:
	s_cmp_lt_i32 s0, 2
	s_cbranch_scc1 .LBB110_2754
; %bb.2751:
	s_cmp_lt_i32 s0, 3
	s_cbranch_scc1 .LBB110_2755
; %bb.2752:
	s_cmp_gt_i32 s0, 3
	s_cbranch_scc0 .LBB110_2756
; %bb.2753:
	s_wait_loadcnt 0x0
	global_load_b64 v[12:13], v[10:11], off
	s_mov_b32 s15, 0
	s_branch .LBB110_2757
.LBB110_2754:
	s_mov_b32 s15, -1
                                        ; implicit-def: $vgpr12
	s_branch .LBB110_2763
.LBB110_2755:
	s_mov_b32 s15, -1
                                        ; implicit-def: $vgpr12
	s_branch .LBB110_2760
.LBB110_2756:
	s_mov_b32 s15, -1
                                        ; implicit-def: $vgpr12
.LBB110_2757:
	s_delay_alu instid0(SALU_CYCLE_1)
	s_and_not1_b32 vcc_lo, exec_lo, s15
	s_cbranch_vccnz .LBB110_2759
; %bb.2758:
	s_wait_loadcnt 0x0
	global_load_b32 v12, v[10:11], off
.LBB110_2759:
	s_mov_b32 s15, 0
.LBB110_2760:
	s_delay_alu instid0(SALU_CYCLE_1)
	s_and_not1_b32 vcc_lo, exec_lo, s15
	s_cbranch_vccnz .LBB110_2762
; %bb.2761:
	s_wait_loadcnt 0x0
	global_load_u16 v12, v[10:11], off
.LBB110_2762:
	s_mov_b32 s15, 0
.LBB110_2763:
	s_delay_alu instid0(SALU_CYCLE_1)
	s_and_not1_b32 vcc_lo, exec_lo, s15
	s_cbranch_vccnz .LBB110_2769
; %bb.2764:
	s_cmp_gt_i32 s0, 0
	s_mov_b32 s15, 0
	s_cbranch_scc0 .LBB110_2766
; %bb.2765:
	s_wait_loadcnt 0x0
	global_load_u8 v12, v[10:11], off
	s_branch .LBB110_2767
.LBB110_2766:
	s_mov_b32 s15, -1
                                        ; implicit-def: $vgpr12
.LBB110_2767:
	s_delay_alu instid0(SALU_CYCLE_1)
	s_and_not1_b32 vcc_lo, exec_lo, s15
	s_cbranch_vccnz .LBB110_2769
; %bb.2768:
	s_wait_loadcnt 0x0
	global_load_u8 v12, v[10:11], off
.LBB110_2769:
	s_mov_b32 s21, -1
.LBB110_2770:
	s_delay_alu instid0(SALU_CYCLE_1)
	s_and_not1_b32 vcc_lo, exec_lo, s21
	s_cbranch_vccnz .LBB110_3968
; %bb.2771:
	v_add_nc_u32_e32 v20, s1, v14
	s_cmp_lt_i32 s17, 11
	s_delay_alu instid0(VALU_DEP_1) | instskip(NEXT) | instid1(VALU_DEP_1)
	v_ashrrev_i32_e32 v21, 31, v20
	v_add_nc_u64_e32 v[14:15], s[6:7], v[20:21]
	s_cbranch_scc1 .LBB110_2778
; %bb.2772:
	s_and_b32 s15, 0xffff, s17
	s_mov_b32 s21, 0
	s_cmp_gt_i32 s15, 25
	s_cbranch_scc0 .LBB110_2779
; %bb.2773:
	s_cmp_gt_i32 s15, 28
	s_cbranch_scc0 .LBB110_2780
; %bb.2774:
	;; [unrolled: 3-line block ×4, first 2 shown]
	s_cmp_eq_u32 s15, 46
	s_mov_b32 s23, 0
	s_cbranch_scc0 .LBB110_2786
; %bb.2777:
	s_wait_loadcnt 0x0
	global_load_b32 v1, v[14:15], off
	s_mov_b32 s20, 0
	s_mov_b32 s22, -1
	s_wait_loadcnt 0x0
	v_lshlrev_b32_e32 v1, 16, v1
	s_wait_xcnt 0x1
	s_delay_alu instid0(VALU_DEP_1)
	v_cvt_i32_f32_e32 v10, v1
	s_branch .LBB110_2788
.LBB110_2778:
	s_mov_b32 s15, -1
	s_mov_b32 s22, 0
                                        ; implicit-def: $vgpr10
	s_branch .LBB110_2850
.LBB110_2779:
	s_mov_b32 s23, -1
	s_mov_b32 s22, 0
	s_mov_b32 s20, 0
                                        ; implicit-def: $vgpr10
	s_branch .LBB110_2815
.LBB110_2780:
	s_mov_b32 s23, -1
	s_mov_b32 s22, 0
	s_mov_b32 s20, 0
                                        ; implicit-def: $vgpr10
	s_branch .LBB110_2798
.LBB110_2781:
	s_mov_b32 s23, -1
	s_mov_b32 s22, 0
	s_mov_b32 s20, 0
                                        ; implicit-def: $vgpr10
	s_branch .LBB110_2793
.LBB110_2782:
	s_or_b32 s16, s16, exec_lo
	s_trap 2
	s_cbranch_execz .LBB110_2719
	s_branch .LBB110_2720
.LBB110_2783:
	s_mov_b32 s23, -1
	s_mov_b32 s22, 0
	s_mov_b32 s20, 0
	s_branch .LBB110_2787
.LBB110_2784:
	s_and_not1_saveexec_b32 s39, s39
	s_cbranch_execz .LBB110_1441
.LBB110_2785:
	v_add_f32_e64 v3, 0x42800000, |v2|
	s_and_not1_b32 s38, s38, exec_lo
	s_delay_alu instid0(VALU_DEP_1) | instskip(NEXT) | instid1(VALU_DEP_1)
	v_and_b32_e32 v3, 0xff, v3
	v_cmp_ne_u32_e32 vcc_lo, 0, v3
	s_and_b32 s40, vcc_lo, exec_lo
	s_delay_alu instid0(SALU_CYCLE_1)
	s_or_b32 s38, s38, s40
	s_or_b32 exec_lo, exec_lo, s39
	v_mov_b32_e32 v5, 0
	s_and_saveexec_b32 s39, s38
	s_cbranch_execnz .LBB110_1442
	s_branch .LBB110_1443
.LBB110_2786:
	s_mov_b32 s20, -1
	s_mov_b32 s22, 0
.LBB110_2787:
                                        ; implicit-def: $vgpr10
.LBB110_2788:
	s_and_b32 vcc_lo, exec_lo, s23
	s_cbranch_vccz .LBB110_2792
; %bb.2789:
	s_cmp_eq_u32 s15, 44
	s_cbranch_scc0 .LBB110_2791
; %bb.2790:
	s_wait_loadcnt 0x0
	global_load_u8 v1, v[14:15], off
	s_mov_b32 s20, 0
	s_mov_b32 s22, -1
	s_wait_loadcnt 0x0
	v_lshlrev_b32_e32 v3, 23, v1
	v_cmp_ne_u32_e32 vcc_lo, 0, v1
	s_delay_alu instid0(VALU_DEP_2) | instskip(SKIP_1) | instid1(VALU_DEP_1)
	v_cvt_i32_f32_e32 v3, v3
	s_wait_xcnt 0x1
	v_cndmask_b32_e32 v10, 0, v3, vcc_lo
	s_branch .LBB110_2792
.LBB110_2791:
	s_mov_b32 s20, -1
                                        ; implicit-def: $vgpr10
.LBB110_2792:
	s_mov_b32 s23, 0
.LBB110_2793:
	s_delay_alu instid0(SALU_CYCLE_1)
	s_and_b32 vcc_lo, exec_lo, s23
	s_cbranch_vccz .LBB110_2797
; %bb.2794:
	s_cmp_eq_u32 s15, 29
	s_cbranch_scc0 .LBB110_2796
; %bb.2795:
	global_load_b64 v[10:11], v[14:15], off
	s_mov_b32 s20, 0
	s_mov_b32 s22, -1
	s_branch .LBB110_2797
.LBB110_2796:
	s_mov_b32 s20, -1
                                        ; implicit-def: $vgpr10
.LBB110_2797:
	s_mov_b32 s23, 0
.LBB110_2798:
	s_delay_alu instid0(SALU_CYCLE_1)
	s_and_b32 vcc_lo, exec_lo, s23
	s_cbranch_vccz .LBB110_2814
; %bb.2799:
	s_cmp_lt_i32 s15, 27
	s_cbranch_scc1 .LBB110_2802
; %bb.2800:
	s_cmp_gt_i32 s15, 27
	s_cbranch_scc0 .LBB110_2803
; %bb.2801:
	s_wait_loadcnt 0x0
	global_load_b32 v10, v[14:15], off
	s_mov_b32 s22, 0
	s_branch .LBB110_2804
.LBB110_2802:
	s_mov_b32 s22, -1
                                        ; implicit-def: $vgpr10
	s_branch .LBB110_2807
.LBB110_2803:
	s_mov_b32 s22, -1
                                        ; implicit-def: $vgpr10
.LBB110_2804:
	s_delay_alu instid0(SALU_CYCLE_1)
	s_and_not1_b32 vcc_lo, exec_lo, s22
	s_cbranch_vccnz .LBB110_2806
; %bb.2805:
	s_wait_loadcnt 0x0
	global_load_u16 v10, v[14:15], off
.LBB110_2806:
	s_mov_b32 s22, 0
.LBB110_2807:
	s_delay_alu instid0(SALU_CYCLE_1)
	s_and_not1_b32 vcc_lo, exec_lo, s22
	s_cbranch_vccnz .LBB110_2813
; %bb.2808:
	s_wait_loadcnt 0x0
	global_load_u8 v1, v[14:15], off
	s_mov_b32 s23, 0
	s_mov_b32 s22, exec_lo
	s_wait_loadcnt 0x0
	v_cmpx_lt_i16_e32 0x7f, v1
	s_xor_b32 s22, exec_lo, s22
	s_cbranch_execz .LBB110_2825
; %bb.2809:
	v_cmp_ne_u16_e32 vcc_lo, 0x80, v1
	s_and_b32 s23, vcc_lo, exec_lo
	s_and_not1_saveexec_b32 s22, s22
	s_cbranch_execnz .LBB110_2826
.LBB110_2810:
	s_or_b32 exec_lo, exec_lo, s22
	v_mov_b32_e32 v10, 0
	s_and_saveexec_b32 s22, s23
	s_cbranch_execz .LBB110_2812
.LBB110_2811:
	v_and_b32_e32 v3, 0xffff, v1
	s_delay_alu instid0(VALU_DEP_1) | instskip(SKIP_1) | instid1(VALU_DEP_2)
	v_dual_lshlrev_b32 v1, 24, v1 :: v_dual_bitop2_b32 v5, 7, v3 bitop3:0x40
	v_bfe_u32 v10, v3, 3, 4
	v_and_b32_e32 v1, 0x80000000, v1
	s_delay_alu instid0(VALU_DEP_3) | instskip(NEXT) | instid1(VALU_DEP_3)
	v_clz_i32_u32_e32 v7, v5
	v_cmp_eq_u32_e32 vcc_lo, 0, v10
	s_delay_alu instid0(VALU_DEP_2) | instskip(NEXT) | instid1(VALU_DEP_1)
	v_min_u32_e32 v7, 32, v7
	v_subrev_nc_u32_e32 v9, 28, v7
	v_sub_nc_u32_e32 v7, 29, v7
	s_delay_alu instid0(VALU_DEP_2) | instskip(NEXT) | instid1(VALU_DEP_2)
	v_lshlrev_b32_e32 v3, v9, v3
	v_cndmask_b32_e32 v7, v10, v7, vcc_lo
	s_delay_alu instid0(VALU_DEP_2) | instskip(NEXT) | instid1(VALU_DEP_1)
	v_and_b32_e32 v3, 7, v3
	v_cndmask_b32_e32 v3, v5, v3, vcc_lo
	s_delay_alu instid0(VALU_DEP_3) | instskip(NEXT) | instid1(VALU_DEP_2)
	v_lshl_add_u32 v5, v7, 23, 0x3b800000
	v_lshlrev_b32_e32 v3, 20, v3
	s_delay_alu instid0(VALU_DEP_1) | instskip(NEXT) | instid1(VALU_DEP_1)
	v_or3_b32 v1, v1, v5, v3
	v_cvt_i32_f32_e32 v10, v1
.LBB110_2812:
	s_or_b32 exec_lo, exec_lo, s22
.LBB110_2813:
	s_mov_b32 s22, -1
.LBB110_2814:
	s_mov_b32 s23, 0
.LBB110_2815:
	s_delay_alu instid0(SALU_CYCLE_1)
	s_and_b32 vcc_lo, exec_lo, s23
	s_cbranch_vccz .LBB110_2846
; %bb.2816:
	s_cmp_gt_i32 s15, 22
	s_cbranch_scc0 .LBB110_2824
; %bb.2817:
	s_cmp_lt_i32 s15, 24
	s_cbranch_scc1 .LBB110_2827
; %bb.2818:
	s_cmp_gt_i32 s15, 24
	s_cbranch_scc0 .LBB110_2828
; %bb.2819:
	s_wait_loadcnt 0x0
	global_load_u8 v1, v[14:15], off
	s_mov_b32 s22, 0
	s_mov_b32 s21, exec_lo
	s_wait_loadcnt 0x0
	v_cmpx_lt_i16_e32 0x7f, v1
	s_xor_b32 s21, exec_lo, s21
	s_cbranch_execz .LBB110_2840
; %bb.2820:
	v_cmp_ne_u16_e32 vcc_lo, 0x80, v1
	s_and_b32 s22, vcc_lo, exec_lo
	s_and_not1_saveexec_b32 s21, s21
	s_cbranch_execnz .LBB110_2841
.LBB110_2821:
	s_or_b32 exec_lo, exec_lo, s21
	v_mov_b32_e32 v10, 0
	s_and_saveexec_b32 s21, s22
	s_cbranch_execz .LBB110_2823
.LBB110_2822:
	v_and_b32_e32 v3, 0xffff, v1
	s_delay_alu instid0(VALU_DEP_1) | instskip(SKIP_1) | instid1(VALU_DEP_2)
	v_dual_lshlrev_b32 v1, 24, v1 :: v_dual_bitop2_b32 v5, 3, v3 bitop3:0x40
	v_bfe_u32 v10, v3, 2, 5
	v_and_b32_e32 v1, 0x80000000, v1
	s_delay_alu instid0(VALU_DEP_3) | instskip(NEXT) | instid1(VALU_DEP_3)
	v_clz_i32_u32_e32 v7, v5
	v_cmp_eq_u32_e32 vcc_lo, 0, v10
	s_delay_alu instid0(VALU_DEP_2) | instskip(NEXT) | instid1(VALU_DEP_1)
	v_min_u32_e32 v7, 32, v7
	v_subrev_nc_u32_e32 v9, 29, v7
	v_sub_nc_u32_e32 v7, 30, v7
	s_delay_alu instid0(VALU_DEP_2) | instskip(NEXT) | instid1(VALU_DEP_2)
	v_lshlrev_b32_e32 v3, v9, v3
	v_cndmask_b32_e32 v7, v10, v7, vcc_lo
	s_delay_alu instid0(VALU_DEP_2) | instskip(NEXT) | instid1(VALU_DEP_1)
	v_and_b32_e32 v3, 3, v3
	v_cndmask_b32_e32 v3, v5, v3, vcc_lo
	s_delay_alu instid0(VALU_DEP_3) | instskip(NEXT) | instid1(VALU_DEP_2)
	v_lshl_add_u32 v5, v7, 23, 0x37800000
	v_lshlrev_b32_e32 v3, 21, v3
	s_delay_alu instid0(VALU_DEP_1) | instskip(NEXT) | instid1(VALU_DEP_1)
	v_or3_b32 v1, v1, v5, v3
	v_cvt_i32_f32_e32 v10, v1
.LBB110_2823:
	s_or_b32 exec_lo, exec_lo, s21
	s_mov_b32 s21, 0
	s_branch .LBB110_2829
.LBB110_2824:
	s_mov_b32 s21, -1
                                        ; implicit-def: $vgpr10
	s_branch .LBB110_2835
.LBB110_2825:
	s_and_not1_saveexec_b32 s22, s22
	s_cbranch_execz .LBB110_2810
.LBB110_2826:
	v_cmp_ne_u16_e32 vcc_lo, 0, v1
	s_and_not1_b32 s23, s23, exec_lo
	s_and_b32 s24, vcc_lo, exec_lo
	s_delay_alu instid0(SALU_CYCLE_1)
	s_or_b32 s23, s23, s24
	s_or_b32 exec_lo, exec_lo, s22
	v_mov_b32_e32 v10, 0
	s_and_saveexec_b32 s22, s23
	s_cbranch_execnz .LBB110_2811
	s_branch .LBB110_2812
.LBB110_2827:
	s_mov_b32 s21, -1
                                        ; implicit-def: $vgpr10
	s_branch .LBB110_2832
.LBB110_2828:
	s_mov_b32 s21, -1
                                        ; implicit-def: $vgpr10
.LBB110_2829:
	s_delay_alu instid0(SALU_CYCLE_1)
	s_and_b32 vcc_lo, exec_lo, s21
	s_cbranch_vccz .LBB110_2831
; %bb.2830:
	s_wait_loadcnt 0x0
	global_load_u8 v1, v[14:15], off
	s_wait_loadcnt 0x0
	v_lshlrev_b32_e32 v1, 24, v1
	s_delay_alu instid0(VALU_DEP_1) | instskip(NEXT) | instid1(VALU_DEP_1)
	v_and_b32_e32 v3, 0x7f000000, v1
	v_clz_i32_u32_e32 v5, v3
	v_add_nc_u32_e32 v9, 0x1000000, v3
	v_cmp_ne_u32_e32 vcc_lo, 0, v3
	s_delay_alu instid0(VALU_DEP_3) | instskip(NEXT) | instid1(VALU_DEP_1)
	v_min_u32_e32 v5, 32, v5
	v_sub_nc_u32_e64 v5, v5, 4 clamp
	s_delay_alu instid0(VALU_DEP_1) | instskip(NEXT) | instid1(VALU_DEP_1)
	v_dual_lshlrev_b32 v7, v5, v3 :: v_dual_lshlrev_b32 v5, 23, v5
	v_lshrrev_b32_e32 v7, 4, v7
	s_delay_alu instid0(VALU_DEP_1) | instskip(SKIP_1) | instid1(VALU_DEP_2)
	v_sub_nc_u32_e32 v5, v7, v5
	v_ashrrev_i32_e32 v7, 8, v9
	v_add_nc_u32_e32 v5, 0x3c000000, v5
	s_delay_alu instid0(VALU_DEP_1) | instskip(NEXT) | instid1(VALU_DEP_1)
	v_and_or_b32 v5, 0x7f800000, v7, v5
	v_cndmask_b32_e32 v3, 0, v5, vcc_lo
	s_delay_alu instid0(VALU_DEP_1) | instskip(SKIP_1) | instid1(VALU_DEP_1)
	v_and_or_b32 v1, 0x80000000, v1, v3
	s_wait_xcnt 0x1
	v_cvt_i32_f32_e32 v10, v1
.LBB110_2831:
	s_mov_b32 s21, 0
.LBB110_2832:
	s_delay_alu instid0(SALU_CYCLE_1)
	s_and_not1_b32 vcc_lo, exec_lo, s21
	s_cbranch_vccnz .LBB110_2834
; %bb.2833:
	s_wait_loadcnt 0x0
	global_load_u8 v1, v[14:15], off
	s_wait_loadcnt 0x0
	v_lshlrev_b32_e32 v3, 25, v1
	v_lshlrev_b16 v1, 8, v1
	s_delay_alu instid0(VALU_DEP_1) | instskip(SKIP_1) | instid1(VALU_DEP_2)
	v_and_or_b32 v7, 0x7f00, v1, 0.5
	v_bfe_i32 v1, v1, 0, 16
	v_add_f32_e32 v7, -0.5, v7
	v_lshrrev_b32_e32 v5, 4, v3
	v_cmp_gt_u32_e32 vcc_lo, 0x8000000, v3
	s_delay_alu instid0(VALU_DEP_2) | instskip(NEXT) | instid1(VALU_DEP_1)
	v_or_b32_e32 v5, 0x70000000, v5
	v_mul_f32_e32 v5, 0x7800000, v5
	s_delay_alu instid0(VALU_DEP_1) | instskip(NEXT) | instid1(VALU_DEP_1)
	v_cndmask_b32_e32 v3, v5, v7, vcc_lo
	v_and_or_b32 v1, 0x80000000, v1, v3
	s_wait_xcnt 0x1
	s_delay_alu instid0(VALU_DEP_1)
	v_cvt_i32_f32_e32 v10, v1
.LBB110_2834:
	s_mov_b32 s21, 0
	s_mov_b32 s22, -1
.LBB110_2835:
	s_and_not1_b32 vcc_lo, exec_lo, s21
	s_mov_b32 s21, 0
	s_cbranch_vccnz .LBB110_2846
; %bb.2836:
	s_cmp_gt_i32 s15, 14
	s_cbranch_scc0 .LBB110_2839
; %bb.2837:
	s_cmp_eq_u32 s15, 15
	s_cbranch_scc0 .LBB110_2842
; %bb.2838:
	s_wait_loadcnt 0x0
	global_load_u16 v1, v[14:15], off
	s_mov_b32 s20, 0
	s_mov_b32 s22, -1
	s_wait_loadcnt 0x0
	v_lshlrev_b32_e32 v1, 16, v1
	s_wait_xcnt 0x1
	s_delay_alu instid0(VALU_DEP_1)
	v_cvt_i32_f32_e32 v10, v1
	s_branch .LBB110_2844
.LBB110_2839:
	s_mov_b32 s21, -1
	s_branch .LBB110_2843
.LBB110_2840:
	s_and_not1_saveexec_b32 s21, s21
	s_cbranch_execz .LBB110_2821
.LBB110_2841:
	v_cmp_ne_u16_e32 vcc_lo, 0, v1
	s_and_not1_b32 s22, s22, exec_lo
	s_and_b32 s23, vcc_lo, exec_lo
	s_delay_alu instid0(SALU_CYCLE_1)
	s_or_b32 s22, s22, s23
	s_or_b32 exec_lo, exec_lo, s21
	v_mov_b32_e32 v10, 0
	s_and_saveexec_b32 s21, s22
	s_cbranch_execnz .LBB110_2822
	s_branch .LBB110_2823
.LBB110_2842:
	s_mov_b32 s20, -1
.LBB110_2843:
                                        ; implicit-def: $vgpr10
.LBB110_2844:
	s_and_b32 vcc_lo, exec_lo, s21
	s_mov_b32 s21, 0
	s_cbranch_vccz .LBB110_2846
; %bb.2845:
	s_cmp_lg_u32 s15, 11
	s_mov_b32 s21, -1
	s_cselect_b32 s20, -1, 0
.LBB110_2846:
	s_delay_alu instid0(SALU_CYCLE_1)
	s_and_b32 vcc_lo, exec_lo, s20
	s_cbranch_vccnz .LBB110_2911
; %bb.2847:
	s_and_not1_b32 vcc_lo, exec_lo, s21
	s_cbranch_vccnz .LBB110_2849
.LBB110_2848:
	s_wait_loadcnt 0x0
	global_load_u8 v1, v[14:15], off
	s_mov_b32 s22, -1
	s_wait_loadcnt 0x0
	v_cmp_ne_u16_e32 vcc_lo, 0, v1
	s_wait_xcnt 0x1
	v_cndmask_b32_e64 v10, 0, 1, vcc_lo
.LBB110_2849:
	s_mov_b32 s15, 0
.LBB110_2850:
	s_delay_alu instid0(SALU_CYCLE_1)
	s_and_b32 vcc_lo, exec_lo, s15
	s_cbranch_vccz .LBB110_2899
; %bb.2851:
	s_and_b32 s15, 0xffff, s17
	s_delay_alu instid0(SALU_CYCLE_1)
	s_cmp_lt_i32 s15, 5
	s_cbranch_scc1 .LBB110_2856
; %bb.2852:
	s_cmp_lt_i32 s15, 8
	s_cbranch_scc1 .LBB110_2857
; %bb.2853:
	s_cmp_lt_i32 s15, 9
	s_cbranch_scc1 .LBB110_2858
; %bb.2854:
	s_cmp_gt_i32 s15, 9
	s_cbranch_scc0 .LBB110_2859
; %bb.2855:
	s_wait_loadcnt 0x0
	global_load_b64 v[10:11], v[14:15], off
	s_mov_b32 s20, 0
	s_wait_loadcnt 0x0
	v_cvt_i32_f64_e32 v10, v[10:11]
	s_branch .LBB110_2860
.LBB110_2856:
	s_mov_b32 s20, -1
                                        ; implicit-def: $vgpr10
	s_branch .LBB110_2878
.LBB110_2857:
	s_mov_b32 s20, -1
                                        ; implicit-def: $vgpr10
	s_branch .LBB110_2866
.LBB110_2858:
	s_mov_b32 s20, -1
                                        ; implicit-def: $vgpr10
	s_branch .LBB110_2863
.LBB110_2859:
	s_mov_b32 s20, -1
                                        ; implicit-def: $vgpr10
.LBB110_2860:
	s_delay_alu instid0(SALU_CYCLE_1)
	s_and_not1_b32 vcc_lo, exec_lo, s20
	s_cbranch_vccnz .LBB110_2862
; %bb.2861:
	s_wait_loadcnt 0x0
	global_load_b32 v1, v[14:15], off
	s_wait_loadcnt 0x0
	s_wait_xcnt 0x1
	v_cvt_i32_f32_e32 v10, v1
.LBB110_2862:
	s_mov_b32 s20, 0
.LBB110_2863:
	s_delay_alu instid0(SALU_CYCLE_1)
	s_and_not1_b32 vcc_lo, exec_lo, s20
	s_cbranch_vccnz .LBB110_2865
; %bb.2864:
	s_wait_loadcnt 0x0
	global_load_b32 v1, v[14:15], off
	s_wait_loadcnt 0x0
	s_wait_xcnt 0x1
	v_cvt_i16_f16_e32 v10, v1
.LBB110_2865:
	s_mov_b32 s20, 0
.LBB110_2866:
	s_delay_alu instid0(SALU_CYCLE_1)
	s_and_not1_b32 vcc_lo, exec_lo, s20
	s_cbranch_vccnz .LBB110_2877
; %bb.2867:
	s_cmp_lt_i32 s15, 6
	s_cbranch_scc1 .LBB110_2870
; %bb.2868:
	s_cmp_gt_i32 s15, 6
	s_cbranch_scc0 .LBB110_2871
; %bb.2869:
	s_wait_loadcnt 0x0
	global_load_b64 v[10:11], v[14:15], off
	s_mov_b32 s20, 0
	s_wait_loadcnt 0x0
	v_cvt_i32_f64_e32 v10, v[10:11]
	s_branch .LBB110_2872
.LBB110_2870:
	s_mov_b32 s20, -1
                                        ; implicit-def: $vgpr10
	s_branch .LBB110_2875
.LBB110_2871:
	s_mov_b32 s20, -1
                                        ; implicit-def: $vgpr10
.LBB110_2872:
	s_delay_alu instid0(SALU_CYCLE_1)
	s_and_not1_b32 vcc_lo, exec_lo, s20
	s_cbranch_vccnz .LBB110_2874
; %bb.2873:
	s_wait_loadcnt 0x0
	global_load_b32 v1, v[14:15], off
	s_wait_loadcnt 0x0
	s_wait_xcnt 0x1
	v_cvt_i32_f32_e32 v10, v1
.LBB110_2874:
	s_mov_b32 s20, 0
.LBB110_2875:
	s_delay_alu instid0(SALU_CYCLE_1)
	s_and_not1_b32 vcc_lo, exec_lo, s20
	s_cbranch_vccnz .LBB110_2877
; %bb.2876:
	s_wait_loadcnt 0x0
	global_load_u16 v1, v[14:15], off
	s_wait_loadcnt 0x0
	s_wait_xcnt 0x1
	v_cvt_i16_f16_e32 v10, v1
.LBB110_2877:
	s_mov_b32 s20, 0
.LBB110_2878:
	s_delay_alu instid0(SALU_CYCLE_1)
	s_and_not1_b32 vcc_lo, exec_lo, s20
	s_cbranch_vccnz .LBB110_2898
; %bb.2879:
	s_cmp_lt_i32 s15, 2
	s_cbranch_scc1 .LBB110_2883
; %bb.2880:
	s_cmp_lt_i32 s15, 3
	s_cbranch_scc1 .LBB110_2884
; %bb.2881:
	s_cmp_gt_i32 s15, 3
	s_cbranch_scc0 .LBB110_2885
; %bb.2882:
	s_wait_loadcnt 0x0
	global_load_b64 v[10:11], v[14:15], off
	s_mov_b32 s20, 0
	s_branch .LBB110_2886
.LBB110_2883:
	s_mov_b32 s20, -1
                                        ; implicit-def: $vgpr10
	s_branch .LBB110_2892
.LBB110_2884:
	s_mov_b32 s20, -1
                                        ; implicit-def: $vgpr10
	s_branch .LBB110_2889
.LBB110_2885:
	s_mov_b32 s20, -1
                                        ; implicit-def: $vgpr10
.LBB110_2886:
	s_delay_alu instid0(SALU_CYCLE_1)
	s_and_not1_b32 vcc_lo, exec_lo, s20
	s_cbranch_vccnz .LBB110_2888
; %bb.2887:
	s_wait_loadcnt 0x0
	global_load_b32 v10, v[14:15], off
.LBB110_2888:
	s_mov_b32 s20, 0
.LBB110_2889:
	s_delay_alu instid0(SALU_CYCLE_1)
	s_and_not1_b32 vcc_lo, exec_lo, s20
	s_cbranch_vccnz .LBB110_2891
; %bb.2890:
	s_wait_loadcnt 0x0
	global_load_u16 v10, v[14:15], off
.LBB110_2891:
	s_mov_b32 s20, 0
.LBB110_2892:
	s_delay_alu instid0(SALU_CYCLE_1)
	s_and_not1_b32 vcc_lo, exec_lo, s20
	s_cbranch_vccnz .LBB110_2898
; %bb.2893:
	s_cmp_gt_i32 s15, 0
	s_mov_b32 s15, 0
	s_cbranch_scc0 .LBB110_2895
; %bb.2894:
	s_wait_loadcnt 0x0
	global_load_u8 v10, v[14:15], off
	s_branch .LBB110_2896
.LBB110_2895:
	s_mov_b32 s15, -1
                                        ; implicit-def: $vgpr10
.LBB110_2896:
	s_delay_alu instid0(SALU_CYCLE_1)
	s_and_not1_b32 vcc_lo, exec_lo, s15
	s_cbranch_vccnz .LBB110_2898
; %bb.2897:
	s_wait_loadcnt 0x0
	global_load_u8 v10, v[14:15], off
.LBB110_2898:
	s_mov_b32 s22, -1
.LBB110_2899:
	s_delay_alu instid0(SALU_CYCLE_1)
	s_and_not1_b32 vcc_lo, exec_lo, s22
	s_cbranch_vccnz .LBB110_3968
; %bb.2900:
	v_add_nc_u32_e32 v22, s13, v16
	s_cmp_lt_i32 s3, 11
	s_delay_alu instid0(VALU_DEP_1) | instskip(NEXT) | instid1(VALU_DEP_1)
	v_ashrrev_i32_e32 v23, 31, v22
	v_add_nc_u64_e32 v[16:17], s[8:9], v[22:23]
	s_cbranch_scc1 .LBB110_2907
; %bb.2901:
	s_and_b32 s15, 0xffff, s3
	s_mov_b32 s21, 0
	s_cmp_gt_i32 s15, 25
	s_cbranch_scc0 .LBB110_2908
; %bb.2902:
	s_cmp_gt_i32 s15, 28
	s_cbranch_scc0 .LBB110_2909
; %bb.2903:
	;; [unrolled: 3-line block ×4, first 2 shown]
	s_cmp_eq_u32 s15, 46
	s_mov_b32 s23, 0
	s_cbranch_scc0 .LBB110_2913
; %bb.2906:
	s_wait_loadcnt 0x0
	global_load_b32 v1, v[16:17], off
	s_mov_b32 s20, 0
	s_mov_b32 s22, -1
	s_wait_loadcnt 0x0
	v_lshlrev_b32_e32 v1, 16, v1
	s_wait_xcnt 0x1
	s_delay_alu instid0(VALU_DEP_1)
	v_cvt_i32_f32_e32 v14, v1
	s_branch .LBB110_2915
.LBB110_2907:
	s_mov_b32 s15, -1
	s_mov_b32 s22, 0
                                        ; implicit-def: $vgpr14
	s_branch .LBB110_2977
.LBB110_2908:
	s_mov_b32 s23, -1
	s_mov_b32 s22, 0
	s_mov_b32 s20, 0
                                        ; implicit-def: $vgpr14
	s_branch .LBB110_2942
.LBB110_2909:
	s_mov_b32 s23, -1
	s_mov_b32 s22, 0
	s_mov_b32 s20, 0
                                        ; implicit-def: $vgpr14
	s_branch .LBB110_2925
.LBB110_2910:
	s_mov_b32 s23, -1
	s_mov_b32 s22, 0
	s_mov_b32 s20, 0
                                        ; implicit-def: $vgpr14
	s_branch .LBB110_2920
.LBB110_2911:
	s_or_b32 s16, s16, exec_lo
	s_trap 2
	s_cbranch_execz .LBB110_2848
	s_branch .LBB110_2849
.LBB110_2912:
	s_mov_b32 s23, -1
	s_mov_b32 s22, 0
	s_mov_b32 s20, 0
	s_branch .LBB110_2914
.LBB110_2913:
	s_mov_b32 s20, -1
	s_mov_b32 s22, 0
.LBB110_2914:
                                        ; implicit-def: $vgpr14
.LBB110_2915:
	s_and_b32 vcc_lo, exec_lo, s23
	s_cbranch_vccz .LBB110_2919
; %bb.2916:
	s_cmp_eq_u32 s15, 44
	s_cbranch_scc0 .LBB110_2918
; %bb.2917:
	s_wait_loadcnt 0x0
	global_load_u8 v1, v[16:17], off
	s_mov_b32 s20, 0
	s_mov_b32 s22, -1
	s_wait_loadcnt 0x0
	v_lshlrev_b32_e32 v3, 23, v1
	v_cmp_ne_u32_e32 vcc_lo, 0, v1
	s_delay_alu instid0(VALU_DEP_2) | instskip(SKIP_1) | instid1(VALU_DEP_1)
	v_cvt_i32_f32_e32 v3, v3
	s_wait_xcnt 0x1
	v_cndmask_b32_e32 v14, 0, v3, vcc_lo
	s_branch .LBB110_2919
.LBB110_2918:
	s_mov_b32 s20, -1
                                        ; implicit-def: $vgpr14
.LBB110_2919:
	s_mov_b32 s23, 0
.LBB110_2920:
	s_delay_alu instid0(SALU_CYCLE_1)
	s_and_b32 vcc_lo, exec_lo, s23
	s_cbranch_vccz .LBB110_2924
; %bb.2921:
	s_cmp_eq_u32 s15, 29
	s_cbranch_scc0 .LBB110_2923
; %bb.2922:
	global_load_b64 v[14:15], v[16:17], off
	s_mov_b32 s20, 0
	s_mov_b32 s22, -1
	s_branch .LBB110_2924
.LBB110_2923:
	s_mov_b32 s20, -1
                                        ; implicit-def: $vgpr14
.LBB110_2924:
	s_mov_b32 s23, 0
.LBB110_2925:
	s_delay_alu instid0(SALU_CYCLE_1)
	s_and_b32 vcc_lo, exec_lo, s23
	s_cbranch_vccz .LBB110_2941
; %bb.2926:
	s_cmp_lt_i32 s15, 27
	s_cbranch_scc1 .LBB110_2929
; %bb.2927:
	s_cmp_gt_i32 s15, 27
	s_cbranch_scc0 .LBB110_2930
; %bb.2928:
	s_wait_loadcnt 0x0
	global_load_b32 v14, v[16:17], off
	s_mov_b32 s22, 0
	s_branch .LBB110_2931
.LBB110_2929:
	s_mov_b32 s22, -1
                                        ; implicit-def: $vgpr14
	s_branch .LBB110_2934
.LBB110_2930:
	s_mov_b32 s22, -1
                                        ; implicit-def: $vgpr14
.LBB110_2931:
	s_delay_alu instid0(SALU_CYCLE_1)
	s_and_not1_b32 vcc_lo, exec_lo, s22
	s_cbranch_vccnz .LBB110_2933
; %bb.2932:
	s_wait_loadcnt 0x0
	global_load_u16 v14, v[16:17], off
.LBB110_2933:
	s_mov_b32 s22, 0
.LBB110_2934:
	s_delay_alu instid0(SALU_CYCLE_1)
	s_and_not1_b32 vcc_lo, exec_lo, s22
	s_cbranch_vccnz .LBB110_2940
; %bb.2935:
	s_wait_loadcnt 0x0
	global_load_u8 v1, v[16:17], off
	s_mov_b32 s23, 0
	s_mov_b32 s22, exec_lo
	s_wait_loadcnt 0x0
	v_cmpx_lt_i16_e32 0x7f, v1
	s_xor_b32 s22, exec_lo, s22
	s_cbranch_execz .LBB110_2952
; %bb.2936:
	v_cmp_ne_u16_e32 vcc_lo, 0x80, v1
	s_and_b32 s23, vcc_lo, exec_lo
	s_and_not1_saveexec_b32 s22, s22
	s_cbranch_execnz .LBB110_2953
.LBB110_2937:
	s_or_b32 exec_lo, exec_lo, s22
	v_mov_b32_e32 v14, 0
	s_and_saveexec_b32 s22, s23
	s_cbranch_execz .LBB110_2939
.LBB110_2938:
	v_and_b32_e32 v3, 0xffff, v1
	s_delay_alu instid0(VALU_DEP_1) | instskip(SKIP_1) | instid1(VALU_DEP_2)
	v_dual_lshlrev_b32 v1, 24, v1 :: v_dual_bitop2_b32 v5, 7, v3 bitop3:0x40
	v_bfe_u32 v11, v3, 3, 4
	v_and_b32_e32 v1, 0x80000000, v1
	s_delay_alu instid0(VALU_DEP_3) | instskip(NEXT) | instid1(VALU_DEP_3)
	v_clz_i32_u32_e32 v7, v5
	v_cmp_eq_u32_e32 vcc_lo, 0, v11
	s_delay_alu instid0(VALU_DEP_2) | instskip(NEXT) | instid1(VALU_DEP_1)
	v_min_u32_e32 v7, 32, v7
	v_subrev_nc_u32_e32 v9, 28, v7
	v_sub_nc_u32_e32 v7, 29, v7
	s_delay_alu instid0(VALU_DEP_2) | instskip(NEXT) | instid1(VALU_DEP_2)
	v_lshlrev_b32_e32 v3, v9, v3
	v_cndmask_b32_e32 v7, v11, v7, vcc_lo
	s_delay_alu instid0(VALU_DEP_2) | instskip(NEXT) | instid1(VALU_DEP_1)
	v_and_b32_e32 v3, 7, v3
	v_cndmask_b32_e32 v3, v5, v3, vcc_lo
	s_delay_alu instid0(VALU_DEP_3) | instskip(NEXT) | instid1(VALU_DEP_2)
	v_lshl_add_u32 v5, v7, 23, 0x3b800000
	v_lshlrev_b32_e32 v3, 20, v3
	s_delay_alu instid0(VALU_DEP_1) | instskip(NEXT) | instid1(VALU_DEP_1)
	v_or3_b32 v1, v1, v5, v3
	v_cvt_i32_f32_e32 v14, v1
.LBB110_2939:
	s_or_b32 exec_lo, exec_lo, s22
.LBB110_2940:
	s_mov_b32 s22, -1
.LBB110_2941:
	s_mov_b32 s23, 0
.LBB110_2942:
	s_delay_alu instid0(SALU_CYCLE_1)
	s_and_b32 vcc_lo, exec_lo, s23
	s_cbranch_vccz .LBB110_2973
; %bb.2943:
	s_cmp_gt_i32 s15, 22
	s_cbranch_scc0 .LBB110_2951
; %bb.2944:
	s_cmp_lt_i32 s15, 24
	s_cbranch_scc1 .LBB110_2954
; %bb.2945:
	s_cmp_gt_i32 s15, 24
	s_cbranch_scc0 .LBB110_2955
; %bb.2946:
	s_wait_loadcnt 0x0
	global_load_u8 v1, v[16:17], off
	s_mov_b32 s22, 0
	s_mov_b32 s21, exec_lo
	s_wait_loadcnt 0x0
	v_cmpx_lt_i16_e32 0x7f, v1
	s_xor_b32 s21, exec_lo, s21
	s_cbranch_execz .LBB110_2967
; %bb.2947:
	v_cmp_ne_u16_e32 vcc_lo, 0x80, v1
	s_and_b32 s22, vcc_lo, exec_lo
	s_and_not1_saveexec_b32 s21, s21
	s_cbranch_execnz .LBB110_2968
.LBB110_2948:
	s_or_b32 exec_lo, exec_lo, s21
	v_mov_b32_e32 v14, 0
	s_and_saveexec_b32 s21, s22
	s_cbranch_execz .LBB110_2950
.LBB110_2949:
	v_and_b32_e32 v3, 0xffff, v1
	s_delay_alu instid0(VALU_DEP_1) | instskip(SKIP_1) | instid1(VALU_DEP_2)
	v_dual_lshlrev_b32 v1, 24, v1 :: v_dual_bitop2_b32 v5, 3, v3 bitop3:0x40
	v_bfe_u32 v11, v3, 2, 5
	v_and_b32_e32 v1, 0x80000000, v1
	s_delay_alu instid0(VALU_DEP_3) | instskip(NEXT) | instid1(VALU_DEP_3)
	v_clz_i32_u32_e32 v7, v5
	v_cmp_eq_u32_e32 vcc_lo, 0, v11
	s_delay_alu instid0(VALU_DEP_2) | instskip(NEXT) | instid1(VALU_DEP_1)
	v_min_u32_e32 v7, 32, v7
	v_subrev_nc_u32_e32 v9, 29, v7
	v_sub_nc_u32_e32 v7, 30, v7
	s_delay_alu instid0(VALU_DEP_2) | instskip(NEXT) | instid1(VALU_DEP_2)
	v_lshlrev_b32_e32 v3, v9, v3
	v_cndmask_b32_e32 v7, v11, v7, vcc_lo
	s_delay_alu instid0(VALU_DEP_2) | instskip(NEXT) | instid1(VALU_DEP_1)
	v_and_b32_e32 v3, 3, v3
	v_cndmask_b32_e32 v3, v5, v3, vcc_lo
	s_delay_alu instid0(VALU_DEP_3) | instskip(NEXT) | instid1(VALU_DEP_2)
	v_lshl_add_u32 v5, v7, 23, 0x37800000
	v_lshlrev_b32_e32 v3, 21, v3
	s_delay_alu instid0(VALU_DEP_1) | instskip(NEXT) | instid1(VALU_DEP_1)
	v_or3_b32 v1, v1, v5, v3
	v_cvt_i32_f32_e32 v14, v1
.LBB110_2950:
	s_or_b32 exec_lo, exec_lo, s21
	s_mov_b32 s21, 0
	s_branch .LBB110_2956
.LBB110_2951:
	s_mov_b32 s21, -1
                                        ; implicit-def: $vgpr14
	s_branch .LBB110_2962
.LBB110_2952:
	s_and_not1_saveexec_b32 s22, s22
	s_cbranch_execz .LBB110_2937
.LBB110_2953:
	v_cmp_ne_u16_e32 vcc_lo, 0, v1
	s_and_not1_b32 s23, s23, exec_lo
	s_and_b32 s24, vcc_lo, exec_lo
	s_delay_alu instid0(SALU_CYCLE_1)
	s_or_b32 s23, s23, s24
	s_or_b32 exec_lo, exec_lo, s22
	v_mov_b32_e32 v14, 0
	s_and_saveexec_b32 s22, s23
	s_cbranch_execnz .LBB110_2938
	s_branch .LBB110_2939
.LBB110_2954:
	s_mov_b32 s21, -1
                                        ; implicit-def: $vgpr14
	s_branch .LBB110_2959
.LBB110_2955:
	s_mov_b32 s21, -1
                                        ; implicit-def: $vgpr14
.LBB110_2956:
	s_delay_alu instid0(SALU_CYCLE_1)
	s_and_b32 vcc_lo, exec_lo, s21
	s_cbranch_vccz .LBB110_2958
; %bb.2957:
	s_wait_loadcnt 0x0
	global_load_u8 v1, v[16:17], off
	s_wait_loadcnt 0x0
	v_lshlrev_b32_e32 v1, 24, v1
	s_delay_alu instid0(VALU_DEP_1) | instskip(NEXT) | instid1(VALU_DEP_1)
	v_and_b32_e32 v3, 0x7f000000, v1
	v_clz_i32_u32_e32 v5, v3
	v_add_nc_u32_e32 v9, 0x1000000, v3
	v_cmp_ne_u32_e32 vcc_lo, 0, v3
	s_delay_alu instid0(VALU_DEP_3) | instskip(NEXT) | instid1(VALU_DEP_1)
	v_min_u32_e32 v5, 32, v5
	v_sub_nc_u32_e64 v5, v5, 4 clamp
	s_delay_alu instid0(VALU_DEP_1) | instskip(NEXT) | instid1(VALU_DEP_1)
	v_dual_lshlrev_b32 v7, v5, v3 :: v_dual_lshlrev_b32 v5, 23, v5
	v_lshrrev_b32_e32 v7, 4, v7
	s_delay_alu instid0(VALU_DEP_1) | instskip(SKIP_1) | instid1(VALU_DEP_2)
	v_sub_nc_u32_e32 v5, v7, v5
	v_ashrrev_i32_e32 v7, 8, v9
	v_add_nc_u32_e32 v5, 0x3c000000, v5
	s_delay_alu instid0(VALU_DEP_1) | instskip(NEXT) | instid1(VALU_DEP_1)
	v_and_or_b32 v5, 0x7f800000, v7, v5
	v_cndmask_b32_e32 v3, 0, v5, vcc_lo
	s_delay_alu instid0(VALU_DEP_1) | instskip(SKIP_1) | instid1(VALU_DEP_1)
	v_and_or_b32 v1, 0x80000000, v1, v3
	s_wait_xcnt 0x1
	v_cvt_i32_f32_e32 v14, v1
.LBB110_2958:
	s_mov_b32 s21, 0
.LBB110_2959:
	s_delay_alu instid0(SALU_CYCLE_1)
	s_and_not1_b32 vcc_lo, exec_lo, s21
	s_cbranch_vccnz .LBB110_2961
; %bb.2960:
	s_wait_loadcnt 0x0
	global_load_u8 v1, v[16:17], off
	s_wait_loadcnt 0x0
	v_lshlrev_b32_e32 v3, 25, v1
	v_lshlrev_b16 v1, 8, v1
	s_delay_alu instid0(VALU_DEP_1) | instskip(SKIP_1) | instid1(VALU_DEP_2)
	v_and_or_b32 v7, 0x7f00, v1, 0.5
	v_bfe_i32 v1, v1, 0, 16
	v_add_f32_e32 v7, -0.5, v7
	v_lshrrev_b32_e32 v5, 4, v3
	v_cmp_gt_u32_e32 vcc_lo, 0x8000000, v3
	s_delay_alu instid0(VALU_DEP_2) | instskip(NEXT) | instid1(VALU_DEP_1)
	v_or_b32_e32 v5, 0x70000000, v5
	v_mul_f32_e32 v5, 0x7800000, v5
	s_delay_alu instid0(VALU_DEP_1) | instskip(NEXT) | instid1(VALU_DEP_1)
	v_cndmask_b32_e32 v3, v5, v7, vcc_lo
	v_and_or_b32 v1, 0x80000000, v1, v3
	s_wait_xcnt 0x1
	s_delay_alu instid0(VALU_DEP_1)
	v_cvt_i32_f32_e32 v14, v1
.LBB110_2961:
	s_mov_b32 s21, 0
	s_mov_b32 s22, -1
.LBB110_2962:
	s_and_not1_b32 vcc_lo, exec_lo, s21
	s_mov_b32 s21, 0
	s_cbranch_vccnz .LBB110_2973
; %bb.2963:
	s_cmp_gt_i32 s15, 14
	s_cbranch_scc0 .LBB110_2966
; %bb.2964:
	s_cmp_eq_u32 s15, 15
	s_cbranch_scc0 .LBB110_2969
; %bb.2965:
	s_wait_loadcnt 0x0
	global_load_u16 v1, v[16:17], off
	s_mov_b32 s20, 0
	s_mov_b32 s22, -1
	s_wait_loadcnt 0x0
	v_lshlrev_b32_e32 v1, 16, v1
	s_wait_xcnt 0x1
	s_delay_alu instid0(VALU_DEP_1)
	v_cvt_i32_f32_e32 v14, v1
	s_branch .LBB110_2971
.LBB110_2966:
	s_mov_b32 s21, -1
	s_branch .LBB110_2970
.LBB110_2967:
	s_and_not1_saveexec_b32 s21, s21
	s_cbranch_execz .LBB110_2948
.LBB110_2968:
	v_cmp_ne_u16_e32 vcc_lo, 0, v1
	s_and_not1_b32 s22, s22, exec_lo
	s_and_b32 s23, vcc_lo, exec_lo
	s_delay_alu instid0(SALU_CYCLE_1)
	s_or_b32 s22, s22, s23
	s_or_b32 exec_lo, exec_lo, s21
	v_mov_b32_e32 v14, 0
	s_and_saveexec_b32 s21, s22
	s_cbranch_execnz .LBB110_2949
	s_branch .LBB110_2950
.LBB110_2969:
	s_mov_b32 s20, -1
.LBB110_2970:
                                        ; implicit-def: $vgpr14
.LBB110_2971:
	s_and_b32 vcc_lo, exec_lo, s21
	s_mov_b32 s21, 0
	s_cbranch_vccz .LBB110_2973
; %bb.2972:
	s_cmp_lg_u32 s15, 11
	s_mov_b32 s21, -1
	s_cselect_b32 s20, -1, 0
.LBB110_2973:
	s_delay_alu instid0(SALU_CYCLE_1)
	s_and_b32 vcc_lo, exec_lo, s20
	s_cbranch_vccnz .LBB110_3038
; %bb.2974:
	s_and_not1_b32 vcc_lo, exec_lo, s21
	s_cbranch_vccnz .LBB110_2976
.LBB110_2975:
	s_wait_loadcnt 0x0
	global_load_u8 v1, v[16:17], off
	s_mov_b32 s22, -1
	s_wait_loadcnt 0x0
	v_cmp_ne_u16_e32 vcc_lo, 0, v1
	s_wait_xcnt 0x1
	v_cndmask_b32_e64 v14, 0, 1, vcc_lo
.LBB110_2976:
	s_mov_b32 s15, 0
.LBB110_2977:
	s_delay_alu instid0(SALU_CYCLE_1)
	s_and_b32 vcc_lo, exec_lo, s15
	s_cbranch_vccz .LBB110_3026
; %bb.2978:
	s_and_b32 s15, 0xffff, s3
	s_delay_alu instid0(SALU_CYCLE_1)
	s_cmp_lt_i32 s15, 5
	s_cbranch_scc1 .LBB110_2983
; %bb.2979:
	s_cmp_lt_i32 s15, 8
	s_cbranch_scc1 .LBB110_2984
; %bb.2980:
	;; [unrolled: 3-line block ×3, first 2 shown]
	s_cmp_gt_i32 s15, 9
	s_cbranch_scc0 .LBB110_2986
; %bb.2982:
	s_wait_loadcnt 0x0
	global_load_b64 v[14:15], v[16:17], off
	s_mov_b32 s20, 0
	s_wait_loadcnt 0x0
	v_cvt_i32_f64_e32 v14, v[14:15]
	s_branch .LBB110_2987
.LBB110_2983:
	s_mov_b32 s20, -1
                                        ; implicit-def: $vgpr14
	s_branch .LBB110_3005
.LBB110_2984:
	s_mov_b32 s20, -1
                                        ; implicit-def: $vgpr14
	s_branch .LBB110_2993
.LBB110_2985:
	s_mov_b32 s20, -1
                                        ; implicit-def: $vgpr14
	s_branch .LBB110_2990
.LBB110_2986:
	s_mov_b32 s20, -1
                                        ; implicit-def: $vgpr14
.LBB110_2987:
	s_delay_alu instid0(SALU_CYCLE_1)
	s_and_not1_b32 vcc_lo, exec_lo, s20
	s_cbranch_vccnz .LBB110_2989
; %bb.2988:
	s_wait_loadcnt 0x0
	global_load_b32 v1, v[16:17], off
	s_wait_loadcnt 0x0
	s_wait_xcnt 0x1
	v_cvt_i32_f32_e32 v14, v1
.LBB110_2989:
	s_mov_b32 s20, 0
.LBB110_2990:
	s_delay_alu instid0(SALU_CYCLE_1)
	s_and_not1_b32 vcc_lo, exec_lo, s20
	s_cbranch_vccnz .LBB110_2992
; %bb.2991:
	s_wait_loadcnt 0x0
	global_load_b32 v1, v[16:17], off
	s_wait_loadcnt 0x0
	s_wait_xcnt 0x1
	v_cvt_i16_f16_e32 v14, v1
.LBB110_2992:
	s_mov_b32 s20, 0
.LBB110_2993:
	s_delay_alu instid0(SALU_CYCLE_1)
	s_and_not1_b32 vcc_lo, exec_lo, s20
	s_cbranch_vccnz .LBB110_3004
; %bb.2994:
	s_cmp_lt_i32 s15, 6
	s_cbranch_scc1 .LBB110_2997
; %bb.2995:
	s_cmp_gt_i32 s15, 6
	s_cbranch_scc0 .LBB110_2998
; %bb.2996:
	s_wait_loadcnt 0x0
	global_load_b64 v[14:15], v[16:17], off
	s_mov_b32 s20, 0
	s_wait_loadcnt 0x0
	v_cvt_i32_f64_e32 v14, v[14:15]
	s_branch .LBB110_2999
.LBB110_2997:
	s_mov_b32 s20, -1
                                        ; implicit-def: $vgpr14
	s_branch .LBB110_3002
.LBB110_2998:
	s_mov_b32 s20, -1
                                        ; implicit-def: $vgpr14
.LBB110_2999:
	s_delay_alu instid0(SALU_CYCLE_1)
	s_and_not1_b32 vcc_lo, exec_lo, s20
	s_cbranch_vccnz .LBB110_3001
; %bb.3000:
	s_wait_loadcnt 0x0
	global_load_b32 v1, v[16:17], off
	s_wait_loadcnt 0x0
	s_wait_xcnt 0x1
	v_cvt_i32_f32_e32 v14, v1
.LBB110_3001:
	s_mov_b32 s20, 0
.LBB110_3002:
	s_delay_alu instid0(SALU_CYCLE_1)
	s_and_not1_b32 vcc_lo, exec_lo, s20
	s_cbranch_vccnz .LBB110_3004
; %bb.3003:
	s_wait_loadcnt 0x0
	global_load_u16 v1, v[16:17], off
	s_wait_loadcnt 0x0
	s_wait_xcnt 0x1
	v_cvt_i16_f16_e32 v14, v1
.LBB110_3004:
	s_mov_b32 s20, 0
.LBB110_3005:
	s_delay_alu instid0(SALU_CYCLE_1)
	s_and_not1_b32 vcc_lo, exec_lo, s20
	s_cbranch_vccnz .LBB110_3025
; %bb.3006:
	s_cmp_lt_i32 s15, 2
	s_cbranch_scc1 .LBB110_3010
; %bb.3007:
	s_cmp_lt_i32 s15, 3
	s_cbranch_scc1 .LBB110_3011
; %bb.3008:
	s_cmp_gt_i32 s15, 3
	s_cbranch_scc0 .LBB110_3012
; %bb.3009:
	s_wait_loadcnt 0x0
	global_load_b64 v[14:15], v[16:17], off
	s_mov_b32 s20, 0
	s_branch .LBB110_3013
.LBB110_3010:
	s_mov_b32 s20, -1
                                        ; implicit-def: $vgpr14
	s_branch .LBB110_3019
.LBB110_3011:
	s_mov_b32 s20, -1
                                        ; implicit-def: $vgpr14
	s_branch .LBB110_3016
.LBB110_3012:
	s_mov_b32 s20, -1
                                        ; implicit-def: $vgpr14
.LBB110_3013:
	s_delay_alu instid0(SALU_CYCLE_1)
	s_and_not1_b32 vcc_lo, exec_lo, s20
	s_cbranch_vccnz .LBB110_3015
; %bb.3014:
	s_wait_loadcnt 0x0
	global_load_b32 v14, v[16:17], off
.LBB110_3015:
	s_mov_b32 s20, 0
.LBB110_3016:
	s_delay_alu instid0(SALU_CYCLE_1)
	s_and_not1_b32 vcc_lo, exec_lo, s20
	s_cbranch_vccnz .LBB110_3018
; %bb.3017:
	s_wait_loadcnt 0x0
	global_load_u16 v14, v[16:17], off
.LBB110_3018:
	s_mov_b32 s20, 0
.LBB110_3019:
	s_delay_alu instid0(SALU_CYCLE_1)
	s_and_not1_b32 vcc_lo, exec_lo, s20
	s_cbranch_vccnz .LBB110_3025
; %bb.3020:
	s_cmp_gt_i32 s15, 0
	s_mov_b32 s15, 0
	s_cbranch_scc0 .LBB110_3022
; %bb.3021:
	s_wait_loadcnt 0x0
	global_load_u8 v14, v[16:17], off
	s_branch .LBB110_3023
.LBB110_3022:
	s_mov_b32 s15, -1
                                        ; implicit-def: $vgpr14
.LBB110_3023:
	s_delay_alu instid0(SALU_CYCLE_1)
	s_and_not1_b32 vcc_lo, exec_lo, s15
	s_cbranch_vccnz .LBB110_3025
; %bb.3024:
	s_wait_loadcnt 0x0
	global_load_u8 v14, v[16:17], off
.LBB110_3025:
	s_mov_b32 s22, -1
.LBB110_3026:
	s_delay_alu instid0(SALU_CYCLE_1)
	s_and_not1_b32 vcc_lo, exec_lo, s22
	s_cbranch_vccnz .LBB110_3968
; %bb.3027:
	v_add_nc_u32_e32 v24, s14, v18
	s_cmp_lt_i32 s0, 11
	s_delay_alu instid0(VALU_DEP_1) | instskip(SKIP_1) | instid1(VALU_DEP_1)
	v_ashrrev_i32_e32 v25, 31, v24
	s_wait_xcnt 0x0
	v_add_nc_u64_e32 v[16:17], s[10:11], v[24:25]
	s_cbranch_scc1 .LBB110_3034
; %bb.3028:
	s_cmp_gt_i32 s0, 25
	s_mov_b32 s20, 0
	s_cbranch_scc0 .LBB110_3035
; %bb.3029:
	s_cmp_gt_i32 s0, 28
	s_cbranch_scc0 .LBB110_3036
; %bb.3030:
	s_cmp_gt_i32 s0, 43
	;; [unrolled: 3-line block ×3, first 2 shown]
	s_cbranch_scc0 .LBB110_3039
; %bb.3032:
	s_cmp_eq_u32 s0, 46
	s_mov_b32 s22, 0
	s_cbranch_scc0 .LBB110_3040
; %bb.3033:
	s_wait_loadcnt 0x0
	global_load_b32 v1, v[16:17], off
	s_mov_b32 s15, 0
	s_mov_b32 s21, -1
	s_wait_loadcnt 0x0
	v_lshlrev_b32_e32 v1, 16, v1
	s_delay_alu instid0(VALU_DEP_1)
	v_cvt_i32_f32_e32 v18, v1
	s_branch .LBB110_3042
.LBB110_3034:
	s_mov_b32 s15, -1
	s_mov_b32 s21, 0
                                        ; implicit-def: $vgpr18
	s_branch .LBB110_3104
.LBB110_3035:
	s_mov_b32 s22, -1
	s_mov_b32 s21, 0
	s_mov_b32 s15, 0
                                        ; implicit-def: $vgpr18
	s_branch .LBB110_3069
.LBB110_3036:
	s_mov_b32 s22, -1
	s_mov_b32 s21, 0
	s_mov_b32 s15, 0
                                        ; implicit-def: $vgpr18
	s_branch .LBB110_3052
.LBB110_3037:
	s_mov_b32 s22, -1
	s_mov_b32 s21, 0
	s_mov_b32 s15, 0
                                        ; implicit-def: $vgpr18
	s_branch .LBB110_3047
.LBB110_3038:
	s_or_b32 s16, s16, exec_lo
	s_trap 2
	s_cbranch_execz .LBB110_2975
	s_branch .LBB110_2976
.LBB110_3039:
	s_mov_b32 s22, -1
	s_mov_b32 s21, 0
	s_mov_b32 s15, 0
	s_branch .LBB110_3041
.LBB110_3040:
	s_mov_b32 s15, -1
	s_mov_b32 s21, 0
.LBB110_3041:
                                        ; implicit-def: $vgpr18
.LBB110_3042:
	s_and_b32 vcc_lo, exec_lo, s22
	s_cbranch_vccz .LBB110_3046
; %bb.3043:
	s_cmp_eq_u32 s0, 44
	s_cbranch_scc0 .LBB110_3045
; %bb.3044:
	s_wait_loadcnt 0x0
	global_load_u8 v1, v[16:17], off
	s_mov_b32 s15, 0
	s_mov_b32 s21, -1
	s_wait_loadcnt 0x0
	v_lshlrev_b32_e32 v3, 23, v1
	v_cmp_ne_u32_e32 vcc_lo, 0, v1
	s_delay_alu instid0(VALU_DEP_2) | instskip(NEXT) | instid1(VALU_DEP_1)
	v_cvt_i32_f32_e32 v3, v3
	v_cndmask_b32_e32 v18, 0, v3, vcc_lo
	s_branch .LBB110_3046
.LBB110_3045:
	s_mov_b32 s15, -1
                                        ; implicit-def: $vgpr18
.LBB110_3046:
	s_mov_b32 s22, 0
.LBB110_3047:
	s_delay_alu instid0(SALU_CYCLE_1)
	s_and_b32 vcc_lo, exec_lo, s22
	s_cbranch_vccz .LBB110_3051
; %bb.3048:
	s_cmp_eq_u32 s0, 29
	s_cbranch_scc0 .LBB110_3050
; %bb.3049:
	global_load_b64 v[18:19], v[16:17], off
	s_mov_b32 s15, 0
	s_mov_b32 s21, -1
	s_branch .LBB110_3051
.LBB110_3050:
	s_mov_b32 s15, -1
                                        ; implicit-def: $vgpr18
.LBB110_3051:
	s_mov_b32 s22, 0
.LBB110_3052:
	s_delay_alu instid0(SALU_CYCLE_1)
	s_and_b32 vcc_lo, exec_lo, s22
	s_cbranch_vccz .LBB110_3068
; %bb.3053:
	s_cmp_lt_i32 s0, 27
	s_cbranch_scc1 .LBB110_3056
; %bb.3054:
	s_cmp_gt_i32 s0, 27
	s_cbranch_scc0 .LBB110_3057
; %bb.3055:
	s_wait_loadcnt 0x0
	global_load_b32 v18, v[16:17], off
	s_mov_b32 s21, 0
	s_branch .LBB110_3058
.LBB110_3056:
	s_mov_b32 s21, -1
                                        ; implicit-def: $vgpr18
	s_branch .LBB110_3061
.LBB110_3057:
	s_mov_b32 s21, -1
                                        ; implicit-def: $vgpr18
.LBB110_3058:
	s_delay_alu instid0(SALU_CYCLE_1)
	s_and_not1_b32 vcc_lo, exec_lo, s21
	s_cbranch_vccnz .LBB110_3060
; %bb.3059:
	s_wait_loadcnt 0x0
	global_load_u16 v18, v[16:17], off
.LBB110_3060:
	s_mov_b32 s21, 0
.LBB110_3061:
	s_delay_alu instid0(SALU_CYCLE_1)
	s_and_not1_b32 vcc_lo, exec_lo, s21
	s_cbranch_vccnz .LBB110_3067
; %bb.3062:
	s_wait_loadcnt 0x0
	global_load_u8 v1, v[16:17], off
	s_mov_b32 s22, 0
	s_mov_b32 s21, exec_lo
	s_wait_loadcnt 0x0
	v_cmpx_lt_i16_e32 0x7f, v1
	s_xor_b32 s21, exec_lo, s21
	s_cbranch_execz .LBB110_3079
; %bb.3063:
	v_cmp_ne_u16_e32 vcc_lo, 0x80, v1
	s_and_b32 s22, vcc_lo, exec_lo
	s_and_not1_saveexec_b32 s21, s21
	s_cbranch_execnz .LBB110_3080
.LBB110_3064:
	s_or_b32 exec_lo, exec_lo, s21
	v_mov_b32_e32 v18, 0
	s_and_saveexec_b32 s21, s22
	s_cbranch_execz .LBB110_3066
.LBB110_3065:
	v_and_b32_e32 v3, 0xffff, v1
	s_delay_alu instid0(VALU_DEP_1) | instskip(SKIP_1) | instid1(VALU_DEP_2)
	v_dual_lshlrev_b32 v1, 24, v1 :: v_dual_bitop2_b32 v5, 7, v3 bitop3:0x40
	v_bfe_u32 v11, v3, 3, 4
	v_and_b32_e32 v1, 0x80000000, v1
	s_delay_alu instid0(VALU_DEP_3) | instskip(NEXT) | instid1(VALU_DEP_3)
	v_clz_i32_u32_e32 v7, v5
	v_cmp_eq_u32_e32 vcc_lo, 0, v11
	s_delay_alu instid0(VALU_DEP_2) | instskip(NEXT) | instid1(VALU_DEP_1)
	v_min_u32_e32 v7, 32, v7
	v_subrev_nc_u32_e32 v9, 28, v7
	v_sub_nc_u32_e32 v7, 29, v7
	s_delay_alu instid0(VALU_DEP_2) | instskip(NEXT) | instid1(VALU_DEP_2)
	v_lshlrev_b32_e32 v3, v9, v3
	v_cndmask_b32_e32 v7, v11, v7, vcc_lo
	s_delay_alu instid0(VALU_DEP_2) | instskip(NEXT) | instid1(VALU_DEP_1)
	v_and_b32_e32 v3, 7, v3
	v_cndmask_b32_e32 v3, v5, v3, vcc_lo
	s_delay_alu instid0(VALU_DEP_3) | instskip(NEXT) | instid1(VALU_DEP_2)
	v_lshl_add_u32 v5, v7, 23, 0x3b800000
	v_lshlrev_b32_e32 v3, 20, v3
	s_delay_alu instid0(VALU_DEP_1) | instskip(NEXT) | instid1(VALU_DEP_1)
	v_or3_b32 v1, v1, v5, v3
	v_cvt_i32_f32_e32 v18, v1
.LBB110_3066:
	s_or_b32 exec_lo, exec_lo, s21
.LBB110_3067:
	s_mov_b32 s21, -1
.LBB110_3068:
	s_mov_b32 s22, 0
.LBB110_3069:
	s_delay_alu instid0(SALU_CYCLE_1)
	s_and_b32 vcc_lo, exec_lo, s22
	s_cbranch_vccz .LBB110_3100
; %bb.3070:
	s_cmp_gt_i32 s0, 22
	s_cbranch_scc0 .LBB110_3078
; %bb.3071:
	s_cmp_lt_i32 s0, 24
	s_cbranch_scc1 .LBB110_3081
; %bb.3072:
	s_cmp_gt_i32 s0, 24
	s_cbranch_scc0 .LBB110_3082
; %bb.3073:
	s_wait_loadcnt 0x0
	global_load_u8 v1, v[16:17], off
	s_mov_b32 s21, 0
	s_mov_b32 s20, exec_lo
	s_wait_loadcnt 0x0
	v_cmpx_lt_i16_e32 0x7f, v1
	s_xor_b32 s20, exec_lo, s20
	s_cbranch_execz .LBB110_3094
; %bb.3074:
	v_cmp_ne_u16_e32 vcc_lo, 0x80, v1
	s_and_b32 s21, vcc_lo, exec_lo
	s_and_not1_saveexec_b32 s20, s20
	s_cbranch_execnz .LBB110_3095
.LBB110_3075:
	s_or_b32 exec_lo, exec_lo, s20
	v_mov_b32_e32 v18, 0
	s_and_saveexec_b32 s20, s21
	s_cbranch_execz .LBB110_3077
.LBB110_3076:
	v_and_b32_e32 v3, 0xffff, v1
	s_delay_alu instid0(VALU_DEP_1) | instskip(SKIP_1) | instid1(VALU_DEP_2)
	v_dual_lshlrev_b32 v1, 24, v1 :: v_dual_bitop2_b32 v5, 3, v3 bitop3:0x40
	v_bfe_u32 v11, v3, 2, 5
	v_and_b32_e32 v1, 0x80000000, v1
	s_delay_alu instid0(VALU_DEP_3) | instskip(NEXT) | instid1(VALU_DEP_3)
	v_clz_i32_u32_e32 v7, v5
	v_cmp_eq_u32_e32 vcc_lo, 0, v11
	s_delay_alu instid0(VALU_DEP_2) | instskip(NEXT) | instid1(VALU_DEP_1)
	v_min_u32_e32 v7, 32, v7
	v_subrev_nc_u32_e32 v9, 29, v7
	v_sub_nc_u32_e32 v7, 30, v7
	s_delay_alu instid0(VALU_DEP_2) | instskip(NEXT) | instid1(VALU_DEP_2)
	v_lshlrev_b32_e32 v3, v9, v3
	v_cndmask_b32_e32 v7, v11, v7, vcc_lo
	s_delay_alu instid0(VALU_DEP_2) | instskip(NEXT) | instid1(VALU_DEP_1)
	v_and_b32_e32 v3, 3, v3
	v_cndmask_b32_e32 v3, v5, v3, vcc_lo
	s_delay_alu instid0(VALU_DEP_3) | instskip(NEXT) | instid1(VALU_DEP_2)
	v_lshl_add_u32 v5, v7, 23, 0x37800000
	v_lshlrev_b32_e32 v3, 21, v3
	s_delay_alu instid0(VALU_DEP_1) | instskip(NEXT) | instid1(VALU_DEP_1)
	v_or3_b32 v1, v1, v5, v3
	v_cvt_i32_f32_e32 v18, v1
.LBB110_3077:
	s_or_b32 exec_lo, exec_lo, s20
	s_mov_b32 s20, 0
	s_branch .LBB110_3083
.LBB110_3078:
	s_mov_b32 s20, -1
                                        ; implicit-def: $vgpr18
	s_branch .LBB110_3089
.LBB110_3079:
	s_and_not1_saveexec_b32 s21, s21
	s_cbranch_execz .LBB110_3064
.LBB110_3080:
	v_cmp_ne_u16_e32 vcc_lo, 0, v1
	s_and_not1_b32 s22, s22, exec_lo
	s_and_b32 s23, vcc_lo, exec_lo
	s_delay_alu instid0(SALU_CYCLE_1)
	s_or_b32 s22, s22, s23
	s_or_b32 exec_lo, exec_lo, s21
	v_mov_b32_e32 v18, 0
	s_and_saveexec_b32 s21, s22
	s_cbranch_execnz .LBB110_3065
	s_branch .LBB110_3066
.LBB110_3081:
	s_mov_b32 s20, -1
                                        ; implicit-def: $vgpr18
	s_branch .LBB110_3086
.LBB110_3082:
	s_mov_b32 s20, -1
                                        ; implicit-def: $vgpr18
.LBB110_3083:
	s_delay_alu instid0(SALU_CYCLE_1)
	s_and_b32 vcc_lo, exec_lo, s20
	s_cbranch_vccz .LBB110_3085
; %bb.3084:
	s_wait_loadcnt 0x0
	global_load_u8 v1, v[16:17], off
	s_wait_loadcnt 0x0
	v_lshlrev_b32_e32 v1, 24, v1
	s_delay_alu instid0(VALU_DEP_1) | instskip(NEXT) | instid1(VALU_DEP_1)
	v_and_b32_e32 v3, 0x7f000000, v1
	v_clz_i32_u32_e32 v5, v3
	v_add_nc_u32_e32 v9, 0x1000000, v3
	v_cmp_ne_u32_e32 vcc_lo, 0, v3
	s_delay_alu instid0(VALU_DEP_3) | instskip(NEXT) | instid1(VALU_DEP_1)
	v_min_u32_e32 v5, 32, v5
	v_sub_nc_u32_e64 v5, v5, 4 clamp
	s_delay_alu instid0(VALU_DEP_1) | instskip(NEXT) | instid1(VALU_DEP_1)
	v_dual_lshlrev_b32 v7, v5, v3 :: v_dual_lshlrev_b32 v5, 23, v5
	v_lshrrev_b32_e32 v7, 4, v7
	s_delay_alu instid0(VALU_DEP_1) | instskip(SKIP_1) | instid1(VALU_DEP_2)
	v_sub_nc_u32_e32 v5, v7, v5
	v_ashrrev_i32_e32 v7, 8, v9
	v_add_nc_u32_e32 v5, 0x3c000000, v5
	s_delay_alu instid0(VALU_DEP_1) | instskip(NEXT) | instid1(VALU_DEP_1)
	v_and_or_b32 v5, 0x7f800000, v7, v5
	v_cndmask_b32_e32 v3, 0, v5, vcc_lo
	s_delay_alu instid0(VALU_DEP_1) | instskip(NEXT) | instid1(VALU_DEP_1)
	v_and_or_b32 v1, 0x80000000, v1, v3
	v_cvt_i32_f32_e32 v18, v1
.LBB110_3085:
	s_mov_b32 s20, 0
.LBB110_3086:
	s_delay_alu instid0(SALU_CYCLE_1)
	s_and_not1_b32 vcc_lo, exec_lo, s20
	s_cbranch_vccnz .LBB110_3088
; %bb.3087:
	s_wait_loadcnt 0x0
	global_load_u8 v1, v[16:17], off
	s_wait_loadcnt 0x0
	v_lshlrev_b32_e32 v3, 25, v1
	v_lshlrev_b16 v1, 8, v1
	s_delay_alu instid0(VALU_DEP_1) | instskip(SKIP_1) | instid1(VALU_DEP_2)
	v_and_or_b32 v7, 0x7f00, v1, 0.5
	v_bfe_i32 v1, v1, 0, 16
	v_add_f32_e32 v7, -0.5, v7
	v_lshrrev_b32_e32 v5, 4, v3
	v_cmp_gt_u32_e32 vcc_lo, 0x8000000, v3
	s_delay_alu instid0(VALU_DEP_2) | instskip(NEXT) | instid1(VALU_DEP_1)
	v_or_b32_e32 v5, 0x70000000, v5
	v_mul_f32_e32 v5, 0x7800000, v5
	s_delay_alu instid0(VALU_DEP_1) | instskip(NEXT) | instid1(VALU_DEP_1)
	v_cndmask_b32_e32 v3, v5, v7, vcc_lo
	v_and_or_b32 v1, 0x80000000, v1, v3
	s_delay_alu instid0(VALU_DEP_1)
	v_cvt_i32_f32_e32 v18, v1
.LBB110_3088:
	s_mov_b32 s20, 0
	s_mov_b32 s21, -1
.LBB110_3089:
	s_and_not1_b32 vcc_lo, exec_lo, s20
	s_mov_b32 s20, 0
	s_cbranch_vccnz .LBB110_3100
; %bb.3090:
	s_cmp_gt_i32 s0, 14
	s_cbranch_scc0 .LBB110_3093
; %bb.3091:
	s_cmp_eq_u32 s0, 15
	s_cbranch_scc0 .LBB110_3096
; %bb.3092:
	s_wait_loadcnt 0x0
	global_load_u16 v1, v[16:17], off
	s_mov_b32 s15, 0
	s_mov_b32 s21, -1
	s_wait_loadcnt 0x0
	v_lshlrev_b32_e32 v1, 16, v1
	s_delay_alu instid0(VALU_DEP_1)
	v_cvt_i32_f32_e32 v18, v1
	s_branch .LBB110_3098
.LBB110_3093:
	s_mov_b32 s20, -1
	s_branch .LBB110_3097
.LBB110_3094:
	s_and_not1_saveexec_b32 s20, s20
	s_cbranch_execz .LBB110_3075
.LBB110_3095:
	v_cmp_ne_u16_e32 vcc_lo, 0, v1
	s_and_not1_b32 s21, s21, exec_lo
	s_and_b32 s22, vcc_lo, exec_lo
	s_delay_alu instid0(SALU_CYCLE_1)
	s_or_b32 s21, s21, s22
	s_or_b32 exec_lo, exec_lo, s20
	v_mov_b32_e32 v18, 0
	s_and_saveexec_b32 s20, s21
	s_cbranch_execnz .LBB110_3076
	s_branch .LBB110_3077
.LBB110_3096:
	s_mov_b32 s15, -1
.LBB110_3097:
                                        ; implicit-def: $vgpr18
.LBB110_3098:
	s_and_b32 vcc_lo, exec_lo, s20
	s_mov_b32 s20, 0
	s_cbranch_vccz .LBB110_3100
; %bb.3099:
	s_cmp_lg_u32 s0, 11
	s_mov_b32 s20, -1
	s_cselect_b32 s15, -1, 0
.LBB110_3100:
	s_delay_alu instid0(SALU_CYCLE_1)
	s_and_b32 vcc_lo, exec_lo, s15
	s_cbranch_vccnz .LBB110_3165
; %bb.3101:
	s_and_not1_b32 vcc_lo, exec_lo, s20
	s_cbranch_vccnz .LBB110_3103
.LBB110_3102:
	s_wait_loadcnt 0x0
	global_load_u8 v1, v[16:17], off
	s_mov_b32 s21, -1
	s_wait_loadcnt 0x0
	v_cmp_ne_u16_e32 vcc_lo, 0, v1
	v_cndmask_b32_e64 v18, 0, 1, vcc_lo
.LBB110_3103:
	s_mov_b32 s15, 0
.LBB110_3104:
	s_delay_alu instid0(SALU_CYCLE_1)
	s_and_b32 vcc_lo, exec_lo, s15
	s_cbranch_vccz .LBB110_3153
; %bb.3105:
	s_cmp_lt_i32 s0, 5
	s_cbranch_scc1 .LBB110_3110
; %bb.3106:
	s_cmp_lt_i32 s0, 8
	s_cbranch_scc1 .LBB110_3111
	;; [unrolled: 3-line block ×3, first 2 shown]
; %bb.3108:
	s_cmp_gt_i32 s0, 9
	s_cbranch_scc0 .LBB110_3113
; %bb.3109:
	s_wait_loadcnt 0x0
	global_load_b64 v[18:19], v[16:17], off
	s_mov_b32 s15, 0
	s_wait_loadcnt 0x0
	v_cvt_i32_f64_e32 v18, v[18:19]
	s_branch .LBB110_3114
.LBB110_3110:
	s_mov_b32 s15, -1
                                        ; implicit-def: $vgpr18
	s_branch .LBB110_3132
.LBB110_3111:
	s_mov_b32 s15, -1
                                        ; implicit-def: $vgpr18
	s_branch .LBB110_3120
.LBB110_3112:
	s_mov_b32 s15, -1
                                        ; implicit-def: $vgpr18
	s_branch .LBB110_3117
.LBB110_3113:
	s_mov_b32 s15, -1
                                        ; implicit-def: $vgpr18
.LBB110_3114:
	s_delay_alu instid0(SALU_CYCLE_1)
	s_and_not1_b32 vcc_lo, exec_lo, s15
	s_cbranch_vccnz .LBB110_3116
; %bb.3115:
	s_wait_loadcnt 0x0
	global_load_b32 v1, v[16:17], off
	s_wait_loadcnt 0x0
	v_cvt_i32_f32_e32 v18, v1
.LBB110_3116:
	s_mov_b32 s15, 0
.LBB110_3117:
	s_delay_alu instid0(SALU_CYCLE_1)
	s_and_not1_b32 vcc_lo, exec_lo, s15
	s_cbranch_vccnz .LBB110_3119
; %bb.3118:
	s_wait_loadcnt 0x0
	global_load_b32 v1, v[16:17], off
	s_wait_loadcnt 0x0
	v_cvt_i16_f16_e32 v18, v1
.LBB110_3119:
	s_mov_b32 s15, 0
.LBB110_3120:
	s_delay_alu instid0(SALU_CYCLE_1)
	s_and_not1_b32 vcc_lo, exec_lo, s15
	s_cbranch_vccnz .LBB110_3131
; %bb.3121:
	s_cmp_lt_i32 s0, 6
	s_cbranch_scc1 .LBB110_3124
; %bb.3122:
	s_cmp_gt_i32 s0, 6
	s_cbranch_scc0 .LBB110_3125
; %bb.3123:
	s_wait_loadcnt 0x0
	global_load_b64 v[18:19], v[16:17], off
	s_mov_b32 s15, 0
	s_wait_loadcnt 0x0
	v_cvt_i32_f64_e32 v18, v[18:19]
	s_branch .LBB110_3126
.LBB110_3124:
	s_mov_b32 s15, -1
                                        ; implicit-def: $vgpr18
	s_branch .LBB110_3129
.LBB110_3125:
	s_mov_b32 s15, -1
                                        ; implicit-def: $vgpr18
.LBB110_3126:
	s_delay_alu instid0(SALU_CYCLE_1)
	s_and_not1_b32 vcc_lo, exec_lo, s15
	s_cbranch_vccnz .LBB110_3128
; %bb.3127:
	s_wait_loadcnt 0x0
	global_load_b32 v1, v[16:17], off
	s_wait_loadcnt 0x0
	v_cvt_i32_f32_e32 v18, v1
.LBB110_3128:
	s_mov_b32 s15, 0
.LBB110_3129:
	s_delay_alu instid0(SALU_CYCLE_1)
	s_and_not1_b32 vcc_lo, exec_lo, s15
	s_cbranch_vccnz .LBB110_3131
; %bb.3130:
	s_wait_loadcnt 0x0
	global_load_u16 v1, v[16:17], off
	s_wait_loadcnt 0x0
	v_cvt_i16_f16_e32 v18, v1
.LBB110_3131:
	s_mov_b32 s15, 0
.LBB110_3132:
	s_delay_alu instid0(SALU_CYCLE_1)
	s_and_not1_b32 vcc_lo, exec_lo, s15
	s_cbranch_vccnz .LBB110_3152
; %bb.3133:
	s_cmp_lt_i32 s0, 2
	s_cbranch_scc1 .LBB110_3137
; %bb.3134:
	s_cmp_lt_i32 s0, 3
	s_cbranch_scc1 .LBB110_3138
; %bb.3135:
	s_cmp_gt_i32 s0, 3
	s_cbranch_scc0 .LBB110_3139
; %bb.3136:
	s_wait_loadcnt 0x0
	global_load_b64 v[18:19], v[16:17], off
	s_mov_b32 s15, 0
	s_branch .LBB110_3140
.LBB110_3137:
	s_mov_b32 s15, -1
                                        ; implicit-def: $vgpr18
	s_branch .LBB110_3146
.LBB110_3138:
	s_mov_b32 s15, -1
                                        ; implicit-def: $vgpr18
	s_branch .LBB110_3143
.LBB110_3139:
	s_mov_b32 s15, -1
                                        ; implicit-def: $vgpr18
.LBB110_3140:
	s_delay_alu instid0(SALU_CYCLE_1)
	s_and_not1_b32 vcc_lo, exec_lo, s15
	s_cbranch_vccnz .LBB110_3142
; %bb.3141:
	s_wait_loadcnt 0x0
	global_load_b32 v18, v[16:17], off
.LBB110_3142:
	s_mov_b32 s15, 0
.LBB110_3143:
	s_delay_alu instid0(SALU_CYCLE_1)
	s_and_not1_b32 vcc_lo, exec_lo, s15
	s_cbranch_vccnz .LBB110_3145
; %bb.3144:
	s_wait_loadcnt 0x0
	global_load_u16 v18, v[16:17], off
.LBB110_3145:
	s_mov_b32 s15, 0
.LBB110_3146:
	s_delay_alu instid0(SALU_CYCLE_1)
	s_and_not1_b32 vcc_lo, exec_lo, s15
	s_cbranch_vccnz .LBB110_3152
; %bb.3147:
	s_cmp_gt_i32 s0, 0
	s_mov_b32 s15, 0
	s_cbranch_scc0 .LBB110_3149
; %bb.3148:
	s_wait_loadcnt 0x0
	global_load_u8 v18, v[16:17], off
	s_branch .LBB110_3150
.LBB110_3149:
	s_mov_b32 s15, -1
                                        ; implicit-def: $vgpr18
.LBB110_3150:
	s_delay_alu instid0(SALU_CYCLE_1)
	s_and_not1_b32 vcc_lo, exec_lo, s15
	s_cbranch_vccnz .LBB110_3152
; %bb.3151:
	s_wait_loadcnt 0x0
	global_load_u8 v18, v[16:17], off
.LBB110_3152:
	s_mov_b32 s21, -1
.LBB110_3153:
	s_delay_alu instid0(SALU_CYCLE_1)
	s_and_not1_b32 vcc_lo, exec_lo, s21
	s_cbranch_vccnz .LBB110_3968
; %bb.3154:
	s_wait_xcnt 0x0
	v_add_nc_u32_e32 v16, s1, v20
	s_cmp_lt_i32 s17, 11
	s_delay_alu instid0(VALU_DEP_1) | instskip(NEXT) | instid1(VALU_DEP_1)
	v_ashrrev_i32_e32 v17, 31, v16
	v_add_nc_u64_e32 v[20:21], s[6:7], v[16:17]
	s_cbranch_scc1 .LBB110_3161
; %bb.3155:
	s_and_b32 s1, 0xffff, s17
	s_mov_b32 s7, 0
	s_cmp_gt_i32 s1, 25
	s_cbranch_scc0 .LBB110_3162
; %bb.3156:
	s_cmp_gt_i32 s1, 28
	s_cbranch_scc0 .LBB110_3163
; %bb.3157:
	;; [unrolled: 3-line block ×4, first 2 shown]
	s_cmp_eq_u32 s1, 46
	s_mov_b32 s20, 0
	s_cbranch_scc0 .LBB110_3167
; %bb.3160:
	s_wait_loadcnt 0x0
	global_load_b32 v1, v[20:21], off
	s_mov_b32 s6, 0
	s_mov_b32 s15, -1
	s_wait_loadcnt 0x0
	v_lshlrev_b32_e32 v1, 16, v1
	s_delay_alu instid0(VALU_DEP_1)
	v_cvt_i32_f32_e32 v16, v1
	s_branch .LBB110_3169
.LBB110_3161:
	s_mov_b32 s1, -1
	s_mov_b32 s15, 0
                                        ; implicit-def: $vgpr16
	s_branch .LBB110_3231
.LBB110_3162:
	s_mov_b32 s20, -1
	s_mov_b32 s15, 0
	s_mov_b32 s6, 0
                                        ; implicit-def: $vgpr16
	s_branch .LBB110_3196
.LBB110_3163:
	s_mov_b32 s20, -1
	s_mov_b32 s15, 0
	s_mov_b32 s6, 0
                                        ; implicit-def: $vgpr16
	s_branch .LBB110_3179
.LBB110_3164:
	s_mov_b32 s20, -1
	s_mov_b32 s15, 0
	s_mov_b32 s6, 0
                                        ; implicit-def: $vgpr16
	s_branch .LBB110_3174
.LBB110_3165:
	s_or_b32 s16, s16, exec_lo
	s_trap 2
	s_cbranch_execz .LBB110_3102
	s_branch .LBB110_3103
.LBB110_3166:
	s_mov_b32 s20, -1
	s_mov_b32 s15, 0
	s_mov_b32 s6, 0
	s_branch .LBB110_3168
.LBB110_3167:
	s_mov_b32 s6, -1
	s_mov_b32 s15, 0
.LBB110_3168:
                                        ; implicit-def: $vgpr16
.LBB110_3169:
	s_and_b32 vcc_lo, exec_lo, s20
	s_cbranch_vccz .LBB110_3173
; %bb.3170:
	s_cmp_eq_u32 s1, 44
	s_cbranch_scc0 .LBB110_3172
; %bb.3171:
	s_wait_loadcnt 0x0
	global_load_u8 v1, v[20:21], off
	s_mov_b32 s6, 0
	s_mov_b32 s15, -1
	s_wait_loadcnt 0x0
	v_lshlrev_b32_e32 v3, 23, v1
	v_cmp_ne_u32_e32 vcc_lo, 0, v1
	s_delay_alu instid0(VALU_DEP_2) | instskip(NEXT) | instid1(VALU_DEP_1)
	v_cvt_i32_f32_e32 v3, v3
	v_cndmask_b32_e32 v16, 0, v3, vcc_lo
	s_branch .LBB110_3173
.LBB110_3172:
	s_mov_b32 s6, -1
                                        ; implicit-def: $vgpr16
.LBB110_3173:
	s_mov_b32 s20, 0
.LBB110_3174:
	s_delay_alu instid0(SALU_CYCLE_1)
	s_and_b32 vcc_lo, exec_lo, s20
	s_cbranch_vccz .LBB110_3178
; %bb.3175:
	s_cmp_eq_u32 s1, 29
	s_cbranch_scc0 .LBB110_3177
; %bb.3176:
	global_load_b64 v[16:17], v[20:21], off
	s_mov_b32 s6, 0
	s_mov_b32 s15, -1
	s_branch .LBB110_3178
.LBB110_3177:
	s_mov_b32 s6, -1
                                        ; implicit-def: $vgpr16
.LBB110_3178:
	s_mov_b32 s20, 0
.LBB110_3179:
	s_delay_alu instid0(SALU_CYCLE_1)
	s_and_b32 vcc_lo, exec_lo, s20
	s_cbranch_vccz .LBB110_3195
; %bb.3180:
	s_cmp_lt_i32 s1, 27
	s_cbranch_scc1 .LBB110_3183
; %bb.3181:
	s_cmp_gt_i32 s1, 27
	s_cbranch_scc0 .LBB110_3184
; %bb.3182:
	s_wait_loadcnt 0x0
	global_load_b32 v16, v[20:21], off
	s_mov_b32 s15, 0
	s_branch .LBB110_3185
.LBB110_3183:
	s_mov_b32 s15, -1
                                        ; implicit-def: $vgpr16
	s_branch .LBB110_3188
.LBB110_3184:
	s_mov_b32 s15, -1
                                        ; implicit-def: $vgpr16
.LBB110_3185:
	s_delay_alu instid0(SALU_CYCLE_1)
	s_and_not1_b32 vcc_lo, exec_lo, s15
	s_cbranch_vccnz .LBB110_3187
; %bb.3186:
	s_wait_loadcnt 0x0
	global_load_u16 v16, v[20:21], off
.LBB110_3187:
	s_mov_b32 s15, 0
.LBB110_3188:
	s_delay_alu instid0(SALU_CYCLE_1)
	s_and_not1_b32 vcc_lo, exec_lo, s15
	s_cbranch_vccnz .LBB110_3194
; %bb.3189:
	s_wait_loadcnt 0x0
	global_load_u8 v1, v[20:21], off
	s_mov_b32 s20, 0
	s_mov_b32 s15, exec_lo
	s_wait_loadcnt 0x0
	v_cmpx_lt_i16_e32 0x7f, v1
	s_xor_b32 s15, exec_lo, s15
	s_cbranch_execz .LBB110_3206
; %bb.3190:
	v_cmp_ne_u16_e32 vcc_lo, 0x80, v1
	s_and_b32 s20, vcc_lo, exec_lo
	s_and_not1_saveexec_b32 s15, s15
	s_cbranch_execnz .LBB110_3207
.LBB110_3191:
	s_or_b32 exec_lo, exec_lo, s15
	v_mov_b32_e32 v16, 0
	s_and_saveexec_b32 s15, s20
	s_cbranch_execz .LBB110_3193
.LBB110_3192:
	v_and_b32_e32 v3, 0xffff, v1
	s_delay_alu instid0(VALU_DEP_1) | instskip(SKIP_1) | instid1(VALU_DEP_2)
	v_dual_lshlrev_b32 v1, 24, v1 :: v_dual_bitop2_b32 v5, 7, v3 bitop3:0x40
	v_bfe_u32 v11, v3, 3, 4
	v_and_b32_e32 v1, 0x80000000, v1
	s_delay_alu instid0(VALU_DEP_3) | instskip(NEXT) | instid1(VALU_DEP_3)
	v_clz_i32_u32_e32 v7, v5
	v_cmp_eq_u32_e32 vcc_lo, 0, v11
	s_delay_alu instid0(VALU_DEP_2) | instskip(NEXT) | instid1(VALU_DEP_1)
	v_min_u32_e32 v7, 32, v7
	v_subrev_nc_u32_e32 v9, 28, v7
	v_sub_nc_u32_e32 v7, 29, v7
	s_delay_alu instid0(VALU_DEP_2) | instskip(NEXT) | instid1(VALU_DEP_2)
	v_lshlrev_b32_e32 v3, v9, v3
	v_cndmask_b32_e32 v7, v11, v7, vcc_lo
	s_delay_alu instid0(VALU_DEP_2) | instskip(NEXT) | instid1(VALU_DEP_1)
	v_and_b32_e32 v3, 7, v3
	v_cndmask_b32_e32 v3, v5, v3, vcc_lo
	s_delay_alu instid0(VALU_DEP_3) | instskip(NEXT) | instid1(VALU_DEP_2)
	v_lshl_add_u32 v5, v7, 23, 0x3b800000
	v_lshlrev_b32_e32 v3, 20, v3
	s_delay_alu instid0(VALU_DEP_1) | instskip(NEXT) | instid1(VALU_DEP_1)
	v_or3_b32 v1, v1, v5, v3
	v_cvt_i32_f32_e32 v16, v1
.LBB110_3193:
	s_or_b32 exec_lo, exec_lo, s15
.LBB110_3194:
	s_mov_b32 s15, -1
.LBB110_3195:
	s_mov_b32 s20, 0
.LBB110_3196:
	s_delay_alu instid0(SALU_CYCLE_1)
	s_and_b32 vcc_lo, exec_lo, s20
	s_cbranch_vccz .LBB110_3227
; %bb.3197:
	s_cmp_gt_i32 s1, 22
	s_cbranch_scc0 .LBB110_3205
; %bb.3198:
	s_cmp_lt_i32 s1, 24
	s_cbranch_scc1 .LBB110_3208
; %bb.3199:
	s_cmp_gt_i32 s1, 24
	s_cbranch_scc0 .LBB110_3209
; %bb.3200:
	s_wait_loadcnt 0x0
	global_load_u8 v1, v[20:21], off
	s_mov_b32 s15, 0
	s_mov_b32 s7, exec_lo
	s_wait_loadcnt 0x0
	v_cmpx_lt_i16_e32 0x7f, v1
	s_xor_b32 s7, exec_lo, s7
	s_cbranch_execz .LBB110_3221
; %bb.3201:
	v_cmp_ne_u16_e32 vcc_lo, 0x80, v1
	s_and_b32 s15, vcc_lo, exec_lo
	s_and_not1_saveexec_b32 s7, s7
	s_cbranch_execnz .LBB110_3222
.LBB110_3202:
	s_or_b32 exec_lo, exec_lo, s7
	v_mov_b32_e32 v16, 0
	s_and_saveexec_b32 s7, s15
	s_cbranch_execz .LBB110_3204
.LBB110_3203:
	v_and_b32_e32 v3, 0xffff, v1
	s_delay_alu instid0(VALU_DEP_1) | instskip(SKIP_1) | instid1(VALU_DEP_2)
	v_dual_lshlrev_b32 v1, 24, v1 :: v_dual_bitop2_b32 v5, 3, v3 bitop3:0x40
	v_bfe_u32 v11, v3, 2, 5
	v_and_b32_e32 v1, 0x80000000, v1
	s_delay_alu instid0(VALU_DEP_3) | instskip(NEXT) | instid1(VALU_DEP_3)
	v_clz_i32_u32_e32 v7, v5
	v_cmp_eq_u32_e32 vcc_lo, 0, v11
	s_delay_alu instid0(VALU_DEP_2) | instskip(NEXT) | instid1(VALU_DEP_1)
	v_min_u32_e32 v7, 32, v7
	v_subrev_nc_u32_e32 v9, 29, v7
	v_sub_nc_u32_e32 v7, 30, v7
	s_delay_alu instid0(VALU_DEP_2) | instskip(NEXT) | instid1(VALU_DEP_2)
	v_lshlrev_b32_e32 v3, v9, v3
	v_cndmask_b32_e32 v7, v11, v7, vcc_lo
	s_delay_alu instid0(VALU_DEP_2) | instskip(NEXT) | instid1(VALU_DEP_1)
	v_and_b32_e32 v3, 3, v3
	v_cndmask_b32_e32 v3, v5, v3, vcc_lo
	s_delay_alu instid0(VALU_DEP_3) | instskip(NEXT) | instid1(VALU_DEP_2)
	v_lshl_add_u32 v5, v7, 23, 0x37800000
	v_lshlrev_b32_e32 v3, 21, v3
	s_delay_alu instid0(VALU_DEP_1) | instskip(NEXT) | instid1(VALU_DEP_1)
	v_or3_b32 v1, v1, v5, v3
	v_cvt_i32_f32_e32 v16, v1
.LBB110_3204:
	s_or_b32 exec_lo, exec_lo, s7
	s_mov_b32 s7, 0
	s_branch .LBB110_3210
.LBB110_3205:
	s_mov_b32 s7, -1
                                        ; implicit-def: $vgpr16
	s_branch .LBB110_3216
.LBB110_3206:
	s_and_not1_saveexec_b32 s15, s15
	s_cbranch_execz .LBB110_3191
.LBB110_3207:
	v_cmp_ne_u16_e32 vcc_lo, 0, v1
	s_and_not1_b32 s20, s20, exec_lo
	s_and_b32 s21, vcc_lo, exec_lo
	s_delay_alu instid0(SALU_CYCLE_1)
	s_or_b32 s20, s20, s21
	s_or_b32 exec_lo, exec_lo, s15
	v_mov_b32_e32 v16, 0
	s_and_saveexec_b32 s15, s20
	s_cbranch_execnz .LBB110_3192
	s_branch .LBB110_3193
.LBB110_3208:
	s_mov_b32 s7, -1
                                        ; implicit-def: $vgpr16
	s_branch .LBB110_3213
.LBB110_3209:
	s_mov_b32 s7, -1
                                        ; implicit-def: $vgpr16
.LBB110_3210:
	s_delay_alu instid0(SALU_CYCLE_1)
	s_and_b32 vcc_lo, exec_lo, s7
	s_cbranch_vccz .LBB110_3212
; %bb.3211:
	s_wait_loadcnt 0x0
	global_load_u8 v1, v[20:21], off
	s_wait_loadcnt 0x0
	v_lshlrev_b32_e32 v1, 24, v1
	s_delay_alu instid0(VALU_DEP_1) | instskip(NEXT) | instid1(VALU_DEP_1)
	v_and_b32_e32 v3, 0x7f000000, v1
	v_clz_i32_u32_e32 v5, v3
	v_add_nc_u32_e32 v9, 0x1000000, v3
	v_cmp_ne_u32_e32 vcc_lo, 0, v3
	s_delay_alu instid0(VALU_DEP_3) | instskip(NEXT) | instid1(VALU_DEP_1)
	v_min_u32_e32 v5, 32, v5
	v_sub_nc_u32_e64 v5, v5, 4 clamp
	s_delay_alu instid0(VALU_DEP_1) | instskip(NEXT) | instid1(VALU_DEP_1)
	v_dual_lshlrev_b32 v7, v5, v3 :: v_dual_lshlrev_b32 v5, 23, v5
	v_lshrrev_b32_e32 v7, 4, v7
	s_delay_alu instid0(VALU_DEP_1) | instskip(SKIP_1) | instid1(VALU_DEP_2)
	v_sub_nc_u32_e32 v5, v7, v5
	v_ashrrev_i32_e32 v7, 8, v9
	v_add_nc_u32_e32 v5, 0x3c000000, v5
	s_delay_alu instid0(VALU_DEP_1) | instskip(NEXT) | instid1(VALU_DEP_1)
	v_and_or_b32 v5, 0x7f800000, v7, v5
	v_cndmask_b32_e32 v3, 0, v5, vcc_lo
	s_delay_alu instid0(VALU_DEP_1) | instskip(NEXT) | instid1(VALU_DEP_1)
	v_and_or_b32 v1, 0x80000000, v1, v3
	v_cvt_i32_f32_e32 v16, v1
.LBB110_3212:
	s_mov_b32 s7, 0
.LBB110_3213:
	s_delay_alu instid0(SALU_CYCLE_1)
	s_and_not1_b32 vcc_lo, exec_lo, s7
	s_cbranch_vccnz .LBB110_3215
; %bb.3214:
	s_wait_loadcnt 0x0
	global_load_u8 v1, v[20:21], off
	s_wait_loadcnt 0x0
	v_lshlrev_b32_e32 v3, 25, v1
	v_lshlrev_b16 v1, 8, v1
	s_delay_alu instid0(VALU_DEP_1) | instskip(SKIP_1) | instid1(VALU_DEP_2)
	v_and_or_b32 v7, 0x7f00, v1, 0.5
	v_bfe_i32 v1, v1, 0, 16
	v_add_f32_e32 v7, -0.5, v7
	v_lshrrev_b32_e32 v5, 4, v3
	v_cmp_gt_u32_e32 vcc_lo, 0x8000000, v3
	s_delay_alu instid0(VALU_DEP_2) | instskip(NEXT) | instid1(VALU_DEP_1)
	v_or_b32_e32 v5, 0x70000000, v5
	v_mul_f32_e32 v5, 0x7800000, v5
	s_delay_alu instid0(VALU_DEP_1) | instskip(NEXT) | instid1(VALU_DEP_1)
	v_cndmask_b32_e32 v3, v5, v7, vcc_lo
	v_and_or_b32 v1, 0x80000000, v1, v3
	s_delay_alu instid0(VALU_DEP_1)
	v_cvt_i32_f32_e32 v16, v1
.LBB110_3215:
	s_mov_b32 s7, 0
	s_mov_b32 s15, -1
.LBB110_3216:
	s_and_not1_b32 vcc_lo, exec_lo, s7
	s_mov_b32 s7, 0
	s_cbranch_vccnz .LBB110_3227
; %bb.3217:
	s_cmp_gt_i32 s1, 14
	s_cbranch_scc0 .LBB110_3220
; %bb.3218:
	s_cmp_eq_u32 s1, 15
	s_cbranch_scc0 .LBB110_3223
; %bb.3219:
	s_wait_loadcnt 0x0
	global_load_u16 v1, v[20:21], off
	s_mov_b32 s6, 0
	s_mov_b32 s15, -1
	s_wait_loadcnt 0x0
	v_lshlrev_b32_e32 v1, 16, v1
	s_delay_alu instid0(VALU_DEP_1)
	v_cvt_i32_f32_e32 v16, v1
	s_branch .LBB110_3225
.LBB110_3220:
	s_mov_b32 s7, -1
	s_branch .LBB110_3224
.LBB110_3221:
	s_and_not1_saveexec_b32 s7, s7
	s_cbranch_execz .LBB110_3202
.LBB110_3222:
	v_cmp_ne_u16_e32 vcc_lo, 0, v1
	s_and_not1_b32 s15, s15, exec_lo
	s_and_b32 s20, vcc_lo, exec_lo
	s_delay_alu instid0(SALU_CYCLE_1)
	s_or_b32 s15, s15, s20
	s_or_b32 exec_lo, exec_lo, s7
	v_mov_b32_e32 v16, 0
	s_and_saveexec_b32 s7, s15
	s_cbranch_execnz .LBB110_3203
	s_branch .LBB110_3204
.LBB110_3223:
	s_mov_b32 s6, -1
.LBB110_3224:
                                        ; implicit-def: $vgpr16
.LBB110_3225:
	s_and_b32 vcc_lo, exec_lo, s7
	s_mov_b32 s7, 0
	s_cbranch_vccz .LBB110_3227
; %bb.3226:
	s_cmp_lg_u32 s1, 11
	s_mov_b32 s7, -1
	s_cselect_b32 s6, -1, 0
.LBB110_3227:
	s_delay_alu instid0(SALU_CYCLE_1)
	s_and_b32 vcc_lo, exec_lo, s6
	s_cbranch_vccnz .LBB110_3292
; %bb.3228:
	s_and_not1_b32 vcc_lo, exec_lo, s7
	s_cbranch_vccnz .LBB110_3230
.LBB110_3229:
	s_wait_loadcnt 0x0
	global_load_u8 v1, v[20:21], off
	s_mov_b32 s15, -1
	s_wait_loadcnt 0x0
	v_cmp_ne_u16_e32 vcc_lo, 0, v1
	v_cndmask_b32_e64 v16, 0, 1, vcc_lo
.LBB110_3230:
	s_mov_b32 s1, 0
.LBB110_3231:
	s_delay_alu instid0(SALU_CYCLE_1)
	s_and_b32 vcc_lo, exec_lo, s1
	s_cbranch_vccz .LBB110_3280
; %bb.3232:
	s_and_b32 s1, 0xffff, s17
	s_delay_alu instid0(SALU_CYCLE_1)
	s_cmp_lt_i32 s1, 5
	s_cbranch_scc1 .LBB110_3237
; %bb.3233:
	s_cmp_lt_i32 s1, 8
	s_cbranch_scc1 .LBB110_3238
; %bb.3234:
	;; [unrolled: 3-line block ×3, first 2 shown]
	s_cmp_gt_i32 s1, 9
	s_cbranch_scc0 .LBB110_3240
; %bb.3236:
	s_wait_loadcnt 0x0
	global_load_b64 v[16:17], v[20:21], off
	s_mov_b32 s6, 0
	s_wait_loadcnt 0x0
	v_cvt_i32_f64_e32 v16, v[16:17]
	s_branch .LBB110_3241
.LBB110_3237:
	s_mov_b32 s6, -1
                                        ; implicit-def: $vgpr16
	s_branch .LBB110_3259
.LBB110_3238:
	s_mov_b32 s6, -1
                                        ; implicit-def: $vgpr16
	s_branch .LBB110_3247
.LBB110_3239:
	s_mov_b32 s6, -1
                                        ; implicit-def: $vgpr16
	s_branch .LBB110_3244
.LBB110_3240:
	s_mov_b32 s6, -1
                                        ; implicit-def: $vgpr16
.LBB110_3241:
	s_delay_alu instid0(SALU_CYCLE_1)
	s_and_not1_b32 vcc_lo, exec_lo, s6
	s_cbranch_vccnz .LBB110_3243
; %bb.3242:
	s_wait_loadcnt 0x0
	global_load_b32 v1, v[20:21], off
	s_wait_loadcnt 0x0
	v_cvt_i32_f32_e32 v16, v1
.LBB110_3243:
	s_mov_b32 s6, 0
.LBB110_3244:
	s_delay_alu instid0(SALU_CYCLE_1)
	s_and_not1_b32 vcc_lo, exec_lo, s6
	s_cbranch_vccnz .LBB110_3246
; %bb.3245:
	s_wait_loadcnt 0x0
	global_load_b32 v1, v[20:21], off
	s_wait_loadcnt 0x0
	v_cvt_i16_f16_e32 v16, v1
.LBB110_3246:
	s_mov_b32 s6, 0
.LBB110_3247:
	s_delay_alu instid0(SALU_CYCLE_1)
	s_and_not1_b32 vcc_lo, exec_lo, s6
	s_cbranch_vccnz .LBB110_3258
; %bb.3248:
	s_cmp_lt_i32 s1, 6
	s_cbranch_scc1 .LBB110_3251
; %bb.3249:
	s_cmp_gt_i32 s1, 6
	s_cbranch_scc0 .LBB110_3252
; %bb.3250:
	s_wait_loadcnt 0x0
	global_load_b64 v[16:17], v[20:21], off
	s_mov_b32 s6, 0
	s_wait_loadcnt 0x0
	v_cvt_i32_f64_e32 v16, v[16:17]
	s_branch .LBB110_3253
.LBB110_3251:
	s_mov_b32 s6, -1
                                        ; implicit-def: $vgpr16
	s_branch .LBB110_3256
.LBB110_3252:
	s_mov_b32 s6, -1
                                        ; implicit-def: $vgpr16
.LBB110_3253:
	s_delay_alu instid0(SALU_CYCLE_1)
	s_and_not1_b32 vcc_lo, exec_lo, s6
	s_cbranch_vccnz .LBB110_3255
; %bb.3254:
	s_wait_loadcnt 0x0
	global_load_b32 v1, v[20:21], off
	s_wait_loadcnt 0x0
	v_cvt_i32_f32_e32 v16, v1
.LBB110_3255:
	s_mov_b32 s6, 0
.LBB110_3256:
	s_delay_alu instid0(SALU_CYCLE_1)
	s_and_not1_b32 vcc_lo, exec_lo, s6
	s_cbranch_vccnz .LBB110_3258
; %bb.3257:
	s_wait_loadcnt 0x0
	global_load_u16 v1, v[20:21], off
	s_wait_loadcnt 0x0
	v_cvt_i16_f16_e32 v16, v1
.LBB110_3258:
	s_mov_b32 s6, 0
.LBB110_3259:
	s_delay_alu instid0(SALU_CYCLE_1)
	s_and_not1_b32 vcc_lo, exec_lo, s6
	s_cbranch_vccnz .LBB110_3279
; %bb.3260:
	s_cmp_lt_i32 s1, 2
	s_cbranch_scc1 .LBB110_3264
; %bb.3261:
	s_cmp_lt_i32 s1, 3
	s_cbranch_scc1 .LBB110_3265
; %bb.3262:
	s_cmp_gt_i32 s1, 3
	s_cbranch_scc0 .LBB110_3266
; %bb.3263:
	s_wait_loadcnt 0x0
	global_load_b64 v[16:17], v[20:21], off
	s_mov_b32 s6, 0
	s_branch .LBB110_3267
.LBB110_3264:
	s_mov_b32 s6, -1
                                        ; implicit-def: $vgpr16
	s_branch .LBB110_3273
.LBB110_3265:
	s_mov_b32 s6, -1
                                        ; implicit-def: $vgpr16
	s_branch .LBB110_3270
.LBB110_3266:
	s_mov_b32 s6, -1
                                        ; implicit-def: $vgpr16
.LBB110_3267:
	s_delay_alu instid0(SALU_CYCLE_1)
	s_and_not1_b32 vcc_lo, exec_lo, s6
	s_cbranch_vccnz .LBB110_3269
; %bb.3268:
	s_wait_loadcnt 0x0
	global_load_b32 v16, v[20:21], off
.LBB110_3269:
	s_mov_b32 s6, 0
.LBB110_3270:
	s_delay_alu instid0(SALU_CYCLE_1)
	s_and_not1_b32 vcc_lo, exec_lo, s6
	s_cbranch_vccnz .LBB110_3272
; %bb.3271:
	s_wait_loadcnt 0x0
	global_load_u16 v16, v[20:21], off
.LBB110_3272:
	s_mov_b32 s6, 0
.LBB110_3273:
	s_delay_alu instid0(SALU_CYCLE_1)
	s_and_not1_b32 vcc_lo, exec_lo, s6
	s_cbranch_vccnz .LBB110_3279
; %bb.3274:
	s_cmp_gt_i32 s1, 0
	s_mov_b32 s1, 0
	s_cbranch_scc0 .LBB110_3276
; %bb.3275:
	s_wait_loadcnt 0x0
	global_load_u8 v16, v[20:21], off
	s_branch .LBB110_3277
.LBB110_3276:
	s_mov_b32 s1, -1
                                        ; implicit-def: $vgpr16
.LBB110_3277:
	s_delay_alu instid0(SALU_CYCLE_1)
	s_and_not1_b32 vcc_lo, exec_lo, s1
	s_cbranch_vccnz .LBB110_3279
; %bb.3278:
	s_wait_loadcnt 0x0
	global_load_u8 v16, v[20:21], off
.LBB110_3279:
	s_mov_b32 s15, -1
.LBB110_3280:
	s_delay_alu instid0(SALU_CYCLE_1)
	s_and_not1_b32 vcc_lo, exec_lo, s15
	s_cbranch_vccnz .LBB110_3968
; %bb.3281:
	s_wait_xcnt 0x0
	v_add_nc_u32_e32 v20, s13, v22
	s_cmp_lt_i32 s3, 11
	s_delay_alu instid0(VALU_DEP_1) | instskip(NEXT) | instid1(VALU_DEP_1)
	v_ashrrev_i32_e32 v21, 31, v20
	v_add_nc_u64_e32 v[22:23], s[8:9], v[20:21]
	s_cbranch_scc1 .LBB110_3288
; %bb.3282:
	s_and_b32 s1, 0xffff, s3
	s_mov_b32 s7, 0
	s_cmp_gt_i32 s1, 25
	s_cbranch_scc0 .LBB110_3289
; %bb.3283:
	s_cmp_gt_i32 s1, 28
	s_cbranch_scc0 .LBB110_3290
; %bb.3284:
	;; [unrolled: 3-line block ×4, first 2 shown]
	s_cmp_eq_u32 s1, 46
	s_mov_b32 s9, 0
	s_cbranch_scc0 .LBB110_3294
; %bb.3287:
	s_wait_loadcnt 0x0
	global_load_b32 v1, v[22:23], off
	s_mov_b32 s6, 0
	s_mov_b32 s8, -1
	s_wait_loadcnt 0x0
	v_lshlrev_b32_e32 v1, 16, v1
	s_delay_alu instid0(VALU_DEP_1)
	v_cvt_i32_f32_e32 v20, v1
	s_branch .LBB110_3296
.LBB110_3288:
	s_mov_b32 s1, -1
	s_mov_b32 s8, 0
                                        ; implicit-def: $vgpr20
	s_branch .LBB110_3358
.LBB110_3289:
	s_mov_b32 s9, -1
	s_mov_b32 s8, 0
	s_mov_b32 s6, 0
                                        ; implicit-def: $vgpr20
	s_branch .LBB110_3323
.LBB110_3290:
	s_mov_b32 s9, -1
	s_mov_b32 s8, 0
	s_mov_b32 s6, 0
                                        ; implicit-def: $vgpr20
	s_branch .LBB110_3306
.LBB110_3291:
	s_mov_b32 s9, -1
	s_mov_b32 s8, 0
	s_mov_b32 s6, 0
                                        ; implicit-def: $vgpr20
	s_branch .LBB110_3301
.LBB110_3292:
	s_or_b32 s16, s16, exec_lo
	s_trap 2
	s_cbranch_execz .LBB110_3229
	s_branch .LBB110_3230
.LBB110_3293:
	s_mov_b32 s9, -1
	s_mov_b32 s8, 0
	s_mov_b32 s6, 0
	s_branch .LBB110_3295
.LBB110_3294:
	s_mov_b32 s6, -1
	s_mov_b32 s8, 0
.LBB110_3295:
                                        ; implicit-def: $vgpr20
.LBB110_3296:
	s_and_b32 vcc_lo, exec_lo, s9
	s_cbranch_vccz .LBB110_3300
; %bb.3297:
	s_cmp_eq_u32 s1, 44
	s_cbranch_scc0 .LBB110_3299
; %bb.3298:
	s_wait_loadcnt 0x0
	global_load_u8 v1, v[22:23], off
	s_mov_b32 s6, 0
	s_mov_b32 s8, -1
	s_wait_loadcnt 0x0
	v_lshlrev_b32_e32 v3, 23, v1
	v_cmp_ne_u32_e32 vcc_lo, 0, v1
	s_delay_alu instid0(VALU_DEP_2) | instskip(NEXT) | instid1(VALU_DEP_1)
	v_cvt_i32_f32_e32 v3, v3
	v_cndmask_b32_e32 v20, 0, v3, vcc_lo
	s_branch .LBB110_3300
.LBB110_3299:
	s_mov_b32 s6, -1
                                        ; implicit-def: $vgpr20
.LBB110_3300:
	s_mov_b32 s9, 0
.LBB110_3301:
	s_delay_alu instid0(SALU_CYCLE_1)
	s_and_b32 vcc_lo, exec_lo, s9
	s_cbranch_vccz .LBB110_3305
; %bb.3302:
	s_cmp_eq_u32 s1, 29
	s_cbranch_scc0 .LBB110_3304
; %bb.3303:
	global_load_b64 v[20:21], v[22:23], off
	s_mov_b32 s6, 0
	s_mov_b32 s8, -1
	s_branch .LBB110_3305
.LBB110_3304:
	s_mov_b32 s6, -1
                                        ; implicit-def: $vgpr20
.LBB110_3305:
	s_mov_b32 s9, 0
.LBB110_3306:
	s_delay_alu instid0(SALU_CYCLE_1)
	s_and_b32 vcc_lo, exec_lo, s9
	s_cbranch_vccz .LBB110_3322
; %bb.3307:
	s_cmp_lt_i32 s1, 27
	s_cbranch_scc1 .LBB110_3310
; %bb.3308:
	s_cmp_gt_i32 s1, 27
	s_cbranch_scc0 .LBB110_3311
; %bb.3309:
	s_wait_loadcnt 0x0
	global_load_b32 v20, v[22:23], off
	s_mov_b32 s8, 0
	s_branch .LBB110_3312
.LBB110_3310:
	s_mov_b32 s8, -1
                                        ; implicit-def: $vgpr20
	s_branch .LBB110_3315
.LBB110_3311:
	s_mov_b32 s8, -1
                                        ; implicit-def: $vgpr20
.LBB110_3312:
	s_delay_alu instid0(SALU_CYCLE_1)
	s_and_not1_b32 vcc_lo, exec_lo, s8
	s_cbranch_vccnz .LBB110_3314
; %bb.3313:
	s_wait_loadcnt 0x0
	global_load_u16 v20, v[22:23], off
.LBB110_3314:
	s_mov_b32 s8, 0
.LBB110_3315:
	s_delay_alu instid0(SALU_CYCLE_1)
	s_and_not1_b32 vcc_lo, exec_lo, s8
	s_cbranch_vccnz .LBB110_3321
; %bb.3316:
	s_wait_loadcnt 0x0
	global_load_u8 v1, v[22:23], off
	s_mov_b32 s9, 0
	s_mov_b32 s8, exec_lo
	s_wait_loadcnt 0x0
	v_cmpx_lt_i16_e32 0x7f, v1
	s_xor_b32 s8, exec_lo, s8
	s_cbranch_execz .LBB110_3333
; %bb.3317:
	v_cmp_ne_u16_e32 vcc_lo, 0x80, v1
	s_and_b32 s9, vcc_lo, exec_lo
	s_and_not1_saveexec_b32 s8, s8
	s_cbranch_execnz .LBB110_3334
.LBB110_3318:
	s_or_b32 exec_lo, exec_lo, s8
	v_mov_b32_e32 v20, 0
	s_and_saveexec_b32 s8, s9
	s_cbranch_execz .LBB110_3320
.LBB110_3319:
	v_and_b32_e32 v3, 0xffff, v1
	s_delay_alu instid0(VALU_DEP_1) | instskip(SKIP_1) | instid1(VALU_DEP_2)
	v_dual_lshlrev_b32 v1, 24, v1 :: v_dual_bitop2_b32 v5, 7, v3 bitop3:0x40
	v_bfe_u32 v11, v3, 3, 4
	v_and_b32_e32 v1, 0x80000000, v1
	s_delay_alu instid0(VALU_DEP_3) | instskip(NEXT) | instid1(VALU_DEP_3)
	v_clz_i32_u32_e32 v7, v5
	v_cmp_eq_u32_e32 vcc_lo, 0, v11
	s_delay_alu instid0(VALU_DEP_2) | instskip(NEXT) | instid1(VALU_DEP_1)
	v_min_u32_e32 v7, 32, v7
	v_subrev_nc_u32_e32 v9, 28, v7
	v_sub_nc_u32_e32 v7, 29, v7
	s_delay_alu instid0(VALU_DEP_2) | instskip(NEXT) | instid1(VALU_DEP_2)
	v_lshlrev_b32_e32 v3, v9, v3
	v_cndmask_b32_e32 v7, v11, v7, vcc_lo
	s_delay_alu instid0(VALU_DEP_2) | instskip(NEXT) | instid1(VALU_DEP_1)
	v_and_b32_e32 v3, 7, v3
	v_cndmask_b32_e32 v3, v5, v3, vcc_lo
	s_delay_alu instid0(VALU_DEP_3) | instskip(NEXT) | instid1(VALU_DEP_2)
	v_lshl_add_u32 v5, v7, 23, 0x3b800000
	v_lshlrev_b32_e32 v3, 20, v3
	s_delay_alu instid0(VALU_DEP_1) | instskip(NEXT) | instid1(VALU_DEP_1)
	v_or3_b32 v1, v1, v5, v3
	v_cvt_i32_f32_e32 v20, v1
.LBB110_3320:
	s_or_b32 exec_lo, exec_lo, s8
.LBB110_3321:
	s_mov_b32 s8, -1
.LBB110_3322:
	s_mov_b32 s9, 0
.LBB110_3323:
	s_delay_alu instid0(SALU_CYCLE_1)
	s_and_b32 vcc_lo, exec_lo, s9
	s_cbranch_vccz .LBB110_3354
; %bb.3324:
	s_cmp_gt_i32 s1, 22
	s_cbranch_scc0 .LBB110_3332
; %bb.3325:
	s_cmp_lt_i32 s1, 24
	s_cbranch_scc1 .LBB110_3335
; %bb.3326:
	s_cmp_gt_i32 s1, 24
	s_cbranch_scc0 .LBB110_3336
; %bb.3327:
	s_wait_loadcnt 0x0
	global_load_u8 v1, v[22:23], off
	s_mov_b32 s8, 0
	s_mov_b32 s7, exec_lo
	s_wait_loadcnt 0x0
	v_cmpx_lt_i16_e32 0x7f, v1
	s_xor_b32 s7, exec_lo, s7
	s_cbranch_execz .LBB110_3348
; %bb.3328:
	v_cmp_ne_u16_e32 vcc_lo, 0x80, v1
	s_and_b32 s8, vcc_lo, exec_lo
	s_and_not1_saveexec_b32 s7, s7
	s_cbranch_execnz .LBB110_3349
.LBB110_3329:
	s_or_b32 exec_lo, exec_lo, s7
	v_mov_b32_e32 v20, 0
	s_and_saveexec_b32 s7, s8
	s_cbranch_execz .LBB110_3331
.LBB110_3330:
	v_and_b32_e32 v3, 0xffff, v1
	s_delay_alu instid0(VALU_DEP_1) | instskip(SKIP_1) | instid1(VALU_DEP_2)
	v_dual_lshlrev_b32 v1, 24, v1 :: v_dual_bitop2_b32 v5, 3, v3 bitop3:0x40
	v_bfe_u32 v11, v3, 2, 5
	v_and_b32_e32 v1, 0x80000000, v1
	s_delay_alu instid0(VALU_DEP_3) | instskip(NEXT) | instid1(VALU_DEP_3)
	v_clz_i32_u32_e32 v7, v5
	v_cmp_eq_u32_e32 vcc_lo, 0, v11
	s_delay_alu instid0(VALU_DEP_2) | instskip(NEXT) | instid1(VALU_DEP_1)
	v_min_u32_e32 v7, 32, v7
	v_subrev_nc_u32_e32 v9, 29, v7
	v_sub_nc_u32_e32 v7, 30, v7
	s_delay_alu instid0(VALU_DEP_2) | instskip(NEXT) | instid1(VALU_DEP_2)
	v_lshlrev_b32_e32 v3, v9, v3
	v_cndmask_b32_e32 v7, v11, v7, vcc_lo
	s_delay_alu instid0(VALU_DEP_2) | instskip(NEXT) | instid1(VALU_DEP_1)
	v_and_b32_e32 v3, 3, v3
	v_cndmask_b32_e32 v3, v5, v3, vcc_lo
	s_delay_alu instid0(VALU_DEP_3) | instskip(NEXT) | instid1(VALU_DEP_2)
	v_lshl_add_u32 v5, v7, 23, 0x37800000
	v_lshlrev_b32_e32 v3, 21, v3
	s_delay_alu instid0(VALU_DEP_1) | instskip(NEXT) | instid1(VALU_DEP_1)
	v_or3_b32 v1, v1, v5, v3
	v_cvt_i32_f32_e32 v20, v1
.LBB110_3331:
	s_or_b32 exec_lo, exec_lo, s7
	s_mov_b32 s7, 0
	s_branch .LBB110_3337
.LBB110_3332:
	s_mov_b32 s7, -1
                                        ; implicit-def: $vgpr20
	s_branch .LBB110_3343
.LBB110_3333:
	s_and_not1_saveexec_b32 s8, s8
	s_cbranch_execz .LBB110_3318
.LBB110_3334:
	v_cmp_ne_u16_e32 vcc_lo, 0, v1
	s_and_not1_b32 s9, s9, exec_lo
	s_and_b32 s13, vcc_lo, exec_lo
	s_delay_alu instid0(SALU_CYCLE_1)
	s_or_b32 s9, s9, s13
	s_or_b32 exec_lo, exec_lo, s8
	v_mov_b32_e32 v20, 0
	s_and_saveexec_b32 s8, s9
	s_cbranch_execnz .LBB110_3319
	s_branch .LBB110_3320
.LBB110_3335:
	s_mov_b32 s7, -1
                                        ; implicit-def: $vgpr20
	s_branch .LBB110_3340
.LBB110_3336:
	s_mov_b32 s7, -1
                                        ; implicit-def: $vgpr20
.LBB110_3337:
	s_delay_alu instid0(SALU_CYCLE_1)
	s_and_b32 vcc_lo, exec_lo, s7
	s_cbranch_vccz .LBB110_3339
; %bb.3338:
	s_wait_loadcnt 0x0
	global_load_u8 v1, v[22:23], off
	s_wait_loadcnt 0x0
	v_lshlrev_b32_e32 v1, 24, v1
	s_delay_alu instid0(VALU_DEP_1) | instskip(NEXT) | instid1(VALU_DEP_1)
	v_and_b32_e32 v3, 0x7f000000, v1
	v_clz_i32_u32_e32 v5, v3
	v_add_nc_u32_e32 v9, 0x1000000, v3
	v_cmp_ne_u32_e32 vcc_lo, 0, v3
	s_delay_alu instid0(VALU_DEP_3) | instskip(NEXT) | instid1(VALU_DEP_1)
	v_min_u32_e32 v5, 32, v5
	v_sub_nc_u32_e64 v5, v5, 4 clamp
	s_delay_alu instid0(VALU_DEP_1) | instskip(NEXT) | instid1(VALU_DEP_1)
	v_dual_lshlrev_b32 v7, v5, v3 :: v_dual_lshlrev_b32 v5, 23, v5
	v_lshrrev_b32_e32 v7, 4, v7
	s_delay_alu instid0(VALU_DEP_1) | instskip(SKIP_1) | instid1(VALU_DEP_2)
	v_sub_nc_u32_e32 v5, v7, v5
	v_ashrrev_i32_e32 v7, 8, v9
	v_add_nc_u32_e32 v5, 0x3c000000, v5
	s_delay_alu instid0(VALU_DEP_1) | instskip(NEXT) | instid1(VALU_DEP_1)
	v_and_or_b32 v5, 0x7f800000, v7, v5
	v_cndmask_b32_e32 v3, 0, v5, vcc_lo
	s_delay_alu instid0(VALU_DEP_1) | instskip(NEXT) | instid1(VALU_DEP_1)
	v_and_or_b32 v1, 0x80000000, v1, v3
	v_cvt_i32_f32_e32 v20, v1
.LBB110_3339:
	s_mov_b32 s7, 0
.LBB110_3340:
	s_delay_alu instid0(SALU_CYCLE_1)
	s_and_not1_b32 vcc_lo, exec_lo, s7
	s_cbranch_vccnz .LBB110_3342
; %bb.3341:
	s_wait_loadcnt 0x0
	global_load_u8 v1, v[22:23], off
	s_wait_loadcnt 0x0
	v_lshlrev_b32_e32 v3, 25, v1
	v_lshlrev_b16 v1, 8, v1
	s_delay_alu instid0(VALU_DEP_1) | instskip(SKIP_1) | instid1(VALU_DEP_2)
	v_and_or_b32 v7, 0x7f00, v1, 0.5
	v_bfe_i32 v1, v1, 0, 16
	v_add_f32_e32 v7, -0.5, v7
	v_lshrrev_b32_e32 v5, 4, v3
	v_cmp_gt_u32_e32 vcc_lo, 0x8000000, v3
	s_delay_alu instid0(VALU_DEP_2) | instskip(NEXT) | instid1(VALU_DEP_1)
	v_or_b32_e32 v5, 0x70000000, v5
	v_mul_f32_e32 v5, 0x7800000, v5
	s_delay_alu instid0(VALU_DEP_1) | instskip(NEXT) | instid1(VALU_DEP_1)
	v_cndmask_b32_e32 v3, v5, v7, vcc_lo
	v_and_or_b32 v1, 0x80000000, v1, v3
	s_delay_alu instid0(VALU_DEP_1)
	v_cvt_i32_f32_e32 v20, v1
.LBB110_3342:
	s_mov_b32 s7, 0
	s_mov_b32 s8, -1
.LBB110_3343:
	s_and_not1_b32 vcc_lo, exec_lo, s7
	s_mov_b32 s7, 0
	s_cbranch_vccnz .LBB110_3354
; %bb.3344:
	s_cmp_gt_i32 s1, 14
	s_cbranch_scc0 .LBB110_3347
; %bb.3345:
	s_cmp_eq_u32 s1, 15
	s_cbranch_scc0 .LBB110_3350
; %bb.3346:
	s_wait_loadcnt 0x0
	global_load_u16 v1, v[22:23], off
	s_mov_b32 s6, 0
	s_mov_b32 s8, -1
	s_wait_loadcnt 0x0
	v_lshlrev_b32_e32 v1, 16, v1
	s_delay_alu instid0(VALU_DEP_1)
	v_cvt_i32_f32_e32 v20, v1
	s_branch .LBB110_3352
.LBB110_3347:
	s_mov_b32 s7, -1
	s_branch .LBB110_3351
.LBB110_3348:
	s_and_not1_saveexec_b32 s7, s7
	s_cbranch_execz .LBB110_3329
.LBB110_3349:
	v_cmp_ne_u16_e32 vcc_lo, 0, v1
	s_and_not1_b32 s8, s8, exec_lo
	s_and_b32 s9, vcc_lo, exec_lo
	s_delay_alu instid0(SALU_CYCLE_1)
	s_or_b32 s8, s8, s9
	s_or_b32 exec_lo, exec_lo, s7
	v_mov_b32_e32 v20, 0
	s_and_saveexec_b32 s7, s8
	s_cbranch_execnz .LBB110_3330
	s_branch .LBB110_3331
.LBB110_3350:
	s_mov_b32 s6, -1
.LBB110_3351:
                                        ; implicit-def: $vgpr20
.LBB110_3352:
	s_and_b32 vcc_lo, exec_lo, s7
	s_mov_b32 s7, 0
	s_cbranch_vccz .LBB110_3354
; %bb.3353:
	s_cmp_lg_u32 s1, 11
	s_mov_b32 s7, -1
	s_cselect_b32 s6, -1, 0
.LBB110_3354:
	s_delay_alu instid0(SALU_CYCLE_1)
	s_and_b32 vcc_lo, exec_lo, s6
	s_cbranch_vccnz .LBB110_3419
; %bb.3355:
	s_and_not1_b32 vcc_lo, exec_lo, s7
	s_cbranch_vccnz .LBB110_3357
.LBB110_3356:
	s_wait_loadcnt 0x0
	global_load_u8 v1, v[22:23], off
	s_mov_b32 s8, -1
	s_wait_loadcnt 0x0
	v_cmp_ne_u16_e32 vcc_lo, 0, v1
	v_cndmask_b32_e64 v20, 0, 1, vcc_lo
.LBB110_3357:
	s_mov_b32 s1, 0
.LBB110_3358:
	s_delay_alu instid0(SALU_CYCLE_1)
	s_and_b32 vcc_lo, exec_lo, s1
	s_cbranch_vccz .LBB110_3407
; %bb.3359:
	s_and_b32 s1, 0xffff, s3
	s_delay_alu instid0(SALU_CYCLE_1)
	s_cmp_lt_i32 s1, 5
	s_cbranch_scc1 .LBB110_3364
; %bb.3360:
	s_cmp_lt_i32 s1, 8
	s_cbranch_scc1 .LBB110_3365
; %bb.3361:
	;; [unrolled: 3-line block ×3, first 2 shown]
	s_cmp_gt_i32 s1, 9
	s_cbranch_scc0 .LBB110_3367
; %bb.3363:
	s_wait_loadcnt 0x0
	global_load_b64 v[20:21], v[22:23], off
	s_mov_b32 s3, 0
	s_wait_loadcnt 0x0
	v_cvt_i32_f64_e32 v20, v[20:21]
	s_branch .LBB110_3368
.LBB110_3364:
	s_mov_b32 s3, -1
                                        ; implicit-def: $vgpr20
	s_branch .LBB110_3386
.LBB110_3365:
	s_mov_b32 s3, -1
                                        ; implicit-def: $vgpr20
	s_branch .LBB110_3374
.LBB110_3366:
	s_mov_b32 s3, -1
                                        ; implicit-def: $vgpr20
	s_branch .LBB110_3371
.LBB110_3367:
	s_mov_b32 s3, -1
                                        ; implicit-def: $vgpr20
.LBB110_3368:
	s_delay_alu instid0(SALU_CYCLE_1)
	s_and_not1_b32 vcc_lo, exec_lo, s3
	s_cbranch_vccnz .LBB110_3370
; %bb.3369:
	s_wait_loadcnt 0x0
	global_load_b32 v1, v[22:23], off
	s_wait_loadcnt 0x0
	v_cvt_i32_f32_e32 v20, v1
.LBB110_3370:
	s_mov_b32 s3, 0
.LBB110_3371:
	s_delay_alu instid0(SALU_CYCLE_1)
	s_and_not1_b32 vcc_lo, exec_lo, s3
	s_cbranch_vccnz .LBB110_3373
; %bb.3372:
	s_wait_loadcnt 0x0
	global_load_b32 v1, v[22:23], off
	s_wait_loadcnt 0x0
	v_cvt_i16_f16_e32 v20, v1
.LBB110_3373:
	s_mov_b32 s3, 0
.LBB110_3374:
	s_delay_alu instid0(SALU_CYCLE_1)
	s_and_not1_b32 vcc_lo, exec_lo, s3
	s_cbranch_vccnz .LBB110_3385
; %bb.3375:
	s_cmp_lt_i32 s1, 6
	s_cbranch_scc1 .LBB110_3378
; %bb.3376:
	s_cmp_gt_i32 s1, 6
	s_cbranch_scc0 .LBB110_3379
; %bb.3377:
	s_wait_loadcnt 0x0
	global_load_b64 v[20:21], v[22:23], off
	s_mov_b32 s3, 0
	s_wait_loadcnt 0x0
	v_cvt_i32_f64_e32 v20, v[20:21]
	s_branch .LBB110_3380
.LBB110_3378:
	s_mov_b32 s3, -1
                                        ; implicit-def: $vgpr20
	s_branch .LBB110_3383
.LBB110_3379:
	s_mov_b32 s3, -1
                                        ; implicit-def: $vgpr20
.LBB110_3380:
	s_delay_alu instid0(SALU_CYCLE_1)
	s_and_not1_b32 vcc_lo, exec_lo, s3
	s_cbranch_vccnz .LBB110_3382
; %bb.3381:
	s_wait_loadcnt 0x0
	global_load_b32 v1, v[22:23], off
	s_wait_loadcnt 0x0
	v_cvt_i32_f32_e32 v20, v1
.LBB110_3382:
	s_mov_b32 s3, 0
.LBB110_3383:
	s_delay_alu instid0(SALU_CYCLE_1)
	s_and_not1_b32 vcc_lo, exec_lo, s3
	s_cbranch_vccnz .LBB110_3385
; %bb.3384:
	s_wait_loadcnt 0x0
	global_load_u16 v1, v[22:23], off
	s_wait_loadcnt 0x0
	v_cvt_i16_f16_e32 v20, v1
.LBB110_3385:
	s_mov_b32 s3, 0
.LBB110_3386:
	s_delay_alu instid0(SALU_CYCLE_1)
	s_and_not1_b32 vcc_lo, exec_lo, s3
	s_cbranch_vccnz .LBB110_3406
; %bb.3387:
	s_cmp_lt_i32 s1, 2
	s_cbranch_scc1 .LBB110_3391
; %bb.3388:
	s_cmp_lt_i32 s1, 3
	s_cbranch_scc1 .LBB110_3392
; %bb.3389:
	s_cmp_gt_i32 s1, 3
	s_cbranch_scc0 .LBB110_3393
; %bb.3390:
	s_wait_loadcnt 0x0
	global_load_b64 v[20:21], v[22:23], off
	s_mov_b32 s3, 0
	s_branch .LBB110_3394
.LBB110_3391:
	s_mov_b32 s3, -1
                                        ; implicit-def: $vgpr20
	s_branch .LBB110_3400
.LBB110_3392:
	s_mov_b32 s3, -1
                                        ; implicit-def: $vgpr20
	s_branch .LBB110_3397
.LBB110_3393:
	s_mov_b32 s3, -1
                                        ; implicit-def: $vgpr20
.LBB110_3394:
	s_delay_alu instid0(SALU_CYCLE_1)
	s_and_not1_b32 vcc_lo, exec_lo, s3
	s_cbranch_vccnz .LBB110_3396
; %bb.3395:
	s_wait_loadcnt 0x0
	global_load_b32 v20, v[22:23], off
.LBB110_3396:
	s_mov_b32 s3, 0
.LBB110_3397:
	s_delay_alu instid0(SALU_CYCLE_1)
	s_and_not1_b32 vcc_lo, exec_lo, s3
	s_cbranch_vccnz .LBB110_3399
; %bb.3398:
	s_wait_loadcnt 0x0
	global_load_u16 v20, v[22:23], off
.LBB110_3399:
	s_mov_b32 s3, 0
.LBB110_3400:
	s_delay_alu instid0(SALU_CYCLE_1)
	s_and_not1_b32 vcc_lo, exec_lo, s3
	s_cbranch_vccnz .LBB110_3406
; %bb.3401:
	s_cmp_gt_i32 s1, 0
	s_mov_b32 s1, 0
	s_cbranch_scc0 .LBB110_3403
; %bb.3402:
	s_wait_loadcnt 0x0
	global_load_u8 v20, v[22:23], off
	s_branch .LBB110_3404
.LBB110_3403:
	s_mov_b32 s1, -1
                                        ; implicit-def: $vgpr20
.LBB110_3404:
	s_delay_alu instid0(SALU_CYCLE_1)
	s_and_not1_b32 vcc_lo, exec_lo, s1
	s_cbranch_vccnz .LBB110_3406
; %bb.3405:
	s_wait_loadcnt 0x0
	global_load_u8 v20, v[22:23], off
.LBB110_3406:
	s_mov_b32 s8, -1
.LBB110_3407:
	s_delay_alu instid0(SALU_CYCLE_1)
	s_and_not1_b32 vcc_lo, exec_lo, s8
	s_cbranch_vccnz .LBB110_3968
; %bb.3408:
	s_wait_xcnt 0x0
	v_add_nc_u32_e32 v22, s14, v24
	s_cmp_lt_i32 s0, 11
	s_delay_alu instid0(VALU_DEP_1) | instskip(NEXT) | instid1(VALU_DEP_1)
	v_ashrrev_i32_e32 v23, 31, v22
	v_add_nc_u64_e32 v[24:25], s[10:11], v[22:23]
	s_cbranch_scc1 .LBB110_3415
; %bb.3409:
	s_cmp_gt_i32 s0, 25
	s_mov_b32 s3, 0
	s_cbranch_scc0 .LBB110_3416
; %bb.3410:
	s_cmp_gt_i32 s0, 28
	s_cbranch_scc0 .LBB110_3417
; %bb.3411:
	s_cmp_gt_i32 s0, 43
	;; [unrolled: 3-line block ×3, first 2 shown]
	s_cbranch_scc0 .LBB110_3420
; %bb.3413:
	s_cmp_eq_u32 s0, 46
	s_mov_b32 s7, 0
	s_cbranch_scc0 .LBB110_3421
; %bb.3414:
	s_wait_loadcnt 0x0
	global_load_b32 v1, v[24:25], off
	s_mov_b32 s1, 0
	s_mov_b32 s6, -1
	s_wait_loadcnt 0x0
	v_lshlrev_b32_e32 v1, 16, v1
	s_delay_alu instid0(VALU_DEP_1)
	v_cvt_i32_f32_e32 v22, v1
	s_branch .LBB110_3423
.LBB110_3415:
	s_mov_b32 s1, -1
	s_mov_b32 s6, 0
                                        ; implicit-def: $vgpr22
	s_branch .LBB110_3485
.LBB110_3416:
	s_mov_b32 s7, -1
	s_mov_b32 s6, 0
	s_mov_b32 s1, 0
                                        ; implicit-def: $vgpr22
	s_branch .LBB110_3450
.LBB110_3417:
	s_mov_b32 s7, -1
	s_mov_b32 s6, 0
	s_mov_b32 s1, 0
                                        ; implicit-def: $vgpr22
	s_branch .LBB110_3433
.LBB110_3418:
	s_mov_b32 s7, -1
	s_mov_b32 s6, 0
	s_mov_b32 s1, 0
                                        ; implicit-def: $vgpr22
	s_branch .LBB110_3428
.LBB110_3419:
	s_or_b32 s16, s16, exec_lo
	s_trap 2
	s_cbranch_execz .LBB110_3356
	s_branch .LBB110_3357
.LBB110_3420:
	s_mov_b32 s7, -1
	s_mov_b32 s6, 0
	s_mov_b32 s1, 0
	s_branch .LBB110_3422
.LBB110_3421:
	s_mov_b32 s1, -1
	s_mov_b32 s6, 0
.LBB110_3422:
                                        ; implicit-def: $vgpr22
.LBB110_3423:
	s_and_b32 vcc_lo, exec_lo, s7
	s_cbranch_vccz .LBB110_3427
; %bb.3424:
	s_cmp_eq_u32 s0, 44
	s_cbranch_scc0 .LBB110_3426
; %bb.3425:
	s_wait_loadcnt 0x0
	global_load_u8 v1, v[24:25], off
	s_mov_b32 s1, 0
	s_mov_b32 s6, -1
	s_wait_loadcnt 0x0
	v_lshlrev_b32_e32 v3, 23, v1
	v_cmp_ne_u32_e32 vcc_lo, 0, v1
	s_delay_alu instid0(VALU_DEP_2) | instskip(NEXT) | instid1(VALU_DEP_1)
	v_cvt_i32_f32_e32 v3, v3
	v_cndmask_b32_e32 v22, 0, v3, vcc_lo
	s_branch .LBB110_3427
.LBB110_3426:
	s_mov_b32 s1, -1
                                        ; implicit-def: $vgpr22
.LBB110_3427:
	s_mov_b32 s7, 0
.LBB110_3428:
	s_delay_alu instid0(SALU_CYCLE_1)
	s_and_b32 vcc_lo, exec_lo, s7
	s_cbranch_vccz .LBB110_3432
; %bb.3429:
	s_cmp_eq_u32 s0, 29
	s_cbranch_scc0 .LBB110_3431
; %bb.3430:
	global_load_b64 v[22:23], v[24:25], off
	s_mov_b32 s1, 0
	s_mov_b32 s6, -1
	s_branch .LBB110_3432
.LBB110_3431:
	s_mov_b32 s1, -1
                                        ; implicit-def: $vgpr22
.LBB110_3432:
	s_mov_b32 s7, 0
.LBB110_3433:
	s_delay_alu instid0(SALU_CYCLE_1)
	s_and_b32 vcc_lo, exec_lo, s7
	s_cbranch_vccz .LBB110_3449
; %bb.3434:
	s_cmp_lt_i32 s0, 27
	s_cbranch_scc1 .LBB110_3437
; %bb.3435:
	s_cmp_gt_i32 s0, 27
	s_cbranch_scc0 .LBB110_3438
; %bb.3436:
	s_wait_loadcnt 0x0
	global_load_b32 v22, v[24:25], off
	s_mov_b32 s6, 0
	s_branch .LBB110_3439
.LBB110_3437:
	s_mov_b32 s6, -1
                                        ; implicit-def: $vgpr22
	s_branch .LBB110_3442
.LBB110_3438:
	s_mov_b32 s6, -1
                                        ; implicit-def: $vgpr22
.LBB110_3439:
	s_delay_alu instid0(SALU_CYCLE_1)
	s_and_not1_b32 vcc_lo, exec_lo, s6
	s_cbranch_vccnz .LBB110_3441
; %bb.3440:
	s_wait_loadcnt 0x0
	global_load_u16 v22, v[24:25], off
.LBB110_3441:
	s_mov_b32 s6, 0
.LBB110_3442:
	s_delay_alu instid0(SALU_CYCLE_1)
	s_and_not1_b32 vcc_lo, exec_lo, s6
	s_cbranch_vccnz .LBB110_3448
; %bb.3443:
	s_wait_loadcnt 0x0
	global_load_u8 v1, v[24:25], off
	s_mov_b32 s7, 0
	s_mov_b32 s6, exec_lo
	s_wait_loadcnt 0x0
	v_cmpx_lt_i16_e32 0x7f, v1
	s_xor_b32 s6, exec_lo, s6
	s_cbranch_execz .LBB110_3460
; %bb.3444:
	v_cmp_ne_u16_e32 vcc_lo, 0x80, v1
	s_and_b32 s7, vcc_lo, exec_lo
	s_and_not1_saveexec_b32 s6, s6
	s_cbranch_execnz .LBB110_3461
.LBB110_3445:
	s_or_b32 exec_lo, exec_lo, s6
	v_mov_b32_e32 v22, 0
	s_and_saveexec_b32 s6, s7
	s_cbranch_execz .LBB110_3447
.LBB110_3446:
	v_and_b32_e32 v3, 0xffff, v1
	s_delay_alu instid0(VALU_DEP_1) | instskip(SKIP_1) | instid1(VALU_DEP_2)
	v_dual_lshlrev_b32 v1, 24, v1 :: v_dual_bitop2_b32 v5, 7, v3 bitop3:0x40
	v_bfe_u32 v11, v3, 3, 4
	v_and_b32_e32 v1, 0x80000000, v1
	s_delay_alu instid0(VALU_DEP_3) | instskip(NEXT) | instid1(VALU_DEP_3)
	v_clz_i32_u32_e32 v7, v5
	v_cmp_eq_u32_e32 vcc_lo, 0, v11
	s_delay_alu instid0(VALU_DEP_2) | instskip(NEXT) | instid1(VALU_DEP_1)
	v_min_u32_e32 v7, 32, v7
	v_subrev_nc_u32_e32 v9, 28, v7
	v_sub_nc_u32_e32 v7, 29, v7
	s_delay_alu instid0(VALU_DEP_2) | instskip(NEXT) | instid1(VALU_DEP_2)
	v_lshlrev_b32_e32 v3, v9, v3
	v_cndmask_b32_e32 v7, v11, v7, vcc_lo
	s_delay_alu instid0(VALU_DEP_2) | instskip(NEXT) | instid1(VALU_DEP_1)
	v_and_b32_e32 v3, 7, v3
	v_cndmask_b32_e32 v3, v5, v3, vcc_lo
	s_delay_alu instid0(VALU_DEP_3) | instskip(NEXT) | instid1(VALU_DEP_2)
	v_lshl_add_u32 v5, v7, 23, 0x3b800000
	v_lshlrev_b32_e32 v3, 20, v3
	s_delay_alu instid0(VALU_DEP_1) | instskip(NEXT) | instid1(VALU_DEP_1)
	v_or3_b32 v1, v1, v5, v3
	v_cvt_i32_f32_e32 v22, v1
.LBB110_3447:
	s_or_b32 exec_lo, exec_lo, s6
.LBB110_3448:
	s_mov_b32 s6, -1
.LBB110_3449:
	s_mov_b32 s7, 0
.LBB110_3450:
	s_delay_alu instid0(SALU_CYCLE_1)
	s_and_b32 vcc_lo, exec_lo, s7
	s_cbranch_vccz .LBB110_3481
; %bb.3451:
	s_cmp_gt_i32 s0, 22
	s_cbranch_scc0 .LBB110_3459
; %bb.3452:
	s_cmp_lt_i32 s0, 24
	s_cbranch_scc1 .LBB110_3462
; %bb.3453:
	s_cmp_gt_i32 s0, 24
	s_cbranch_scc0 .LBB110_3463
; %bb.3454:
	s_wait_loadcnt 0x0
	global_load_u8 v1, v[24:25], off
	s_mov_b32 s6, 0
	s_mov_b32 s3, exec_lo
	s_wait_loadcnt 0x0
	v_cmpx_lt_i16_e32 0x7f, v1
	s_xor_b32 s3, exec_lo, s3
	s_cbranch_execz .LBB110_3475
; %bb.3455:
	v_cmp_ne_u16_e32 vcc_lo, 0x80, v1
	s_and_b32 s6, vcc_lo, exec_lo
	s_and_not1_saveexec_b32 s3, s3
	s_cbranch_execnz .LBB110_3476
.LBB110_3456:
	s_or_b32 exec_lo, exec_lo, s3
	v_mov_b32_e32 v22, 0
	s_and_saveexec_b32 s3, s6
	s_cbranch_execz .LBB110_3458
.LBB110_3457:
	v_and_b32_e32 v3, 0xffff, v1
	s_delay_alu instid0(VALU_DEP_1) | instskip(SKIP_1) | instid1(VALU_DEP_2)
	v_dual_lshlrev_b32 v1, 24, v1 :: v_dual_bitop2_b32 v5, 3, v3 bitop3:0x40
	v_bfe_u32 v11, v3, 2, 5
	v_and_b32_e32 v1, 0x80000000, v1
	s_delay_alu instid0(VALU_DEP_3) | instskip(NEXT) | instid1(VALU_DEP_3)
	v_clz_i32_u32_e32 v7, v5
	v_cmp_eq_u32_e32 vcc_lo, 0, v11
	s_delay_alu instid0(VALU_DEP_2) | instskip(NEXT) | instid1(VALU_DEP_1)
	v_min_u32_e32 v7, 32, v7
	v_subrev_nc_u32_e32 v9, 29, v7
	v_sub_nc_u32_e32 v7, 30, v7
	s_delay_alu instid0(VALU_DEP_2) | instskip(NEXT) | instid1(VALU_DEP_2)
	v_lshlrev_b32_e32 v3, v9, v3
	v_cndmask_b32_e32 v7, v11, v7, vcc_lo
	s_delay_alu instid0(VALU_DEP_2) | instskip(NEXT) | instid1(VALU_DEP_1)
	v_and_b32_e32 v3, 3, v3
	v_cndmask_b32_e32 v3, v5, v3, vcc_lo
	s_delay_alu instid0(VALU_DEP_3) | instskip(NEXT) | instid1(VALU_DEP_2)
	v_lshl_add_u32 v5, v7, 23, 0x37800000
	v_lshlrev_b32_e32 v3, 21, v3
	s_delay_alu instid0(VALU_DEP_1) | instskip(NEXT) | instid1(VALU_DEP_1)
	v_or3_b32 v1, v1, v5, v3
	v_cvt_i32_f32_e32 v22, v1
.LBB110_3458:
	s_or_b32 exec_lo, exec_lo, s3
	s_mov_b32 s3, 0
	s_branch .LBB110_3464
.LBB110_3459:
	s_mov_b32 s3, -1
                                        ; implicit-def: $vgpr22
	s_branch .LBB110_3470
.LBB110_3460:
	s_and_not1_saveexec_b32 s6, s6
	s_cbranch_execz .LBB110_3445
.LBB110_3461:
	v_cmp_ne_u16_e32 vcc_lo, 0, v1
	s_and_not1_b32 s7, s7, exec_lo
	s_and_b32 s8, vcc_lo, exec_lo
	s_delay_alu instid0(SALU_CYCLE_1)
	s_or_b32 s7, s7, s8
	s_or_b32 exec_lo, exec_lo, s6
	v_mov_b32_e32 v22, 0
	s_and_saveexec_b32 s6, s7
	s_cbranch_execnz .LBB110_3446
	s_branch .LBB110_3447
.LBB110_3462:
	s_mov_b32 s3, -1
                                        ; implicit-def: $vgpr22
	s_branch .LBB110_3467
.LBB110_3463:
	s_mov_b32 s3, -1
                                        ; implicit-def: $vgpr22
.LBB110_3464:
	s_delay_alu instid0(SALU_CYCLE_1)
	s_and_b32 vcc_lo, exec_lo, s3
	s_cbranch_vccz .LBB110_3466
; %bb.3465:
	s_wait_loadcnt 0x0
	global_load_u8 v1, v[24:25], off
	s_wait_loadcnt 0x0
	v_lshlrev_b32_e32 v1, 24, v1
	s_delay_alu instid0(VALU_DEP_1) | instskip(NEXT) | instid1(VALU_DEP_1)
	v_and_b32_e32 v3, 0x7f000000, v1
	v_clz_i32_u32_e32 v5, v3
	v_add_nc_u32_e32 v9, 0x1000000, v3
	v_cmp_ne_u32_e32 vcc_lo, 0, v3
	s_delay_alu instid0(VALU_DEP_3) | instskip(NEXT) | instid1(VALU_DEP_1)
	v_min_u32_e32 v5, 32, v5
	v_sub_nc_u32_e64 v5, v5, 4 clamp
	s_delay_alu instid0(VALU_DEP_1) | instskip(NEXT) | instid1(VALU_DEP_1)
	v_dual_lshlrev_b32 v7, v5, v3 :: v_dual_lshlrev_b32 v5, 23, v5
	v_lshrrev_b32_e32 v7, 4, v7
	s_delay_alu instid0(VALU_DEP_1) | instskip(SKIP_1) | instid1(VALU_DEP_2)
	v_sub_nc_u32_e32 v5, v7, v5
	v_ashrrev_i32_e32 v7, 8, v9
	v_add_nc_u32_e32 v5, 0x3c000000, v5
	s_delay_alu instid0(VALU_DEP_1) | instskip(NEXT) | instid1(VALU_DEP_1)
	v_and_or_b32 v5, 0x7f800000, v7, v5
	v_cndmask_b32_e32 v3, 0, v5, vcc_lo
	s_delay_alu instid0(VALU_DEP_1) | instskip(NEXT) | instid1(VALU_DEP_1)
	v_and_or_b32 v1, 0x80000000, v1, v3
	v_cvt_i32_f32_e32 v22, v1
.LBB110_3466:
	s_mov_b32 s3, 0
.LBB110_3467:
	s_delay_alu instid0(SALU_CYCLE_1)
	s_and_not1_b32 vcc_lo, exec_lo, s3
	s_cbranch_vccnz .LBB110_3469
; %bb.3468:
	s_wait_loadcnt 0x0
	global_load_u8 v1, v[24:25], off
	s_wait_loadcnt 0x0
	v_lshlrev_b32_e32 v3, 25, v1
	v_lshlrev_b16 v1, 8, v1
	s_delay_alu instid0(VALU_DEP_1) | instskip(SKIP_1) | instid1(VALU_DEP_2)
	v_and_or_b32 v7, 0x7f00, v1, 0.5
	v_bfe_i32 v1, v1, 0, 16
	v_add_f32_e32 v7, -0.5, v7
	v_lshrrev_b32_e32 v5, 4, v3
	v_cmp_gt_u32_e32 vcc_lo, 0x8000000, v3
	s_delay_alu instid0(VALU_DEP_2) | instskip(NEXT) | instid1(VALU_DEP_1)
	v_or_b32_e32 v5, 0x70000000, v5
	v_mul_f32_e32 v5, 0x7800000, v5
	s_delay_alu instid0(VALU_DEP_1) | instskip(NEXT) | instid1(VALU_DEP_1)
	v_cndmask_b32_e32 v3, v5, v7, vcc_lo
	v_and_or_b32 v1, 0x80000000, v1, v3
	s_delay_alu instid0(VALU_DEP_1)
	v_cvt_i32_f32_e32 v22, v1
.LBB110_3469:
	s_mov_b32 s3, 0
	s_mov_b32 s6, -1
.LBB110_3470:
	s_and_not1_b32 vcc_lo, exec_lo, s3
	s_mov_b32 s3, 0
	s_cbranch_vccnz .LBB110_3481
; %bb.3471:
	s_cmp_gt_i32 s0, 14
	s_cbranch_scc0 .LBB110_3474
; %bb.3472:
	s_cmp_eq_u32 s0, 15
	s_cbranch_scc0 .LBB110_3477
; %bb.3473:
	s_wait_loadcnt 0x0
	global_load_u16 v1, v[24:25], off
	s_mov_b32 s1, 0
	s_mov_b32 s6, -1
	s_wait_loadcnt 0x0
	v_lshlrev_b32_e32 v1, 16, v1
	s_delay_alu instid0(VALU_DEP_1)
	v_cvt_i32_f32_e32 v22, v1
	s_branch .LBB110_3479
.LBB110_3474:
	s_mov_b32 s3, -1
	s_branch .LBB110_3478
.LBB110_3475:
	s_and_not1_saveexec_b32 s3, s3
	s_cbranch_execz .LBB110_3456
.LBB110_3476:
	v_cmp_ne_u16_e32 vcc_lo, 0, v1
	s_and_not1_b32 s6, s6, exec_lo
	s_and_b32 s7, vcc_lo, exec_lo
	s_delay_alu instid0(SALU_CYCLE_1)
	s_or_b32 s6, s6, s7
	s_or_b32 exec_lo, exec_lo, s3
	v_mov_b32_e32 v22, 0
	s_and_saveexec_b32 s3, s6
	s_cbranch_execnz .LBB110_3457
	s_branch .LBB110_3458
.LBB110_3477:
	s_mov_b32 s1, -1
.LBB110_3478:
                                        ; implicit-def: $vgpr22
.LBB110_3479:
	s_and_b32 vcc_lo, exec_lo, s3
	s_mov_b32 s3, 0
	s_cbranch_vccz .LBB110_3481
; %bb.3480:
	s_cmp_lg_u32 s0, 11
	s_mov_b32 s3, -1
	s_cselect_b32 s1, -1, 0
.LBB110_3481:
	s_delay_alu instid0(SALU_CYCLE_1)
	s_and_b32 vcc_lo, exec_lo, s1
	s_cbranch_vccnz .LBB110_4014
; %bb.3482:
	s_and_not1_b32 vcc_lo, exec_lo, s3
	s_cbranch_vccnz .LBB110_3484
.LBB110_3483:
	s_wait_loadcnt 0x0
	global_load_u8 v1, v[24:25], off
	s_mov_b32 s6, -1
	s_wait_loadcnt 0x0
	v_cmp_ne_u16_e32 vcc_lo, 0, v1
	v_cndmask_b32_e64 v22, 0, 1, vcc_lo
.LBB110_3484:
	s_mov_b32 s1, 0
.LBB110_3485:
	s_delay_alu instid0(SALU_CYCLE_1)
	s_and_b32 vcc_lo, exec_lo, s1
	s_cbranch_vccz .LBB110_3534
; %bb.3486:
	s_cmp_lt_i32 s0, 5
	s_cbranch_scc1 .LBB110_3491
; %bb.3487:
	s_cmp_lt_i32 s0, 8
	s_cbranch_scc1 .LBB110_3492
	;; [unrolled: 3-line block ×3, first 2 shown]
; %bb.3489:
	s_cmp_gt_i32 s0, 9
	s_cbranch_scc0 .LBB110_3494
; %bb.3490:
	s_wait_loadcnt 0x0
	global_load_b64 v[22:23], v[24:25], off
	s_mov_b32 s1, 0
	s_wait_loadcnt 0x0
	v_cvt_i32_f64_e32 v22, v[22:23]
	s_branch .LBB110_3495
.LBB110_3491:
	s_mov_b32 s1, -1
                                        ; implicit-def: $vgpr22
	s_branch .LBB110_3513
.LBB110_3492:
	s_mov_b32 s1, -1
                                        ; implicit-def: $vgpr22
	s_branch .LBB110_3501
.LBB110_3493:
	s_mov_b32 s1, -1
                                        ; implicit-def: $vgpr22
	s_branch .LBB110_3498
.LBB110_3494:
	s_mov_b32 s1, -1
                                        ; implicit-def: $vgpr22
.LBB110_3495:
	s_delay_alu instid0(SALU_CYCLE_1)
	s_and_not1_b32 vcc_lo, exec_lo, s1
	s_cbranch_vccnz .LBB110_3497
; %bb.3496:
	s_wait_loadcnt 0x0
	global_load_b32 v1, v[24:25], off
	s_wait_loadcnt 0x0
	v_cvt_i32_f32_e32 v22, v1
.LBB110_3497:
	s_mov_b32 s1, 0
.LBB110_3498:
	s_delay_alu instid0(SALU_CYCLE_1)
	s_and_not1_b32 vcc_lo, exec_lo, s1
	s_cbranch_vccnz .LBB110_3500
; %bb.3499:
	s_wait_loadcnt 0x0
	global_load_b32 v1, v[24:25], off
	s_wait_loadcnt 0x0
	v_cvt_i16_f16_e32 v22, v1
.LBB110_3500:
	s_mov_b32 s1, 0
.LBB110_3501:
	s_delay_alu instid0(SALU_CYCLE_1)
	s_and_not1_b32 vcc_lo, exec_lo, s1
	s_cbranch_vccnz .LBB110_3512
; %bb.3502:
	s_cmp_lt_i32 s0, 6
	s_cbranch_scc1 .LBB110_3505
; %bb.3503:
	s_cmp_gt_i32 s0, 6
	s_cbranch_scc0 .LBB110_3506
; %bb.3504:
	s_wait_loadcnt 0x0
	global_load_b64 v[22:23], v[24:25], off
	s_mov_b32 s1, 0
	s_wait_loadcnt 0x0
	v_cvt_i32_f64_e32 v22, v[22:23]
	s_branch .LBB110_3507
.LBB110_3505:
	s_mov_b32 s1, -1
                                        ; implicit-def: $vgpr22
	s_branch .LBB110_3510
.LBB110_3506:
	s_mov_b32 s1, -1
                                        ; implicit-def: $vgpr22
.LBB110_3507:
	s_delay_alu instid0(SALU_CYCLE_1)
	s_and_not1_b32 vcc_lo, exec_lo, s1
	s_cbranch_vccnz .LBB110_3509
; %bb.3508:
	s_wait_loadcnt 0x0
	global_load_b32 v1, v[24:25], off
	s_wait_loadcnt 0x0
	v_cvt_i32_f32_e32 v22, v1
.LBB110_3509:
	s_mov_b32 s1, 0
.LBB110_3510:
	s_delay_alu instid0(SALU_CYCLE_1)
	s_and_not1_b32 vcc_lo, exec_lo, s1
	s_cbranch_vccnz .LBB110_3512
; %bb.3511:
	s_wait_loadcnt 0x0
	global_load_u16 v1, v[24:25], off
	s_wait_loadcnt 0x0
	v_cvt_i16_f16_e32 v22, v1
.LBB110_3512:
	s_mov_b32 s1, 0
.LBB110_3513:
	s_delay_alu instid0(SALU_CYCLE_1)
	s_and_not1_b32 vcc_lo, exec_lo, s1
	s_cbranch_vccnz .LBB110_3533
; %bb.3514:
	s_cmp_lt_i32 s0, 2
	s_cbranch_scc1 .LBB110_3518
; %bb.3515:
	s_cmp_lt_i32 s0, 3
	s_cbranch_scc1 .LBB110_3519
; %bb.3516:
	s_cmp_gt_i32 s0, 3
	s_cbranch_scc0 .LBB110_3520
; %bb.3517:
	s_wait_loadcnt 0x0
	global_load_b64 v[22:23], v[24:25], off
	s_mov_b32 s1, 0
	s_branch .LBB110_3521
.LBB110_3518:
	s_mov_b32 s1, -1
                                        ; implicit-def: $vgpr22
	s_branch .LBB110_3527
.LBB110_3519:
	s_mov_b32 s1, -1
                                        ; implicit-def: $vgpr22
	s_branch .LBB110_3524
.LBB110_3520:
	s_mov_b32 s1, -1
                                        ; implicit-def: $vgpr22
.LBB110_3521:
	s_delay_alu instid0(SALU_CYCLE_1)
	s_and_not1_b32 vcc_lo, exec_lo, s1
	s_cbranch_vccnz .LBB110_3523
; %bb.3522:
	s_wait_loadcnt 0x0
	global_load_b32 v22, v[24:25], off
.LBB110_3523:
	s_mov_b32 s1, 0
.LBB110_3524:
	s_delay_alu instid0(SALU_CYCLE_1)
	s_and_not1_b32 vcc_lo, exec_lo, s1
	s_cbranch_vccnz .LBB110_3526
; %bb.3525:
	s_wait_loadcnt 0x0
	global_load_u16 v22, v[24:25], off
.LBB110_3526:
	s_mov_b32 s1, 0
.LBB110_3527:
	s_delay_alu instid0(SALU_CYCLE_1)
	s_and_not1_b32 vcc_lo, exec_lo, s1
	s_cbranch_vccnz .LBB110_3533
; %bb.3528:
	s_cmp_gt_i32 s0, 0
	s_mov_b32 s0, 0
	s_cbranch_scc0 .LBB110_3530
; %bb.3529:
	s_wait_loadcnt 0x0
	global_load_u8 v22, v[24:25], off
	s_branch .LBB110_3531
.LBB110_3530:
	s_mov_b32 s0, -1
                                        ; implicit-def: $vgpr22
.LBB110_3531:
	s_delay_alu instid0(SALU_CYCLE_1)
	s_and_not1_b32 vcc_lo, exec_lo, s0
	s_cbranch_vccnz .LBB110_3533
; %bb.3532:
	s_wait_loadcnt 0x0
	global_load_u8 v22, v[24:25], off
.LBB110_3533:
	s_mov_b32 s6, -1
.LBB110_3534:
	s_delay_alu instid0(SALU_CYCLE_1)
	s_and_not1_b32 vcc_lo, exec_lo, s6
	s_cbranch_vccnz .LBB110_3968
; %bb.3535:
	s_wait_xcnt 0x0
	v_mul_lo_u32 v24, s12, v26
	s_wait_loadcnt 0x0
	v_bfe_i32 v1, v2, 0, 8
	v_bfe_i32 v0, v0, 0, 8
	;; [unrolled: 1-line block ×3, first 2 shown]
	s_and_b32 s20, s2, 0xff
	s_delay_alu instid0(SALU_CYCLE_1) | instskip(NEXT) | instid1(VALU_DEP_2)
	s_cmp_lt_i32 s20, 11
	v_max_i16 v2, v0, v1
	v_ashrrev_i32_e32 v25, 31, v24
	s_delay_alu instid0(VALU_DEP_2) | instskip(NEXT) | instid1(VALU_DEP_2)
	v_min_i16 v5, v2, v3
	v_add_nc_u64_e32 v[0:1], s[4:5], v[24:25]
	s_cbranch_scc1 .LBB110_3613
; %bb.3536:
	s_and_b32 s1, 0xffff, s20
	s_mov_b32 s6, -1
	s_mov_b32 s2, 0
	s_cmp_gt_i32 s1, 25
	s_mov_b32 s3, 0
	s_mov_b32 s0, 0
	s_cbranch_scc0 .LBB110_3569
; %bb.3537:
	s_cmp_gt_i32 s1, 28
	s_cbranch_scc0 .LBB110_3552
; %bb.3538:
	s_cmp_gt_i32 s1, 43
	;; [unrolled: 3-line block ×3, first 2 shown]
	s_cbranch_scc0 .LBB110_3542
; %bb.3540:
	s_mov_b32 s0, -1
	s_mov_b32 s6, 0
	s_cmp_eq_u32 s1, 46
	s_cbranch_scc0 .LBB110_3542
; %bb.3541:
	v_bfe_i32 v2, v5, 0, 16
	s_mov_b32 s0, 0
	s_mov_b32 s3, -1
	s_delay_alu instid0(VALU_DEP_1) | instskip(NEXT) | instid1(VALU_DEP_1)
	v_cvt_f32_i32_e32 v2, v2
	v_bfe_u32 v3, v2, 16, 1
	s_delay_alu instid0(VALU_DEP_1) | instskip(NEXT) | instid1(VALU_DEP_1)
	v_add3_u32 v2, v2, v3, 0x7fff
	v_lshrrev_b32_e32 v2, 16, v2
	global_store_b32 v[0:1], v2, off
.LBB110_3542:
	s_and_b32 vcc_lo, exec_lo, s6
	s_cbranch_vccz .LBB110_3547
; %bb.3543:
	s_cmp_eq_u32 s1, 44
	s_mov_b32 s0, -1
	s_cbranch_scc0 .LBB110_3547
; %bb.3544:
	s_wait_xcnt 0x0
	v_bfe_i32 v2, v5, 0, 16
	v_mov_b32_e32 v3, 0xff
	s_mov_b32 s3, exec_lo
	s_delay_alu instid0(VALU_DEP_2) | instskip(NEXT) | instid1(VALU_DEP_1)
	v_cvt_f32_i32_e32 v2, v2
	v_bfe_u32 v6, v2, 23, 8
	s_delay_alu instid0(VALU_DEP_1)
	v_cmpx_ne_u32_e32 0xff, v6
	s_cbranch_execz .LBB110_3546
; %bb.3545:
	v_and_b32_e32 v3, 0x400000, v2
	v_and_or_b32 v6, 0x3fffff, v2, v6
	v_lshrrev_b32_e32 v2, 23, v2
	s_delay_alu instid0(VALU_DEP_3) | instskip(NEXT) | instid1(VALU_DEP_3)
	v_cmp_ne_u32_e32 vcc_lo, 0, v3
	v_cmp_ne_u32_e64 s0, 0, v6
	s_and_b32 s0, vcc_lo, s0
	s_delay_alu instid0(SALU_CYCLE_1) | instskip(NEXT) | instid1(VALU_DEP_1)
	v_cndmask_b32_e64 v3, 0, 1, s0
	v_add_nc_u32_e32 v3, v2, v3
.LBB110_3546:
	s_or_b32 exec_lo, exec_lo, s3
	s_mov_b32 s0, 0
	s_mov_b32 s3, -1
	global_store_b8 v[0:1], v3, off
.LBB110_3547:
	s_mov_b32 s6, 0
.LBB110_3548:
	s_delay_alu instid0(SALU_CYCLE_1)
	s_and_b32 vcc_lo, exec_lo, s6
	s_cbranch_vccz .LBB110_3551
; %bb.3549:
	s_cmp_eq_u32 s1, 29
	s_mov_b32 s0, -1
	s_cbranch_scc0 .LBB110_3551
; %bb.3550:
	s_wait_xcnt 0x0
	v_bfe_i32 v2, v5, 0, 16
	s_mov_b32 s0, 0
	s_mov_b32 s3, -1
	s_delay_alu instid0(VALU_DEP_1)
	v_ashrrev_i32_e32 v3, 31, v2
	global_store_b64 v[0:1], v[2:3], off
.LBB110_3551:
	s_mov_b32 s6, 0
.LBB110_3552:
	s_delay_alu instid0(SALU_CYCLE_1)
	s_and_b32 vcc_lo, exec_lo, s6
	s_cbranch_vccz .LBB110_3568
; %bb.3553:
	s_cmp_lt_i32 s1, 27
	s_mov_b32 s3, -1
	s_cbranch_scc1 .LBB110_3559
; %bb.3554:
	s_cmp_gt_i32 s1, 27
	s_cbranch_scc0 .LBB110_3556
; %bb.3555:
	s_wait_xcnt 0x0
	v_bfe_i32 v2, v5, 0, 16
	s_mov_b32 s3, 0
	global_store_b32 v[0:1], v2, off
.LBB110_3556:
	s_and_not1_b32 vcc_lo, exec_lo, s3
	s_cbranch_vccnz .LBB110_3558
; %bb.3557:
	global_store_b16 v[0:1], v5, off
.LBB110_3558:
	s_mov_b32 s3, 0
.LBB110_3559:
	s_delay_alu instid0(SALU_CYCLE_1)
	s_and_not1_b32 vcc_lo, exec_lo, s3
	s_cbranch_vccnz .LBB110_3567
; %bb.3560:
	s_wait_xcnt 0x0
	v_bfe_i32 v2, v5, 0, 16
	v_mov_b32_e32 v6, 0x80
	s_mov_b32 s3, exec_lo
	s_delay_alu instid0(VALU_DEP_2) | instskip(NEXT) | instid1(VALU_DEP_1)
	v_cvt_f32_i32_e32 v2, v2
	v_and_b32_e32 v3, 0x7fffffff, v2
	s_delay_alu instid0(VALU_DEP_1)
	v_cmpx_gt_u32_e32 0x43800000, v3
	s_cbranch_execz .LBB110_3566
; %bb.3561:
	v_cmp_lt_u32_e32 vcc_lo, 0x3bffffff, v3
	s_mov_b32 s6, 0
                                        ; implicit-def: $vgpr3
	s_and_saveexec_b32 s7, vcc_lo
	s_delay_alu instid0(SALU_CYCLE_1)
	s_xor_b32 s7, exec_lo, s7
	s_cbranch_execz .LBB110_4015
; %bb.3562:
	v_bfe_u32 v3, v2, 20, 1
	s_mov_b32 s6, exec_lo
	s_delay_alu instid0(VALU_DEP_1) | instskip(NEXT) | instid1(VALU_DEP_1)
	v_add3_u32 v3, v2, v3, 0x487ffff
	v_lshrrev_b32_e32 v3, 20, v3
	s_and_not1_saveexec_b32 s7, s7
	s_cbranch_execnz .LBB110_4016
.LBB110_3563:
	s_or_b32 exec_lo, exec_lo, s7
	v_mov_b32_e32 v6, 0
	s_and_saveexec_b32 s7, s6
.LBB110_3564:
	v_lshrrev_b32_e32 v2, 24, v2
	s_delay_alu instid0(VALU_DEP_1)
	v_and_or_b32 v6, 0x80, v2, v3
.LBB110_3565:
	s_or_b32 exec_lo, exec_lo, s7
.LBB110_3566:
	s_delay_alu instid0(SALU_CYCLE_1)
	s_or_b32 exec_lo, exec_lo, s3
	global_store_b8 v[0:1], v6, off
.LBB110_3567:
	s_mov_b32 s3, -1
.LBB110_3568:
	s_mov_b32 s6, 0
.LBB110_3569:
	s_delay_alu instid0(SALU_CYCLE_1)
	s_and_b32 vcc_lo, exec_lo, s6
	s_cbranch_vccz .LBB110_3609
; %bb.3570:
	s_cmp_gt_i32 s1, 22
	s_mov_b32 s2, -1
	s_cbranch_scc0 .LBB110_3602
; %bb.3571:
	s_cmp_lt_i32 s1, 24
	s_cbranch_scc1 .LBB110_3591
; %bb.3572:
	s_cmp_gt_i32 s1, 24
	s_cbranch_scc0 .LBB110_3580
; %bb.3573:
	s_wait_xcnt 0x0
	v_bfe_i32 v2, v5, 0, 16
	v_mov_b32_e32 v6, 0x80
	s_mov_b32 s2, exec_lo
	s_delay_alu instid0(VALU_DEP_2) | instskip(NEXT) | instid1(VALU_DEP_1)
	v_cvt_f32_i32_e32 v2, v2
	v_and_b32_e32 v3, 0x7fffffff, v2
	s_delay_alu instid0(VALU_DEP_1)
	v_cmpx_gt_u32_e32 0x47800000, v3
	s_cbranch_execz .LBB110_3579
; %bb.3574:
	v_cmp_lt_u32_e32 vcc_lo, 0x37ffffff, v3
	s_mov_b32 s3, 0
                                        ; implicit-def: $vgpr3
	s_and_saveexec_b32 s6, vcc_lo
	s_delay_alu instid0(SALU_CYCLE_1)
	s_xor_b32 s6, exec_lo, s6
	s_cbranch_execz .LBB110_4018
; %bb.3575:
	v_bfe_u32 v3, v2, 21, 1
	s_mov_b32 s3, exec_lo
	s_delay_alu instid0(VALU_DEP_1) | instskip(NEXT) | instid1(VALU_DEP_1)
	v_add3_u32 v3, v2, v3, 0x88fffff
	v_lshrrev_b32_e32 v3, 21, v3
	s_and_not1_saveexec_b32 s6, s6
	s_cbranch_execnz .LBB110_4019
.LBB110_3576:
	s_or_b32 exec_lo, exec_lo, s6
	v_mov_b32_e32 v6, 0
	s_and_saveexec_b32 s6, s3
.LBB110_3577:
	v_lshrrev_b32_e32 v2, 24, v2
	s_delay_alu instid0(VALU_DEP_1)
	v_and_or_b32 v6, 0x80, v2, v3
.LBB110_3578:
	s_or_b32 exec_lo, exec_lo, s6
.LBB110_3579:
	s_delay_alu instid0(SALU_CYCLE_1)
	s_or_b32 exec_lo, exec_lo, s2
	s_mov_b32 s2, 0
	global_store_b8 v[0:1], v6, off
.LBB110_3580:
	s_and_b32 vcc_lo, exec_lo, s2
	s_cbranch_vccz .LBB110_3590
; %bb.3581:
	s_wait_xcnt 0x0
	v_bfe_i32 v2, v5, 0, 16
	s_mov_b32 s2, exec_lo
                                        ; implicit-def: $vgpr3
	s_delay_alu instid0(VALU_DEP_1) | instskip(NEXT) | instid1(VALU_DEP_1)
	v_cvt_f32_i32_e32 v2, v2
	v_and_b32_e32 v6, 0x7fffffff, v2
	s_delay_alu instid0(VALU_DEP_1)
	v_cmpx_gt_u32_e32 0x43f00000, v6
	s_xor_b32 s2, exec_lo, s2
	s_cbranch_execz .LBB110_3587
; %bb.3582:
	s_mov_b32 s3, exec_lo
                                        ; implicit-def: $vgpr3
	v_cmpx_lt_u32_e32 0x3c7fffff, v6
	s_xor_b32 s3, exec_lo, s3
; %bb.3583:
	v_bfe_u32 v3, v2, 20, 1
	s_delay_alu instid0(VALU_DEP_1) | instskip(NEXT) | instid1(VALU_DEP_1)
	v_add3_u32 v3, v2, v3, 0x407ffff
	v_and_b32_e32 v6, 0xff00000, v3
	v_lshrrev_b32_e32 v3, 20, v3
	s_delay_alu instid0(VALU_DEP_2) | instskip(NEXT) | instid1(VALU_DEP_2)
	v_cmp_ne_u32_e32 vcc_lo, 0x7f00000, v6
	v_cndmask_b32_e32 v3, 0x7e, v3, vcc_lo
; %bb.3584:
	s_and_not1_saveexec_b32 s3, s3
; %bb.3585:
	v_add_f32_e64 v3, 0x46800000, |v2|
; %bb.3586:
	s_or_b32 exec_lo, exec_lo, s3
                                        ; implicit-def: $vgpr6
.LBB110_3587:
	s_and_not1_saveexec_b32 s2, s2
; %bb.3588:
	v_mov_b32_e32 v3, 0x7f
	v_cmp_lt_u32_e32 vcc_lo, 0x7f800000, v6
	s_delay_alu instid0(VALU_DEP_2)
	v_cndmask_b32_e32 v3, 0x7e, v3, vcc_lo
; %bb.3589:
	s_or_b32 exec_lo, exec_lo, s2
	v_lshrrev_b32_e32 v2, 24, v2
	s_delay_alu instid0(VALU_DEP_1)
	v_and_or_b32 v2, 0x80, v2, v3
	global_store_b8 v[0:1], v2, off
.LBB110_3590:
	s_mov_b32 s2, 0
.LBB110_3591:
	s_delay_alu instid0(SALU_CYCLE_1)
	s_and_not1_b32 vcc_lo, exec_lo, s2
	s_cbranch_vccnz .LBB110_3601
; %bb.3592:
	s_wait_xcnt 0x0
	v_bfe_i32 v2, v5, 0, 16
	s_mov_b32 s2, exec_lo
                                        ; implicit-def: $vgpr3
	s_delay_alu instid0(VALU_DEP_1) | instskip(NEXT) | instid1(VALU_DEP_1)
	v_cvt_f32_i32_e32 v2, v2
	v_and_b32_e32 v6, 0x7fffffff, v2
	s_delay_alu instid0(VALU_DEP_1)
	v_cmpx_gt_u32_e32 0x47800000, v6
	s_xor_b32 s2, exec_lo, s2
	s_cbranch_execz .LBB110_3598
; %bb.3593:
	s_mov_b32 s3, exec_lo
                                        ; implicit-def: $vgpr3
	v_cmpx_lt_u32_e32 0x387fffff, v6
	s_xor_b32 s3, exec_lo, s3
; %bb.3594:
	v_bfe_u32 v3, v2, 21, 1
	s_delay_alu instid0(VALU_DEP_1) | instskip(NEXT) | instid1(VALU_DEP_1)
	v_add3_u32 v3, v2, v3, 0x80fffff
	v_lshrrev_b32_e32 v3, 21, v3
; %bb.3595:
	s_and_not1_saveexec_b32 s3, s3
; %bb.3596:
	v_add_f32_e64 v3, 0x43000000, |v2|
; %bb.3597:
	s_or_b32 exec_lo, exec_lo, s3
                                        ; implicit-def: $vgpr6
.LBB110_3598:
	s_and_not1_saveexec_b32 s2, s2
; %bb.3599:
	v_mov_b32_e32 v3, 0x7f
	v_cmp_lt_u32_e32 vcc_lo, 0x7f800000, v6
	s_delay_alu instid0(VALU_DEP_2)
	v_cndmask_b32_e32 v3, 0x7c, v3, vcc_lo
; %bb.3600:
	s_or_b32 exec_lo, exec_lo, s2
	v_lshrrev_b32_e32 v2, 24, v2
	s_delay_alu instid0(VALU_DEP_1)
	v_and_or_b32 v2, 0x80, v2, v3
	global_store_b8 v[0:1], v2, off
.LBB110_3601:
	s_mov_b32 s2, 0
	s_mov_b32 s3, -1
.LBB110_3602:
	s_and_not1_b32 vcc_lo, exec_lo, s2
	s_mov_b32 s2, 0
	s_cbranch_vccnz .LBB110_3609
; %bb.3603:
	s_cmp_gt_i32 s1, 14
	s_mov_b32 s2, -1
	s_cbranch_scc0 .LBB110_3607
; %bb.3604:
	s_cmp_eq_u32 s1, 15
	s_mov_b32 s0, -1
	s_cbranch_scc0 .LBB110_3606
; %bb.3605:
	s_wait_xcnt 0x0
	v_bfe_i32 v2, v5, 0, 16
	s_mov_b32 s0, 0
	s_mov_b32 s3, -1
	s_delay_alu instid0(VALU_DEP_1) | instskip(NEXT) | instid1(VALU_DEP_1)
	v_cvt_f32_i32_e32 v2, v2
	v_bfe_u32 v3, v2, 16, 1
	s_delay_alu instid0(VALU_DEP_1)
	v_add3_u32 v2, v2, v3, 0x7fff
	global_store_d16_hi_b16 v[0:1], v2, off
.LBB110_3606:
	s_mov_b32 s2, 0
.LBB110_3607:
	s_delay_alu instid0(SALU_CYCLE_1)
	s_and_b32 vcc_lo, exec_lo, s2
	s_mov_b32 s2, 0
	s_cbranch_vccz .LBB110_3609
; %bb.3608:
	s_cmp_lg_u32 s1, 11
	s_mov_b32 s2, -1
	s_cselect_b32 s0, -1, 0
.LBB110_3609:
	s_delay_alu instid0(SALU_CYCLE_1)
	s_and_b32 vcc_lo, exec_lo, s0
	s_cbranch_vccnz .LBB110_4017
; %bb.3610:
	s_and_not1_b32 vcc_lo, exec_lo, s2
	s_cbranch_vccnz .LBB110_3612
.LBB110_3611:
	v_cmp_ne_u16_e32 vcc_lo, 0, v5
	s_mov_b32 s3, -1
	s_wait_xcnt 0x0
	v_cndmask_b32_e64 v2, 0, 1, vcc_lo
	global_store_b8 v[0:1], v2, off
.LBB110_3612:
	s_mov_b32 s0, 0
	s_branch .LBB110_3614
.LBB110_3613:
	s_mov_b32 s0, -1
	s_mov_b32 s3, 0
.LBB110_3614:
	s_and_b32 vcc_lo, exec_lo, s0
	s_cbranch_vccz .LBB110_3653
; %bb.3615:
	s_and_b32 s0, 0xffff, s20
	s_mov_b32 s1, -1
	s_cmp_lt_i32 s0, 5
	s_cbranch_scc1 .LBB110_3636
; %bb.3616:
	s_cmp_lt_i32 s0, 8
	s_cbranch_scc1 .LBB110_3626
; %bb.3617:
	;; [unrolled: 3-line block ×3, first 2 shown]
	s_cmp_gt_i32 s0, 9
	s_cbranch_scc0 .LBB110_3620
; %bb.3619:
	s_wait_xcnt 0x0
	v_bfe_i32 v2, v5, 0, 16
	v_mov_b32_e32 v28, 0
	s_mov_b32 s1, 0
	s_delay_alu instid0(VALU_DEP_2) | instskip(NEXT) | instid1(VALU_DEP_2)
	v_cvt_f64_i32_e32 v[26:27], v2
	v_mov_b32_e32 v29, v28
	global_store_b128 v[0:1], v[26:29], off
.LBB110_3620:
	s_and_not1_b32 vcc_lo, exec_lo, s1
	s_cbranch_vccnz .LBB110_3622
; %bb.3621:
	s_wait_xcnt 0x0
	v_bfe_i32 v2, v5, 0, 16
	v_mov_b32_e32 v3, 0
	s_delay_alu instid0(VALU_DEP_2)
	v_cvt_f32_i32_e32 v2, v2
	global_store_b64 v[0:1], v[2:3], off
.LBB110_3622:
	s_mov_b32 s1, 0
.LBB110_3623:
	s_delay_alu instid0(SALU_CYCLE_1)
	s_and_not1_b32 vcc_lo, exec_lo, s1
	s_cbranch_vccnz .LBB110_3625
; %bb.3624:
	s_wait_xcnt 0x0
	v_cvt_f16_i16_e32 v2, v5
	s_delay_alu instid0(VALU_DEP_1)
	v_and_b32_e32 v2, 0xffff, v2
	global_store_b32 v[0:1], v2, off
.LBB110_3625:
	s_mov_b32 s1, 0
.LBB110_3626:
	s_delay_alu instid0(SALU_CYCLE_1)
	s_and_not1_b32 vcc_lo, exec_lo, s1
	s_cbranch_vccnz .LBB110_3635
; %bb.3627:
	s_cmp_lt_i32 s0, 6
	s_mov_b32 s1, -1
	s_cbranch_scc1 .LBB110_3633
; %bb.3628:
	s_cmp_gt_i32 s0, 6
	s_cbranch_scc0 .LBB110_3630
; %bb.3629:
	s_wait_xcnt 0x0
	v_bfe_i32 v2, v5, 0, 16
	s_mov_b32 s1, 0
	s_delay_alu instid0(VALU_DEP_1)
	v_cvt_f64_i32_e32 v[2:3], v2
	global_store_b64 v[0:1], v[2:3], off
.LBB110_3630:
	s_and_not1_b32 vcc_lo, exec_lo, s1
	s_cbranch_vccnz .LBB110_3632
; %bb.3631:
	s_wait_xcnt 0x0
	v_bfe_i32 v2, v5, 0, 16
	s_delay_alu instid0(VALU_DEP_1)
	v_cvt_f32_i32_e32 v2, v2
	global_store_b32 v[0:1], v2, off
.LBB110_3632:
	s_mov_b32 s1, 0
.LBB110_3633:
	s_delay_alu instid0(SALU_CYCLE_1)
	s_and_not1_b32 vcc_lo, exec_lo, s1
	s_cbranch_vccnz .LBB110_3635
; %bb.3634:
	s_wait_xcnt 0x0
	v_cvt_f16_i16_e32 v2, v5
	global_store_b16 v[0:1], v2, off
.LBB110_3635:
	s_mov_b32 s1, 0
.LBB110_3636:
	s_delay_alu instid0(SALU_CYCLE_1)
	s_and_not1_b32 vcc_lo, exec_lo, s1
	s_cbranch_vccnz .LBB110_3652
; %bb.3637:
	s_cmp_lt_i32 s0, 2
	s_mov_b32 s1, -1
	s_cbranch_scc1 .LBB110_3647
; %bb.3638:
	s_cmp_lt_i32 s0, 3
	s_cbranch_scc1 .LBB110_3644
; %bb.3639:
	s_wait_xcnt 0x0
	v_bfe_i32 v2, v5, 0, 16
	s_cmp_gt_i32 s0, 3
	s_cbranch_scc0 .LBB110_3641
; %bb.3640:
	s_delay_alu instid0(VALU_DEP_1)
	v_ashrrev_i32_e32 v3, 31, v2
	s_mov_b32 s1, 0
	global_store_b64 v[0:1], v[2:3], off
.LBB110_3641:
	s_and_not1_b32 vcc_lo, exec_lo, s1
	s_cbranch_vccnz .LBB110_3643
; %bb.3642:
	global_store_b32 v[0:1], v2, off
.LBB110_3643:
	s_mov_b32 s1, 0
.LBB110_3644:
	s_delay_alu instid0(SALU_CYCLE_1)
	s_and_not1_b32 vcc_lo, exec_lo, s1
	s_cbranch_vccnz .LBB110_3646
; %bb.3645:
	global_store_b16 v[0:1], v5, off
.LBB110_3646:
	s_mov_b32 s1, 0
.LBB110_3647:
	s_delay_alu instid0(SALU_CYCLE_1)
	s_and_not1_b32 vcc_lo, exec_lo, s1
	s_cbranch_vccnz .LBB110_3652
; %bb.3648:
	s_cmp_gt_i32 s0, 0
	s_mov_b32 s0, -1
	s_cbranch_scc0 .LBB110_3650
; %bb.3649:
	s_mov_b32 s0, 0
	global_store_b8 v[0:1], v5, off
.LBB110_3650:
	s_and_not1_b32 vcc_lo, exec_lo, s0
	s_cbranch_vccnz .LBB110_3652
; %bb.3651:
	global_store_b8 v[0:1], v5, off
.LBB110_3652:
	s_mov_b32 s3, -1
.LBB110_3653:
	s_delay_alu instid0(SALU_CYCLE_1)
	s_and_not1_b32 vcc_lo, exec_lo, s3
	s_cbranch_vccnz .LBB110_3968
; %bb.3654:
	s_lshl_b32 s1, s12, 7
	s_wait_xcnt 0x0
	v_bfe_i32 v2, v8, 0, 8
	v_add_nc_u32_e32 v0, s1, v24
	v_bfe_i32 v3, v4, 0, 8
	v_bfe_i32 v5, v12, 0, 8
	s_cmp_lt_i32 s20, 11
	s_delay_alu instid0(VALU_DEP_3) | instskip(NEXT) | instid1(VALU_DEP_3)
	v_ashrrev_i32_e32 v1, 31, v0
	v_max_i16 v4, v3, v2
	s_delay_alu instid0(VALU_DEP_2) | instskip(NEXT) | instid1(VALU_DEP_2)
	v_add_nc_u64_e32 v[2:3], s[4:5], v[0:1]
	v_min_i16 v1, v4, v5
	s_cbranch_scc1 .LBB110_3732
; %bb.3655:
	s_and_b32 s2, 0xffff, s20
	s_mov_b32 s7, -1
	s_mov_b32 s3, 0
	s_cmp_gt_i32 s2, 25
	s_mov_b32 s6, 0
	s_mov_b32 s0, 0
	s_cbranch_scc0 .LBB110_3688
; %bb.3656:
	s_cmp_gt_i32 s2, 28
	s_cbranch_scc0 .LBB110_3671
; %bb.3657:
	s_cmp_gt_i32 s2, 43
	;; [unrolled: 3-line block ×3, first 2 shown]
	s_cbranch_scc0 .LBB110_3661
; %bb.3659:
	s_mov_b32 s0, -1
	s_mov_b32 s7, 0
	s_cmp_eq_u32 s2, 46
	s_cbranch_scc0 .LBB110_3661
; %bb.3660:
	v_bfe_i32 v4, v1, 0, 16
	s_mov_b32 s0, 0
	s_mov_b32 s6, -1
	s_delay_alu instid0(VALU_DEP_1) | instskip(NEXT) | instid1(VALU_DEP_1)
	v_cvt_f32_i32_e32 v4, v4
	v_bfe_u32 v5, v4, 16, 1
	s_delay_alu instid0(VALU_DEP_1) | instskip(NEXT) | instid1(VALU_DEP_1)
	v_add3_u32 v4, v4, v5, 0x7fff
	v_lshrrev_b32_e32 v4, 16, v4
	global_store_b32 v[2:3], v4, off
.LBB110_3661:
	s_and_b32 vcc_lo, exec_lo, s7
	s_cbranch_vccz .LBB110_3666
; %bb.3662:
	s_cmp_eq_u32 s2, 44
	s_mov_b32 s0, -1
	s_cbranch_scc0 .LBB110_3666
; %bb.3663:
	s_wait_xcnt 0x0
	v_bfe_i32 v4, v1, 0, 16
	v_mov_b32_e32 v5, 0xff
	s_mov_b32 s6, exec_lo
	s_delay_alu instid0(VALU_DEP_2) | instskip(NEXT) | instid1(VALU_DEP_1)
	v_cvt_f32_i32_e32 v4, v4
	v_bfe_u32 v6, v4, 23, 8
	s_delay_alu instid0(VALU_DEP_1)
	v_cmpx_ne_u32_e32 0xff, v6
	s_cbranch_execz .LBB110_3665
; %bb.3664:
	v_and_b32_e32 v5, 0x400000, v4
	v_and_or_b32 v6, 0x3fffff, v4, v6
	v_lshrrev_b32_e32 v4, 23, v4
	s_delay_alu instid0(VALU_DEP_3) | instskip(NEXT) | instid1(VALU_DEP_3)
	v_cmp_ne_u32_e32 vcc_lo, 0, v5
	v_cmp_ne_u32_e64 s0, 0, v6
	s_and_b32 s0, vcc_lo, s0
	s_delay_alu instid0(SALU_CYCLE_1) | instskip(NEXT) | instid1(VALU_DEP_1)
	v_cndmask_b32_e64 v5, 0, 1, s0
	v_add_nc_u32_e32 v5, v4, v5
.LBB110_3665:
	s_or_b32 exec_lo, exec_lo, s6
	s_mov_b32 s0, 0
	s_mov_b32 s6, -1
	global_store_b8 v[2:3], v5, off
.LBB110_3666:
	s_mov_b32 s7, 0
.LBB110_3667:
	s_delay_alu instid0(SALU_CYCLE_1)
	s_and_b32 vcc_lo, exec_lo, s7
	s_cbranch_vccz .LBB110_3670
; %bb.3668:
	s_cmp_eq_u32 s2, 29
	s_mov_b32 s0, -1
	s_cbranch_scc0 .LBB110_3670
; %bb.3669:
	s_wait_xcnt 0x0
	v_bfe_i32 v4, v1, 0, 16
	s_mov_b32 s0, 0
	s_mov_b32 s6, -1
	s_delay_alu instid0(VALU_DEP_1)
	v_ashrrev_i32_e32 v5, 31, v4
	global_store_b64 v[2:3], v[4:5], off
.LBB110_3670:
	s_mov_b32 s7, 0
.LBB110_3671:
	s_delay_alu instid0(SALU_CYCLE_1)
	s_and_b32 vcc_lo, exec_lo, s7
	s_cbranch_vccz .LBB110_3687
; %bb.3672:
	s_cmp_lt_i32 s2, 27
	s_mov_b32 s6, -1
	s_cbranch_scc1 .LBB110_3678
; %bb.3673:
	s_cmp_gt_i32 s2, 27
	s_cbranch_scc0 .LBB110_3675
; %bb.3674:
	s_wait_xcnt 0x0
	v_bfe_i32 v4, v1, 0, 16
	s_mov_b32 s6, 0
	global_store_b32 v[2:3], v4, off
.LBB110_3675:
	s_and_not1_b32 vcc_lo, exec_lo, s6
	s_cbranch_vccnz .LBB110_3677
; %bb.3676:
	global_store_b16 v[2:3], v1, off
.LBB110_3677:
	s_mov_b32 s6, 0
.LBB110_3678:
	s_delay_alu instid0(SALU_CYCLE_1)
	s_and_not1_b32 vcc_lo, exec_lo, s6
	s_cbranch_vccnz .LBB110_3686
; %bb.3679:
	s_wait_xcnt 0x0
	v_bfe_i32 v4, v1, 0, 16
	v_mov_b32_e32 v6, 0x80
	s_mov_b32 s6, exec_lo
	s_delay_alu instid0(VALU_DEP_2) | instskip(NEXT) | instid1(VALU_DEP_1)
	v_cvt_f32_i32_e32 v4, v4
	v_and_b32_e32 v5, 0x7fffffff, v4
	s_delay_alu instid0(VALU_DEP_1)
	v_cmpx_gt_u32_e32 0x43800000, v5
	s_cbranch_execz .LBB110_3685
; %bb.3680:
	v_cmp_lt_u32_e32 vcc_lo, 0x3bffffff, v5
	s_mov_b32 s7, 0
                                        ; implicit-def: $vgpr5
	s_and_saveexec_b32 s8, vcc_lo
	s_delay_alu instid0(SALU_CYCLE_1)
	s_xor_b32 s8, exec_lo, s8
	s_cbranch_execz .LBB110_4020
; %bb.3681:
	v_bfe_u32 v5, v4, 20, 1
	s_mov_b32 s7, exec_lo
	s_delay_alu instid0(VALU_DEP_1) | instskip(NEXT) | instid1(VALU_DEP_1)
	v_add3_u32 v5, v4, v5, 0x487ffff
	v_lshrrev_b32_e32 v5, 20, v5
	s_and_not1_saveexec_b32 s8, s8
	s_cbranch_execnz .LBB110_4021
.LBB110_3682:
	s_or_b32 exec_lo, exec_lo, s8
	v_mov_b32_e32 v6, 0
	s_and_saveexec_b32 s8, s7
.LBB110_3683:
	v_lshrrev_b32_e32 v4, 24, v4
	s_delay_alu instid0(VALU_DEP_1)
	v_and_or_b32 v6, 0x80, v4, v5
.LBB110_3684:
	s_or_b32 exec_lo, exec_lo, s8
.LBB110_3685:
	s_delay_alu instid0(SALU_CYCLE_1)
	s_or_b32 exec_lo, exec_lo, s6
	global_store_b8 v[2:3], v6, off
.LBB110_3686:
	s_mov_b32 s6, -1
.LBB110_3687:
	s_mov_b32 s7, 0
.LBB110_3688:
	s_delay_alu instid0(SALU_CYCLE_1)
	s_and_b32 vcc_lo, exec_lo, s7
	s_cbranch_vccz .LBB110_3728
; %bb.3689:
	s_cmp_gt_i32 s2, 22
	s_mov_b32 s3, -1
	s_cbranch_scc0 .LBB110_3721
; %bb.3690:
	s_cmp_lt_i32 s2, 24
	s_cbranch_scc1 .LBB110_3710
; %bb.3691:
	s_cmp_gt_i32 s2, 24
	s_cbranch_scc0 .LBB110_3699
; %bb.3692:
	s_wait_xcnt 0x0
	v_bfe_i32 v4, v1, 0, 16
	v_mov_b32_e32 v6, 0x80
	s_mov_b32 s3, exec_lo
	s_delay_alu instid0(VALU_DEP_2) | instskip(NEXT) | instid1(VALU_DEP_1)
	v_cvt_f32_i32_e32 v4, v4
	v_and_b32_e32 v5, 0x7fffffff, v4
	s_delay_alu instid0(VALU_DEP_1)
	v_cmpx_gt_u32_e32 0x47800000, v5
	s_cbranch_execz .LBB110_3698
; %bb.3693:
	v_cmp_lt_u32_e32 vcc_lo, 0x37ffffff, v5
	s_mov_b32 s6, 0
                                        ; implicit-def: $vgpr5
	s_and_saveexec_b32 s7, vcc_lo
	s_delay_alu instid0(SALU_CYCLE_1)
	s_xor_b32 s7, exec_lo, s7
	s_cbranch_execz .LBB110_4023
; %bb.3694:
	v_bfe_u32 v5, v4, 21, 1
	s_mov_b32 s6, exec_lo
	s_delay_alu instid0(VALU_DEP_1) | instskip(NEXT) | instid1(VALU_DEP_1)
	v_add3_u32 v5, v4, v5, 0x88fffff
	v_lshrrev_b32_e32 v5, 21, v5
	s_and_not1_saveexec_b32 s7, s7
	s_cbranch_execnz .LBB110_4024
.LBB110_3695:
	s_or_b32 exec_lo, exec_lo, s7
	v_mov_b32_e32 v6, 0
	s_and_saveexec_b32 s7, s6
.LBB110_3696:
	v_lshrrev_b32_e32 v4, 24, v4
	s_delay_alu instid0(VALU_DEP_1)
	v_and_or_b32 v6, 0x80, v4, v5
.LBB110_3697:
	s_or_b32 exec_lo, exec_lo, s7
.LBB110_3698:
	s_delay_alu instid0(SALU_CYCLE_1)
	s_or_b32 exec_lo, exec_lo, s3
	s_mov_b32 s3, 0
	global_store_b8 v[2:3], v6, off
.LBB110_3699:
	s_and_b32 vcc_lo, exec_lo, s3
	s_cbranch_vccz .LBB110_3709
; %bb.3700:
	s_wait_xcnt 0x0
	v_bfe_i32 v4, v1, 0, 16
	s_mov_b32 s3, exec_lo
                                        ; implicit-def: $vgpr5
	s_delay_alu instid0(VALU_DEP_1) | instskip(NEXT) | instid1(VALU_DEP_1)
	v_cvt_f32_i32_e32 v4, v4
	v_and_b32_e32 v6, 0x7fffffff, v4
	s_delay_alu instid0(VALU_DEP_1)
	v_cmpx_gt_u32_e32 0x43f00000, v6
	s_xor_b32 s3, exec_lo, s3
	s_cbranch_execz .LBB110_3706
; %bb.3701:
	s_mov_b32 s6, exec_lo
                                        ; implicit-def: $vgpr5
	v_cmpx_lt_u32_e32 0x3c7fffff, v6
	s_xor_b32 s6, exec_lo, s6
; %bb.3702:
	v_bfe_u32 v5, v4, 20, 1
	s_delay_alu instid0(VALU_DEP_1) | instskip(NEXT) | instid1(VALU_DEP_1)
	v_add3_u32 v5, v4, v5, 0x407ffff
	v_and_b32_e32 v6, 0xff00000, v5
	v_lshrrev_b32_e32 v5, 20, v5
	s_delay_alu instid0(VALU_DEP_2) | instskip(NEXT) | instid1(VALU_DEP_2)
	v_cmp_ne_u32_e32 vcc_lo, 0x7f00000, v6
	v_cndmask_b32_e32 v5, 0x7e, v5, vcc_lo
; %bb.3703:
	s_and_not1_saveexec_b32 s6, s6
; %bb.3704:
	v_add_f32_e64 v5, 0x46800000, |v4|
; %bb.3705:
	s_or_b32 exec_lo, exec_lo, s6
                                        ; implicit-def: $vgpr6
.LBB110_3706:
	s_and_not1_saveexec_b32 s3, s3
; %bb.3707:
	v_mov_b32_e32 v5, 0x7f
	v_cmp_lt_u32_e32 vcc_lo, 0x7f800000, v6
	s_delay_alu instid0(VALU_DEP_2)
	v_cndmask_b32_e32 v5, 0x7e, v5, vcc_lo
; %bb.3708:
	s_or_b32 exec_lo, exec_lo, s3
	v_lshrrev_b32_e32 v4, 24, v4
	s_delay_alu instid0(VALU_DEP_1)
	v_and_or_b32 v4, 0x80, v4, v5
	global_store_b8 v[2:3], v4, off
.LBB110_3709:
	s_mov_b32 s3, 0
.LBB110_3710:
	s_delay_alu instid0(SALU_CYCLE_1)
	s_and_not1_b32 vcc_lo, exec_lo, s3
	s_cbranch_vccnz .LBB110_3720
; %bb.3711:
	s_wait_xcnt 0x0
	v_bfe_i32 v4, v1, 0, 16
	s_mov_b32 s3, exec_lo
                                        ; implicit-def: $vgpr5
	s_delay_alu instid0(VALU_DEP_1) | instskip(NEXT) | instid1(VALU_DEP_1)
	v_cvt_f32_i32_e32 v4, v4
	v_and_b32_e32 v6, 0x7fffffff, v4
	s_delay_alu instid0(VALU_DEP_1)
	v_cmpx_gt_u32_e32 0x47800000, v6
	s_xor_b32 s3, exec_lo, s3
	s_cbranch_execz .LBB110_3717
; %bb.3712:
	s_mov_b32 s6, exec_lo
                                        ; implicit-def: $vgpr5
	v_cmpx_lt_u32_e32 0x387fffff, v6
	s_xor_b32 s6, exec_lo, s6
; %bb.3713:
	v_bfe_u32 v5, v4, 21, 1
	s_delay_alu instid0(VALU_DEP_1) | instskip(NEXT) | instid1(VALU_DEP_1)
	v_add3_u32 v5, v4, v5, 0x80fffff
	v_lshrrev_b32_e32 v5, 21, v5
; %bb.3714:
	s_and_not1_saveexec_b32 s6, s6
; %bb.3715:
	v_add_f32_e64 v5, 0x43000000, |v4|
; %bb.3716:
	s_or_b32 exec_lo, exec_lo, s6
                                        ; implicit-def: $vgpr6
.LBB110_3717:
	s_and_not1_saveexec_b32 s3, s3
; %bb.3718:
	v_mov_b32_e32 v5, 0x7f
	v_cmp_lt_u32_e32 vcc_lo, 0x7f800000, v6
	s_delay_alu instid0(VALU_DEP_2)
	v_cndmask_b32_e32 v5, 0x7c, v5, vcc_lo
; %bb.3719:
	s_or_b32 exec_lo, exec_lo, s3
	v_lshrrev_b32_e32 v4, 24, v4
	s_delay_alu instid0(VALU_DEP_1)
	v_and_or_b32 v4, 0x80, v4, v5
	global_store_b8 v[2:3], v4, off
.LBB110_3720:
	s_mov_b32 s3, 0
	s_mov_b32 s6, -1
.LBB110_3721:
	s_and_not1_b32 vcc_lo, exec_lo, s3
	s_mov_b32 s3, 0
	s_cbranch_vccnz .LBB110_3728
; %bb.3722:
	s_cmp_gt_i32 s2, 14
	s_mov_b32 s3, -1
	s_cbranch_scc0 .LBB110_3726
; %bb.3723:
	s_cmp_eq_u32 s2, 15
	s_mov_b32 s0, -1
	s_cbranch_scc0 .LBB110_3725
; %bb.3724:
	s_wait_xcnt 0x0
	v_bfe_i32 v4, v1, 0, 16
	s_mov_b32 s0, 0
	s_mov_b32 s6, -1
	s_delay_alu instid0(VALU_DEP_1) | instskip(NEXT) | instid1(VALU_DEP_1)
	v_cvt_f32_i32_e32 v4, v4
	v_bfe_u32 v5, v4, 16, 1
	s_delay_alu instid0(VALU_DEP_1)
	v_add3_u32 v4, v4, v5, 0x7fff
	global_store_d16_hi_b16 v[2:3], v4, off
.LBB110_3725:
	s_mov_b32 s3, 0
.LBB110_3726:
	s_delay_alu instid0(SALU_CYCLE_1)
	s_and_b32 vcc_lo, exec_lo, s3
	s_mov_b32 s3, 0
	s_cbranch_vccz .LBB110_3728
; %bb.3727:
	s_cmp_lg_u32 s2, 11
	s_mov_b32 s3, -1
	s_cselect_b32 s0, -1, 0
.LBB110_3728:
	s_delay_alu instid0(SALU_CYCLE_1)
	s_and_b32 vcc_lo, exec_lo, s0
	s_cbranch_vccnz .LBB110_4022
; %bb.3729:
	s_and_not1_b32 vcc_lo, exec_lo, s3
	s_cbranch_vccnz .LBB110_3731
.LBB110_3730:
	v_cmp_ne_u16_e32 vcc_lo, 0, v1
	s_mov_b32 s6, -1
	s_wait_xcnt 0x0
	v_cndmask_b32_e64 v4, 0, 1, vcc_lo
	global_store_b8 v[2:3], v4, off
.LBB110_3731:
	s_mov_b32 s0, 0
	s_branch .LBB110_3733
.LBB110_3732:
	s_mov_b32 s0, -1
	s_mov_b32 s6, 0
.LBB110_3733:
	s_and_b32 vcc_lo, exec_lo, s0
	s_cbranch_vccz .LBB110_3772
; %bb.3734:
	s_and_b32 s0, 0xffff, s20
	s_mov_b32 s2, -1
	s_cmp_lt_i32 s0, 5
	s_cbranch_scc1 .LBB110_3755
; %bb.3735:
	s_cmp_lt_i32 s0, 8
	s_cbranch_scc1 .LBB110_3745
; %bb.3736:
	;; [unrolled: 3-line block ×3, first 2 shown]
	s_cmp_gt_i32 s0, 9
	s_cbranch_scc0 .LBB110_3739
; %bb.3738:
	s_wait_xcnt 0x0
	v_bfe_i32 v4, v1, 0, 16
	v_mov_b32_e32 v6, 0
	s_mov_b32 s2, 0
	s_delay_alu instid0(VALU_DEP_2) | instskip(NEXT) | instid1(VALU_DEP_2)
	v_cvt_f64_i32_e32 v[4:5], v4
	v_mov_b32_e32 v7, v6
	global_store_b128 v[2:3], v[4:7], off
.LBB110_3739:
	s_and_not1_b32 vcc_lo, exec_lo, s2
	s_cbranch_vccnz .LBB110_3741
; %bb.3740:
	s_wait_xcnt 0x0
	v_bfe_i32 v4, v1, 0, 16
	v_mov_b32_e32 v5, 0
	s_delay_alu instid0(VALU_DEP_2)
	v_cvt_f32_i32_e32 v4, v4
	global_store_b64 v[2:3], v[4:5], off
.LBB110_3741:
	s_mov_b32 s2, 0
.LBB110_3742:
	s_delay_alu instid0(SALU_CYCLE_1)
	s_and_not1_b32 vcc_lo, exec_lo, s2
	s_cbranch_vccnz .LBB110_3744
; %bb.3743:
	s_wait_xcnt 0x0
	v_cvt_f16_i16_e32 v4, v1
	s_delay_alu instid0(VALU_DEP_1)
	v_and_b32_e32 v4, 0xffff, v4
	global_store_b32 v[2:3], v4, off
.LBB110_3744:
	s_mov_b32 s2, 0
.LBB110_3745:
	s_delay_alu instid0(SALU_CYCLE_1)
	s_and_not1_b32 vcc_lo, exec_lo, s2
	s_cbranch_vccnz .LBB110_3754
; %bb.3746:
	s_cmp_lt_i32 s0, 6
	s_mov_b32 s2, -1
	s_cbranch_scc1 .LBB110_3752
; %bb.3747:
	s_cmp_gt_i32 s0, 6
	s_cbranch_scc0 .LBB110_3749
; %bb.3748:
	s_wait_xcnt 0x0
	v_bfe_i32 v4, v1, 0, 16
	s_mov_b32 s2, 0
	s_delay_alu instid0(VALU_DEP_1)
	v_cvt_f64_i32_e32 v[4:5], v4
	global_store_b64 v[2:3], v[4:5], off
.LBB110_3749:
	s_and_not1_b32 vcc_lo, exec_lo, s2
	s_cbranch_vccnz .LBB110_3751
; %bb.3750:
	s_wait_xcnt 0x0
	v_bfe_i32 v4, v1, 0, 16
	s_delay_alu instid0(VALU_DEP_1)
	v_cvt_f32_i32_e32 v4, v4
	global_store_b32 v[2:3], v4, off
.LBB110_3751:
	s_mov_b32 s2, 0
.LBB110_3752:
	s_delay_alu instid0(SALU_CYCLE_1)
	s_and_not1_b32 vcc_lo, exec_lo, s2
	s_cbranch_vccnz .LBB110_3754
; %bb.3753:
	s_wait_xcnt 0x0
	v_cvt_f16_i16_e32 v4, v1
	global_store_b16 v[2:3], v4, off
.LBB110_3754:
	s_mov_b32 s2, 0
.LBB110_3755:
	s_delay_alu instid0(SALU_CYCLE_1)
	s_and_not1_b32 vcc_lo, exec_lo, s2
	s_cbranch_vccnz .LBB110_3771
; %bb.3756:
	s_cmp_lt_i32 s0, 2
	s_mov_b32 s2, -1
	s_cbranch_scc1 .LBB110_3766
; %bb.3757:
	s_cmp_lt_i32 s0, 3
	s_cbranch_scc1 .LBB110_3763
; %bb.3758:
	s_wait_xcnt 0x0
	v_bfe_i32 v4, v1, 0, 16
	s_cmp_gt_i32 s0, 3
	s_cbranch_scc0 .LBB110_3760
; %bb.3759:
	s_delay_alu instid0(VALU_DEP_1)
	v_ashrrev_i32_e32 v5, 31, v4
	s_mov_b32 s2, 0
	global_store_b64 v[2:3], v[4:5], off
.LBB110_3760:
	s_and_not1_b32 vcc_lo, exec_lo, s2
	s_cbranch_vccnz .LBB110_3762
; %bb.3761:
	global_store_b32 v[2:3], v4, off
.LBB110_3762:
	s_mov_b32 s2, 0
.LBB110_3763:
	s_delay_alu instid0(SALU_CYCLE_1)
	s_and_not1_b32 vcc_lo, exec_lo, s2
	s_cbranch_vccnz .LBB110_3765
; %bb.3764:
	global_store_b16 v[2:3], v1, off
.LBB110_3765:
	s_mov_b32 s2, 0
.LBB110_3766:
	s_delay_alu instid0(SALU_CYCLE_1)
	s_and_not1_b32 vcc_lo, exec_lo, s2
	s_cbranch_vccnz .LBB110_3771
; %bb.3767:
	s_cmp_gt_i32 s0, 0
	s_mov_b32 s0, -1
	s_cbranch_scc0 .LBB110_3769
; %bb.3768:
	s_mov_b32 s0, 0
	global_store_b8 v[2:3], v1, off
.LBB110_3769:
	s_and_not1_b32 vcc_lo, exec_lo, s0
	s_cbranch_vccnz .LBB110_3771
; %bb.3770:
	global_store_b8 v[2:3], v1, off
.LBB110_3771:
	s_mov_b32 s6, -1
.LBB110_3772:
	s_delay_alu instid0(SALU_CYCLE_1)
	s_and_not1_b32 vcc_lo, exec_lo, s6
	s_cbranch_vccnz .LBB110_3968
; %bb.3773:
	v_add_nc_u32_e32 v0, s1, v0
	s_wait_xcnt 0x0
	v_bfe_i32 v2, v14, 0, 8
	v_bfe_i32 v3, v10, 0, 8
	;; [unrolled: 1-line block ×3, first 2 shown]
	s_cmp_lt_i32 s20, 11
	v_ashrrev_i32_e32 v1, 31, v0
	s_delay_alu instid0(VALU_DEP_3) | instskip(NEXT) | instid1(VALU_DEP_2)
	v_max_i16 v4, v3, v2
	v_add_nc_u64_e32 v[2:3], s[4:5], v[0:1]
	s_delay_alu instid0(VALU_DEP_2)
	v_min_i16 v1, v4, v5
	s_cbranch_scc1 .LBB110_3851
; %bb.3774:
	s_and_b32 s2, 0xffff, s20
	s_mov_b32 s7, -1
	s_mov_b32 s3, 0
	s_cmp_gt_i32 s2, 25
	s_mov_b32 s6, 0
	s_mov_b32 s0, 0
	s_cbranch_scc0 .LBB110_3807
; %bb.3775:
	s_cmp_gt_i32 s2, 28
	s_cbranch_scc0 .LBB110_3790
; %bb.3776:
	s_cmp_gt_i32 s2, 43
	;; [unrolled: 3-line block ×3, first 2 shown]
	s_cbranch_scc0 .LBB110_3780
; %bb.3778:
	s_mov_b32 s0, -1
	s_mov_b32 s7, 0
	s_cmp_eq_u32 s2, 46
	s_cbranch_scc0 .LBB110_3780
; %bb.3779:
	v_bfe_i32 v4, v1, 0, 16
	s_mov_b32 s0, 0
	s_mov_b32 s6, -1
	s_delay_alu instid0(VALU_DEP_1) | instskip(NEXT) | instid1(VALU_DEP_1)
	v_cvt_f32_i32_e32 v4, v4
	v_bfe_u32 v5, v4, 16, 1
	s_delay_alu instid0(VALU_DEP_1) | instskip(NEXT) | instid1(VALU_DEP_1)
	v_add3_u32 v4, v4, v5, 0x7fff
	v_lshrrev_b32_e32 v4, 16, v4
	global_store_b32 v[2:3], v4, off
.LBB110_3780:
	s_and_b32 vcc_lo, exec_lo, s7
	s_cbranch_vccz .LBB110_3785
; %bb.3781:
	s_cmp_eq_u32 s2, 44
	s_mov_b32 s0, -1
	s_cbranch_scc0 .LBB110_3785
; %bb.3782:
	s_wait_xcnt 0x0
	v_bfe_i32 v4, v1, 0, 16
	v_mov_b32_e32 v5, 0xff
	s_mov_b32 s6, exec_lo
	s_delay_alu instid0(VALU_DEP_2) | instskip(NEXT) | instid1(VALU_DEP_1)
	v_cvt_f32_i32_e32 v4, v4
	v_bfe_u32 v6, v4, 23, 8
	s_delay_alu instid0(VALU_DEP_1)
	v_cmpx_ne_u32_e32 0xff, v6
	s_cbranch_execz .LBB110_3784
; %bb.3783:
	v_and_b32_e32 v5, 0x400000, v4
	v_and_or_b32 v6, 0x3fffff, v4, v6
	v_lshrrev_b32_e32 v4, 23, v4
	s_delay_alu instid0(VALU_DEP_3) | instskip(NEXT) | instid1(VALU_DEP_3)
	v_cmp_ne_u32_e32 vcc_lo, 0, v5
	v_cmp_ne_u32_e64 s0, 0, v6
	s_and_b32 s0, vcc_lo, s0
	s_delay_alu instid0(SALU_CYCLE_1) | instskip(NEXT) | instid1(VALU_DEP_1)
	v_cndmask_b32_e64 v5, 0, 1, s0
	v_add_nc_u32_e32 v5, v4, v5
.LBB110_3784:
	s_or_b32 exec_lo, exec_lo, s6
	s_mov_b32 s0, 0
	s_mov_b32 s6, -1
	global_store_b8 v[2:3], v5, off
.LBB110_3785:
	s_mov_b32 s7, 0
.LBB110_3786:
	s_delay_alu instid0(SALU_CYCLE_1)
	s_and_b32 vcc_lo, exec_lo, s7
	s_cbranch_vccz .LBB110_3789
; %bb.3787:
	s_cmp_eq_u32 s2, 29
	s_mov_b32 s0, -1
	s_cbranch_scc0 .LBB110_3789
; %bb.3788:
	s_wait_xcnt 0x0
	v_bfe_i32 v4, v1, 0, 16
	s_mov_b32 s0, 0
	s_mov_b32 s6, -1
	s_delay_alu instid0(VALU_DEP_1)
	v_ashrrev_i32_e32 v5, 31, v4
	global_store_b64 v[2:3], v[4:5], off
.LBB110_3789:
	s_mov_b32 s7, 0
.LBB110_3790:
	s_delay_alu instid0(SALU_CYCLE_1)
	s_and_b32 vcc_lo, exec_lo, s7
	s_cbranch_vccz .LBB110_3806
; %bb.3791:
	s_cmp_lt_i32 s2, 27
	s_mov_b32 s6, -1
	s_cbranch_scc1 .LBB110_3797
; %bb.3792:
	s_cmp_gt_i32 s2, 27
	s_cbranch_scc0 .LBB110_3794
; %bb.3793:
	s_wait_xcnt 0x0
	v_bfe_i32 v4, v1, 0, 16
	s_mov_b32 s6, 0
	global_store_b32 v[2:3], v4, off
.LBB110_3794:
	s_and_not1_b32 vcc_lo, exec_lo, s6
	s_cbranch_vccnz .LBB110_3796
; %bb.3795:
	global_store_b16 v[2:3], v1, off
.LBB110_3796:
	s_mov_b32 s6, 0
.LBB110_3797:
	s_delay_alu instid0(SALU_CYCLE_1)
	s_and_not1_b32 vcc_lo, exec_lo, s6
	s_cbranch_vccnz .LBB110_3805
; %bb.3798:
	s_wait_xcnt 0x0
	v_bfe_i32 v4, v1, 0, 16
	v_mov_b32_e32 v6, 0x80
	s_mov_b32 s6, exec_lo
	s_delay_alu instid0(VALU_DEP_2) | instskip(NEXT) | instid1(VALU_DEP_1)
	v_cvt_f32_i32_e32 v4, v4
	v_and_b32_e32 v5, 0x7fffffff, v4
	s_delay_alu instid0(VALU_DEP_1)
	v_cmpx_gt_u32_e32 0x43800000, v5
	s_cbranch_execz .LBB110_3804
; %bb.3799:
	v_cmp_lt_u32_e32 vcc_lo, 0x3bffffff, v5
	s_mov_b32 s7, 0
                                        ; implicit-def: $vgpr5
	s_and_saveexec_b32 s8, vcc_lo
	s_delay_alu instid0(SALU_CYCLE_1)
	s_xor_b32 s8, exec_lo, s8
	s_cbranch_execz .LBB110_4025
; %bb.3800:
	v_bfe_u32 v5, v4, 20, 1
	s_mov_b32 s7, exec_lo
	s_delay_alu instid0(VALU_DEP_1) | instskip(NEXT) | instid1(VALU_DEP_1)
	v_add3_u32 v5, v4, v5, 0x487ffff
	v_lshrrev_b32_e32 v5, 20, v5
	s_and_not1_saveexec_b32 s8, s8
	s_cbranch_execnz .LBB110_4026
.LBB110_3801:
	s_or_b32 exec_lo, exec_lo, s8
	v_mov_b32_e32 v6, 0
	s_and_saveexec_b32 s8, s7
.LBB110_3802:
	v_lshrrev_b32_e32 v4, 24, v4
	s_delay_alu instid0(VALU_DEP_1)
	v_and_or_b32 v6, 0x80, v4, v5
.LBB110_3803:
	s_or_b32 exec_lo, exec_lo, s8
.LBB110_3804:
	s_delay_alu instid0(SALU_CYCLE_1)
	s_or_b32 exec_lo, exec_lo, s6
	global_store_b8 v[2:3], v6, off
.LBB110_3805:
	s_mov_b32 s6, -1
.LBB110_3806:
	s_mov_b32 s7, 0
.LBB110_3807:
	s_delay_alu instid0(SALU_CYCLE_1)
	s_and_b32 vcc_lo, exec_lo, s7
	s_cbranch_vccz .LBB110_3847
; %bb.3808:
	s_cmp_gt_i32 s2, 22
	s_mov_b32 s3, -1
	s_cbranch_scc0 .LBB110_3840
; %bb.3809:
	s_cmp_lt_i32 s2, 24
	s_cbranch_scc1 .LBB110_3829
; %bb.3810:
	s_cmp_gt_i32 s2, 24
	s_cbranch_scc0 .LBB110_3818
; %bb.3811:
	s_wait_xcnt 0x0
	v_bfe_i32 v4, v1, 0, 16
	v_mov_b32_e32 v6, 0x80
	s_mov_b32 s3, exec_lo
	s_delay_alu instid0(VALU_DEP_2) | instskip(NEXT) | instid1(VALU_DEP_1)
	v_cvt_f32_i32_e32 v4, v4
	v_and_b32_e32 v5, 0x7fffffff, v4
	s_delay_alu instid0(VALU_DEP_1)
	v_cmpx_gt_u32_e32 0x47800000, v5
	s_cbranch_execz .LBB110_3817
; %bb.3812:
	v_cmp_lt_u32_e32 vcc_lo, 0x37ffffff, v5
	s_mov_b32 s6, 0
                                        ; implicit-def: $vgpr5
	s_and_saveexec_b32 s7, vcc_lo
	s_delay_alu instid0(SALU_CYCLE_1)
	s_xor_b32 s7, exec_lo, s7
	s_cbranch_execz .LBB110_4028
; %bb.3813:
	v_bfe_u32 v5, v4, 21, 1
	s_mov_b32 s6, exec_lo
	s_delay_alu instid0(VALU_DEP_1) | instskip(NEXT) | instid1(VALU_DEP_1)
	v_add3_u32 v5, v4, v5, 0x88fffff
	v_lshrrev_b32_e32 v5, 21, v5
	s_and_not1_saveexec_b32 s7, s7
	s_cbranch_execnz .LBB110_4029
.LBB110_3814:
	s_or_b32 exec_lo, exec_lo, s7
	v_mov_b32_e32 v6, 0
	s_and_saveexec_b32 s7, s6
.LBB110_3815:
	v_lshrrev_b32_e32 v4, 24, v4
	s_delay_alu instid0(VALU_DEP_1)
	v_and_or_b32 v6, 0x80, v4, v5
.LBB110_3816:
	s_or_b32 exec_lo, exec_lo, s7
.LBB110_3817:
	s_delay_alu instid0(SALU_CYCLE_1)
	s_or_b32 exec_lo, exec_lo, s3
	s_mov_b32 s3, 0
	global_store_b8 v[2:3], v6, off
.LBB110_3818:
	s_and_b32 vcc_lo, exec_lo, s3
	s_cbranch_vccz .LBB110_3828
; %bb.3819:
	s_wait_xcnt 0x0
	v_bfe_i32 v4, v1, 0, 16
	s_mov_b32 s3, exec_lo
                                        ; implicit-def: $vgpr5
	s_delay_alu instid0(VALU_DEP_1) | instskip(NEXT) | instid1(VALU_DEP_1)
	v_cvt_f32_i32_e32 v4, v4
	v_and_b32_e32 v6, 0x7fffffff, v4
	s_delay_alu instid0(VALU_DEP_1)
	v_cmpx_gt_u32_e32 0x43f00000, v6
	s_xor_b32 s3, exec_lo, s3
	s_cbranch_execz .LBB110_3825
; %bb.3820:
	s_mov_b32 s6, exec_lo
                                        ; implicit-def: $vgpr5
	v_cmpx_lt_u32_e32 0x3c7fffff, v6
	s_xor_b32 s6, exec_lo, s6
; %bb.3821:
	v_bfe_u32 v5, v4, 20, 1
	s_delay_alu instid0(VALU_DEP_1) | instskip(NEXT) | instid1(VALU_DEP_1)
	v_add3_u32 v5, v4, v5, 0x407ffff
	v_and_b32_e32 v6, 0xff00000, v5
	v_lshrrev_b32_e32 v5, 20, v5
	s_delay_alu instid0(VALU_DEP_2) | instskip(NEXT) | instid1(VALU_DEP_2)
	v_cmp_ne_u32_e32 vcc_lo, 0x7f00000, v6
	v_cndmask_b32_e32 v5, 0x7e, v5, vcc_lo
; %bb.3822:
	s_and_not1_saveexec_b32 s6, s6
; %bb.3823:
	v_add_f32_e64 v5, 0x46800000, |v4|
; %bb.3824:
	s_or_b32 exec_lo, exec_lo, s6
                                        ; implicit-def: $vgpr6
.LBB110_3825:
	s_and_not1_saveexec_b32 s3, s3
; %bb.3826:
	v_mov_b32_e32 v5, 0x7f
	v_cmp_lt_u32_e32 vcc_lo, 0x7f800000, v6
	s_delay_alu instid0(VALU_DEP_2)
	v_cndmask_b32_e32 v5, 0x7e, v5, vcc_lo
; %bb.3827:
	s_or_b32 exec_lo, exec_lo, s3
	v_lshrrev_b32_e32 v4, 24, v4
	s_delay_alu instid0(VALU_DEP_1)
	v_and_or_b32 v4, 0x80, v4, v5
	global_store_b8 v[2:3], v4, off
.LBB110_3828:
	s_mov_b32 s3, 0
.LBB110_3829:
	s_delay_alu instid0(SALU_CYCLE_1)
	s_and_not1_b32 vcc_lo, exec_lo, s3
	s_cbranch_vccnz .LBB110_3839
; %bb.3830:
	s_wait_xcnt 0x0
	v_bfe_i32 v4, v1, 0, 16
	s_mov_b32 s3, exec_lo
                                        ; implicit-def: $vgpr5
	s_delay_alu instid0(VALU_DEP_1) | instskip(NEXT) | instid1(VALU_DEP_1)
	v_cvt_f32_i32_e32 v4, v4
	v_and_b32_e32 v6, 0x7fffffff, v4
	s_delay_alu instid0(VALU_DEP_1)
	v_cmpx_gt_u32_e32 0x47800000, v6
	s_xor_b32 s3, exec_lo, s3
	s_cbranch_execz .LBB110_3836
; %bb.3831:
	s_mov_b32 s6, exec_lo
                                        ; implicit-def: $vgpr5
	v_cmpx_lt_u32_e32 0x387fffff, v6
	s_xor_b32 s6, exec_lo, s6
; %bb.3832:
	v_bfe_u32 v5, v4, 21, 1
	s_delay_alu instid0(VALU_DEP_1) | instskip(NEXT) | instid1(VALU_DEP_1)
	v_add3_u32 v5, v4, v5, 0x80fffff
	v_lshrrev_b32_e32 v5, 21, v5
; %bb.3833:
	s_and_not1_saveexec_b32 s6, s6
; %bb.3834:
	v_add_f32_e64 v5, 0x43000000, |v4|
; %bb.3835:
	s_or_b32 exec_lo, exec_lo, s6
                                        ; implicit-def: $vgpr6
.LBB110_3836:
	s_and_not1_saveexec_b32 s3, s3
; %bb.3837:
	v_mov_b32_e32 v5, 0x7f
	v_cmp_lt_u32_e32 vcc_lo, 0x7f800000, v6
	s_delay_alu instid0(VALU_DEP_2)
	v_cndmask_b32_e32 v5, 0x7c, v5, vcc_lo
; %bb.3838:
	s_or_b32 exec_lo, exec_lo, s3
	v_lshrrev_b32_e32 v4, 24, v4
	s_delay_alu instid0(VALU_DEP_1)
	v_and_or_b32 v4, 0x80, v4, v5
	global_store_b8 v[2:3], v4, off
.LBB110_3839:
	s_mov_b32 s3, 0
	s_mov_b32 s6, -1
.LBB110_3840:
	s_and_not1_b32 vcc_lo, exec_lo, s3
	s_mov_b32 s3, 0
	s_cbranch_vccnz .LBB110_3847
; %bb.3841:
	s_cmp_gt_i32 s2, 14
	s_mov_b32 s3, -1
	s_cbranch_scc0 .LBB110_3845
; %bb.3842:
	s_cmp_eq_u32 s2, 15
	s_mov_b32 s0, -1
	s_cbranch_scc0 .LBB110_3844
; %bb.3843:
	s_wait_xcnt 0x0
	v_bfe_i32 v4, v1, 0, 16
	s_mov_b32 s0, 0
	s_mov_b32 s6, -1
	s_delay_alu instid0(VALU_DEP_1) | instskip(NEXT) | instid1(VALU_DEP_1)
	v_cvt_f32_i32_e32 v4, v4
	v_bfe_u32 v5, v4, 16, 1
	s_delay_alu instid0(VALU_DEP_1)
	v_add3_u32 v4, v4, v5, 0x7fff
	global_store_d16_hi_b16 v[2:3], v4, off
.LBB110_3844:
	s_mov_b32 s3, 0
.LBB110_3845:
	s_delay_alu instid0(SALU_CYCLE_1)
	s_and_b32 vcc_lo, exec_lo, s3
	s_mov_b32 s3, 0
	s_cbranch_vccz .LBB110_3847
; %bb.3846:
	s_cmp_lg_u32 s2, 11
	s_mov_b32 s3, -1
	s_cselect_b32 s0, -1, 0
.LBB110_3847:
	s_delay_alu instid0(SALU_CYCLE_1)
	s_and_b32 vcc_lo, exec_lo, s0
	s_cbranch_vccnz .LBB110_4027
; %bb.3848:
	s_and_not1_b32 vcc_lo, exec_lo, s3
	s_cbranch_vccnz .LBB110_3850
.LBB110_3849:
	v_cmp_ne_u16_e32 vcc_lo, 0, v1
	s_mov_b32 s6, -1
	s_wait_xcnt 0x0
	v_cndmask_b32_e64 v4, 0, 1, vcc_lo
	global_store_b8 v[2:3], v4, off
.LBB110_3850:
	s_mov_b32 s0, 0
	s_branch .LBB110_3852
.LBB110_3851:
	s_mov_b32 s0, -1
	s_mov_b32 s6, 0
.LBB110_3852:
	s_and_b32 vcc_lo, exec_lo, s0
	s_cbranch_vccz .LBB110_3891
; %bb.3853:
	s_and_b32 s0, 0xffff, s20
	s_mov_b32 s2, -1
	s_cmp_lt_i32 s0, 5
	s_cbranch_scc1 .LBB110_3874
; %bb.3854:
	s_cmp_lt_i32 s0, 8
	s_cbranch_scc1 .LBB110_3864
; %bb.3855:
	;; [unrolled: 3-line block ×3, first 2 shown]
	s_cmp_gt_i32 s0, 9
	s_cbranch_scc0 .LBB110_3858
; %bb.3857:
	s_wait_xcnt 0x0
	v_bfe_i32 v4, v1, 0, 16
	v_mov_b32_e32 v6, 0
	s_mov_b32 s2, 0
	s_delay_alu instid0(VALU_DEP_2) | instskip(NEXT) | instid1(VALU_DEP_2)
	v_cvt_f64_i32_e32 v[4:5], v4
	v_mov_b32_e32 v7, v6
	global_store_b128 v[2:3], v[4:7], off
.LBB110_3858:
	s_and_not1_b32 vcc_lo, exec_lo, s2
	s_cbranch_vccnz .LBB110_3860
; %bb.3859:
	s_wait_xcnt 0x0
	v_bfe_i32 v4, v1, 0, 16
	v_mov_b32_e32 v5, 0
	s_delay_alu instid0(VALU_DEP_2)
	v_cvt_f32_i32_e32 v4, v4
	global_store_b64 v[2:3], v[4:5], off
.LBB110_3860:
	s_mov_b32 s2, 0
.LBB110_3861:
	s_delay_alu instid0(SALU_CYCLE_1)
	s_and_not1_b32 vcc_lo, exec_lo, s2
	s_cbranch_vccnz .LBB110_3863
; %bb.3862:
	s_wait_xcnt 0x0
	v_cvt_f16_i16_e32 v4, v1
	s_delay_alu instid0(VALU_DEP_1)
	v_and_b32_e32 v4, 0xffff, v4
	global_store_b32 v[2:3], v4, off
.LBB110_3863:
	s_mov_b32 s2, 0
.LBB110_3864:
	s_delay_alu instid0(SALU_CYCLE_1)
	s_and_not1_b32 vcc_lo, exec_lo, s2
	s_cbranch_vccnz .LBB110_3873
; %bb.3865:
	s_cmp_lt_i32 s0, 6
	s_mov_b32 s2, -1
	s_cbranch_scc1 .LBB110_3871
; %bb.3866:
	s_cmp_gt_i32 s0, 6
	s_cbranch_scc0 .LBB110_3868
; %bb.3867:
	s_wait_xcnt 0x0
	v_bfe_i32 v4, v1, 0, 16
	s_mov_b32 s2, 0
	s_delay_alu instid0(VALU_DEP_1)
	v_cvt_f64_i32_e32 v[4:5], v4
	global_store_b64 v[2:3], v[4:5], off
.LBB110_3868:
	s_and_not1_b32 vcc_lo, exec_lo, s2
	s_cbranch_vccnz .LBB110_3870
; %bb.3869:
	s_wait_xcnt 0x0
	v_bfe_i32 v4, v1, 0, 16
	s_delay_alu instid0(VALU_DEP_1)
	v_cvt_f32_i32_e32 v4, v4
	global_store_b32 v[2:3], v4, off
.LBB110_3870:
	s_mov_b32 s2, 0
.LBB110_3871:
	s_delay_alu instid0(SALU_CYCLE_1)
	s_and_not1_b32 vcc_lo, exec_lo, s2
	s_cbranch_vccnz .LBB110_3873
; %bb.3872:
	s_wait_xcnt 0x0
	v_cvt_f16_i16_e32 v4, v1
	global_store_b16 v[2:3], v4, off
.LBB110_3873:
	s_mov_b32 s2, 0
.LBB110_3874:
	s_delay_alu instid0(SALU_CYCLE_1)
	s_and_not1_b32 vcc_lo, exec_lo, s2
	s_cbranch_vccnz .LBB110_3890
; %bb.3875:
	s_cmp_lt_i32 s0, 2
	s_mov_b32 s2, -1
	s_cbranch_scc1 .LBB110_3885
; %bb.3876:
	s_cmp_lt_i32 s0, 3
	s_cbranch_scc1 .LBB110_3882
; %bb.3877:
	s_wait_xcnt 0x0
	v_bfe_i32 v4, v1, 0, 16
	s_cmp_gt_i32 s0, 3
	s_cbranch_scc0 .LBB110_3879
; %bb.3878:
	s_delay_alu instid0(VALU_DEP_1)
	v_ashrrev_i32_e32 v5, 31, v4
	s_mov_b32 s2, 0
	global_store_b64 v[2:3], v[4:5], off
.LBB110_3879:
	s_and_not1_b32 vcc_lo, exec_lo, s2
	s_cbranch_vccnz .LBB110_3881
; %bb.3880:
	global_store_b32 v[2:3], v4, off
.LBB110_3881:
	s_mov_b32 s2, 0
.LBB110_3882:
	s_delay_alu instid0(SALU_CYCLE_1)
	s_and_not1_b32 vcc_lo, exec_lo, s2
	s_cbranch_vccnz .LBB110_3884
; %bb.3883:
	global_store_b16 v[2:3], v1, off
.LBB110_3884:
	s_mov_b32 s2, 0
.LBB110_3885:
	s_delay_alu instid0(SALU_CYCLE_1)
	s_and_not1_b32 vcc_lo, exec_lo, s2
	s_cbranch_vccnz .LBB110_3890
; %bb.3886:
	s_cmp_gt_i32 s0, 0
	s_mov_b32 s0, -1
	s_cbranch_scc0 .LBB110_3888
; %bb.3887:
	s_mov_b32 s0, 0
	global_store_b8 v[2:3], v1, off
.LBB110_3888:
	s_and_not1_b32 vcc_lo, exec_lo, s0
	s_cbranch_vccnz .LBB110_3890
; %bb.3889:
	global_store_b8 v[2:3], v1, off
.LBB110_3890:
	s_mov_b32 s6, -1
.LBB110_3891:
	s_delay_alu instid0(SALU_CYCLE_1)
	s_and_not1_b32 vcc_lo, exec_lo, s6
	s_cbranch_vccnz .LBB110_3968
; %bb.3892:
	v_add_nc_u32_e32 v0, s1, v0
	s_wait_xcnt 0x0
	v_bfe_i32 v2, v20, 0, 8
	v_bfe_i32 v3, v16, 0, 8
	s_cmp_lt_i32 s20, 11
	v_ashrrev_i32_e32 v1, 31, v0
	s_delay_alu instid0(VALU_DEP_2) | instskip(SKIP_1) | instid1(VALU_DEP_3)
	v_max_i16 v2, v3, v2
	v_bfe_i32 v3, v22, 0, 8
	v_add_nc_u64_e32 v[0:1], s[4:5], v[0:1]
	s_delay_alu instid0(VALU_DEP_2)
	v_min_i16 v4, v2, v3
	s_cbranch_scc1 .LBB110_4013
; %bb.3893:
	s_and_b32 s2, 0xffff, s20
	s_mov_b32 s3, -1
	s_mov_b32 s1, 0
	s_cmp_gt_i32 s2, 25
	s_mov_b32 s0, 0
	s_cbranch_scc0 .LBB110_3926
; %bb.3894:
	s_cmp_gt_i32 s2, 28
	s_cbranch_scc0 .LBB110_3910
; %bb.3895:
	s_cmp_gt_i32 s2, 43
	;; [unrolled: 3-line block ×3, first 2 shown]
	s_cbranch_scc0 .LBB110_3900
; %bb.3897:
	s_cmp_eq_u32 s2, 46
	s_mov_b32 s0, -1
	s_cbranch_scc0 .LBB110_3899
; %bb.3898:
	v_bfe_i32 v2, v4, 0, 16
	s_mov_b32 s0, 0
	s_delay_alu instid0(VALU_DEP_1) | instskip(NEXT) | instid1(VALU_DEP_1)
	v_cvt_f32_i32_e32 v2, v2
	v_bfe_u32 v3, v2, 16, 1
	s_delay_alu instid0(VALU_DEP_1) | instskip(NEXT) | instid1(VALU_DEP_1)
	v_add3_u32 v2, v2, v3, 0x7fff
	v_lshrrev_b32_e32 v2, 16, v2
	global_store_b32 v[0:1], v2, off
.LBB110_3899:
	s_mov_b32 s3, 0
.LBB110_3900:
	s_delay_alu instid0(SALU_CYCLE_1)
	s_and_b32 vcc_lo, exec_lo, s3
	s_cbranch_vccz .LBB110_3905
; %bb.3901:
	s_cmp_eq_u32 s2, 44
	s_mov_b32 s0, -1
	s_cbranch_scc0 .LBB110_3905
; %bb.3902:
	s_wait_xcnt 0x0
	v_bfe_i32 v2, v4, 0, 16
	v_mov_b32_e32 v3, 0xff
	s_mov_b32 s3, exec_lo
	s_delay_alu instid0(VALU_DEP_2) | instskip(NEXT) | instid1(VALU_DEP_1)
	v_cvt_f32_i32_e32 v2, v2
	v_bfe_u32 v5, v2, 23, 8
	s_delay_alu instid0(VALU_DEP_1)
	v_cmpx_ne_u32_e32 0xff, v5
	s_cbranch_execz .LBB110_3904
; %bb.3903:
	v_and_b32_e32 v3, 0x400000, v2
	v_and_or_b32 v5, 0x3fffff, v2, v5
	v_lshrrev_b32_e32 v2, 23, v2
	s_delay_alu instid0(VALU_DEP_3) | instskip(NEXT) | instid1(VALU_DEP_3)
	v_cmp_ne_u32_e32 vcc_lo, 0, v3
	v_cmp_ne_u32_e64 s0, 0, v5
	s_and_b32 s0, vcc_lo, s0
	s_delay_alu instid0(SALU_CYCLE_1) | instskip(NEXT) | instid1(VALU_DEP_1)
	v_cndmask_b32_e64 v3, 0, 1, s0
	v_add_nc_u32_e32 v3, v2, v3
.LBB110_3904:
	s_or_b32 exec_lo, exec_lo, s3
	s_mov_b32 s0, 0
	global_store_b8 v[0:1], v3, off
.LBB110_3905:
	s_mov_b32 s3, 0
.LBB110_3906:
	s_delay_alu instid0(SALU_CYCLE_1)
	s_and_b32 vcc_lo, exec_lo, s3
	s_cbranch_vccz .LBB110_3909
; %bb.3907:
	s_cmp_eq_u32 s2, 29
	s_mov_b32 s0, -1
	s_cbranch_scc0 .LBB110_3909
; %bb.3908:
	s_wait_xcnt 0x0
	v_bfe_i32 v2, v4, 0, 16
	s_mov_b32 s0, 0
	s_delay_alu instid0(VALU_DEP_1)
	v_ashrrev_i32_e32 v3, 31, v2
	global_store_b64 v[0:1], v[2:3], off
.LBB110_3909:
	s_mov_b32 s3, 0
.LBB110_3910:
	s_delay_alu instid0(SALU_CYCLE_1)
	s_and_b32 vcc_lo, exec_lo, s3
	s_cbranch_vccz .LBB110_3925
; %bb.3911:
	s_cmp_lt_i32 s2, 27
	s_mov_b32 s3, -1
	s_cbranch_scc1 .LBB110_3917
; %bb.3912:
	s_cmp_gt_i32 s2, 27
	s_cbranch_scc0 .LBB110_3914
; %bb.3913:
	s_wait_xcnt 0x0
	v_bfe_i32 v2, v4, 0, 16
	s_mov_b32 s3, 0
	global_store_b32 v[0:1], v2, off
.LBB110_3914:
	s_and_not1_b32 vcc_lo, exec_lo, s3
	s_cbranch_vccnz .LBB110_3916
; %bb.3915:
	global_store_b16 v[0:1], v4, off
.LBB110_3916:
	s_mov_b32 s3, 0
.LBB110_3917:
	s_delay_alu instid0(SALU_CYCLE_1)
	s_and_not1_b32 vcc_lo, exec_lo, s3
	s_cbranch_vccnz .LBB110_3925
; %bb.3918:
	s_wait_xcnt 0x0
	v_bfe_i32 v2, v4, 0, 16
	v_mov_b32_e32 v5, 0x80
	s_mov_b32 s3, exec_lo
	s_delay_alu instid0(VALU_DEP_2) | instskip(NEXT) | instid1(VALU_DEP_1)
	v_cvt_f32_i32_e32 v2, v2
	v_and_b32_e32 v3, 0x7fffffff, v2
	s_delay_alu instid0(VALU_DEP_1)
	v_cmpx_gt_u32_e32 0x43800000, v3
	s_cbranch_execz .LBB110_3924
; %bb.3919:
	v_cmp_lt_u32_e32 vcc_lo, 0x3bffffff, v3
	s_mov_b32 s4, 0
                                        ; implicit-def: $vgpr3
	s_and_saveexec_b32 s5, vcc_lo
	s_delay_alu instid0(SALU_CYCLE_1)
	s_xor_b32 s5, exec_lo, s5
	s_cbranch_execz .LBB110_4030
; %bb.3920:
	v_bfe_u32 v3, v2, 20, 1
	s_mov_b32 s4, exec_lo
	s_delay_alu instid0(VALU_DEP_1) | instskip(NEXT) | instid1(VALU_DEP_1)
	v_add3_u32 v3, v2, v3, 0x487ffff
	v_lshrrev_b32_e32 v3, 20, v3
	s_and_not1_saveexec_b32 s5, s5
	s_cbranch_execnz .LBB110_4031
.LBB110_3921:
	s_or_b32 exec_lo, exec_lo, s5
	v_mov_b32_e32 v5, 0
	s_and_saveexec_b32 s5, s4
.LBB110_3922:
	v_lshrrev_b32_e32 v2, 24, v2
	s_delay_alu instid0(VALU_DEP_1)
	v_and_or_b32 v5, 0x80, v2, v3
.LBB110_3923:
	s_or_b32 exec_lo, exec_lo, s5
.LBB110_3924:
	s_delay_alu instid0(SALU_CYCLE_1)
	s_or_b32 exec_lo, exec_lo, s3
	global_store_b8 v[0:1], v5, off
.LBB110_3925:
	s_mov_b32 s3, 0
.LBB110_3926:
	s_delay_alu instid0(SALU_CYCLE_1)
	s_and_b32 vcc_lo, exec_lo, s3
	s_cbranch_vccz .LBB110_3966
; %bb.3927:
	s_cmp_gt_i32 s2, 22
	s_mov_b32 s1, -1
	s_cbranch_scc0 .LBB110_3959
; %bb.3928:
	s_cmp_lt_i32 s2, 24
	s_cbranch_scc1 .LBB110_3948
; %bb.3929:
	s_cmp_gt_i32 s2, 24
	s_cbranch_scc0 .LBB110_3937
; %bb.3930:
	s_wait_xcnt 0x0
	v_bfe_i32 v2, v4, 0, 16
	v_mov_b32_e32 v5, 0x80
	s_mov_b32 s1, exec_lo
	s_delay_alu instid0(VALU_DEP_2) | instskip(NEXT) | instid1(VALU_DEP_1)
	v_cvt_f32_i32_e32 v2, v2
	v_and_b32_e32 v3, 0x7fffffff, v2
	s_delay_alu instid0(VALU_DEP_1)
	v_cmpx_gt_u32_e32 0x47800000, v3
	s_cbranch_execz .LBB110_3936
; %bb.3931:
	v_cmp_lt_u32_e32 vcc_lo, 0x37ffffff, v3
	s_mov_b32 s3, 0
                                        ; implicit-def: $vgpr3
	s_and_saveexec_b32 s4, vcc_lo
	s_delay_alu instid0(SALU_CYCLE_1)
	s_xor_b32 s4, exec_lo, s4
	s_cbranch_execz .LBB110_4033
; %bb.3932:
	v_bfe_u32 v3, v2, 21, 1
	s_mov_b32 s3, exec_lo
	s_delay_alu instid0(VALU_DEP_1) | instskip(NEXT) | instid1(VALU_DEP_1)
	v_add3_u32 v3, v2, v3, 0x88fffff
	v_lshrrev_b32_e32 v3, 21, v3
	s_and_not1_saveexec_b32 s4, s4
	s_cbranch_execnz .LBB110_4034
.LBB110_3933:
	s_or_b32 exec_lo, exec_lo, s4
	v_mov_b32_e32 v5, 0
	s_and_saveexec_b32 s4, s3
.LBB110_3934:
	v_lshrrev_b32_e32 v2, 24, v2
	s_delay_alu instid0(VALU_DEP_1)
	v_and_or_b32 v5, 0x80, v2, v3
.LBB110_3935:
	s_or_b32 exec_lo, exec_lo, s4
.LBB110_3936:
	s_delay_alu instid0(SALU_CYCLE_1)
	s_or_b32 exec_lo, exec_lo, s1
	s_mov_b32 s1, 0
	global_store_b8 v[0:1], v5, off
.LBB110_3937:
	s_and_b32 vcc_lo, exec_lo, s1
	s_cbranch_vccz .LBB110_3947
; %bb.3938:
	s_wait_xcnt 0x0
	v_bfe_i32 v2, v4, 0, 16
	s_mov_b32 s1, exec_lo
                                        ; implicit-def: $vgpr3
	s_delay_alu instid0(VALU_DEP_1) | instskip(NEXT) | instid1(VALU_DEP_1)
	v_cvt_f32_i32_e32 v2, v2
	v_and_b32_e32 v5, 0x7fffffff, v2
	s_delay_alu instid0(VALU_DEP_1)
	v_cmpx_gt_u32_e32 0x43f00000, v5
	s_xor_b32 s1, exec_lo, s1
	s_cbranch_execz .LBB110_3944
; %bb.3939:
	s_mov_b32 s3, exec_lo
                                        ; implicit-def: $vgpr3
	v_cmpx_lt_u32_e32 0x3c7fffff, v5
	s_xor_b32 s3, exec_lo, s3
; %bb.3940:
	v_bfe_u32 v3, v2, 20, 1
	s_delay_alu instid0(VALU_DEP_1) | instskip(NEXT) | instid1(VALU_DEP_1)
	v_add3_u32 v3, v2, v3, 0x407ffff
	v_and_b32_e32 v5, 0xff00000, v3
	v_lshrrev_b32_e32 v3, 20, v3
	s_delay_alu instid0(VALU_DEP_2) | instskip(NEXT) | instid1(VALU_DEP_2)
	v_cmp_ne_u32_e32 vcc_lo, 0x7f00000, v5
	v_cndmask_b32_e32 v3, 0x7e, v3, vcc_lo
; %bb.3941:
	s_and_not1_saveexec_b32 s3, s3
; %bb.3942:
	v_add_f32_e64 v3, 0x46800000, |v2|
; %bb.3943:
	s_or_b32 exec_lo, exec_lo, s3
                                        ; implicit-def: $vgpr5
.LBB110_3944:
	s_and_not1_saveexec_b32 s1, s1
; %bb.3945:
	v_mov_b32_e32 v3, 0x7f
	v_cmp_lt_u32_e32 vcc_lo, 0x7f800000, v5
	s_delay_alu instid0(VALU_DEP_2)
	v_cndmask_b32_e32 v3, 0x7e, v3, vcc_lo
; %bb.3946:
	s_or_b32 exec_lo, exec_lo, s1
	v_lshrrev_b32_e32 v2, 24, v2
	s_delay_alu instid0(VALU_DEP_1)
	v_and_or_b32 v2, 0x80, v2, v3
	global_store_b8 v[0:1], v2, off
.LBB110_3947:
	s_mov_b32 s1, 0
.LBB110_3948:
	s_delay_alu instid0(SALU_CYCLE_1)
	s_and_not1_b32 vcc_lo, exec_lo, s1
	s_cbranch_vccnz .LBB110_3958
; %bb.3949:
	s_wait_xcnt 0x0
	v_bfe_i32 v2, v4, 0, 16
	s_mov_b32 s1, exec_lo
                                        ; implicit-def: $vgpr3
	s_delay_alu instid0(VALU_DEP_1) | instskip(NEXT) | instid1(VALU_DEP_1)
	v_cvt_f32_i32_e32 v2, v2
	v_and_b32_e32 v5, 0x7fffffff, v2
	s_delay_alu instid0(VALU_DEP_1)
	v_cmpx_gt_u32_e32 0x47800000, v5
	s_xor_b32 s1, exec_lo, s1
	s_cbranch_execz .LBB110_3955
; %bb.3950:
	s_mov_b32 s3, exec_lo
                                        ; implicit-def: $vgpr3
	v_cmpx_lt_u32_e32 0x387fffff, v5
	s_xor_b32 s3, exec_lo, s3
; %bb.3951:
	v_bfe_u32 v3, v2, 21, 1
	s_delay_alu instid0(VALU_DEP_1) | instskip(NEXT) | instid1(VALU_DEP_1)
	v_add3_u32 v3, v2, v3, 0x80fffff
	v_lshrrev_b32_e32 v3, 21, v3
; %bb.3952:
	s_and_not1_saveexec_b32 s3, s3
; %bb.3953:
	v_add_f32_e64 v3, 0x43000000, |v2|
; %bb.3954:
	s_or_b32 exec_lo, exec_lo, s3
                                        ; implicit-def: $vgpr5
.LBB110_3955:
	s_and_not1_saveexec_b32 s1, s1
; %bb.3956:
	v_mov_b32_e32 v3, 0x7f
	v_cmp_lt_u32_e32 vcc_lo, 0x7f800000, v5
	s_delay_alu instid0(VALU_DEP_2)
	v_cndmask_b32_e32 v3, 0x7c, v3, vcc_lo
; %bb.3957:
	s_or_b32 exec_lo, exec_lo, s1
	v_lshrrev_b32_e32 v2, 24, v2
	s_delay_alu instid0(VALU_DEP_1)
	v_and_or_b32 v2, 0x80, v2, v3
	global_store_b8 v[0:1], v2, off
.LBB110_3958:
	s_mov_b32 s1, 0
.LBB110_3959:
	s_delay_alu instid0(SALU_CYCLE_1)
	s_and_not1_b32 vcc_lo, exec_lo, s1
	s_mov_b32 s1, 0
	s_cbranch_vccnz .LBB110_3966
; %bb.3960:
	s_cmp_gt_i32 s2, 14
	s_mov_b32 s1, -1
	s_cbranch_scc0 .LBB110_3964
; %bb.3961:
	s_cmp_eq_u32 s2, 15
	s_mov_b32 s0, -1
	s_cbranch_scc0 .LBB110_3963
; %bb.3962:
	s_wait_xcnt 0x0
	v_bfe_i32 v2, v4, 0, 16
	s_mov_b32 s0, 0
	s_delay_alu instid0(VALU_DEP_1) | instskip(NEXT) | instid1(VALU_DEP_1)
	v_cvt_f32_i32_e32 v2, v2
	v_bfe_u32 v3, v2, 16, 1
	s_delay_alu instid0(VALU_DEP_1)
	v_add3_u32 v2, v2, v3, 0x7fff
	global_store_d16_hi_b16 v[0:1], v2, off
.LBB110_3963:
	s_mov_b32 s1, 0
.LBB110_3964:
	s_delay_alu instid0(SALU_CYCLE_1)
	s_and_b32 vcc_lo, exec_lo, s1
	s_mov_b32 s1, 0
	s_cbranch_vccz .LBB110_3966
; %bb.3965:
	s_cmp_lg_u32 s2, 11
	s_mov_b32 s1, -1
	s_cselect_b32 s0, -1, 0
.LBB110_3966:
	s_delay_alu instid0(SALU_CYCLE_1)
	s_and_b32 vcc_lo, exec_lo, s0
	s_cbranch_vccnz .LBB110_4032
.LBB110_3967:
	s_mov_b32 s0, 0
	s_branch .LBB110_3969
.LBB110_3968:
	s_mov_b32 s0, 0
	s_mov_b32 s1, 0
                                        ; implicit-def: $sgpr20
                                        ; implicit-def: $vgpr0_vgpr1
                                        ; implicit-def: $vgpr4
.LBB110_3969:
	s_and_not1_b32 s2, s19, exec_lo
	s_and_b32 s3, s16, exec_lo
	s_and_b32 s0, s0, exec_lo
	;; [unrolled: 1-line block ×3, first 2 shown]
	s_or_b32 s19, s2, s3
.LBB110_3970:
	s_wait_xcnt 0x0
	s_or_b32 exec_lo, exec_lo, s18
	s_and_saveexec_b32 s1, s19
	s_cbranch_execz .LBB110_3973
; %bb.3971:
	; divergent unreachable
	s_or_b32 exec_lo, exec_lo, s1
	s_and_saveexec_b32 s1, s16
	s_delay_alu instid0(SALU_CYCLE_1)
	s_xor_b32 s1, exec_lo, s1
	s_cbranch_execnz .LBB110_3974
.LBB110_3972:
	s_or_b32 exec_lo, exec_lo, s1
	s_and_saveexec_b32 s1, s0
	s_cbranch_execnz .LBB110_3975
	s_branch .LBB110_4012
.LBB110_3973:
	s_or_b32 exec_lo, exec_lo, s1
	s_and_saveexec_b32 s1, s16
	s_delay_alu instid0(SALU_CYCLE_1)
	s_xor_b32 s1, exec_lo, s1
	s_cbranch_execz .LBB110_3972
.LBB110_3974:
	s_wait_loadcnt 0x0
	s_delay_alu instid0(VALU_DEP_1) | instskip(NEXT) | instid1(VALU_DEP_1)
	v_and_b32_e32 v2, 0xff, v4
	v_cmp_ne_u16_e32 vcc_lo, 0, v2
	v_cndmask_b32_e64 v2, 0, 1, vcc_lo
	global_store_b8 v[0:1], v2, off
	s_wait_xcnt 0x0
	s_or_b32 exec_lo, exec_lo, s1
	s_and_saveexec_b32 s1, s0
	s_cbranch_execz .LBB110_4012
.LBB110_3975:
	s_sext_i32_i16 s1, s20
	s_mov_b32 s0, -1
	s_cmp_lt_i32 s1, 5
	s_cbranch_scc1 .LBB110_3996
; %bb.3976:
	s_cmp_lt_i32 s1, 8
	s_cbranch_scc1 .LBB110_3986
; %bb.3977:
	;; [unrolled: 3-line block ×3, first 2 shown]
	s_wait_loadcnt 0x0
	v_bfe_i32 v2, v4, 0, 8
	s_cmp_gt_i32 s1, 9
	s_delay_alu instid0(VALU_DEP_1)
	v_bfe_i32 v2, v2, 0, 16
	s_cbranch_scc0 .LBB110_3980
; %bb.3979:
	s_delay_alu instid0(VALU_DEP_1) | instskip(SKIP_2) | instid1(VALU_DEP_1)
	v_cvt_f64_i32_e32 v[6:7], v2
	v_mov_b32_e32 v8, 0
	s_mov_b32 s0, 0
	v_mov_b32_e32 v9, v8
	global_store_b128 v[0:1], v[6:9], off
.LBB110_3980:
	s_and_not1_b32 vcc_lo, exec_lo, s0
	s_cbranch_vccnz .LBB110_3982
; %bb.3981:
	s_delay_alu instid0(VALU_DEP_1)
	v_cvt_f32_i32_e32 v2, v2
	v_mov_b32_e32 v3, 0
	global_store_b64 v[0:1], v[2:3], off
.LBB110_3982:
	s_mov_b32 s0, 0
.LBB110_3983:
	s_delay_alu instid0(SALU_CYCLE_1)
	s_and_not1_b32 vcc_lo, exec_lo, s0
	s_cbranch_vccnz .LBB110_3985
; %bb.3984:
	s_wait_loadcnt 0x0
	v_bfe_i32 v2, v4, 0, 8
	s_delay_alu instid0(VALU_DEP_1) | instskip(NEXT) | instid1(VALU_DEP_1)
	v_cvt_f16_i16_e32 v2, v2
	v_and_b32_e32 v2, 0xffff, v2
	global_store_b32 v[0:1], v2, off
.LBB110_3985:
	s_mov_b32 s0, 0
.LBB110_3986:
	s_delay_alu instid0(SALU_CYCLE_1)
	s_and_not1_b32 vcc_lo, exec_lo, s0
	s_cbranch_vccnz .LBB110_3995
; %bb.3987:
	s_sext_i32_i16 s1, s20
	s_mov_b32 s0, -1
	s_cmp_lt_i32 s1, 6
	s_cbranch_scc1 .LBB110_3993
; %bb.3988:
	s_wait_loadcnt 0x0
	v_bfe_i32 v2, v4, 0, 8
	s_cmp_gt_i32 s1, 6
	s_delay_alu instid0(VALU_DEP_1)
	v_bfe_i32 v2, v2, 0, 16
	s_cbranch_scc0 .LBB110_3990
; %bb.3989:
	s_delay_alu instid0(VALU_DEP_1)
	v_cvt_f64_i32_e32 v[6:7], v2
	s_mov_b32 s0, 0
	global_store_b64 v[0:1], v[6:7], off
.LBB110_3990:
	s_and_not1_b32 vcc_lo, exec_lo, s0
	s_cbranch_vccnz .LBB110_3992
; %bb.3991:
	s_delay_alu instid0(VALU_DEP_1)
	v_cvt_f32_i32_e32 v2, v2
	global_store_b32 v[0:1], v2, off
.LBB110_3992:
	s_mov_b32 s0, 0
.LBB110_3993:
	s_delay_alu instid0(SALU_CYCLE_1)
	s_and_not1_b32 vcc_lo, exec_lo, s0
	s_cbranch_vccnz .LBB110_3995
; %bb.3994:
	s_wait_loadcnt 0x0
	v_bfe_i32 v2, v4, 0, 8
	s_delay_alu instid0(VALU_DEP_1)
	v_cvt_f16_i16_e32 v2, v2
	global_store_b16 v[0:1], v2, off
.LBB110_3995:
	s_mov_b32 s0, 0
.LBB110_3996:
	s_delay_alu instid0(SALU_CYCLE_1)
	s_and_not1_b32 vcc_lo, exec_lo, s0
	s_cbranch_vccnz .LBB110_4012
; %bb.3997:
	s_sext_i32_i16 s1, s20
	s_mov_b32 s0, -1
	s_cmp_lt_i32 s1, 2
	s_cbranch_scc1 .LBB110_4007
; %bb.3998:
	s_cmp_lt_i32 s1, 3
	s_cbranch_scc1 .LBB110_4004
; %bb.3999:
	s_wait_loadcnt 0x0
	v_bfe_i32 v2, v4, 0, 8
	s_cmp_gt_i32 s1, 3
	s_cbranch_scc0 .LBB110_4001
; %bb.4000:
	s_delay_alu instid0(VALU_DEP_1)
	v_ashrrev_i32_e32 v3, 31, v2
	s_mov_b32 s0, 0
	global_store_b64 v[0:1], v[2:3], off
.LBB110_4001:
	s_and_not1_b32 vcc_lo, exec_lo, s0
	s_cbranch_vccnz .LBB110_4003
; %bb.4002:
	global_store_b32 v[0:1], v2, off
.LBB110_4003:
	s_mov_b32 s0, 0
.LBB110_4004:
	s_delay_alu instid0(SALU_CYCLE_1)
	s_and_not1_b32 vcc_lo, exec_lo, s0
	s_cbranch_vccnz .LBB110_4006
; %bb.4005:
	s_wait_loadcnt 0x0
	v_bfe_i32 v2, v4, 0, 8
	global_store_b16 v[0:1], v2, off
.LBB110_4006:
	s_mov_b32 s0, 0
.LBB110_4007:
	s_delay_alu instid0(SALU_CYCLE_1)
	s_and_not1_b32 vcc_lo, exec_lo, s0
	s_cbranch_vccnz .LBB110_4012
; %bb.4008:
	s_sext_i32_i16 s0, s20
	s_delay_alu instid0(SALU_CYCLE_1)
	s_cmp_gt_i32 s0, 0
	s_mov_b32 s0, -1
	s_cbranch_scc0 .LBB110_4010
; %bb.4009:
	s_mov_b32 s0, 0
	s_wait_loadcnt 0x0
	global_store_b8 v[0:1], v4, off
.LBB110_4010:
	s_and_not1_b32 vcc_lo, exec_lo, s0
	s_cbranch_vccnz .LBB110_4012
; %bb.4011:
	s_wait_loadcnt 0x0
	global_store_b8 v[0:1], v4, off
	s_endpgm
.LBB110_4012:
	s_endpgm
.LBB110_4013:
	s_mov_b32 s1, 0
	s_mov_b32 s0, -1
	s_branch .LBB110_3969
.LBB110_4014:
	s_or_b32 s16, s16, exec_lo
	s_trap 2
	s_cbranch_execz .LBB110_3483
	s_branch .LBB110_3484
.LBB110_4015:
	s_and_not1_saveexec_b32 s7, s7
	s_cbranch_execz .LBB110_3563
.LBB110_4016:
	v_add_f32_e64 v3, 0x46000000, |v2|
	s_and_not1_b32 s6, s6, exec_lo
	s_delay_alu instid0(VALU_DEP_1) | instskip(NEXT) | instid1(VALU_DEP_1)
	v_and_b32_e32 v3, 0xff, v3
	v_cmp_ne_u32_e32 vcc_lo, 0, v3
	s_and_b32 s8, vcc_lo, exec_lo
	s_delay_alu instid0(SALU_CYCLE_1)
	s_or_b32 s6, s6, s8
	s_or_b32 exec_lo, exec_lo, s7
	v_mov_b32_e32 v6, 0
	s_and_saveexec_b32 s7, s6
	s_cbranch_execnz .LBB110_3564
	s_branch .LBB110_3565
.LBB110_4017:
	s_or_b32 s16, s16, exec_lo
	s_trap 2
	s_cbranch_execz .LBB110_3611
	s_branch .LBB110_3612
.LBB110_4018:
	s_and_not1_saveexec_b32 s6, s6
	s_cbranch_execz .LBB110_3576
.LBB110_4019:
	v_add_f32_e64 v3, 0x42800000, |v2|
	s_and_not1_b32 s3, s3, exec_lo
	s_delay_alu instid0(VALU_DEP_1) | instskip(NEXT) | instid1(VALU_DEP_1)
	v_and_b32_e32 v3, 0xff, v3
	v_cmp_ne_u32_e32 vcc_lo, 0, v3
	s_and_b32 s7, vcc_lo, exec_lo
	s_delay_alu instid0(SALU_CYCLE_1)
	s_or_b32 s3, s3, s7
	s_or_b32 exec_lo, exec_lo, s6
	v_mov_b32_e32 v6, 0
	s_and_saveexec_b32 s6, s3
	s_cbranch_execnz .LBB110_3577
	s_branch .LBB110_3578
.LBB110_4020:
	s_and_not1_saveexec_b32 s8, s8
	s_cbranch_execz .LBB110_3682
.LBB110_4021:
	v_add_f32_e64 v5, 0x46000000, |v4|
	s_and_not1_b32 s7, s7, exec_lo
	s_delay_alu instid0(VALU_DEP_1) | instskip(NEXT) | instid1(VALU_DEP_1)
	v_and_b32_e32 v5, 0xff, v5
	v_cmp_ne_u32_e32 vcc_lo, 0, v5
	s_and_b32 s9, vcc_lo, exec_lo
	s_delay_alu instid0(SALU_CYCLE_1)
	s_or_b32 s7, s7, s9
	s_or_b32 exec_lo, exec_lo, s8
	v_mov_b32_e32 v6, 0
	s_and_saveexec_b32 s8, s7
	s_cbranch_execnz .LBB110_3683
	s_branch .LBB110_3684
.LBB110_4022:
	s_or_b32 s16, s16, exec_lo
	s_trap 2
	s_cbranch_execz .LBB110_3730
	s_branch .LBB110_3731
.LBB110_4023:
	s_and_not1_saveexec_b32 s7, s7
	s_cbranch_execz .LBB110_3695
.LBB110_4024:
	v_add_f32_e64 v5, 0x42800000, |v4|
	s_and_not1_b32 s6, s6, exec_lo
	s_delay_alu instid0(VALU_DEP_1) | instskip(NEXT) | instid1(VALU_DEP_1)
	v_and_b32_e32 v5, 0xff, v5
	v_cmp_ne_u32_e32 vcc_lo, 0, v5
	s_and_b32 s8, vcc_lo, exec_lo
	s_delay_alu instid0(SALU_CYCLE_1)
	s_or_b32 s6, s6, s8
	s_or_b32 exec_lo, exec_lo, s7
	v_mov_b32_e32 v6, 0
	s_and_saveexec_b32 s7, s6
	s_cbranch_execnz .LBB110_3696
	s_branch .LBB110_3697
.LBB110_4025:
	s_and_not1_saveexec_b32 s8, s8
	s_cbranch_execz .LBB110_3801
.LBB110_4026:
	v_add_f32_e64 v5, 0x46000000, |v4|
	s_and_not1_b32 s7, s7, exec_lo
	s_delay_alu instid0(VALU_DEP_1) | instskip(NEXT) | instid1(VALU_DEP_1)
	v_and_b32_e32 v5, 0xff, v5
	v_cmp_ne_u32_e32 vcc_lo, 0, v5
	s_and_b32 s9, vcc_lo, exec_lo
	s_delay_alu instid0(SALU_CYCLE_1)
	s_or_b32 s7, s7, s9
	s_or_b32 exec_lo, exec_lo, s8
	v_mov_b32_e32 v6, 0
	s_and_saveexec_b32 s8, s7
	s_cbranch_execnz .LBB110_3802
	s_branch .LBB110_3803
.LBB110_4027:
	s_or_b32 s16, s16, exec_lo
	s_trap 2
	s_cbranch_execz .LBB110_3849
	s_branch .LBB110_3850
.LBB110_4028:
	s_and_not1_saveexec_b32 s7, s7
	s_cbranch_execz .LBB110_3814
.LBB110_4029:
	v_add_f32_e64 v5, 0x42800000, |v4|
	s_and_not1_b32 s6, s6, exec_lo
	s_delay_alu instid0(VALU_DEP_1) | instskip(NEXT) | instid1(VALU_DEP_1)
	v_and_b32_e32 v5, 0xff, v5
	v_cmp_ne_u32_e32 vcc_lo, 0, v5
	s_and_b32 s8, vcc_lo, exec_lo
	s_delay_alu instid0(SALU_CYCLE_1)
	s_or_b32 s6, s6, s8
	s_or_b32 exec_lo, exec_lo, s7
	v_mov_b32_e32 v6, 0
	s_and_saveexec_b32 s7, s6
	s_cbranch_execnz .LBB110_3815
	s_branch .LBB110_3816
.LBB110_4030:
	s_and_not1_saveexec_b32 s5, s5
	s_cbranch_execz .LBB110_3921
.LBB110_4031:
	v_add_f32_e64 v3, 0x46000000, |v2|
	s_and_not1_b32 s4, s4, exec_lo
	s_delay_alu instid0(VALU_DEP_1) | instskip(NEXT) | instid1(VALU_DEP_1)
	v_and_b32_e32 v3, 0xff, v3
	v_cmp_ne_u32_e32 vcc_lo, 0, v3
	s_and_b32 s6, vcc_lo, exec_lo
	s_delay_alu instid0(SALU_CYCLE_1)
	s_or_b32 s4, s4, s6
	s_or_b32 exec_lo, exec_lo, s5
	v_mov_b32_e32 v5, 0
	s_and_saveexec_b32 s5, s4
	s_cbranch_execnz .LBB110_3922
	s_branch .LBB110_3923
.LBB110_4032:
	s_mov_b32 s1, 0
	s_or_b32 s16, s16, exec_lo
	s_trap 2
	s_branch .LBB110_3967
.LBB110_4033:
	s_and_not1_saveexec_b32 s4, s4
	s_cbranch_execz .LBB110_3933
.LBB110_4034:
	v_add_f32_e64 v3, 0x42800000, |v2|
	s_and_not1_b32 s3, s3, exec_lo
	s_delay_alu instid0(VALU_DEP_1) | instskip(NEXT) | instid1(VALU_DEP_1)
	v_and_b32_e32 v3, 0xff, v3
	v_cmp_ne_u32_e32 vcc_lo, 0, v3
	s_and_b32 s5, vcc_lo, exec_lo
	s_delay_alu instid0(SALU_CYCLE_1)
	s_or_b32 s3, s3, s5
	s_or_b32 exec_lo, exec_lo, s4
	v_mov_b32_e32 v5, 0
	s_and_saveexec_b32 s4, s3
	s_cbranch_execnz .LBB110_3934
	s_branch .LBB110_3935
	.section	.rodata,"a",@progbits
	.p2align	6, 0x0
	.amdhsa_kernel _ZN2at6native32elementwise_kernel_manual_unrollILi128ELi4EZNS0_15gpu_kernel_implIZZZNS0_12_GLOBAL__N_117clamp_kernel_implERNS_18TensorIteratorBaseEENKUlvE_clEvENKUlvE0_clEvEUlaaaE_EEvS5_RKT_EUlibE_EEviT1_
		.amdhsa_group_segment_fixed_size 0
		.amdhsa_private_segment_fixed_size 0
		.amdhsa_kernarg_size 64
		.amdhsa_user_sgpr_count 2
		.amdhsa_user_sgpr_dispatch_ptr 0
		.amdhsa_user_sgpr_queue_ptr 0
		.amdhsa_user_sgpr_kernarg_segment_ptr 1
		.amdhsa_user_sgpr_dispatch_id 0
		.amdhsa_user_sgpr_kernarg_preload_length 0
		.amdhsa_user_sgpr_kernarg_preload_offset 0
		.amdhsa_user_sgpr_private_segment_size 0
		.amdhsa_wavefront_size32 1
		.amdhsa_uses_dynamic_stack 0
		.amdhsa_enable_private_segment 0
		.amdhsa_system_sgpr_workgroup_id_x 1
		.amdhsa_system_sgpr_workgroup_id_y 0
		.amdhsa_system_sgpr_workgroup_id_z 0
		.amdhsa_system_sgpr_workgroup_info 0
		.amdhsa_system_vgpr_workitem_id 0
		.amdhsa_next_free_vgpr 30
		.amdhsa_next_free_sgpr 42
		.amdhsa_named_barrier_count 0
		.amdhsa_reserve_vcc 1
		.amdhsa_float_round_mode_32 0
		.amdhsa_float_round_mode_16_64 0
		.amdhsa_float_denorm_mode_32 3
		.amdhsa_float_denorm_mode_16_64 3
		.amdhsa_fp16_overflow 0
		.amdhsa_memory_ordered 1
		.amdhsa_forward_progress 1
		.amdhsa_inst_pref_size 255
		.amdhsa_round_robin_scheduling 0
		.amdhsa_exception_fp_ieee_invalid_op 0
		.amdhsa_exception_fp_denorm_src 0
		.amdhsa_exception_fp_ieee_div_zero 0
		.amdhsa_exception_fp_ieee_overflow 0
		.amdhsa_exception_fp_ieee_underflow 0
		.amdhsa_exception_fp_ieee_inexact 0
		.amdhsa_exception_int_div_zero 0
	.end_amdhsa_kernel
	.section	.text._ZN2at6native32elementwise_kernel_manual_unrollILi128ELi4EZNS0_15gpu_kernel_implIZZZNS0_12_GLOBAL__N_117clamp_kernel_implERNS_18TensorIteratorBaseEENKUlvE_clEvENKUlvE0_clEvEUlaaaE_EEvS5_RKT_EUlibE_EEviT1_,"axG",@progbits,_ZN2at6native32elementwise_kernel_manual_unrollILi128ELi4EZNS0_15gpu_kernel_implIZZZNS0_12_GLOBAL__N_117clamp_kernel_implERNS_18TensorIteratorBaseEENKUlvE_clEvENKUlvE0_clEvEUlaaaE_EEvS5_RKT_EUlibE_EEviT1_,comdat
.Lfunc_end110:
	.size	_ZN2at6native32elementwise_kernel_manual_unrollILi128ELi4EZNS0_15gpu_kernel_implIZZZNS0_12_GLOBAL__N_117clamp_kernel_implERNS_18TensorIteratorBaseEENKUlvE_clEvENKUlvE0_clEvEUlaaaE_EEvS5_RKT_EUlibE_EEviT1_, .Lfunc_end110-_ZN2at6native32elementwise_kernel_manual_unrollILi128ELi4EZNS0_15gpu_kernel_implIZZZNS0_12_GLOBAL__N_117clamp_kernel_implERNS_18TensorIteratorBaseEENKUlvE_clEvENKUlvE0_clEvEUlaaaE_EEvS5_RKT_EUlibE_EEviT1_
                                        ; -- End function
	.set _ZN2at6native32elementwise_kernel_manual_unrollILi128ELi4EZNS0_15gpu_kernel_implIZZZNS0_12_GLOBAL__N_117clamp_kernel_implERNS_18TensorIteratorBaseEENKUlvE_clEvENKUlvE0_clEvEUlaaaE_EEvS5_RKT_EUlibE_EEviT1_.num_vgpr, 30
	.set _ZN2at6native32elementwise_kernel_manual_unrollILi128ELi4EZNS0_15gpu_kernel_implIZZZNS0_12_GLOBAL__N_117clamp_kernel_implERNS_18TensorIteratorBaseEENKUlvE_clEvENKUlvE0_clEvEUlaaaE_EEvS5_RKT_EUlibE_EEviT1_.num_agpr, 0
	.set _ZN2at6native32elementwise_kernel_manual_unrollILi128ELi4EZNS0_15gpu_kernel_implIZZZNS0_12_GLOBAL__N_117clamp_kernel_implERNS_18TensorIteratorBaseEENKUlvE_clEvENKUlvE0_clEvEUlaaaE_EEvS5_RKT_EUlibE_EEviT1_.numbered_sgpr, 42
	.set _ZN2at6native32elementwise_kernel_manual_unrollILi128ELi4EZNS0_15gpu_kernel_implIZZZNS0_12_GLOBAL__N_117clamp_kernel_implERNS_18TensorIteratorBaseEENKUlvE_clEvENKUlvE0_clEvEUlaaaE_EEvS5_RKT_EUlibE_EEviT1_.num_named_barrier, 0
	.set _ZN2at6native32elementwise_kernel_manual_unrollILi128ELi4EZNS0_15gpu_kernel_implIZZZNS0_12_GLOBAL__N_117clamp_kernel_implERNS_18TensorIteratorBaseEENKUlvE_clEvENKUlvE0_clEvEUlaaaE_EEvS5_RKT_EUlibE_EEviT1_.private_seg_size, 0
	.set _ZN2at6native32elementwise_kernel_manual_unrollILi128ELi4EZNS0_15gpu_kernel_implIZZZNS0_12_GLOBAL__N_117clamp_kernel_implERNS_18TensorIteratorBaseEENKUlvE_clEvENKUlvE0_clEvEUlaaaE_EEvS5_RKT_EUlibE_EEviT1_.uses_vcc, 1
	.set _ZN2at6native32elementwise_kernel_manual_unrollILi128ELi4EZNS0_15gpu_kernel_implIZZZNS0_12_GLOBAL__N_117clamp_kernel_implERNS_18TensorIteratorBaseEENKUlvE_clEvENKUlvE0_clEvEUlaaaE_EEvS5_RKT_EUlibE_EEviT1_.uses_flat_scratch, 0
	.set _ZN2at6native32elementwise_kernel_manual_unrollILi128ELi4EZNS0_15gpu_kernel_implIZZZNS0_12_GLOBAL__N_117clamp_kernel_implERNS_18TensorIteratorBaseEENKUlvE_clEvENKUlvE0_clEvEUlaaaE_EEvS5_RKT_EUlibE_EEviT1_.has_dyn_sized_stack, 0
	.set _ZN2at6native32elementwise_kernel_manual_unrollILi128ELi4EZNS0_15gpu_kernel_implIZZZNS0_12_GLOBAL__N_117clamp_kernel_implERNS_18TensorIteratorBaseEENKUlvE_clEvENKUlvE0_clEvEUlaaaE_EEvS5_RKT_EUlibE_EEviT1_.has_recursion, 0
	.set _ZN2at6native32elementwise_kernel_manual_unrollILi128ELi4EZNS0_15gpu_kernel_implIZZZNS0_12_GLOBAL__N_117clamp_kernel_implERNS_18TensorIteratorBaseEENKUlvE_clEvENKUlvE0_clEvEUlaaaE_EEvS5_RKT_EUlibE_EEviT1_.has_indirect_call, 0
	.section	.AMDGPU.csdata,"",@progbits
; Kernel info:
; codeLenInByte = 70324
; TotalNumSgprs: 44
; NumVgprs: 30
; ScratchSize: 0
; MemoryBound: 1
; FloatMode: 240
; IeeeMode: 1
; LDSByteSize: 0 bytes/workgroup (compile time only)
; SGPRBlocks: 0
; VGPRBlocks: 1
; NumSGPRsForWavesPerEU: 44
; NumVGPRsForWavesPerEU: 30
; NamedBarCnt: 0
; Occupancy: 16
; WaveLimiterHint : 0
; COMPUTE_PGM_RSRC2:SCRATCH_EN: 0
; COMPUTE_PGM_RSRC2:USER_SGPR: 2
; COMPUTE_PGM_RSRC2:TRAP_HANDLER: 0
; COMPUTE_PGM_RSRC2:TGID_X_EN: 1
; COMPUTE_PGM_RSRC2:TGID_Y_EN: 0
; COMPUTE_PGM_RSRC2:TGID_Z_EN: 0
; COMPUTE_PGM_RSRC2:TIDIG_COMP_CNT: 0
	.section	.text._ZN2at6native32elementwise_kernel_manual_unrollILi128ELi4EZNS0_15gpu_kernel_implIZZZNS0_12_GLOBAL__N_117clamp_kernel_implERNS_18TensorIteratorBaseEENKUlvE_clEvENKUlvE0_clEvEUlaaaE_EEvS5_RKT_EUlibE0_EEviT1_,"axG",@progbits,_ZN2at6native32elementwise_kernel_manual_unrollILi128ELi4EZNS0_15gpu_kernel_implIZZZNS0_12_GLOBAL__N_117clamp_kernel_implERNS_18TensorIteratorBaseEENKUlvE_clEvENKUlvE0_clEvEUlaaaE_EEvS5_RKT_EUlibE0_EEviT1_,comdat
	.globl	_ZN2at6native32elementwise_kernel_manual_unrollILi128ELi4EZNS0_15gpu_kernel_implIZZZNS0_12_GLOBAL__N_117clamp_kernel_implERNS_18TensorIteratorBaseEENKUlvE_clEvENKUlvE0_clEvEUlaaaE_EEvS5_RKT_EUlibE0_EEviT1_ ; -- Begin function _ZN2at6native32elementwise_kernel_manual_unrollILi128ELi4EZNS0_15gpu_kernel_implIZZZNS0_12_GLOBAL__N_117clamp_kernel_implERNS_18TensorIteratorBaseEENKUlvE_clEvENKUlvE0_clEvEUlaaaE_EEvS5_RKT_EUlibE0_EEviT1_
	.p2align	8
	.type	_ZN2at6native32elementwise_kernel_manual_unrollILi128ELi4EZNS0_15gpu_kernel_implIZZZNS0_12_GLOBAL__N_117clamp_kernel_implERNS_18TensorIteratorBaseEENKUlvE_clEvENKUlvE0_clEvEUlaaaE_EEvS5_RKT_EUlibE0_EEviT1_,@function
_ZN2at6native32elementwise_kernel_manual_unrollILi128ELi4EZNS0_15gpu_kernel_implIZZZNS0_12_GLOBAL__N_117clamp_kernel_implERNS_18TensorIteratorBaseEENKUlvE_clEvENKUlvE0_clEvEUlaaaE_EEvS5_RKT_EUlibE0_EEviT1_: ; @_ZN2at6native32elementwise_kernel_manual_unrollILi128ELi4EZNS0_15gpu_kernel_implIZZZNS0_12_GLOBAL__N_117clamp_kernel_implERNS_18TensorIteratorBaseEENKUlvE_clEvENKUlvE0_clEvEUlaaaE_EEvS5_RKT_EUlibE0_EEviT1_
; %bb.0:
	s_clause 0x1
	s_load_b32 s33, s[0:1], 0x8
	s_load_b32 s44, s[0:1], 0x0
	s_bfe_u32 s2, ttmp6, 0x4000c
	s_and_b32 s3, ttmp6, 15
	s_add_co_i32 s2, s2, 1
	s_getreg_b32 s4, hwreg(HW_REG_IB_STS2, 6, 4)
	s_mul_i32 s2, ttmp9, s2
	s_mov_b32 s35, 0
	s_add_co_i32 s3, s3, s2
	s_cmp_eq_u32 s4, 0
	s_mov_b32 s29, -1
	s_cselect_b32 s2, ttmp9, s3
	s_mov_b32 s10, 0
	v_lshl_or_b32 v0, s2, 9, v0
	s_add_nc_u64 s[2:3], s[0:1], 8
	s_wait_xcnt 0x0
	s_mov_b32 s0, exec_lo
	s_delay_alu instid0(VALU_DEP_1) | instskip(SKIP_2) | instid1(SALU_CYCLE_1)
	v_or_b32_e32 v5, 0x180, v0
	s_wait_kmcnt 0x0
	s_add_co_i32 s34, s33, -1
	s_cmp_gt_u32 s34, 1
	s_cselect_b32 s36, -1, 0
	v_cmpx_le_i32_e64 s44, v5
	s_xor_b32 s37, exec_lo, s0
	s_cbranch_execz .LBB111_2061
; %bb.1:
	v_mov_b32_e32 v1, 0
	s_clause 0x3
	s_load_b128 s[20:23], s[2:3], 0x4
	s_load_b64 s[0:1], s[2:3], 0x14
	s_load_b256 s[12:19], s[2:3], 0xc4
	s_load_b256 s[4:11], s[2:3], 0x1c8
	s_cmp_lg_u32 s33, 0
	s_mov_b32 s25, 0
	s_cselect_b32 s45, -1, 0
	global_load_b32 v1, v1, s[2:3] offset:489
	s_min_u32 s43, s34, 15
	s_cmp_gt_u32 s33, 1
	s_mov_b32 s27, s25
	s_mov_b32 s48, s25
	s_mov_b32 s47, s25
	s_mov_b32 s46, s25
	s_cselect_b32 s41, -1, 0
	s_mov_b32 s42, s25
	s_mov_b32 s49, exec_lo
	s_wait_kmcnt 0x0
	s_mov_b32 s24, s21
	s_mov_b32 s26, s0
	s_wait_loadcnt 0x0
	v_readfirstlane_b32 s38, v1
	s_lshr_b32 s39, s38, 16
	s_lshr_b32 s40, s38, 8
	;; [unrolled: 1-line block ×3, first 2 shown]
	v_cmpx_gt_i32_e64 s44, v0
	s_cbranch_execz .LBB111_511
; %bb.2:
	s_and_not1_b32 vcc_lo, exec_lo, s36
	s_cbranch_vccnz .LBB111_8
; %bb.3:
	s_and_not1_b32 vcc_lo, exec_lo, s45
	s_cbranch_vccnz .LBB111_9
; %bb.4:
	v_dual_mov_b32 v8, 0 :: v_dual_mov_b32 v1, v0
	v_dual_mov_b32 v6, 0 :: v_dual_mov_b32 v2, 0
	v_mov_b32_e32 v4, 0
	s_add_co_i32 s0, s43, 1
	s_mov_b64 s[28:29], 0xffffffffffffffe0
	s_and_b32 s0, s0, 30
	s_add_nc_u64 s[28:29], s[2:3], s[28:29]
	s_mov_b64 s[30:31], s[2:3]
.LBB111_5:                              ; =>This Inner Loop Header: Depth=1
	s_clause 0x1
	s_load_b128 s[60:63], s[30:31], 0x4
	s_load_b64 s[46:47], s[30:31], 0x14
	s_load_b256 s[52:59], s[28:29], 0xe4
	s_add_co_i32 s0, s0, -2
	s_wait_xcnt 0x0
	s_add_nc_u64 s[30:31], s[30:31], 24
	s_cmp_lg_u32 s0, 0
	s_add_nc_u64 s[28:29], s[28:29], 32
	s_wait_kmcnt 0x0
	v_mul_hi_u32 v3, s61, v1
	s_delay_alu instid0(VALU_DEP_1) | instskip(NEXT) | instid1(VALU_DEP_1)
	v_add_nc_u32_e32 v3, v1, v3
	v_lshrrev_b32_e32 v3, s62, v3
	s_delay_alu instid0(VALU_DEP_1) | instskip(SKIP_1) | instid1(VALU_DEP_1)
	v_mul_hi_u32 v5, s46, v3
	v_mul_lo_u32 v7, v3, s60
	v_dual_add_nc_u32 v5, v3, v5 :: v_dual_sub_nc_u32 v7, v1, v7
	s_delay_alu instid0(VALU_DEP_1) | instskip(NEXT) | instid1(VALU_DEP_2)
	v_lshrrev_b32_e32 v1, s47, v5
	v_mad_u32 v4, v7, s53, v4
	v_mad_u32 v2, v7, s52, v2
	;; [unrolled: 1-line block ×4, first 2 shown]
	v_mul_lo_u32 v5, v1, s63
	s_delay_alu instid0(VALU_DEP_1) | instskip(NEXT) | instid1(VALU_DEP_1)
	v_sub_nc_u32_e32 v3, v3, v5
	v_mad_u32 v4, v3, s57, v4
	v_mad_u32 v2, v3, s56, v2
	v_mad_u32 v6, v3, s59, v6
	v_mad_u32 v8, v3, s58, v7
	s_cbranch_scc1 .LBB111_5
; %bb.6:
	s_bitcmp1_b32 s43, 0
	s_cselect_b32 s0, -1, 0
	s_delay_alu instid0(SALU_CYCLE_1)
	s_and_b32 vcc_lo, exec_lo, s0
	s_cbranch_vccnz .LBB111_10
; %bb.7:
	s_load_b96 s[56:58], s[30:31], 0x4
	s_load_b128 s[52:55], s[28:29], 0xe4
	s_wait_kmcnt 0x0
	v_mul_hi_u32 v3, s57, v1
	s_delay_alu instid0(VALU_DEP_1) | instskip(NEXT) | instid1(VALU_DEP_1)
	v_add_nc_u32_e32 v3, v1, v3
	v_lshrrev_b32_e32 v3, s58, v3
	s_delay_alu instid0(VALU_DEP_1) | instskip(NEXT) | instid1(VALU_DEP_1)
	v_mul_lo_u32 v3, v3, s56
	v_sub_nc_u32_e32 v1, v1, v3
	s_delay_alu instid0(VALU_DEP_1)
	v_mad_u32 v2, v1, s52, v2
	v_mad_u32 v4, v1, s53, v4
	v_mad_u32 v8, v1, s54, v8
	v_mad_u32 v6, v1, s55, v6
	s_cbranch_execz .LBB111_11
	s_branch .LBB111_13
.LBB111_8:
                                        ; implicit-def: $vgpr4
                                        ; implicit-def: $vgpr2
                                        ; implicit-def: $vgpr6
                                        ; implicit-def: $vgpr8
	s_branch .LBB111_11
.LBB111_9:
	v_dual_mov_b32 v4, 0 :: v_dual_mov_b32 v2, 0
	v_dual_mov_b32 v6, 0 :: v_dual_mov_b32 v8, 0
.LBB111_10:
	s_cbranch_execnz .LBB111_13
.LBB111_11:
	v_mov_b32_e32 v1, 0
	s_and_not1_b32 vcc_lo, exec_lo, s41
	s_delay_alu instid0(VALU_DEP_1) | instskip(NEXT) | instid1(VALU_DEP_1)
	v_mul_u64_e32 v[2:3], s[24:25], v[0:1]
	v_add_nc_u32_e32 v2, v0, v3
	s_delay_alu instid0(VALU_DEP_1) | instskip(NEXT) | instid1(VALU_DEP_1)
	v_lshrrev_b32_e32 v10, s22, v2
	v_mul_lo_u32 v2, v10, s20
	s_delay_alu instid0(VALU_DEP_1) | instskip(NEXT) | instid1(VALU_DEP_1)
	v_sub_nc_u32_e32 v3, v0, v2
	v_mul_lo_u32 v4, v3, s13
	v_mul_lo_u32 v2, v3, s12
	;; [unrolled: 1-line block ×4, first 2 shown]
	s_cbranch_vccnz .LBB111_13
; %bb.12:
	v_mov_b32_e32 v11, v1
	s_delay_alu instid0(VALU_DEP_1) | instskip(NEXT) | instid1(VALU_DEP_1)
	v_mul_u64_e32 v[12:13], s[26:27], v[10:11]
	v_add_nc_u32_e32 v1, v10, v13
	s_delay_alu instid0(VALU_DEP_1) | instskip(NEXT) | instid1(VALU_DEP_1)
	v_lshrrev_b32_e32 v1, s1, v1
	v_mul_lo_u32 v1, v1, s23
	s_delay_alu instid0(VALU_DEP_1) | instskip(NEXT) | instid1(VALU_DEP_1)
	v_sub_nc_u32_e32 v1, v10, v1
	v_mad_u32 v2, v1, s16, v2
	v_mad_u32 v4, v1, s17, v4
	;; [unrolled: 1-line block ×4, first 2 shown]
.LBB111_13:
	v_mov_b32_e32 v5, 0
	s_and_b32 s0, s40, 0xff
	s_delay_alu instid0(SALU_CYCLE_1) | instskip(NEXT) | instid1(VALU_DEP_1)
	s_cmp_lt_i32 s0, 11
	v_add_nc_u64_e32 v[10:11], s[6:7], v[4:5]
	s_cbranch_scc1 .LBB111_20
; %bb.14:
	s_and_b32 s29, 0xffff, s0
	s_delay_alu instid0(SALU_CYCLE_1)
	s_cmp_gt_i32 s29, 25
	s_cbranch_scc0 .LBB111_29
; %bb.15:
	s_cmp_gt_i32 s29, 28
	s_cbranch_scc0 .LBB111_39
; %bb.16:
	s_cmp_gt_i32 s29, 43
	s_cbranch_scc0 .LBB111_42
; %bb.17:
	s_cmp_gt_i32 s29, 45
	s_cbranch_scc0 .LBB111_45
; %bb.18:
	s_cmp_eq_u32 s29, 46
	s_mov_b32 s31, 0
	s_cbranch_scc0 .LBB111_48
; %bb.19:
	global_load_b32 v1, v[10:11], off
	s_mov_b32 s30, -1
	s_mov_b32 s28, 0
	s_wait_loadcnt 0x0
	v_lshlrev_b32_e32 v1, 16, v1
	s_delay_alu instid0(VALU_DEP_1)
	v_cvt_i32_f32_e32 v4, v1
	s_branch .LBB111_50
.LBB111_20:
	s_mov_b32 s28, 0
	s_mov_b32 s30, 0
                                        ; implicit-def: $vgpr4
	s_cbranch_execnz .LBB111_112
.LBB111_21:
	s_and_not1_b32 vcc_lo, exec_lo, s30
	s_cbranch_vccnz .LBB111_159
.LBB111_22:
	v_mov_b32_e32 v9, 0
	s_and_b32 s0, s39, 0xff
	s_delay_alu instid0(SALU_CYCLE_1) | instskip(SKIP_1) | instid1(VALU_DEP_1)
	s_cmp_lt_i32 s0, 11
	s_wait_xcnt 0x0
	v_add_nc_u64_e32 v[10:11], s[8:9], v[8:9]
	s_cbranch_scc1 .LBB111_30
; %bb.23:
	s_and_b32 s30, 0xffff, s0
	s_delay_alu instid0(SALU_CYCLE_1)
	s_cmp_gt_i32 s30, 25
	s_cbranch_scc0 .LBB111_40
; %bb.24:
	s_cmp_gt_i32 s30, 28
	s_cbranch_scc0 .LBB111_43
; %bb.25:
	;; [unrolled: 3-line block ×4, first 2 shown]
	s_cmp_eq_u32 s30, 46
	s_mov_b32 s42, 0
	s_cbranch_scc0 .LBB111_160
; %bb.28:
	global_load_b32 v1, v[10:11], off
	s_mov_b32 s31, -1
	s_mov_b32 s29, 0
	s_wait_loadcnt 0x0
	v_lshlrev_b32_e32 v1, 16, v1
	s_delay_alu instid0(VALU_DEP_1)
	v_cvt_i32_f32_e32 v8, v1
	s_branch .LBB111_162
.LBB111_29:
	s_mov_b32 s28, 0
	s_mov_b32 s30, 0
                                        ; implicit-def: $vgpr4
	s_cbranch_execnz .LBB111_79
	s_branch .LBB111_111
.LBB111_30:
	s_mov_b32 s29, 0
	s_mov_b32 s31, 0
                                        ; implicit-def: $vgpr8
	s_cbranch_execnz .LBB111_224
.LBB111_31:
	s_and_not1_b32 vcc_lo, exec_lo, s31
	s_cbranch_vccnz .LBB111_272
.LBB111_32:
	v_mov_b32_e32 v7, 0
	s_and_b32 s0, 0xffff, s21
	s_delay_alu instid0(SALU_CYCLE_1) | instskip(NEXT) | instid1(VALU_DEP_1)
	s_cmp_lt_i32 s0, 11
	v_add_nc_u64_e32 v[6:7], s[10:11], v[6:7]
	s_cbranch_scc1 .LBB111_41
; %bb.33:
	s_cmp_gt_i32 s0, 25
	s_cbranch_scc0 .LBB111_44
; %bb.34:
	s_cmp_gt_i32 s0, 28
	s_cbranch_scc0 .LBB111_47
	;; [unrolled: 3-line block ×4, first 2 shown]
; %bb.37:
	s_cmp_eq_u32 s0, 46
	s_mov_b32 s42, 0
	s_cbranch_scc0 .LBB111_273
; %bb.38:
	global_load_b32 v1, v[6:7], off
	s_mov_b32 s31, -1
	s_mov_b32 s30, 0
	s_wait_loadcnt 0x0
	v_lshlrev_b32_e32 v1, 16, v1
	s_delay_alu instid0(VALU_DEP_1)
	v_cvt_i32_f32_e32 v10, v1
	s_branch .LBB111_275
.LBB111_39:
	s_mov_b32 s31, -1
	s_mov_b32 s28, 0
	s_mov_b32 s30, 0
                                        ; implicit-def: $vgpr4
	s_branch .LBB111_62
.LBB111_40:
	s_mov_b32 s42, -1
	s_mov_b32 s29, 0
	s_mov_b32 s31, 0
                                        ; implicit-def: $vgpr8
	s_branch .LBB111_190
.LBB111_41:
	s_mov_b32 s42, -1
	s_mov_b32 s30, 0
	s_mov_b32 s31, 0
                                        ; implicit-def: $vgpr10
	s_branch .LBB111_336
.LBB111_42:
	s_mov_b32 s31, -1
	s_mov_b32 s28, 0
	s_mov_b32 s30, 0
                                        ; implicit-def: $vgpr4
	s_branch .LBB111_57
.LBB111_43:
	s_mov_b32 s42, -1
	s_mov_b32 s29, 0
	s_mov_b32 s31, 0
                                        ; implicit-def: $vgpr8
	s_branch .LBB111_173
.LBB111_44:
	s_mov_b32 s42, -1
	s_mov_b32 s30, 0
	s_mov_b32 s31, 0
                                        ; implicit-def: $vgpr10
	s_branch .LBB111_302
.LBB111_45:
	s_mov_b32 s31, -1
	s_mov_b32 s28, 0
	s_branch .LBB111_49
.LBB111_46:
	s_mov_b32 s42, -1
	s_mov_b32 s29, 0
	s_mov_b32 s31, 0
                                        ; implicit-def: $vgpr8
	s_branch .LBB111_168
.LBB111_47:
	s_mov_b32 s42, -1
	s_mov_b32 s30, 0
	s_mov_b32 s31, 0
                                        ; implicit-def: $vgpr10
	s_branch .LBB111_285
.LBB111_48:
	s_mov_b32 s28, -1
.LBB111_49:
	s_mov_b32 s30, 0
                                        ; implicit-def: $vgpr4
.LBB111_50:
	s_and_b32 vcc_lo, exec_lo, s31
	s_cbranch_vccz .LBB111_56
; %bb.51:
	s_cmp_eq_u32 s29, 44
	s_cbranch_scc0 .LBB111_55
; %bb.52:
	global_load_u8 v1, v[10:11], off
	s_mov_b32 s28, 0
	s_mov_b32 s30, -1
	s_wait_loadcnt 0x0
	v_lshlrev_b32_e32 v3, 23, v1
	v_cmp_ne_u32_e32 vcc_lo, 0, v1
	s_delay_alu instid0(VALU_DEP_2) | instskip(NEXT) | instid1(VALU_DEP_1)
	v_cvt_i32_f32_e32 v3, v3
	v_cndmask_b32_e32 v4, 0, v3, vcc_lo
	s_branch .LBB111_56
.LBB111_53:
	s_mov_b32 s42, -1
	s_mov_b32 s29, 0
	s_branch .LBB111_161
.LBB111_54:
	s_mov_b32 s42, -1
	s_mov_b32 s30, 0
	s_mov_b32 s31, 0
                                        ; implicit-def: $vgpr10
	s_branch .LBB111_280
.LBB111_55:
	s_mov_b32 s28, -1
                                        ; implicit-def: $vgpr4
.LBB111_56:
	s_mov_b32 s31, 0
.LBB111_57:
	s_delay_alu instid0(SALU_CYCLE_1)
	s_and_b32 vcc_lo, exec_lo, s31
	s_cbranch_vccz .LBB111_61
; %bb.58:
	s_cmp_eq_u32 s29, 29
	s_cbranch_scc0 .LBB111_60
; %bb.59:
	global_load_b64 v[4:5], v[10:11], off
	s_mov_b32 s30, -1
	s_mov_b32 s28, 0
	s_branch .LBB111_61
.LBB111_60:
	s_mov_b32 s28, -1
                                        ; implicit-def: $vgpr4
.LBB111_61:
	s_mov_b32 s31, 0
.LBB111_62:
	s_delay_alu instid0(SALU_CYCLE_1)
	s_and_b32 vcc_lo, exec_lo, s31
	s_cbranch_vccz .LBB111_78
; %bb.63:
	s_cmp_lt_i32 s29, 27
	s_cbranch_scc1 .LBB111_66
; %bb.64:
	s_cmp_gt_i32 s29, 27
	s_cbranch_scc0 .LBB111_67
; %bb.65:
	s_wait_loadcnt 0x0
	global_load_b32 v4, v[10:11], off
	s_mov_b32 s30, 0
	s_branch .LBB111_68
.LBB111_66:
	s_mov_b32 s30, -1
                                        ; implicit-def: $vgpr4
	s_branch .LBB111_71
.LBB111_67:
	s_mov_b32 s30, -1
                                        ; implicit-def: $vgpr4
.LBB111_68:
	s_delay_alu instid0(SALU_CYCLE_1)
	s_and_not1_b32 vcc_lo, exec_lo, s30
	s_cbranch_vccnz .LBB111_70
; %bb.69:
	s_wait_loadcnt 0x0
	global_load_u16 v4, v[10:11], off
.LBB111_70:
	s_mov_b32 s30, 0
.LBB111_71:
	s_delay_alu instid0(SALU_CYCLE_1)
	s_and_not1_b32 vcc_lo, exec_lo, s30
	s_cbranch_vccnz .LBB111_77
; %bb.72:
	global_load_u8 v1, v[10:11], off
	s_mov_b32 s31, 0
	s_mov_b32 s30, exec_lo
	s_wait_loadcnt 0x0
	v_cmpx_lt_i16_e32 0x7f, v1
	s_xor_b32 s30, exec_lo, s30
	s_cbranch_execz .LBB111_88
; %bb.73:
	v_cmp_ne_u16_e32 vcc_lo, 0x80, v1
	s_and_b32 s31, vcc_lo, exec_lo
	s_and_not1_saveexec_b32 s30, s30
	s_cbranch_execnz .LBB111_89
.LBB111_74:
	s_or_b32 exec_lo, exec_lo, s30
	v_mov_b32_e32 v4, 0
	s_and_saveexec_b32 s30, s31
	s_cbranch_execz .LBB111_76
.LBB111_75:
	v_and_b32_e32 v3, 0xffff, v1
	s_delay_alu instid0(VALU_DEP_1) | instskip(SKIP_1) | instid1(VALU_DEP_2)
	v_and_b32_e32 v4, 7, v3
	v_bfe_u32 v9, v3, 3, 4
	v_clz_i32_u32_e32 v5, v4
	s_delay_alu instid0(VALU_DEP_2) | instskip(NEXT) | instid1(VALU_DEP_2)
	v_cmp_eq_u32_e32 vcc_lo, 0, v9
	v_min_u32_e32 v5, 32, v5
	s_delay_alu instid0(VALU_DEP_1) | instskip(NEXT) | instid1(VALU_DEP_1)
	v_subrev_nc_u32_e32 v7, 28, v5
	v_dual_lshlrev_b32 v3, v7, v3 :: v_dual_sub_nc_u32 v5, 29, v5
	s_delay_alu instid0(VALU_DEP_1) | instskip(NEXT) | instid1(VALU_DEP_1)
	v_dual_lshlrev_b32 v1, 24, v1 :: v_dual_bitop2_b32 v3, 7, v3 bitop3:0x40
	v_dual_cndmask_b32 v3, v4, v3, vcc_lo :: v_dual_cndmask_b32 v5, v9, v5, vcc_lo
	s_delay_alu instid0(VALU_DEP_2) | instskip(NEXT) | instid1(VALU_DEP_2)
	v_and_b32_e32 v1, 0x80000000, v1
	v_lshlrev_b32_e32 v3, 20, v3
	s_delay_alu instid0(VALU_DEP_3) | instskip(NEXT) | instid1(VALU_DEP_1)
	v_lshl_add_u32 v4, v5, 23, 0x3b800000
	v_or3_b32 v1, v1, v4, v3
	s_delay_alu instid0(VALU_DEP_1)
	v_cvt_i32_f32_e32 v4, v1
.LBB111_76:
	s_or_b32 exec_lo, exec_lo, s30
.LBB111_77:
	s_mov_b32 s30, -1
.LBB111_78:
	s_branch .LBB111_111
.LBB111_79:
	s_cmp_gt_i32 s29, 22
	s_cbranch_scc0 .LBB111_87
; %bb.80:
	s_cmp_lt_i32 s29, 24
	s_cbranch_scc1 .LBB111_90
; %bb.81:
	s_cmp_gt_i32 s29, 24
	s_cbranch_scc0 .LBB111_91
; %bb.82:
	global_load_u8 v1, v[10:11], off
	s_mov_b32 s31, 0
	s_mov_b32 s30, exec_lo
	s_wait_loadcnt 0x0
	v_cmpx_lt_i16_e32 0x7f, v1
	s_xor_b32 s30, exec_lo, s30
	s_cbranch_execz .LBB111_103
; %bb.83:
	v_cmp_ne_u16_e32 vcc_lo, 0x80, v1
	s_and_b32 s31, vcc_lo, exec_lo
	s_and_not1_saveexec_b32 s30, s30
	s_cbranch_execnz .LBB111_104
.LBB111_84:
	s_or_b32 exec_lo, exec_lo, s30
	v_mov_b32_e32 v4, 0
	s_and_saveexec_b32 s30, s31
	s_cbranch_execz .LBB111_86
.LBB111_85:
	v_and_b32_e32 v3, 0xffff, v1
	s_delay_alu instid0(VALU_DEP_1) | instskip(SKIP_1) | instid1(VALU_DEP_2)
	v_and_b32_e32 v4, 3, v3
	v_bfe_u32 v9, v3, 2, 5
	v_clz_i32_u32_e32 v5, v4
	s_delay_alu instid0(VALU_DEP_2) | instskip(NEXT) | instid1(VALU_DEP_2)
	v_cmp_eq_u32_e32 vcc_lo, 0, v9
	v_min_u32_e32 v5, 32, v5
	s_delay_alu instid0(VALU_DEP_1) | instskip(NEXT) | instid1(VALU_DEP_1)
	v_subrev_nc_u32_e32 v7, 29, v5
	v_dual_lshlrev_b32 v3, v7, v3 :: v_dual_sub_nc_u32 v5, 30, v5
	s_delay_alu instid0(VALU_DEP_1) | instskip(NEXT) | instid1(VALU_DEP_1)
	v_dual_lshlrev_b32 v1, 24, v1 :: v_dual_bitop2_b32 v3, 3, v3 bitop3:0x40
	v_dual_cndmask_b32 v3, v4, v3, vcc_lo :: v_dual_cndmask_b32 v5, v9, v5, vcc_lo
	s_delay_alu instid0(VALU_DEP_2) | instskip(NEXT) | instid1(VALU_DEP_2)
	v_and_b32_e32 v1, 0x80000000, v1
	v_lshlrev_b32_e32 v3, 21, v3
	s_delay_alu instid0(VALU_DEP_3) | instskip(NEXT) | instid1(VALU_DEP_1)
	v_lshl_add_u32 v4, v5, 23, 0x37800000
	v_or3_b32 v1, v1, v4, v3
	s_delay_alu instid0(VALU_DEP_1)
	v_cvt_i32_f32_e32 v4, v1
.LBB111_86:
	s_or_b32 exec_lo, exec_lo, s30
	s_mov_b32 s30, 0
	s_branch .LBB111_92
.LBB111_87:
	s_mov_b32 s31, -1
                                        ; implicit-def: $vgpr4
	s_branch .LBB111_98
.LBB111_88:
	s_and_not1_saveexec_b32 s30, s30
	s_cbranch_execz .LBB111_74
.LBB111_89:
	v_cmp_ne_u16_e32 vcc_lo, 0, v1
	s_and_not1_b32 s31, s31, exec_lo
	s_and_b32 s42, vcc_lo, exec_lo
	s_delay_alu instid0(SALU_CYCLE_1)
	s_or_b32 s31, s31, s42
	s_or_b32 exec_lo, exec_lo, s30
	v_mov_b32_e32 v4, 0
	s_and_saveexec_b32 s30, s31
	s_cbranch_execnz .LBB111_75
	s_branch .LBB111_76
.LBB111_90:
	s_mov_b32 s30, -1
                                        ; implicit-def: $vgpr4
	s_branch .LBB111_95
.LBB111_91:
	s_mov_b32 s30, -1
                                        ; implicit-def: $vgpr4
.LBB111_92:
	s_delay_alu instid0(SALU_CYCLE_1)
	s_and_b32 vcc_lo, exec_lo, s30
	s_cbranch_vccz .LBB111_94
; %bb.93:
	global_load_u8 v1, v[10:11], off
	s_wait_loadcnt 0x0
	v_lshlrev_b32_e32 v1, 24, v1
	s_delay_alu instid0(VALU_DEP_1) | instskip(NEXT) | instid1(VALU_DEP_1)
	v_and_b32_e32 v3, 0x7f000000, v1
	v_clz_i32_u32_e32 v4, v3
	v_add_nc_u32_e32 v7, 0x1000000, v3
	v_cmp_ne_u32_e32 vcc_lo, 0, v3
	s_delay_alu instid0(VALU_DEP_3) | instskip(NEXT) | instid1(VALU_DEP_1)
	v_min_u32_e32 v4, 32, v4
	v_sub_nc_u32_e64 v4, v4, 4 clamp
	s_delay_alu instid0(VALU_DEP_1) | instskip(NEXT) | instid1(VALU_DEP_1)
	v_dual_lshlrev_b32 v5, v4, v3 :: v_dual_lshlrev_b32 v4, 23, v4
	v_lshrrev_b32_e32 v5, 4, v5
	s_delay_alu instid0(VALU_DEP_1) | instskip(NEXT) | instid1(VALU_DEP_1)
	v_dual_sub_nc_u32 v4, v5, v4 :: v_dual_ashrrev_i32 v5, 8, v7
	v_add_nc_u32_e32 v4, 0x3c000000, v4
	s_delay_alu instid0(VALU_DEP_1) | instskip(NEXT) | instid1(VALU_DEP_1)
	v_and_or_b32 v4, 0x7f800000, v5, v4
	v_cndmask_b32_e32 v3, 0, v4, vcc_lo
	s_delay_alu instid0(VALU_DEP_1) | instskip(NEXT) | instid1(VALU_DEP_1)
	v_and_or_b32 v1, 0x80000000, v1, v3
	v_cvt_i32_f32_e32 v4, v1
.LBB111_94:
	s_mov_b32 s30, 0
.LBB111_95:
	s_delay_alu instid0(SALU_CYCLE_1)
	s_and_not1_b32 vcc_lo, exec_lo, s30
	s_cbranch_vccnz .LBB111_97
; %bb.96:
	global_load_u8 v1, v[10:11], off
	s_wait_loadcnt 0x0
	v_lshlrev_b32_e32 v3, 25, v1
	v_lshlrev_b16 v1, 8, v1
	s_delay_alu instid0(VALU_DEP_1) | instskip(NEXT) | instid1(VALU_DEP_3)
	v_and_or_b32 v5, 0x7f00, v1, 0.5
	v_lshrrev_b32_e32 v4, 4, v3
	v_bfe_i32 v1, v1, 0, 16
	s_delay_alu instid0(VALU_DEP_3) | instskip(NEXT) | instid1(VALU_DEP_3)
	v_add_f32_e32 v5, -0.5, v5
	v_or_b32_e32 v4, 0x70000000, v4
	s_delay_alu instid0(VALU_DEP_1) | instskip(SKIP_1) | instid1(VALU_DEP_2)
	v_mul_f32_e32 v4, 0x7800000, v4
	v_cmp_gt_u32_e32 vcc_lo, 0x8000000, v3
	v_cndmask_b32_e32 v3, v4, v5, vcc_lo
	s_delay_alu instid0(VALU_DEP_1) | instskip(NEXT) | instid1(VALU_DEP_1)
	v_and_or_b32 v1, 0x80000000, v1, v3
	v_cvt_i32_f32_e32 v4, v1
.LBB111_97:
	s_mov_b32 s31, 0
	s_mov_b32 s30, -1
.LBB111_98:
	s_and_not1_b32 vcc_lo, exec_lo, s31
	s_cbranch_vccnz .LBB111_111
; %bb.99:
	s_cmp_gt_i32 s29, 14
	s_cbranch_scc0 .LBB111_102
; %bb.100:
	s_cmp_eq_u32 s29, 15
	s_cbranch_scc0 .LBB111_105
; %bb.101:
	global_load_u16 v1, v[10:11], off
	s_mov_b32 s30, -1
	s_mov_b32 s28, 0
	s_wait_loadcnt 0x0
	v_lshlrev_b32_e32 v1, 16, v1
	s_delay_alu instid0(VALU_DEP_1)
	v_cvt_i32_f32_e32 v4, v1
	s_branch .LBB111_106
.LBB111_102:
	s_mov_b32 s31, -1
                                        ; implicit-def: $vgpr4
	s_branch .LBB111_107
.LBB111_103:
	s_and_not1_saveexec_b32 s30, s30
	s_cbranch_execz .LBB111_84
.LBB111_104:
	v_cmp_ne_u16_e32 vcc_lo, 0, v1
	s_and_not1_b32 s31, s31, exec_lo
	s_and_b32 s42, vcc_lo, exec_lo
	s_delay_alu instid0(SALU_CYCLE_1)
	s_or_b32 s31, s31, s42
	s_or_b32 exec_lo, exec_lo, s30
	v_mov_b32_e32 v4, 0
	s_and_saveexec_b32 s30, s31
	s_cbranch_execnz .LBB111_85
	s_branch .LBB111_86
.LBB111_105:
	s_mov_b32 s28, -1
                                        ; implicit-def: $vgpr4
.LBB111_106:
	s_mov_b32 s31, 0
.LBB111_107:
	s_delay_alu instid0(SALU_CYCLE_1)
	s_and_b32 vcc_lo, exec_lo, s31
	s_cbranch_vccz .LBB111_111
; %bb.108:
	s_cmp_eq_u32 s29, 11
	s_cbranch_scc0 .LBB111_110
; %bb.109:
	global_load_u8 v1, v[10:11], off
	s_mov_b32 s28, 0
	s_mov_b32 s30, -1
	s_wait_loadcnt 0x0
	v_cmp_ne_u16_e32 vcc_lo, 0, v1
	v_cndmask_b32_e64 v4, 0, 1, vcc_lo
	s_branch .LBB111_111
.LBB111_110:
	s_mov_b32 s28, -1
                                        ; implicit-def: $vgpr4
.LBB111_111:
	s_branch .LBB111_21
.LBB111_112:
	s_and_b32 s0, 0xffff, s0
	s_delay_alu instid0(SALU_CYCLE_1)
	s_cmp_lt_i32 s0, 5
	s_cbranch_scc1 .LBB111_117
; %bb.113:
	s_cmp_lt_i32 s0, 8
	s_cbranch_scc1 .LBB111_118
; %bb.114:
	;; [unrolled: 3-line block ×3, first 2 shown]
	s_cmp_gt_i32 s0, 9
	s_cbranch_scc0 .LBB111_120
; %bb.116:
	s_wait_loadcnt 0x0
	global_load_b64 v[4:5], v[10:11], off
	s_mov_b32 s29, 0
	s_wait_loadcnt 0x0
	v_cvt_i32_f64_e32 v4, v[4:5]
	s_branch .LBB111_121
.LBB111_117:
                                        ; implicit-def: $vgpr4
	s_branch .LBB111_139
.LBB111_118:
	s_mov_b32 s29, -1
                                        ; implicit-def: $vgpr4
	s_branch .LBB111_127
.LBB111_119:
	s_mov_b32 s29, -1
                                        ; implicit-def: $vgpr4
	s_branch .LBB111_124
.LBB111_120:
	s_mov_b32 s29, -1
                                        ; implicit-def: $vgpr4
.LBB111_121:
	s_delay_alu instid0(SALU_CYCLE_1)
	s_and_not1_b32 vcc_lo, exec_lo, s29
	s_cbranch_vccnz .LBB111_123
; %bb.122:
	global_load_b32 v1, v[10:11], off
	s_wait_loadcnt 0x0
	v_cvt_i32_f32_e32 v4, v1
.LBB111_123:
	s_mov_b32 s29, 0
.LBB111_124:
	s_delay_alu instid0(SALU_CYCLE_1)
	s_and_not1_b32 vcc_lo, exec_lo, s29
	s_cbranch_vccnz .LBB111_126
; %bb.125:
	global_load_b32 v1, v[10:11], off
	s_wait_loadcnt 0x0
	v_cvt_i16_f16_e32 v4, v1
.LBB111_126:
	s_mov_b32 s29, 0
.LBB111_127:
	s_delay_alu instid0(SALU_CYCLE_1)
	s_and_not1_b32 vcc_lo, exec_lo, s29
	s_cbranch_vccnz .LBB111_138
; %bb.128:
	s_cmp_lt_i32 s0, 6
	s_cbranch_scc1 .LBB111_131
; %bb.129:
	s_cmp_gt_i32 s0, 6
	s_cbranch_scc0 .LBB111_132
; %bb.130:
	s_wait_loadcnt 0x0
	global_load_b64 v[4:5], v[10:11], off
	s_mov_b32 s29, 0
	s_wait_loadcnt 0x0
	v_cvt_i32_f64_e32 v4, v[4:5]
	s_branch .LBB111_133
.LBB111_131:
	s_mov_b32 s29, -1
                                        ; implicit-def: $vgpr4
	s_branch .LBB111_136
.LBB111_132:
	s_mov_b32 s29, -1
                                        ; implicit-def: $vgpr4
.LBB111_133:
	s_delay_alu instid0(SALU_CYCLE_1)
	s_and_not1_b32 vcc_lo, exec_lo, s29
	s_cbranch_vccnz .LBB111_135
; %bb.134:
	global_load_b32 v1, v[10:11], off
	s_wait_loadcnt 0x0
	v_cvt_i32_f32_e32 v4, v1
.LBB111_135:
	s_mov_b32 s29, 0
.LBB111_136:
	s_delay_alu instid0(SALU_CYCLE_1)
	s_and_not1_b32 vcc_lo, exec_lo, s29
	s_cbranch_vccnz .LBB111_138
; %bb.137:
	global_load_u16 v1, v[10:11], off
	s_wait_loadcnt 0x0
	v_cvt_i16_f16_e32 v4, v1
.LBB111_138:
	s_cbranch_execnz .LBB111_158
.LBB111_139:
	s_cmp_lt_i32 s0, 2
	s_cbranch_scc1 .LBB111_143
; %bb.140:
	s_cmp_lt_i32 s0, 3
	s_cbranch_scc1 .LBB111_144
; %bb.141:
	s_cmp_gt_i32 s0, 3
	s_cbranch_scc0 .LBB111_145
; %bb.142:
	s_wait_loadcnt 0x0
	global_load_b64 v[4:5], v[10:11], off
	s_mov_b32 s29, 0
	s_branch .LBB111_146
.LBB111_143:
	s_mov_b32 s29, -1
                                        ; implicit-def: $vgpr4
	s_branch .LBB111_152
.LBB111_144:
	s_mov_b32 s29, -1
                                        ; implicit-def: $vgpr4
	s_branch .LBB111_149
.LBB111_145:
	s_mov_b32 s29, -1
                                        ; implicit-def: $vgpr4
.LBB111_146:
	s_delay_alu instid0(SALU_CYCLE_1)
	s_and_not1_b32 vcc_lo, exec_lo, s29
	s_cbranch_vccnz .LBB111_148
; %bb.147:
	s_wait_loadcnt 0x0
	global_load_b32 v4, v[10:11], off
.LBB111_148:
	s_mov_b32 s29, 0
.LBB111_149:
	s_delay_alu instid0(SALU_CYCLE_1)
	s_and_not1_b32 vcc_lo, exec_lo, s29
	s_cbranch_vccnz .LBB111_151
; %bb.150:
	s_wait_loadcnt 0x0
	global_load_u16 v4, v[10:11], off
.LBB111_151:
	s_mov_b32 s29, 0
.LBB111_152:
	s_delay_alu instid0(SALU_CYCLE_1)
	s_and_not1_b32 vcc_lo, exec_lo, s29
	s_cbranch_vccnz .LBB111_158
; %bb.153:
	s_cmp_gt_i32 s0, 0
	s_mov_b32 s0, 0
	s_cbranch_scc0 .LBB111_155
; %bb.154:
	s_wait_loadcnt 0x0
	global_load_u8 v4, v[10:11], off
	s_branch .LBB111_156
.LBB111_155:
	s_mov_b32 s0, -1
                                        ; implicit-def: $vgpr4
.LBB111_156:
	s_delay_alu instid0(SALU_CYCLE_1)
	s_and_not1_b32 vcc_lo, exec_lo, s0
	s_cbranch_vccnz .LBB111_158
; %bb.157:
	s_wait_loadcnt 0x0
	global_load_u8 v4, v[10:11], off
.LBB111_158:
	s_branch .LBB111_22
.LBB111_159:
	s_mov_b32 s0, 0
	s_mov_b32 s30, 0
	;; [unrolled: 1-line block ×3, first 2 shown]
	s_branch .LBB111_509
.LBB111_160:
	s_mov_b32 s29, -1
.LBB111_161:
	s_mov_b32 s31, 0
                                        ; implicit-def: $vgpr8
.LBB111_162:
	s_and_b32 vcc_lo, exec_lo, s42
	s_cbranch_vccz .LBB111_167
; %bb.163:
	s_cmp_eq_u32 s30, 44
	s_cbranch_scc0 .LBB111_166
; %bb.164:
	global_load_u8 v1, v[10:11], off
	s_mov_b32 s29, 0
	s_mov_b32 s31, -1
	s_wait_loadcnt 0x0
	v_lshlrev_b32_e32 v3, 23, v1
	v_cmp_ne_u32_e32 vcc_lo, 0, v1
	s_delay_alu instid0(VALU_DEP_2) | instskip(NEXT) | instid1(VALU_DEP_1)
	v_cvt_i32_f32_e32 v3, v3
	v_cndmask_b32_e32 v8, 0, v3, vcc_lo
	s_branch .LBB111_167
.LBB111_165:
	s_mov_b32 s42, -1
	s_mov_b32 s30, 0
	s_branch .LBB111_274
.LBB111_166:
	s_mov_b32 s29, -1
                                        ; implicit-def: $vgpr8
.LBB111_167:
	s_mov_b32 s42, 0
.LBB111_168:
	s_delay_alu instid0(SALU_CYCLE_1)
	s_and_b32 vcc_lo, exec_lo, s42
	s_cbranch_vccz .LBB111_172
; %bb.169:
	s_cmp_eq_u32 s30, 29
	s_cbranch_scc0 .LBB111_171
; %bb.170:
	global_load_b64 v[8:9], v[10:11], off
	s_mov_b32 s31, -1
	s_mov_b32 s29, 0
	s_branch .LBB111_172
.LBB111_171:
	s_mov_b32 s29, -1
                                        ; implicit-def: $vgpr8
.LBB111_172:
	s_mov_b32 s42, 0
.LBB111_173:
	s_delay_alu instid0(SALU_CYCLE_1)
	s_and_b32 vcc_lo, exec_lo, s42
	s_cbranch_vccz .LBB111_189
; %bb.174:
	s_cmp_lt_i32 s30, 27
	s_cbranch_scc1 .LBB111_177
; %bb.175:
	s_cmp_gt_i32 s30, 27
	s_cbranch_scc0 .LBB111_178
; %bb.176:
	s_wait_loadcnt 0x0
	global_load_b32 v8, v[10:11], off
	s_mov_b32 s31, 0
	s_branch .LBB111_179
.LBB111_177:
	s_mov_b32 s31, -1
                                        ; implicit-def: $vgpr8
	s_branch .LBB111_182
.LBB111_178:
	s_mov_b32 s31, -1
                                        ; implicit-def: $vgpr8
.LBB111_179:
	s_delay_alu instid0(SALU_CYCLE_1)
	s_and_not1_b32 vcc_lo, exec_lo, s31
	s_cbranch_vccnz .LBB111_181
; %bb.180:
	s_wait_loadcnt 0x0
	global_load_u16 v8, v[10:11], off
.LBB111_181:
	s_mov_b32 s31, 0
.LBB111_182:
	s_delay_alu instid0(SALU_CYCLE_1)
	s_and_not1_b32 vcc_lo, exec_lo, s31
	s_cbranch_vccnz .LBB111_188
; %bb.183:
	global_load_u8 v1, v[10:11], off
	s_mov_b32 s42, 0
	s_mov_b32 s31, exec_lo
	s_wait_loadcnt 0x0
	v_cmpx_lt_i16_e32 0x7f, v1
	s_xor_b32 s31, exec_lo, s31
	s_cbranch_execz .LBB111_200
; %bb.184:
	v_cmp_ne_u16_e32 vcc_lo, 0x80, v1
	s_and_b32 s42, vcc_lo, exec_lo
	s_and_not1_saveexec_b32 s31, s31
	s_cbranch_execnz .LBB111_201
.LBB111_185:
	s_or_b32 exec_lo, exec_lo, s31
	v_mov_b32_e32 v8, 0
	s_and_saveexec_b32 s31, s42
	s_cbranch_execz .LBB111_187
.LBB111_186:
	v_and_b32_e32 v3, 0xffff, v1
	s_delay_alu instid0(VALU_DEP_1) | instskip(SKIP_1) | instid1(VALU_DEP_2)
	v_dual_lshlrev_b32 v1, 24, v1 :: v_dual_bitop2_b32 v5, 7, v3 bitop3:0x40
	v_bfe_u32 v9, v3, 3, 4
	v_and_b32_e32 v1, 0x80000000, v1
	s_delay_alu instid0(VALU_DEP_3) | instskip(NEXT) | instid1(VALU_DEP_3)
	v_clz_i32_u32_e32 v7, v5
	v_cmp_eq_u32_e32 vcc_lo, 0, v9
	s_delay_alu instid0(VALU_DEP_2) | instskip(NEXT) | instid1(VALU_DEP_1)
	v_min_u32_e32 v7, 32, v7
	v_subrev_nc_u32_e32 v8, 28, v7
	v_sub_nc_u32_e32 v7, 29, v7
	s_delay_alu instid0(VALU_DEP_2) | instskip(NEXT) | instid1(VALU_DEP_2)
	v_lshlrev_b32_e32 v3, v8, v3
	v_cndmask_b32_e32 v7, v9, v7, vcc_lo
	s_delay_alu instid0(VALU_DEP_2) | instskip(NEXT) | instid1(VALU_DEP_1)
	v_and_b32_e32 v3, 7, v3
	v_cndmask_b32_e32 v3, v5, v3, vcc_lo
	s_delay_alu instid0(VALU_DEP_3) | instskip(NEXT) | instid1(VALU_DEP_2)
	v_lshl_add_u32 v5, v7, 23, 0x3b800000
	v_lshlrev_b32_e32 v3, 20, v3
	s_delay_alu instid0(VALU_DEP_1) | instskip(NEXT) | instid1(VALU_DEP_1)
	v_or3_b32 v1, v1, v5, v3
	v_cvt_i32_f32_e32 v8, v1
.LBB111_187:
	s_or_b32 exec_lo, exec_lo, s31
.LBB111_188:
	s_mov_b32 s31, -1
.LBB111_189:
	s_mov_b32 s42, 0
.LBB111_190:
	s_delay_alu instid0(SALU_CYCLE_1)
	s_and_b32 vcc_lo, exec_lo, s42
	s_cbranch_vccz .LBB111_223
; %bb.191:
	s_cmp_gt_i32 s30, 22
	s_cbranch_scc0 .LBB111_199
; %bb.192:
	s_cmp_lt_i32 s30, 24
	s_cbranch_scc1 .LBB111_202
; %bb.193:
	s_cmp_gt_i32 s30, 24
	s_cbranch_scc0 .LBB111_203
; %bb.194:
	global_load_u8 v1, v[10:11], off
	s_mov_b32 s42, 0
	s_mov_b32 s31, exec_lo
	s_wait_loadcnt 0x0
	v_cmpx_lt_i16_e32 0x7f, v1
	s_xor_b32 s31, exec_lo, s31
	s_cbranch_execz .LBB111_215
; %bb.195:
	v_cmp_ne_u16_e32 vcc_lo, 0x80, v1
	s_and_b32 s42, vcc_lo, exec_lo
	s_and_not1_saveexec_b32 s31, s31
	s_cbranch_execnz .LBB111_216
.LBB111_196:
	s_or_b32 exec_lo, exec_lo, s31
	v_mov_b32_e32 v8, 0
	s_and_saveexec_b32 s31, s42
	s_cbranch_execz .LBB111_198
.LBB111_197:
	v_and_b32_e32 v3, 0xffff, v1
	s_delay_alu instid0(VALU_DEP_1) | instskip(SKIP_1) | instid1(VALU_DEP_2)
	v_dual_lshlrev_b32 v1, 24, v1 :: v_dual_bitop2_b32 v5, 3, v3 bitop3:0x40
	v_bfe_u32 v9, v3, 2, 5
	v_and_b32_e32 v1, 0x80000000, v1
	s_delay_alu instid0(VALU_DEP_3) | instskip(NEXT) | instid1(VALU_DEP_3)
	v_clz_i32_u32_e32 v7, v5
	v_cmp_eq_u32_e32 vcc_lo, 0, v9
	s_delay_alu instid0(VALU_DEP_2) | instskip(NEXT) | instid1(VALU_DEP_1)
	v_min_u32_e32 v7, 32, v7
	v_subrev_nc_u32_e32 v8, 29, v7
	v_sub_nc_u32_e32 v7, 30, v7
	s_delay_alu instid0(VALU_DEP_2) | instskip(NEXT) | instid1(VALU_DEP_2)
	v_lshlrev_b32_e32 v3, v8, v3
	v_cndmask_b32_e32 v7, v9, v7, vcc_lo
	s_delay_alu instid0(VALU_DEP_2) | instskip(NEXT) | instid1(VALU_DEP_1)
	v_and_b32_e32 v3, 3, v3
	v_cndmask_b32_e32 v3, v5, v3, vcc_lo
	s_delay_alu instid0(VALU_DEP_3) | instskip(NEXT) | instid1(VALU_DEP_2)
	v_lshl_add_u32 v5, v7, 23, 0x37800000
	v_lshlrev_b32_e32 v3, 21, v3
	s_delay_alu instid0(VALU_DEP_1) | instskip(NEXT) | instid1(VALU_DEP_1)
	v_or3_b32 v1, v1, v5, v3
	v_cvt_i32_f32_e32 v8, v1
.LBB111_198:
	s_or_b32 exec_lo, exec_lo, s31
	s_mov_b32 s31, 0
	s_branch .LBB111_204
.LBB111_199:
	s_mov_b32 s42, -1
                                        ; implicit-def: $vgpr8
	s_branch .LBB111_210
.LBB111_200:
	s_and_not1_saveexec_b32 s31, s31
	s_cbranch_execz .LBB111_185
.LBB111_201:
	v_cmp_ne_u16_e32 vcc_lo, 0, v1
	s_and_not1_b32 s42, s42, exec_lo
	s_and_b32 s46, vcc_lo, exec_lo
	s_delay_alu instid0(SALU_CYCLE_1)
	s_or_b32 s42, s42, s46
	s_or_b32 exec_lo, exec_lo, s31
	v_mov_b32_e32 v8, 0
	s_and_saveexec_b32 s31, s42
	s_cbranch_execnz .LBB111_186
	s_branch .LBB111_187
.LBB111_202:
	s_mov_b32 s31, -1
                                        ; implicit-def: $vgpr8
	s_branch .LBB111_207
.LBB111_203:
	s_mov_b32 s31, -1
                                        ; implicit-def: $vgpr8
.LBB111_204:
	s_delay_alu instid0(SALU_CYCLE_1)
	s_and_b32 vcc_lo, exec_lo, s31
	s_cbranch_vccz .LBB111_206
; %bb.205:
	global_load_u8 v1, v[10:11], off
	s_wait_loadcnt 0x0
	v_lshlrev_b32_e32 v1, 24, v1
	s_delay_alu instid0(VALU_DEP_1) | instskip(NEXT) | instid1(VALU_DEP_1)
	v_and_b32_e32 v3, 0x7f000000, v1
	v_clz_i32_u32_e32 v5, v3
	v_cmp_ne_u32_e32 vcc_lo, 0, v3
	v_add_nc_u32_e32 v8, 0x1000000, v3
	s_delay_alu instid0(VALU_DEP_3) | instskip(NEXT) | instid1(VALU_DEP_1)
	v_min_u32_e32 v5, 32, v5
	v_sub_nc_u32_e64 v5, v5, 4 clamp
	s_delay_alu instid0(VALU_DEP_1) | instskip(NEXT) | instid1(VALU_DEP_1)
	v_dual_lshlrev_b32 v7, v5, v3 :: v_dual_lshlrev_b32 v5, 23, v5
	v_lshrrev_b32_e32 v7, 4, v7
	s_delay_alu instid0(VALU_DEP_1) | instskip(NEXT) | instid1(VALU_DEP_1)
	v_dual_sub_nc_u32 v5, v7, v5 :: v_dual_ashrrev_i32 v7, 8, v8
	v_add_nc_u32_e32 v5, 0x3c000000, v5
	s_delay_alu instid0(VALU_DEP_1) | instskip(NEXT) | instid1(VALU_DEP_1)
	v_and_or_b32 v5, 0x7f800000, v7, v5
	v_cndmask_b32_e32 v3, 0, v5, vcc_lo
	s_delay_alu instid0(VALU_DEP_1) | instskip(NEXT) | instid1(VALU_DEP_1)
	v_and_or_b32 v1, 0x80000000, v1, v3
	v_cvt_i32_f32_e32 v8, v1
.LBB111_206:
	s_mov_b32 s31, 0
.LBB111_207:
	s_delay_alu instid0(SALU_CYCLE_1)
	s_and_not1_b32 vcc_lo, exec_lo, s31
	s_cbranch_vccnz .LBB111_209
; %bb.208:
	global_load_u8 v1, v[10:11], off
	s_wait_loadcnt 0x0
	v_lshlrev_b32_e32 v3, 25, v1
	v_lshlrev_b16 v1, 8, v1
	s_delay_alu instid0(VALU_DEP_1) | instskip(SKIP_1) | instid1(VALU_DEP_2)
	v_and_or_b32 v7, 0x7f00, v1, 0.5
	v_bfe_i32 v1, v1, 0, 16
	v_add_f32_e32 v7, -0.5, v7
	v_lshrrev_b32_e32 v5, 4, v3
	v_cmp_gt_u32_e32 vcc_lo, 0x8000000, v3
	s_delay_alu instid0(VALU_DEP_2) | instskip(NEXT) | instid1(VALU_DEP_1)
	v_or_b32_e32 v5, 0x70000000, v5
	v_mul_f32_e32 v5, 0x7800000, v5
	s_delay_alu instid0(VALU_DEP_1) | instskip(NEXT) | instid1(VALU_DEP_1)
	v_cndmask_b32_e32 v3, v5, v7, vcc_lo
	v_and_or_b32 v1, 0x80000000, v1, v3
	s_delay_alu instid0(VALU_DEP_1)
	v_cvt_i32_f32_e32 v8, v1
.LBB111_209:
	s_mov_b32 s42, 0
	s_mov_b32 s31, -1
.LBB111_210:
	s_and_not1_b32 vcc_lo, exec_lo, s42
	s_cbranch_vccnz .LBB111_223
; %bb.211:
	s_cmp_gt_i32 s30, 14
	s_cbranch_scc0 .LBB111_214
; %bb.212:
	s_cmp_eq_u32 s30, 15
	s_cbranch_scc0 .LBB111_217
; %bb.213:
	global_load_u16 v1, v[10:11], off
	s_mov_b32 s31, -1
	s_mov_b32 s29, 0
	s_wait_loadcnt 0x0
	v_lshlrev_b32_e32 v1, 16, v1
	s_delay_alu instid0(VALU_DEP_1)
	v_cvt_i32_f32_e32 v8, v1
	s_branch .LBB111_218
.LBB111_214:
	s_mov_b32 s42, -1
                                        ; implicit-def: $vgpr8
	s_branch .LBB111_219
.LBB111_215:
	s_and_not1_saveexec_b32 s31, s31
	s_cbranch_execz .LBB111_196
.LBB111_216:
	v_cmp_ne_u16_e32 vcc_lo, 0, v1
	s_and_not1_b32 s42, s42, exec_lo
	s_and_b32 s46, vcc_lo, exec_lo
	s_delay_alu instid0(SALU_CYCLE_1)
	s_or_b32 s42, s42, s46
	s_or_b32 exec_lo, exec_lo, s31
	v_mov_b32_e32 v8, 0
	s_and_saveexec_b32 s31, s42
	s_cbranch_execnz .LBB111_197
	s_branch .LBB111_198
.LBB111_217:
	s_mov_b32 s29, -1
                                        ; implicit-def: $vgpr8
.LBB111_218:
	s_mov_b32 s42, 0
.LBB111_219:
	s_delay_alu instid0(SALU_CYCLE_1)
	s_and_b32 vcc_lo, exec_lo, s42
	s_cbranch_vccz .LBB111_223
; %bb.220:
	s_cmp_eq_u32 s30, 11
	s_cbranch_scc0 .LBB111_222
; %bb.221:
	global_load_u8 v1, v[10:11], off
	s_mov_b32 s29, 0
	s_mov_b32 s31, -1
	s_wait_loadcnt 0x0
	v_cmp_ne_u16_e32 vcc_lo, 0, v1
	v_cndmask_b32_e64 v8, 0, 1, vcc_lo
	s_branch .LBB111_223
.LBB111_222:
	s_mov_b32 s29, -1
                                        ; implicit-def: $vgpr8
.LBB111_223:
	s_branch .LBB111_31
.LBB111_224:
	s_and_b32 s0, 0xffff, s0
	s_delay_alu instid0(SALU_CYCLE_1)
	s_cmp_lt_i32 s0, 5
	s_cbranch_scc1 .LBB111_229
; %bb.225:
	s_cmp_lt_i32 s0, 8
	s_cbranch_scc1 .LBB111_230
; %bb.226:
	;; [unrolled: 3-line block ×3, first 2 shown]
	s_cmp_gt_i32 s0, 9
	s_cbranch_scc0 .LBB111_232
; %bb.228:
	s_wait_loadcnt 0x0
	global_load_b64 v[8:9], v[10:11], off
	s_mov_b32 s30, 0
	s_wait_loadcnt 0x0
	v_cvt_i32_f64_e32 v8, v[8:9]
	s_branch .LBB111_233
.LBB111_229:
	s_mov_b32 s30, -1
                                        ; implicit-def: $vgpr8
	s_branch .LBB111_251
.LBB111_230:
	s_mov_b32 s30, -1
                                        ; implicit-def: $vgpr8
	s_branch .LBB111_239
.LBB111_231:
	s_mov_b32 s30, -1
                                        ; implicit-def: $vgpr8
	s_branch .LBB111_236
.LBB111_232:
	s_mov_b32 s30, -1
                                        ; implicit-def: $vgpr8
.LBB111_233:
	s_delay_alu instid0(SALU_CYCLE_1)
	s_and_not1_b32 vcc_lo, exec_lo, s30
	s_cbranch_vccnz .LBB111_235
; %bb.234:
	global_load_b32 v1, v[10:11], off
	s_wait_loadcnt 0x0
	v_cvt_i32_f32_e32 v8, v1
.LBB111_235:
	s_mov_b32 s30, 0
.LBB111_236:
	s_delay_alu instid0(SALU_CYCLE_1)
	s_and_not1_b32 vcc_lo, exec_lo, s30
	s_cbranch_vccnz .LBB111_238
; %bb.237:
	global_load_b32 v1, v[10:11], off
	s_wait_loadcnt 0x0
	v_cvt_i16_f16_e32 v8, v1
.LBB111_238:
	s_mov_b32 s30, 0
.LBB111_239:
	s_delay_alu instid0(SALU_CYCLE_1)
	s_and_not1_b32 vcc_lo, exec_lo, s30
	s_cbranch_vccnz .LBB111_250
; %bb.240:
	s_cmp_lt_i32 s0, 6
	s_cbranch_scc1 .LBB111_243
; %bb.241:
	s_cmp_gt_i32 s0, 6
	s_cbranch_scc0 .LBB111_244
; %bb.242:
	s_wait_loadcnt 0x0
	global_load_b64 v[8:9], v[10:11], off
	s_mov_b32 s30, 0
	s_wait_loadcnt 0x0
	v_cvt_i32_f64_e32 v8, v[8:9]
	s_branch .LBB111_245
.LBB111_243:
	s_mov_b32 s30, -1
                                        ; implicit-def: $vgpr8
	s_branch .LBB111_248
.LBB111_244:
	s_mov_b32 s30, -1
                                        ; implicit-def: $vgpr8
.LBB111_245:
	s_delay_alu instid0(SALU_CYCLE_1)
	s_and_not1_b32 vcc_lo, exec_lo, s30
	s_cbranch_vccnz .LBB111_247
; %bb.246:
	global_load_b32 v1, v[10:11], off
	s_wait_loadcnt 0x0
	v_cvt_i32_f32_e32 v8, v1
.LBB111_247:
	s_mov_b32 s30, 0
.LBB111_248:
	s_delay_alu instid0(SALU_CYCLE_1)
	s_and_not1_b32 vcc_lo, exec_lo, s30
	s_cbranch_vccnz .LBB111_250
; %bb.249:
	global_load_u16 v1, v[10:11], off
	s_wait_loadcnt 0x0
	v_cvt_i16_f16_e32 v8, v1
.LBB111_250:
	s_mov_b32 s30, 0
.LBB111_251:
	s_delay_alu instid0(SALU_CYCLE_1)
	s_and_not1_b32 vcc_lo, exec_lo, s30
	s_cbranch_vccnz .LBB111_271
; %bb.252:
	s_cmp_lt_i32 s0, 2
	s_cbranch_scc1 .LBB111_256
; %bb.253:
	s_cmp_lt_i32 s0, 3
	s_cbranch_scc1 .LBB111_257
; %bb.254:
	s_cmp_gt_i32 s0, 3
	s_cbranch_scc0 .LBB111_258
; %bb.255:
	s_wait_loadcnt 0x0
	global_load_b64 v[8:9], v[10:11], off
	s_mov_b32 s30, 0
	s_branch .LBB111_259
.LBB111_256:
	s_mov_b32 s30, -1
                                        ; implicit-def: $vgpr8
	s_branch .LBB111_265
.LBB111_257:
	s_mov_b32 s30, -1
                                        ; implicit-def: $vgpr8
	s_branch .LBB111_262
.LBB111_258:
	s_mov_b32 s30, -1
                                        ; implicit-def: $vgpr8
.LBB111_259:
	s_delay_alu instid0(SALU_CYCLE_1)
	s_and_not1_b32 vcc_lo, exec_lo, s30
	s_cbranch_vccnz .LBB111_261
; %bb.260:
	s_wait_loadcnt 0x0
	global_load_b32 v8, v[10:11], off
.LBB111_261:
	s_mov_b32 s30, 0
.LBB111_262:
	s_delay_alu instid0(SALU_CYCLE_1)
	s_and_not1_b32 vcc_lo, exec_lo, s30
	s_cbranch_vccnz .LBB111_264
; %bb.263:
	s_wait_loadcnt 0x0
	global_load_u16 v8, v[10:11], off
.LBB111_264:
	s_mov_b32 s30, 0
.LBB111_265:
	s_delay_alu instid0(SALU_CYCLE_1)
	s_and_not1_b32 vcc_lo, exec_lo, s30
	s_cbranch_vccnz .LBB111_271
; %bb.266:
	s_cmp_gt_i32 s0, 0
	s_mov_b32 s0, 0
	s_cbranch_scc0 .LBB111_268
; %bb.267:
	s_wait_loadcnt 0x0
	global_load_u8 v8, v[10:11], off
	s_branch .LBB111_269
.LBB111_268:
	s_mov_b32 s0, -1
                                        ; implicit-def: $vgpr8
.LBB111_269:
	s_delay_alu instid0(SALU_CYCLE_1)
	s_and_not1_b32 vcc_lo, exec_lo, s0
	s_cbranch_vccnz .LBB111_271
; %bb.270:
	s_wait_loadcnt 0x0
	global_load_u8 v8, v[10:11], off
.LBB111_271:
	s_branch .LBB111_32
.LBB111_272:
	s_mov_b32 s0, 0
	s_mov_b32 s30, 0
	s_branch .LBB111_509
.LBB111_273:
	s_mov_b32 s30, -1
.LBB111_274:
	s_mov_b32 s31, 0
                                        ; implicit-def: $vgpr10
.LBB111_275:
	s_and_b32 vcc_lo, exec_lo, s42
	s_cbranch_vccz .LBB111_279
; %bb.276:
	s_cmp_eq_u32 s0, 44
	s_cbranch_scc0 .LBB111_278
; %bb.277:
	global_load_u8 v1, v[6:7], off
	s_mov_b32 s30, 0
	s_mov_b32 s31, -1
	s_wait_loadcnt 0x0
	v_lshlrev_b32_e32 v3, 23, v1
	v_cmp_ne_u32_e32 vcc_lo, 0, v1
	s_delay_alu instid0(VALU_DEP_2) | instskip(NEXT) | instid1(VALU_DEP_1)
	v_cvt_i32_f32_e32 v3, v3
	v_cndmask_b32_e32 v10, 0, v3, vcc_lo
	s_branch .LBB111_279
.LBB111_278:
	s_mov_b32 s30, -1
                                        ; implicit-def: $vgpr10
.LBB111_279:
	s_mov_b32 s42, 0
.LBB111_280:
	s_delay_alu instid0(SALU_CYCLE_1)
	s_and_b32 vcc_lo, exec_lo, s42
	s_cbranch_vccz .LBB111_284
; %bb.281:
	s_cmp_eq_u32 s0, 29
	s_cbranch_scc0 .LBB111_283
; %bb.282:
	global_load_b64 v[10:11], v[6:7], off
	s_mov_b32 s31, -1
	s_mov_b32 s30, 0
	s_branch .LBB111_284
.LBB111_283:
	s_mov_b32 s30, -1
                                        ; implicit-def: $vgpr10
.LBB111_284:
	s_mov_b32 s42, 0
.LBB111_285:
	s_delay_alu instid0(SALU_CYCLE_1)
	s_and_b32 vcc_lo, exec_lo, s42
	s_cbranch_vccz .LBB111_301
; %bb.286:
	s_cmp_lt_i32 s0, 27
	s_cbranch_scc1 .LBB111_289
; %bb.287:
	s_cmp_gt_i32 s0, 27
	s_cbranch_scc0 .LBB111_290
; %bb.288:
	s_wait_loadcnt 0x0
	global_load_b32 v10, v[6:7], off
	s_mov_b32 s31, 0
	s_branch .LBB111_291
.LBB111_289:
	s_mov_b32 s31, -1
                                        ; implicit-def: $vgpr10
	s_branch .LBB111_294
.LBB111_290:
	s_mov_b32 s31, -1
                                        ; implicit-def: $vgpr10
.LBB111_291:
	s_delay_alu instid0(SALU_CYCLE_1)
	s_and_not1_b32 vcc_lo, exec_lo, s31
	s_cbranch_vccnz .LBB111_293
; %bb.292:
	s_wait_loadcnt 0x0
	global_load_u16 v10, v[6:7], off
.LBB111_293:
	s_mov_b32 s31, 0
.LBB111_294:
	s_delay_alu instid0(SALU_CYCLE_1)
	s_and_not1_b32 vcc_lo, exec_lo, s31
	s_cbranch_vccnz .LBB111_300
; %bb.295:
	global_load_u8 v1, v[6:7], off
	s_mov_b32 s42, 0
	s_mov_b32 s31, exec_lo
	s_wait_loadcnt 0x0
	v_cmpx_lt_i16_e32 0x7f, v1
	s_xor_b32 s31, exec_lo, s31
	s_cbranch_execz .LBB111_312
; %bb.296:
	v_cmp_ne_u16_e32 vcc_lo, 0x80, v1
	s_and_b32 s42, vcc_lo, exec_lo
	s_and_not1_saveexec_b32 s31, s31
	s_cbranch_execnz .LBB111_313
.LBB111_297:
	s_or_b32 exec_lo, exec_lo, s31
	v_mov_b32_e32 v10, 0
	s_and_saveexec_b32 s31, s42
	s_cbranch_execz .LBB111_299
.LBB111_298:
	v_and_b32_e32 v3, 0xffff, v1
	s_delay_alu instid0(VALU_DEP_1) | instskip(SKIP_1) | instid1(VALU_DEP_2)
	v_and_b32_e32 v5, 7, v3
	v_bfe_u32 v11, v3, 3, 4
	v_clz_i32_u32_e32 v9, v5
	s_delay_alu instid0(VALU_DEP_2) | instskip(NEXT) | instid1(VALU_DEP_2)
	v_cmp_eq_u32_e32 vcc_lo, 0, v11
	v_min_u32_e32 v9, 32, v9
	s_delay_alu instid0(VALU_DEP_1) | instskip(NEXT) | instid1(VALU_DEP_1)
	v_subrev_nc_u32_e32 v10, 28, v9
	v_dual_lshlrev_b32 v3, v10, v3 :: v_dual_sub_nc_u32 v9, 29, v9
	s_delay_alu instid0(VALU_DEP_1) | instskip(NEXT) | instid1(VALU_DEP_1)
	v_dual_lshlrev_b32 v1, 24, v1 :: v_dual_bitop2_b32 v3, 7, v3 bitop3:0x40
	v_dual_cndmask_b32 v3, v5, v3, vcc_lo :: v_dual_cndmask_b32 v9, v11, v9, vcc_lo
	s_delay_alu instid0(VALU_DEP_2) | instskip(NEXT) | instid1(VALU_DEP_2)
	v_and_b32_e32 v1, 0x80000000, v1
	v_lshlrev_b32_e32 v3, 20, v3
	s_delay_alu instid0(VALU_DEP_3) | instskip(NEXT) | instid1(VALU_DEP_1)
	v_lshl_add_u32 v5, v9, 23, 0x3b800000
	v_or3_b32 v1, v1, v5, v3
	s_delay_alu instid0(VALU_DEP_1)
	v_cvt_i32_f32_e32 v10, v1
.LBB111_299:
	s_or_b32 exec_lo, exec_lo, s31
.LBB111_300:
	s_mov_b32 s31, -1
.LBB111_301:
	s_mov_b32 s42, 0
.LBB111_302:
	s_delay_alu instid0(SALU_CYCLE_1)
	s_and_b32 vcc_lo, exec_lo, s42
	s_cbranch_vccz .LBB111_335
; %bb.303:
	s_cmp_gt_i32 s0, 22
	s_cbranch_scc0 .LBB111_311
; %bb.304:
	s_cmp_lt_i32 s0, 24
	s_cbranch_scc1 .LBB111_314
; %bb.305:
	s_cmp_gt_i32 s0, 24
	s_cbranch_scc0 .LBB111_315
; %bb.306:
	global_load_u8 v1, v[6:7], off
	s_mov_b32 s42, 0
	s_mov_b32 s31, exec_lo
	s_wait_loadcnt 0x0
	v_cmpx_lt_i16_e32 0x7f, v1
	s_xor_b32 s31, exec_lo, s31
	s_cbranch_execz .LBB111_327
; %bb.307:
	v_cmp_ne_u16_e32 vcc_lo, 0x80, v1
	s_and_b32 s42, vcc_lo, exec_lo
	s_and_not1_saveexec_b32 s31, s31
	s_cbranch_execnz .LBB111_328
.LBB111_308:
	s_or_b32 exec_lo, exec_lo, s31
	v_mov_b32_e32 v10, 0
	s_and_saveexec_b32 s31, s42
	s_cbranch_execz .LBB111_310
.LBB111_309:
	v_and_b32_e32 v3, 0xffff, v1
	s_delay_alu instid0(VALU_DEP_1) | instskip(SKIP_1) | instid1(VALU_DEP_2)
	v_and_b32_e32 v5, 3, v3
	v_bfe_u32 v11, v3, 2, 5
	v_clz_i32_u32_e32 v9, v5
	s_delay_alu instid0(VALU_DEP_2) | instskip(NEXT) | instid1(VALU_DEP_2)
	v_cmp_eq_u32_e32 vcc_lo, 0, v11
	v_min_u32_e32 v9, 32, v9
	s_delay_alu instid0(VALU_DEP_1) | instskip(NEXT) | instid1(VALU_DEP_1)
	v_subrev_nc_u32_e32 v10, 29, v9
	v_dual_lshlrev_b32 v3, v10, v3 :: v_dual_sub_nc_u32 v9, 30, v9
	s_delay_alu instid0(VALU_DEP_1) | instskip(NEXT) | instid1(VALU_DEP_1)
	v_dual_lshlrev_b32 v1, 24, v1 :: v_dual_bitop2_b32 v3, 3, v3 bitop3:0x40
	v_dual_cndmask_b32 v3, v5, v3, vcc_lo :: v_dual_cndmask_b32 v9, v11, v9, vcc_lo
	s_delay_alu instid0(VALU_DEP_2) | instskip(NEXT) | instid1(VALU_DEP_2)
	v_and_b32_e32 v1, 0x80000000, v1
	v_lshlrev_b32_e32 v3, 21, v3
	s_delay_alu instid0(VALU_DEP_3) | instskip(NEXT) | instid1(VALU_DEP_1)
	v_lshl_add_u32 v5, v9, 23, 0x37800000
	v_or3_b32 v1, v1, v5, v3
	s_delay_alu instid0(VALU_DEP_1)
	v_cvt_i32_f32_e32 v10, v1
.LBB111_310:
	s_or_b32 exec_lo, exec_lo, s31
	s_mov_b32 s31, 0
	s_branch .LBB111_316
.LBB111_311:
	s_mov_b32 s42, -1
                                        ; implicit-def: $vgpr10
	s_branch .LBB111_322
.LBB111_312:
	s_and_not1_saveexec_b32 s31, s31
	s_cbranch_execz .LBB111_297
.LBB111_313:
	v_cmp_ne_u16_e32 vcc_lo, 0, v1
	s_and_not1_b32 s42, s42, exec_lo
	s_and_b32 s46, vcc_lo, exec_lo
	s_delay_alu instid0(SALU_CYCLE_1)
	s_or_b32 s42, s42, s46
	s_or_b32 exec_lo, exec_lo, s31
	v_mov_b32_e32 v10, 0
	s_and_saveexec_b32 s31, s42
	s_cbranch_execnz .LBB111_298
	s_branch .LBB111_299
.LBB111_314:
	s_mov_b32 s31, -1
                                        ; implicit-def: $vgpr10
	s_branch .LBB111_319
.LBB111_315:
	s_mov_b32 s31, -1
                                        ; implicit-def: $vgpr10
.LBB111_316:
	s_delay_alu instid0(SALU_CYCLE_1)
	s_and_b32 vcc_lo, exec_lo, s31
	s_cbranch_vccz .LBB111_318
; %bb.317:
	global_load_u8 v1, v[6:7], off
	s_wait_loadcnt 0x0
	v_lshlrev_b32_e32 v1, 24, v1
	s_delay_alu instid0(VALU_DEP_1) | instskip(NEXT) | instid1(VALU_DEP_1)
	v_and_b32_e32 v3, 0x7f000000, v1
	v_clz_i32_u32_e32 v5, v3
	v_cmp_ne_u32_e32 vcc_lo, 0, v3
	v_add_nc_u32_e32 v10, 0x1000000, v3
	s_delay_alu instid0(VALU_DEP_3) | instskip(NEXT) | instid1(VALU_DEP_1)
	v_min_u32_e32 v5, 32, v5
	v_sub_nc_u32_e64 v5, v5, 4 clamp
	s_delay_alu instid0(VALU_DEP_1) | instskip(NEXT) | instid1(VALU_DEP_1)
	v_dual_lshlrev_b32 v9, v5, v3 :: v_dual_lshlrev_b32 v5, 23, v5
	v_lshrrev_b32_e32 v9, 4, v9
	s_delay_alu instid0(VALU_DEP_1) | instskip(NEXT) | instid1(VALU_DEP_1)
	v_dual_sub_nc_u32 v5, v9, v5 :: v_dual_ashrrev_i32 v9, 8, v10
	v_add_nc_u32_e32 v5, 0x3c000000, v5
	s_delay_alu instid0(VALU_DEP_1) | instskip(NEXT) | instid1(VALU_DEP_1)
	v_and_or_b32 v5, 0x7f800000, v9, v5
	v_cndmask_b32_e32 v3, 0, v5, vcc_lo
	s_delay_alu instid0(VALU_DEP_1) | instskip(NEXT) | instid1(VALU_DEP_1)
	v_and_or_b32 v1, 0x80000000, v1, v3
	v_cvt_i32_f32_e32 v10, v1
.LBB111_318:
	s_mov_b32 s31, 0
.LBB111_319:
	s_delay_alu instid0(SALU_CYCLE_1)
	s_and_not1_b32 vcc_lo, exec_lo, s31
	s_cbranch_vccnz .LBB111_321
; %bb.320:
	global_load_u8 v1, v[6:7], off
	s_wait_loadcnt 0x0
	v_lshlrev_b32_e32 v3, 25, v1
	v_lshlrev_b16 v1, 8, v1
	s_delay_alu instid0(VALU_DEP_2) | instskip(NEXT) | instid1(VALU_DEP_2)
	v_cmp_gt_u32_e32 vcc_lo, 0x8000000, v3
	v_and_or_b32 v9, 0x7f00, v1, 0.5
	v_lshrrev_b32_e32 v5, 4, v3
	v_bfe_i32 v1, v1, 0, 16
	s_delay_alu instid0(VALU_DEP_3) | instskip(NEXT) | instid1(VALU_DEP_3)
	v_add_f32_e32 v9, -0.5, v9
	v_or_b32_e32 v5, 0x70000000, v5
	s_delay_alu instid0(VALU_DEP_1) | instskip(NEXT) | instid1(VALU_DEP_1)
	v_mul_f32_e32 v5, 0x7800000, v5
	v_cndmask_b32_e32 v3, v5, v9, vcc_lo
	s_delay_alu instid0(VALU_DEP_1) | instskip(NEXT) | instid1(VALU_DEP_1)
	v_and_or_b32 v1, 0x80000000, v1, v3
	v_cvt_i32_f32_e32 v10, v1
.LBB111_321:
	s_mov_b32 s42, 0
	s_mov_b32 s31, -1
.LBB111_322:
	s_and_not1_b32 vcc_lo, exec_lo, s42
	s_cbranch_vccnz .LBB111_335
; %bb.323:
	s_cmp_gt_i32 s0, 14
	s_cbranch_scc0 .LBB111_326
; %bb.324:
	s_cmp_eq_u32 s0, 15
	s_cbranch_scc0 .LBB111_329
; %bb.325:
	global_load_u16 v1, v[6:7], off
	s_mov_b32 s31, -1
	s_mov_b32 s30, 0
	s_wait_loadcnt 0x0
	v_lshlrev_b32_e32 v1, 16, v1
	s_delay_alu instid0(VALU_DEP_1)
	v_cvt_i32_f32_e32 v10, v1
	s_branch .LBB111_330
.LBB111_326:
	s_mov_b32 s42, -1
                                        ; implicit-def: $vgpr10
	s_branch .LBB111_331
.LBB111_327:
	s_and_not1_saveexec_b32 s31, s31
	s_cbranch_execz .LBB111_308
.LBB111_328:
	v_cmp_ne_u16_e32 vcc_lo, 0, v1
	s_and_not1_b32 s42, s42, exec_lo
	s_and_b32 s46, vcc_lo, exec_lo
	s_delay_alu instid0(SALU_CYCLE_1)
	s_or_b32 s42, s42, s46
	s_or_b32 exec_lo, exec_lo, s31
	v_mov_b32_e32 v10, 0
	s_and_saveexec_b32 s31, s42
	s_cbranch_execnz .LBB111_309
	s_branch .LBB111_310
.LBB111_329:
	s_mov_b32 s30, -1
                                        ; implicit-def: $vgpr10
.LBB111_330:
	s_mov_b32 s42, 0
.LBB111_331:
	s_delay_alu instid0(SALU_CYCLE_1)
	s_and_b32 vcc_lo, exec_lo, s42
	s_cbranch_vccz .LBB111_335
; %bb.332:
	s_cmp_eq_u32 s0, 11
	s_cbranch_scc0 .LBB111_334
; %bb.333:
	global_load_u8 v1, v[6:7], off
	s_mov_b32 s30, 0
	s_mov_b32 s31, -1
	s_wait_loadcnt 0x0
	v_cmp_ne_u16_e32 vcc_lo, 0, v1
	v_cndmask_b32_e64 v10, 0, 1, vcc_lo
	s_branch .LBB111_335
.LBB111_334:
	s_mov_b32 s30, -1
                                        ; implicit-def: $vgpr10
.LBB111_335:
	s_mov_b32 s42, 0
.LBB111_336:
	s_delay_alu instid0(SALU_CYCLE_1)
	s_and_b32 vcc_lo, exec_lo, s42
	s_cbranch_vccz .LBB111_385
; %bb.337:
	s_cmp_lt_i32 s0, 5
	s_cbranch_scc1 .LBB111_342
; %bb.338:
	s_cmp_lt_i32 s0, 8
	s_cbranch_scc1 .LBB111_343
	;; [unrolled: 3-line block ×3, first 2 shown]
; %bb.340:
	s_cmp_gt_i32 s0, 9
	s_cbranch_scc0 .LBB111_345
; %bb.341:
	s_wait_loadcnt 0x0
	global_load_b64 v[10:11], v[6:7], off
	s_mov_b32 s31, 0
	s_wait_loadcnt 0x0
	v_cvt_i32_f64_e32 v10, v[10:11]
	s_branch .LBB111_346
.LBB111_342:
	s_mov_b32 s31, -1
                                        ; implicit-def: $vgpr10
	s_branch .LBB111_364
.LBB111_343:
	s_mov_b32 s31, -1
                                        ; implicit-def: $vgpr10
	s_branch .LBB111_352
.LBB111_344:
	s_mov_b32 s31, -1
                                        ; implicit-def: $vgpr10
	s_branch .LBB111_349
.LBB111_345:
	s_mov_b32 s31, -1
                                        ; implicit-def: $vgpr10
.LBB111_346:
	s_delay_alu instid0(SALU_CYCLE_1)
	s_and_not1_b32 vcc_lo, exec_lo, s31
	s_cbranch_vccnz .LBB111_348
; %bb.347:
	global_load_b32 v1, v[6:7], off
	s_wait_loadcnt 0x0
	v_cvt_i32_f32_e32 v10, v1
.LBB111_348:
	s_mov_b32 s31, 0
.LBB111_349:
	s_delay_alu instid0(SALU_CYCLE_1)
	s_and_not1_b32 vcc_lo, exec_lo, s31
	s_cbranch_vccnz .LBB111_351
; %bb.350:
	global_load_b32 v1, v[6:7], off
	s_wait_loadcnt 0x0
	v_cvt_i16_f16_e32 v10, v1
.LBB111_351:
	s_mov_b32 s31, 0
.LBB111_352:
	s_delay_alu instid0(SALU_CYCLE_1)
	s_and_not1_b32 vcc_lo, exec_lo, s31
	s_cbranch_vccnz .LBB111_363
; %bb.353:
	s_cmp_lt_i32 s0, 6
	s_cbranch_scc1 .LBB111_356
; %bb.354:
	s_cmp_gt_i32 s0, 6
	s_cbranch_scc0 .LBB111_357
; %bb.355:
	s_wait_loadcnt 0x0
	global_load_b64 v[10:11], v[6:7], off
	s_mov_b32 s31, 0
	s_wait_loadcnt 0x0
	v_cvt_i32_f64_e32 v10, v[10:11]
	s_branch .LBB111_358
.LBB111_356:
	s_mov_b32 s31, -1
                                        ; implicit-def: $vgpr10
	s_branch .LBB111_361
.LBB111_357:
	s_mov_b32 s31, -1
                                        ; implicit-def: $vgpr10
.LBB111_358:
	s_delay_alu instid0(SALU_CYCLE_1)
	s_and_not1_b32 vcc_lo, exec_lo, s31
	s_cbranch_vccnz .LBB111_360
; %bb.359:
	global_load_b32 v1, v[6:7], off
	s_wait_loadcnt 0x0
	v_cvt_i32_f32_e32 v10, v1
.LBB111_360:
	s_mov_b32 s31, 0
.LBB111_361:
	s_delay_alu instid0(SALU_CYCLE_1)
	s_and_not1_b32 vcc_lo, exec_lo, s31
	s_cbranch_vccnz .LBB111_363
; %bb.362:
	global_load_u16 v1, v[6:7], off
	s_wait_loadcnt 0x0
	v_cvt_i16_f16_e32 v10, v1
.LBB111_363:
	s_mov_b32 s31, 0
.LBB111_364:
	s_delay_alu instid0(SALU_CYCLE_1)
	s_and_not1_b32 vcc_lo, exec_lo, s31
	s_cbranch_vccnz .LBB111_384
; %bb.365:
	s_cmp_lt_i32 s0, 2
	s_cbranch_scc1 .LBB111_369
; %bb.366:
	s_cmp_lt_i32 s0, 3
	s_cbranch_scc1 .LBB111_370
; %bb.367:
	s_cmp_gt_i32 s0, 3
	s_cbranch_scc0 .LBB111_371
; %bb.368:
	s_wait_loadcnt 0x0
	global_load_b64 v[10:11], v[6:7], off
	s_mov_b32 s31, 0
	s_branch .LBB111_372
.LBB111_369:
	s_mov_b32 s31, -1
                                        ; implicit-def: $vgpr10
	s_branch .LBB111_378
.LBB111_370:
	s_mov_b32 s31, -1
                                        ; implicit-def: $vgpr10
	s_branch .LBB111_375
.LBB111_371:
	s_mov_b32 s31, -1
                                        ; implicit-def: $vgpr10
.LBB111_372:
	s_delay_alu instid0(SALU_CYCLE_1)
	s_and_not1_b32 vcc_lo, exec_lo, s31
	s_cbranch_vccnz .LBB111_374
; %bb.373:
	s_wait_loadcnt 0x0
	global_load_b32 v10, v[6:7], off
.LBB111_374:
	s_mov_b32 s31, 0
.LBB111_375:
	s_delay_alu instid0(SALU_CYCLE_1)
	s_and_not1_b32 vcc_lo, exec_lo, s31
	s_cbranch_vccnz .LBB111_377
; %bb.376:
	s_wait_loadcnt 0x0
	global_load_u16 v10, v[6:7], off
.LBB111_377:
	s_mov_b32 s31, 0
.LBB111_378:
	s_delay_alu instid0(SALU_CYCLE_1)
	s_and_not1_b32 vcc_lo, exec_lo, s31
	s_cbranch_vccnz .LBB111_384
; %bb.379:
	s_cmp_gt_i32 s0, 0
	s_mov_b32 s0, 0
	s_cbranch_scc0 .LBB111_381
; %bb.380:
	s_wait_loadcnt 0x0
	global_load_u8 v10, v[6:7], off
	s_branch .LBB111_382
.LBB111_381:
	s_mov_b32 s0, -1
                                        ; implicit-def: $vgpr10
.LBB111_382:
	s_delay_alu instid0(SALU_CYCLE_1)
	s_and_not1_b32 vcc_lo, exec_lo, s0
	s_cbranch_vccnz .LBB111_384
; %bb.383:
	s_wait_loadcnt 0x0
	global_load_u8 v10, v[6:7], off
.LBB111_384:
	s_mov_b32 s31, -1
.LBB111_385:
	s_delay_alu instid0(SALU_CYCLE_1)
	s_and_not1_b32 vcc_lo, exec_lo, s31
	s_cbranch_vccnz .LBB111_393
; %bb.386:
	s_wait_loadcnt 0x0
	s_delay_alu instid0(VALU_DEP_3) | instskip(SKIP_2) | instid1(VALU_DEP_4)
	v_bfe_i32 v1, v8, 0, 8
	v_bfe_i32 v4, v4, 0, 8
	v_mov_b32_e32 v3, 0
	v_bfe_i32 v5, v10, 0, 8
	s_and_b32 s31, s38, 0xff
	s_delay_alu instid0(VALU_DEP_3) | instskip(NEXT) | instid1(VALU_DEP_3)
	v_max_i16 v1, v4, v1
	v_add_nc_u64_e32 v[2:3], s[4:5], v[2:3]
	s_cmp_lt_i32 s31, 11
	s_delay_alu instid0(VALU_DEP_2)
	v_min_i16 v1, v1, v5
	s_cbranch_scc1 .LBB111_394
; %bb.387:
	s_and_b32 s42, 0xffff, s31
	s_delay_alu instid0(SALU_CYCLE_1)
	s_cmp_gt_i32 s42, 25
	s_cbranch_scc0 .LBB111_395
; %bb.388:
	s_cmp_gt_i32 s42, 28
	s_cbranch_scc0 .LBB111_396
; %bb.389:
	;; [unrolled: 3-line block ×4, first 2 shown]
	s_mov_b32 s47, 0
	s_mov_b32 s0, -1
	s_cmp_eq_u32 s42, 46
	s_mov_b32 s46, 0
	s_cbranch_scc0 .LBB111_399
; %bb.392:
	v_bfe_i32 v4, v1, 0, 16
	s_mov_b32 s46, -1
	s_mov_b32 s0, 0
	s_delay_alu instid0(VALU_DEP_1) | instskip(NEXT) | instid1(VALU_DEP_1)
	v_cvt_f32_i32_e32 v4, v4
	v_bfe_u32 v5, v4, 16, 1
	s_delay_alu instid0(VALU_DEP_1) | instskip(NEXT) | instid1(VALU_DEP_1)
	v_add3_u32 v4, v4, v5, 0x7fff
	v_lshrrev_b32_e32 v4, 16, v4
	global_store_b32 v[2:3], v4, off
	s_branch .LBB111_399
.LBB111_393:
	s_mov_b32 s0, 0
	s_branch .LBB111_509
.LBB111_394:
	s_mov_b32 s42, -1
	s_mov_b32 s0, 0
	s_mov_b32 s46, 0
	s_branch .LBB111_468
.LBB111_395:
	s_mov_b32 s47, -1
	s_mov_b32 s0, 0
	s_mov_b32 s46, 0
	s_branch .LBB111_426
.LBB111_396:
	s_mov_b32 s47, -1
	s_mov_b32 s0, 0
	s_mov_b32 s46, 0
	s_branch .LBB111_409
.LBB111_397:
	s_mov_b32 s47, -1
	s_mov_b32 s0, 0
	s_mov_b32 s46, 0
	s_branch .LBB111_405
.LBB111_398:
	s_mov_b32 s47, -1
	s_mov_b32 s0, 0
	s_mov_b32 s46, 0
.LBB111_399:
	s_and_b32 vcc_lo, exec_lo, s47
	s_cbranch_vccz .LBB111_404
; %bb.400:
	s_cmp_eq_u32 s42, 44
	s_mov_b32 s0, -1
	s_cbranch_scc0 .LBB111_404
; %bb.401:
	s_wait_xcnt 0x0
	v_bfe_i32 v4, v1, 0, 16
	v_mov_b32_e32 v5, 0xff
	s_mov_b32 s46, exec_lo
	s_delay_alu instid0(VALU_DEP_2) | instskip(NEXT) | instid1(VALU_DEP_1)
	v_cvt_f32_i32_e32 v4, v4
	v_bfe_u32 v6, v4, 23, 8
	s_delay_alu instid0(VALU_DEP_1)
	v_cmpx_ne_u32_e32 0xff, v6
	s_cbranch_execz .LBB111_403
; %bb.402:
	v_and_b32_e32 v5, 0x400000, v4
	v_and_or_b32 v6, 0x3fffff, v4, v6
	v_lshrrev_b32_e32 v4, 23, v4
	s_delay_alu instid0(VALU_DEP_3) | instskip(NEXT) | instid1(VALU_DEP_3)
	v_cmp_ne_u32_e32 vcc_lo, 0, v5
	v_cmp_ne_u32_e64 s0, 0, v6
	s_and_b32 s0, vcc_lo, s0
	s_delay_alu instid0(SALU_CYCLE_1) | instskip(NEXT) | instid1(VALU_DEP_1)
	v_cndmask_b32_e64 v5, 0, 1, s0
	v_add_nc_u32_e32 v5, v4, v5
.LBB111_403:
	s_or_b32 exec_lo, exec_lo, s46
	s_mov_b32 s46, -1
	s_mov_b32 s0, 0
	global_store_b8 v[2:3], v5, off
.LBB111_404:
	s_mov_b32 s47, 0
.LBB111_405:
	s_delay_alu instid0(SALU_CYCLE_1)
	s_and_b32 vcc_lo, exec_lo, s47
	s_cbranch_vccz .LBB111_408
; %bb.406:
	s_cmp_eq_u32 s42, 29
	s_mov_b32 s0, -1
	s_cbranch_scc0 .LBB111_408
; %bb.407:
	s_wait_xcnt 0x0
	v_bfe_i32 v4, v1, 0, 16
	s_mov_b32 s0, 0
	s_mov_b32 s46, -1
	s_mov_b32 s47, 0
	s_delay_alu instid0(VALU_DEP_1)
	v_ashrrev_i32_e32 v5, 31, v4
	global_store_b64 v[2:3], v[4:5], off
	s_branch .LBB111_409
.LBB111_408:
	s_mov_b32 s47, 0
.LBB111_409:
	s_delay_alu instid0(SALU_CYCLE_1)
	s_and_b32 vcc_lo, exec_lo, s47
	s_cbranch_vccz .LBB111_425
; %bb.410:
	s_cmp_lt_i32 s42, 27
	s_mov_b32 s46, -1
	s_cbranch_scc1 .LBB111_416
; %bb.411:
	s_cmp_gt_i32 s42, 27
	s_cbranch_scc0 .LBB111_413
; %bb.412:
	s_wait_xcnt 0x0
	v_bfe_i32 v4, v1, 0, 16
	s_mov_b32 s46, 0
	global_store_b32 v[2:3], v4, off
.LBB111_413:
	s_and_not1_b32 vcc_lo, exec_lo, s46
	s_cbranch_vccnz .LBB111_415
; %bb.414:
	global_store_b16 v[2:3], v1, off
.LBB111_415:
	s_mov_b32 s46, 0
.LBB111_416:
	s_delay_alu instid0(SALU_CYCLE_1)
	s_and_not1_b32 vcc_lo, exec_lo, s46
	s_cbranch_vccnz .LBB111_424
; %bb.417:
	s_wait_xcnt 0x0
	v_bfe_i32 v4, v1, 0, 16
	v_mov_b32_e32 v6, 0x80
	s_mov_b32 s46, exec_lo
	s_delay_alu instid0(VALU_DEP_2) | instskip(NEXT) | instid1(VALU_DEP_1)
	v_cvt_f32_i32_e32 v4, v4
	v_and_b32_e32 v5, 0x7fffffff, v4
	s_delay_alu instid0(VALU_DEP_1)
	v_cmpx_gt_u32_e32 0x43800000, v5
	s_cbranch_execz .LBB111_423
; %bb.418:
	v_cmp_lt_u32_e32 vcc_lo, 0x3bffffff, v5
	s_mov_b32 s47, 0
                                        ; implicit-def: $vgpr5
	s_and_saveexec_b32 s48, vcc_lo
	s_delay_alu instid0(SALU_CYCLE_1)
	s_xor_b32 s48, exec_lo, s48
	s_cbranch_execz .LBB111_664
; %bb.419:
	v_bfe_u32 v5, v4, 20, 1
	s_mov_b32 s47, exec_lo
	s_delay_alu instid0(VALU_DEP_1) | instskip(NEXT) | instid1(VALU_DEP_1)
	v_add3_u32 v5, v4, v5, 0x487ffff
	v_lshrrev_b32_e32 v5, 20, v5
	s_and_not1_saveexec_b32 s48, s48
	s_cbranch_execnz .LBB111_665
.LBB111_420:
	s_or_b32 exec_lo, exec_lo, s48
	v_mov_b32_e32 v6, 0
	s_and_saveexec_b32 s48, s47
.LBB111_421:
	v_lshrrev_b32_e32 v4, 24, v4
	s_delay_alu instid0(VALU_DEP_1)
	v_and_or_b32 v6, 0x80, v4, v5
.LBB111_422:
	s_or_b32 exec_lo, exec_lo, s48
.LBB111_423:
	s_delay_alu instid0(SALU_CYCLE_1)
	s_or_b32 exec_lo, exec_lo, s46
	global_store_b8 v[2:3], v6, off
.LBB111_424:
	s_mov_b32 s46, -1
.LBB111_425:
	s_mov_b32 s47, 0
.LBB111_426:
	s_delay_alu instid0(SALU_CYCLE_1)
	s_and_b32 vcc_lo, exec_lo, s47
	s_cbranch_vccz .LBB111_467
; %bb.427:
	s_cmp_gt_i32 s42, 22
	s_mov_b32 s47, -1
	s_cbranch_scc0 .LBB111_459
; %bb.428:
	s_cmp_lt_i32 s42, 24
	s_mov_b32 s46, -1
	s_cbranch_scc1 .LBB111_448
; %bb.429:
	s_cmp_gt_i32 s42, 24
	s_cbranch_scc0 .LBB111_437
; %bb.430:
	s_wait_xcnt 0x0
	v_bfe_i32 v4, v1, 0, 16
	v_mov_b32_e32 v6, 0x80
	s_mov_b32 s46, exec_lo
	s_delay_alu instid0(VALU_DEP_2) | instskip(NEXT) | instid1(VALU_DEP_1)
	v_cvt_f32_i32_e32 v4, v4
	v_and_b32_e32 v5, 0x7fffffff, v4
	s_delay_alu instid0(VALU_DEP_1)
	v_cmpx_gt_u32_e32 0x47800000, v5
	s_cbranch_execz .LBB111_436
; %bb.431:
	v_cmp_lt_u32_e32 vcc_lo, 0x37ffffff, v5
	s_mov_b32 s47, 0
                                        ; implicit-def: $vgpr5
	s_and_saveexec_b32 s48, vcc_lo
	s_delay_alu instid0(SALU_CYCLE_1)
	s_xor_b32 s48, exec_lo, s48
	s_cbranch_execz .LBB111_792
; %bb.432:
	v_bfe_u32 v5, v4, 21, 1
	s_mov_b32 s47, exec_lo
	s_delay_alu instid0(VALU_DEP_1) | instskip(NEXT) | instid1(VALU_DEP_1)
	v_add3_u32 v5, v4, v5, 0x88fffff
	v_lshrrev_b32_e32 v5, 21, v5
	s_and_not1_saveexec_b32 s48, s48
	s_cbranch_execnz .LBB111_793
.LBB111_433:
	s_or_b32 exec_lo, exec_lo, s48
	v_mov_b32_e32 v6, 0
	s_and_saveexec_b32 s48, s47
.LBB111_434:
	v_lshrrev_b32_e32 v4, 24, v4
	s_delay_alu instid0(VALU_DEP_1)
	v_and_or_b32 v6, 0x80, v4, v5
.LBB111_435:
	s_or_b32 exec_lo, exec_lo, s48
.LBB111_436:
	s_delay_alu instid0(SALU_CYCLE_1)
	s_or_b32 exec_lo, exec_lo, s46
	s_mov_b32 s46, 0
	global_store_b8 v[2:3], v6, off
.LBB111_437:
	s_and_b32 vcc_lo, exec_lo, s46
	s_cbranch_vccz .LBB111_447
; %bb.438:
	s_wait_xcnt 0x0
	v_bfe_i32 v4, v1, 0, 16
	s_mov_b32 s46, exec_lo
                                        ; implicit-def: $vgpr5
	s_delay_alu instid0(VALU_DEP_1) | instskip(NEXT) | instid1(VALU_DEP_1)
	v_cvt_f32_i32_e32 v4, v4
	v_and_b32_e32 v6, 0x7fffffff, v4
	s_delay_alu instid0(VALU_DEP_1)
	v_cmpx_gt_u32_e32 0x43f00000, v6
	s_xor_b32 s46, exec_lo, s46
	s_cbranch_execz .LBB111_444
; %bb.439:
	s_mov_b32 s47, exec_lo
                                        ; implicit-def: $vgpr5
	v_cmpx_lt_u32_e32 0x3c7fffff, v6
	s_xor_b32 s47, exec_lo, s47
; %bb.440:
	v_bfe_u32 v5, v4, 20, 1
	s_delay_alu instid0(VALU_DEP_1) | instskip(NEXT) | instid1(VALU_DEP_1)
	v_add3_u32 v5, v4, v5, 0x407ffff
	v_and_b32_e32 v6, 0xff00000, v5
	v_lshrrev_b32_e32 v5, 20, v5
	s_delay_alu instid0(VALU_DEP_2) | instskip(NEXT) | instid1(VALU_DEP_2)
	v_cmp_ne_u32_e32 vcc_lo, 0x7f00000, v6
	v_cndmask_b32_e32 v5, 0x7e, v5, vcc_lo
; %bb.441:
	s_and_not1_saveexec_b32 s47, s47
; %bb.442:
	v_add_f32_e64 v5, 0x46800000, |v4|
; %bb.443:
	s_or_b32 exec_lo, exec_lo, s47
                                        ; implicit-def: $vgpr6
.LBB111_444:
	s_and_not1_saveexec_b32 s46, s46
; %bb.445:
	v_mov_b32_e32 v5, 0x7f
	v_cmp_lt_u32_e32 vcc_lo, 0x7f800000, v6
	s_delay_alu instid0(VALU_DEP_2)
	v_cndmask_b32_e32 v5, 0x7e, v5, vcc_lo
; %bb.446:
	s_or_b32 exec_lo, exec_lo, s46
	v_lshrrev_b32_e32 v4, 24, v4
	s_delay_alu instid0(VALU_DEP_1)
	v_and_or_b32 v4, 0x80, v4, v5
	global_store_b8 v[2:3], v4, off
.LBB111_447:
	s_mov_b32 s46, 0
.LBB111_448:
	s_delay_alu instid0(SALU_CYCLE_1)
	s_and_not1_b32 vcc_lo, exec_lo, s46
	s_cbranch_vccnz .LBB111_458
; %bb.449:
	s_wait_xcnt 0x0
	v_bfe_i32 v4, v1, 0, 16
	s_mov_b32 s46, exec_lo
                                        ; implicit-def: $vgpr5
	s_delay_alu instid0(VALU_DEP_1) | instskip(NEXT) | instid1(VALU_DEP_1)
	v_cvt_f32_i32_e32 v4, v4
	v_and_b32_e32 v6, 0x7fffffff, v4
	s_delay_alu instid0(VALU_DEP_1)
	v_cmpx_gt_u32_e32 0x47800000, v6
	s_xor_b32 s46, exec_lo, s46
	s_cbranch_execz .LBB111_455
; %bb.450:
	s_mov_b32 s47, exec_lo
                                        ; implicit-def: $vgpr5
	v_cmpx_lt_u32_e32 0x387fffff, v6
	s_xor_b32 s47, exec_lo, s47
; %bb.451:
	v_bfe_u32 v5, v4, 21, 1
	s_delay_alu instid0(VALU_DEP_1) | instskip(NEXT) | instid1(VALU_DEP_1)
	v_add3_u32 v5, v4, v5, 0x80fffff
	v_lshrrev_b32_e32 v5, 21, v5
; %bb.452:
	s_and_not1_saveexec_b32 s47, s47
; %bb.453:
	v_add_f32_e64 v5, 0x43000000, |v4|
; %bb.454:
	s_or_b32 exec_lo, exec_lo, s47
                                        ; implicit-def: $vgpr6
.LBB111_455:
	s_and_not1_saveexec_b32 s46, s46
; %bb.456:
	v_mov_b32_e32 v5, 0x7f
	v_cmp_lt_u32_e32 vcc_lo, 0x7f800000, v6
	s_delay_alu instid0(VALU_DEP_2)
	v_cndmask_b32_e32 v5, 0x7c, v5, vcc_lo
; %bb.457:
	s_or_b32 exec_lo, exec_lo, s46
	v_lshrrev_b32_e32 v4, 24, v4
	s_delay_alu instid0(VALU_DEP_1)
	v_and_or_b32 v4, 0x80, v4, v5
	global_store_b8 v[2:3], v4, off
.LBB111_458:
	s_mov_b32 s47, 0
	s_mov_b32 s46, -1
.LBB111_459:
	s_and_not1_b32 vcc_lo, exec_lo, s47
	s_cbranch_vccnz .LBB111_467
; %bb.460:
	s_cmp_gt_i32 s42, 14
	s_mov_b32 s47, -1
	s_cbranch_scc0 .LBB111_464
; %bb.461:
	s_cmp_eq_u32 s42, 15
	s_mov_b32 s0, -1
	s_cbranch_scc0 .LBB111_463
; %bb.462:
	s_wait_xcnt 0x0
	v_bfe_i32 v4, v1, 0, 16
	s_mov_b32 s46, -1
	s_mov_b32 s0, 0
	s_delay_alu instid0(VALU_DEP_1) | instskip(NEXT) | instid1(VALU_DEP_1)
	v_cvt_f32_i32_e32 v4, v4
	v_bfe_u32 v5, v4, 16, 1
	s_delay_alu instid0(VALU_DEP_1)
	v_add3_u32 v4, v4, v5, 0x7fff
	global_store_d16_hi_b16 v[2:3], v4, off
.LBB111_463:
	s_mov_b32 s47, 0
.LBB111_464:
	s_delay_alu instid0(SALU_CYCLE_1)
	s_and_b32 vcc_lo, exec_lo, s47
	s_cbranch_vccz .LBB111_467
; %bb.465:
	s_cmp_eq_u32 s42, 11
	s_mov_b32 s0, -1
	s_cbranch_scc0 .LBB111_467
; %bb.466:
	v_cmp_ne_u16_e32 vcc_lo, 0, v1
	s_mov_b32 s0, 0
	s_mov_b32 s46, -1
	s_wait_xcnt 0x0
	v_cndmask_b32_e64 v4, 0, 1, vcc_lo
	global_store_b8 v[2:3], v4, off
.LBB111_467:
	s_mov_b32 s42, 0
.LBB111_468:
	s_delay_alu instid0(SALU_CYCLE_1)
	s_and_b32 vcc_lo, exec_lo, s42
	s_cbranch_vccz .LBB111_507
; %bb.469:
	s_and_b32 s31, 0xffff, s31
	s_mov_b32 s42, -1
	s_cmp_lt_i32 s31, 5
	s_cbranch_scc1 .LBB111_490
; %bb.470:
	s_cmp_lt_i32 s31, 8
	s_cbranch_scc1 .LBB111_480
; %bb.471:
	;; [unrolled: 3-line block ×3, first 2 shown]
	s_cmp_gt_i32 s31, 9
	s_cbranch_scc0 .LBB111_474
; %bb.473:
	s_wait_xcnt 0x0
	v_bfe_i32 v4, v1, 0, 16
	v_mov_b32_e32 v6, 0
	s_mov_b32 s42, 0
	s_delay_alu instid0(VALU_DEP_2) | instskip(NEXT) | instid1(VALU_DEP_2)
	v_cvt_f64_i32_e32 v[4:5], v4
	v_mov_b32_e32 v7, v6
	global_store_b128 v[2:3], v[4:7], off
.LBB111_474:
	s_and_not1_b32 vcc_lo, exec_lo, s42
	s_cbranch_vccnz .LBB111_476
; %bb.475:
	s_wait_xcnt 0x0
	v_bfe_i32 v4, v1, 0, 16
	v_mov_b32_e32 v5, 0
	s_delay_alu instid0(VALU_DEP_2)
	v_cvt_f32_i32_e32 v4, v4
	global_store_b64 v[2:3], v[4:5], off
.LBB111_476:
	s_mov_b32 s42, 0
.LBB111_477:
	s_delay_alu instid0(SALU_CYCLE_1)
	s_and_not1_b32 vcc_lo, exec_lo, s42
	s_cbranch_vccnz .LBB111_479
; %bb.478:
	s_wait_xcnt 0x0
	v_cvt_f16_i16_e32 v4, v1
	s_delay_alu instid0(VALU_DEP_1)
	v_and_b32_e32 v4, 0xffff, v4
	global_store_b32 v[2:3], v4, off
.LBB111_479:
	s_mov_b32 s42, 0
.LBB111_480:
	s_delay_alu instid0(SALU_CYCLE_1)
	s_and_not1_b32 vcc_lo, exec_lo, s42
	s_cbranch_vccnz .LBB111_489
; %bb.481:
	s_cmp_lt_i32 s31, 6
	s_mov_b32 s42, -1
	s_cbranch_scc1 .LBB111_487
; %bb.482:
	s_cmp_gt_i32 s31, 6
	s_cbranch_scc0 .LBB111_484
; %bb.483:
	s_wait_xcnt 0x0
	v_bfe_i32 v4, v1, 0, 16
	s_mov_b32 s42, 0
	s_delay_alu instid0(VALU_DEP_1)
	v_cvt_f64_i32_e32 v[4:5], v4
	global_store_b64 v[2:3], v[4:5], off
.LBB111_484:
	s_and_not1_b32 vcc_lo, exec_lo, s42
	s_cbranch_vccnz .LBB111_486
; %bb.485:
	s_wait_xcnt 0x0
	v_bfe_i32 v4, v1, 0, 16
	s_delay_alu instid0(VALU_DEP_1)
	v_cvt_f32_i32_e32 v4, v4
	global_store_b32 v[2:3], v4, off
.LBB111_486:
	s_mov_b32 s42, 0
.LBB111_487:
	s_delay_alu instid0(SALU_CYCLE_1)
	s_and_not1_b32 vcc_lo, exec_lo, s42
	s_cbranch_vccnz .LBB111_489
; %bb.488:
	s_wait_xcnt 0x0
	v_cvt_f16_i16_e32 v4, v1
	global_store_b16 v[2:3], v4, off
.LBB111_489:
	s_mov_b32 s42, 0
.LBB111_490:
	s_delay_alu instid0(SALU_CYCLE_1)
	s_and_not1_b32 vcc_lo, exec_lo, s42
	s_cbranch_vccnz .LBB111_506
; %bb.491:
	s_cmp_lt_i32 s31, 2
	s_mov_b32 s42, -1
	s_cbranch_scc1 .LBB111_501
; %bb.492:
	s_cmp_lt_i32 s31, 3
	s_cbranch_scc1 .LBB111_498
; %bb.493:
	s_wait_xcnt 0x0
	v_bfe_i32 v4, v1, 0, 16
	s_cmp_gt_i32 s31, 3
	s_cbranch_scc0 .LBB111_495
; %bb.494:
	s_delay_alu instid0(VALU_DEP_1)
	v_ashrrev_i32_e32 v5, 31, v4
	s_mov_b32 s42, 0
	global_store_b64 v[2:3], v[4:5], off
.LBB111_495:
	s_and_not1_b32 vcc_lo, exec_lo, s42
	s_cbranch_vccnz .LBB111_497
; %bb.496:
	global_store_b32 v[2:3], v4, off
.LBB111_497:
	s_mov_b32 s42, 0
.LBB111_498:
	s_delay_alu instid0(SALU_CYCLE_1)
	s_and_not1_b32 vcc_lo, exec_lo, s42
	s_cbranch_vccnz .LBB111_500
; %bb.499:
	global_store_b16 v[2:3], v1, off
.LBB111_500:
	s_mov_b32 s42, 0
.LBB111_501:
	s_delay_alu instid0(SALU_CYCLE_1)
	s_and_not1_b32 vcc_lo, exec_lo, s42
	s_cbranch_vccnz .LBB111_506
; %bb.502:
	s_cmp_gt_i32 s31, 0
	s_mov_b32 s31, -1
	s_cbranch_scc0 .LBB111_504
; %bb.503:
	s_mov_b32 s31, 0
	global_store_b8 v[2:3], v1, off
.LBB111_504:
	s_and_not1_b32 vcc_lo, exec_lo, s31
	s_cbranch_vccnz .LBB111_506
; %bb.505:
	global_store_b8 v[2:3], v1, off
.LBB111_506:
	s_mov_b32 s46, -1
.LBB111_507:
	s_delay_alu instid0(SALU_CYCLE_1)
	s_and_not1_b32 vcc_lo, exec_lo, s46
	s_cbranch_vccnz .LBB111_509
; %bb.508:
	v_add_nc_u32_e32 v0, 0x80, v0
	s_mov_b32 s31, -1
	s_branch .LBB111_510
.LBB111_509:
	s_mov_b32 s31, 0
                                        ; implicit-def: $vgpr0
.LBB111_510:
	s_and_b32 s42, s0, exec_lo
	s_and_b32 s46, s30, exec_lo
	;; [unrolled: 1-line block ×4, first 2 shown]
	s_or_not1_b32 s29, s31, exec_lo
.LBB111_511:
	s_wait_xcnt 0x0
	s_or_b32 exec_lo, exec_lo, s49
	s_mov_b32 s30, 0
	s_mov_b32 s28, 0
                                        ; implicit-def: $sgpr0
                                        ; implicit-def: $vgpr10_vgpr11
                                        ; implicit-def: $vgpr2
                                        ; implicit-def: $vgpr6
                                        ; implicit-def: $vgpr8
                                        ; implicit-def: $vgpr4
	s_and_saveexec_b32 s49, s29
	s_cbranch_execz .LBB111_519
; %bb.512:
	s_mov_b32 s31, -1
	s_mov_b32 s50, s48
	s_mov_b32 s53, s47
	;; [unrolled: 1-line block ×4, first 2 shown]
	s_mov_b32 s54, exec_lo
	v_cmpx_gt_i32_e64 s44, v0
	s_cbranch_execz .LBB111_1033
; %bb.513:
	s_and_not1_b32 vcc_lo, exec_lo, s36
	s_cbranch_vccnz .LBB111_522
; %bb.514:
	s_and_not1_b32 vcc_lo, exec_lo, s45
	s_cbranch_vccnz .LBB111_523
; %bb.515:
	s_wait_loadcnt 0x0
	v_dual_mov_b32 v8, 0 :: v_dual_mov_b32 v1, v0
	v_dual_mov_b32 v6, 0 :: v_dual_mov_b32 v2, 0
	v_mov_b32_e32 v4, 0
	s_add_co_i32 s0, s43, 1
	s_mov_b64 s[28:29], 0xffffffffffffffe0
	s_and_b32 s0, s0, 30
	s_add_nc_u64 s[28:29], s[2:3], s[28:29]
	s_mov_b64 s[30:31], s[2:3]
.LBB111_516:                            ; =>This Inner Loop Header: Depth=1
	s_clause 0x1
	s_load_b128 s[64:67], s[30:31], 0x4
	s_load_b64 s[50:51], s[30:31], 0x14
	s_load_b256 s[56:63], s[28:29], 0xe4
	s_add_co_i32 s0, s0, -2
	s_wait_xcnt 0x0
	s_add_nc_u64 s[30:31], s[30:31], 24
	s_cmp_eq_u32 s0, 0
	s_add_nc_u64 s[28:29], s[28:29], 32
	s_wait_kmcnt 0x0
	v_mul_hi_u32 v3, s65, v1
	s_delay_alu instid0(VALU_DEP_1) | instskip(NEXT) | instid1(VALU_DEP_1)
	v_add_nc_u32_e32 v3, v1, v3
	v_lshrrev_b32_e32 v3, s66, v3
	s_delay_alu instid0(VALU_DEP_1) | instskip(SKIP_1) | instid1(VALU_DEP_1)
	v_mul_hi_u32 v5, s50, v3
	v_mul_lo_u32 v7, v3, s64
	v_dual_add_nc_u32 v5, v3, v5 :: v_dual_sub_nc_u32 v7, v1, v7
	s_delay_alu instid0(VALU_DEP_1) | instskip(NEXT) | instid1(VALU_DEP_2)
	v_lshrrev_b32_e32 v1, s51, v5
	v_mad_u32 v4, v7, s57, v4
	v_mad_u32 v2, v7, s56, v2
	;; [unrolled: 1-line block ×4, first 2 shown]
	v_mul_lo_u32 v5, v1, s67
	s_delay_alu instid0(VALU_DEP_1) | instskip(NEXT) | instid1(VALU_DEP_1)
	v_sub_nc_u32_e32 v3, v3, v5
	v_mad_u32 v4, v3, s61, v4
	v_mad_u32 v2, v3, s60, v2
	;; [unrolled: 1-line block ×4, first 2 shown]
	s_cbranch_scc0 .LBB111_516
; %bb.517:
	s_bitcmp1_b32 s43, 0
	s_cselect_b32 s0, -1, 0
	s_delay_alu instid0(SALU_CYCLE_1)
	s_and_b32 vcc_lo, exec_lo, s0
	s_cbranch_vccnz .LBB111_524
; %bb.518:
	s_load_b96 s[60:62], s[30:31], 0x4
	s_load_b128 s[56:59], s[28:29], 0xe4
	s_wait_kmcnt 0x0
	v_mul_hi_u32 v3, s61, v1
	s_delay_alu instid0(VALU_DEP_1) | instskip(NEXT) | instid1(VALU_DEP_1)
	v_add_nc_u32_e32 v3, v1, v3
	v_lshrrev_b32_e32 v3, s62, v3
	s_delay_alu instid0(VALU_DEP_1) | instskip(NEXT) | instid1(VALU_DEP_1)
	v_mul_lo_u32 v3, v3, s60
	v_sub_nc_u32_e32 v1, v1, v3
	s_delay_alu instid0(VALU_DEP_1)
	v_mad_u32 v2, v1, s56, v2
	v_mad_u32 v4, v1, s57, v4
	;; [unrolled: 1-line block ×4, first 2 shown]
	s_branch .LBB111_524
.LBB111_519:
	s_or_b32 exec_lo, exec_lo, s49
	s_mov_b32 s1, 0
	s_and_saveexec_b32 s6, s48
	s_cbranch_execnz .LBB111_1645
.LBB111_520:
	s_or_b32 exec_lo, exec_lo, s6
	s_and_saveexec_b32 s6, s25
	s_delay_alu instid0(SALU_CYCLE_1)
	s_xor_b32 s6, exec_lo, s6
	s_cbranch_execz .LBB111_1646
.LBB111_521:
	s_wait_loadcnt 0x0
	global_load_u8 v0, v[10:11], off
	s_or_b32 s28, s28, exec_lo
	s_wait_loadcnt 0x0
	v_cmp_ne_u16_e32 vcc_lo, 0, v0
	v_cndmask_b32_e64 v4, 0, 1, vcc_lo
	s_wait_xcnt 0x0
	s_or_b32 exec_lo, exec_lo, s6
	s_and_saveexec_b32 s6, s30
	s_cbranch_execz .LBB111_1692
	s_branch .LBB111_1647
.LBB111_522:
                                        ; implicit-def: $vgpr4
                                        ; implicit-def: $vgpr2
                                        ; implicit-def: $vgpr6
                                        ; implicit-def: $vgpr8
	s_branch .LBB111_525
.LBB111_523:
	s_wait_loadcnt 0x0
	v_dual_mov_b32 v4, 0 :: v_dual_mov_b32 v2, 0
	v_dual_mov_b32 v6, 0 :: v_dual_mov_b32 v8, 0
.LBB111_524:
	s_cbranch_execnz .LBB111_527
.LBB111_525:
	v_mov_b32_e32 v1, 0
	s_and_not1_b32 vcc_lo, exec_lo, s41
	s_delay_alu instid0(VALU_DEP_1) | instskip(NEXT) | instid1(VALU_DEP_1)
	v_mul_u64_e32 v[2:3], s[24:25], v[0:1]
	v_add_nc_u32_e32 v2, v0, v3
	s_wait_loadcnt 0x0
	s_delay_alu instid0(VALU_DEP_1) | instskip(NEXT) | instid1(VALU_DEP_1)
	v_lshrrev_b32_e32 v10, s22, v2
	v_mul_lo_u32 v2, v10, s20
	s_delay_alu instid0(VALU_DEP_1) | instskip(NEXT) | instid1(VALU_DEP_1)
	v_sub_nc_u32_e32 v3, v0, v2
	v_mul_lo_u32 v4, v3, s13
	v_mul_lo_u32 v2, v3, s12
	;; [unrolled: 1-line block ×4, first 2 shown]
	s_cbranch_vccnz .LBB111_527
; %bb.526:
	v_mov_b32_e32 v11, v1
	s_delay_alu instid0(VALU_DEP_1) | instskip(NEXT) | instid1(VALU_DEP_1)
	v_mul_u64_e32 v[12:13], s[26:27], v[10:11]
	v_add_nc_u32_e32 v1, v10, v13
	s_delay_alu instid0(VALU_DEP_1) | instskip(NEXT) | instid1(VALU_DEP_1)
	v_lshrrev_b32_e32 v1, s1, v1
	v_mul_lo_u32 v1, v1, s23
	s_delay_alu instid0(VALU_DEP_1) | instskip(NEXT) | instid1(VALU_DEP_1)
	v_sub_nc_u32_e32 v1, v10, v1
	v_mad_u32 v2, v1, s16, v2
	v_mad_u32 v4, v1, s17, v4
	;; [unrolled: 1-line block ×4, first 2 shown]
.LBB111_527:
	s_wait_loadcnt 0x0
	v_mov_b32_e32 v5, 0
	s_and_b32 s0, s40, 0xff
	s_delay_alu instid0(SALU_CYCLE_1) | instskip(NEXT) | instid1(VALU_DEP_1)
	s_cmp_lt_i32 s0, 11
	v_add_nc_u64_e32 v[10:11], s[6:7], v[4:5]
	s_cbranch_scc1 .LBB111_534
; %bb.528:
	s_and_b32 s29, 0xffff, s0
	s_delay_alu instid0(SALU_CYCLE_1)
	s_cmp_gt_i32 s29, 25
	s_cbranch_scc0 .LBB111_543
; %bb.529:
	s_cmp_gt_i32 s29, 28
	s_cbranch_scc0 .LBB111_545
; %bb.530:
	;; [unrolled: 3-line block ×4, first 2 shown]
	s_cmp_eq_u32 s29, 46
	s_mov_b32 s31, 0
	s_cbranch_scc0 .LBB111_551
; %bb.533:
	global_load_b32 v1, v[10:11], off
	s_mov_b32 s30, -1
	s_mov_b32 s28, 0
	s_wait_loadcnt 0x0
	v_lshlrev_b32_e32 v1, 16, v1
	s_delay_alu instid0(VALU_DEP_1)
	v_cvt_i32_f32_e32 v4, v1
	s_branch .LBB111_553
.LBB111_534:
	s_mov_b32 s30, 0
	s_mov_b32 s28, s48
                                        ; implicit-def: $vgpr4
	s_cbranch_execnz .LBB111_615
.LBB111_535:
	s_and_not1_b32 vcc_lo, exec_lo, s30
	s_cbranch_vccnz .LBB111_663
.LBB111_536:
	v_mov_b32_e32 v9, 0
	s_and_b32 s0, s39, 0xff
	s_delay_alu instid0(SALU_CYCLE_1) | instskip(SKIP_1) | instid1(VALU_DEP_1)
	s_cmp_lt_i32 s0, 11
	s_wait_xcnt 0x0
	v_add_nc_u64_e32 v[10:11], s[8:9], v[8:9]
	s_cbranch_scc1 .LBB111_544
; %bb.537:
	s_and_b32 s30, 0xffff, s0
	s_delay_alu instid0(SALU_CYCLE_1)
	s_cmp_gt_i32 s30, 25
	s_cbranch_scc0 .LBB111_546
; %bb.538:
	s_cmp_gt_i32 s30, 28
	s_cbranch_scc0 .LBB111_548
; %bb.539:
	;; [unrolled: 3-line block ×4, first 2 shown]
	s_cmp_eq_u32 s30, 46
	s_mov_b32 s50, 0
	s_cbranch_scc0 .LBB111_666
; %bb.542:
	global_load_b32 v1, v[10:11], off
	s_mov_b32 s31, -1
	s_mov_b32 s29, 0
	s_wait_loadcnt 0x0
	v_lshlrev_b32_e32 v1, 16, v1
	s_delay_alu instid0(VALU_DEP_1)
	v_cvt_i32_f32_e32 v8, v1
	s_branch .LBB111_668
.LBB111_543:
	s_mov_b32 s31, -1
	s_mov_b32 s30, 0
	s_mov_b32 s28, s48
                                        ; implicit-def: $vgpr4
	s_branch .LBB111_581
.LBB111_544:
	s_mov_b32 s30, -1
	s_mov_b32 s31, 0
	s_mov_b32 s29, s47
                                        ; implicit-def: $vgpr8
	s_branch .LBB111_729
.LBB111_545:
	s_mov_b32 s31, -1
	s_mov_b32 s30, 0
	s_mov_b32 s28, s48
                                        ; implicit-def: $vgpr4
	s_branch .LBB111_564
.LBB111_546:
	s_mov_b32 s50, -1
	s_mov_b32 s31, 0
	s_mov_b32 s29, s47
                                        ; implicit-def: $vgpr8
	s_branch .LBB111_695
.LBB111_547:
	s_mov_b32 s31, -1
	s_mov_b32 s30, 0
	s_mov_b32 s28, s48
                                        ; implicit-def: $vgpr4
	s_branch .LBB111_559
.LBB111_548:
	s_mov_b32 s50, -1
	s_mov_b32 s31, 0
	s_mov_b32 s29, s47
                                        ; implicit-def: $vgpr8
	s_branch .LBB111_678
.LBB111_549:
	s_mov_b32 s31, -1
	s_mov_b32 s30, 0
	s_mov_b32 s28, s48
	s_branch .LBB111_552
.LBB111_550:
	s_mov_b32 s50, -1
	s_mov_b32 s31, 0
	s_mov_b32 s29, s47
                                        ; implicit-def: $vgpr8
	s_branch .LBB111_673
.LBB111_551:
	s_mov_b32 s28, -1
	s_mov_b32 s30, 0
.LBB111_552:
                                        ; implicit-def: $vgpr4
.LBB111_553:
	s_and_b32 vcc_lo, exec_lo, s31
	s_cbranch_vccz .LBB111_558
; %bb.554:
	s_cmp_eq_u32 s29, 44
	s_cbranch_scc0 .LBB111_557
; %bb.555:
	global_load_u8 v1, v[10:11], off
	s_mov_b32 s28, 0
	s_mov_b32 s30, -1
	s_wait_loadcnt 0x0
	v_lshlrev_b32_e32 v3, 23, v1
	v_cmp_ne_u32_e32 vcc_lo, 0, v1
	s_delay_alu instid0(VALU_DEP_2) | instskip(NEXT) | instid1(VALU_DEP_1)
	v_cvt_i32_f32_e32 v3, v3
	v_cndmask_b32_e32 v4, 0, v3, vcc_lo
	s_branch .LBB111_558
.LBB111_556:
	s_mov_b32 s50, -1
	s_mov_b32 s31, 0
	s_mov_b32 s29, s47
	s_branch .LBB111_667
.LBB111_557:
	s_mov_b32 s28, -1
                                        ; implicit-def: $vgpr4
.LBB111_558:
	s_mov_b32 s31, 0
.LBB111_559:
	s_delay_alu instid0(SALU_CYCLE_1)
	s_and_b32 vcc_lo, exec_lo, s31
	s_cbranch_vccz .LBB111_563
; %bb.560:
	s_cmp_eq_u32 s29, 29
	s_cbranch_scc0 .LBB111_562
; %bb.561:
	global_load_b64 v[4:5], v[10:11], off
	s_mov_b32 s30, -1
	s_mov_b32 s28, 0
	s_branch .LBB111_563
.LBB111_562:
	s_mov_b32 s28, -1
                                        ; implicit-def: $vgpr4
.LBB111_563:
	s_mov_b32 s31, 0
.LBB111_564:
	s_delay_alu instid0(SALU_CYCLE_1)
	s_and_b32 vcc_lo, exec_lo, s31
	s_cbranch_vccz .LBB111_580
; %bb.565:
	s_cmp_lt_i32 s29, 27
	s_cbranch_scc1 .LBB111_568
; %bb.566:
	s_cmp_gt_i32 s29, 27
	s_cbranch_scc0 .LBB111_569
; %bb.567:
	s_wait_loadcnt 0x0
	global_load_b32 v4, v[10:11], off
	s_mov_b32 s30, 0
	s_branch .LBB111_570
.LBB111_568:
	s_mov_b32 s30, -1
                                        ; implicit-def: $vgpr4
	s_branch .LBB111_573
.LBB111_569:
	s_mov_b32 s30, -1
                                        ; implicit-def: $vgpr4
.LBB111_570:
	s_delay_alu instid0(SALU_CYCLE_1)
	s_and_not1_b32 vcc_lo, exec_lo, s30
	s_cbranch_vccnz .LBB111_572
; %bb.571:
	s_wait_loadcnt 0x0
	global_load_u16 v4, v[10:11], off
.LBB111_572:
	s_mov_b32 s30, 0
.LBB111_573:
	s_delay_alu instid0(SALU_CYCLE_1)
	s_and_not1_b32 vcc_lo, exec_lo, s30
	s_cbranch_vccnz .LBB111_579
; %bb.574:
	global_load_u8 v1, v[10:11], off
	s_mov_b32 s31, 0
	s_mov_b32 s30, exec_lo
	s_wait_loadcnt 0x0
	v_cmpx_lt_i16_e32 0x7f, v1
	s_xor_b32 s30, exec_lo, s30
	s_cbranch_execz .LBB111_591
; %bb.575:
	v_cmp_ne_u16_e32 vcc_lo, 0x80, v1
	s_and_b32 s31, vcc_lo, exec_lo
	s_and_not1_saveexec_b32 s30, s30
	s_cbranch_execnz .LBB111_592
.LBB111_576:
	s_or_b32 exec_lo, exec_lo, s30
	v_mov_b32_e32 v4, 0
	s_and_saveexec_b32 s30, s31
	s_cbranch_execz .LBB111_578
.LBB111_577:
	v_and_b32_e32 v3, 0xffff, v1
	s_delay_alu instid0(VALU_DEP_1) | instskip(SKIP_1) | instid1(VALU_DEP_2)
	v_and_b32_e32 v4, 7, v3
	v_bfe_u32 v9, v3, 3, 4
	v_clz_i32_u32_e32 v5, v4
	s_delay_alu instid0(VALU_DEP_2) | instskip(NEXT) | instid1(VALU_DEP_2)
	v_cmp_eq_u32_e32 vcc_lo, 0, v9
	v_min_u32_e32 v5, 32, v5
	s_delay_alu instid0(VALU_DEP_1) | instskip(NEXT) | instid1(VALU_DEP_1)
	v_subrev_nc_u32_e32 v7, 28, v5
	v_dual_lshlrev_b32 v3, v7, v3 :: v_dual_sub_nc_u32 v5, 29, v5
	s_delay_alu instid0(VALU_DEP_1) | instskip(NEXT) | instid1(VALU_DEP_1)
	v_dual_lshlrev_b32 v1, 24, v1 :: v_dual_bitop2_b32 v3, 7, v3 bitop3:0x40
	v_dual_cndmask_b32 v3, v4, v3, vcc_lo :: v_dual_cndmask_b32 v5, v9, v5, vcc_lo
	s_delay_alu instid0(VALU_DEP_2) | instskip(NEXT) | instid1(VALU_DEP_2)
	v_and_b32_e32 v1, 0x80000000, v1
	v_lshlrev_b32_e32 v3, 20, v3
	s_delay_alu instid0(VALU_DEP_3) | instskip(NEXT) | instid1(VALU_DEP_1)
	v_lshl_add_u32 v4, v5, 23, 0x3b800000
	v_or3_b32 v1, v1, v4, v3
	s_delay_alu instid0(VALU_DEP_1)
	v_cvt_i32_f32_e32 v4, v1
.LBB111_578:
	s_or_b32 exec_lo, exec_lo, s30
.LBB111_579:
	s_mov_b32 s30, -1
.LBB111_580:
	s_mov_b32 s31, 0
.LBB111_581:
	s_delay_alu instid0(SALU_CYCLE_1)
	s_and_b32 vcc_lo, exec_lo, s31
	s_cbranch_vccz .LBB111_614
; %bb.582:
	s_cmp_gt_i32 s29, 22
	s_cbranch_scc0 .LBB111_590
; %bb.583:
	s_cmp_lt_i32 s29, 24
	s_cbranch_scc1 .LBB111_593
; %bb.584:
	s_cmp_gt_i32 s29, 24
	s_cbranch_scc0 .LBB111_594
; %bb.585:
	global_load_u8 v1, v[10:11], off
	s_mov_b32 s31, 0
	s_mov_b32 s30, exec_lo
	s_wait_loadcnt 0x0
	v_cmpx_lt_i16_e32 0x7f, v1
	s_xor_b32 s30, exec_lo, s30
	s_cbranch_execz .LBB111_606
; %bb.586:
	v_cmp_ne_u16_e32 vcc_lo, 0x80, v1
	s_and_b32 s31, vcc_lo, exec_lo
	s_and_not1_saveexec_b32 s30, s30
	s_cbranch_execnz .LBB111_607
.LBB111_587:
	s_or_b32 exec_lo, exec_lo, s30
	v_mov_b32_e32 v4, 0
	s_and_saveexec_b32 s30, s31
	s_cbranch_execz .LBB111_589
.LBB111_588:
	v_and_b32_e32 v3, 0xffff, v1
	s_delay_alu instid0(VALU_DEP_1) | instskip(SKIP_1) | instid1(VALU_DEP_2)
	v_and_b32_e32 v4, 3, v3
	v_bfe_u32 v9, v3, 2, 5
	v_clz_i32_u32_e32 v5, v4
	s_delay_alu instid0(VALU_DEP_2) | instskip(NEXT) | instid1(VALU_DEP_2)
	v_cmp_eq_u32_e32 vcc_lo, 0, v9
	v_min_u32_e32 v5, 32, v5
	s_delay_alu instid0(VALU_DEP_1) | instskip(NEXT) | instid1(VALU_DEP_1)
	v_subrev_nc_u32_e32 v7, 29, v5
	v_dual_lshlrev_b32 v3, v7, v3 :: v_dual_sub_nc_u32 v5, 30, v5
	s_delay_alu instid0(VALU_DEP_1) | instskip(NEXT) | instid1(VALU_DEP_1)
	v_dual_lshlrev_b32 v1, 24, v1 :: v_dual_bitop2_b32 v3, 3, v3 bitop3:0x40
	v_dual_cndmask_b32 v3, v4, v3, vcc_lo :: v_dual_cndmask_b32 v5, v9, v5, vcc_lo
	s_delay_alu instid0(VALU_DEP_2) | instskip(NEXT) | instid1(VALU_DEP_2)
	v_and_b32_e32 v1, 0x80000000, v1
	v_lshlrev_b32_e32 v3, 21, v3
	s_delay_alu instid0(VALU_DEP_3) | instskip(NEXT) | instid1(VALU_DEP_1)
	v_lshl_add_u32 v4, v5, 23, 0x37800000
	v_or3_b32 v1, v1, v4, v3
	s_delay_alu instid0(VALU_DEP_1)
	v_cvt_i32_f32_e32 v4, v1
.LBB111_589:
	s_or_b32 exec_lo, exec_lo, s30
	s_mov_b32 s30, 0
	s_branch .LBB111_595
.LBB111_590:
	s_mov_b32 s31, -1
                                        ; implicit-def: $vgpr4
	s_branch .LBB111_601
.LBB111_591:
	s_and_not1_saveexec_b32 s30, s30
	s_cbranch_execz .LBB111_576
.LBB111_592:
	v_cmp_ne_u16_e32 vcc_lo, 0, v1
	s_and_not1_b32 s31, s31, exec_lo
	s_and_b32 s50, vcc_lo, exec_lo
	s_delay_alu instid0(SALU_CYCLE_1)
	s_or_b32 s31, s31, s50
	s_or_b32 exec_lo, exec_lo, s30
	v_mov_b32_e32 v4, 0
	s_and_saveexec_b32 s30, s31
	s_cbranch_execnz .LBB111_577
	s_branch .LBB111_578
.LBB111_593:
	s_mov_b32 s30, -1
                                        ; implicit-def: $vgpr4
	s_branch .LBB111_598
.LBB111_594:
	s_mov_b32 s30, -1
                                        ; implicit-def: $vgpr4
.LBB111_595:
	s_delay_alu instid0(SALU_CYCLE_1)
	s_and_b32 vcc_lo, exec_lo, s30
	s_cbranch_vccz .LBB111_597
; %bb.596:
	global_load_u8 v1, v[10:11], off
	s_wait_loadcnt 0x0
	v_lshlrev_b32_e32 v1, 24, v1
	s_delay_alu instid0(VALU_DEP_1) | instskip(NEXT) | instid1(VALU_DEP_1)
	v_and_b32_e32 v3, 0x7f000000, v1
	v_clz_i32_u32_e32 v4, v3
	v_add_nc_u32_e32 v7, 0x1000000, v3
	v_cmp_ne_u32_e32 vcc_lo, 0, v3
	s_delay_alu instid0(VALU_DEP_3) | instskip(NEXT) | instid1(VALU_DEP_1)
	v_min_u32_e32 v4, 32, v4
	v_sub_nc_u32_e64 v4, v4, 4 clamp
	s_delay_alu instid0(VALU_DEP_1) | instskip(NEXT) | instid1(VALU_DEP_1)
	v_dual_lshlrev_b32 v5, v4, v3 :: v_dual_lshlrev_b32 v4, 23, v4
	v_lshrrev_b32_e32 v5, 4, v5
	s_delay_alu instid0(VALU_DEP_1) | instskip(NEXT) | instid1(VALU_DEP_1)
	v_dual_sub_nc_u32 v4, v5, v4 :: v_dual_ashrrev_i32 v5, 8, v7
	v_add_nc_u32_e32 v4, 0x3c000000, v4
	s_delay_alu instid0(VALU_DEP_1) | instskip(NEXT) | instid1(VALU_DEP_1)
	v_and_or_b32 v4, 0x7f800000, v5, v4
	v_cndmask_b32_e32 v3, 0, v4, vcc_lo
	s_delay_alu instid0(VALU_DEP_1) | instskip(NEXT) | instid1(VALU_DEP_1)
	v_and_or_b32 v1, 0x80000000, v1, v3
	v_cvt_i32_f32_e32 v4, v1
.LBB111_597:
	s_mov_b32 s30, 0
.LBB111_598:
	s_delay_alu instid0(SALU_CYCLE_1)
	s_and_not1_b32 vcc_lo, exec_lo, s30
	s_cbranch_vccnz .LBB111_600
; %bb.599:
	global_load_u8 v1, v[10:11], off
	s_wait_loadcnt 0x0
	v_lshlrev_b32_e32 v3, 25, v1
	v_lshlrev_b16 v1, 8, v1
	s_delay_alu instid0(VALU_DEP_1) | instskip(NEXT) | instid1(VALU_DEP_3)
	v_and_or_b32 v5, 0x7f00, v1, 0.5
	v_lshrrev_b32_e32 v4, 4, v3
	v_bfe_i32 v1, v1, 0, 16
	s_delay_alu instid0(VALU_DEP_3) | instskip(NEXT) | instid1(VALU_DEP_3)
	v_add_f32_e32 v5, -0.5, v5
	v_or_b32_e32 v4, 0x70000000, v4
	s_delay_alu instid0(VALU_DEP_1) | instskip(SKIP_1) | instid1(VALU_DEP_2)
	v_mul_f32_e32 v4, 0x7800000, v4
	v_cmp_gt_u32_e32 vcc_lo, 0x8000000, v3
	v_cndmask_b32_e32 v3, v4, v5, vcc_lo
	s_delay_alu instid0(VALU_DEP_1) | instskip(NEXT) | instid1(VALU_DEP_1)
	v_and_or_b32 v1, 0x80000000, v1, v3
	v_cvt_i32_f32_e32 v4, v1
.LBB111_600:
	s_mov_b32 s31, 0
	s_mov_b32 s30, -1
.LBB111_601:
	s_and_not1_b32 vcc_lo, exec_lo, s31
	s_cbranch_vccnz .LBB111_614
; %bb.602:
	s_cmp_gt_i32 s29, 14
	s_cbranch_scc0 .LBB111_605
; %bb.603:
	s_cmp_eq_u32 s29, 15
	s_cbranch_scc0 .LBB111_608
; %bb.604:
	global_load_u16 v1, v[10:11], off
	s_mov_b32 s30, -1
	s_mov_b32 s28, 0
	s_wait_loadcnt 0x0
	v_lshlrev_b32_e32 v1, 16, v1
	s_delay_alu instid0(VALU_DEP_1)
	v_cvt_i32_f32_e32 v4, v1
	s_branch .LBB111_609
.LBB111_605:
	s_mov_b32 s31, -1
                                        ; implicit-def: $vgpr4
	s_branch .LBB111_610
.LBB111_606:
	s_and_not1_saveexec_b32 s30, s30
	s_cbranch_execz .LBB111_587
.LBB111_607:
	v_cmp_ne_u16_e32 vcc_lo, 0, v1
	s_and_not1_b32 s31, s31, exec_lo
	s_and_b32 s50, vcc_lo, exec_lo
	s_delay_alu instid0(SALU_CYCLE_1)
	s_or_b32 s31, s31, s50
	s_or_b32 exec_lo, exec_lo, s30
	v_mov_b32_e32 v4, 0
	s_and_saveexec_b32 s30, s31
	s_cbranch_execnz .LBB111_588
	s_branch .LBB111_589
.LBB111_608:
	s_mov_b32 s28, -1
                                        ; implicit-def: $vgpr4
.LBB111_609:
	s_mov_b32 s31, 0
.LBB111_610:
	s_delay_alu instid0(SALU_CYCLE_1)
	s_and_b32 vcc_lo, exec_lo, s31
	s_cbranch_vccz .LBB111_614
; %bb.611:
	s_cmp_eq_u32 s29, 11
	s_cbranch_scc0 .LBB111_613
; %bb.612:
	global_load_u8 v1, v[10:11], off
	s_mov_b32 s28, 0
	s_mov_b32 s30, -1
	s_wait_loadcnt 0x0
	v_cmp_ne_u16_e32 vcc_lo, 0, v1
	v_cndmask_b32_e64 v4, 0, 1, vcc_lo
	s_branch .LBB111_614
.LBB111_613:
	s_mov_b32 s28, -1
                                        ; implicit-def: $vgpr4
.LBB111_614:
	s_branch .LBB111_535
.LBB111_615:
	s_and_b32 s0, 0xffff, s0
	s_delay_alu instid0(SALU_CYCLE_1)
	s_cmp_lt_i32 s0, 5
	s_cbranch_scc1 .LBB111_620
; %bb.616:
	s_cmp_lt_i32 s0, 8
	s_cbranch_scc1 .LBB111_621
; %bb.617:
	;; [unrolled: 3-line block ×3, first 2 shown]
	s_cmp_gt_i32 s0, 9
	s_cbranch_scc0 .LBB111_623
; %bb.619:
	s_wait_loadcnt 0x0
	global_load_b64 v[4:5], v[10:11], off
	s_mov_b32 s29, 0
	s_wait_loadcnt 0x0
	v_cvt_i32_f64_e32 v4, v[4:5]
	s_branch .LBB111_624
.LBB111_620:
	s_mov_b32 s29, -1
                                        ; implicit-def: $vgpr4
	s_branch .LBB111_642
.LBB111_621:
	s_mov_b32 s29, -1
                                        ; implicit-def: $vgpr4
	s_branch .LBB111_630
.LBB111_622:
	s_mov_b32 s29, -1
                                        ; implicit-def: $vgpr4
	s_branch .LBB111_627
.LBB111_623:
	s_mov_b32 s29, -1
                                        ; implicit-def: $vgpr4
.LBB111_624:
	s_delay_alu instid0(SALU_CYCLE_1)
	s_and_not1_b32 vcc_lo, exec_lo, s29
	s_cbranch_vccnz .LBB111_626
; %bb.625:
	global_load_b32 v1, v[10:11], off
	s_wait_loadcnt 0x0
	v_cvt_i32_f32_e32 v4, v1
.LBB111_626:
	s_mov_b32 s29, 0
.LBB111_627:
	s_delay_alu instid0(SALU_CYCLE_1)
	s_and_not1_b32 vcc_lo, exec_lo, s29
	s_cbranch_vccnz .LBB111_629
; %bb.628:
	global_load_b32 v1, v[10:11], off
	s_wait_loadcnt 0x0
	v_cvt_i16_f16_e32 v4, v1
.LBB111_629:
	s_mov_b32 s29, 0
.LBB111_630:
	s_delay_alu instid0(SALU_CYCLE_1)
	s_and_not1_b32 vcc_lo, exec_lo, s29
	s_cbranch_vccnz .LBB111_641
; %bb.631:
	s_cmp_lt_i32 s0, 6
	s_cbranch_scc1 .LBB111_634
; %bb.632:
	s_cmp_gt_i32 s0, 6
	s_cbranch_scc0 .LBB111_635
; %bb.633:
	s_wait_loadcnt 0x0
	global_load_b64 v[4:5], v[10:11], off
	s_mov_b32 s29, 0
	s_wait_loadcnt 0x0
	v_cvt_i32_f64_e32 v4, v[4:5]
	s_branch .LBB111_636
.LBB111_634:
	s_mov_b32 s29, -1
                                        ; implicit-def: $vgpr4
	s_branch .LBB111_639
.LBB111_635:
	s_mov_b32 s29, -1
                                        ; implicit-def: $vgpr4
.LBB111_636:
	s_delay_alu instid0(SALU_CYCLE_1)
	s_and_not1_b32 vcc_lo, exec_lo, s29
	s_cbranch_vccnz .LBB111_638
; %bb.637:
	global_load_b32 v1, v[10:11], off
	s_wait_loadcnt 0x0
	v_cvt_i32_f32_e32 v4, v1
.LBB111_638:
	s_mov_b32 s29, 0
.LBB111_639:
	s_delay_alu instid0(SALU_CYCLE_1)
	s_and_not1_b32 vcc_lo, exec_lo, s29
	s_cbranch_vccnz .LBB111_641
; %bb.640:
	global_load_u16 v1, v[10:11], off
	s_wait_loadcnt 0x0
	v_cvt_i16_f16_e32 v4, v1
.LBB111_641:
	s_mov_b32 s29, 0
.LBB111_642:
	s_delay_alu instid0(SALU_CYCLE_1)
	s_and_not1_b32 vcc_lo, exec_lo, s29
	s_cbranch_vccnz .LBB111_662
; %bb.643:
	s_cmp_lt_i32 s0, 2
	s_cbranch_scc1 .LBB111_647
; %bb.644:
	s_cmp_lt_i32 s0, 3
	s_cbranch_scc1 .LBB111_648
; %bb.645:
	s_cmp_gt_i32 s0, 3
	s_cbranch_scc0 .LBB111_649
; %bb.646:
	s_wait_loadcnt 0x0
	global_load_b64 v[4:5], v[10:11], off
	s_mov_b32 s29, 0
	s_branch .LBB111_650
.LBB111_647:
	s_mov_b32 s29, -1
                                        ; implicit-def: $vgpr4
	s_branch .LBB111_656
.LBB111_648:
	s_mov_b32 s29, -1
                                        ; implicit-def: $vgpr4
	s_branch .LBB111_653
.LBB111_649:
	s_mov_b32 s29, -1
                                        ; implicit-def: $vgpr4
.LBB111_650:
	s_delay_alu instid0(SALU_CYCLE_1)
	s_and_not1_b32 vcc_lo, exec_lo, s29
	s_cbranch_vccnz .LBB111_652
; %bb.651:
	s_wait_loadcnt 0x0
	global_load_b32 v4, v[10:11], off
.LBB111_652:
	s_mov_b32 s29, 0
.LBB111_653:
	s_delay_alu instid0(SALU_CYCLE_1)
	s_and_not1_b32 vcc_lo, exec_lo, s29
	s_cbranch_vccnz .LBB111_655
; %bb.654:
	s_wait_loadcnt 0x0
	global_load_u16 v4, v[10:11], off
.LBB111_655:
	s_mov_b32 s29, 0
.LBB111_656:
	s_delay_alu instid0(SALU_CYCLE_1)
	s_and_not1_b32 vcc_lo, exec_lo, s29
	s_cbranch_vccnz .LBB111_662
; %bb.657:
	s_cmp_gt_i32 s0, 0
	s_mov_b32 s0, 0
	s_cbranch_scc0 .LBB111_659
; %bb.658:
	s_wait_loadcnt 0x0
	global_load_u8 v4, v[10:11], off
	s_branch .LBB111_660
.LBB111_659:
	s_mov_b32 s0, -1
                                        ; implicit-def: $vgpr4
.LBB111_660:
	s_delay_alu instid0(SALU_CYCLE_1)
	s_and_not1_b32 vcc_lo, exec_lo, s0
	s_cbranch_vccnz .LBB111_662
; %bb.661:
	s_wait_loadcnt 0x0
	global_load_u8 v4, v[10:11], off
.LBB111_662:
	s_branch .LBB111_536
.LBB111_663:
	s_mov_b32 s31, 0
	s_mov_b32 s0, s42
	s_mov_b32 s30, s46
	s_mov_b32 s29, s47
	s_branch .LBB111_1031
.LBB111_664:
	s_and_not1_saveexec_b32 s48, s48
	s_cbranch_execz .LBB111_420
.LBB111_665:
	v_add_f32_e64 v5, 0x46000000, |v4|
	s_and_not1_b32 s47, s47, exec_lo
	s_delay_alu instid0(VALU_DEP_1) | instskip(NEXT) | instid1(VALU_DEP_1)
	v_and_b32_e32 v5, 0xff, v5
	v_cmp_ne_u32_e32 vcc_lo, 0, v5
	s_and_b32 s50, vcc_lo, exec_lo
	s_delay_alu instid0(SALU_CYCLE_1)
	s_or_b32 s47, s47, s50
	s_or_b32 exec_lo, exec_lo, s48
	v_mov_b32_e32 v6, 0
	s_and_saveexec_b32 s48, s47
	s_cbranch_execnz .LBB111_421
	s_branch .LBB111_422
.LBB111_666:
	s_mov_b32 s29, -1
	s_mov_b32 s31, 0
.LBB111_667:
                                        ; implicit-def: $vgpr8
.LBB111_668:
	s_and_b32 vcc_lo, exec_lo, s50
	s_cbranch_vccz .LBB111_672
; %bb.669:
	s_cmp_eq_u32 s30, 44
	s_cbranch_scc0 .LBB111_671
; %bb.670:
	global_load_u8 v1, v[10:11], off
	s_mov_b32 s29, 0
	s_mov_b32 s31, -1
	s_wait_loadcnt 0x0
	v_lshlrev_b32_e32 v3, 23, v1
	v_cmp_ne_u32_e32 vcc_lo, 0, v1
	s_delay_alu instid0(VALU_DEP_2) | instskip(NEXT) | instid1(VALU_DEP_1)
	v_cvt_i32_f32_e32 v3, v3
	v_cndmask_b32_e32 v8, 0, v3, vcc_lo
	s_branch .LBB111_672
.LBB111_671:
	s_mov_b32 s29, -1
                                        ; implicit-def: $vgpr8
.LBB111_672:
	s_mov_b32 s50, 0
.LBB111_673:
	s_delay_alu instid0(SALU_CYCLE_1)
	s_and_b32 vcc_lo, exec_lo, s50
	s_cbranch_vccz .LBB111_677
; %bb.674:
	s_cmp_eq_u32 s30, 29
	s_cbranch_scc0 .LBB111_676
; %bb.675:
	global_load_b64 v[8:9], v[10:11], off
	s_mov_b32 s31, -1
	s_mov_b32 s29, 0
	s_branch .LBB111_677
.LBB111_676:
	s_mov_b32 s29, -1
                                        ; implicit-def: $vgpr8
.LBB111_677:
	s_mov_b32 s50, 0
.LBB111_678:
	s_delay_alu instid0(SALU_CYCLE_1)
	s_and_b32 vcc_lo, exec_lo, s50
	s_cbranch_vccz .LBB111_694
; %bb.679:
	s_cmp_lt_i32 s30, 27
	s_cbranch_scc1 .LBB111_682
; %bb.680:
	s_cmp_gt_i32 s30, 27
	s_cbranch_scc0 .LBB111_683
; %bb.681:
	s_wait_loadcnt 0x0
	global_load_b32 v8, v[10:11], off
	s_mov_b32 s31, 0
	s_branch .LBB111_684
.LBB111_682:
	s_mov_b32 s31, -1
                                        ; implicit-def: $vgpr8
	s_branch .LBB111_687
.LBB111_683:
	s_mov_b32 s31, -1
                                        ; implicit-def: $vgpr8
.LBB111_684:
	s_delay_alu instid0(SALU_CYCLE_1)
	s_and_not1_b32 vcc_lo, exec_lo, s31
	s_cbranch_vccnz .LBB111_686
; %bb.685:
	s_wait_loadcnt 0x0
	global_load_u16 v8, v[10:11], off
.LBB111_686:
	s_mov_b32 s31, 0
.LBB111_687:
	s_delay_alu instid0(SALU_CYCLE_1)
	s_and_not1_b32 vcc_lo, exec_lo, s31
	s_cbranch_vccnz .LBB111_693
; %bb.688:
	global_load_u8 v1, v[10:11], off
	s_mov_b32 s50, 0
	s_mov_b32 s31, exec_lo
	s_wait_loadcnt 0x0
	v_cmpx_lt_i16_e32 0x7f, v1
	s_xor_b32 s31, exec_lo, s31
	s_cbranch_execz .LBB111_705
; %bb.689:
	v_cmp_ne_u16_e32 vcc_lo, 0x80, v1
	s_and_b32 s50, vcc_lo, exec_lo
	s_and_not1_saveexec_b32 s31, s31
	s_cbranch_execnz .LBB111_706
.LBB111_690:
	s_or_b32 exec_lo, exec_lo, s31
	v_mov_b32_e32 v8, 0
	s_and_saveexec_b32 s31, s50
	s_cbranch_execz .LBB111_692
.LBB111_691:
	v_and_b32_e32 v3, 0xffff, v1
	s_delay_alu instid0(VALU_DEP_1) | instskip(SKIP_1) | instid1(VALU_DEP_2)
	v_dual_lshlrev_b32 v1, 24, v1 :: v_dual_bitop2_b32 v5, 7, v3 bitop3:0x40
	v_bfe_u32 v9, v3, 3, 4
	v_and_b32_e32 v1, 0x80000000, v1
	s_delay_alu instid0(VALU_DEP_3) | instskip(NEXT) | instid1(VALU_DEP_3)
	v_clz_i32_u32_e32 v7, v5
	v_cmp_eq_u32_e32 vcc_lo, 0, v9
	s_delay_alu instid0(VALU_DEP_2) | instskip(NEXT) | instid1(VALU_DEP_1)
	v_min_u32_e32 v7, 32, v7
	v_subrev_nc_u32_e32 v8, 28, v7
	v_sub_nc_u32_e32 v7, 29, v7
	s_delay_alu instid0(VALU_DEP_2) | instskip(NEXT) | instid1(VALU_DEP_2)
	v_lshlrev_b32_e32 v3, v8, v3
	v_cndmask_b32_e32 v7, v9, v7, vcc_lo
	s_delay_alu instid0(VALU_DEP_2) | instskip(NEXT) | instid1(VALU_DEP_1)
	v_and_b32_e32 v3, 7, v3
	v_cndmask_b32_e32 v3, v5, v3, vcc_lo
	s_delay_alu instid0(VALU_DEP_3) | instskip(NEXT) | instid1(VALU_DEP_2)
	v_lshl_add_u32 v5, v7, 23, 0x3b800000
	v_lshlrev_b32_e32 v3, 20, v3
	s_delay_alu instid0(VALU_DEP_1) | instskip(NEXT) | instid1(VALU_DEP_1)
	v_or3_b32 v1, v1, v5, v3
	v_cvt_i32_f32_e32 v8, v1
.LBB111_692:
	s_or_b32 exec_lo, exec_lo, s31
.LBB111_693:
	s_mov_b32 s31, -1
.LBB111_694:
	s_mov_b32 s50, 0
.LBB111_695:
	s_delay_alu instid0(SALU_CYCLE_1)
	s_and_b32 vcc_lo, exec_lo, s50
	s_cbranch_vccz .LBB111_728
; %bb.696:
	s_cmp_gt_i32 s30, 22
	s_cbranch_scc0 .LBB111_704
; %bb.697:
	s_cmp_lt_i32 s30, 24
	s_cbranch_scc1 .LBB111_707
; %bb.698:
	s_cmp_gt_i32 s30, 24
	s_cbranch_scc0 .LBB111_708
; %bb.699:
	global_load_u8 v1, v[10:11], off
	s_mov_b32 s50, 0
	s_mov_b32 s31, exec_lo
	s_wait_loadcnt 0x0
	v_cmpx_lt_i16_e32 0x7f, v1
	s_xor_b32 s31, exec_lo, s31
	s_cbranch_execz .LBB111_720
; %bb.700:
	v_cmp_ne_u16_e32 vcc_lo, 0x80, v1
	s_and_b32 s50, vcc_lo, exec_lo
	s_and_not1_saveexec_b32 s31, s31
	s_cbranch_execnz .LBB111_721
.LBB111_701:
	s_or_b32 exec_lo, exec_lo, s31
	v_mov_b32_e32 v8, 0
	s_and_saveexec_b32 s31, s50
	s_cbranch_execz .LBB111_703
.LBB111_702:
	v_and_b32_e32 v3, 0xffff, v1
	s_delay_alu instid0(VALU_DEP_1) | instskip(SKIP_1) | instid1(VALU_DEP_2)
	v_dual_lshlrev_b32 v1, 24, v1 :: v_dual_bitop2_b32 v5, 3, v3 bitop3:0x40
	v_bfe_u32 v9, v3, 2, 5
	v_and_b32_e32 v1, 0x80000000, v1
	s_delay_alu instid0(VALU_DEP_3) | instskip(NEXT) | instid1(VALU_DEP_3)
	v_clz_i32_u32_e32 v7, v5
	v_cmp_eq_u32_e32 vcc_lo, 0, v9
	s_delay_alu instid0(VALU_DEP_2) | instskip(NEXT) | instid1(VALU_DEP_1)
	v_min_u32_e32 v7, 32, v7
	v_subrev_nc_u32_e32 v8, 29, v7
	v_sub_nc_u32_e32 v7, 30, v7
	s_delay_alu instid0(VALU_DEP_2) | instskip(NEXT) | instid1(VALU_DEP_2)
	v_lshlrev_b32_e32 v3, v8, v3
	v_cndmask_b32_e32 v7, v9, v7, vcc_lo
	s_delay_alu instid0(VALU_DEP_2) | instskip(NEXT) | instid1(VALU_DEP_1)
	v_and_b32_e32 v3, 3, v3
	v_cndmask_b32_e32 v3, v5, v3, vcc_lo
	s_delay_alu instid0(VALU_DEP_3) | instskip(NEXT) | instid1(VALU_DEP_2)
	v_lshl_add_u32 v5, v7, 23, 0x37800000
	v_lshlrev_b32_e32 v3, 21, v3
	s_delay_alu instid0(VALU_DEP_1) | instskip(NEXT) | instid1(VALU_DEP_1)
	v_or3_b32 v1, v1, v5, v3
	v_cvt_i32_f32_e32 v8, v1
.LBB111_703:
	s_or_b32 exec_lo, exec_lo, s31
	s_mov_b32 s31, 0
	s_branch .LBB111_709
.LBB111_704:
	s_mov_b32 s50, -1
                                        ; implicit-def: $vgpr8
	s_branch .LBB111_715
.LBB111_705:
	s_and_not1_saveexec_b32 s31, s31
	s_cbranch_execz .LBB111_690
.LBB111_706:
	v_cmp_ne_u16_e32 vcc_lo, 0, v1
	s_and_not1_b32 s50, s50, exec_lo
	s_and_b32 s51, vcc_lo, exec_lo
	s_delay_alu instid0(SALU_CYCLE_1)
	s_or_b32 s50, s50, s51
	s_or_b32 exec_lo, exec_lo, s31
	v_mov_b32_e32 v8, 0
	s_and_saveexec_b32 s31, s50
	s_cbranch_execnz .LBB111_691
	s_branch .LBB111_692
.LBB111_707:
	s_mov_b32 s31, -1
                                        ; implicit-def: $vgpr8
	s_branch .LBB111_712
.LBB111_708:
	s_mov_b32 s31, -1
                                        ; implicit-def: $vgpr8
.LBB111_709:
	s_delay_alu instid0(SALU_CYCLE_1)
	s_and_b32 vcc_lo, exec_lo, s31
	s_cbranch_vccz .LBB111_711
; %bb.710:
	global_load_u8 v1, v[10:11], off
	s_wait_loadcnt 0x0
	v_lshlrev_b32_e32 v1, 24, v1
	s_delay_alu instid0(VALU_DEP_1) | instskip(NEXT) | instid1(VALU_DEP_1)
	v_and_b32_e32 v3, 0x7f000000, v1
	v_clz_i32_u32_e32 v5, v3
	v_cmp_ne_u32_e32 vcc_lo, 0, v3
	v_add_nc_u32_e32 v8, 0x1000000, v3
	s_delay_alu instid0(VALU_DEP_3) | instskip(NEXT) | instid1(VALU_DEP_1)
	v_min_u32_e32 v5, 32, v5
	v_sub_nc_u32_e64 v5, v5, 4 clamp
	s_delay_alu instid0(VALU_DEP_1) | instskip(NEXT) | instid1(VALU_DEP_1)
	v_dual_lshlrev_b32 v7, v5, v3 :: v_dual_lshlrev_b32 v5, 23, v5
	v_lshrrev_b32_e32 v7, 4, v7
	s_delay_alu instid0(VALU_DEP_1) | instskip(NEXT) | instid1(VALU_DEP_1)
	v_dual_sub_nc_u32 v5, v7, v5 :: v_dual_ashrrev_i32 v7, 8, v8
	v_add_nc_u32_e32 v5, 0x3c000000, v5
	s_delay_alu instid0(VALU_DEP_1) | instskip(NEXT) | instid1(VALU_DEP_1)
	v_and_or_b32 v5, 0x7f800000, v7, v5
	v_cndmask_b32_e32 v3, 0, v5, vcc_lo
	s_delay_alu instid0(VALU_DEP_1) | instskip(NEXT) | instid1(VALU_DEP_1)
	v_and_or_b32 v1, 0x80000000, v1, v3
	v_cvt_i32_f32_e32 v8, v1
.LBB111_711:
	s_mov_b32 s31, 0
.LBB111_712:
	s_delay_alu instid0(SALU_CYCLE_1)
	s_and_not1_b32 vcc_lo, exec_lo, s31
	s_cbranch_vccnz .LBB111_714
; %bb.713:
	global_load_u8 v1, v[10:11], off
	s_wait_loadcnt 0x0
	v_lshlrev_b32_e32 v3, 25, v1
	v_lshlrev_b16 v1, 8, v1
	s_delay_alu instid0(VALU_DEP_1) | instskip(SKIP_1) | instid1(VALU_DEP_2)
	v_and_or_b32 v7, 0x7f00, v1, 0.5
	v_bfe_i32 v1, v1, 0, 16
	v_add_f32_e32 v7, -0.5, v7
	v_lshrrev_b32_e32 v5, 4, v3
	v_cmp_gt_u32_e32 vcc_lo, 0x8000000, v3
	s_delay_alu instid0(VALU_DEP_2) | instskip(NEXT) | instid1(VALU_DEP_1)
	v_or_b32_e32 v5, 0x70000000, v5
	v_mul_f32_e32 v5, 0x7800000, v5
	s_delay_alu instid0(VALU_DEP_1) | instskip(NEXT) | instid1(VALU_DEP_1)
	v_cndmask_b32_e32 v3, v5, v7, vcc_lo
	v_and_or_b32 v1, 0x80000000, v1, v3
	s_delay_alu instid0(VALU_DEP_1)
	v_cvt_i32_f32_e32 v8, v1
.LBB111_714:
	s_mov_b32 s50, 0
	s_mov_b32 s31, -1
.LBB111_715:
	s_and_not1_b32 vcc_lo, exec_lo, s50
	s_cbranch_vccnz .LBB111_728
; %bb.716:
	s_cmp_gt_i32 s30, 14
	s_cbranch_scc0 .LBB111_719
; %bb.717:
	s_cmp_eq_u32 s30, 15
	s_cbranch_scc0 .LBB111_722
; %bb.718:
	global_load_u16 v1, v[10:11], off
	s_mov_b32 s31, -1
	s_mov_b32 s29, 0
	s_wait_loadcnt 0x0
	v_lshlrev_b32_e32 v1, 16, v1
	s_delay_alu instid0(VALU_DEP_1)
	v_cvt_i32_f32_e32 v8, v1
	s_branch .LBB111_723
.LBB111_719:
	s_mov_b32 s50, -1
                                        ; implicit-def: $vgpr8
	s_branch .LBB111_724
.LBB111_720:
	s_and_not1_saveexec_b32 s31, s31
	s_cbranch_execz .LBB111_701
.LBB111_721:
	v_cmp_ne_u16_e32 vcc_lo, 0, v1
	s_and_not1_b32 s50, s50, exec_lo
	s_and_b32 s51, vcc_lo, exec_lo
	s_delay_alu instid0(SALU_CYCLE_1)
	s_or_b32 s50, s50, s51
	s_or_b32 exec_lo, exec_lo, s31
	v_mov_b32_e32 v8, 0
	s_and_saveexec_b32 s31, s50
	s_cbranch_execnz .LBB111_702
	s_branch .LBB111_703
.LBB111_722:
	s_mov_b32 s29, -1
                                        ; implicit-def: $vgpr8
.LBB111_723:
	s_mov_b32 s50, 0
.LBB111_724:
	s_delay_alu instid0(SALU_CYCLE_1)
	s_and_b32 vcc_lo, exec_lo, s50
	s_cbranch_vccz .LBB111_728
; %bb.725:
	s_cmp_eq_u32 s30, 11
	s_cbranch_scc0 .LBB111_727
; %bb.726:
	global_load_u8 v1, v[10:11], off
	s_mov_b32 s29, 0
	s_mov_b32 s31, -1
	s_wait_loadcnt 0x0
	v_cmp_ne_u16_e32 vcc_lo, 0, v1
	v_cndmask_b32_e64 v8, 0, 1, vcc_lo
	s_branch .LBB111_728
.LBB111_727:
	s_mov_b32 s29, -1
                                        ; implicit-def: $vgpr8
.LBB111_728:
	s_mov_b32 s30, 0
.LBB111_729:
	s_delay_alu instid0(SALU_CYCLE_1)
	s_and_b32 vcc_lo, exec_lo, s30
	s_cbranch_vccz .LBB111_778
; %bb.730:
	s_and_b32 s0, 0xffff, s0
	s_delay_alu instid0(SALU_CYCLE_1)
	s_cmp_lt_i32 s0, 5
	s_cbranch_scc1 .LBB111_735
; %bb.731:
	s_cmp_lt_i32 s0, 8
	s_cbranch_scc1 .LBB111_736
; %bb.732:
	;; [unrolled: 3-line block ×3, first 2 shown]
	s_cmp_gt_i32 s0, 9
	s_cbranch_scc0 .LBB111_738
; %bb.734:
	s_wait_loadcnt 0x0
	global_load_b64 v[8:9], v[10:11], off
	s_mov_b32 s30, 0
	s_wait_loadcnt 0x0
	v_cvt_i32_f64_e32 v8, v[8:9]
	s_branch .LBB111_739
.LBB111_735:
	s_mov_b32 s30, -1
                                        ; implicit-def: $vgpr8
	s_branch .LBB111_757
.LBB111_736:
	s_mov_b32 s30, -1
                                        ; implicit-def: $vgpr8
	s_branch .LBB111_745
.LBB111_737:
	s_mov_b32 s30, -1
                                        ; implicit-def: $vgpr8
	s_branch .LBB111_742
.LBB111_738:
	s_mov_b32 s30, -1
                                        ; implicit-def: $vgpr8
.LBB111_739:
	s_delay_alu instid0(SALU_CYCLE_1)
	s_and_not1_b32 vcc_lo, exec_lo, s30
	s_cbranch_vccnz .LBB111_741
; %bb.740:
	global_load_b32 v1, v[10:11], off
	s_wait_loadcnt 0x0
	v_cvt_i32_f32_e32 v8, v1
.LBB111_741:
	s_mov_b32 s30, 0
.LBB111_742:
	s_delay_alu instid0(SALU_CYCLE_1)
	s_and_not1_b32 vcc_lo, exec_lo, s30
	s_cbranch_vccnz .LBB111_744
; %bb.743:
	global_load_b32 v1, v[10:11], off
	s_wait_loadcnt 0x0
	v_cvt_i16_f16_e32 v8, v1
.LBB111_744:
	s_mov_b32 s30, 0
.LBB111_745:
	s_delay_alu instid0(SALU_CYCLE_1)
	s_and_not1_b32 vcc_lo, exec_lo, s30
	s_cbranch_vccnz .LBB111_756
; %bb.746:
	s_cmp_lt_i32 s0, 6
	s_cbranch_scc1 .LBB111_749
; %bb.747:
	s_cmp_gt_i32 s0, 6
	s_cbranch_scc0 .LBB111_750
; %bb.748:
	s_wait_loadcnt 0x0
	global_load_b64 v[8:9], v[10:11], off
	s_mov_b32 s30, 0
	s_wait_loadcnt 0x0
	v_cvt_i32_f64_e32 v8, v[8:9]
	s_branch .LBB111_751
.LBB111_749:
	s_mov_b32 s30, -1
                                        ; implicit-def: $vgpr8
	s_branch .LBB111_754
.LBB111_750:
	s_mov_b32 s30, -1
                                        ; implicit-def: $vgpr8
.LBB111_751:
	s_delay_alu instid0(SALU_CYCLE_1)
	s_and_not1_b32 vcc_lo, exec_lo, s30
	s_cbranch_vccnz .LBB111_753
; %bb.752:
	global_load_b32 v1, v[10:11], off
	s_wait_loadcnt 0x0
	v_cvt_i32_f32_e32 v8, v1
.LBB111_753:
	s_mov_b32 s30, 0
.LBB111_754:
	s_delay_alu instid0(SALU_CYCLE_1)
	s_and_not1_b32 vcc_lo, exec_lo, s30
	s_cbranch_vccnz .LBB111_756
; %bb.755:
	global_load_u16 v1, v[10:11], off
	s_wait_loadcnt 0x0
	v_cvt_i16_f16_e32 v8, v1
.LBB111_756:
	s_mov_b32 s30, 0
.LBB111_757:
	s_delay_alu instid0(SALU_CYCLE_1)
	s_and_not1_b32 vcc_lo, exec_lo, s30
	s_cbranch_vccnz .LBB111_777
; %bb.758:
	s_cmp_lt_i32 s0, 2
	s_cbranch_scc1 .LBB111_762
; %bb.759:
	s_cmp_lt_i32 s0, 3
	s_cbranch_scc1 .LBB111_763
; %bb.760:
	s_cmp_gt_i32 s0, 3
	s_cbranch_scc0 .LBB111_764
; %bb.761:
	s_wait_loadcnt 0x0
	global_load_b64 v[8:9], v[10:11], off
	s_mov_b32 s30, 0
	s_branch .LBB111_765
.LBB111_762:
	s_mov_b32 s30, -1
                                        ; implicit-def: $vgpr8
	s_branch .LBB111_771
.LBB111_763:
	s_mov_b32 s30, -1
                                        ; implicit-def: $vgpr8
	s_branch .LBB111_768
.LBB111_764:
	s_mov_b32 s30, -1
                                        ; implicit-def: $vgpr8
.LBB111_765:
	s_delay_alu instid0(SALU_CYCLE_1)
	s_and_not1_b32 vcc_lo, exec_lo, s30
	s_cbranch_vccnz .LBB111_767
; %bb.766:
	s_wait_loadcnt 0x0
	global_load_b32 v8, v[10:11], off
.LBB111_767:
	s_mov_b32 s30, 0
.LBB111_768:
	s_delay_alu instid0(SALU_CYCLE_1)
	s_and_not1_b32 vcc_lo, exec_lo, s30
	s_cbranch_vccnz .LBB111_770
; %bb.769:
	s_wait_loadcnt 0x0
	global_load_u16 v8, v[10:11], off
.LBB111_770:
	s_mov_b32 s30, 0
.LBB111_771:
	s_delay_alu instid0(SALU_CYCLE_1)
	s_and_not1_b32 vcc_lo, exec_lo, s30
	s_cbranch_vccnz .LBB111_777
; %bb.772:
	s_cmp_gt_i32 s0, 0
	s_mov_b32 s0, 0
	s_cbranch_scc0 .LBB111_774
; %bb.773:
	s_wait_loadcnt 0x0
	global_load_u8 v8, v[10:11], off
	s_branch .LBB111_775
.LBB111_774:
	s_mov_b32 s0, -1
                                        ; implicit-def: $vgpr8
.LBB111_775:
	s_delay_alu instid0(SALU_CYCLE_1)
	s_and_not1_b32 vcc_lo, exec_lo, s0
	s_cbranch_vccnz .LBB111_777
; %bb.776:
	s_wait_loadcnt 0x0
	global_load_u8 v8, v[10:11], off
.LBB111_777:
	s_mov_b32 s31, -1
.LBB111_778:
	s_delay_alu instid0(SALU_CYCLE_1)
	s_and_not1_b32 vcc_lo, exec_lo, s31
	s_cbranch_vccnz .LBB111_786
; %bb.779:
	v_mov_b32_e32 v7, 0
	s_and_b32 s0, 0xffff, s21
	s_delay_alu instid0(SALU_CYCLE_1) | instskip(NEXT) | instid1(VALU_DEP_1)
	s_cmp_lt_i32 s0, 11
	v_add_nc_u64_e32 v[6:7], s[10:11], v[6:7]
	s_cbranch_scc1 .LBB111_787
; %bb.780:
	s_cmp_gt_i32 s0, 25
	s_cbranch_scc0 .LBB111_788
; %bb.781:
	s_cmp_gt_i32 s0, 28
	s_cbranch_scc0 .LBB111_789
	;; [unrolled: 3-line block ×4, first 2 shown]
; %bb.784:
	s_cmp_eq_u32 s0, 46
	s_mov_b32 s50, 0
	s_cbranch_scc0 .LBB111_794
; %bb.785:
	global_load_b32 v1, v[6:7], off
	s_mov_b32 s31, -1
	s_mov_b32 s30, 0
	s_wait_loadcnt 0x0
	v_lshlrev_b32_e32 v1, 16, v1
	s_wait_xcnt 0x1
	s_delay_alu instid0(VALU_DEP_1)
	v_cvt_i32_f32_e32 v10, v1
	s_branch .LBB111_796
.LBB111_786:
	s_mov_b32 s31, 0
	s_mov_b32 s0, s42
	;; [unrolled: 1-line block ×3, first 2 shown]
	s_branch .LBB111_1031
.LBB111_787:
	s_mov_b32 s50, -1
	s_mov_b32 s31, 0
	s_mov_b32 s30, s46
                                        ; implicit-def: $vgpr10
	s_branch .LBB111_857
.LBB111_788:
	s_mov_b32 s50, -1
	s_mov_b32 s31, 0
	s_mov_b32 s30, s46
                                        ; implicit-def: $vgpr10
	s_branch .LBB111_823
.LBB111_789:
	s_mov_b32 s50, -1
	s_mov_b32 s31, 0
	s_mov_b32 s30, s46
                                        ; implicit-def: $vgpr10
	s_branch .LBB111_806
.LBB111_790:
	s_mov_b32 s50, -1
	s_mov_b32 s31, 0
	s_mov_b32 s30, s46
                                        ; implicit-def: $vgpr10
	s_branch .LBB111_801
.LBB111_791:
	s_mov_b32 s50, -1
	s_mov_b32 s31, 0
	s_mov_b32 s30, s46
	s_branch .LBB111_795
.LBB111_792:
	s_and_not1_saveexec_b32 s48, s48
	s_cbranch_execz .LBB111_433
.LBB111_793:
	v_add_f32_e64 v5, 0x42800000, |v4|
	s_and_not1_b32 s47, s47, exec_lo
	s_delay_alu instid0(VALU_DEP_1) | instskip(NEXT) | instid1(VALU_DEP_1)
	v_and_b32_e32 v5, 0xff, v5
	v_cmp_ne_u32_e32 vcc_lo, 0, v5
	s_and_b32 s50, vcc_lo, exec_lo
	s_delay_alu instid0(SALU_CYCLE_1)
	s_or_b32 s47, s47, s50
	s_or_b32 exec_lo, exec_lo, s48
	v_mov_b32_e32 v6, 0
	s_and_saveexec_b32 s48, s47
	s_cbranch_execnz .LBB111_434
	s_branch .LBB111_435
.LBB111_794:
	s_mov_b32 s30, -1
	s_mov_b32 s31, 0
.LBB111_795:
                                        ; implicit-def: $vgpr10
.LBB111_796:
	s_and_b32 vcc_lo, exec_lo, s50
	s_cbranch_vccz .LBB111_800
; %bb.797:
	s_cmp_eq_u32 s0, 44
	s_cbranch_scc0 .LBB111_799
; %bb.798:
	global_load_u8 v1, v[6:7], off
	s_mov_b32 s30, 0
	s_mov_b32 s31, -1
	s_wait_loadcnt 0x0
	v_lshlrev_b32_e32 v3, 23, v1
	v_cmp_ne_u32_e32 vcc_lo, 0, v1
	s_delay_alu instid0(VALU_DEP_2) | instskip(SKIP_1) | instid1(VALU_DEP_1)
	v_cvt_i32_f32_e32 v3, v3
	s_wait_xcnt 0x1
	v_cndmask_b32_e32 v10, 0, v3, vcc_lo
	s_branch .LBB111_800
.LBB111_799:
	s_mov_b32 s30, -1
                                        ; implicit-def: $vgpr10
.LBB111_800:
	s_mov_b32 s50, 0
.LBB111_801:
	s_delay_alu instid0(SALU_CYCLE_1)
	s_and_b32 vcc_lo, exec_lo, s50
	s_cbranch_vccz .LBB111_805
; %bb.802:
	s_cmp_eq_u32 s0, 29
	s_cbranch_scc0 .LBB111_804
; %bb.803:
	global_load_b64 v[10:11], v[6:7], off
	s_mov_b32 s31, -1
	s_mov_b32 s30, 0
	s_branch .LBB111_805
.LBB111_804:
	s_mov_b32 s30, -1
                                        ; implicit-def: $vgpr10
.LBB111_805:
	s_mov_b32 s50, 0
.LBB111_806:
	s_delay_alu instid0(SALU_CYCLE_1)
	s_and_b32 vcc_lo, exec_lo, s50
	s_cbranch_vccz .LBB111_822
; %bb.807:
	s_cmp_lt_i32 s0, 27
	s_cbranch_scc1 .LBB111_810
; %bb.808:
	s_cmp_gt_i32 s0, 27
	s_cbranch_scc0 .LBB111_811
; %bb.809:
	s_wait_loadcnt 0x0
	global_load_b32 v10, v[6:7], off
	s_mov_b32 s31, 0
	s_branch .LBB111_812
.LBB111_810:
	s_mov_b32 s31, -1
                                        ; implicit-def: $vgpr10
	s_branch .LBB111_815
.LBB111_811:
	s_mov_b32 s31, -1
                                        ; implicit-def: $vgpr10
.LBB111_812:
	s_delay_alu instid0(SALU_CYCLE_1)
	s_and_not1_b32 vcc_lo, exec_lo, s31
	s_cbranch_vccnz .LBB111_814
; %bb.813:
	s_wait_loadcnt 0x0
	global_load_u16 v10, v[6:7], off
.LBB111_814:
	s_mov_b32 s31, 0
.LBB111_815:
	s_delay_alu instid0(SALU_CYCLE_1)
	s_and_not1_b32 vcc_lo, exec_lo, s31
	s_cbranch_vccnz .LBB111_821
; %bb.816:
	global_load_u8 v1, v[6:7], off
	s_mov_b32 s50, 0
	s_mov_b32 s31, exec_lo
	s_wait_loadcnt 0x0
	v_cmpx_lt_i16_e32 0x7f, v1
	s_xor_b32 s31, exec_lo, s31
	s_cbranch_execz .LBB111_833
; %bb.817:
	v_cmp_ne_u16_e32 vcc_lo, 0x80, v1
	s_and_b32 s50, vcc_lo, exec_lo
	s_and_not1_saveexec_b32 s31, s31
	s_cbranch_execnz .LBB111_834
.LBB111_818:
	s_or_b32 exec_lo, exec_lo, s31
	v_mov_b32_e32 v10, 0
	s_and_saveexec_b32 s31, s50
	s_cbranch_execz .LBB111_820
.LBB111_819:
	v_and_b32_e32 v3, 0xffff, v1
	s_delay_alu instid0(VALU_DEP_1) | instskip(SKIP_1) | instid1(VALU_DEP_2)
	v_and_b32_e32 v5, 7, v3
	v_bfe_u32 v11, v3, 3, 4
	v_clz_i32_u32_e32 v9, v5
	s_delay_alu instid0(VALU_DEP_2) | instskip(NEXT) | instid1(VALU_DEP_2)
	v_cmp_eq_u32_e32 vcc_lo, 0, v11
	v_min_u32_e32 v9, 32, v9
	s_delay_alu instid0(VALU_DEP_1) | instskip(NEXT) | instid1(VALU_DEP_1)
	v_subrev_nc_u32_e32 v10, 28, v9
	v_dual_lshlrev_b32 v3, v10, v3 :: v_dual_sub_nc_u32 v9, 29, v9
	s_delay_alu instid0(VALU_DEP_1) | instskip(NEXT) | instid1(VALU_DEP_1)
	v_dual_lshlrev_b32 v1, 24, v1 :: v_dual_bitop2_b32 v3, 7, v3 bitop3:0x40
	v_dual_cndmask_b32 v3, v5, v3, vcc_lo :: v_dual_cndmask_b32 v9, v11, v9, vcc_lo
	s_delay_alu instid0(VALU_DEP_2) | instskip(NEXT) | instid1(VALU_DEP_2)
	v_and_b32_e32 v1, 0x80000000, v1
	v_lshlrev_b32_e32 v3, 20, v3
	s_delay_alu instid0(VALU_DEP_3) | instskip(NEXT) | instid1(VALU_DEP_1)
	v_lshl_add_u32 v5, v9, 23, 0x3b800000
	v_or3_b32 v1, v1, v5, v3
	s_delay_alu instid0(VALU_DEP_1)
	v_cvt_i32_f32_e32 v10, v1
.LBB111_820:
	s_or_b32 exec_lo, exec_lo, s31
.LBB111_821:
	s_mov_b32 s31, -1
.LBB111_822:
	s_mov_b32 s50, 0
.LBB111_823:
	s_delay_alu instid0(SALU_CYCLE_1)
	s_and_b32 vcc_lo, exec_lo, s50
	s_cbranch_vccz .LBB111_856
; %bb.824:
	s_cmp_gt_i32 s0, 22
	s_cbranch_scc0 .LBB111_832
; %bb.825:
	s_cmp_lt_i32 s0, 24
	s_cbranch_scc1 .LBB111_835
; %bb.826:
	s_cmp_gt_i32 s0, 24
	s_cbranch_scc0 .LBB111_836
; %bb.827:
	global_load_u8 v1, v[6:7], off
	s_mov_b32 s50, 0
	s_mov_b32 s31, exec_lo
	s_wait_loadcnt 0x0
	v_cmpx_lt_i16_e32 0x7f, v1
	s_xor_b32 s31, exec_lo, s31
	s_cbranch_execz .LBB111_848
; %bb.828:
	v_cmp_ne_u16_e32 vcc_lo, 0x80, v1
	s_and_b32 s50, vcc_lo, exec_lo
	s_and_not1_saveexec_b32 s31, s31
	s_cbranch_execnz .LBB111_849
.LBB111_829:
	s_or_b32 exec_lo, exec_lo, s31
	v_mov_b32_e32 v10, 0
	s_and_saveexec_b32 s31, s50
	s_cbranch_execz .LBB111_831
.LBB111_830:
	v_and_b32_e32 v3, 0xffff, v1
	s_delay_alu instid0(VALU_DEP_1) | instskip(SKIP_1) | instid1(VALU_DEP_2)
	v_and_b32_e32 v5, 3, v3
	v_bfe_u32 v11, v3, 2, 5
	v_clz_i32_u32_e32 v9, v5
	s_delay_alu instid0(VALU_DEP_2) | instskip(NEXT) | instid1(VALU_DEP_2)
	v_cmp_eq_u32_e32 vcc_lo, 0, v11
	v_min_u32_e32 v9, 32, v9
	s_delay_alu instid0(VALU_DEP_1) | instskip(NEXT) | instid1(VALU_DEP_1)
	v_subrev_nc_u32_e32 v10, 29, v9
	v_dual_lshlrev_b32 v3, v10, v3 :: v_dual_sub_nc_u32 v9, 30, v9
	s_delay_alu instid0(VALU_DEP_1) | instskip(NEXT) | instid1(VALU_DEP_1)
	v_dual_lshlrev_b32 v1, 24, v1 :: v_dual_bitop2_b32 v3, 3, v3 bitop3:0x40
	v_dual_cndmask_b32 v3, v5, v3, vcc_lo :: v_dual_cndmask_b32 v9, v11, v9, vcc_lo
	s_delay_alu instid0(VALU_DEP_2) | instskip(NEXT) | instid1(VALU_DEP_2)
	v_and_b32_e32 v1, 0x80000000, v1
	v_lshlrev_b32_e32 v3, 21, v3
	s_delay_alu instid0(VALU_DEP_3) | instskip(NEXT) | instid1(VALU_DEP_1)
	v_lshl_add_u32 v5, v9, 23, 0x37800000
	v_or3_b32 v1, v1, v5, v3
	s_delay_alu instid0(VALU_DEP_1)
	v_cvt_i32_f32_e32 v10, v1
.LBB111_831:
	s_or_b32 exec_lo, exec_lo, s31
	s_mov_b32 s31, 0
	s_branch .LBB111_837
.LBB111_832:
	s_mov_b32 s50, -1
                                        ; implicit-def: $vgpr10
	s_branch .LBB111_843
.LBB111_833:
	s_and_not1_saveexec_b32 s31, s31
	s_cbranch_execz .LBB111_818
.LBB111_834:
	v_cmp_ne_u16_e32 vcc_lo, 0, v1
	s_and_not1_b32 s50, s50, exec_lo
	s_and_b32 s51, vcc_lo, exec_lo
	s_delay_alu instid0(SALU_CYCLE_1)
	s_or_b32 s50, s50, s51
	s_or_b32 exec_lo, exec_lo, s31
	v_mov_b32_e32 v10, 0
	s_and_saveexec_b32 s31, s50
	s_cbranch_execnz .LBB111_819
	s_branch .LBB111_820
.LBB111_835:
	s_mov_b32 s31, -1
                                        ; implicit-def: $vgpr10
	s_branch .LBB111_840
.LBB111_836:
	s_mov_b32 s31, -1
                                        ; implicit-def: $vgpr10
.LBB111_837:
	s_delay_alu instid0(SALU_CYCLE_1)
	s_and_b32 vcc_lo, exec_lo, s31
	s_cbranch_vccz .LBB111_839
; %bb.838:
	global_load_u8 v1, v[6:7], off
	s_wait_loadcnt 0x0
	v_lshlrev_b32_e32 v1, 24, v1
	s_delay_alu instid0(VALU_DEP_1) | instskip(NEXT) | instid1(VALU_DEP_1)
	v_and_b32_e32 v3, 0x7f000000, v1
	v_clz_i32_u32_e32 v5, v3
	v_cmp_ne_u32_e32 vcc_lo, 0, v3
	s_wait_xcnt 0x1
	v_add_nc_u32_e32 v10, 0x1000000, v3
	s_delay_alu instid0(VALU_DEP_3) | instskip(NEXT) | instid1(VALU_DEP_1)
	v_min_u32_e32 v5, 32, v5
	v_sub_nc_u32_e64 v5, v5, 4 clamp
	s_delay_alu instid0(VALU_DEP_1) | instskip(NEXT) | instid1(VALU_DEP_1)
	v_dual_lshlrev_b32 v9, v5, v3 :: v_dual_lshlrev_b32 v5, 23, v5
	v_lshrrev_b32_e32 v9, 4, v9
	s_delay_alu instid0(VALU_DEP_1) | instskip(NEXT) | instid1(VALU_DEP_1)
	v_dual_sub_nc_u32 v5, v9, v5 :: v_dual_ashrrev_i32 v9, 8, v10
	v_add_nc_u32_e32 v5, 0x3c000000, v5
	s_delay_alu instid0(VALU_DEP_1) | instskip(NEXT) | instid1(VALU_DEP_1)
	v_and_or_b32 v5, 0x7f800000, v9, v5
	v_cndmask_b32_e32 v3, 0, v5, vcc_lo
	s_delay_alu instid0(VALU_DEP_1) | instskip(NEXT) | instid1(VALU_DEP_1)
	v_and_or_b32 v1, 0x80000000, v1, v3
	v_cvt_i32_f32_e32 v10, v1
.LBB111_839:
	s_mov_b32 s31, 0
.LBB111_840:
	s_delay_alu instid0(SALU_CYCLE_1)
	s_and_not1_b32 vcc_lo, exec_lo, s31
	s_cbranch_vccnz .LBB111_842
; %bb.841:
	global_load_u8 v1, v[6:7], off
	s_wait_loadcnt 0x0
	v_lshlrev_b32_e32 v3, 25, v1
	v_lshlrev_b16 v1, 8, v1
	s_delay_alu instid0(VALU_DEP_2) | instskip(NEXT) | instid1(VALU_DEP_2)
	v_cmp_gt_u32_e32 vcc_lo, 0x8000000, v3
	v_and_or_b32 v9, 0x7f00, v1, 0.5
	v_lshrrev_b32_e32 v5, 4, v3
	v_bfe_i32 v1, v1, 0, 16
	s_delay_alu instid0(VALU_DEP_3) | instskip(NEXT) | instid1(VALU_DEP_3)
	v_add_f32_e32 v9, -0.5, v9
	v_or_b32_e32 v5, 0x70000000, v5
	s_delay_alu instid0(VALU_DEP_1) | instskip(NEXT) | instid1(VALU_DEP_1)
	v_mul_f32_e32 v5, 0x7800000, v5
	v_cndmask_b32_e32 v3, v5, v9, vcc_lo
	s_delay_alu instid0(VALU_DEP_1) | instskip(SKIP_1) | instid1(VALU_DEP_1)
	v_and_or_b32 v1, 0x80000000, v1, v3
	s_wait_xcnt 0x1
	v_cvt_i32_f32_e32 v10, v1
.LBB111_842:
	s_mov_b32 s50, 0
	s_mov_b32 s31, -1
.LBB111_843:
	s_and_not1_b32 vcc_lo, exec_lo, s50
	s_cbranch_vccnz .LBB111_856
; %bb.844:
	s_cmp_gt_i32 s0, 14
	s_cbranch_scc0 .LBB111_847
; %bb.845:
	s_cmp_eq_u32 s0, 15
	s_cbranch_scc0 .LBB111_850
; %bb.846:
	global_load_u16 v1, v[6:7], off
	s_mov_b32 s31, -1
	s_mov_b32 s30, 0
	s_wait_loadcnt 0x0
	v_lshlrev_b32_e32 v1, 16, v1
	s_wait_xcnt 0x1
	s_delay_alu instid0(VALU_DEP_1)
	v_cvt_i32_f32_e32 v10, v1
	s_branch .LBB111_851
.LBB111_847:
	s_mov_b32 s50, -1
                                        ; implicit-def: $vgpr10
	s_branch .LBB111_852
.LBB111_848:
	s_and_not1_saveexec_b32 s31, s31
	s_cbranch_execz .LBB111_829
.LBB111_849:
	v_cmp_ne_u16_e32 vcc_lo, 0, v1
	s_and_not1_b32 s50, s50, exec_lo
	s_and_b32 s51, vcc_lo, exec_lo
	s_delay_alu instid0(SALU_CYCLE_1)
	s_or_b32 s50, s50, s51
	s_or_b32 exec_lo, exec_lo, s31
	v_mov_b32_e32 v10, 0
	s_and_saveexec_b32 s31, s50
	s_cbranch_execnz .LBB111_830
	s_branch .LBB111_831
.LBB111_850:
	s_mov_b32 s30, -1
                                        ; implicit-def: $vgpr10
.LBB111_851:
	s_mov_b32 s50, 0
.LBB111_852:
	s_delay_alu instid0(SALU_CYCLE_1)
	s_and_b32 vcc_lo, exec_lo, s50
	s_cbranch_vccz .LBB111_856
; %bb.853:
	s_cmp_eq_u32 s0, 11
	s_cbranch_scc0 .LBB111_855
; %bb.854:
	global_load_u8 v1, v[6:7], off
	s_mov_b32 s30, 0
	s_mov_b32 s31, -1
	s_wait_loadcnt 0x0
	v_cmp_ne_u16_e32 vcc_lo, 0, v1
	s_wait_xcnt 0x1
	v_cndmask_b32_e64 v10, 0, 1, vcc_lo
	s_branch .LBB111_856
.LBB111_855:
	s_mov_b32 s30, -1
                                        ; implicit-def: $vgpr10
.LBB111_856:
	s_mov_b32 s50, 0
.LBB111_857:
	s_delay_alu instid0(SALU_CYCLE_1)
	s_and_b32 vcc_lo, exec_lo, s50
	s_cbranch_vccz .LBB111_906
; %bb.858:
	s_cmp_lt_i32 s0, 5
	s_cbranch_scc1 .LBB111_863
; %bb.859:
	s_cmp_lt_i32 s0, 8
	s_cbranch_scc1 .LBB111_864
	;; [unrolled: 3-line block ×3, first 2 shown]
; %bb.861:
	s_cmp_gt_i32 s0, 9
	s_cbranch_scc0 .LBB111_866
; %bb.862:
	s_wait_loadcnt 0x0
	global_load_b64 v[10:11], v[6:7], off
	s_mov_b32 s31, 0
	s_wait_loadcnt 0x0
	v_cvt_i32_f64_e32 v10, v[10:11]
	s_branch .LBB111_867
.LBB111_863:
	s_mov_b32 s31, -1
                                        ; implicit-def: $vgpr10
	s_branch .LBB111_885
.LBB111_864:
	s_mov_b32 s31, -1
                                        ; implicit-def: $vgpr10
	s_branch .LBB111_873
.LBB111_865:
	s_mov_b32 s31, -1
                                        ; implicit-def: $vgpr10
	s_branch .LBB111_870
.LBB111_866:
	s_mov_b32 s31, -1
                                        ; implicit-def: $vgpr10
.LBB111_867:
	s_delay_alu instid0(SALU_CYCLE_1)
	s_and_not1_b32 vcc_lo, exec_lo, s31
	s_cbranch_vccnz .LBB111_869
; %bb.868:
	global_load_b32 v1, v[6:7], off
	s_wait_loadcnt 0x0
	s_wait_xcnt 0x1
	v_cvt_i32_f32_e32 v10, v1
.LBB111_869:
	s_mov_b32 s31, 0
.LBB111_870:
	s_delay_alu instid0(SALU_CYCLE_1)
	s_and_not1_b32 vcc_lo, exec_lo, s31
	s_cbranch_vccnz .LBB111_872
; %bb.871:
	global_load_b32 v1, v[6:7], off
	s_wait_loadcnt 0x0
	s_wait_xcnt 0x1
	v_cvt_i16_f16_e32 v10, v1
.LBB111_872:
	s_mov_b32 s31, 0
.LBB111_873:
	s_delay_alu instid0(SALU_CYCLE_1)
	s_and_not1_b32 vcc_lo, exec_lo, s31
	s_cbranch_vccnz .LBB111_884
; %bb.874:
	s_cmp_lt_i32 s0, 6
	s_cbranch_scc1 .LBB111_877
; %bb.875:
	s_cmp_gt_i32 s0, 6
	s_cbranch_scc0 .LBB111_878
; %bb.876:
	s_wait_loadcnt 0x0
	global_load_b64 v[10:11], v[6:7], off
	s_mov_b32 s31, 0
	s_wait_loadcnt 0x0
	v_cvt_i32_f64_e32 v10, v[10:11]
	s_branch .LBB111_879
.LBB111_877:
	s_mov_b32 s31, -1
                                        ; implicit-def: $vgpr10
	s_branch .LBB111_882
.LBB111_878:
	s_mov_b32 s31, -1
                                        ; implicit-def: $vgpr10
.LBB111_879:
	s_delay_alu instid0(SALU_CYCLE_1)
	s_and_not1_b32 vcc_lo, exec_lo, s31
	s_cbranch_vccnz .LBB111_881
; %bb.880:
	global_load_b32 v1, v[6:7], off
	s_wait_loadcnt 0x0
	s_wait_xcnt 0x1
	v_cvt_i32_f32_e32 v10, v1
.LBB111_881:
	s_mov_b32 s31, 0
.LBB111_882:
	s_delay_alu instid0(SALU_CYCLE_1)
	s_and_not1_b32 vcc_lo, exec_lo, s31
	s_cbranch_vccnz .LBB111_884
; %bb.883:
	global_load_u16 v1, v[6:7], off
	s_wait_loadcnt 0x0
	s_wait_xcnt 0x1
	v_cvt_i16_f16_e32 v10, v1
.LBB111_884:
	s_mov_b32 s31, 0
.LBB111_885:
	s_delay_alu instid0(SALU_CYCLE_1)
	s_and_not1_b32 vcc_lo, exec_lo, s31
	s_cbranch_vccnz .LBB111_905
; %bb.886:
	s_cmp_lt_i32 s0, 2
	s_cbranch_scc1 .LBB111_890
; %bb.887:
	s_cmp_lt_i32 s0, 3
	s_cbranch_scc1 .LBB111_891
; %bb.888:
	s_cmp_gt_i32 s0, 3
	s_cbranch_scc0 .LBB111_892
; %bb.889:
	s_wait_loadcnt 0x0
	global_load_b64 v[10:11], v[6:7], off
	s_mov_b32 s31, 0
	s_branch .LBB111_893
.LBB111_890:
	s_mov_b32 s31, -1
                                        ; implicit-def: $vgpr10
	s_branch .LBB111_899
.LBB111_891:
	s_mov_b32 s31, -1
                                        ; implicit-def: $vgpr10
	s_branch .LBB111_896
.LBB111_892:
	s_mov_b32 s31, -1
                                        ; implicit-def: $vgpr10
.LBB111_893:
	s_delay_alu instid0(SALU_CYCLE_1)
	s_and_not1_b32 vcc_lo, exec_lo, s31
	s_cbranch_vccnz .LBB111_895
; %bb.894:
	s_wait_loadcnt 0x0
	global_load_b32 v10, v[6:7], off
.LBB111_895:
	s_mov_b32 s31, 0
.LBB111_896:
	s_delay_alu instid0(SALU_CYCLE_1)
	s_and_not1_b32 vcc_lo, exec_lo, s31
	s_cbranch_vccnz .LBB111_898
; %bb.897:
	s_wait_loadcnt 0x0
	global_load_u16 v10, v[6:7], off
.LBB111_898:
	s_mov_b32 s31, 0
.LBB111_899:
	s_delay_alu instid0(SALU_CYCLE_1)
	s_and_not1_b32 vcc_lo, exec_lo, s31
	s_cbranch_vccnz .LBB111_905
; %bb.900:
	s_cmp_gt_i32 s0, 0
	s_mov_b32 s0, 0
	s_cbranch_scc0 .LBB111_902
; %bb.901:
	s_wait_loadcnt 0x0
	global_load_u8 v10, v[6:7], off
	s_branch .LBB111_903
.LBB111_902:
	s_mov_b32 s0, -1
                                        ; implicit-def: $vgpr10
.LBB111_903:
	s_delay_alu instid0(SALU_CYCLE_1)
	s_and_not1_b32 vcc_lo, exec_lo, s0
	s_cbranch_vccnz .LBB111_905
; %bb.904:
	s_wait_loadcnt 0x0
	global_load_u8 v10, v[6:7], off
.LBB111_905:
	s_mov_b32 s31, -1
.LBB111_906:
	s_delay_alu instid0(SALU_CYCLE_1)
	s_and_not1_b32 vcc_lo, exec_lo, s31
	s_cbranch_vccnz .LBB111_914
; %bb.907:
	s_wait_loadcnt 0x0
	s_delay_alu instid0(VALU_DEP_3) | instskip(SKIP_2) | instid1(VALU_DEP_4)
	v_bfe_i32 v1, v8, 0, 8
	v_bfe_i32 v4, v4, 0, 8
	v_mov_b32_e32 v3, 0
	v_bfe_i32 v5, v10, 0, 8
	s_and_b32 s31, s38, 0xff
	s_delay_alu instid0(VALU_DEP_3) | instskip(NEXT) | instid1(VALU_DEP_3)
	v_max_i16 v1, v4, v1
	v_add_nc_u64_e32 v[2:3], s[4:5], v[2:3]
	s_cmp_lt_i32 s31, 11
	s_delay_alu instid0(VALU_DEP_2)
	v_min_i16 v1, v1, v5
	s_cbranch_scc1 .LBB111_915
; %bb.908:
	s_and_b32 s50, 0xffff, s31
	s_delay_alu instid0(SALU_CYCLE_1)
	s_cmp_gt_i32 s50, 25
	s_cbranch_scc0 .LBB111_916
; %bb.909:
	s_cmp_gt_i32 s50, 28
	s_cbranch_scc0 .LBB111_917
; %bb.910:
	;; [unrolled: 3-line block ×4, first 2 shown]
	s_mov_b32 s52, 0
	s_mov_b32 s0, -1
	s_cmp_eq_u32 s50, 46
	s_mov_b32 s51, 0
	s_cbranch_scc0 .LBB111_920
; %bb.913:
	v_bfe_i32 v4, v1, 0, 16
	s_mov_b32 s51, -1
	s_mov_b32 s0, 0
	s_delay_alu instid0(VALU_DEP_1) | instskip(NEXT) | instid1(VALU_DEP_1)
	v_cvt_f32_i32_e32 v4, v4
	v_bfe_u32 v5, v4, 16, 1
	s_delay_alu instid0(VALU_DEP_1) | instskip(NEXT) | instid1(VALU_DEP_1)
	v_add3_u32 v4, v4, v5, 0x7fff
	v_lshrrev_b32_e32 v4, 16, v4
	global_store_b32 v[2:3], v4, off
	s_branch .LBB111_920
.LBB111_914:
	s_mov_b32 s31, 0
	s_mov_b32 s0, s42
	s_branch .LBB111_1031
.LBB111_915:
	s_mov_b32 s50, -1
	s_mov_b32 s51, 0
	s_mov_b32 s0, s42
	s_branch .LBB111_989
.LBB111_916:
	s_mov_b32 s52, -1
	s_mov_b32 s51, 0
	s_mov_b32 s0, s42
	s_branch .LBB111_947
.LBB111_917:
	s_mov_b32 s52, -1
	s_mov_b32 s51, 0
	s_mov_b32 s0, s42
	s_branch .LBB111_930
.LBB111_918:
	s_mov_b32 s52, -1
	s_mov_b32 s51, 0
	s_mov_b32 s0, s42
	s_branch .LBB111_926
.LBB111_919:
	s_mov_b32 s52, -1
	s_mov_b32 s51, 0
	s_mov_b32 s0, s42
.LBB111_920:
	s_and_b32 vcc_lo, exec_lo, s52
	s_cbranch_vccz .LBB111_925
; %bb.921:
	s_cmp_eq_u32 s50, 44
	s_mov_b32 s0, -1
	s_cbranch_scc0 .LBB111_925
; %bb.922:
	s_wait_xcnt 0x0
	v_bfe_i32 v4, v1, 0, 16
	v_mov_b32_e32 v5, 0xff
	s_mov_b32 s51, exec_lo
	s_delay_alu instid0(VALU_DEP_2) | instskip(NEXT) | instid1(VALU_DEP_1)
	v_cvt_f32_i32_e32 v4, v4
	v_bfe_u32 v6, v4, 23, 8
	s_delay_alu instid0(VALU_DEP_1)
	v_cmpx_ne_u32_e32 0xff, v6
	s_cbranch_execz .LBB111_924
; %bb.923:
	v_and_b32_e32 v5, 0x400000, v4
	v_and_or_b32 v6, 0x3fffff, v4, v6
	v_lshrrev_b32_e32 v4, 23, v4
	s_delay_alu instid0(VALU_DEP_3) | instskip(NEXT) | instid1(VALU_DEP_3)
	v_cmp_ne_u32_e32 vcc_lo, 0, v5
	v_cmp_ne_u32_e64 s0, 0, v6
	s_and_b32 s0, vcc_lo, s0
	s_delay_alu instid0(SALU_CYCLE_1) | instskip(NEXT) | instid1(VALU_DEP_1)
	v_cndmask_b32_e64 v5, 0, 1, s0
	v_add_nc_u32_e32 v5, v4, v5
.LBB111_924:
	s_or_b32 exec_lo, exec_lo, s51
	s_mov_b32 s51, -1
	s_mov_b32 s0, 0
	global_store_b8 v[2:3], v5, off
.LBB111_925:
	s_mov_b32 s52, 0
.LBB111_926:
	s_delay_alu instid0(SALU_CYCLE_1)
	s_and_b32 vcc_lo, exec_lo, s52
	s_cbranch_vccz .LBB111_929
; %bb.927:
	s_cmp_eq_u32 s50, 29
	s_mov_b32 s0, -1
	s_cbranch_scc0 .LBB111_929
; %bb.928:
	s_wait_xcnt 0x0
	v_bfe_i32 v4, v1, 0, 16
	s_mov_b32 s0, 0
	s_mov_b32 s51, -1
	s_mov_b32 s52, 0
	s_delay_alu instid0(VALU_DEP_1)
	v_ashrrev_i32_e32 v5, 31, v4
	global_store_b64 v[2:3], v[4:5], off
	s_branch .LBB111_930
.LBB111_929:
	s_mov_b32 s52, 0
.LBB111_930:
	s_delay_alu instid0(SALU_CYCLE_1)
	s_and_b32 vcc_lo, exec_lo, s52
	s_cbranch_vccz .LBB111_946
; %bb.931:
	s_cmp_lt_i32 s50, 27
	s_mov_b32 s51, -1
	s_cbranch_scc1 .LBB111_937
; %bb.932:
	s_cmp_gt_i32 s50, 27
	s_cbranch_scc0 .LBB111_934
; %bb.933:
	s_wait_xcnt 0x0
	v_bfe_i32 v4, v1, 0, 16
	s_mov_b32 s51, 0
	global_store_b32 v[2:3], v4, off
.LBB111_934:
	s_and_not1_b32 vcc_lo, exec_lo, s51
	s_cbranch_vccnz .LBB111_936
; %bb.935:
	global_store_b16 v[2:3], v1, off
.LBB111_936:
	s_mov_b32 s51, 0
.LBB111_937:
	s_delay_alu instid0(SALU_CYCLE_1)
	s_and_not1_b32 vcc_lo, exec_lo, s51
	s_cbranch_vccnz .LBB111_945
; %bb.938:
	s_wait_xcnt 0x0
	v_bfe_i32 v4, v1, 0, 16
	v_mov_b32_e32 v6, 0x80
	s_mov_b32 s51, exec_lo
	s_delay_alu instid0(VALU_DEP_2) | instskip(NEXT) | instid1(VALU_DEP_1)
	v_cvt_f32_i32_e32 v4, v4
	v_and_b32_e32 v5, 0x7fffffff, v4
	s_delay_alu instid0(VALU_DEP_1)
	v_cmpx_gt_u32_e32 0x43800000, v5
	s_cbranch_execz .LBB111_944
; %bb.939:
	v_cmp_lt_u32_e32 vcc_lo, 0x3bffffff, v5
	s_mov_b32 s52, 0
                                        ; implicit-def: $vgpr5
	s_and_saveexec_b32 s53, vcc_lo
	s_delay_alu instid0(SALU_CYCLE_1)
	s_xor_b32 s53, exec_lo, s53
	s_cbranch_execz .LBB111_1185
; %bb.940:
	v_bfe_u32 v5, v4, 20, 1
	s_mov_b32 s52, exec_lo
	s_delay_alu instid0(VALU_DEP_1) | instskip(NEXT) | instid1(VALU_DEP_1)
	v_add3_u32 v5, v4, v5, 0x487ffff
	v_lshrrev_b32_e32 v5, 20, v5
	s_and_not1_saveexec_b32 s53, s53
	s_cbranch_execnz .LBB111_1186
.LBB111_941:
	s_or_b32 exec_lo, exec_lo, s53
	v_mov_b32_e32 v6, 0
	s_and_saveexec_b32 s53, s52
.LBB111_942:
	v_lshrrev_b32_e32 v4, 24, v4
	s_delay_alu instid0(VALU_DEP_1)
	v_and_or_b32 v6, 0x80, v4, v5
.LBB111_943:
	s_or_b32 exec_lo, exec_lo, s53
.LBB111_944:
	s_delay_alu instid0(SALU_CYCLE_1)
	s_or_b32 exec_lo, exec_lo, s51
	global_store_b8 v[2:3], v6, off
.LBB111_945:
	s_mov_b32 s51, -1
.LBB111_946:
	s_mov_b32 s52, 0
.LBB111_947:
	s_delay_alu instid0(SALU_CYCLE_1)
	s_and_b32 vcc_lo, exec_lo, s52
	s_cbranch_vccz .LBB111_988
; %bb.948:
	s_cmp_gt_i32 s50, 22
	s_mov_b32 s52, -1
	s_cbranch_scc0 .LBB111_980
; %bb.949:
	s_cmp_lt_i32 s50, 24
	s_mov_b32 s51, -1
	s_cbranch_scc1 .LBB111_969
; %bb.950:
	s_cmp_gt_i32 s50, 24
	s_cbranch_scc0 .LBB111_958
; %bb.951:
	s_wait_xcnt 0x0
	v_bfe_i32 v4, v1, 0, 16
	v_mov_b32_e32 v6, 0x80
	s_mov_b32 s51, exec_lo
	s_delay_alu instid0(VALU_DEP_2) | instskip(NEXT) | instid1(VALU_DEP_1)
	v_cvt_f32_i32_e32 v4, v4
	v_and_b32_e32 v5, 0x7fffffff, v4
	s_delay_alu instid0(VALU_DEP_1)
	v_cmpx_gt_u32_e32 0x47800000, v5
	s_cbranch_execz .LBB111_957
; %bb.952:
	v_cmp_lt_u32_e32 vcc_lo, 0x37ffffff, v5
	s_mov_b32 s52, 0
                                        ; implicit-def: $vgpr5
	s_and_saveexec_b32 s53, vcc_lo
	s_delay_alu instid0(SALU_CYCLE_1)
	s_xor_b32 s53, exec_lo, s53
	s_cbranch_execz .LBB111_1313
; %bb.953:
	v_bfe_u32 v5, v4, 21, 1
	s_mov_b32 s52, exec_lo
	s_delay_alu instid0(VALU_DEP_1) | instskip(NEXT) | instid1(VALU_DEP_1)
	v_add3_u32 v5, v4, v5, 0x88fffff
	v_lshrrev_b32_e32 v5, 21, v5
	s_and_not1_saveexec_b32 s53, s53
	s_cbranch_execnz .LBB111_1314
.LBB111_954:
	s_or_b32 exec_lo, exec_lo, s53
	v_mov_b32_e32 v6, 0
	s_and_saveexec_b32 s53, s52
.LBB111_955:
	v_lshrrev_b32_e32 v4, 24, v4
	s_delay_alu instid0(VALU_DEP_1)
	v_and_or_b32 v6, 0x80, v4, v5
.LBB111_956:
	s_or_b32 exec_lo, exec_lo, s53
.LBB111_957:
	s_delay_alu instid0(SALU_CYCLE_1)
	s_or_b32 exec_lo, exec_lo, s51
	s_mov_b32 s51, 0
	global_store_b8 v[2:3], v6, off
.LBB111_958:
	s_and_b32 vcc_lo, exec_lo, s51
	s_cbranch_vccz .LBB111_968
; %bb.959:
	s_wait_xcnt 0x0
	v_bfe_i32 v4, v1, 0, 16
	s_mov_b32 s51, exec_lo
                                        ; implicit-def: $vgpr5
	s_delay_alu instid0(VALU_DEP_1) | instskip(NEXT) | instid1(VALU_DEP_1)
	v_cvt_f32_i32_e32 v4, v4
	v_and_b32_e32 v6, 0x7fffffff, v4
	s_delay_alu instid0(VALU_DEP_1)
	v_cmpx_gt_u32_e32 0x43f00000, v6
	s_xor_b32 s51, exec_lo, s51
	s_cbranch_execz .LBB111_965
; %bb.960:
	s_mov_b32 s52, exec_lo
                                        ; implicit-def: $vgpr5
	v_cmpx_lt_u32_e32 0x3c7fffff, v6
	s_xor_b32 s52, exec_lo, s52
; %bb.961:
	v_bfe_u32 v5, v4, 20, 1
	s_delay_alu instid0(VALU_DEP_1) | instskip(NEXT) | instid1(VALU_DEP_1)
	v_add3_u32 v5, v4, v5, 0x407ffff
	v_and_b32_e32 v6, 0xff00000, v5
	v_lshrrev_b32_e32 v5, 20, v5
	s_delay_alu instid0(VALU_DEP_2) | instskip(NEXT) | instid1(VALU_DEP_2)
	v_cmp_ne_u32_e32 vcc_lo, 0x7f00000, v6
	v_cndmask_b32_e32 v5, 0x7e, v5, vcc_lo
; %bb.962:
	s_and_not1_saveexec_b32 s52, s52
; %bb.963:
	v_add_f32_e64 v5, 0x46800000, |v4|
; %bb.964:
	s_or_b32 exec_lo, exec_lo, s52
                                        ; implicit-def: $vgpr6
.LBB111_965:
	s_and_not1_saveexec_b32 s51, s51
; %bb.966:
	v_mov_b32_e32 v5, 0x7f
	v_cmp_lt_u32_e32 vcc_lo, 0x7f800000, v6
	s_delay_alu instid0(VALU_DEP_2)
	v_cndmask_b32_e32 v5, 0x7e, v5, vcc_lo
; %bb.967:
	s_or_b32 exec_lo, exec_lo, s51
	v_lshrrev_b32_e32 v4, 24, v4
	s_delay_alu instid0(VALU_DEP_1)
	v_and_or_b32 v4, 0x80, v4, v5
	global_store_b8 v[2:3], v4, off
.LBB111_968:
	s_mov_b32 s51, 0
.LBB111_969:
	s_delay_alu instid0(SALU_CYCLE_1)
	s_and_not1_b32 vcc_lo, exec_lo, s51
	s_cbranch_vccnz .LBB111_979
; %bb.970:
	s_wait_xcnt 0x0
	v_bfe_i32 v4, v1, 0, 16
	s_mov_b32 s51, exec_lo
                                        ; implicit-def: $vgpr5
	s_delay_alu instid0(VALU_DEP_1) | instskip(NEXT) | instid1(VALU_DEP_1)
	v_cvt_f32_i32_e32 v4, v4
	v_and_b32_e32 v6, 0x7fffffff, v4
	s_delay_alu instid0(VALU_DEP_1)
	v_cmpx_gt_u32_e32 0x47800000, v6
	s_xor_b32 s51, exec_lo, s51
	s_cbranch_execz .LBB111_976
; %bb.971:
	s_mov_b32 s52, exec_lo
                                        ; implicit-def: $vgpr5
	v_cmpx_lt_u32_e32 0x387fffff, v6
	s_xor_b32 s52, exec_lo, s52
; %bb.972:
	v_bfe_u32 v5, v4, 21, 1
	s_delay_alu instid0(VALU_DEP_1) | instskip(NEXT) | instid1(VALU_DEP_1)
	v_add3_u32 v5, v4, v5, 0x80fffff
	v_lshrrev_b32_e32 v5, 21, v5
; %bb.973:
	s_and_not1_saveexec_b32 s52, s52
; %bb.974:
	v_add_f32_e64 v5, 0x43000000, |v4|
; %bb.975:
	s_or_b32 exec_lo, exec_lo, s52
                                        ; implicit-def: $vgpr6
.LBB111_976:
	s_and_not1_saveexec_b32 s51, s51
; %bb.977:
	v_mov_b32_e32 v5, 0x7f
	v_cmp_lt_u32_e32 vcc_lo, 0x7f800000, v6
	s_delay_alu instid0(VALU_DEP_2)
	v_cndmask_b32_e32 v5, 0x7c, v5, vcc_lo
; %bb.978:
	s_or_b32 exec_lo, exec_lo, s51
	v_lshrrev_b32_e32 v4, 24, v4
	s_delay_alu instid0(VALU_DEP_1)
	v_and_or_b32 v4, 0x80, v4, v5
	global_store_b8 v[2:3], v4, off
.LBB111_979:
	s_mov_b32 s52, 0
	s_mov_b32 s51, -1
.LBB111_980:
	s_and_not1_b32 vcc_lo, exec_lo, s52
	s_cbranch_vccnz .LBB111_988
; %bb.981:
	s_cmp_gt_i32 s50, 14
	s_mov_b32 s52, -1
	s_cbranch_scc0 .LBB111_985
; %bb.982:
	s_cmp_eq_u32 s50, 15
	s_mov_b32 s0, -1
	s_cbranch_scc0 .LBB111_984
; %bb.983:
	s_wait_xcnt 0x0
	v_bfe_i32 v4, v1, 0, 16
	s_mov_b32 s51, -1
	s_mov_b32 s0, 0
	s_delay_alu instid0(VALU_DEP_1) | instskip(NEXT) | instid1(VALU_DEP_1)
	v_cvt_f32_i32_e32 v4, v4
	v_bfe_u32 v5, v4, 16, 1
	s_delay_alu instid0(VALU_DEP_1)
	v_add3_u32 v4, v4, v5, 0x7fff
	global_store_d16_hi_b16 v[2:3], v4, off
.LBB111_984:
	s_mov_b32 s52, 0
.LBB111_985:
	s_delay_alu instid0(SALU_CYCLE_1)
	s_and_b32 vcc_lo, exec_lo, s52
	s_cbranch_vccz .LBB111_988
; %bb.986:
	s_cmp_eq_u32 s50, 11
	s_mov_b32 s0, -1
	s_cbranch_scc0 .LBB111_988
; %bb.987:
	v_cmp_ne_u16_e32 vcc_lo, 0, v1
	s_mov_b32 s0, 0
	s_mov_b32 s51, -1
	s_wait_xcnt 0x0
	v_cndmask_b32_e64 v4, 0, 1, vcc_lo
	global_store_b8 v[2:3], v4, off
.LBB111_988:
	s_mov_b32 s50, 0
.LBB111_989:
	s_delay_alu instid0(SALU_CYCLE_1)
	s_and_b32 vcc_lo, exec_lo, s50
	s_cbranch_vccz .LBB111_1028
; %bb.990:
	s_and_b32 s31, 0xffff, s31
	s_mov_b32 s50, -1
	s_cmp_lt_i32 s31, 5
	s_cbranch_scc1 .LBB111_1011
; %bb.991:
	s_cmp_lt_i32 s31, 8
	s_cbranch_scc1 .LBB111_1001
; %bb.992:
	;; [unrolled: 3-line block ×3, first 2 shown]
	s_cmp_gt_i32 s31, 9
	s_cbranch_scc0 .LBB111_995
; %bb.994:
	s_wait_xcnt 0x0
	v_bfe_i32 v4, v1, 0, 16
	v_mov_b32_e32 v6, 0
	s_mov_b32 s50, 0
	s_delay_alu instid0(VALU_DEP_2) | instskip(NEXT) | instid1(VALU_DEP_2)
	v_cvt_f64_i32_e32 v[4:5], v4
	v_mov_b32_e32 v7, v6
	global_store_b128 v[2:3], v[4:7], off
.LBB111_995:
	s_and_not1_b32 vcc_lo, exec_lo, s50
	s_cbranch_vccnz .LBB111_997
; %bb.996:
	s_wait_xcnt 0x0
	v_bfe_i32 v4, v1, 0, 16
	v_mov_b32_e32 v5, 0
	s_delay_alu instid0(VALU_DEP_2)
	v_cvt_f32_i32_e32 v4, v4
	global_store_b64 v[2:3], v[4:5], off
.LBB111_997:
	s_mov_b32 s50, 0
.LBB111_998:
	s_delay_alu instid0(SALU_CYCLE_1)
	s_and_not1_b32 vcc_lo, exec_lo, s50
	s_cbranch_vccnz .LBB111_1000
; %bb.999:
	s_wait_xcnt 0x0
	v_cvt_f16_i16_e32 v4, v1
	s_delay_alu instid0(VALU_DEP_1)
	v_and_b32_e32 v4, 0xffff, v4
	global_store_b32 v[2:3], v4, off
.LBB111_1000:
	s_mov_b32 s50, 0
.LBB111_1001:
	s_delay_alu instid0(SALU_CYCLE_1)
	s_and_not1_b32 vcc_lo, exec_lo, s50
	s_cbranch_vccnz .LBB111_1010
; %bb.1002:
	s_cmp_lt_i32 s31, 6
	s_mov_b32 s50, -1
	s_cbranch_scc1 .LBB111_1008
; %bb.1003:
	s_cmp_gt_i32 s31, 6
	s_cbranch_scc0 .LBB111_1005
; %bb.1004:
	s_wait_xcnt 0x0
	v_bfe_i32 v4, v1, 0, 16
	s_mov_b32 s50, 0
	s_delay_alu instid0(VALU_DEP_1)
	v_cvt_f64_i32_e32 v[4:5], v4
	global_store_b64 v[2:3], v[4:5], off
.LBB111_1005:
	s_and_not1_b32 vcc_lo, exec_lo, s50
	s_cbranch_vccnz .LBB111_1007
; %bb.1006:
	s_wait_xcnt 0x0
	v_bfe_i32 v4, v1, 0, 16
	s_delay_alu instid0(VALU_DEP_1)
	v_cvt_f32_i32_e32 v4, v4
	global_store_b32 v[2:3], v4, off
.LBB111_1007:
	s_mov_b32 s50, 0
.LBB111_1008:
	s_delay_alu instid0(SALU_CYCLE_1)
	s_and_not1_b32 vcc_lo, exec_lo, s50
	s_cbranch_vccnz .LBB111_1010
; %bb.1009:
	s_wait_xcnt 0x0
	v_cvt_f16_i16_e32 v4, v1
	global_store_b16 v[2:3], v4, off
.LBB111_1010:
	s_mov_b32 s50, 0
.LBB111_1011:
	s_delay_alu instid0(SALU_CYCLE_1)
	s_and_not1_b32 vcc_lo, exec_lo, s50
	s_cbranch_vccnz .LBB111_1027
; %bb.1012:
	s_cmp_lt_i32 s31, 2
	s_mov_b32 s50, -1
	s_cbranch_scc1 .LBB111_1022
; %bb.1013:
	s_cmp_lt_i32 s31, 3
	s_cbranch_scc1 .LBB111_1019
; %bb.1014:
	s_cmp_gt_i32 s31, 3
	s_cbranch_scc0 .LBB111_1016
; %bb.1015:
	s_wait_xcnt 0x0
	v_bfe_i32 v4, v1, 0, 16
	s_mov_b32 s50, 0
	s_delay_alu instid0(VALU_DEP_1)
	v_ashrrev_i32_e32 v5, 31, v4
	global_store_b64 v[2:3], v[4:5], off
.LBB111_1016:
	s_and_not1_b32 vcc_lo, exec_lo, s50
	s_cbranch_vccnz .LBB111_1018
; %bb.1017:
	s_wait_xcnt 0x0
	v_bfe_i32 v4, v1, 0, 16
	global_store_b32 v[2:3], v4, off
.LBB111_1018:
	s_mov_b32 s50, 0
.LBB111_1019:
	s_delay_alu instid0(SALU_CYCLE_1)
	s_and_not1_b32 vcc_lo, exec_lo, s50
	s_cbranch_vccnz .LBB111_1021
; %bb.1020:
	global_store_b16 v[2:3], v1, off
.LBB111_1021:
	s_mov_b32 s50, 0
.LBB111_1022:
	s_delay_alu instid0(SALU_CYCLE_1)
	s_and_not1_b32 vcc_lo, exec_lo, s50
	s_cbranch_vccnz .LBB111_1027
; %bb.1023:
	s_cmp_gt_i32 s31, 0
	s_mov_b32 s31, -1
	s_cbranch_scc0 .LBB111_1025
; %bb.1024:
	s_mov_b32 s31, 0
	global_store_b8 v[2:3], v1, off
.LBB111_1025:
	s_and_not1_b32 vcc_lo, exec_lo, s31
	s_cbranch_vccnz .LBB111_1027
; %bb.1026:
	global_store_b8 v[2:3], v1, off
.LBB111_1027:
	s_mov_b32 s51, -1
.LBB111_1028:
	s_delay_alu instid0(SALU_CYCLE_1)
	s_and_not1_b32 vcc_lo, exec_lo, s51
	s_cbranch_vccnz .LBB111_1030
; %bb.1029:
	v_add_nc_u32_e32 v0, 0x80, v0
	s_mov_b32 s31, -1
	s_branch .LBB111_1032
.LBB111_1030:
	s_mov_b32 s31, 0
.LBB111_1031:
                                        ; implicit-def: $vgpr0
.LBB111_1032:
	s_and_not1_b32 s50, s42, exec_lo
	s_and_b32 s0, s0, exec_lo
	s_and_not1_b32 s52, s46, exec_lo
	s_and_b32 s30, s30, exec_lo
	s_or_b32 s51, s50, s0
	s_or_b32 s52, s52, s30
	s_and_not1_b32 s0, s47, exec_lo
	s_and_b32 s29, s29, exec_lo
	s_and_not1_b32 s30, s48, exec_lo
	s_and_b32 s28, s28, exec_lo
	s_or_b32 s53, s0, s29
	s_or_b32 s50, s30, s28
	s_or_not1_b32 s31, s31, exec_lo
.LBB111_1033:
	s_wait_xcnt 0x0
	s_or_b32 exec_lo, exec_lo, s54
	s_mov_b32 s29, 0
	s_mov_b32 s30, 0
	;; [unrolled: 1-line block ×3, first 2 shown]
                                        ; implicit-def: $sgpr0
                                        ; implicit-def: $vgpr10_vgpr11
                                        ; implicit-def: $vgpr2
                                        ; implicit-def: $vgpr6
                                        ; implicit-def: $vgpr8
                                        ; implicit-def: $vgpr4
	s_and_saveexec_b32 s54, s31
	s_cbranch_execz .LBB111_1644
; %bb.1034:
	s_mov_b32 s31, -1
	s_mov_b32 s56, s50
	s_mov_b32 s58, s53
	;; [unrolled: 1-line block ×4, first 2 shown]
	s_mov_b32 s55, exec_lo
	v_cmpx_gt_i32_e64 s44, v0
	s_cbranch_execz .LBB111_1554
; %bb.1035:
	s_and_not1_b32 vcc_lo, exec_lo, s36
	s_cbranch_vccnz .LBB111_1041
; %bb.1036:
	s_and_not1_b32 vcc_lo, exec_lo, s45
	s_cbranch_vccnz .LBB111_1042
; %bb.1037:
	s_wait_loadcnt 0x0
	v_dual_mov_b32 v8, 0 :: v_dual_mov_b32 v1, v0
	v_dual_mov_b32 v6, 0 :: v_dual_mov_b32 v2, 0
	v_mov_b32_e32 v4, 0
	s_add_co_i32 s0, s43, 1
	s_mov_b64 s[28:29], 0xffffffffffffffe0
	s_and_b32 s0, s0, 30
	s_add_nc_u64 s[28:29], s[2:3], s[28:29]
	s_mov_b64 s[30:31], s[2:3]
.LBB111_1038:                           ; =>This Inner Loop Header: Depth=1
	s_clause 0x1
	s_load_b128 s[64:67], s[30:31], 0x4
	s_load_b64 s[68:69], s[30:31], 0x14
	s_load_b256 s[56:63], s[28:29], 0xe4
	s_add_co_i32 s0, s0, -2
	s_wait_xcnt 0x0
	s_add_nc_u64 s[30:31], s[30:31], 24
	s_cmp_eq_u32 s0, 0
	s_add_nc_u64 s[28:29], s[28:29], 32
	s_wait_kmcnt 0x0
	v_mul_hi_u32 v3, s65, v1
	s_delay_alu instid0(VALU_DEP_1) | instskip(NEXT) | instid1(VALU_DEP_1)
	v_add_nc_u32_e32 v3, v1, v3
	v_lshrrev_b32_e32 v3, s66, v3
	s_delay_alu instid0(VALU_DEP_1) | instskip(SKIP_1) | instid1(VALU_DEP_1)
	v_mul_hi_u32 v5, s68, v3
	v_mul_lo_u32 v7, v3, s64
	v_dual_add_nc_u32 v5, v3, v5 :: v_dual_sub_nc_u32 v7, v1, v7
	s_delay_alu instid0(VALU_DEP_1) | instskip(NEXT) | instid1(VALU_DEP_2)
	v_lshrrev_b32_e32 v1, s69, v5
	v_mad_u32 v4, v7, s57, v4
	v_mad_u32 v2, v7, s56, v2
	;; [unrolled: 1-line block ×4, first 2 shown]
	v_mul_lo_u32 v5, v1, s67
	s_delay_alu instid0(VALU_DEP_1) | instskip(NEXT) | instid1(VALU_DEP_1)
	v_sub_nc_u32_e32 v3, v3, v5
	v_mad_u32 v4, v3, s61, v4
	v_mad_u32 v2, v3, s60, v2
	;; [unrolled: 1-line block ×4, first 2 shown]
	s_cbranch_scc0 .LBB111_1038
; %bb.1039:
	s_bitcmp1_b32 s43, 0
	s_cselect_b32 s0, -1, 0
	s_delay_alu instid0(SALU_CYCLE_1)
	s_and_b32 vcc_lo, exec_lo, s0
	s_cbranch_vccnz .LBB111_1043
; %bb.1040:
	s_load_b96 s[60:62], s[30:31], 0x4
	s_load_b128 s[56:59], s[28:29], 0xe4
	s_wait_kmcnt 0x0
	v_mul_hi_u32 v3, s61, v1
	s_delay_alu instid0(VALU_DEP_1) | instskip(NEXT) | instid1(VALU_DEP_1)
	v_add_nc_u32_e32 v3, v1, v3
	v_lshrrev_b32_e32 v3, s62, v3
	s_delay_alu instid0(VALU_DEP_1) | instskip(NEXT) | instid1(VALU_DEP_1)
	v_mul_lo_u32 v3, v3, s60
	v_sub_nc_u32_e32 v1, v1, v3
	s_delay_alu instid0(VALU_DEP_1)
	v_mad_u32 v2, v1, s56, v2
	v_mad_u32 v4, v1, s57, v4
	v_mad_u32 v8, v1, s58, v8
	v_mad_u32 v6, v1, s59, v6
	s_branch .LBB111_1043
.LBB111_1041:
	s_mov_b32 s0, -1
                                        ; implicit-def: $vgpr4
                                        ; implicit-def: $vgpr2
                                        ; implicit-def: $vgpr6
                                        ; implicit-def: $vgpr8
	s_branch .LBB111_1044
.LBB111_1042:
	s_wait_loadcnt 0x0
	v_dual_mov_b32 v4, 0 :: v_dual_mov_b32 v2, 0
	v_dual_mov_b32 v6, 0 :: v_dual_mov_b32 v8, 0
.LBB111_1043:
	s_mov_b32 s0, 0
.LBB111_1044:
	s_delay_alu instid0(SALU_CYCLE_1)
	s_and_not1_b32 vcc_lo, exec_lo, s0
	s_cbranch_vccnz .LBB111_1047
; %bb.1045:
	v_mov_b32_e32 v1, 0
	s_and_not1_b32 vcc_lo, exec_lo, s41
	s_delay_alu instid0(VALU_DEP_1) | instskip(NEXT) | instid1(VALU_DEP_1)
	v_mul_u64_e32 v[2:3], s[24:25], v[0:1]
	v_add_nc_u32_e32 v2, v0, v3
	s_wait_loadcnt 0x0
	s_delay_alu instid0(VALU_DEP_1) | instskip(NEXT) | instid1(VALU_DEP_1)
	v_lshrrev_b32_e32 v10, s22, v2
	v_mul_lo_u32 v2, v10, s20
	s_delay_alu instid0(VALU_DEP_1) | instskip(NEXT) | instid1(VALU_DEP_1)
	v_sub_nc_u32_e32 v3, v0, v2
	v_mul_lo_u32 v4, v3, s13
	v_mul_lo_u32 v2, v3, s12
	;; [unrolled: 1-line block ×4, first 2 shown]
	s_cbranch_vccnz .LBB111_1047
; %bb.1046:
	v_mov_b32_e32 v11, v1
	s_delay_alu instid0(VALU_DEP_1) | instskip(NEXT) | instid1(VALU_DEP_1)
	v_mul_u64_e32 v[12:13], s[26:27], v[10:11]
	v_add_nc_u32_e32 v1, v10, v13
	s_delay_alu instid0(VALU_DEP_1) | instskip(NEXT) | instid1(VALU_DEP_1)
	v_lshrrev_b32_e32 v1, s1, v1
	v_mul_lo_u32 v1, v1, s23
	s_delay_alu instid0(VALU_DEP_1) | instskip(NEXT) | instid1(VALU_DEP_1)
	v_sub_nc_u32_e32 v1, v10, v1
	v_mad_u32 v2, v1, s16, v2
	v_mad_u32 v4, v1, s17, v4
	;; [unrolled: 1-line block ×4, first 2 shown]
.LBB111_1047:
	s_wait_loadcnt 0x0
	v_mov_b32_e32 v5, 0
	s_and_b32 s0, s40, 0xff
	s_delay_alu instid0(SALU_CYCLE_1) | instskip(NEXT) | instid1(VALU_DEP_1)
	s_cmp_lt_i32 s0, 11
	v_add_nc_u64_e32 v[10:11], s[6:7], v[4:5]
	s_cbranch_scc1 .LBB111_1054
; %bb.1048:
	s_and_b32 s29, 0xffff, s0
	s_delay_alu instid0(SALU_CYCLE_1)
	s_cmp_gt_i32 s29, 25
	s_cbranch_scc0 .LBB111_1055
; %bb.1049:
	s_cmp_gt_i32 s29, 28
	s_cbranch_scc0 .LBB111_1056
; %bb.1050:
	;; [unrolled: 3-line block ×4, first 2 shown]
	s_cmp_eq_u32 s29, 46
	s_mov_b32 s31, 0
	s_cbranch_scc0 .LBB111_1059
; %bb.1053:
	global_load_b32 v1, v[10:11], off
	s_mov_b32 s30, -1
	s_mov_b32 s28, 0
	s_wait_loadcnt 0x0
	v_lshlrev_b32_e32 v1, 16, v1
	s_delay_alu instid0(VALU_DEP_1)
	v_cvt_i32_f32_e32 v4, v1
	s_branch .LBB111_1061
.LBB111_1054:
	s_mov_b32 s29, -1
	s_mov_b32 s30, 0
	s_mov_b32 s28, s50
                                        ; implicit-def: $vgpr4
	s_branch .LBB111_1122
.LBB111_1055:
	s_mov_b32 s31, -1
	s_mov_b32 s30, 0
	s_mov_b32 s28, s50
                                        ; implicit-def: $vgpr4
	s_branch .LBB111_1088
.LBB111_1056:
	s_mov_b32 s31, -1
	s_mov_b32 s30, 0
	s_mov_b32 s28, s50
                                        ; implicit-def: $vgpr4
	s_branch .LBB111_1071
.LBB111_1057:
	s_mov_b32 s31, -1
	s_mov_b32 s30, 0
	s_mov_b32 s28, s50
                                        ; implicit-def: $vgpr4
	s_branch .LBB111_1066
.LBB111_1058:
	s_mov_b32 s31, -1
	s_mov_b32 s30, 0
	s_mov_b32 s28, s50
	s_branch .LBB111_1060
.LBB111_1059:
	s_mov_b32 s28, -1
	s_mov_b32 s30, 0
.LBB111_1060:
                                        ; implicit-def: $vgpr4
.LBB111_1061:
	s_and_b32 vcc_lo, exec_lo, s31
	s_cbranch_vccz .LBB111_1065
; %bb.1062:
	s_cmp_eq_u32 s29, 44
	s_cbranch_scc0 .LBB111_1064
; %bb.1063:
	global_load_u8 v1, v[10:11], off
	s_mov_b32 s28, 0
	s_mov_b32 s30, -1
	s_wait_loadcnt 0x0
	v_lshlrev_b32_e32 v3, 23, v1
	v_cmp_ne_u32_e32 vcc_lo, 0, v1
	s_delay_alu instid0(VALU_DEP_2) | instskip(NEXT) | instid1(VALU_DEP_1)
	v_cvt_i32_f32_e32 v3, v3
	v_cndmask_b32_e32 v4, 0, v3, vcc_lo
	s_branch .LBB111_1065
.LBB111_1064:
	s_mov_b32 s28, -1
                                        ; implicit-def: $vgpr4
.LBB111_1065:
	s_mov_b32 s31, 0
.LBB111_1066:
	s_delay_alu instid0(SALU_CYCLE_1)
	s_and_b32 vcc_lo, exec_lo, s31
	s_cbranch_vccz .LBB111_1070
; %bb.1067:
	s_cmp_eq_u32 s29, 29
	s_cbranch_scc0 .LBB111_1069
; %bb.1068:
	global_load_b64 v[4:5], v[10:11], off
	s_mov_b32 s30, -1
	s_mov_b32 s28, 0
	s_branch .LBB111_1070
.LBB111_1069:
	s_mov_b32 s28, -1
                                        ; implicit-def: $vgpr4
.LBB111_1070:
	s_mov_b32 s31, 0
.LBB111_1071:
	s_delay_alu instid0(SALU_CYCLE_1)
	s_and_b32 vcc_lo, exec_lo, s31
	s_cbranch_vccz .LBB111_1087
; %bb.1072:
	s_cmp_lt_i32 s29, 27
	s_cbranch_scc1 .LBB111_1075
; %bb.1073:
	s_cmp_gt_i32 s29, 27
	s_cbranch_scc0 .LBB111_1076
; %bb.1074:
	s_wait_loadcnt 0x0
	global_load_b32 v4, v[10:11], off
	s_mov_b32 s30, 0
	s_branch .LBB111_1077
.LBB111_1075:
	s_mov_b32 s30, -1
                                        ; implicit-def: $vgpr4
	s_branch .LBB111_1080
.LBB111_1076:
	s_mov_b32 s30, -1
                                        ; implicit-def: $vgpr4
.LBB111_1077:
	s_delay_alu instid0(SALU_CYCLE_1)
	s_and_not1_b32 vcc_lo, exec_lo, s30
	s_cbranch_vccnz .LBB111_1079
; %bb.1078:
	s_wait_loadcnt 0x0
	global_load_u16 v4, v[10:11], off
.LBB111_1079:
	s_mov_b32 s30, 0
.LBB111_1080:
	s_delay_alu instid0(SALU_CYCLE_1)
	s_and_not1_b32 vcc_lo, exec_lo, s30
	s_cbranch_vccnz .LBB111_1086
; %bb.1081:
	global_load_u8 v1, v[10:11], off
	s_mov_b32 s31, 0
	s_mov_b32 s30, exec_lo
	s_wait_loadcnt 0x0
	v_cmpx_lt_i16_e32 0x7f, v1
	s_xor_b32 s30, exec_lo, s30
	s_cbranch_execz .LBB111_1098
; %bb.1082:
	v_cmp_ne_u16_e32 vcc_lo, 0x80, v1
	s_and_b32 s31, vcc_lo, exec_lo
	s_and_not1_saveexec_b32 s30, s30
	s_cbranch_execnz .LBB111_1099
.LBB111_1083:
	s_or_b32 exec_lo, exec_lo, s30
	v_mov_b32_e32 v4, 0
	s_and_saveexec_b32 s30, s31
	s_cbranch_execz .LBB111_1085
.LBB111_1084:
	v_and_b32_e32 v3, 0xffff, v1
	s_delay_alu instid0(VALU_DEP_1) | instskip(SKIP_1) | instid1(VALU_DEP_2)
	v_and_b32_e32 v4, 7, v3
	v_bfe_u32 v9, v3, 3, 4
	v_clz_i32_u32_e32 v5, v4
	s_delay_alu instid0(VALU_DEP_2) | instskip(NEXT) | instid1(VALU_DEP_2)
	v_cmp_eq_u32_e32 vcc_lo, 0, v9
	v_min_u32_e32 v5, 32, v5
	s_delay_alu instid0(VALU_DEP_1) | instskip(NEXT) | instid1(VALU_DEP_1)
	v_subrev_nc_u32_e32 v7, 28, v5
	v_dual_lshlrev_b32 v3, v7, v3 :: v_dual_sub_nc_u32 v5, 29, v5
	s_delay_alu instid0(VALU_DEP_1) | instskip(NEXT) | instid1(VALU_DEP_1)
	v_dual_lshlrev_b32 v1, 24, v1 :: v_dual_bitop2_b32 v3, 7, v3 bitop3:0x40
	v_dual_cndmask_b32 v3, v4, v3, vcc_lo :: v_dual_cndmask_b32 v5, v9, v5, vcc_lo
	s_delay_alu instid0(VALU_DEP_2) | instskip(NEXT) | instid1(VALU_DEP_2)
	v_and_b32_e32 v1, 0x80000000, v1
	v_lshlrev_b32_e32 v3, 20, v3
	s_delay_alu instid0(VALU_DEP_3) | instskip(NEXT) | instid1(VALU_DEP_1)
	v_lshl_add_u32 v4, v5, 23, 0x3b800000
	v_or3_b32 v1, v1, v4, v3
	s_delay_alu instid0(VALU_DEP_1)
	v_cvt_i32_f32_e32 v4, v1
.LBB111_1085:
	s_or_b32 exec_lo, exec_lo, s30
.LBB111_1086:
	s_mov_b32 s30, -1
.LBB111_1087:
	s_mov_b32 s31, 0
.LBB111_1088:
	s_delay_alu instid0(SALU_CYCLE_1)
	s_and_b32 vcc_lo, exec_lo, s31
	s_cbranch_vccz .LBB111_1121
; %bb.1089:
	s_cmp_gt_i32 s29, 22
	s_cbranch_scc0 .LBB111_1097
; %bb.1090:
	s_cmp_lt_i32 s29, 24
	s_cbranch_scc1 .LBB111_1100
; %bb.1091:
	s_cmp_gt_i32 s29, 24
	s_cbranch_scc0 .LBB111_1101
; %bb.1092:
	global_load_u8 v1, v[10:11], off
	s_mov_b32 s31, 0
	s_mov_b32 s30, exec_lo
	s_wait_loadcnt 0x0
	v_cmpx_lt_i16_e32 0x7f, v1
	s_xor_b32 s30, exec_lo, s30
	s_cbranch_execz .LBB111_1113
; %bb.1093:
	v_cmp_ne_u16_e32 vcc_lo, 0x80, v1
	s_and_b32 s31, vcc_lo, exec_lo
	s_and_not1_saveexec_b32 s30, s30
	s_cbranch_execnz .LBB111_1114
.LBB111_1094:
	s_or_b32 exec_lo, exec_lo, s30
	v_mov_b32_e32 v4, 0
	s_and_saveexec_b32 s30, s31
	s_cbranch_execz .LBB111_1096
.LBB111_1095:
	v_and_b32_e32 v3, 0xffff, v1
	s_delay_alu instid0(VALU_DEP_1) | instskip(SKIP_1) | instid1(VALU_DEP_2)
	v_and_b32_e32 v4, 3, v3
	v_bfe_u32 v9, v3, 2, 5
	v_clz_i32_u32_e32 v5, v4
	s_delay_alu instid0(VALU_DEP_2) | instskip(NEXT) | instid1(VALU_DEP_2)
	v_cmp_eq_u32_e32 vcc_lo, 0, v9
	v_min_u32_e32 v5, 32, v5
	s_delay_alu instid0(VALU_DEP_1) | instskip(NEXT) | instid1(VALU_DEP_1)
	v_subrev_nc_u32_e32 v7, 29, v5
	v_dual_lshlrev_b32 v3, v7, v3 :: v_dual_sub_nc_u32 v5, 30, v5
	s_delay_alu instid0(VALU_DEP_1) | instskip(NEXT) | instid1(VALU_DEP_1)
	v_dual_lshlrev_b32 v1, 24, v1 :: v_dual_bitop2_b32 v3, 3, v3 bitop3:0x40
	v_dual_cndmask_b32 v3, v4, v3, vcc_lo :: v_dual_cndmask_b32 v5, v9, v5, vcc_lo
	s_delay_alu instid0(VALU_DEP_2) | instskip(NEXT) | instid1(VALU_DEP_2)
	v_and_b32_e32 v1, 0x80000000, v1
	v_lshlrev_b32_e32 v3, 21, v3
	s_delay_alu instid0(VALU_DEP_3) | instskip(NEXT) | instid1(VALU_DEP_1)
	v_lshl_add_u32 v4, v5, 23, 0x37800000
	v_or3_b32 v1, v1, v4, v3
	s_delay_alu instid0(VALU_DEP_1)
	v_cvt_i32_f32_e32 v4, v1
.LBB111_1096:
	s_or_b32 exec_lo, exec_lo, s30
	s_mov_b32 s30, 0
	s_branch .LBB111_1102
.LBB111_1097:
	s_mov_b32 s31, -1
                                        ; implicit-def: $vgpr4
	s_branch .LBB111_1108
.LBB111_1098:
	s_and_not1_saveexec_b32 s30, s30
	s_cbranch_execz .LBB111_1083
.LBB111_1099:
	v_cmp_ne_u16_e32 vcc_lo, 0, v1
	s_and_not1_b32 s31, s31, exec_lo
	s_and_b32 s56, vcc_lo, exec_lo
	s_delay_alu instid0(SALU_CYCLE_1)
	s_or_b32 s31, s31, s56
	s_or_b32 exec_lo, exec_lo, s30
	v_mov_b32_e32 v4, 0
	s_and_saveexec_b32 s30, s31
	s_cbranch_execnz .LBB111_1084
	s_branch .LBB111_1085
.LBB111_1100:
	s_mov_b32 s30, -1
                                        ; implicit-def: $vgpr4
	s_branch .LBB111_1105
.LBB111_1101:
	s_mov_b32 s30, -1
                                        ; implicit-def: $vgpr4
.LBB111_1102:
	s_delay_alu instid0(SALU_CYCLE_1)
	s_and_b32 vcc_lo, exec_lo, s30
	s_cbranch_vccz .LBB111_1104
; %bb.1103:
	global_load_u8 v1, v[10:11], off
	s_wait_loadcnt 0x0
	v_lshlrev_b32_e32 v1, 24, v1
	s_delay_alu instid0(VALU_DEP_1) | instskip(NEXT) | instid1(VALU_DEP_1)
	v_and_b32_e32 v3, 0x7f000000, v1
	v_clz_i32_u32_e32 v4, v3
	v_add_nc_u32_e32 v7, 0x1000000, v3
	v_cmp_ne_u32_e32 vcc_lo, 0, v3
	s_delay_alu instid0(VALU_DEP_3) | instskip(NEXT) | instid1(VALU_DEP_1)
	v_min_u32_e32 v4, 32, v4
	v_sub_nc_u32_e64 v4, v4, 4 clamp
	s_delay_alu instid0(VALU_DEP_1) | instskip(NEXT) | instid1(VALU_DEP_1)
	v_dual_lshlrev_b32 v5, v4, v3 :: v_dual_lshlrev_b32 v4, 23, v4
	v_lshrrev_b32_e32 v5, 4, v5
	s_delay_alu instid0(VALU_DEP_1) | instskip(NEXT) | instid1(VALU_DEP_1)
	v_dual_sub_nc_u32 v4, v5, v4 :: v_dual_ashrrev_i32 v5, 8, v7
	v_add_nc_u32_e32 v4, 0x3c000000, v4
	s_delay_alu instid0(VALU_DEP_1) | instskip(NEXT) | instid1(VALU_DEP_1)
	v_and_or_b32 v4, 0x7f800000, v5, v4
	v_cndmask_b32_e32 v3, 0, v4, vcc_lo
	s_delay_alu instid0(VALU_DEP_1) | instskip(NEXT) | instid1(VALU_DEP_1)
	v_and_or_b32 v1, 0x80000000, v1, v3
	v_cvt_i32_f32_e32 v4, v1
.LBB111_1104:
	s_mov_b32 s30, 0
.LBB111_1105:
	s_delay_alu instid0(SALU_CYCLE_1)
	s_and_not1_b32 vcc_lo, exec_lo, s30
	s_cbranch_vccnz .LBB111_1107
; %bb.1106:
	global_load_u8 v1, v[10:11], off
	s_wait_loadcnt 0x0
	v_lshlrev_b32_e32 v3, 25, v1
	v_lshlrev_b16 v1, 8, v1
	s_delay_alu instid0(VALU_DEP_1) | instskip(NEXT) | instid1(VALU_DEP_3)
	v_and_or_b32 v5, 0x7f00, v1, 0.5
	v_lshrrev_b32_e32 v4, 4, v3
	v_bfe_i32 v1, v1, 0, 16
	s_delay_alu instid0(VALU_DEP_3) | instskip(NEXT) | instid1(VALU_DEP_3)
	v_add_f32_e32 v5, -0.5, v5
	v_or_b32_e32 v4, 0x70000000, v4
	s_delay_alu instid0(VALU_DEP_1) | instskip(SKIP_1) | instid1(VALU_DEP_2)
	v_mul_f32_e32 v4, 0x7800000, v4
	v_cmp_gt_u32_e32 vcc_lo, 0x8000000, v3
	v_cndmask_b32_e32 v3, v4, v5, vcc_lo
	s_delay_alu instid0(VALU_DEP_1) | instskip(NEXT) | instid1(VALU_DEP_1)
	v_and_or_b32 v1, 0x80000000, v1, v3
	v_cvt_i32_f32_e32 v4, v1
.LBB111_1107:
	s_mov_b32 s31, 0
	s_mov_b32 s30, -1
.LBB111_1108:
	s_and_not1_b32 vcc_lo, exec_lo, s31
	s_cbranch_vccnz .LBB111_1121
; %bb.1109:
	s_cmp_gt_i32 s29, 14
	s_cbranch_scc0 .LBB111_1112
; %bb.1110:
	s_cmp_eq_u32 s29, 15
	s_cbranch_scc0 .LBB111_1115
; %bb.1111:
	global_load_u16 v1, v[10:11], off
	s_mov_b32 s30, -1
	s_mov_b32 s28, 0
	s_wait_loadcnt 0x0
	v_lshlrev_b32_e32 v1, 16, v1
	s_delay_alu instid0(VALU_DEP_1)
	v_cvt_i32_f32_e32 v4, v1
	s_branch .LBB111_1116
.LBB111_1112:
	s_mov_b32 s31, -1
                                        ; implicit-def: $vgpr4
	s_branch .LBB111_1117
.LBB111_1113:
	s_and_not1_saveexec_b32 s30, s30
	s_cbranch_execz .LBB111_1094
.LBB111_1114:
	v_cmp_ne_u16_e32 vcc_lo, 0, v1
	s_and_not1_b32 s31, s31, exec_lo
	s_and_b32 s56, vcc_lo, exec_lo
	s_delay_alu instid0(SALU_CYCLE_1)
	s_or_b32 s31, s31, s56
	s_or_b32 exec_lo, exec_lo, s30
	v_mov_b32_e32 v4, 0
	s_and_saveexec_b32 s30, s31
	s_cbranch_execnz .LBB111_1095
	s_branch .LBB111_1096
.LBB111_1115:
	s_mov_b32 s28, -1
                                        ; implicit-def: $vgpr4
.LBB111_1116:
	s_mov_b32 s31, 0
.LBB111_1117:
	s_delay_alu instid0(SALU_CYCLE_1)
	s_and_b32 vcc_lo, exec_lo, s31
	s_cbranch_vccz .LBB111_1121
; %bb.1118:
	s_cmp_eq_u32 s29, 11
	s_cbranch_scc0 .LBB111_1120
; %bb.1119:
	global_load_u8 v1, v[10:11], off
	s_mov_b32 s28, 0
	s_mov_b32 s30, -1
	s_wait_loadcnt 0x0
	v_cmp_ne_u16_e32 vcc_lo, 0, v1
	v_cndmask_b32_e64 v4, 0, 1, vcc_lo
	s_branch .LBB111_1121
.LBB111_1120:
	s_mov_b32 s28, -1
                                        ; implicit-def: $vgpr4
.LBB111_1121:
	s_mov_b32 s29, 0
.LBB111_1122:
	s_delay_alu instid0(SALU_CYCLE_1)
	s_and_b32 vcc_lo, exec_lo, s29
	s_cbranch_vccz .LBB111_1171
; %bb.1123:
	s_and_b32 s0, 0xffff, s0
	s_delay_alu instid0(SALU_CYCLE_1)
	s_cmp_lt_i32 s0, 5
	s_cbranch_scc1 .LBB111_1128
; %bb.1124:
	s_cmp_lt_i32 s0, 8
	s_cbranch_scc1 .LBB111_1129
; %bb.1125:
	;; [unrolled: 3-line block ×3, first 2 shown]
	s_cmp_gt_i32 s0, 9
	s_cbranch_scc0 .LBB111_1131
; %bb.1127:
	s_wait_loadcnt 0x0
	global_load_b64 v[4:5], v[10:11], off
	s_mov_b32 s29, 0
	s_wait_loadcnt 0x0
	v_cvt_i32_f64_e32 v4, v[4:5]
	s_branch .LBB111_1132
.LBB111_1128:
	s_mov_b32 s29, -1
                                        ; implicit-def: $vgpr4
	s_branch .LBB111_1150
.LBB111_1129:
	s_mov_b32 s29, -1
                                        ; implicit-def: $vgpr4
	s_branch .LBB111_1138
.LBB111_1130:
	s_mov_b32 s29, -1
                                        ; implicit-def: $vgpr4
	s_branch .LBB111_1135
.LBB111_1131:
	s_mov_b32 s29, -1
                                        ; implicit-def: $vgpr4
.LBB111_1132:
	s_delay_alu instid0(SALU_CYCLE_1)
	s_and_not1_b32 vcc_lo, exec_lo, s29
	s_cbranch_vccnz .LBB111_1134
; %bb.1133:
	global_load_b32 v1, v[10:11], off
	s_wait_loadcnt 0x0
	v_cvt_i32_f32_e32 v4, v1
.LBB111_1134:
	s_mov_b32 s29, 0
.LBB111_1135:
	s_delay_alu instid0(SALU_CYCLE_1)
	s_and_not1_b32 vcc_lo, exec_lo, s29
	s_cbranch_vccnz .LBB111_1137
; %bb.1136:
	global_load_b32 v1, v[10:11], off
	s_wait_loadcnt 0x0
	v_cvt_i16_f16_e32 v4, v1
.LBB111_1137:
	s_mov_b32 s29, 0
.LBB111_1138:
	s_delay_alu instid0(SALU_CYCLE_1)
	s_and_not1_b32 vcc_lo, exec_lo, s29
	s_cbranch_vccnz .LBB111_1149
; %bb.1139:
	s_cmp_lt_i32 s0, 6
	s_cbranch_scc1 .LBB111_1142
; %bb.1140:
	s_cmp_gt_i32 s0, 6
	s_cbranch_scc0 .LBB111_1143
; %bb.1141:
	s_wait_loadcnt 0x0
	global_load_b64 v[4:5], v[10:11], off
	s_mov_b32 s29, 0
	s_wait_loadcnt 0x0
	v_cvt_i32_f64_e32 v4, v[4:5]
	s_branch .LBB111_1144
.LBB111_1142:
	s_mov_b32 s29, -1
                                        ; implicit-def: $vgpr4
	s_branch .LBB111_1147
.LBB111_1143:
	s_mov_b32 s29, -1
                                        ; implicit-def: $vgpr4
.LBB111_1144:
	s_delay_alu instid0(SALU_CYCLE_1)
	s_and_not1_b32 vcc_lo, exec_lo, s29
	s_cbranch_vccnz .LBB111_1146
; %bb.1145:
	global_load_b32 v1, v[10:11], off
	s_wait_loadcnt 0x0
	v_cvt_i32_f32_e32 v4, v1
.LBB111_1146:
	s_mov_b32 s29, 0
.LBB111_1147:
	s_delay_alu instid0(SALU_CYCLE_1)
	s_and_not1_b32 vcc_lo, exec_lo, s29
	s_cbranch_vccnz .LBB111_1149
; %bb.1148:
	global_load_u16 v1, v[10:11], off
	s_wait_loadcnt 0x0
	v_cvt_i16_f16_e32 v4, v1
.LBB111_1149:
	s_mov_b32 s29, 0
.LBB111_1150:
	s_delay_alu instid0(SALU_CYCLE_1)
	s_and_not1_b32 vcc_lo, exec_lo, s29
	s_cbranch_vccnz .LBB111_1170
; %bb.1151:
	s_cmp_lt_i32 s0, 2
	s_cbranch_scc1 .LBB111_1155
; %bb.1152:
	s_cmp_lt_i32 s0, 3
	s_cbranch_scc1 .LBB111_1156
; %bb.1153:
	s_cmp_gt_i32 s0, 3
	s_cbranch_scc0 .LBB111_1157
; %bb.1154:
	s_wait_loadcnt 0x0
	global_load_b64 v[4:5], v[10:11], off
	s_mov_b32 s29, 0
	s_branch .LBB111_1158
.LBB111_1155:
	s_mov_b32 s29, -1
                                        ; implicit-def: $vgpr4
	s_branch .LBB111_1164
.LBB111_1156:
	s_mov_b32 s29, -1
                                        ; implicit-def: $vgpr4
	s_branch .LBB111_1161
.LBB111_1157:
	s_mov_b32 s29, -1
                                        ; implicit-def: $vgpr4
.LBB111_1158:
	s_delay_alu instid0(SALU_CYCLE_1)
	s_and_not1_b32 vcc_lo, exec_lo, s29
	s_cbranch_vccnz .LBB111_1160
; %bb.1159:
	s_wait_loadcnt 0x0
	global_load_b32 v4, v[10:11], off
.LBB111_1160:
	s_mov_b32 s29, 0
.LBB111_1161:
	s_delay_alu instid0(SALU_CYCLE_1)
	s_and_not1_b32 vcc_lo, exec_lo, s29
	s_cbranch_vccnz .LBB111_1163
; %bb.1162:
	s_wait_loadcnt 0x0
	global_load_u16 v4, v[10:11], off
.LBB111_1163:
	s_mov_b32 s29, 0
.LBB111_1164:
	s_delay_alu instid0(SALU_CYCLE_1)
	s_and_not1_b32 vcc_lo, exec_lo, s29
	s_cbranch_vccnz .LBB111_1170
; %bb.1165:
	s_cmp_gt_i32 s0, 0
	s_mov_b32 s0, 0
	s_cbranch_scc0 .LBB111_1167
; %bb.1166:
	s_wait_loadcnt 0x0
	global_load_u8 v4, v[10:11], off
	s_branch .LBB111_1168
.LBB111_1167:
	s_mov_b32 s0, -1
                                        ; implicit-def: $vgpr4
.LBB111_1168:
	s_delay_alu instid0(SALU_CYCLE_1)
	s_and_not1_b32 vcc_lo, exec_lo, s0
	s_cbranch_vccnz .LBB111_1170
; %bb.1169:
	s_wait_loadcnt 0x0
	global_load_u8 v4, v[10:11], off
.LBB111_1170:
	s_mov_b32 s30, -1
.LBB111_1171:
	s_delay_alu instid0(SALU_CYCLE_1)
	s_and_not1_b32 vcc_lo, exec_lo, s30
	s_cbranch_vccnz .LBB111_1179
; %bb.1172:
	v_mov_b32_e32 v9, 0
	s_and_b32 s0, s39, 0xff
	s_delay_alu instid0(SALU_CYCLE_1) | instskip(SKIP_1) | instid1(VALU_DEP_1)
	s_cmp_lt_i32 s0, 11
	s_wait_xcnt 0x0
	v_add_nc_u64_e32 v[10:11], s[8:9], v[8:9]
	s_cbranch_scc1 .LBB111_1180
; %bb.1173:
	s_and_b32 s30, 0xffff, s0
	s_delay_alu instid0(SALU_CYCLE_1)
	s_cmp_gt_i32 s30, 25
	s_cbranch_scc0 .LBB111_1181
; %bb.1174:
	s_cmp_gt_i32 s30, 28
	s_cbranch_scc0 .LBB111_1182
; %bb.1175:
	;; [unrolled: 3-line block ×4, first 2 shown]
	s_cmp_eq_u32 s30, 46
	s_mov_b32 s56, 0
	s_cbranch_scc0 .LBB111_1187
; %bb.1178:
	global_load_b32 v1, v[10:11], off
	s_mov_b32 s31, -1
	s_mov_b32 s29, 0
	s_wait_loadcnt 0x0
	v_lshlrev_b32_e32 v1, 16, v1
	s_delay_alu instid0(VALU_DEP_1)
	v_cvt_i32_f32_e32 v8, v1
	s_branch .LBB111_1189
.LBB111_1179:
	s_mov_b32 s31, 0
	s_mov_b32 s0, s51
	;; [unrolled: 1-line block ×4, first 2 shown]
	s_branch .LBB111_1552
.LBB111_1180:
	s_mov_b32 s30, -1
	s_mov_b32 s31, 0
	s_mov_b32 s29, s53
                                        ; implicit-def: $vgpr8
	s_branch .LBB111_1250
.LBB111_1181:
	s_mov_b32 s56, -1
	s_mov_b32 s31, 0
	s_mov_b32 s29, s53
                                        ; implicit-def: $vgpr8
	s_branch .LBB111_1216
.LBB111_1182:
	s_mov_b32 s56, -1
	s_mov_b32 s31, 0
	s_mov_b32 s29, s53
                                        ; implicit-def: $vgpr8
	s_branch .LBB111_1199
.LBB111_1183:
	s_mov_b32 s56, -1
	s_mov_b32 s31, 0
	s_mov_b32 s29, s53
                                        ; implicit-def: $vgpr8
	s_branch .LBB111_1194
.LBB111_1184:
	s_mov_b32 s56, -1
	s_mov_b32 s31, 0
	s_mov_b32 s29, s53
	s_branch .LBB111_1188
.LBB111_1185:
	s_and_not1_saveexec_b32 s53, s53
	s_cbranch_execz .LBB111_941
.LBB111_1186:
	v_add_f32_e64 v5, 0x46000000, |v4|
	s_and_not1_b32 s52, s52, exec_lo
	s_delay_alu instid0(VALU_DEP_1) | instskip(NEXT) | instid1(VALU_DEP_1)
	v_and_b32_e32 v5, 0xff, v5
	v_cmp_ne_u32_e32 vcc_lo, 0, v5
	s_and_b32 s55, vcc_lo, exec_lo
	s_delay_alu instid0(SALU_CYCLE_1)
	s_or_b32 s52, s52, s55
	s_or_b32 exec_lo, exec_lo, s53
	v_mov_b32_e32 v6, 0
	s_and_saveexec_b32 s53, s52
	s_cbranch_execnz .LBB111_942
	s_branch .LBB111_943
.LBB111_1187:
	s_mov_b32 s29, -1
	s_mov_b32 s31, 0
.LBB111_1188:
                                        ; implicit-def: $vgpr8
.LBB111_1189:
	s_and_b32 vcc_lo, exec_lo, s56
	s_cbranch_vccz .LBB111_1193
; %bb.1190:
	s_cmp_eq_u32 s30, 44
	s_cbranch_scc0 .LBB111_1192
; %bb.1191:
	global_load_u8 v1, v[10:11], off
	s_mov_b32 s29, 0
	s_mov_b32 s31, -1
	s_wait_loadcnt 0x0
	v_lshlrev_b32_e32 v3, 23, v1
	v_cmp_ne_u32_e32 vcc_lo, 0, v1
	s_delay_alu instid0(VALU_DEP_2) | instskip(NEXT) | instid1(VALU_DEP_1)
	v_cvt_i32_f32_e32 v3, v3
	v_cndmask_b32_e32 v8, 0, v3, vcc_lo
	s_branch .LBB111_1193
.LBB111_1192:
	s_mov_b32 s29, -1
                                        ; implicit-def: $vgpr8
.LBB111_1193:
	s_mov_b32 s56, 0
.LBB111_1194:
	s_delay_alu instid0(SALU_CYCLE_1)
	s_and_b32 vcc_lo, exec_lo, s56
	s_cbranch_vccz .LBB111_1198
; %bb.1195:
	s_cmp_eq_u32 s30, 29
	s_cbranch_scc0 .LBB111_1197
; %bb.1196:
	global_load_b64 v[8:9], v[10:11], off
	s_mov_b32 s31, -1
	s_mov_b32 s29, 0
	s_branch .LBB111_1198
.LBB111_1197:
	s_mov_b32 s29, -1
                                        ; implicit-def: $vgpr8
.LBB111_1198:
	s_mov_b32 s56, 0
.LBB111_1199:
	s_delay_alu instid0(SALU_CYCLE_1)
	s_and_b32 vcc_lo, exec_lo, s56
	s_cbranch_vccz .LBB111_1215
; %bb.1200:
	s_cmp_lt_i32 s30, 27
	s_cbranch_scc1 .LBB111_1203
; %bb.1201:
	s_cmp_gt_i32 s30, 27
	s_cbranch_scc0 .LBB111_1204
; %bb.1202:
	s_wait_loadcnt 0x0
	global_load_b32 v8, v[10:11], off
	s_mov_b32 s31, 0
	s_branch .LBB111_1205
.LBB111_1203:
	s_mov_b32 s31, -1
                                        ; implicit-def: $vgpr8
	s_branch .LBB111_1208
.LBB111_1204:
	s_mov_b32 s31, -1
                                        ; implicit-def: $vgpr8
.LBB111_1205:
	s_delay_alu instid0(SALU_CYCLE_1)
	s_and_not1_b32 vcc_lo, exec_lo, s31
	s_cbranch_vccnz .LBB111_1207
; %bb.1206:
	s_wait_loadcnt 0x0
	global_load_u16 v8, v[10:11], off
.LBB111_1207:
	s_mov_b32 s31, 0
.LBB111_1208:
	s_delay_alu instid0(SALU_CYCLE_1)
	s_and_not1_b32 vcc_lo, exec_lo, s31
	s_cbranch_vccnz .LBB111_1214
; %bb.1209:
	global_load_u8 v1, v[10:11], off
	s_mov_b32 s56, 0
	s_mov_b32 s31, exec_lo
	s_wait_loadcnt 0x0
	v_cmpx_lt_i16_e32 0x7f, v1
	s_xor_b32 s31, exec_lo, s31
	s_cbranch_execz .LBB111_1226
; %bb.1210:
	v_cmp_ne_u16_e32 vcc_lo, 0x80, v1
	s_and_b32 s56, vcc_lo, exec_lo
	s_and_not1_saveexec_b32 s31, s31
	s_cbranch_execnz .LBB111_1227
.LBB111_1211:
	s_or_b32 exec_lo, exec_lo, s31
	v_mov_b32_e32 v8, 0
	s_and_saveexec_b32 s31, s56
	s_cbranch_execz .LBB111_1213
.LBB111_1212:
	v_and_b32_e32 v3, 0xffff, v1
	s_delay_alu instid0(VALU_DEP_1) | instskip(SKIP_1) | instid1(VALU_DEP_2)
	v_dual_lshlrev_b32 v1, 24, v1 :: v_dual_bitop2_b32 v5, 7, v3 bitop3:0x40
	v_bfe_u32 v9, v3, 3, 4
	v_and_b32_e32 v1, 0x80000000, v1
	s_delay_alu instid0(VALU_DEP_3) | instskip(NEXT) | instid1(VALU_DEP_3)
	v_clz_i32_u32_e32 v7, v5
	v_cmp_eq_u32_e32 vcc_lo, 0, v9
	s_delay_alu instid0(VALU_DEP_2) | instskip(NEXT) | instid1(VALU_DEP_1)
	v_min_u32_e32 v7, 32, v7
	v_subrev_nc_u32_e32 v8, 28, v7
	v_sub_nc_u32_e32 v7, 29, v7
	s_delay_alu instid0(VALU_DEP_2) | instskip(NEXT) | instid1(VALU_DEP_2)
	v_lshlrev_b32_e32 v3, v8, v3
	v_cndmask_b32_e32 v7, v9, v7, vcc_lo
	s_delay_alu instid0(VALU_DEP_2) | instskip(NEXT) | instid1(VALU_DEP_1)
	v_and_b32_e32 v3, 7, v3
	v_cndmask_b32_e32 v3, v5, v3, vcc_lo
	s_delay_alu instid0(VALU_DEP_3) | instskip(NEXT) | instid1(VALU_DEP_2)
	v_lshl_add_u32 v5, v7, 23, 0x3b800000
	v_lshlrev_b32_e32 v3, 20, v3
	s_delay_alu instid0(VALU_DEP_1) | instskip(NEXT) | instid1(VALU_DEP_1)
	v_or3_b32 v1, v1, v5, v3
	v_cvt_i32_f32_e32 v8, v1
.LBB111_1213:
	s_or_b32 exec_lo, exec_lo, s31
.LBB111_1214:
	s_mov_b32 s31, -1
.LBB111_1215:
	s_mov_b32 s56, 0
.LBB111_1216:
	s_delay_alu instid0(SALU_CYCLE_1)
	s_and_b32 vcc_lo, exec_lo, s56
	s_cbranch_vccz .LBB111_1249
; %bb.1217:
	s_cmp_gt_i32 s30, 22
	s_cbranch_scc0 .LBB111_1225
; %bb.1218:
	s_cmp_lt_i32 s30, 24
	s_cbranch_scc1 .LBB111_1228
; %bb.1219:
	s_cmp_gt_i32 s30, 24
	s_cbranch_scc0 .LBB111_1229
; %bb.1220:
	global_load_u8 v1, v[10:11], off
	s_mov_b32 s56, 0
	s_mov_b32 s31, exec_lo
	s_wait_loadcnt 0x0
	v_cmpx_lt_i16_e32 0x7f, v1
	s_xor_b32 s31, exec_lo, s31
	s_cbranch_execz .LBB111_1241
; %bb.1221:
	v_cmp_ne_u16_e32 vcc_lo, 0x80, v1
	s_and_b32 s56, vcc_lo, exec_lo
	s_and_not1_saveexec_b32 s31, s31
	s_cbranch_execnz .LBB111_1242
.LBB111_1222:
	s_or_b32 exec_lo, exec_lo, s31
	v_mov_b32_e32 v8, 0
	s_and_saveexec_b32 s31, s56
	s_cbranch_execz .LBB111_1224
.LBB111_1223:
	v_and_b32_e32 v3, 0xffff, v1
	s_delay_alu instid0(VALU_DEP_1) | instskip(SKIP_1) | instid1(VALU_DEP_2)
	v_dual_lshlrev_b32 v1, 24, v1 :: v_dual_bitop2_b32 v5, 3, v3 bitop3:0x40
	v_bfe_u32 v9, v3, 2, 5
	v_and_b32_e32 v1, 0x80000000, v1
	s_delay_alu instid0(VALU_DEP_3) | instskip(NEXT) | instid1(VALU_DEP_3)
	v_clz_i32_u32_e32 v7, v5
	v_cmp_eq_u32_e32 vcc_lo, 0, v9
	s_delay_alu instid0(VALU_DEP_2) | instskip(NEXT) | instid1(VALU_DEP_1)
	v_min_u32_e32 v7, 32, v7
	v_subrev_nc_u32_e32 v8, 29, v7
	v_sub_nc_u32_e32 v7, 30, v7
	s_delay_alu instid0(VALU_DEP_2) | instskip(NEXT) | instid1(VALU_DEP_2)
	v_lshlrev_b32_e32 v3, v8, v3
	v_cndmask_b32_e32 v7, v9, v7, vcc_lo
	s_delay_alu instid0(VALU_DEP_2) | instskip(NEXT) | instid1(VALU_DEP_1)
	v_and_b32_e32 v3, 3, v3
	v_cndmask_b32_e32 v3, v5, v3, vcc_lo
	s_delay_alu instid0(VALU_DEP_3) | instskip(NEXT) | instid1(VALU_DEP_2)
	v_lshl_add_u32 v5, v7, 23, 0x37800000
	v_lshlrev_b32_e32 v3, 21, v3
	s_delay_alu instid0(VALU_DEP_1) | instskip(NEXT) | instid1(VALU_DEP_1)
	v_or3_b32 v1, v1, v5, v3
	v_cvt_i32_f32_e32 v8, v1
.LBB111_1224:
	s_or_b32 exec_lo, exec_lo, s31
	s_mov_b32 s31, 0
	s_branch .LBB111_1230
.LBB111_1225:
	s_mov_b32 s56, -1
                                        ; implicit-def: $vgpr8
	s_branch .LBB111_1236
.LBB111_1226:
	s_and_not1_saveexec_b32 s31, s31
	s_cbranch_execz .LBB111_1211
.LBB111_1227:
	v_cmp_ne_u16_e32 vcc_lo, 0, v1
	s_and_not1_b32 s56, s56, exec_lo
	s_and_b32 s57, vcc_lo, exec_lo
	s_delay_alu instid0(SALU_CYCLE_1)
	s_or_b32 s56, s56, s57
	s_or_b32 exec_lo, exec_lo, s31
	v_mov_b32_e32 v8, 0
	s_and_saveexec_b32 s31, s56
	s_cbranch_execnz .LBB111_1212
	s_branch .LBB111_1213
.LBB111_1228:
	s_mov_b32 s31, -1
                                        ; implicit-def: $vgpr8
	s_branch .LBB111_1233
.LBB111_1229:
	s_mov_b32 s31, -1
                                        ; implicit-def: $vgpr8
.LBB111_1230:
	s_delay_alu instid0(SALU_CYCLE_1)
	s_and_b32 vcc_lo, exec_lo, s31
	s_cbranch_vccz .LBB111_1232
; %bb.1231:
	global_load_u8 v1, v[10:11], off
	s_wait_loadcnt 0x0
	v_lshlrev_b32_e32 v1, 24, v1
	s_delay_alu instid0(VALU_DEP_1) | instskip(NEXT) | instid1(VALU_DEP_1)
	v_and_b32_e32 v3, 0x7f000000, v1
	v_clz_i32_u32_e32 v5, v3
	v_cmp_ne_u32_e32 vcc_lo, 0, v3
	v_add_nc_u32_e32 v8, 0x1000000, v3
	s_delay_alu instid0(VALU_DEP_3) | instskip(NEXT) | instid1(VALU_DEP_1)
	v_min_u32_e32 v5, 32, v5
	v_sub_nc_u32_e64 v5, v5, 4 clamp
	s_delay_alu instid0(VALU_DEP_1) | instskip(NEXT) | instid1(VALU_DEP_1)
	v_dual_lshlrev_b32 v7, v5, v3 :: v_dual_lshlrev_b32 v5, 23, v5
	v_lshrrev_b32_e32 v7, 4, v7
	s_delay_alu instid0(VALU_DEP_1) | instskip(NEXT) | instid1(VALU_DEP_1)
	v_dual_sub_nc_u32 v5, v7, v5 :: v_dual_ashrrev_i32 v7, 8, v8
	v_add_nc_u32_e32 v5, 0x3c000000, v5
	s_delay_alu instid0(VALU_DEP_1) | instskip(NEXT) | instid1(VALU_DEP_1)
	v_and_or_b32 v5, 0x7f800000, v7, v5
	v_cndmask_b32_e32 v3, 0, v5, vcc_lo
	s_delay_alu instid0(VALU_DEP_1) | instskip(NEXT) | instid1(VALU_DEP_1)
	v_and_or_b32 v1, 0x80000000, v1, v3
	v_cvt_i32_f32_e32 v8, v1
.LBB111_1232:
	s_mov_b32 s31, 0
.LBB111_1233:
	s_delay_alu instid0(SALU_CYCLE_1)
	s_and_not1_b32 vcc_lo, exec_lo, s31
	s_cbranch_vccnz .LBB111_1235
; %bb.1234:
	global_load_u8 v1, v[10:11], off
	s_wait_loadcnt 0x0
	v_lshlrev_b32_e32 v3, 25, v1
	v_lshlrev_b16 v1, 8, v1
	s_delay_alu instid0(VALU_DEP_1) | instskip(SKIP_1) | instid1(VALU_DEP_2)
	v_and_or_b32 v7, 0x7f00, v1, 0.5
	v_bfe_i32 v1, v1, 0, 16
	v_add_f32_e32 v7, -0.5, v7
	v_lshrrev_b32_e32 v5, 4, v3
	v_cmp_gt_u32_e32 vcc_lo, 0x8000000, v3
	s_delay_alu instid0(VALU_DEP_2) | instskip(NEXT) | instid1(VALU_DEP_1)
	v_or_b32_e32 v5, 0x70000000, v5
	v_mul_f32_e32 v5, 0x7800000, v5
	s_delay_alu instid0(VALU_DEP_1) | instskip(NEXT) | instid1(VALU_DEP_1)
	v_cndmask_b32_e32 v3, v5, v7, vcc_lo
	v_and_or_b32 v1, 0x80000000, v1, v3
	s_delay_alu instid0(VALU_DEP_1)
	v_cvt_i32_f32_e32 v8, v1
.LBB111_1235:
	s_mov_b32 s56, 0
	s_mov_b32 s31, -1
.LBB111_1236:
	s_and_not1_b32 vcc_lo, exec_lo, s56
	s_cbranch_vccnz .LBB111_1249
; %bb.1237:
	s_cmp_gt_i32 s30, 14
	s_cbranch_scc0 .LBB111_1240
; %bb.1238:
	s_cmp_eq_u32 s30, 15
	s_cbranch_scc0 .LBB111_1243
; %bb.1239:
	global_load_u16 v1, v[10:11], off
	s_mov_b32 s31, -1
	s_mov_b32 s29, 0
	s_wait_loadcnt 0x0
	v_lshlrev_b32_e32 v1, 16, v1
	s_delay_alu instid0(VALU_DEP_1)
	v_cvt_i32_f32_e32 v8, v1
	s_branch .LBB111_1244
.LBB111_1240:
	s_mov_b32 s56, -1
                                        ; implicit-def: $vgpr8
	s_branch .LBB111_1245
.LBB111_1241:
	s_and_not1_saveexec_b32 s31, s31
	s_cbranch_execz .LBB111_1222
.LBB111_1242:
	v_cmp_ne_u16_e32 vcc_lo, 0, v1
	s_and_not1_b32 s56, s56, exec_lo
	s_and_b32 s57, vcc_lo, exec_lo
	s_delay_alu instid0(SALU_CYCLE_1)
	s_or_b32 s56, s56, s57
	s_or_b32 exec_lo, exec_lo, s31
	v_mov_b32_e32 v8, 0
	s_and_saveexec_b32 s31, s56
	s_cbranch_execnz .LBB111_1223
	s_branch .LBB111_1224
.LBB111_1243:
	s_mov_b32 s29, -1
                                        ; implicit-def: $vgpr8
.LBB111_1244:
	s_mov_b32 s56, 0
.LBB111_1245:
	s_delay_alu instid0(SALU_CYCLE_1)
	s_and_b32 vcc_lo, exec_lo, s56
	s_cbranch_vccz .LBB111_1249
; %bb.1246:
	s_cmp_eq_u32 s30, 11
	s_cbranch_scc0 .LBB111_1248
; %bb.1247:
	global_load_u8 v1, v[10:11], off
	s_mov_b32 s29, 0
	s_mov_b32 s31, -1
	s_wait_loadcnt 0x0
	v_cmp_ne_u16_e32 vcc_lo, 0, v1
	v_cndmask_b32_e64 v8, 0, 1, vcc_lo
	s_branch .LBB111_1249
.LBB111_1248:
	s_mov_b32 s29, -1
                                        ; implicit-def: $vgpr8
.LBB111_1249:
	s_mov_b32 s30, 0
.LBB111_1250:
	s_delay_alu instid0(SALU_CYCLE_1)
	s_and_b32 vcc_lo, exec_lo, s30
	s_cbranch_vccz .LBB111_1299
; %bb.1251:
	s_and_b32 s0, 0xffff, s0
	s_delay_alu instid0(SALU_CYCLE_1)
	s_cmp_lt_i32 s0, 5
	s_cbranch_scc1 .LBB111_1256
; %bb.1252:
	s_cmp_lt_i32 s0, 8
	s_cbranch_scc1 .LBB111_1257
; %bb.1253:
	;; [unrolled: 3-line block ×3, first 2 shown]
	s_cmp_gt_i32 s0, 9
	s_cbranch_scc0 .LBB111_1259
; %bb.1255:
	s_wait_loadcnt 0x0
	global_load_b64 v[8:9], v[10:11], off
	s_mov_b32 s30, 0
	s_wait_loadcnt 0x0
	v_cvt_i32_f64_e32 v8, v[8:9]
	s_branch .LBB111_1260
.LBB111_1256:
	s_mov_b32 s30, -1
                                        ; implicit-def: $vgpr8
	s_branch .LBB111_1278
.LBB111_1257:
	s_mov_b32 s30, -1
                                        ; implicit-def: $vgpr8
	s_branch .LBB111_1266
.LBB111_1258:
	s_mov_b32 s30, -1
                                        ; implicit-def: $vgpr8
	s_branch .LBB111_1263
.LBB111_1259:
	s_mov_b32 s30, -1
                                        ; implicit-def: $vgpr8
.LBB111_1260:
	s_delay_alu instid0(SALU_CYCLE_1)
	s_and_not1_b32 vcc_lo, exec_lo, s30
	s_cbranch_vccnz .LBB111_1262
; %bb.1261:
	global_load_b32 v1, v[10:11], off
	s_wait_loadcnt 0x0
	v_cvt_i32_f32_e32 v8, v1
.LBB111_1262:
	s_mov_b32 s30, 0
.LBB111_1263:
	s_delay_alu instid0(SALU_CYCLE_1)
	s_and_not1_b32 vcc_lo, exec_lo, s30
	s_cbranch_vccnz .LBB111_1265
; %bb.1264:
	global_load_b32 v1, v[10:11], off
	s_wait_loadcnt 0x0
	v_cvt_i16_f16_e32 v8, v1
.LBB111_1265:
	s_mov_b32 s30, 0
.LBB111_1266:
	s_delay_alu instid0(SALU_CYCLE_1)
	s_and_not1_b32 vcc_lo, exec_lo, s30
	s_cbranch_vccnz .LBB111_1277
; %bb.1267:
	s_cmp_lt_i32 s0, 6
	s_cbranch_scc1 .LBB111_1270
; %bb.1268:
	s_cmp_gt_i32 s0, 6
	s_cbranch_scc0 .LBB111_1271
; %bb.1269:
	s_wait_loadcnt 0x0
	global_load_b64 v[8:9], v[10:11], off
	s_mov_b32 s30, 0
	s_wait_loadcnt 0x0
	v_cvt_i32_f64_e32 v8, v[8:9]
	s_branch .LBB111_1272
.LBB111_1270:
	s_mov_b32 s30, -1
                                        ; implicit-def: $vgpr8
	s_branch .LBB111_1275
.LBB111_1271:
	s_mov_b32 s30, -1
                                        ; implicit-def: $vgpr8
.LBB111_1272:
	s_delay_alu instid0(SALU_CYCLE_1)
	s_and_not1_b32 vcc_lo, exec_lo, s30
	s_cbranch_vccnz .LBB111_1274
; %bb.1273:
	global_load_b32 v1, v[10:11], off
	s_wait_loadcnt 0x0
	v_cvt_i32_f32_e32 v8, v1
.LBB111_1274:
	s_mov_b32 s30, 0
.LBB111_1275:
	s_delay_alu instid0(SALU_CYCLE_1)
	s_and_not1_b32 vcc_lo, exec_lo, s30
	s_cbranch_vccnz .LBB111_1277
; %bb.1276:
	global_load_u16 v1, v[10:11], off
	s_wait_loadcnt 0x0
	v_cvt_i16_f16_e32 v8, v1
.LBB111_1277:
	s_mov_b32 s30, 0
.LBB111_1278:
	s_delay_alu instid0(SALU_CYCLE_1)
	s_and_not1_b32 vcc_lo, exec_lo, s30
	s_cbranch_vccnz .LBB111_1298
; %bb.1279:
	s_cmp_lt_i32 s0, 2
	s_cbranch_scc1 .LBB111_1283
; %bb.1280:
	s_cmp_lt_i32 s0, 3
	s_cbranch_scc1 .LBB111_1284
; %bb.1281:
	s_cmp_gt_i32 s0, 3
	s_cbranch_scc0 .LBB111_1285
; %bb.1282:
	s_wait_loadcnt 0x0
	global_load_b64 v[8:9], v[10:11], off
	s_mov_b32 s30, 0
	s_branch .LBB111_1286
.LBB111_1283:
	s_mov_b32 s30, -1
                                        ; implicit-def: $vgpr8
	s_branch .LBB111_1292
.LBB111_1284:
	s_mov_b32 s30, -1
                                        ; implicit-def: $vgpr8
	s_branch .LBB111_1289
.LBB111_1285:
	s_mov_b32 s30, -1
                                        ; implicit-def: $vgpr8
.LBB111_1286:
	s_delay_alu instid0(SALU_CYCLE_1)
	s_and_not1_b32 vcc_lo, exec_lo, s30
	s_cbranch_vccnz .LBB111_1288
; %bb.1287:
	s_wait_loadcnt 0x0
	global_load_b32 v8, v[10:11], off
.LBB111_1288:
	s_mov_b32 s30, 0
.LBB111_1289:
	s_delay_alu instid0(SALU_CYCLE_1)
	s_and_not1_b32 vcc_lo, exec_lo, s30
	s_cbranch_vccnz .LBB111_1291
; %bb.1290:
	s_wait_loadcnt 0x0
	global_load_u16 v8, v[10:11], off
.LBB111_1291:
	s_mov_b32 s30, 0
.LBB111_1292:
	s_delay_alu instid0(SALU_CYCLE_1)
	s_and_not1_b32 vcc_lo, exec_lo, s30
	s_cbranch_vccnz .LBB111_1298
; %bb.1293:
	s_cmp_gt_i32 s0, 0
	s_mov_b32 s0, 0
	s_cbranch_scc0 .LBB111_1295
; %bb.1294:
	s_wait_loadcnt 0x0
	global_load_u8 v8, v[10:11], off
	s_branch .LBB111_1296
.LBB111_1295:
	s_mov_b32 s0, -1
                                        ; implicit-def: $vgpr8
.LBB111_1296:
	s_delay_alu instid0(SALU_CYCLE_1)
	s_and_not1_b32 vcc_lo, exec_lo, s0
	s_cbranch_vccnz .LBB111_1298
; %bb.1297:
	s_wait_loadcnt 0x0
	global_load_u8 v8, v[10:11], off
.LBB111_1298:
	s_mov_b32 s31, -1
.LBB111_1299:
	s_delay_alu instid0(SALU_CYCLE_1)
	s_and_not1_b32 vcc_lo, exec_lo, s31
	s_cbranch_vccnz .LBB111_1307
; %bb.1300:
	v_mov_b32_e32 v7, 0
	s_and_b32 s0, 0xffff, s21
	s_delay_alu instid0(SALU_CYCLE_1) | instskip(NEXT) | instid1(VALU_DEP_1)
	s_cmp_lt_i32 s0, 11
	v_add_nc_u64_e32 v[6:7], s[10:11], v[6:7]
	s_cbranch_scc1 .LBB111_1308
; %bb.1301:
	s_cmp_gt_i32 s0, 25
	s_cbranch_scc0 .LBB111_1309
; %bb.1302:
	s_cmp_gt_i32 s0, 28
	s_cbranch_scc0 .LBB111_1310
	;; [unrolled: 3-line block ×4, first 2 shown]
; %bb.1305:
	s_cmp_eq_u32 s0, 46
	s_mov_b32 s56, 0
	s_cbranch_scc0 .LBB111_1315
; %bb.1306:
	global_load_b32 v1, v[6:7], off
	s_mov_b32 s31, -1
	s_mov_b32 s30, 0
	s_wait_loadcnt 0x0
	v_lshlrev_b32_e32 v1, 16, v1
	s_wait_xcnt 0x1
	s_delay_alu instid0(VALU_DEP_1)
	v_cvt_i32_f32_e32 v10, v1
	s_branch .LBB111_1317
.LBB111_1307:
	s_mov_b32 s31, 0
	s_mov_b32 s0, s51
	;; [unrolled: 1-line block ×3, first 2 shown]
	s_branch .LBB111_1552
.LBB111_1308:
	s_mov_b32 s56, -1
	s_mov_b32 s31, 0
	s_mov_b32 s30, s52
                                        ; implicit-def: $vgpr10
	s_branch .LBB111_1378
.LBB111_1309:
	s_mov_b32 s56, -1
	s_mov_b32 s31, 0
	s_mov_b32 s30, s52
                                        ; implicit-def: $vgpr10
	s_branch .LBB111_1344
.LBB111_1310:
	s_mov_b32 s56, -1
	s_mov_b32 s31, 0
	s_mov_b32 s30, s52
                                        ; implicit-def: $vgpr10
	s_branch .LBB111_1327
.LBB111_1311:
	s_mov_b32 s56, -1
	s_mov_b32 s31, 0
	s_mov_b32 s30, s52
                                        ; implicit-def: $vgpr10
	s_branch .LBB111_1322
.LBB111_1312:
	s_mov_b32 s56, -1
	s_mov_b32 s31, 0
	s_mov_b32 s30, s52
	s_branch .LBB111_1316
.LBB111_1313:
	s_and_not1_saveexec_b32 s53, s53
	s_cbranch_execz .LBB111_954
.LBB111_1314:
	v_add_f32_e64 v5, 0x42800000, |v4|
	s_and_not1_b32 s52, s52, exec_lo
	s_delay_alu instid0(VALU_DEP_1) | instskip(NEXT) | instid1(VALU_DEP_1)
	v_and_b32_e32 v5, 0xff, v5
	v_cmp_ne_u32_e32 vcc_lo, 0, v5
	s_and_b32 s55, vcc_lo, exec_lo
	s_delay_alu instid0(SALU_CYCLE_1)
	s_or_b32 s52, s52, s55
	s_or_b32 exec_lo, exec_lo, s53
	v_mov_b32_e32 v6, 0
	s_and_saveexec_b32 s53, s52
	s_cbranch_execnz .LBB111_955
	s_branch .LBB111_956
.LBB111_1315:
	s_mov_b32 s30, -1
	s_mov_b32 s31, 0
.LBB111_1316:
                                        ; implicit-def: $vgpr10
.LBB111_1317:
	s_and_b32 vcc_lo, exec_lo, s56
	s_cbranch_vccz .LBB111_1321
; %bb.1318:
	s_cmp_eq_u32 s0, 44
	s_cbranch_scc0 .LBB111_1320
; %bb.1319:
	global_load_u8 v1, v[6:7], off
	s_mov_b32 s30, 0
	s_mov_b32 s31, -1
	s_wait_loadcnt 0x0
	v_lshlrev_b32_e32 v3, 23, v1
	v_cmp_ne_u32_e32 vcc_lo, 0, v1
	s_delay_alu instid0(VALU_DEP_2) | instskip(SKIP_1) | instid1(VALU_DEP_1)
	v_cvt_i32_f32_e32 v3, v3
	s_wait_xcnt 0x1
	v_cndmask_b32_e32 v10, 0, v3, vcc_lo
	s_branch .LBB111_1321
.LBB111_1320:
	s_mov_b32 s30, -1
                                        ; implicit-def: $vgpr10
.LBB111_1321:
	s_mov_b32 s56, 0
.LBB111_1322:
	s_delay_alu instid0(SALU_CYCLE_1)
	s_and_b32 vcc_lo, exec_lo, s56
	s_cbranch_vccz .LBB111_1326
; %bb.1323:
	s_cmp_eq_u32 s0, 29
	s_cbranch_scc0 .LBB111_1325
; %bb.1324:
	global_load_b64 v[10:11], v[6:7], off
	s_mov_b32 s31, -1
	s_mov_b32 s30, 0
	s_branch .LBB111_1326
.LBB111_1325:
	s_mov_b32 s30, -1
                                        ; implicit-def: $vgpr10
.LBB111_1326:
	s_mov_b32 s56, 0
.LBB111_1327:
	s_delay_alu instid0(SALU_CYCLE_1)
	s_and_b32 vcc_lo, exec_lo, s56
	s_cbranch_vccz .LBB111_1343
; %bb.1328:
	s_cmp_lt_i32 s0, 27
	s_cbranch_scc1 .LBB111_1331
; %bb.1329:
	s_cmp_gt_i32 s0, 27
	s_cbranch_scc0 .LBB111_1332
; %bb.1330:
	s_wait_loadcnt 0x0
	global_load_b32 v10, v[6:7], off
	s_mov_b32 s31, 0
	s_branch .LBB111_1333
.LBB111_1331:
	s_mov_b32 s31, -1
                                        ; implicit-def: $vgpr10
	s_branch .LBB111_1336
.LBB111_1332:
	s_mov_b32 s31, -1
                                        ; implicit-def: $vgpr10
.LBB111_1333:
	s_delay_alu instid0(SALU_CYCLE_1)
	s_and_not1_b32 vcc_lo, exec_lo, s31
	s_cbranch_vccnz .LBB111_1335
; %bb.1334:
	s_wait_loadcnt 0x0
	global_load_u16 v10, v[6:7], off
.LBB111_1335:
	s_mov_b32 s31, 0
.LBB111_1336:
	s_delay_alu instid0(SALU_CYCLE_1)
	s_and_not1_b32 vcc_lo, exec_lo, s31
	s_cbranch_vccnz .LBB111_1342
; %bb.1337:
	global_load_u8 v1, v[6:7], off
	s_mov_b32 s56, 0
	s_mov_b32 s31, exec_lo
	s_wait_loadcnt 0x0
	v_cmpx_lt_i16_e32 0x7f, v1
	s_xor_b32 s31, exec_lo, s31
	s_cbranch_execz .LBB111_1354
; %bb.1338:
	v_cmp_ne_u16_e32 vcc_lo, 0x80, v1
	s_and_b32 s56, vcc_lo, exec_lo
	s_and_not1_saveexec_b32 s31, s31
	s_cbranch_execnz .LBB111_1355
.LBB111_1339:
	s_or_b32 exec_lo, exec_lo, s31
	v_mov_b32_e32 v10, 0
	s_and_saveexec_b32 s31, s56
	s_cbranch_execz .LBB111_1341
.LBB111_1340:
	v_and_b32_e32 v3, 0xffff, v1
	s_delay_alu instid0(VALU_DEP_1) | instskip(SKIP_1) | instid1(VALU_DEP_2)
	v_and_b32_e32 v5, 7, v3
	v_bfe_u32 v11, v3, 3, 4
	v_clz_i32_u32_e32 v9, v5
	s_delay_alu instid0(VALU_DEP_2) | instskip(NEXT) | instid1(VALU_DEP_2)
	v_cmp_eq_u32_e32 vcc_lo, 0, v11
	v_min_u32_e32 v9, 32, v9
	s_delay_alu instid0(VALU_DEP_1) | instskip(NEXT) | instid1(VALU_DEP_1)
	v_subrev_nc_u32_e32 v10, 28, v9
	v_dual_lshlrev_b32 v3, v10, v3 :: v_dual_sub_nc_u32 v9, 29, v9
	s_delay_alu instid0(VALU_DEP_1) | instskip(NEXT) | instid1(VALU_DEP_1)
	v_dual_lshlrev_b32 v1, 24, v1 :: v_dual_bitop2_b32 v3, 7, v3 bitop3:0x40
	v_dual_cndmask_b32 v3, v5, v3, vcc_lo :: v_dual_cndmask_b32 v9, v11, v9, vcc_lo
	s_delay_alu instid0(VALU_DEP_2) | instskip(NEXT) | instid1(VALU_DEP_2)
	v_and_b32_e32 v1, 0x80000000, v1
	v_lshlrev_b32_e32 v3, 20, v3
	s_delay_alu instid0(VALU_DEP_3) | instskip(NEXT) | instid1(VALU_DEP_1)
	v_lshl_add_u32 v5, v9, 23, 0x3b800000
	v_or3_b32 v1, v1, v5, v3
	s_delay_alu instid0(VALU_DEP_1)
	v_cvt_i32_f32_e32 v10, v1
.LBB111_1341:
	s_or_b32 exec_lo, exec_lo, s31
.LBB111_1342:
	s_mov_b32 s31, -1
.LBB111_1343:
	s_mov_b32 s56, 0
.LBB111_1344:
	s_delay_alu instid0(SALU_CYCLE_1)
	s_and_b32 vcc_lo, exec_lo, s56
	s_cbranch_vccz .LBB111_1377
; %bb.1345:
	s_cmp_gt_i32 s0, 22
	s_cbranch_scc0 .LBB111_1353
; %bb.1346:
	s_cmp_lt_i32 s0, 24
	s_cbranch_scc1 .LBB111_1356
; %bb.1347:
	s_cmp_gt_i32 s0, 24
	s_cbranch_scc0 .LBB111_1357
; %bb.1348:
	global_load_u8 v1, v[6:7], off
	s_mov_b32 s56, 0
	s_mov_b32 s31, exec_lo
	s_wait_loadcnt 0x0
	v_cmpx_lt_i16_e32 0x7f, v1
	s_xor_b32 s31, exec_lo, s31
	s_cbranch_execz .LBB111_1369
; %bb.1349:
	v_cmp_ne_u16_e32 vcc_lo, 0x80, v1
	s_and_b32 s56, vcc_lo, exec_lo
	s_and_not1_saveexec_b32 s31, s31
	s_cbranch_execnz .LBB111_1370
.LBB111_1350:
	s_or_b32 exec_lo, exec_lo, s31
	v_mov_b32_e32 v10, 0
	s_and_saveexec_b32 s31, s56
	s_cbranch_execz .LBB111_1352
.LBB111_1351:
	v_and_b32_e32 v3, 0xffff, v1
	s_delay_alu instid0(VALU_DEP_1) | instskip(SKIP_1) | instid1(VALU_DEP_2)
	v_and_b32_e32 v5, 3, v3
	v_bfe_u32 v11, v3, 2, 5
	v_clz_i32_u32_e32 v9, v5
	s_delay_alu instid0(VALU_DEP_2) | instskip(NEXT) | instid1(VALU_DEP_2)
	v_cmp_eq_u32_e32 vcc_lo, 0, v11
	v_min_u32_e32 v9, 32, v9
	s_delay_alu instid0(VALU_DEP_1) | instskip(NEXT) | instid1(VALU_DEP_1)
	v_subrev_nc_u32_e32 v10, 29, v9
	v_dual_lshlrev_b32 v3, v10, v3 :: v_dual_sub_nc_u32 v9, 30, v9
	s_delay_alu instid0(VALU_DEP_1) | instskip(NEXT) | instid1(VALU_DEP_1)
	v_dual_lshlrev_b32 v1, 24, v1 :: v_dual_bitop2_b32 v3, 3, v3 bitop3:0x40
	v_dual_cndmask_b32 v3, v5, v3, vcc_lo :: v_dual_cndmask_b32 v9, v11, v9, vcc_lo
	s_delay_alu instid0(VALU_DEP_2) | instskip(NEXT) | instid1(VALU_DEP_2)
	v_and_b32_e32 v1, 0x80000000, v1
	v_lshlrev_b32_e32 v3, 21, v3
	s_delay_alu instid0(VALU_DEP_3) | instskip(NEXT) | instid1(VALU_DEP_1)
	v_lshl_add_u32 v5, v9, 23, 0x37800000
	v_or3_b32 v1, v1, v5, v3
	s_delay_alu instid0(VALU_DEP_1)
	v_cvt_i32_f32_e32 v10, v1
.LBB111_1352:
	s_or_b32 exec_lo, exec_lo, s31
	s_mov_b32 s31, 0
	s_branch .LBB111_1358
.LBB111_1353:
	s_mov_b32 s56, -1
                                        ; implicit-def: $vgpr10
	s_branch .LBB111_1364
.LBB111_1354:
	s_and_not1_saveexec_b32 s31, s31
	s_cbranch_execz .LBB111_1339
.LBB111_1355:
	v_cmp_ne_u16_e32 vcc_lo, 0, v1
	s_and_not1_b32 s56, s56, exec_lo
	s_and_b32 s57, vcc_lo, exec_lo
	s_delay_alu instid0(SALU_CYCLE_1)
	s_or_b32 s56, s56, s57
	s_or_b32 exec_lo, exec_lo, s31
	v_mov_b32_e32 v10, 0
	s_and_saveexec_b32 s31, s56
	s_cbranch_execnz .LBB111_1340
	s_branch .LBB111_1341
.LBB111_1356:
	s_mov_b32 s31, -1
                                        ; implicit-def: $vgpr10
	s_branch .LBB111_1361
.LBB111_1357:
	s_mov_b32 s31, -1
                                        ; implicit-def: $vgpr10
.LBB111_1358:
	s_delay_alu instid0(SALU_CYCLE_1)
	s_and_b32 vcc_lo, exec_lo, s31
	s_cbranch_vccz .LBB111_1360
; %bb.1359:
	global_load_u8 v1, v[6:7], off
	s_wait_loadcnt 0x0
	v_lshlrev_b32_e32 v1, 24, v1
	s_delay_alu instid0(VALU_DEP_1) | instskip(NEXT) | instid1(VALU_DEP_1)
	v_and_b32_e32 v3, 0x7f000000, v1
	v_clz_i32_u32_e32 v5, v3
	v_cmp_ne_u32_e32 vcc_lo, 0, v3
	s_wait_xcnt 0x1
	v_add_nc_u32_e32 v10, 0x1000000, v3
	s_delay_alu instid0(VALU_DEP_3) | instskip(NEXT) | instid1(VALU_DEP_1)
	v_min_u32_e32 v5, 32, v5
	v_sub_nc_u32_e64 v5, v5, 4 clamp
	s_delay_alu instid0(VALU_DEP_1) | instskip(NEXT) | instid1(VALU_DEP_1)
	v_dual_lshlrev_b32 v9, v5, v3 :: v_dual_lshlrev_b32 v5, 23, v5
	v_lshrrev_b32_e32 v9, 4, v9
	s_delay_alu instid0(VALU_DEP_1) | instskip(NEXT) | instid1(VALU_DEP_1)
	v_dual_sub_nc_u32 v5, v9, v5 :: v_dual_ashrrev_i32 v9, 8, v10
	v_add_nc_u32_e32 v5, 0x3c000000, v5
	s_delay_alu instid0(VALU_DEP_1) | instskip(NEXT) | instid1(VALU_DEP_1)
	v_and_or_b32 v5, 0x7f800000, v9, v5
	v_cndmask_b32_e32 v3, 0, v5, vcc_lo
	s_delay_alu instid0(VALU_DEP_1) | instskip(NEXT) | instid1(VALU_DEP_1)
	v_and_or_b32 v1, 0x80000000, v1, v3
	v_cvt_i32_f32_e32 v10, v1
.LBB111_1360:
	s_mov_b32 s31, 0
.LBB111_1361:
	s_delay_alu instid0(SALU_CYCLE_1)
	s_and_not1_b32 vcc_lo, exec_lo, s31
	s_cbranch_vccnz .LBB111_1363
; %bb.1362:
	global_load_u8 v1, v[6:7], off
	s_wait_loadcnt 0x0
	v_lshlrev_b32_e32 v3, 25, v1
	v_lshlrev_b16 v1, 8, v1
	s_delay_alu instid0(VALU_DEP_2) | instskip(NEXT) | instid1(VALU_DEP_2)
	v_cmp_gt_u32_e32 vcc_lo, 0x8000000, v3
	v_and_or_b32 v9, 0x7f00, v1, 0.5
	v_lshrrev_b32_e32 v5, 4, v3
	v_bfe_i32 v1, v1, 0, 16
	s_delay_alu instid0(VALU_DEP_3) | instskip(NEXT) | instid1(VALU_DEP_3)
	v_add_f32_e32 v9, -0.5, v9
	v_or_b32_e32 v5, 0x70000000, v5
	s_delay_alu instid0(VALU_DEP_1) | instskip(NEXT) | instid1(VALU_DEP_1)
	v_mul_f32_e32 v5, 0x7800000, v5
	v_cndmask_b32_e32 v3, v5, v9, vcc_lo
	s_delay_alu instid0(VALU_DEP_1) | instskip(SKIP_1) | instid1(VALU_DEP_1)
	v_and_or_b32 v1, 0x80000000, v1, v3
	s_wait_xcnt 0x1
	v_cvt_i32_f32_e32 v10, v1
.LBB111_1363:
	s_mov_b32 s56, 0
	s_mov_b32 s31, -1
.LBB111_1364:
	s_and_not1_b32 vcc_lo, exec_lo, s56
	s_cbranch_vccnz .LBB111_1377
; %bb.1365:
	s_cmp_gt_i32 s0, 14
	s_cbranch_scc0 .LBB111_1368
; %bb.1366:
	s_cmp_eq_u32 s0, 15
	s_cbranch_scc0 .LBB111_1371
; %bb.1367:
	global_load_u16 v1, v[6:7], off
	s_mov_b32 s31, -1
	s_mov_b32 s30, 0
	s_wait_loadcnt 0x0
	v_lshlrev_b32_e32 v1, 16, v1
	s_wait_xcnt 0x1
	s_delay_alu instid0(VALU_DEP_1)
	v_cvt_i32_f32_e32 v10, v1
	s_branch .LBB111_1372
.LBB111_1368:
	s_mov_b32 s56, -1
                                        ; implicit-def: $vgpr10
	s_branch .LBB111_1373
.LBB111_1369:
	s_and_not1_saveexec_b32 s31, s31
	s_cbranch_execz .LBB111_1350
.LBB111_1370:
	v_cmp_ne_u16_e32 vcc_lo, 0, v1
	s_and_not1_b32 s56, s56, exec_lo
	s_and_b32 s57, vcc_lo, exec_lo
	s_delay_alu instid0(SALU_CYCLE_1)
	s_or_b32 s56, s56, s57
	s_or_b32 exec_lo, exec_lo, s31
	v_mov_b32_e32 v10, 0
	s_and_saveexec_b32 s31, s56
	s_cbranch_execnz .LBB111_1351
	s_branch .LBB111_1352
.LBB111_1371:
	s_mov_b32 s30, -1
                                        ; implicit-def: $vgpr10
.LBB111_1372:
	s_mov_b32 s56, 0
.LBB111_1373:
	s_delay_alu instid0(SALU_CYCLE_1)
	s_and_b32 vcc_lo, exec_lo, s56
	s_cbranch_vccz .LBB111_1377
; %bb.1374:
	s_cmp_eq_u32 s0, 11
	s_cbranch_scc0 .LBB111_1376
; %bb.1375:
	global_load_u8 v1, v[6:7], off
	s_mov_b32 s30, 0
	s_mov_b32 s31, -1
	s_wait_loadcnt 0x0
	v_cmp_ne_u16_e32 vcc_lo, 0, v1
	s_wait_xcnt 0x1
	v_cndmask_b32_e64 v10, 0, 1, vcc_lo
	s_branch .LBB111_1377
.LBB111_1376:
	s_mov_b32 s30, -1
                                        ; implicit-def: $vgpr10
.LBB111_1377:
	s_mov_b32 s56, 0
.LBB111_1378:
	s_delay_alu instid0(SALU_CYCLE_1)
	s_and_b32 vcc_lo, exec_lo, s56
	s_cbranch_vccz .LBB111_1427
; %bb.1379:
	s_cmp_lt_i32 s0, 5
	s_cbranch_scc1 .LBB111_1384
; %bb.1380:
	s_cmp_lt_i32 s0, 8
	s_cbranch_scc1 .LBB111_1385
; %bb.1381:
	s_cmp_lt_i32 s0, 9
	s_cbranch_scc1 .LBB111_1386
; %bb.1382:
	s_cmp_gt_i32 s0, 9
	s_cbranch_scc0 .LBB111_1387
; %bb.1383:
	s_wait_loadcnt 0x0
	global_load_b64 v[10:11], v[6:7], off
	s_mov_b32 s31, 0
	s_wait_loadcnt 0x0
	v_cvt_i32_f64_e32 v10, v[10:11]
	s_branch .LBB111_1388
.LBB111_1384:
	s_mov_b32 s31, -1
                                        ; implicit-def: $vgpr10
	s_branch .LBB111_1406
.LBB111_1385:
	s_mov_b32 s31, -1
                                        ; implicit-def: $vgpr10
	s_branch .LBB111_1394
.LBB111_1386:
	s_mov_b32 s31, -1
                                        ; implicit-def: $vgpr10
	s_branch .LBB111_1391
.LBB111_1387:
	s_mov_b32 s31, -1
                                        ; implicit-def: $vgpr10
.LBB111_1388:
	s_delay_alu instid0(SALU_CYCLE_1)
	s_and_not1_b32 vcc_lo, exec_lo, s31
	s_cbranch_vccnz .LBB111_1390
; %bb.1389:
	global_load_b32 v1, v[6:7], off
	s_wait_loadcnt 0x0
	s_wait_xcnt 0x1
	v_cvt_i32_f32_e32 v10, v1
.LBB111_1390:
	s_mov_b32 s31, 0
.LBB111_1391:
	s_delay_alu instid0(SALU_CYCLE_1)
	s_and_not1_b32 vcc_lo, exec_lo, s31
	s_cbranch_vccnz .LBB111_1393
; %bb.1392:
	global_load_b32 v1, v[6:7], off
	s_wait_loadcnt 0x0
	s_wait_xcnt 0x1
	v_cvt_i16_f16_e32 v10, v1
.LBB111_1393:
	s_mov_b32 s31, 0
.LBB111_1394:
	s_delay_alu instid0(SALU_CYCLE_1)
	s_and_not1_b32 vcc_lo, exec_lo, s31
	s_cbranch_vccnz .LBB111_1405
; %bb.1395:
	s_cmp_lt_i32 s0, 6
	s_cbranch_scc1 .LBB111_1398
; %bb.1396:
	s_cmp_gt_i32 s0, 6
	s_cbranch_scc0 .LBB111_1399
; %bb.1397:
	s_wait_loadcnt 0x0
	global_load_b64 v[10:11], v[6:7], off
	s_mov_b32 s31, 0
	s_wait_loadcnt 0x0
	v_cvt_i32_f64_e32 v10, v[10:11]
	s_branch .LBB111_1400
.LBB111_1398:
	s_mov_b32 s31, -1
                                        ; implicit-def: $vgpr10
	s_branch .LBB111_1403
.LBB111_1399:
	s_mov_b32 s31, -1
                                        ; implicit-def: $vgpr10
.LBB111_1400:
	s_delay_alu instid0(SALU_CYCLE_1)
	s_and_not1_b32 vcc_lo, exec_lo, s31
	s_cbranch_vccnz .LBB111_1402
; %bb.1401:
	global_load_b32 v1, v[6:7], off
	s_wait_loadcnt 0x0
	s_wait_xcnt 0x1
	v_cvt_i32_f32_e32 v10, v1
.LBB111_1402:
	s_mov_b32 s31, 0
.LBB111_1403:
	s_delay_alu instid0(SALU_CYCLE_1)
	s_and_not1_b32 vcc_lo, exec_lo, s31
	s_cbranch_vccnz .LBB111_1405
; %bb.1404:
	global_load_u16 v1, v[6:7], off
	s_wait_loadcnt 0x0
	s_wait_xcnt 0x1
	v_cvt_i16_f16_e32 v10, v1
.LBB111_1405:
	s_mov_b32 s31, 0
.LBB111_1406:
	s_delay_alu instid0(SALU_CYCLE_1)
	s_and_not1_b32 vcc_lo, exec_lo, s31
	s_cbranch_vccnz .LBB111_1426
; %bb.1407:
	s_cmp_lt_i32 s0, 2
	s_cbranch_scc1 .LBB111_1411
; %bb.1408:
	s_cmp_lt_i32 s0, 3
	s_cbranch_scc1 .LBB111_1412
; %bb.1409:
	s_cmp_gt_i32 s0, 3
	s_cbranch_scc0 .LBB111_1413
; %bb.1410:
	s_wait_loadcnt 0x0
	global_load_b64 v[10:11], v[6:7], off
	s_mov_b32 s31, 0
	s_branch .LBB111_1414
.LBB111_1411:
	s_mov_b32 s31, -1
                                        ; implicit-def: $vgpr10
	s_branch .LBB111_1420
.LBB111_1412:
	s_mov_b32 s31, -1
                                        ; implicit-def: $vgpr10
	s_branch .LBB111_1417
.LBB111_1413:
	s_mov_b32 s31, -1
                                        ; implicit-def: $vgpr10
.LBB111_1414:
	s_delay_alu instid0(SALU_CYCLE_1)
	s_and_not1_b32 vcc_lo, exec_lo, s31
	s_cbranch_vccnz .LBB111_1416
; %bb.1415:
	s_wait_loadcnt 0x0
	global_load_b32 v10, v[6:7], off
.LBB111_1416:
	s_mov_b32 s31, 0
.LBB111_1417:
	s_delay_alu instid0(SALU_CYCLE_1)
	s_and_not1_b32 vcc_lo, exec_lo, s31
	s_cbranch_vccnz .LBB111_1419
; %bb.1418:
	s_wait_loadcnt 0x0
	global_load_u16 v10, v[6:7], off
.LBB111_1419:
	s_mov_b32 s31, 0
.LBB111_1420:
	s_delay_alu instid0(SALU_CYCLE_1)
	s_and_not1_b32 vcc_lo, exec_lo, s31
	s_cbranch_vccnz .LBB111_1426
; %bb.1421:
	s_cmp_gt_i32 s0, 0
	s_mov_b32 s0, 0
	s_cbranch_scc0 .LBB111_1423
; %bb.1422:
	s_wait_loadcnt 0x0
	global_load_u8 v10, v[6:7], off
	s_branch .LBB111_1424
.LBB111_1423:
	s_mov_b32 s0, -1
                                        ; implicit-def: $vgpr10
.LBB111_1424:
	s_delay_alu instid0(SALU_CYCLE_1)
	s_and_not1_b32 vcc_lo, exec_lo, s0
	s_cbranch_vccnz .LBB111_1426
; %bb.1425:
	s_wait_loadcnt 0x0
	global_load_u8 v10, v[6:7], off
.LBB111_1426:
	s_mov_b32 s31, -1
.LBB111_1427:
	s_delay_alu instid0(SALU_CYCLE_1)
	s_and_not1_b32 vcc_lo, exec_lo, s31
	s_cbranch_vccnz .LBB111_1435
; %bb.1428:
	s_wait_loadcnt 0x0
	s_delay_alu instid0(VALU_DEP_3) | instskip(SKIP_2) | instid1(VALU_DEP_4)
	v_bfe_i32 v1, v8, 0, 8
	v_bfe_i32 v4, v4, 0, 8
	v_mov_b32_e32 v3, 0
	v_bfe_i32 v5, v10, 0, 8
	s_and_b32 s31, s38, 0xff
	s_delay_alu instid0(VALU_DEP_3) | instskip(NEXT) | instid1(VALU_DEP_3)
	v_max_i16 v1, v4, v1
	v_add_nc_u64_e32 v[2:3], s[4:5], v[2:3]
	s_cmp_lt_i32 s31, 11
	s_delay_alu instid0(VALU_DEP_2)
	v_min_i16 v1, v1, v5
	s_cbranch_scc1 .LBB111_1436
; %bb.1429:
	s_and_b32 s56, 0xffff, s31
	s_delay_alu instid0(SALU_CYCLE_1)
	s_cmp_gt_i32 s56, 25
	s_cbranch_scc0 .LBB111_1437
; %bb.1430:
	s_cmp_gt_i32 s56, 28
	s_cbranch_scc0 .LBB111_1438
; %bb.1431:
	s_cmp_gt_i32 s56, 43
	s_cbranch_scc0 .LBB111_1439
; %bb.1432:
	s_cmp_gt_i32 s56, 45
	s_cbranch_scc0 .LBB111_1440
; %bb.1433:
	s_mov_b32 s58, 0
	s_mov_b32 s0, -1
	s_cmp_eq_u32 s56, 46
	s_mov_b32 s57, 0
	s_cbranch_scc0 .LBB111_1441
; %bb.1434:
	v_bfe_i32 v4, v1, 0, 16
	s_mov_b32 s57, -1
	s_mov_b32 s0, 0
	s_delay_alu instid0(VALU_DEP_1) | instskip(NEXT) | instid1(VALU_DEP_1)
	v_cvt_f32_i32_e32 v4, v4
	v_bfe_u32 v5, v4, 16, 1
	s_delay_alu instid0(VALU_DEP_1) | instskip(NEXT) | instid1(VALU_DEP_1)
	v_add3_u32 v4, v4, v5, 0x7fff
	v_lshrrev_b32_e32 v4, 16, v4
	global_store_b32 v[2:3], v4, off
	s_branch .LBB111_1441
.LBB111_1435:
	s_mov_b32 s31, 0
	s_mov_b32 s0, s51
	s_branch .LBB111_1552
.LBB111_1436:
	s_mov_b32 s56, -1
	s_mov_b32 s57, 0
	s_mov_b32 s0, s51
	s_branch .LBB111_1510
.LBB111_1437:
	s_mov_b32 s58, -1
	s_mov_b32 s57, 0
	s_mov_b32 s0, s51
	s_branch .LBB111_1468
.LBB111_1438:
	s_mov_b32 s58, -1
	s_mov_b32 s57, 0
	s_mov_b32 s0, s51
	s_branch .LBB111_1451
.LBB111_1439:
	s_mov_b32 s58, -1
	s_mov_b32 s57, 0
	s_mov_b32 s0, s51
	s_branch .LBB111_1447
.LBB111_1440:
	s_mov_b32 s58, -1
	s_mov_b32 s57, 0
	s_mov_b32 s0, s51
.LBB111_1441:
	s_and_b32 vcc_lo, exec_lo, s58
	s_cbranch_vccz .LBB111_1446
; %bb.1442:
	s_cmp_eq_u32 s56, 44
	s_mov_b32 s0, -1
	s_cbranch_scc0 .LBB111_1446
; %bb.1443:
	s_wait_xcnt 0x0
	v_bfe_i32 v4, v1, 0, 16
	v_mov_b32_e32 v5, 0xff
	s_mov_b32 s57, exec_lo
	s_delay_alu instid0(VALU_DEP_2) | instskip(NEXT) | instid1(VALU_DEP_1)
	v_cvt_f32_i32_e32 v4, v4
	v_bfe_u32 v6, v4, 23, 8
	s_delay_alu instid0(VALU_DEP_1)
	v_cmpx_ne_u32_e32 0xff, v6
	s_cbranch_execz .LBB111_1445
; %bb.1444:
	v_and_b32_e32 v5, 0x400000, v4
	v_and_or_b32 v6, 0x3fffff, v4, v6
	v_lshrrev_b32_e32 v4, 23, v4
	s_delay_alu instid0(VALU_DEP_3) | instskip(NEXT) | instid1(VALU_DEP_3)
	v_cmp_ne_u32_e32 vcc_lo, 0, v5
	v_cmp_ne_u32_e64 s0, 0, v6
	s_and_b32 s0, vcc_lo, s0
	s_delay_alu instid0(SALU_CYCLE_1) | instskip(NEXT) | instid1(VALU_DEP_1)
	v_cndmask_b32_e64 v5, 0, 1, s0
	v_add_nc_u32_e32 v5, v4, v5
.LBB111_1445:
	s_or_b32 exec_lo, exec_lo, s57
	s_mov_b32 s57, -1
	s_mov_b32 s0, 0
	global_store_b8 v[2:3], v5, off
.LBB111_1446:
	s_mov_b32 s58, 0
.LBB111_1447:
	s_delay_alu instid0(SALU_CYCLE_1)
	s_and_b32 vcc_lo, exec_lo, s58
	s_cbranch_vccz .LBB111_1450
; %bb.1448:
	s_cmp_eq_u32 s56, 29
	s_mov_b32 s0, -1
	s_cbranch_scc0 .LBB111_1450
; %bb.1449:
	s_wait_xcnt 0x0
	v_bfe_i32 v4, v1, 0, 16
	s_mov_b32 s0, 0
	s_mov_b32 s57, -1
	s_mov_b32 s58, 0
	s_delay_alu instid0(VALU_DEP_1)
	v_ashrrev_i32_e32 v5, 31, v4
	global_store_b64 v[2:3], v[4:5], off
	s_branch .LBB111_1451
.LBB111_1450:
	s_mov_b32 s58, 0
.LBB111_1451:
	s_delay_alu instid0(SALU_CYCLE_1)
	s_and_b32 vcc_lo, exec_lo, s58
	s_cbranch_vccz .LBB111_1467
; %bb.1452:
	s_cmp_lt_i32 s56, 27
	s_mov_b32 s57, -1
	s_cbranch_scc1 .LBB111_1458
; %bb.1453:
	s_cmp_gt_i32 s56, 27
	s_cbranch_scc0 .LBB111_1455
; %bb.1454:
	s_wait_xcnt 0x0
	v_bfe_i32 v4, v1, 0, 16
	s_mov_b32 s57, 0
	global_store_b32 v[2:3], v4, off
.LBB111_1455:
	s_and_not1_b32 vcc_lo, exec_lo, s57
	s_cbranch_vccnz .LBB111_1457
; %bb.1456:
	global_store_b16 v[2:3], v1, off
.LBB111_1457:
	s_mov_b32 s57, 0
.LBB111_1458:
	s_delay_alu instid0(SALU_CYCLE_1)
	s_and_not1_b32 vcc_lo, exec_lo, s57
	s_cbranch_vccnz .LBB111_1466
; %bb.1459:
	s_wait_xcnt 0x0
	v_bfe_i32 v4, v1, 0, 16
	v_mov_b32_e32 v6, 0x80
	s_mov_b32 s57, exec_lo
	s_delay_alu instid0(VALU_DEP_2) | instskip(NEXT) | instid1(VALU_DEP_1)
	v_cvt_f32_i32_e32 v4, v4
	v_and_b32_e32 v5, 0x7fffffff, v4
	s_delay_alu instid0(VALU_DEP_1)
	v_cmpx_gt_u32_e32 0x43800000, v5
	s_cbranch_execz .LBB111_1465
; %bb.1460:
	v_cmp_lt_u32_e32 vcc_lo, 0x3bffffff, v5
	s_mov_b32 s58, 0
                                        ; implicit-def: $vgpr5
	s_and_saveexec_b32 s59, vcc_lo
	s_delay_alu instid0(SALU_CYCLE_1)
	s_xor_b32 s59, exec_lo, s59
	s_cbranch_execz .LBB111_2745
; %bb.1461:
	v_bfe_u32 v5, v4, 20, 1
	s_mov_b32 s58, exec_lo
	s_delay_alu instid0(VALU_DEP_1) | instskip(NEXT) | instid1(VALU_DEP_1)
	v_add3_u32 v5, v4, v5, 0x487ffff
	v_lshrrev_b32_e32 v5, 20, v5
	s_and_not1_saveexec_b32 s59, s59
	s_cbranch_execnz .LBB111_2746
.LBB111_1462:
	s_or_b32 exec_lo, exec_lo, s59
	v_mov_b32_e32 v6, 0
	s_and_saveexec_b32 s59, s58
.LBB111_1463:
	v_lshrrev_b32_e32 v4, 24, v4
	s_delay_alu instid0(VALU_DEP_1)
	v_and_or_b32 v6, 0x80, v4, v5
.LBB111_1464:
	s_or_b32 exec_lo, exec_lo, s59
.LBB111_1465:
	s_delay_alu instid0(SALU_CYCLE_1)
	s_or_b32 exec_lo, exec_lo, s57
	global_store_b8 v[2:3], v6, off
.LBB111_1466:
	s_mov_b32 s57, -1
.LBB111_1467:
	s_mov_b32 s58, 0
.LBB111_1468:
	s_delay_alu instid0(SALU_CYCLE_1)
	s_and_b32 vcc_lo, exec_lo, s58
	s_cbranch_vccz .LBB111_1509
; %bb.1469:
	s_cmp_gt_i32 s56, 22
	s_mov_b32 s58, -1
	s_cbranch_scc0 .LBB111_1501
; %bb.1470:
	s_cmp_lt_i32 s56, 24
	s_mov_b32 s57, -1
	s_cbranch_scc1 .LBB111_1490
; %bb.1471:
	s_cmp_gt_i32 s56, 24
	s_cbranch_scc0 .LBB111_1479
; %bb.1472:
	s_wait_xcnt 0x0
	v_bfe_i32 v4, v1, 0, 16
	v_mov_b32_e32 v6, 0x80
	s_mov_b32 s57, exec_lo
	s_delay_alu instid0(VALU_DEP_2) | instskip(NEXT) | instid1(VALU_DEP_1)
	v_cvt_f32_i32_e32 v4, v4
	v_and_b32_e32 v5, 0x7fffffff, v4
	s_delay_alu instid0(VALU_DEP_1)
	v_cmpx_gt_u32_e32 0x47800000, v5
	s_cbranch_execz .LBB111_1478
; %bb.1473:
	v_cmp_lt_u32_e32 vcc_lo, 0x37ffffff, v5
	s_mov_b32 s58, 0
                                        ; implicit-def: $vgpr5
	s_and_saveexec_b32 s59, vcc_lo
	s_delay_alu instid0(SALU_CYCLE_1)
	s_xor_b32 s59, exec_lo, s59
	s_cbranch_execz .LBB111_2874
; %bb.1474:
	v_bfe_u32 v5, v4, 21, 1
	s_mov_b32 s58, exec_lo
	s_delay_alu instid0(VALU_DEP_1) | instskip(NEXT) | instid1(VALU_DEP_1)
	v_add3_u32 v5, v4, v5, 0x88fffff
	v_lshrrev_b32_e32 v5, 21, v5
	s_and_not1_saveexec_b32 s59, s59
	s_cbranch_execnz .LBB111_2875
.LBB111_1475:
	s_or_b32 exec_lo, exec_lo, s59
	v_mov_b32_e32 v6, 0
	s_and_saveexec_b32 s59, s58
.LBB111_1476:
	v_lshrrev_b32_e32 v4, 24, v4
	s_delay_alu instid0(VALU_DEP_1)
	v_and_or_b32 v6, 0x80, v4, v5
.LBB111_1477:
	s_or_b32 exec_lo, exec_lo, s59
.LBB111_1478:
	s_delay_alu instid0(SALU_CYCLE_1)
	s_or_b32 exec_lo, exec_lo, s57
	s_mov_b32 s57, 0
	global_store_b8 v[2:3], v6, off
.LBB111_1479:
	s_and_b32 vcc_lo, exec_lo, s57
	s_cbranch_vccz .LBB111_1489
; %bb.1480:
	s_wait_xcnt 0x0
	v_bfe_i32 v4, v1, 0, 16
	s_mov_b32 s57, exec_lo
                                        ; implicit-def: $vgpr5
	s_delay_alu instid0(VALU_DEP_1) | instskip(NEXT) | instid1(VALU_DEP_1)
	v_cvt_f32_i32_e32 v4, v4
	v_and_b32_e32 v6, 0x7fffffff, v4
	s_delay_alu instid0(VALU_DEP_1)
	v_cmpx_gt_u32_e32 0x43f00000, v6
	s_xor_b32 s57, exec_lo, s57
	s_cbranch_execz .LBB111_1486
; %bb.1481:
	s_mov_b32 s58, exec_lo
                                        ; implicit-def: $vgpr5
	v_cmpx_lt_u32_e32 0x3c7fffff, v6
	s_xor_b32 s58, exec_lo, s58
; %bb.1482:
	v_bfe_u32 v5, v4, 20, 1
	s_delay_alu instid0(VALU_DEP_1) | instskip(NEXT) | instid1(VALU_DEP_1)
	v_add3_u32 v5, v4, v5, 0x407ffff
	v_and_b32_e32 v6, 0xff00000, v5
	v_lshrrev_b32_e32 v5, 20, v5
	s_delay_alu instid0(VALU_DEP_2) | instskip(NEXT) | instid1(VALU_DEP_2)
	v_cmp_ne_u32_e32 vcc_lo, 0x7f00000, v6
	v_cndmask_b32_e32 v5, 0x7e, v5, vcc_lo
; %bb.1483:
	s_and_not1_saveexec_b32 s58, s58
; %bb.1484:
	v_add_f32_e64 v5, 0x46800000, |v4|
; %bb.1485:
	s_or_b32 exec_lo, exec_lo, s58
                                        ; implicit-def: $vgpr6
.LBB111_1486:
	s_and_not1_saveexec_b32 s57, s57
; %bb.1487:
	v_mov_b32_e32 v5, 0x7f
	v_cmp_lt_u32_e32 vcc_lo, 0x7f800000, v6
	s_delay_alu instid0(VALU_DEP_2)
	v_cndmask_b32_e32 v5, 0x7e, v5, vcc_lo
; %bb.1488:
	s_or_b32 exec_lo, exec_lo, s57
	v_lshrrev_b32_e32 v4, 24, v4
	s_delay_alu instid0(VALU_DEP_1)
	v_and_or_b32 v4, 0x80, v4, v5
	global_store_b8 v[2:3], v4, off
.LBB111_1489:
	s_mov_b32 s57, 0
.LBB111_1490:
	s_delay_alu instid0(SALU_CYCLE_1)
	s_and_not1_b32 vcc_lo, exec_lo, s57
	s_cbranch_vccnz .LBB111_1500
; %bb.1491:
	s_wait_xcnt 0x0
	v_bfe_i32 v4, v1, 0, 16
	s_mov_b32 s57, exec_lo
                                        ; implicit-def: $vgpr5
	s_delay_alu instid0(VALU_DEP_1) | instskip(NEXT) | instid1(VALU_DEP_1)
	v_cvt_f32_i32_e32 v4, v4
	v_and_b32_e32 v6, 0x7fffffff, v4
	s_delay_alu instid0(VALU_DEP_1)
	v_cmpx_gt_u32_e32 0x47800000, v6
	s_xor_b32 s57, exec_lo, s57
	s_cbranch_execz .LBB111_1497
; %bb.1492:
	s_mov_b32 s58, exec_lo
                                        ; implicit-def: $vgpr5
	v_cmpx_lt_u32_e32 0x387fffff, v6
	s_xor_b32 s58, exec_lo, s58
; %bb.1493:
	v_bfe_u32 v5, v4, 21, 1
	s_delay_alu instid0(VALU_DEP_1) | instskip(NEXT) | instid1(VALU_DEP_1)
	v_add3_u32 v5, v4, v5, 0x80fffff
	v_lshrrev_b32_e32 v5, 21, v5
; %bb.1494:
	s_and_not1_saveexec_b32 s58, s58
; %bb.1495:
	v_add_f32_e64 v5, 0x43000000, |v4|
; %bb.1496:
	s_or_b32 exec_lo, exec_lo, s58
                                        ; implicit-def: $vgpr6
.LBB111_1497:
	s_and_not1_saveexec_b32 s57, s57
; %bb.1498:
	v_mov_b32_e32 v5, 0x7f
	v_cmp_lt_u32_e32 vcc_lo, 0x7f800000, v6
	s_delay_alu instid0(VALU_DEP_2)
	v_cndmask_b32_e32 v5, 0x7c, v5, vcc_lo
; %bb.1499:
	s_or_b32 exec_lo, exec_lo, s57
	v_lshrrev_b32_e32 v4, 24, v4
	s_delay_alu instid0(VALU_DEP_1)
	v_and_or_b32 v4, 0x80, v4, v5
	global_store_b8 v[2:3], v4, off
.LBB111_1500:
	s_mov_b32 s58, 0
	s_mov_b32 s57, -1
.LBB111_1501:
	s_and_not1_b32 vcc_lo, exec_lo, s58
	s_cbranch_vccnz .LBB111_1509
; %bb.1502:
	s_cmp_gt_i32 s56, 14
	s_mov_b32 s58, -1
	s_cbranch_scc0 .LBB111_1506
; %bb.1503:
	s_cmp_eq_u32 s56, 15
	s_mov_b32 s0, -1
	s_cbranch_scc0 .LBB111_1505
; %bb.1504:
	s_wait_xcnt 0x0
	v_bfe_i32 v4, v1, 0, 16
	s_mov_b32 s57, -1
	s_mov_b32 s0, 0
	s_delay_alu instid0(VALU_DEP_1) | instskip(NEXT) | instid1(VALU_DEP_1)
	v_cvt_f32_i32_e32 v4, v4
	v_bfe_u32 v5, v4, 16, 1
	s_delay_alu instid0(VALU_DEP_1)
	v_add3_u32 v4, v4, v5, 0x7fff
	global_store_d16_hi_b16 v[2:3], v4, off
.LBB111_1505:
	s_mov_b32 s58, 0
.LBB111_1506:
	s_delay_alu instid0(SALU_CYCLE_1)
	s_and_b32 vcc_lo, exec_lo, s58
	s_cbranch_vccz .LBB111_1509
; %bb.1507:
	s_cmp_eq_u32 s56, 11
	s_mov_b32 s0, -1
	s_cbranch_scc0 .LBB111_1509
; %bb.1508:
	v_cmp_ne_u16_e32 vcc_lo, 0, v1
	s_mov_b32 s0, 0
	s_mov_b32 s57, -1
	s_wait_xcnt 0x0
	v_cndmask_b32_e64 v4, 0, 1, vcc_lo
	global_store_b8 v[2:3], v4, off
.LBB111_1509:
	s_mov_b32 s56, 0
.LBB111_1510:
	s_delay_alu instid0(SALU_CYCLE_1)
	s_and_b32 vcc_lo, exec_lo, s56
	s_cbranch_vccz .LBB111_1549
; %bb.1511:
	s_and_b32 s31, 0xffff, s31
	s_mov_b32 s56, -1
	s_cmp_lt_i32 s31, 5
	s_cbranch_scc1 .LBB111_1532
; %bb.1512:
	s_cmp_lt_i32 s31, 8
	s_cbranch_scc1 .LBB111_1522
; %bb.1513:
	;; [unrolled: 3-line block ×3, first 2 shown]
	s_cmp_gt_i32 s31, 9
	s_cbranch_scc0 .LBB111_1516
; %bb.1515:
	s_wait_xcnt 0x0
	v_bfe_i32 v4, v1, 0, 16
	v_mov_b32_e32 v6, 0
	s_mov_b32 s56, 0
	s_delay_alu instid0(VALU_DEP_2) | instskip(NEXT) | instid1(VALU_DEP_2)
	v_cvt_f64_i32_e32 v[4:5], v4
	v_mov_b32_e32 v7, v6
	global_store_b128 v[2:3], v[4:7], off
.LBB111_1516:
	s_and_not1_b32 vcc_lo, exec_lo, s56
	s_cbranch_vccnz .LBB111_1518
; %bb.1517:
	s_wait_xcnt 0x0
	v_bfe_i32 v4, v1, 0, 16
	v_mov_b32_e32 v5, 0
	s_delay_alu instid0(VALU_DEP_2)
	v_cvt_f32_i32_e32 v4, v4
	global_store_b64 v[2:3], v[4:5], off
.LBB111_1518:
	s_mov_b32 s56, 0
.LBB111_1519:
	s_delay_alu instid0(SALU_CYCLE_1)
	s_and_not1_b32 vcc_lo, exec_lo, s56
	s_cbranch_vccnz .LBB111_1521
; %bb.1520:
	s_wait_xcnt 0x0
	v_cvt_f16_i16_e32 v4, v1
	s_delay_alu instid0(VALU_DEP_1)
	v_and_b32_e32 v4, 0xffff, v4
	global_store_b32 v[2:3], v4, off
.LBB111_1521:
	s_mov_b32 s56, 0
.LBB111_1522:
	s_delay_alu instid0(SALU_CYCLE_1)
	s_and_not1_b32 vcc_lo, exec_lo, s56
	s_cbranch_vccnz .LBB111_1531
; %bb.1523:
	s_cmp_lt_i32 s31, 6
	s_mov_b32 s56, -1
	s_cbranch_scc1 .LBB111_1529
; %bb.1524:
	s_cmp_gt_i32 s31, 6
	s_cbranch_scc0 .LBB111_1526
; %bb.1525:
	s_wait_xcnt 0x0
	v_bfe_i32 v4, v1, 0, 16
	s_mov_b32 s56, 0
	s_delay_alu instid0(VALU_DEP_1)
	v_cvt_f64_i32_e32 v[4:5], v4
	global_store_b64 v[2:3], v[4:5], off
.LBB111_1526:
	s_and_not1_b32 vcc_lo, exec_lo, s56
	s_cbranch_vccnz .LBB111_1528
; %bb.1527:
	s_wait_xcnt 0x0
	v_bfe_i32 v4, v1, 0, 16
	s_delay_alu instid0(VALU_DEP_1)
	v_cvt_f32_i32_e32 v4, v4
	global_store_b32 v[2:3], v4, off
.LBB111_1528:
	s_mov_b32 s56, 0
.LBB111_1529:
	s_delay_alu instid0(SALU_CYCLE_1)
	s_and_not1_b32 vcc_lo, exec_lo, s56
	s_cbranch_vccnz .LBB111_1531
; %bb.1530:
	s_wait_xcnt 0x0
	v_cvt_f16_i16_e32 v4, v1
	global_store_b16 v[2:3], v4, off
.LBB111_1531:
	s_mov_b32 s56, 0
.LBB111_1532:
	s_delay_alu instid0(SALU_CYCLE_1)
	s_and_not1_b32 vcc_lo, exec_lo, s56
	s_cbranch_vccnz .LBB111_1548
; %bb.1533:
	s_cmp_lt_i32 s31, 2
	s_mov_b32 s56, -1
	s_cbranch_scc1 .LBB111_1543
; %bb.1534:
	s_cmp_lt_i32 s31, 3
	s_cbranch_scc1 .LBB111_1540
; %bb.1535:
	s_cmp_gt_i32 s31, 3
	s_cbranch_scc0 .LBB111_1537
; %bb.1536:
	s_wait_xcnt 0x0
	v_bfe_i32 v4, v1, 0, 16
	s_mov_b32 s56, 0
	s_delay_alu instid0(VALU_DEP_1)
	v_ashrrev_i32_e32 v5, 31, v4
	global_store_b64 v[2:3], v[4:5], off
.LBB111_1537:
	s_and_not1_b32 vcc_lo, exec_lo, s56
	s_cbranch_vccnz .LBB111_1539
; %bb.1538:
	s_wait_xcnt 0x0
	v_bfe_i32 v4, v1, 0, 16
	global_store_b32 v[2:3], v4, off
.LBB111_1539:
	s_mov_b32 s56, 0
.LBB111_1540:
	s_delay_alu instid0(SALU_CYCLE_1)
	s_and_not1_b32 vcc_lo, exec_lo, s56
	s_cbranch_vccnz .LBB111_1542
; %bb.1541:
	global_store_b16 v[2:3], v1, off
.LBB111_1542:
	s_mov_b32 s56, 0
.LBB111_1543:
	s_delay_alu instid0(SALU_CYCLE_1)
	s_and_not1_b32 vcc_lo, exec_lo, s56
	s_cbranch_vccnz .LBB111_1548
; %bb.1544:
	s_cmp_gt_i32 s31, 0
	s_mov_b32 s31, -1
	s_cbranch_scc0 .LBB111_1546
; %bb.1545:
	s_mov_b32 s31, 0
	global_store_b8 v[2:3], v1, off
.LBB111_1546:
	s_and_not1_b32 vcc_lo, exec_lo, s31
	s_cbranch_vccnz .LBB111_1548
; %bb.1547:
	global_store_b8 v[2:3], v1, off
.LBB111_1548:
	s_mov_b32 s57, -1
.LBB111_1549:
	s_delay_alu instid0(SALU_CYCLE_1)
	s_and_not1_b32 vcc_lo, exec_lo, s57
	s_cbranch_vccnz .LBB111_1551
; %bb.1550:
	v_add_nc_u32_e32 v0, 0x80, v0
	s_mov_b32 s31, -1
	s_branch .LBB111_1553
.LBB111_1551:
	s_mov_b32 s31, 0
.LBB111_1552:
                                        ; implicit-def: $vgpr0
.LBB111_1553:
	s_and_not1_b32 s56, s51, exec_lo
	s_and_b32 s0, s0, exec_lo
	s_and_not1_b32 s57, s52, exec_lo
	s_and_b32 s30, s30, exec_lo
	s_or_b32 s59, s56, s0
	s_or_b32 s57, s57, s30
	s_and_not1_b32 s0, s53, exec_lo
	s_and_b32 s29, s29, exec_lo
	s_and_not1_b32 s30, s50, exec_lo
	s_and_b32 s28, s28, exec_lo
	s_or_b32 s58, s0, s29
	s_or_b32 s56, s30, s28
	s_or_not1_b32 s31, s31, exec_lo
.LBB111_1554:
	s_wait_xcnt 0x0
	s_or_b32 exec_lo, exec_lo, s55
	s_mov_b32 s29, 0
	s_mov_b32 s30, 0
	s_mov_b32 s28, 0
                                        ; implicit-def: $sgpr0
                                        ; implicit-def: $vgpr10_vgpr11
                                        ; implicit-def: $vgpr2
                                        ; implicit-def: $vgpr6
                                        ; implicit-def: $vgpr8
                                        ; implicit-def: $vgpr4
	s_and_saveexec_b32 s55, s31
	s_cbranch_execz .LBB111_1643
; %bb.1555:
	v_cmp_gt_i32_e32 vcc_lo, s44, v0
	s_mov_b32 s31, s56
                                        ; implicit-def: $sgpr0
                                        ; implicit-def: $vgpr10_vgpr11
                                        ; implicit-def: $vgpr2
                                        ; implicit-def: $vgpr6
                                        ; implicit-def: $vgpr8
                                        ; implicit-def: $vgpr4
	s_and_saveexec_b32 s44, vcc_lo
	s_cbranch_execz .LBB111_1642
; %bb.1556:
	s_and_not1_b32 vcc_lo, exec_lo, s36
	s_cbranch_vccnz .LBB111_1562
; %bb.1557:
	s_and_not1_b32 vcc_lo, exec_lo, s45
	s_cbranch_vccnz .LBB111_1563
; %bb.1558:
	s_wait_loadcnt 0x0
	v_dual_mov_b32 v8, 0 :: v_dual_mov_b32 v1, v0
	v_dual_mov_b32 v6, 0 :: v_dual_mov_b32 v2, 0
	v_mov_b32_e32 v4, 0
	s_add_co_i32 s0, s43, 1
	s_mov_b64 s[28:29], 0xffffffffffffffe0
	s_and_b32 s0, s0, 30
	s_add_nc_u64 s[28:29], s[2:3], s[28:29]
	s_mov_b64 s[30:31], s[2:3]
.LBB111_1559:                           ; =>This Inner Loop Header: Depth=1
	s_clause 0x1
	s_load_b128 s[68:71], s[30:31], 0x4
	s_load_b64 s[72:73], s[30:31], 0x14
	s_load_b256 s[60:67], s[28:29], 0xe4
	s_add_co_i32 s0, s0, -2
	s_wait_xcnt 0x0
	s_add_nc_u64 s[30:31], s[30:31], 24
	s_cmp_eq_u32 s0, 0
	s_add_nc_u64 s[28:29], s[28:29], 32
	s_wait_kmcnt 0x0
	v_mul_hi_u32 v3, s69, v1
	s_delay_alu instid0(VALU_DEP_1) | instskip(NEXT) | instid1(VALU_DEP_1)
	v_add_nc_u32_e32 v3, v1, v3
	v_lshrrev_b32_e32 v3, s70, v3
	s_delay_alu instid0(VALU_DEP_1) | instskip(SKIP_1) | instid1(VALU_DEP_1)
	v_mul_hi_u32 v5, s72, v3
	v_mul_lo_u32 v7, v3, s68
	v_dual_add_nc_u32 v5, v3, v5 :: v_dual_sub_nc_u32 v7, v1, v7
	s_delay_alu instid0(VALU_DEP_1) | instskip(NEXT) | instid1(VALU_DEP_2)
	v_lshrrev_b32_e32 v1, s73, v5
	v_mad_u32 v4, v7, s61, v4
	v_mad_u32 v2, v7, s60, v2
	;; [unrolled: 1-line block ×4, first 2 shown]
	v_mul_lo_u32 v5, v1, s71
	s_delay_alu instid0(VALU_DEP_1) | instskip(NEXT) | instid1(VALU_DEP_1)
	v_sub_nc_u32_e32 v3, v3, v5
	v_mad_u32 v4, v3, s65, v4
	v_mad_u32 v2, v3, s64, v2
	;; [unrolled: 1-line block ×4, first 2 shown]
	s_cbranch_scc0 .LBB111_1559
; %bb.1560:
	s_bitcmp1_b32 s43, 0
	s_cselect_b32 s0, -1, 0
	s_delay_alu instid0(SALU_CYCLE_1)
	s_and_b32 vcc_lo, exec_lo, s0
	s_cbranch_vccnz .LBB111_1564
; %bb.1561:
	s_load_b96 s[64:66], s[30:31], 0x4
	s_load_b128 s[60:63], s[28:29], 0xe4
	s_wait_kmcnt 0x0
	v_mul_hi_u32 v3, s65, v1
	s_delay_alu instid0(VALU_DEP_1) | instskip(NEXT) | instid1(VALU_DEP_1)
	v_add_nc_u32_e32 v3, v1, v3
	v_lshrrev_b32_e32 v3, s66, v3
	s_delay_alu instid0(VALU_DEP_1) | instskip(NEXT) | instid1(VALU_DEP_1)
	v_mul_lo_u32 v3, v3, s64
	v_sub_nc_u32_e32 v1, v1, v3
	s_delay_alu instid0(VALU_DEP_1)
	v_mad_u32 v2, v1, s60, v2
	v_mad_u32 v4, v1, s61, v4
	;; [unrolled: 1-line block ×4, first 2 shown]
	s_branch .LBB111_1564
.LBB111_1562:
	s_mov_b32 s0, -1
                                        ; implicit-def: $vgpr4
                                        ; implicit-def: $vgpr2
                                        ; implicit-def: $vgpr6
                                        ; implicit-def: $vgpr8
	s_branch .LBB111_1565
.LBB111_1563:
	s_wait_loadcnt 0x0
	v_dual_mov_b32 v4, 0 :: v_dual_mov_b32 v2, 0
	v_dual_mov_b32 v6, 0 :: v_dual_mov_b32 v8, 0
.LBB111_1564:
	s_mov_b32 s0, 0
.LBB111_1565:
	s_delay_alu instid0(SALU_CYCLE_1)
	s_and_not1_b32 vcc_lo, exec_lo, s0
	s_cbranch_vccnz .LBB111_1568
; %bb.1566:
	v_mov_b32_e32 v1, 0
	s_and_not1_b32 vcc_lo, exec_lo, s41
	s_delay_alu instid0(VALU_DEP_1) | instskip(NEXT) | instid1(VALU_DEP_1)
	v_mul_u64_e32 v[2:3], s[24:25], v[0:1]
	v_add_nc_u32_e32 v2, v0, v3
	s_wait_loadcnt 0x0
	s_delay_alu instid0(VALU_DEP_1) | instskip(NEXT) | instid1(VALU_DEP_1)
	v_lshrrev_b32_e32 v10, s22, v2
	v_mul_lo_u32 v2, v10, s20
	s_delay_alu instid0(VALU_DEP_1) | instskip(NEXT) | instid1(VALU_DEP_1)
	v_sub_nc_u32_e32 v0, v0, v2
	v_mul_lo_u32 v4, v0, s13
	v_mul_lo_u32 v2, v0, s12
	;; [unrolled: 1-line block ×4, first 2 shown]
	s_cbranch_vccnz .LBB111_1568
; %bb.1567:
	v_mov_b32_e32 v11, v1
	s_delay_alu instid0(VALU_DEP_1) | instskip(NEXT) | instid1(VALU_DEP_1)
	v_mul_u64_e32 v[0:1], s[26:27], v[10:11]
	v_add_nc_u32_e32 v0, v10, v1
	s_delay_alu instid0(VALU_DEP_1) | instskip(NEXT) | instid1(VALU_DEP_1)
	v_lshrrev_b32_e32 v0, s1, v0
	v_mul_lo_u32 v0, v0, s23
	s_delay_alu instid0(VALU_DEP_1) | instskip(NEXT) | instid1(VALU_DEP_1)
	v_sub_nc_u32_e32 v0, v10, v0
	v_mad_u32 v2, v0, s16, v2
	v_mad_u32 v4, v0, s17, v4
	;; [unrolled: 1-line block ×4, first 2 shown]
.LBB111_1568:
	s_wait_loadcnt 0x0
	v_mov_b32_e32 v5, 0
	s_and_b32 s0, s40, 0xff
	s_delay_alu instid0(SALU_CYCLE_1) | instskip(NEXT) | instid1(VALU_DEP_1)
	s_cmp_lt_i32 s0, 11
	v_add_nc_u64_e32 v[10:11], s[6:7], v[4:5]
	s_cbranch_scc1 .LBB111_1575
; %bb.1569:
	s_and_b32 s1, 0xffff, s0
	s_mov_b32 s7, 0
	s_cmp_gt_i32 s1, 25
	s_cbranch_scc0 .LBB111_1576
; %bb.1570:
	s_cmp_gt_i32 s1, 28
	s_cbranch_scc0 .LBB111_1577
; %bb.1571:
	;; [unrolled: 3-line block ×4, first 2 shown]
	s_cmp_eq_u32 s1, 46
	s_mov_b32 s13, 0
	s_cbranch_scc0 .LBB111_1580
; %bb.1574:
	global_load_b32 v0, v[10:11], off
	s_mov_b32 s6, 0
	s_mov_b32 s12, -1
	s_wait_loadcnt 0x0
	v_lshlrev_b32_e32 v0, 16, v0
	s_delay_alu instid0(VALU_DEP_1)
	v_cvt_i32_f32_e32 v4, v0
	s_branch .LBB111_1582
.LBB111_1575:
	s_mov_b32 s1, -1
	s_mov_b32 s12, 0
	s_mov_b32 s7, 0
	;; [unrolled: 1-line block ×3, first 2 shown]
                                        ; implicit-def: $vgpr4
	s_branch .LBB111_1641
.LBB111_1576:
	s_mov_b32 s13, -1
	s_mov_b32 s12, 0
	s_mov_b32 s6, s56
                                        ; implicit-def: $vgpr4
	s_branch .LBB111_1609
.LBB111_1577:
	s_mov_b32 s13, -1
	s_mov_b32 s12, 0
	s_mov_b32 s6, s56
                                        ; implicit-def: $vgpr4
	s_branch .LBB111_1592
.LBB111_1578:
	s_mov_b32 s13, -1
	s_mov_b32 s12, 0
	s_mov_b32 s6, s56
                                        ; implicit-def: $vgpr4
	s_branch .LBB111_1587
.LBB111_1579:
	s_mov_b32 s13, -1
	s_mov_b32 s12, 0
	s_mov_b32 s6, s56
	s_branch .LBB111_1581
.LBB111_1580:
	s_mov_b32 s6, -1
	s_mov_b32 s12, 0
.LBB111_1581:
                                        ; implicit-def: $vgpr4
.LBB111_1582:
	s_and_b32 vcc_lo, exec_lo, s13
	s_cbranch_vccz .LBB111_1586
; %bb.1583:
	s_cmp_eq_u32 s1, 44
	s_cbranch_scc0 .LBB111_1585
; %bb.1584:
	global_load_u8 v0, v[10:11], off
	s_mov_b32 s6, 0
	s_mov_b32 s12, -1
	s_wait_loadcnt 0x0
	v_lshlrev_b32_e32 v1, 23, v0
	v_cmp_ne_u32_e32 vcc_lo, 0, v0
	s_delay_alu instid0(VALU_DEP_2) | instskip(NEXT) | instid1(VALU_DEP_1)
	v_cvt_i32_f32_e32 v1, v1
	v_cndmask_b32_e32 v4, 0, v1, vcc_lo
	s_branch .LBB111_1586
.LBB111_1585:
	s_mov_b32 s6, -1
                                        ; implicit-def: $vgpr4
.LBB111_1586:
	s_mov_b32 s13, 0
.LBB111_1587:
	s_delay_alu instid0(SALU_CYCLE_1)
	s_and_b32 vcc_lo, exec_lo, s13
	s_cbranch_vccz .LBB111_1591
; %bb.1588:
	s_cmp_eq_u32 s1, 29
	s_cbranch_scc0 .LBB111_1590
; %bb.1589:
	global_load_b64 v[4:5], v[10:11], off
	s_mov_b32 s6, 0
	s_mov_b32 s12, -1
	s_branch .LBB111_1591
.LBB111_1590:
	s_mov_b32 s6, -1
                                        ; implicit-def: $vgpr4
.LBB111_1591:
	s_mov_b32 s13, 0
.LBB111_1592:
	s_delay_alu instid0(SALU_CYCLE_1)
	s_and_b32 vcc_lo, exec_lo, s13
	s_cbranch_vccz .LBB111_1608
; %bb.1593:
	s_cmp_lt_i32 s1, 27
	s_cbranch_scc1 .LBB111_1596
; %bb.1594:
	s_cmp_gt_i32 s1, 27
	s_cbranch_scc0 .LBB111_1597
; %bb.1595:
	s_wait_loadcnt 0x0
	global_load_b32 v4, v[10:11], off
	s_mov_b32 s12, 0
	s_branch .LBB111_1598
.LBB111_1596:
	s_mov_b32 s12, -1
                                        ; implicit-def: $vgpr4
	s_branch .LBB111_1601
.LBB111_1597:
	s_mov_b32 s12, -1
                                        ; implicit-def: $vgpr4
.LBB111_1598:
	s_delay_alu instid0(SALU_CYCLE_1)
	s_and_not1_b32 vcc_lo, exec_lo, s12
	s_cbranch_vccnz .LBB111_1600
; %bb.1599:
	s_wait_loadcnt 0x0
	global_load_u16 v4, v[10:11], off
.LBB111_1600:
	s_mov_b32 s12, 0
.LBB111_1601:
	s_delay_alu instid0(SALU_CYCLE_1)
	s_and_not1_b32 vcc_lo, exec_lo, s12
	s_cbranch_vccnz .LBB111_1607
; %bb.1602:
	global_load_u8 v0, v[10:11], off
	s_mov_b32 s13, 0
	s_mov_b32 s12, exec_lo
	s_wait_loadcnt 0x0
	v_cmpx_lt_i16_e32 0x7f, v0
	s_xor_b32 s12, exec_lo, s12
	s_cbranch_execz .LBB111_1619
; %bb.1603:
	v_cmp_ne_u16_e32 vcc_lo, 0x80, v0
	s_and_b32 s13, vcc_lo, exec_lo
	s_and_not1_saveexec_b32 s12, s12
	s_cbranch_execnz .LBB111_1620
.LBB111_1604:
	s_or_b32 exec_lo, exec_lo, s12
	v_mov_b32_e32 v4, 0
	s_and_saveexec_b32 s12, s13
	s_cbranch_execz .LBB111_1606
.LBB111_1605:
	v_and_b32_e32 v1, 0xffff, v0
	s_delay_alu instid0(VALU_DEP_1) | instskip(SKIP_1) | instid1(VALU_DEP_2)
	v_and_b32_e32 v3, 7, v1
	v_bfe_u32 v7, v1, 3, 4
	v_clz_i32_u32_e32 v4, v3
	s_delay_alu instid0(VALU_DEP_2) | instskip(NEXT) | instid1(VALU_DEP_2)
	v_cmp_eq_u32_e32 vcc_lo, 0, v7
	v_min_u32_e32 v4, 32, v4
	s_delay_alu instid0(VALU_DEP_1) | instskip(NEXT) | instid1(VALU_DEP_1)
	v_subrev_nc_u32_e32 v5, 28, v4
	v_dual_lshlrev_b32 v1, v5, v1 :: v_dual_sub_nc_u32 v4, 29, v4
	s_delay_alu instid0(VALU_DEP_1) | instskip(NEXT) | instid1(VALU_DEP_1)
	v_dual_lshlrev_b32 v0, 24, v0 :: v_dual_bitop2_b32 v1, 7, v1 bitop3:0x40
	v_cndmask_b32_e32 v1, v3, v1, vcc_lo
	s_delay_alu instid0(VALU_DEP_3) | instskip(NEXT) | instid1(VALU_DEP_3)
	v_cndmask_b32_e32 v4, v7, v4, vcc_lo
	v_and_b32_e32 v0, 0x80000000, v0
	s_delay_alu instid0(VALU_DEP_3) | instskip(NEXT) | instid1(VALU_DEP_3)
	v_lshlrev_b32_e32 v1, 20, v1
	v_lshl_add_u32 v3, v4, 23, 0x3b800000
	s_delay_alu instid0(VALU_DEP_1) | instskip(NEXT) | instid1(VALU_DEP_1)
	v_or3_b32 v0, v0, v3, v1
	v_cvt_i32_f32_e32 v4, v0
.LBB111_1606:
	s_or_b32 exec_lo, exec_lo, s12
.LBB111_1607:
	s_mov_b32 s12, -1
.LBB111_1608:
	s_mov_b32 s13, 0
.LBB111_1609:
	s_delay_alu instid0(SALU_CYCLE_1)
	s_and_b32 vcc_lo, exec_lo, s13
	s_cbranch_vccz .LBB111_1640
; %bb.1610:
	s_cmp_gt_i32 s1, 22
	s_cbranch_scc0 .LBB111_1618
; %bb.1611:
	s_cmp_lt_i32 s1, 24
	s_cbranch_scc1 .LBB111_1621
; %bb.1612:
	s_cmp_gt_i32 s1, 24
	s_cbranch_scc0 .LBB111_1622
; %bb.1613:
	global_load_u8 v0, v[10:11], off
	s_mov_b32 s12, 0
	s_mov_b32 s7, exec_lo
	s_wait_loadcnt 0x0
	v_cmpx_lt_i16_e32 0x7f, v0
	s_xor_b32 s7, exec_lo, s7
	s_cbranch_execz .LBB111_1634
; %bb.1614:
	v_cmp_ne_u16_e32 vcc_lo, 0x80, v0
	s_and_b32 s12, vcc_lo, exec_lo
	s_and_not1_saveexec_b32 s7, s7
	s_cbranch_execnz .LBB111_1635
.LBB111_1615:
	s_or_b32 exec_lo, exec_lo, s7
	v_mov_b32_e32 v4, 0
	s_and_saveexec_b32 s7, s12
	s_cbranch_execz .LBB111_1617
.LBB111_1616:
	v_and_b32_e32 v1, 0xffff, v0
	s_delay_alu instid0(VALU_DEP_1) | instskip(SKIP_1) | instid1(VALU_DEP_2)
	v_and_b32_e32 v3, 3, v1
	v_bfe_u32 v7, v1, 2, 5
	v_clz_i32_u32_e32 v4, v3
	s_delay_alu instid0(VALU_DEP_2) | instskip(NEXT) | instid1(VALU_DEP_2)
	v_cmp_eq_u32_e32 vcc_lo, 0, v7
	v_min_u32_e32 v4, 32, v4
	s_delay_alu instid0(VALU_DEP_1) | instskip(NEXT) | instid1(VALU_DEP_1)
	v_subrev_nc_u32_e32 v5, 29, v4
	v_dual_lshlrev_b32 v1, v5, v1 :: v_dual_sub_nc_u32 v4, 30, v4
	s_delay_alu instid0(VALU_DEP_1) | instskip(NEXT) | instid1(VALU_DEP_1)
	v_dual_lshlrev_b32 v0, 24, v0 :: v_dual_bitop2_b32 v1, 3, v1 bitop3:0x40
	v_cndmask_b32_e32 v1, v3, v1, vcc_lo
	s_delay_alu instid0(VALU_DEP_3) | instskip(NEXT) | instid1(VALU_DEP_3)
	v_cndmask_b32_e32 v4, v7, v4, vcc_lo
	v_and_b32_e32 v0, 0x80000000, v0
	s_delay_alu instid0(VALU_DEP_3) | instskip(NEXT) | instid1(VALU_DEP_3)
	v_lshlrev_b32_e32 v1, 21, v1
	v_lshl_add_u32 v3, v4, 23, 0x37800000
	s_delay_alu instid0(VALU_DEP_1) | instskip(NEXT) | instid1(VALU_DEP_1)
	v_or3_b32 v0, v0, v3, v1
	v_cvt_i32_f32_e32 v4, v0
.LBB111_1617:
	s_or_b32 exec_lo, exec_lo, s7
	s_mov_b32 s7, 0
	s_branch .LBB111_1623
.LBB111_1618:
	s_mov_b32 s7, -1
                                        ; implicit-def: $vgpr4
	s_branch .LBB111_1629
.LBB111_1619:
	s_and_not1_saveexec_b32 s12, s12
	s_cbranch_execz .LBB111_1604
.LBB111_1620:
	v_cmp_ne_u16_e32 vcc_lo, 0, v0
	s_and_not1_b32 s13, s13, exec_lo
	s_and_b32 s14, vcc_lo, exec_lo
	s_delay_alu instid0(SALU_CYCLE_1)
	s_or_b32 s13, s13, s14
	s_or_b32 exec_lo, exec_lo, s12
	v_mov_b32_e32 v4, 0
	s_and_saveexec_b32 s12, s13
	s_cbranch_execnz .LBB111_1605
	s_branch .LBB111_1606
.LBB111_1621:
	s_mov_b32 s7, -1
                                        ; implicit-def: $vgpr4
	s_branch .LBB111_1626
.LBB111_1622:
	s_mov_b32 s7, -1
                                        ; implicit-def: $vgpr4
.LBB111_1623:
	s_delay_alu instid0(SALU_CYCLE_1)
	s_and_b32 vcc_lo, exec_lo, s7
	s_cbranch_vccz .LBB111_1625
; %bb.1624:
	global_load_u8 v0, v[10:11], off
	s_wait_loadcnt 0x0
	v_lshlrev_b32_e32 v0, 24, v0
	s_delay_alu instid0(VALU_DEP_1) | instskip(NEXT) | instid1(VALU_DEP_1)
	v_and_b32_e32 v1, 0x7f000000, v0
	v_clz_i32_u32_e32 v3, v1
	v_add_nc_u32_e32 v5, 0x1000000, v1
	v_cmp_ne_u32_e32 vcc_lo, 0, v1
	s_delay_alu instid0(VALU_DEP_3) | instskip(NEXT) | instid1(VALU_DEP_1)
	v_min_u32_e32 v3, 32, v3
	v_sub_nc_u32_e64 v3, v3, 4 clamp
	s_delay_alu instid0(VALU_DEP_1) | instskip(NEXT) | instid1(VALU_DEP_1)
	v_dual_lshlrev_b32 v4, v3, v1 :: v_dual_lshlrev_b32 v3, 23, v3
	v_lshrrev_b32_e32 v4, 4, v4
	s_delay_alu instid0(VALU_DEP_1) | instskip(NEXT) | instid1(VALU_DEP_1)
	v_dual_sub_nc_u32 v3, v4, v3 :: v_dual_ashrrev_i32 v4, 8, v5
	v_add_nc_u32_e32 v3, 0x3c000000, v3
	s_delay_alu instid0(VALU_DEP_1) | instskip(NEXT) | instid1(VALU_DEP_1)
	v_and_or_b32 v3, 0x7f800000, v4, v3
	v_cndmask_b32_e32 v1, 0, v3, vcc_lo
	s_delay_alu instid0(VALU_DEP_1) | instskip(NEXT) | instid1(VALU_DEP_1)
	v_and_or_b32 v0, 0x80000000, v0, v1
	v_cvt_i32_f32_e32 v4, v0
.LBB111_1625:
	s_mov_b32 s7, 0
.LBB111_1626:
	s_delay_alu instid0(SALU_CYCLE_1)
	s_and_not1_b32 vcc_lo, exec_lo, s7
	s_cbranch_vccnz .LBB111_1628
; %bb.1627:
	global_load_u8 v0, v[10:11], off
	s_wait_loadcnt 0x0
	v_lshlrev_b32_e32 v1, 25, v0
	v_lshlrev_b16 v0, 8, v0
	s_delay_alu instid0(VALU_DEP_2) | instskip(NEXT) | instid1(VALU_DEP_2)
	v_cmp_gt_u32_e32 vcc_lo, 0x8000000, v1
	v_and_or_b32 v4, 0x7f00, v0, 0.5
	v_lshrrev_b32_e32 v3, 4, v1
	v_bfe_i32 v0, v0, 0, 16
	s_delay_alu instid0(VALU_DEP_3) | instskip(NEXT) | instid1(VALU_DEP_3)
	v_add_f32_e32 v4, -0.5, v4
	v_or_b32_e32 v3, 0x70000000, v3
	s_delay_alu instid0(VALU_DEP_1) | instskip(NEXT) | instid1(VALU_DEP_1)
	v_mul_f32_e32 v3, 0x7800000, v3
	v_cndmask_b32_e32 v1, v3, v4, vcc_lo
	s_delay_alu instid0(VALU_DEP_1) | instskip(NEXT) | instid1(VALU_DEP_1)
	v_and_or_b32 v0, 0x80000000, v0, v1
	v_cvt_i32_f32_e32 v4, v0
.LBB111_1628:
	s_mov_b32 s7, 0
	s_mov_b32 s12, -1
.LBB111_1629:
	s_and_not1_b32 vcc_lo, exec_lo, s7
	s_mov_b32 s7, 0
	s_cbranch_vccnz .LBB111_1640
; %bb.1630:
	s_cmp_gt_i32 s1, 14
	s_cbranch_scc0 .LBB111_1633
; %bb.1631:
	s_cmp_eq_u32 s1, 15
	s_cbranch_scc0 .LBB111_1636
; %bb.1632:
	global_load_u16 v0, v[10:11], off
	s_mov_b32 s6, 0
	s_mov_b32 s12, -1
	s_wait_loadcnt 0x0
	v_lshlrev_b32_e32 v0, 16, v0
	s_delay_alu instid0(VALU_DEP_1)
	v_cvt_i32_f32_e32 v4, v0
	s_branch .LBB111_1638
.LBB111_1633:
	s_mov_b32 s7, -1
	s_branch .LBB111_1637
.LBB111_1634:
	s_and_not1_saveexec_b32 s7, s7
	s_cbranch_execz .LBB111_1615
.LBB111_1635:
	v_cmp_ne_u16_e32 vcc_lo, 0, v0
	s_and_not1_b32 s12, s12, exec_lo
	s_and_b32 s13, vcc_lo, exec_lo
	s_delay_alu instid0(SALU_CYCLE_1)
	s_or_b32 s12, s12, s13
	s_or_b32 exec_lo, exec_lo, s7
	v_mov_b32_e32 v4, 0
	s_and_saveexec_b32 s7, s12
	s_cbranch_execnz .LBB111_1616
	s_branch .LBB111_1617
.LBB111_1636:
	s_mov_b32 s6, -1
.LBB111_1637:
                                        ; implicit-def: $vgpr4
.LBB111_1638:
	s_and_b32 vcc_lo, exec_lo, s7
	s_mov_b32 s7, 0
	s_cbranch_vccz .LBB111_1640
; %bb.1639:
	s_cmp_lg_u32 s1, 11
	s_mov_b32 s7, -1
	s_cselect_b32 s1, -1, 0
	s_and_not1_b32 s6, s6, exec_lo
	s_and_b32 s1, s1, exec_lo
	s_delay_alu instid0(SALU_CYCLE_1)
	s_or_b32 s6, s6, s1
.LBB111_1640:
	s_mov_b32 s1, 0
.LBB111_1641:
	s_delay_alu instid0(SALU_CYCLE_1)
	s_and_b32 s30, s1, exec_lo
	s_and_not1_b32 s1, s56, exec_lo
	s_and_b32 s6, s6, exec_lo
	s_and_b32 s28, s12, exec_lo
	;; [unrolled: 1-line block ×3, first 2 shown]
	s_or_b32 s31, s1, s6
.LBB111_1642:
	s_wait_xcnt 0x0
	s_or_b32 exec_lo, exec_lo, s44
	s_delay_alu instid0(SALU_CYCLE_1)
	s_and_not1_b32 s1, s56, exec_lo
	s_and_b32 s6, s31, exec_lo
	s_and_b32 s28, s28, exec_lo
	;; [unrolled: 1-line block ×4, first 2 shown]
	s_or_b32 s56, s1, s6
.LBB111_1643:
	s_or_b32 exec_lo, exec_lo, s55
	s_delay_alu instid0(SALU_CYCLE_1)
	s_and_not1_b32 s1, s51, exec_lo
	s_and_b32 s6, s59, exec_lo
	s_and_not1_b32 s7, s53, exec_lo
	s_or_b32 s51, s1, s6
	s_and_not1_b32 s1, s52, exec_lo
	s_and_b32 s6, s57, exec_lo
	s_and_b32 s12, s58, exec_lo
	s_or_b32 s52, s1, s6
	s_and_not1_b32 s1, s50, exec_lo
	s_and_b32 s6, s56, exec_lo
	s_or_b32 s53, s7, s12
	s_and_b32 s28, s28, exec_lo
	s_and_b32 s30, s30, exec_lo
	;; [unrolled: 1-line block ×3, first 2 shown]
	s_or_b32 s50, s1, s6
.LBB111_1644:
	s_or_b32 exec_lo, exec_lo, s54
	s_delay_alu instid0(SALU_CYCLE_1)
	s_and_not1_b32 s1, s42, exec_lo
	s_and_b32 s6, s51, exec_lo
	s_and_not1_b32 s7, s47, exec_lo
	s_or_b32 s42, s1, s6
	s_and_not1_b32 s1, s46, exec_lo
	s_and_b32 s6, s52, exec_lo
	s_and_b32 s12, s53, exec_lo
	s_or_b32 s46, s1, s6
	s_and_not1_b32 s1, s48, exec_lo
	s_and_b32 s6, s50, exec_lo
	s_or_b32 s47, s7, s12
	s_and_b32 s28, s28, exec_lo
	s_and_b32 s30, s30, exec_lo
	;; [unrolled: 1-line block ×3, first 2 shown]
	s_or_b32 s48, s1, s6
	s_or_b32 exec_lo, exec_lo, s49
	s_mov_b32 s1, 0
	s_and_saveexec_b32 s6, s48
	s_cbranch_execz .LBB111_520
.LBB111_1645:
	s_mov_b32 s1, exec_lo
	s_and_not1_b32 s25, s25, exec_lo
	s_trap 2
	s_or_b32 exec_lo, exec_lo, s6
	s_and_saveexec_b32 s6, s25
	s_delay_alu instid0(SALU_CYCLE_1)
	s_xor_b32 s6, exec_lo, s6
	s_cbranch_execnz .LBB111_521
.LBB111_1646:
	s_or_b32 exec_lo, exec_lo, s6
	s_and_saveexec_b32 s6, s30
	s_cbranch_execz .LBB111_1692
.LBB111_1647:
	s_sext_i32_i16 s7, s0
	s_delay_alu instid0(SALU_CYCLE_1)
	s_cmp_lt_i32 s7, 5
	s_cbranch_scc1 .LBB111_1652
; %bb.1648:
	s_cmp_lt_i32 s7, 8
	s_cbranch_scc1 .LBB111_1653
; %bb.1649:
	;; [unrolled: 3-line block ×3, first 2 shown]
	s_cmp_gt_i32 s7, 9
	s_cbranch_scc0 .LBB111_1655
; %bb.1651:
	s_wait_loadcnt 0x0
	global_load_b64 v[0:1], v[10:11], off
	s_mov_b32 s7, 0
	s_wait_loadcnt 0x0
	v_cvt_i32_f64_e32 v4, v[0:1]
	s_branch .LBB111_1656
.LBB111_1652:
                                        ; implicit-def: $vgpr4
	s_branch .LBB111_1673
.LBB111_1653:
                                        ; implicit-def: $vgpr4
	s_branch .LBB111_1662
.LBB111_1654:
	s_mov_b32 s7, -1
                                        ; implicit-def: $vgpr4
	s_branch .LBB111_1659
.LBB111_1655:
	s_mov_b32 s7, -1
                                        ; implicit-def: $vgpr4
.LBB111_1656:
	s_delay_alu instid0(SALU_CYCLE_1)
	s_and_not1_b32 vcc_lo, exec_lo, s7
	s_cbranch_vccnz .LBB111_1658
; %bb.1657:
	s_wait_loadcnt 0x0
	global_load_b32 v0, v[10:11], off
	s_wait_loadcnt 0x0
	v_cvt_i32_f32_e32 v4, v0
.LBB111_1658:
	s_mov_b32 s7, 0
.LBB111_1659:
	s_delay_alu instid0(SALU_CYCLE_1)
	s_and_not1_b32 vcc_lo, exec_lo, s7
	s_cbranch_vccnz .LBB111_1661
; %bb.1660:
	s_wait_loadcnt 0x0
	global_load_b32 v0, v[10:11], off
	s_wait_loadcnt 0x0
	v_cvt_i16_f16_e32 v4, v0
.LBB111_1661:
	s_cbranch_execnz .LBB111_1672
.LBB111_1662:
	s_sext_i32_i16 s7, s0
	s_delay_alu instid0(SALU_CYCLE_1)
	s_cmp_lt_i32 s7, 6
	s_cbranch_scc1 .LBB111_1665
; %bb.1663:
	s_cmp_gt_i32 s7, 6
	s_cbranch_scc0 .LBB111_1666
; %bb.1664:
	s_wait_loadcnt 0x0
	global_load_b64 v[0:1], v[10:11], off
	s_mov_b32 s7, 0
	s_wait_loadcnt 0x0
	v_cvt_i32_f64_e32 v4, v[0:1]
	s_branch .LBB111_1667
.LBB111_1665:
	s_mov_b32 s7, -1
                                        ; implicit-def: $vgpr4
	s_branch .LBB111_1670
.LBB111_1666:
	s_mov_b32 s7, -1
                                        ; implicit-def: $vgpr4
.LBB111_1667:
	s_delay_alu instid0(SALU_CYCLE_1)
	s_and_not1_b32 vcc_lo, exec_lo, s7
	s_cbranch_vccnz .LBB111_1669
; %bb.1668:
	s_wait_loadcnt 0x0
	global_load_b32 v0, v[10:11], off
	s_wait_loadcnt 0x0
	v_cvt_i32_f32_e32 v4, v0
.LBB111_1669:
	s_mov_b32 s7, 0
.LBB111_1670:
	s_delay_alu instid0(SALU_CYCLE_1)
	s_and_not1_b32 vcc_lo, exec_lo, s7
	s_cbranch_vccnz .LBB111_1672
; %bb.1671:
	s_wait_loadcnt 0x0
	global_load_u16 v0, v[10:11], off
	s_wait_loadcnt 0x0
	v_cvt_i16_f16_e32 v4, v0
.LBB111_1672:
	s_cbranch_execnz .LBB111_1691
.LBB111_1673:
	s_sext_i32_i16 s7, s0
	s_delay_alu instid0(SALU_CYCLE_1)
	s_cmp_lt_i32 s7, 2
	s_cbranch_scc1 .LBB111_1677
; %bb.1674:
	s_cmp_lt_i32 s7, 3
	s_cbranch_scc1 .LBB111_1678
; %bb.1675:
	s_cmp_gt_i32 s7, 3
	s_cbranch_scc0 .LBB111_1679
; %bb.1676:
	s_wait_loadcnt 0x0
	global_load_b64 v[4:5], v[10:11], off
	s_mov_b32 s7, 0
	s_branch .LBB111_1680
.LBB111_1677:
                                        ; implicit-def: $vgpr4
	s_branch .LBB111_1686
.LBB111_1678:
	s_mov_b32 s7, -1
                                        ; implicit-def: $vgpr4
	s_branch .LBB111_1683
.LBB111_1679:
	s_mov_b32 s7, -1
                                        ; implicit-def: $vgpr4
.LBB111_1680:
	s_delay_alu instid0(SALU_CYCLE_1)
	s_and_not1_b32 vcc_lo, exec_lo, s7
	s_cbranch_vccnz .LBB111_1682
; %bb.1681:
	s_wait_loadcnt 0x0
	global_load_b32 v4, v[10:11], off
.LBB111_1682:
	s_mov_b32 s7, 0
.LBB111_1683:
	s_delay_alu instid0(SALU_CYCLE_1)
	s_and_not1_b32 vcc_lo, exec_lo, s7
	s_cbranch_vccnz .LBB111_1685
; %bb.1684:
	s_wait_loadcnt 0x0
	global_load_u16 v4, v[10:11], off
.LBB111_1685:
	s_cbranch_execnz .LBB111_1691
.LBB111_1686:
	s_sext_i32_i16 s0, s0
	s_delay_alu instid0(SALU_CYCLE_1)
	s_cmp_gt_i32 s0, 0
	s_mov_b32 s0, 0
	s_cbranch_scc0 .LBB111_1688
; %bb.1687:
	s_wait_loadcnt 0x0
	global_load_u8 v4, v[10:11], off
	s_branch .LBB111_1689
.LBB111_1688:
	s_mov_b32 s0, -1
                                        ; implicit-def: $vgpr4
.LBB111_1689:
	s_delay_alu instid0(SALU_CYCLE_1)
	s_and_not1_b32 vcc_lo, exec_lo, s0
	s_cbranch_vccnz .LBB111_1691
; %bb.1690:
	s_wait_loadcnt 0x0
	global_load_u8 v4, v[10:11], off
.LBB111_1691:
	s_or_b32 s28, s28, exec_lo
.LBB111_1692:
	s_wait_xcnt 0x0
	s_or_b32 exec_lo, exec_lo, s6
	s_mov_b32 s13, 0
	s_mov_b32 s12, 0
	;; [unrolled: 1-line block ×3, first 2 shown]
                                        ; implicit-def: $sgpr0
                                        ; implicit-def: $vgpr10_vgpr11
                                        ; implicit-def: $vgpr0
	s_and_saveexec_b32 s6, s28
	s_cbranch_execz .LBB111_1700
; %bb.1693:
	s_wait_loadcnt 0x0
	v_mov_b32_e32 v9, 0
	s_and_b32 s0, s39, 0xff
	s_delay_alu instid0(SALU_CYCLE_1) | instskip(NEXT) | instid1(VALU_DEP_1)
	s_cmp_lt_i32 s0, 11
	v_add_nc_u64_e32 v[10:11], s[8:9], v[8:9]
	s_cbranch_scc1 .LBB111_1703
; %bb.1694:
	s_and_b32 s7, 0xffff, s0
	s_mov_b32 s9, 0
	s_cmp_gt_i32 s7, 25
	s_cbranch_scc0 .LBB111_1704
; %bb.1695:
	s_cmp_gt_i32 s7, 28
	s_cbranch_scc0 .LBB111_1705
; %bb.1696:
	;; [unrolled: 3-line block ×4, first 2 shown]
	s_cmp_eq_u32 s7, 46
	s_cbranch_scc0 .LBB111_1708
; %bb.1699:
	global_load_b32 v0, v[10:11], off
	s_mov_b32 s8, 0
	s_mov_b32 s12, -1
	s_wait_loadcnt 0x0
	v_lshlrev_b32_e32 v0, 16, v0
	s_delay_alu instid0(VALU_DEP_1)
	v_cvt_i32_f32_e32 v0, v0
	s_branch .LBB111_1710
.LBB111_1700:
	s_or_b32 exec_lo, exec_lo, s6
	s_and_saveexec_b32 s6, s47
	s_cbranch_execnz .LBB111_1769
.LBB111_1701:
	s_or_b32 exec_lo, exec_lo, s6
	s_and_saveexec_b32 s6, s13
	s_delay_alu instid0(SALU_CYCLE_1)
	s_xor_b32 s6, exec_lo, s6
	s_cbranch_execz .LBB111_1770
.LBB111_1702:
	s_wait_loadcnt 0x0
	global_load_u8 v0, v[10:11], off
	s_or_b32 s7, s7, exec_lo
	s_wait_loadcnt 0x0
	v_cmp_ne_u16_e32 vcc_lo, 0, v0
	v_cndmask_b32_e64 v0, 0, 1, vcc_lo
	s_wait_xcnt 0x0
	s_or_b32 exec_lo, exec_lo, s6
	s_and_saveexec_b32 s6, s12
	s_cbranch_execz .LBB111_1816
	s_branch .LBB111_1771
.LBB111_1703:
	s_mov_b32 s13, -1
	s_mov_b32 s9, 0
	s_mov_b32 s8, s47
                                        ; implicit-def: $vgpr0
	s_branch .LBB111_1768
.LBB111_1704:
	s_mov_b32 s8, s47
                                        ; implicit-def: $vgpr0
	s_cbranch_execnz .LBB111_1737
	s_branch .LBB111_1767
.LBB111_1705:
	s_mov_b32 s13, -1
	s_mov_b32 s8, s47
                                        ; implicit-def: $vgpr0
	s_branch .LBB111_1720
.LBB111_1706:
	s_mov_b32 s13, -1
	s_mov_b32 s8, s47
                                        ; implicit-def: $vgpr0
	s_branch .LBB111_1715
.LBB111_1707:
	s_mov_b32 s13, -1
	s_mov_b32 s8, s47
	s_branch .LBB111_1709
.LBB111_1708:
	s_mov_b32 s8, -1
.LBB111_1709:
                                        ; implicit-def: $vgpr0
.LBB111_1710:
	s_and_b32 vcc_lo, exec_lo, s13
	s_cbranch_vccz .LBB111_1714
; %bb.1711:
	s_cmp_eq_u32 s7, 44
	s_cbranch_scc0 .LBB111_1713
; %bb.1712:
	global_load_u8 v0, v[10:11], off
	s_mov_b32 s8, 0
	s_mov_b32 s12, -1
	s_wait_loadcnt 0x0
	v_lshlrev_b32_e32 v1, 23, v0
	v_cmp_ne_u32_e32 vcc_lo, 0, v0
	s_delay_alu instid0(VALU_DEP_2) | instskip(NEXT) | instid1(VALU_DEP_1)
	v_cvt_i32_f32_e32 v1, v1
	v_cndmask_b32_e32 v0, 0, v1, vcc_lo
	s_branch .LBB111_1714
.LBB111_1713:
	s_mov_b32 s8, -1
                                        ; implicit-def: $vgpr0
.LBB111_1714:
	s_mov_b32 s13, 0
.LBB111_1715:
	s_delay_alu instid0(SALU_CYCLE_1)
	s_and_b32 vcc_lo, exec_lo, s13
	s_cbranch_vccz .LBB111_1719
; %bb.1716:
	s_cmp_eq_u32 s7, 29
	s_cbranch_scc0 .LBB111_1718
; %bb.1717:
	global_load_b64 v[0:1], v[10:11], off
	s_mov_b32 s8, 0
	s_mov_b32 s12, -1
	s_branch .LBB111_1719
.LBB111_1718:
	s_mov_b32 s8, -1
                                        ; implicit-def: $vgpr0
.LBB111_1719:
	s_mov_b32 s13, 0
.LBB111_1720:
	s_delay_alu instid0(SALU_CYCLE_1)
	s_and_b32 vcc_lo, exec_lo, s13
	s_cbranch_vccz .LBB111_1736
; %bb.1721:
	s_cmp_lt_i32 s7, 27
	s_cbranch_scc1 .LBB111_1724
; %bb.1722:
	s_cmp_gt_i32 s7, 27
	s_cbranch_scc0 .LBB111_1725
; %bb.1723:
	s_wait_loadcnt 0x0
	global_load_b32 v0, v[10:11], off
	s_mov_b32 s12, 0
	s_branch .LBB111_1726
.LBB111_1724:
	s_mov_b32 s12, -1
                                        ; implicit-def: $vgpr0
	s_branch .LBB111_1729
.LBB111_1725:
	s_mov_b32 s12, -1
                                        ; implicit-def: $vgpr0
.LBB111_1726:
	s_delay_alu instid0(SALU_CYCLE_1)
	s_and_not1_b32 vcc_lo, exec_lo, s12
	s_cbranch_vccnz .LBB111_1728
; %bb.1727:
	s_wait_loadcnt 0x0
	global_load_u16 v0, v[10:11], off
.LBB111_1728:
	s_mov_b32 s12, 0
.LBB111_1729:
	s_delay_alu instid0(SALU_CYCLE_1)
	s_and_not1_b32 vcc_lo, exec_lo, s12
	s_cbranch_vccnz .LBB111_1735
; %bb.1730:
	s_wait_loadcnt 0x0
	global_load_u8 v1, v[10:11], off
	s_mov_b32 s13, 0
	s_mov_b32 s12, exec_lo
	s_wait_loadcnt 0x0
	v_cmpx_lt_i16_e32 0x7f, v1
	s_xor_b32 s12, exec_lo, s12
	s_cbranch_execz .LBB111_1746
; %bb.1731:
	v_cmp_ne_u16_e32 vcc_lo, 0x80, v1
	s_and_b32 s13, vcc_lo, exec_lo
	s_and_not1_saveexec_b32 s12, s12
	s_cbranch_execnz .LBB111_1747
.LBB111_1732:
	s_or_b32 exec_lo, exec_lo, s12
	v_mov_b32_e32 v0, 0
	s_and_saveexec_b32 s12, s13
	s_cbranch_execz .LBB111_1734
.LBB111_1733:
	v_and_b32_e32 v0, 0xffff, v1
	s_delay_alu instid0(VALU_DEP_1) | instskip(SKIP_1) | instid1(VALU_DEP_2)
	v_and_b32_e32 v3, 7, v0
	v_bfe_u32 v8, v0, 3, 4
	v_clz_i32_u32_e32 v5, v3
	s_delay_alu instid0(VALU_DEP_2) | instskip(NEXT) | instid1(VALU_DEP_2)
	v_cmp_eq_u32_e32 vcc_lo, 0, v8
	v_min_u32_e32 v5, 32, v5
	s_delay_alu instid0(VALU_DEP_1) | instskip(NEXT) | instid1(VALU_DEP_1)
	v_subrev_nc_u32_e32 v7, 28, v5
	v_dual_lshlrev_b32 v0, v7, v0 :: v_dual_sub_nc_u32 v5, 29, v5
	s_delay_alu instid0(VALU_DEP_1) | instskip(NEXT) | instid1(VALU_DEP_1)
	v_dual_lshlrev_b32 v1, 24, v1 :: v_dual_bitop2_b32 v0, 7, v0 bitop3:0x40
	v_dual_cndmask_b32 v0, v3, v0 :: v_dual_cndmask_b32 v5, v8, v5
	s_delay_alu instid0(VALU_DEP_2) | instskip(NEXT) | instid1(VALU_DEP_2)
	v_and_b32_e32 v1, 0x80000000, v1
	v_lshlrev_b32_e32 v0, 20, v0
	s_delay_alu instid0(VALU_DEP_3) | instskip(NEXT) | instid1(VALU_DEP_1)
	v_lshl_add_u32 v3, v5, 23, 0x3b800000
	v_or3_b32 v0, v1, v3, v0
	s_delay_alu instid0(VALU_DEP_1)
	v_cvt_i32_f32_e32 v0, v0
.LBB111_1734:
	s_or_b32 exec_lo, exec_lo, s12
.LBB111_1735:
	s_mov_b32 s12, -1
.LBB111_1736:
	s_branch .LBB111_1767
.LBB111_1737:
	s_cmp_gt_i32 s7, 22
	s_cbranch_scc0 .LBB111_1745
; %bb.1738:
	s_cmp_lt_i32 s7, 24
	s_cbranch_scc1 .LBB111_1748
; %bb.1739:
	s_cmp_gt_i32 s7, 24
	s_cbranch_scc0 .LBB111_1749
; %bb.1740:
	s_wait_loadcnt 0x0
	global_load_u8 v1, v[10:11], off
	s_mov_b32 s12, 0
	s_mov_b32 s9, exec_lo
	s_wait_loadcnt 0x0
	v_cmpx_lt_i16_e32 0x7f, v1
	s_xor_b32 s9, exec_lo, s9
	s_cbranch_execz .LBB111_1761
; %bb.1741:
	v_cmp_ne_u16_e32 vcc_lo, 0x80, v1
	s_and_b32 s12, vcc_lo, exec_lo
	s_and_not1_saveexec_b32 s9, s9
	s_cbranch_execnz .LBB111_1762
.LBB111_1742:
	s_or_b32 exec_lo, exec_lo, s9
	v_mov_b32_e32 v0, 0
	s_and_saveexec_b32 s9, s12
	s_cbranch_execz .LBB111_1744
.LBB111_1743:
	v_and_b32_e32 v0, 0xffff, v1
	s_delay_alu instid0(VALU_DEP_1) | instskip(SKIP_1) | instid1(VALU_DEP_2)
	v_and_b32_e32 v3, 3, v0
	v_bfe_u32 v8, v0, 2, 5
	v_clz_i32_u32_e32 v5, v3
	s_delay_alu instid0(VALU_DEP_2) | instskip(NEXT) | instid1(VALU_DEP_2)
	v_cmp_eq_u32_e32 vcc_lo, 0, v8
	v_min_u32_e32 v5, 32, v5
	s_delay_alu instid0(VALU_DEP_1) | instskip(NEXT) | instid1(VALU_DEP_1)
	v_subrev_nc_u32_e32 v7, 29, v5
	v_dual_lshlrev_b32 v0, v7, v0 :: v_dual_sub_nc_u32 v5, 30, v5
	s_delay_alu instid0(VALU_DEP_1) | instskip(NEXT) | instid1(VALU_DEP_1)
	v_dual_lshlrev_b32 v1, 24, v1 :: v_dual_bitop2_b32 v0, 3, v0 bitop3:0x40
	v_dual_cndmask_b32 v0, v3, v0 :: v_dual_cndmask_b32 v5, v8, v5
	s_delay_alu instid0(VALU_DEP_2) | instskip(NEXT) | instid1(VALU_DEP_2)
	v_and_b32_e32 v1, 0x80000000, v1
	v_lshlrev_b32_e32 v0, 21, v0
	s_delay_alu instid0(VALU_DEP_3) | instskip(NEXT) | instid1(VALU_DEP_1)
	v_lshl_add_u32 v3, v5, 23, 0x37800000
	v_or3_b32 v0, v1, v3, v0
	s_delay_alu instid0(VALU_DEP_1)
	v_cvt_i32_f32_e32 v0, v0
.LBB111_1744:
	s_or_b32 exec_lo, exec_lo, s9
	s_mov_b32 s9, 0
	s_branch .LBB111_1750
.LBB111_1745:
	s_mov_b32 s9, -1
                                        ; implicit-def: $vgpr0
	s_branch .LBB111_1756
.LBB111_1746:
	s_and_not1_saveexec_b32 s12, s12
	s_cbranch_execz .LBB111_1732
.LBB111_1747:
	v_cmp_ne_u16_e32 vcc_lo, 0, v1
	s_and_not1_b32 s13, s13, exec_lo
	s_and_b32 s14, vcc_lo, exec_lo
	s_delay_alu instid0(SALU_CYCLE_1)
	s_or_b32 s13, s13, s14
	s_or_b32 exec_lo, exec_lo, s12
	v_mov_b32_e32 v0, 0
	s_and_saveexec_b32 s12, s13
	s_cbranch_execnz .LBB111_1733
	s_branch .LBB111_1734
.LBB111_1748:
	s_mov_b32 s9, -1
                                        ; implicit-def: $vgpr0
	s_branch .LBB111_1753
.LBB111_1749:
	s_mov_b32 s9, -1
                                        ; implicit-def: $vgpr0
.LBB111_1750:
	s_delay_alu instid0(SALU_CYCLE_1)
	s_and_b32 vcc_lo, exec_lo, s9
	s_cbranch_vccz .LBB111_1752
; %bb.1751:
	s_wait_loadcnt 0x0
	global_load_u8 v0, v[10:11], off
	s_wait_loadcnt 0x0
	v_lshlrev_b32_e32 v0, 24, v0
	s_delay_alu instid0(VALU_DEP_1) | instskip(NEXT) | instid1(VALU_DEP_1)
	v_and_b32_e32 v1, 0x7f000000, v0
	v_clz_i32_u32_e32 v3, v1
	v_add_nc_u32_e32 v7, 0x1000000, v1
	v_cmp_ne_u32_e32 vcc_lo, 0, v1
	s_delay_alu instid0(VALU_DEP_3) | instskip(NEXT) | instid1(VALU_DEP_1)
	v_min_u32_e32 v3, 32, v3
	v_sub_nc_u32_e64 v3, v3, 4 clamp
	s_delay_alu instid0(VALU_DEP_1) | instskip(NEXT) | instid1(VALU_DEP_1)
	v_dual_lshlrev_b32 v5, v3, v1 :: v_dual_lshlrev_b32 v3, 23, v3
	v_lshrrev_b32_e32 v5, 4, v5
	s_delay_alu instid0(VALU_DEP_1) | instskip(SKIP_1) | instid1(VALU_DEP_2)
	v_sub_nc_u32_e32 v3, v5, v3
	v_ashrrev_i32_e32 v5, 8, v7
	v_add_nc_u32_e32 v3, 0x3c000000, v3
	s_delay_alu instid0(VALU_DEP_1) | instskip(NEXT) | instid1(VALU_DEP_1)
	v_and_or_b32 v3, 0x7f800000, v5, v3
	v_cndmask_b32_e32 v1, 0, v3, vcc_lo
	s_delay_alu instid0(VALU_DEP_1) | instskip(NEXT) | instid1(VALU_DEP_1)
	v_and_or_b32 v0, 0x80000000, v0, v1
	v_cvt_i32_f32_e32 v0, v0
.LBB111_1752:
	s_mov_b32 s9, 0
.LBB111_1753:
	s_delay_alu instid0(SALU_CYCLE_1)
	s_and_not1_b32 vcc_lo, exec_lo, s9
	s_cbranch_vccnz .LBB111_1755
; %bb.1754:
	s_wait_loadcnt 0x0
	global_load_u8 v0, v[10:11], off
	s_wait_loadcnt 0x0
	v_lshlrev_b32_e32 v1, 25, v0
	v_lshlrev_b16 v0, 8, v0
	s_delay_alu instid0(VALU_DEP_1) | instskip(SKIP_1) | instid1(VALU_DEP_2)
	v_and_or_b32 v5, 0x7f00, v0, 0.5
	v_bfe_i32 v0, v0, 0, 16
	v_add_f32_e32 v5, -0.5, v5
	v_lshrrev_b32_e32 v3, 4, v1
	v_cmp_gt_u32_e32 vcc_lo, 0x8000000, v1
	s_delay_alu instid0(VALU_DEP_2) | instskip(NEXT) | instid1(VALU_DEP_1)
	v_or_b32_e32 v3, 0x70000000, v3
	v_mul_f32_e32 v3, 0x7800000, v3
	s_delay_alu instid0(VALU_DEP_1) | instskip(NEXT) | instid1(VALU_DEP_1)
	v_cndmask_b32_e32 v1, v3, v5, vcc_lo
	v_and_or_b32 v0, 0x80000000, v0, v1
	s_delay_alu instid0(VALU_DEP_1)
	v_cvt_i32_f32_e32 v0, v0
.LBB111_1755:
	s_mov_b32 s9, 0
	s_mov_b32 s12, -1
.LBB111_1756:
	s_and_not1_b32 vcc_lo, exec_lo, s9
	s_mov_b32 s9, 0
	s_cbranch_vccnz .LBB111_1767
; %bb.1757:
	s_cmp_gt_i32 s7, 14
	s_cbranch_scc0 .LBB111_1760
; %bb.1758:
	s_cmp_eq_u32 s7, 15
	s_cbranch_scc0 .LBB111_1763
; %bb.1759:
	s_wait_loadcnt 0x0
	global_load_u16 v0, v[10:11], off
	s_mov_b32 s8, 0
	s_mov_b32 s12, -1
	s_wait_loadcnt 0x0
	v_lshlrev_b32_e32 v0, 16, v0
	s_delay_alu instid0(VALU_DEP_1)
	v_cvt_i32_f32_e32 v0, v0
	s_branch .LBB111_1765
.LBB111_1760:
	s_mov_b32 s9, -1
	s_branch .LBB111_1764
.LBB111_1761:
	s_and_not1_saveexec_b32 s9, s9
	s_cbranch_execz .LBB111_1742
.LBB111_1762:
	v_cmp_ne_u16_e32 vcc_lo, 0, v1
	s_and_not1_b32 s12, s12, exec_lo
	s_and_b32 s13, vcc_lo, exec_lo
	s_delay_alu instid0(SALU_CYCLE_1)
	s_or_b32 s12, s12, s13
	s_or_b32 exec_lo, exec_lo, s9
	v_mov_b32_e32 v0, 0
	s_and_saveexec_b32 s9, s12
	s_cbranch_execnz .LBB111_1743
	s_branch .LBB111_1744
.LBB111_1763:
	s_mov_b32 s8, -1
.LBB111_1764:
                                        ; implicit-def: $vgpr0
.LBB111_1765:
	s_and_b32 vcc_lo, exec_lo, s9
	s_mov_b32 s9, 0
	s_cbranch_vccz .LBB111_1767
; %bb.1766:
	s_cmp_lg_u32 s7, 11
	s_mov_b32 s9, -1
	s_cselect_b32 s7, -1, 0
	s_and_not1_b32 s8, s8, exec_lo
	s_and_b32 s7, s7, exec_lo
	s_delay_alu instid0(SALU_CYCLE_1)
	s_or_b32 s8, s8, s7
.LBB111_1767:
	s_mov_b32 s13, 0
.LBB111_1768:
	s_and_not1_b32 s14, s47, exec_lo
	s_and_b32 s8, s8, exec_lo
	s_and_b32 s7, s12, exec_lo
	;; [unrolled: 1-line block ×4, first 2 shown]
	s_or_b32 s47, s14, s8
	s_wait_xcnt 0x0
	s_or_b32 exec_lo, exec_lo, s6
	s_and_saveexec_b32 s6, s47
	s_cbranch_execz .LBB111_1701
.LBB111_1769:
	s_or_b32 s1, s1, exec_lo
	s_and_not1_b32 s13, s13, exec_lo
	s_trap 2
	s_or_b32 exec_lo, exec_lo, s6
	s_and_saveexec_b32 s6, s13
	s_delay_alu instid0(SALU_CYCLE_1)
	s_xor_b32 s6, exec_lo, s6
	s_cbranch_execnz .LBB111_1702
.LBB111_1770:
	s_or_b32 exec_lo, exec_lo, s6
	s_and_saveexec_b32 s6, s12
	s_cbranch_execz .LBB111_1816
.LBB111_1771:
	s_sext_i32_i16 s8, s0
	s_delay_alu instid0(SALU_CYCLE_1)
	s_cmp_lt_i32 s8, 5
	s_cbranch_scc1 .LBB111_1776
; %bb.1772:
	s_cmp_lt_i32 s8, 8
	s_cbranch_scc1 .LBB111_1777
; %bb.1773:
	;; [unrolled: 3-line block ×3, first 2 shown]
	s_cmp_gt_i32 s8, 9
	s_cbranch_scc0 .LBB111_1779
; %bb.1775:
	s_wait_loadcnt 0x0
	global_load_b64 v[0:1], v[10:11], off
	s_mov_b32 s8, 0
	s_wait_loadcnt 0x0
	v_cvt_i32_f64_e32 v0, v[0:1]
	s_branch .LBB111_1780
.LBB111_1776:
                                        ; implicit-def: $vgpr0
	s_branch .LBB111_1797
.LBB111_1777:
                                        ; implicit-def: $vgpr0
	s_branch .LBB111_1786
.LBB111_1778:
	s_mov_b32 s8, -1
                                        ; implicit-def: $vgpr0
	s_branch .LBB111_1783
.LBB111_1779:
	s_mov_b32 s8, -1
                                        ; implicit-def: $vgpr0
.LBB111_1780:
	s_delay_alu instid0(SALU_CYCLE_1)
	s_and_not1_b32 vcc_lo, exec_lo, s8
	s_cbranch_vccnz .LBB111_1782
; %bb.1781:
	s_wait_loadcnt 0x0
	global_load_b32 v0, v[10:11], off
	s_wait_loadcnt 0x0
	v_cvt_i32_f32_e32 v0, v0
.LBB111_1782:
	s_mov_b32 s8, 0
.LBB111_1783:
	s_delay_alu instid0(SALU_CYCLE_1)
	s_and_not1_b32 vcc_lo, exec_lo, s8
	s_cbranch_vccnz .LBB111_1785
; %bb.1784:
	s_wait_loadcnt 0x0
	global_load_b32 v0, v[10:11], off
	s_wait_loadcnt 0x0
	v_cvt_i16_f16_e32 v0, v0
.LBB111_1785:
	s_cbranch_execnz .LBB111_1796
.LBB111_1786:
	s_sext_i32_i16 s8, s0
	s_delay_alu instid0(SALU_CYCLE_1)
	s_cmp_lt_i32 s8, 6
	s_cbranch_scc1 .LBB111_1789
; %bb.1787:
	s_cmp_gt_i32 s8, 6
	s_cbranch_scc0 .LBB111_1790
; %bb.1788:
	s_wait_loadcnt 0x0
	global_load_b64 v[0:1], v[10:11], off
	s_mov_b32 s8, 0
	s_wait_loadcnt 0x0
	v_cvt_i32_f64_e32 v0, v[0:1]
	s_branch .LBB111_1791
.LBB111_1789:
	s_mov_b32 s8, -1
                                        ; implicit-def: $vgpr0
	s_branch .LBB111_1794
.LBB111_1790:
	s_mov_b32 s8, -1
                                        ; implicit-def: $vgpr0
.LBB111_1791:
	s_delay_alu instid0(SALU_CYCLE_1)
	s_and_not1_b32 vcc_lo, exec_lo, s8
	s_cbranch_vccnz .LBB111_1793
; %bb.1792:
	s_wait_loadcnt 0x0
	global_load_b32 v0, v[10:11], off
	s_wait_loadcnt 0x0
	v_cvt_i32_f32_e32 v0, v0
.LBB111_1793:
	s_mov_b32 s8, 0
.LBB111_1794:
	s_delay_alu instid0(SALU_CYCLE_1)
	s_and_not1_b32 vcc_lo, exec_lo, s8
	s_cbranch_vccnz .LBB111_1796
; %bb.1795:
	s_wait_loadcnt 0x0
	global_load_u16 v0, v[10:11], off
	s_wait_loadcnt 0x0
	v_cvt_i16_f16_e32 v0, v0
.LBB111_1796:
	s_cbranch_execnz .LBB111_1815
.LBB111_1797:
	s_sext_i32_i16 s8, s0
	s_delay_alu instid0(SALU_CYCLE_1)
	s_cmp_lt_i32 s8, 2
	s_cbranch_scc1 .LBB111_1801
; %bb.1798:
	s_cmp_lt_i32 s8, 3
	s_cbranch_scc1 .LBB111_1802
; %bb.1799:
	s_cmp_gt_i32 s8, 3
	s_cbranch_scc0 .LBB111_1803
; %bb.1800:
	s_wait_loadcnt 0x0
	global_load_b64 v[0:1], v[10:11], off
	s_mov_b32 s8, 0
	s_branch .LBB111_1804
.LBB111_1801:
                                        ; implicit-def: $vgpr0
	s_branch .LBB111_1810
.LBB111_1802:
	s_mov_b32 s8, -1
                                        ; implicit-def: $vgpr0
	s_branch .LBB111_1807
.LBB111_1803:
	s_mov_b32 s8, -1
                                        ; implicit-def: $vgpr0
.LBB111_1804:
	s_delay_alu instid0(SALU_CYCLE_1)
	s_and_not1_b32 vcc_lo, exec_lo, s8
	s_cbranch_vccnz .LBB111_1806
; %bb.1805:
	s_wait_loadcnt 0x0
	global_load_b32 v0, v[10:11], off
.LBB111_1806:
	s_mov_b32 s8, 0
.LBB111_1807:
	s_delay_alu instid0(SALU_CYCLE_1)
	s_and_not1_b32 vcc_lo, exec_lo, s8
	s_cbranch_vccnz .LBB111_1809
; %bb.1808:
	s_wait_loadcnt 0x0
	global_load_u16 v0, v[10:11], off
.LBB111_1809:
	s_cbranch_execnz .LBB111_1815
.LBB111_1810:
	s_sext_i32_i16 s0, s0
	s_delay_alu instid0(SALU_CYCLE_1)
	s_cmp_gt_i32 s0, 0
	s_mov_b32 s0, 0
	s_cbranch_scc0 .LBB111_1812
; %bb.1811:
	s_wait_loadcnt 0x0
	global_load_u8 v0, v[10:11], off
	s_branch .LBB111_1813
.LBB111_1812:
	s_mov_b32 s0, -1
                                        ; implicit-def: $vgpr0
.LBB111_1813:
	s_delay_alu instid0(SALU_CYCLE_1)
	s_and_not1_b32 vcc_lo, exec_lo, s0
	s_cbranch_vccnz .LBB111_1815
; %bb.1814:
	s_wait_loadcnt 0x0
	global_load_u8 v0, v[10:11], off
.LBB111_1815:
	s_or_b32 s7, s7, exec_lo
.LBB111_1816:
	s_wait_xcnt 0x0
	s_or_b32 exec_lo, exec_lo, s6
	s_mov_b32 s9, 0
	s_mov_b32 s6, 0
	;; [unrolled: 1-line block ×3, first 2 shown]
                                        ; implicit-def: $vgpr8_vgpr9
                                        ; implicit-def: $vgpr10
	s_and_saveexec_b32 s0, s7
	s_cbranch_execz .LBB111_1824
; %bb.1817:
	v_mov_b32_e32 v7, 0
	s_and_b32 s6, 0xffff, s21
	s_delay_alu instid0(SALU_CYCLE_1) | instskip(SKIP_1) | instid1(VALU_DEP_1)
	s_cmp_lt_i32 s6, 11
	s_wait_loadcnt 0x0
	v_add_nc_u64_e32 v[8:9], s[10:11], v[6:7]
	s_cbranch_scc1 .LBB111_1827
; %bb.1818:
	s_cmp_gt_i32 s6, 25
	s_cbranch_scc0 .LBB111_1828
; %bb.1819:
	s_cmp_gt_i32 s6, 28
	s_cbranch_scc0 .LBB111_1829
	;; [unrolled: 3-line block ×4, first 2 shown]
; %bb.1822:
	s_cmp_eq_u32 s6, 46
	s_mov_b32 s10, 0
	s_cbranch_scc0 .LBB111_1832
; %bb.1823:
	global_load_b32 v1, v[8:9], off
	s_mov_b32 s7, 0
	s_mov_b32 s8, -1
	s_wait_loadcnt 0x0
	v_lshlrev_b32_e32 v1, 16, v1
	s_delay_alu instid0(VALU_DEP_1)
	v_cvt_i32_f32_e32 v10, v1
	s_branch .LBB111_1834
.LBB111_1824:
	s_or_b32 exec_lo, exec_lo, s0
	s_and_saveexec_b32 s0, s46
	s_cbranch_execnz .LBB111_1893
.LBB111_1825:
	s_or_b32 exec_lo, exec_lo, s0
	s_and_saveexec_b32 s0, s9
	s_delay_alu instid0(SALU_CYCLE_1)
	s_xor_b32 s0, exec_lo, s0
	s_cbranch_execz .LBB111_1894
.LBB111_1826:
	s_wait_loadcnt 0x0
	global_load_u8 v1, v[8:9], off
	s_or_b32 s8, s8, exec_lo
	s_wait_loadcnt 0x0
	v_cmp_ne_u16_e32 vcc_lo, 0, v1
	v_cndmask_b32_e64 v10, 0, 1, vcc_lo
	s_wait_xcnt 0x0
	s_or_b32 exec_lo, exec_lo, s0
	s_and_saveexec_b32 s0, s6
	s_cbranch_execz .LBB111_1940
	s_branch .LBB111_1895
.LBB111_1827:
	s_mov_b32 s6, -1
	s_mov_b32 s7, s46
                                        ; implicit-def: $vgpr10
	s_branch .LBB111_1892
.LBB111_1828:
	s_mov_b32 s7, s46
                                        ; implicit-def: $vgpr10
	s_cbranch_execnz .LBB111_1861
	s_branch .LBB111_1891
.LBB111_1829:
	s_mov_b32 s10, -1
	s_mov_b32 s7, s46
                                        ; implicit-def: $vgpr10
	s_branch .LBB111_1844
.LBB111_1830:
	s_mov_b32 s10, -1
	s_mov_b32 s7, s46
                                        ; implicit-def: $vgpr10
	s_branch .LBB111_1839
.LBB111_1831:
	s_mov_b32 s10, -1
	s_mov_b32 s7, s46
	s_branch .LBB111_1833
.LBB111_1832:
	s_mov_b32 s7, -1
.LBB111_1833:
                                        ; implicit-def: $vgpr10
.LBB111_1834:
	s_and_b32 vcc_lo, exec_lo, s10
	s_cbranch_vccz .LBB111_1838
; %bb.1835:
	s_cmp_eq_u32 s6, 44
	s_cbranch_scc0 .LBB111_1837
; %bb.1836:
	global_load_u8 v1, v[8:9], off
	s_mov_b32 s7, 0
	s_mov_b32 s8, -1
	s_wait_loadcnt 0x0
	v_lshlrev_b32_e32 v3, 23, v1
	v_cmp_ne_u32_e32 vcc_lo, 0, v1
	s_delay_alu instid0(VALU_DEP_2) | instskip(NEXT) | instid1(VALU_DEP_1)
	v_cvt_i32_f32_e32 v3, v3
	v_cndmask_b32_e32 v10, 0, v3, vcc_lo
	s_branch .LBB111_1838
.LBB111_1837:
	s_mov_b32 s7, -1
                                        ; implicit-def: $vgpr10
.LBB111_1838:
	s_mov_b32 s10, 0
.LBB111_1839:
	s_delay_alu instid0(SALU_CYCLE_1)
	s_and_b32 vcc_lo, exec_lo, s10
	s_cbranch_vccz .LBB111_1843
; %bb.1840:
	s_cmp_eq_u32 s6, 29
	s_cbranch_scc0 .LBB111_1842
; %bb.1841:
	global_load_b64 v[10:11], v[8:9], off
	s_mov_b32 s7, 0
	s_mov_b32 s8, -1
	s_branch .LBB111_1843
.LBB111_1842:
	s_mov_b32 s7, -1
                                        ; implicit-def: $vgpr10
.LBB111_1843:
	s_mov_b32 s10, 0
.LBB111_1844:
	s_delay_alu instid0(SALU_CYCLE_1)
	s_and_b32 vcc_lo, exec_lo, s10
	s_cbranch_vccz .LBB111_1860
; %bb.1845:
	s_cmp_lt_i32 s6, 27
	s_cbranch_scc1 .LBB111_1848
; %bb.1846:
	s_cmp_gt_i32 s6, 27
	s_cbranch_scc0 .LBB111_1849
; %bb.1847:
	s_wait_loadcnt 0x0
	global_load_b32 v10, v[8:9], off
	s_mov_b32 s8, 0
	s_branch .LBB111_1850
.LBB111_1848:
	s_mov_b32 s8, -1
                                        ; implicit-def: $vgpr10
	s_branch .LBB111_1853
.LBB111_1849:
	s_mov_b32 s8, -1
                                        ; implicit-def: $vgpr10
.LBB111_1850:
	s_delay_alu instid0(SALU_CYCLE_1)
	s_and_not1_b32 vcc_lo, exec_lo, s8
	s_cbranch_vccnz .LBB111_1852
; %bb.1851:
	s_wait_loadcnt 0x0
	global_load_u16 v10, v[8:9], off
.LBB111_1852:
	s_mov_b32 s8, 0
.LBB111_1853:
	s_delay_alu instid0(SALU_CYCLE_1)
	s_and_not1_b32 vcc_lo, exec_lo, s8
	s_cbranch_vccnz .LBB111_1859
; %bb.1854:
	global_load_u8 v1, v[8:9], off
	s_mov_b32 s10, 0
	s_mov_b32 s8, exec_lo
	s_wait_loadcnt 0x0
	v_cmpx_lt_i16_e32 0x7f, v1
	s_xor_b32 s8, exec_lo, s8
	s_cbranch_execz .LBB111_1870
; %bb.1855:
	v_cmp_ne_u16_e32 vcc_lo, 0x80, v1
	s_and_b32 s10, vcc_lo, exec_lo
	s_and_not1_saveexec_b32 s8, s8
	s_cbranch_execnz .LBB111_1871
.LBB111_1856:
	s_or_b32 exec_lo, exec_lo, s8
	v_mov_b32_e32 v10, 0
	s_and_saveexec_b32 s8, s10
	s_cbranch_execz .LBB111_1858
.LBB111_1857:
	v_and_b32_e32 v3, 0xffff, v1
	s_delay_alu instid0(VALU_DEP_1) | instskip(SKIP_1) | instid1(VALU_DEP_2)
	v_and_b32_e32 v5, 7, v3
	v_bfe_u32 v10, v3, 3, 4
	v_clz_i32_u32_e32 v6, v5
	s_delay_alu instid0(VALU_DEP_2) | instskip(NEXT) | instid1(VALU_DEP_2)
	v_cmp_eq_u32_e32 vcc_lo, 0, v10
	v_min_u32_e32 v6, 32, v6
	s_delay_alu instid0(VALU_DEP_1) | instskip(NEXT) | instid1(VALU_DEP_1)
	v_subrev_nc_u32_e32 v7, 28, v6
	v_dual_lshlrev_b32 v3, v7, v3 :: v_dual_sub_nc_u32 v6, 29, v6
	s_delay_alu instid0(VALU_DEP_1) | instskip(NEXT) | instid1(VALU_DEP_1)
	v_dual_lshlrev_b32 v1, 24, v1 :: v_dual_bitop2_b32 v3, 7, v3 bitop3:0x40
	v_dual_cndmask_b32 v6, v10, v6 :: v_dual_cndmask_b32 v3, v5, v3
	s_delay_alu instid0(VALU_DEP_2) | instskip(NEXT) | instid1(VALU_DEP_2)
	v_and_b32_e32 v1, 0x80000000, v1
	v_lshl_add_u32 v5, v6, 23, 0x3b800000
	s_delay_alu instid0(VALU_DEP_3) | instskip(NEXT) | instid1(VALU_DEP_1)
	v_lshlrev_b32_e32 v3, 20, v3
	v_or3_b32 v1, v1, v5, v3
	s_delay_alu instid0(VALU_DEP_1)
	v_cvt_i32_f32_e32 v10, v1
.LBB111_1858:
	s_or_b32 exec_lo, exec_lo, s8
.LBB111_1859:
	s_mov_b32 s8, -1
.LBB111_1860:
	s_branch .LBB111_1891
.LBB111_1861:
	s_cmp_gt_i32 s6, 22
	s_cbranch_scc0 .LBB111_1869
; %bb.1862:
	s_cmp_lt_i32 s6, 24
	s_cbranch_scc1 .LBB111_1872
; %bb.1863:
	s_cmp_gt_i32 s6, 24
	s_cbranch_scc0 .LBB111_1873
; %bb.1864:
	global_load_u8 v1, v[8:9], off
	s_mov_b32 s8, exec_lo
	s_wait_loadcnt 0x0
	v_cmpx_lt_i16_e32 0x7f, v1
	s_xor_b32 s8, exec_lo, s8
	s_cbranch_execz .LBB111_1885
; %bb.1865:
	v_cmp_ne_u16_e32 vcc_lo, 0x80, v1
	s_and_b32 s9, vcc_lo, exec_lo
	s_and_not1_saveexec_b32 s8, s8
	s_cbranch_execnz .LBB111_1886
.LBB111_1866:
	s_or_b32 exec_lo, exec_lo, s8
	v_mov_b32_e32 v10, 0
	s_and_saveexec_b32 s8, s9
	s_cbranch_execz .LBB111_1868
.LBB111_1867:
	v_and_b32_e32 v3, 0xffff, v1
	s_delay_alu instid0(VALU_DEP_1) | instskip(SKIP_1) | instid1(VALU_DEP_2)
	v_and_b32_e32 v5, 3, v3
	v_bfe_u32 v10, v3, 2, 5
	v_clz_i32_u32_e32 v6, v5
	s_delay_alu instid0(VALU_DEP_2) | instskip(NEXT) | instid1(VALU_DEP_2)
	v_cmp_eq_u32_e32 vcc_lo, 0, v10
	v_min_u32_e32 v6, 32, v6
	s_delay_alu instid0(VALU_DEP_1) | instskip(NEXT) | instid1(VALU_DEP_1)
	v_subrev_nc_u32_e32 v7, 29, v6
	v_dual_lshlrev_b32 v3, v7, v3 :: v_dual_sub_nc_u32 v6, 30, v6
	s_delay_alu instid0(VALU_DEP_1) | instskip(NEXT) | instid1(VALU_DEP_1)
	v_dual_lshlrev_b32 v1, 24, v1 :: v_dual_bitop2_b32 v3, 3, v3 bitop3:0x40
	v_dual_cndmask_b32 v6, v10, v6 :: v_dual_cndmask_b32 v3, v5, v3
	s_delay_alu instid0(VALU_DEP_2) | instskip(NEXT) | instid1(VALU_DEP_2)
	v_and_b32_e32 v1, 0x80000000, v1
	v_lshl_add_u32 v5, v6, 23, 0x37800000
	s_delay_alu instid0(VALU_DEP_3) | instskip(NEXT) | instid1(VALU_DEP_1)
	v_lshlrev_b32_e32 v3, 21, v3
	v_or3_b32 v1, v1, v5, v3
	s_delay_alu instid0(VALU_DEP_1)
	v_cvt_i32_f32_e32 v10, v1
.LBB111_1868:
	s_or_b32 exec_lo, exec_lo, s8
	s_mov_b32 s8, 0
	s_branch .LBB111_1874
.LBB111_1869:
	s_mov_b32 s9, -1
                                        ; implicit-def: $vgpr10
	s_branch .LBB111_1880
.LBB111_1870:
	s_and_not1_saveexec_b32 s8, s8
	s_cbranch_execz .LBB111_1856
.LBB111_1871:
	v_cmp_ne_u16_e32 vcc_lo, 0, v1
	s_and_not1_b32 s10, s10, exec_lo
	s_and_b32 s11, vcc_lo, exec_lo
	s_delay_alu instid0(SALU_CYCLE_1)
	s_or_b32 s10, s10, s11
	s_or_b32 exec_lo, exec_lo, s8
	v_mov_b32_e32 v10, 0
	s_and_saveexec_b32 s8, s10
	s_cbranch_execnz .LBB111_1857
	s_branch .LBB111_1858
.LBB111_1872:
	s_mov_b32 s8, -1
                                        ; implicit-def: $vgpr10
	s_branch .LBB111_1877
.LBB111_1873:
	s_mov_b32 s8, -1
                                        ; implicit-def: $vgpr10
.LBB111_1874:
	s_delay_alu instid0(SALU_CYCLE_1)
	s_and_b32 vcc_lo, exec_lo, s8
	s_cbranch_vccz .LBB111_1876
; %bb.1875:
	global_load_u8 v1, v[8:9], off
	s_wait_loadcnt 0x0
	v_lshlrev_b32_e32 v1, 24, v1
	s_delay_alu instid0(VALU_DEP_1) | instskip(NEXT) | instid1(VALU_DEP_1)
	v_and_b32_e32 v3, 0x7f000000, v1
	v_clz_i32_u32_e32 v5, v3
	v_add_nc_u32_e32 v7, 0x1000000, v3
	v_cmp_ne_u32_e32 vcc_lo, 0, v3
	s_delay_alu instid0(VALU_DEP_3) | instskip(NEXT) | instid1(VALU_DEP_1)
	v_min_u32_e32 v5, 32, v5
	v_sub_nc_u32_e64 v5, v5, 4 clamp
	s_delay_alu instid0(VALU_DEP_1) | instskip(NEXT) | instid1(VALU_DEP_1)
	v_dual_lshlrev_b32 v6, v5, v3 :: v_dual_lshlrev_b32 v5, 23, v5
	v_lshrrev_b32_e32 v6, 4, v6
	s_delay_alu instid0(VALU_DEP_1) | instskip(NEXT) | instid1(VALU_DEP_1)
	v_dual_sub_nc_u32 v5, v6, v5 :: v_dual_ashrrev_i32 v6, 8, v7
	v_add_nc_u32_e32 v5, 0x3c000000, v5
	s_delay_alu instid0(VALU_DEP_1) | instskip(NEXT) | instid1(VALU_DEP_1)
	v_and_or_b32 v5, 0x7f800000, v6, v5
	v_cndmask_b32_e32 v3, 0, v5, vcc_lo
	s_delay_alu instid0(VALU_DEP_1) | instskip(NEXT) | instid1(VALU_DEP_1)
	v_and_or_b32 v1, 0x80000000, v1, v3
	v_cvt_i32_f32_e32 v10, v1
.LBB111_1876:
	s_mov_b32 s8, 0
.LBB111_1877:
	s_delay_alu instid0(SALU_CYCLE_1)
	s_and_not1_b32 vcc_lo, exec_lo, s8
	s_cbranch_vccnz .LBB111_1879
; %bb.1878:
	global_load_u8 v1, v[8:9], off
	s_wait_loadcnt 0x0
	v_lshlrev_b32_e32 v3, 25, v1
	v_lshlrev_b16 v1, 8, v1
	s_delay_alu instid0(VALU_DEP_1) | instskip(SKIP_1) | instid1(VALU_DEP_2)
	v_and_or_b32 v6, 0x7f00, v1, 0.5
	v_bfe_i32 v1, v1, 0, 16
	v_dual_add_f32 v6, -0.5, v6 :: v_dual_lshrrev_b32 v5, 4, v3
	v_cmp_gt_u32_e32 vcc_lo, 0x8000000, v3
	s_delay_alu instid0(VALU_DEP_2) | instskip(NEXT) | instid1(VALU_DEP_1)
	v_or_b32_e32 v5, 0x70000000, v5
	v_mul_f32_e32 v5, 0x7800000, v5
	s_delay_alu instid0(VALU_DEP_1) | instskip(NEXT) | instid1(VALU_DEP_1)
	v_cndmask_b32_e32 v3, v5, v6, vcc_lo
	v_and_or_b32 v1, 0x80000000, v1, v3
	s_delay_alu instid0(VALU_DEP_1)
	v_cvt_i32_f32_e32 v10, v1
.LBB111_1879:
	s_mov_b32 s9, 0
	s_mov_b32 s8, -1
.LBB111_1880:
	s_and_not1_b32 vcc_lo, exec_lo, s9
	s_mov_b32 s9, 0
	s_cbranch_vccnz .LBB111_1891
; %bb.1881:
	s_cmp_gt_i32 s6, 14
	s_cbranch_scc0 .LBB111_1884
; %bb.1882:
	s_cmp_eq_u32 s6, 15
	s_cbranch_scc0 .LBB111_1887
; %bb.1883:
	global_load_u16 v1, v[8:9], off
	s_mov_b32 s7, 0
	s_mov_b32 s8, -1
	s_wait_loadcnt 0x0
	v_lshlrev_b32_e32 v1, 16, v1
	s_delay_alu instid0(VALU_DEP_1)
	v_cvt_i32_f32_e32 v10, v1
	s_branch .LBB111_1889
.LBB111_1884:
	s_mov_b32 s9, -1
	s_branch .LBB111_1888
.LBB111_1885:
	s_and_not1_saveexec_b32 s8, s8
	s_cbranch_execz .LBB111_1866
.LBB111_1886:
	v_cmp_ne_u16_e32 vcc_lo, 0, v1
	s_and_not1_b32 s9, s9, exec_lo
	s_and_b32 s10, vcc_lo, exec_lo
	s_delay_alu instid0(SALU_CYCLE_1)
	s_or_b32 s9, s9, s10
	s_or_b32 exec_lo, exec_lo, s8
	v_mov_b32_e32 v10, 0
	s_and_saveexec_b32 s8, s9
	s_cbranch_execnz .LBB111_1867
	s_branch .LBB111_1868
.LBB111_1887:
	s_mov_b32 s7, -1
.LBB111_1888:
                                        ; implicit-def: $vgpr10
.LBB111_1889:
	s_and_b32 vcc_lo, exec_lo, s9
	s_mov_b32 s9, 0
	s_cbranch_vccz .LBB111_1891
; %bb.1890:
	s_cmp_lg_u32 s6, 11
	s_mov_b32 s9, -1
	s_cselect_b32 s6, -1, 0
	s_and_not1_b32 s7, s7, exec_lo
	s_and_b32 s6, s6, exec_lo
	s_delay_alu instid0(SALU_CYCLE_1)
	s_or_b32 s7, s7, s6
.LBB111_1891:
	s_mov_b32 s6, 0
.LBB111_1892:
	s_and_not1_b32 s10, s46, exec_lo
	s_and_b32 s7, s7, exec_lo
	s_and_b32 s8, s8, exec_lo
	;; [unrolled: 1-line block ×4, first 2 shown]
	s_or_b32 s46, s10, s7
	s_wait_xcnt 0x0
	s_or_b32 exec_lo, exec_lo, s0
	s_and_saveexec_b32 s0, s46
	s_cbranch_execz .LBB111_1825
.LBB111_1893:
	s_or_b32 s1, s1, exec_lo
	s_and_not1_b32 s9, s9, exec_lo
	s_trap 2
	s_or_b32 exec_lo, exec_lo, s0
	s_and_saveexec_b32 s0, s9
	s_delay_alu instid0(SALU_CYCLE_1)
	s_xor_b32 s0, exec_lo, s0
	s_cbranch_execnz .LBB111_1826
.LBB111_1894:
	s_or_b32 exec_lo, exec_lo, s0
	s_and_saveexec_b32 s0, s6
	s_cbranch_execz .LBB111_1940
.LBB111_1895:
	s_sext_i32_i16 s6, s21
	s_delay_alu instid0(SALU_CYCLE_1)
	s_cmp_lt_i32 s6, 5
	s_cbranch_scc1 .LBB111_1900
; %bb.1896:
	s_cmp_lt_i32 s6, 8
	s_cbranch_scc1 .LBB111_1901
; %bb.1897:
	;; [unrolled: 3-line block ×3, first 2 shown]
	s_cmp_gt_i32 s6, 9
	s_cbranch_scc0 .LBB111_1903
; %bb.1899:
	s_wait_loadcnt 0x0
	global_load_b64 v[6:7], v[8:9], off
	s_mov_b32 s6, 0
	s_wait_loadcnt 0x0
	v_cvt_i32_f64_e32 v10, v[6:7]
	s_branch .LBB111_1904
.LBB111_1900:
                                        ; implicit-def: $vgpr10
	s_branch .LBB111_1921
.LBB111_1901:
                                        ; implicit-def: $vgpr10
	s_branch .LBB111_1910
.LBB111_1902:
	s_mov_b32 s6, -1
                                        ; implicit-def: $vgpr10
	s_branch .LBB111_1907
.LBB111_1903:
	s_mov_b32 s6, -1
                                        ; implicit-def: $vgpr10
.LBB111_1904:
	s_delay_alu instid0(SALU_CYCLE_1)
	s_and_not1_b32 vcc_lo, exec_lo, s6
	s_cbranch_vccnz .LBB111_1906
; %bb.1905:
	s_wait_loadcnt 0x0
	global_load_b32 v1, v[8:9], off
	s_wait_loadcnt 0x0
	v_cvt_i32_f32_e32 v10, v1
.LBB111_1906:
	s_mov_b32 s6, 0
.LBB111_1907:
	s_delay_alu instid0(SALU_CYCLE_1)
	s_and_not1_b32 vcc_lo, exec_lo, s6
	s_cbranch_vccnz .LBB111_1909
; %bb.1908:
	s_wait_loadcnt 0x0
	global_load_b32 v1, v[8:9], off
	s_wait_loadcnt 0x0
	v_cvt_i16_f16_e32 v10, v1
.LBB111_1909:
	s_cbranch_execnz .LBB111_1920
.LBB111_1910:
	s_sext_i32_i16 s6, s21
	s_delay_alu instid0(SALU_CYCLE_1)
	s_cmp_lt_i32 s6, 6
	s_cbranch_scc1 .LBB111_1913
; %bb.1911:
	s_cmp_gt_i32 s6, 6
	s_cbranch_scc0 .LBB111_1914
; %bb.1912:
	s_wait_loadcnt 0x0
	global_load_b64 v[6:7], v[8:9], off
	s_mov_b32 s6, 0
	s_wait_loadcnt 0x0
	v_cvt_i32_f64_e32 v10, v[6:7]
	s_branch .LBB111_1915
.LBB111_1913:
	s_mov_b32 s6, -1
                                        ; implicit-def: $vgpr10
	s_branch .LBB111_1918
.LBB111_1914:
	s_mov_b32 s6, -1
                                        ; implicit-def: $vgpr10
.LBB111_1915:
	s_delay_alu instid0(SALU_CYCLE_1)
	s_and_not1_b32 vcc_lo, exec_lo, s6
	s_cbranch_vccnz .LBB111_1917
; %bb.1916:
	s_wait_loadcnt 0x0
	global_load_b32 v1, v[8:9], off
	s_wait_loadcnt 0x0
	v_cvt_i32_f32_e32 v10, v1
.LBB111_1917:
	s_mov_b32 s6, 0
.LBB111_1918:
	s_delay_alu instid0(SALU_CYCLE_1)
	s_and_not1_b32 vcc_lo, exec_lo, s6
	s_cbranch_vccnz .LBB111_1920
; %bb.1919:
	s_wait_loadcnt 0x0
	global_load_u16 v1, v[8:9], off
	s_wait_loadcnt 0x0
	v_cvt_i16_f16_e32 v10, v1
.LBB111_1920:
	s_cbranch_execnz .LBB111_1939
.LBB111_1921:
	s_sext_i32_i16 s6, s21
	s_delay_alu instid0(SALU_CYCLE_1)
	s_cmp_lt_i32 s6, 2
	s_cbranch_scc1 .LBB111_1925
; %bb.1922:
	s_cmp_lt_i32 s6, 3
	s_cbranch_scc1 .LBB111_1926
; %bb.1923:
	s_cmp_gt_i32 s6, 3
	s_cbranch_scc0 .LBB111_1927
; %bb.1924:
	s_wait_loadcnt 0x0
	global_load_b64 v[10:11], v[8:9], off
	s_mov_b32 s6, 0
	s_branch .LBB111_1928
.LBB111_1925:
                                        ; implicit-def: $vgpr10
	s_branch .LBB111_1934
.LBB111_1926:
	s_mov_b32 s6, -1
                                        ; implicit-def: $vgpr10
	s_branch .LBB111_1931
.LBB111_1927:
	s_mov_b32 s6, -1
                                        ; implicit-def: $vgpr10
.LBB111_1928:
	s_delay_alu instid0(SALU_CYCLE_1)
	s_and_not1_b32 vcc_lo, exec_lo, s6
	s_cbranch_vccnz .LBB111_1930
; %bb.1929:
	s_wait_loadcnt 0x0
	global_load_b32 v10, v[8:9], off
.LBB111_1930:
	s_mov_b32 s6, 0
.LBB111_1931:
	s_delay_alu instid0(SALU_CYCLE_1)
	s_and_not1_b32 vcc_lo, exec_lo, s6
	s_cbranch_vccnz .LBB111_1933
; %bb.1932:
	s_wait_loadcnt 0x0
	global_load_u16 v10, v[8:9], off
.LBB111_1933:
	s_cbranch_execnz .LBB111_1939
.LBB111_1934:
	s_sext_i32_i16 s6, s21
	s_delay_alu instid0(SALU_CYCLE_1)
	s_cmp_gt_i32 s6, 0
	s_mov_b32 s6, 0
	s_cbranch_scc0 .LBB111_1936
; %bb.1935:
	s_wait_loadcnt 0x0
	global_load_u8 v10, v[8:9], off
	s_branch .LBB111_1937
.LBB111_1936:
	s_mov_b32 s6, -1
                                        ; implicit-def: $vgpr10
.LBB111_1937:
	s_delay_alu instid0(SALU_CYCLE_1)
	s_and_not1_b32 vcc_lo, exec_lo, s6
	s_cbranch_vccnz .LBB111_1939
; %bb.1938:
	s_wait_loadcnt 0x0
	global_load_u8 v10, v[8:9], off
.LBB111_1939:
	s_or_b32 s8, s8, exec_lo
.LBB111_1940:
	s_wait_xcnt 0x0
	s_or_b32 exec_lo, exec_lo, s0
	s_mov_b32 s0, 0
	s_mov_b32 s9, 0
                                        ; implicit-def: $sgpr6
                                        ; implicit-def: $vgpr6_vgpr7
                                        ; implicit-def: $vgpr1
	s_and_saveexec_b32 s7, s8
	s_cbranch_execz .LBB111_1948
; %bb.1941:
	s_wait_loadcnt 0x0
	v_bfe_i32 v0, v0, 0, 8
	v_bfe_i32 v1, v4, 0, 8
	v_mov_b32_e32 v3, 0
	s_delay_alu instid0(VALU_DEP_4) | instskip(SKIP_1) | instid1(VALU_DEP_3)
	v_bfe_i32 v4, v10, 0, 8
	s_and_b32 s6, s38, 0xff
	v_max_i16 v0, v1, v0
	s_delay_alu instid0(VALU_DEP_3) | instskip(SKIP_1) | instid1(VALU_DEP_2)
	v_add_nc_u64_e32 v[6:7], s[4:5], v[2:3]
	s_cmp_lt_i32 s6, 11
	v_min_i16 v1, v0, v4
	s_cbranch_scc1 .LBB111_1951
; %bb.1942:
	s_and_b32 s4, 0xffff, s6
	s_mov_b32 s5, -1
	s_cmp_gt_i32 s4, 25
	s_mov_b32 s0, s42
	s_cbranch_scc0 .LBB111_1979
; %bb.1943:
	s_cmp_gt_i32 s4, 28
	s_mov_b32 s0, s42
	s_cbranch_scc0 .LBB111_1963
; %bb.1944:
	;; [unrolled: 4-line block ×4, first 2 shown]
	s_cmp_eq_u32 s4, 46
	s_mov_b32 s0, -1
	s_cbranch_scc0 .LBB111_1952
; %bb.1947:
	v_bfe_i32 v0, v1, 0, 16
	s_mov_b32 s0, 0
	s_mov_b32 s5, 0
	s_delay_alu instid0(VALU_DEP_1) | instskip(NEXT) | instid1(VALU_DEP_1)
	v_cvt_f32_i32_e32 v0, v0
	v_bfe_u32 v2, v0, 16, 1
	s_delay_alu instid0(VALU_DEP_1) | instskip(NEXT) | instid1(VALU_DEP_1)
	v_add3_u32 v0, v0, v2, 0x7fff
	v_lshrrev_b32_e32 v0, 16, v0
	global_store_b32 v[6:7], v0, off
	s_branch .LBB111_1953
.LBB111_1948:
	s_or_b32 exec_lo, exec_lo, s7
	s_and_saveexec_b32 s4, s42
	s_cbranch_execnz .LBB111_2021
.LBB111_1949:
	s_or_b32 exec_lo, exec_lo, s4
	s_and_saveexec_b32 s4, s0
	s_delay_alu instid0(SALU_CYCLE_1)
	s_xor_b32 s0, exec_lo, s4
	s_cbranch_execz .LBB111_2022
.LBB111_1950:
	s_wait_loadcnt 0x0
	v_and_b32_e32 v0, 0xff, v1
	s_delay_alu instid0(VALU_DEP_1)
	v_cmp_ne_u16_e32 vcc_lo, 0, v0
	v_cndmask_b32_e64 v0, 0, 1, vcc_lo
	global_store_b8 v[6:7], v0, off
	s_wait_xcnt 0x0
	s_or_b32 exec_lo, exec_lo, s0
	s_and_saveexec_b32 s0, s9
	s_delay_alu instid0(SALU_CYCLE_1)
	s_xor_b32 s0, exec_lo, s0
	s_cbranch_execz .LBB111_2060
	s_branch .LBB111_2023
.LBB111_1951:
	s_mov_b32 s8, 0
	s_mov_b32 s5, -1
	s_mov_b32 s0, s42
	s_branch .LBB111_2020
.LBB111_1952:
	s_mov_b32 s5, 0
.LBB111_1953:
	s_delay_alu instid0(SALU_CYCLE_1)
	s_and_b32 vcc_lo, exec_lo, s5
	s_cbranch_vccz .LBB111_1958
; %bb.1954:
	s_cmp_eq_u32 s4, 44
	s_mov_b32 s0, -1
	s_cbranch_scc0 .LBB111_1958
; %bb.1955:
	s_wait_xcnt 0x0
	v_bfe_i32 v0, v1, 0, 16
	v_mov_b32_e32 v2, 0xff
	s_mov_b32 s5, exec_lo
	s_delay_alu instid0(VALU_DEP_2) | instskip(NEXT) | instid1(VALU_DEP_1)
	v_cvt_f32_i32_e32 v0, v0
	v_bfe_u32 v3, v0, 23, 8
	s_delay_alu instid0(VALU_DEP_1)
	v_cmpx_ne_u32_e32 0xff, v3
	s_cbranch_execz .LBB111_1957
; %bb.1956:
	v_and_b32_e32 v2, 0x400000, v0
	v_and_or_b32 v3, 0x3fffff, v0, v3
	v_lshrrev_b32_e32 v0, 23, v0
	s_delay_alu instid0(VALU_DEP_3) | instskip(NEXT) | instid1(VALU_DEP_3)
	v_cmp_ne_u32_e32 vcc_lo, 0, v2
	v_cmp_ne_u32_e64 s0, 0, v3
	s_and_b32 s0, vcc_lo, s0
	s_delay_alu instid0(SALU_CYCLE_1) | instskip(NEXT) | instid1(VALU_DEP_1)
	v_cndmask_b32_e64 v2, 0, 1, s0
	v_add_nc_u32_e32 v2, v0, v2
.LBB111_1957:
	s_or_b32 exec_lo, exec_lo, s5
	s_mov_b32 s0, 0
	global_store_b8 v[6:7], v2, off
.LBB111_1958:
	s_mov_b32 s5, 0
.LBB111_1959:
	s_delay_alu instid0(SALU_CYCLE_1)
	s_and_b32 vcc_lo, exec_lo, s5
	s_cbranch_vccz .LBB111_1962
; %bb.1960:
	s_cmp_eq_u32 s4, 29
	s_mov_b32 s0, -1
	s_cbranch_scc0 .LBB111_1962
; %bb.1961:
	s_wait_xcnt 0x0
	v_bfe_i32 v2, v1, 0, 16
	s_mov_b32 s0, 0
	s_mov_b32 s5, 0
	s_delay_alu instid0(VALU_DEP_1)
	v_ashrrev_i32_e32 v3, 31, v2
	global_store_b64 v[6:7], v[2:3], off
	s_branch .LBB111_1963
.LBB111_1962:
	s_mov_b32 s5, 0
.LBB111_1963:
	s_delay_alu instid0(SALU_CYCLE_1)
	s_and_b32 vcc_lo, exec_lo, s5
	s_cbranch_vccz .LBB111_1978
; %bb.1964:
	s_cmp_lt_i32 s4, 27
	s_mov_b32 s5, -1
	s_cbranch_scc1 .LBB111_1970
; %bb.1965:
	s_cmp_gt_i32 s4, 27
	s_cbranch_scc0 .LBB111_1967
; %bb.1966:
	s_wait_xcnt 0x0
	v_bfe_i32 v0, v1, 0, 16
	s_mov_b32 s5, 0
	global_store_b32 v[6:7], v0, off
.LBB111_1967:
	s_and_not1_b32 vcc_lo, exec_lo, s5
	s_cbranch_vccnz .LBB111_1969
; %bb.1968:
	global_store_b16 v[6:7], v1, off
.LBB111_1969:
	s_mov_b32 s5, 0
.LBB111_1970:
	s_delay_alu instid0(SALU_CYCLE_1)
	s_and_not1_b32 vcc_lo, exec_lo, s5
	s_cbranch_vccnz .LBB111_1978
; %bb.1971:
	s_wait_xcnt 0x0
	v_bfe_i32 v0, v1, 0, 16
	v_mov_b32_e32 v3, 0x80
	s_mov_b32 s5, exec_lo
	s_delay_alu instid0(VALU_DEP_2) | instskip(NEXT) | instid1(VALU_DEP_1)
	v_cvt_f32_i32_e32 v0, v0
	v_and_b32_e32 v2, 0x7fffffff, v0
	s_delay_alu instid0(VALU_DEP_1)
	v_cmpx_gt_u32_e32 0x43800000, v2
	s_cbranch_execz .LBB111_1977
; %bb.1972:
	v_cmp_lt_u32_e32 vcc_lo, 0x3bffffff, v2
	s_mov_b32 s8, 0
                                        ; implicit-def: $vgpr2
	s_and_saveexec_b32 s9, vcc_lo
	s_delay_alu instid0(SALU_CYCLE_1)
	s_xor_b32 s9, exec_lo, s9
	s_cbranch_execz .LBB111_2119
; %bb.1973:
	v_bfe_u32 v2, v0, 20, 1
	s_mov_b32 s8, exec_lo
	s_delay_alu instid0(VALU_DEP_1) | instskip(NEXT) | instid1(VALU_DEP_1)
	v_add3_u32 v2, v0, v2, 0x487ffff
	v_lshrrev_b32_e32 v2, 20, v2
	s_and_not1_saveexec_b32 s9, s9
	s_cbranch_execnz .LBB111_2120
.LBB111_1974:
	s_or_b32 exec_lo, exec_lo, s9
	v_mov_b32_e32 v3, 0
	s_and_saveexec_b32 s9, s8
.LBB111_1975:
	v_lshrrev_b32_e32 v0, 24, v0
	s_delay_alu instid0(VALU_DEP_1)
	v_and_or_b32 v3, 0x80, v0, v2
.LBB111_1976:
	s_or_b32 exec_lo, exec_lo, s9
.LBB111_1977:
	s_delay_alu instid0(SALU_CYCLE_1)
	s_or_b32 exec_lo, exec_lo, s5
	global_store_b8 v[6:7], v3, off
.LBB111_1978:
	s_mov_b32 s5, 0
.LBB111_1979:
	s_delay_alu instid0(SALU_CYCLE_1)
	s_and_b32 vcc_lo, exec_lo, s5
	s_mov_b32 s5, 0
	s_cbranch_vccz .LBB111_2019
; %bb.1980:
	s_cmp_gt_i32 s4, 22
	s_mov_b32 s8, -1
	s_cbranch_scc0 .LBB111_2012
; %bb.1981:
	s_cmp_lt_i32 s4, 24
	s_cbranch_scc1 .LBB111_2001
; %bb.1982:
	s_cmp_gt_i32 s4, 24
	s_cbranch_scc0 .LBB111_1990
; %bb.1983:
	s_wait_xcnt 0x0
	v_bfe_i32 v0, v1, 0, 16
	v_mov_b32_e32 v3, 0x80
	s_mov_b32 s8, exec_lo
	s_delay_alu instid0(VALU_DEP_2) | instskip(NEXT) | instid1(VALU_DEP_1)
	v_cvt_f32_i32_e32 v0, v0
	v_and_b32_e32 v2, 0x7fffffff, v0
	s_delay_alu instid0(VALU_DEP_1)
	v_cmpx_gt_u32_e32 0x47800000, v2
	s_cbranch_execz .LBB111_1989
; %bb.1984:
	v_cmp_lt_u32_e32 vcc_lo, 0x37ffffff, v2
	s_mov_b32 s9, 0
                                        ; implicit-def: $vgpr2
	s_and_saveexec_b32 s10, vcc_lo
	s_delay_alu instid0(SALU_CYCLE_1)
	s_xor_b32 s10, exec_lo, s10
	s_cbranch_execz .LBB111_2240
; %bb.1985:
	v_bfe_u32 v2, v0, 21, 1
	s_mov_b32 s9, exec_lo
	s_delay_alu instid0(VALU_DEP_1) | instskip(NEXT) | instid1(VALU_DEP_1)
	v_add3_u32 v2, v0, v2, 0x88fffff
	v_lshrrev_b32_e32 v2, 21, v2
	s_and_not1_saveexec_b32 s10, s10
	s_cbranch_execnz .LBB111_2241
.LBB111_1986:
	s_or_b32 exec_lo, exec_lo, s10
	v_mov_b32_e32 v3, 0
	s_and_saveexec_b32 s10, s9
.LBB111_1987:
	v_lshrrev_b32_e32 v0, 24, v0
	s_delay_alu instid0(VALU_DEP_1)
	v_and_or_b32 v3, 0x80, v0, v2
.LBB111_1988:
	s_or_b32 exec_lo, exec_lo, s10
.LBB111_1989:
	s_delay_alu instid0(SALU_CYCLE_1)
	s_or_b32 exec_lo, exec_lo, s8
	s_mov_b32 s8, 0
	global_store_b8 v[6:7], v3, off
.LBB111_1990:
	s_and_b32 vcc_lo, exec_lo, s8
	s_cbranch_vccz .LBB111_2000
; %bb.1991:
	s_wait_xcnt 0x0
	v_bfe_i32 v0, v1, 0, 16
	s_mov_b32 s8, exec_lo
                                        ; implicit-def: $vgpr2
	s_delay_alu instid0(VALU_DEP_1) | instskip(NEXT) | instid1(VALU_DEP_1)
	v_cvt_f32_i32_e32 v0, v0
	v_and_b32_e32 v3, 0x7fffffff, v0
	s_delay_alu instid0(VALU_DEP_1)
	v_cmpx_gt_u32_e32 0x43f00000, v3
	s_xor_b32 s8, exec_lo, s8
	s_cbranch_execz .LBB111_1997
; %bb.1992:
	s_mov_b32 s9, exec_lo
                                        ; implicit-def: $vgpr2
	v_cmpx_lt_u32_e32 0x3c7fffff, v3
	s_xor_b32 s9, exec_lo, s9
; %bb.1993:
	v_bfe_u32 v2, v0, 20, 1
	s_delay_alu instid0(VALU_DEP_1) | instskip(NEXT) | instid1(VALU_DEP_1)
	v_add3_u32 v2, v0, v2, 0x407ffff
	v_and_b32_e32 v3, 0xff00000, v2
	v_lshrrev_b32_e32 v2, 20, v2
	s_delay_alu instid0(VALU_DEP_2) | instskip(NEXT) | instid1(VALU_DEP_2)
	v_cmp_ne_u32_e32 vcc_lo, 0x7f00000, v3
	v_cndmask_b32_e32 v2, 0x7e, v2, vcc_lo
; %bb.1994:
	s_and_not1_saveexec_b32 s9, s9
; %bb.1995:
	v_add_f32_e64 v2, 0x46800000, |v0|
; %bb.1996:
	s_or_b32 exec_lo, exec_lo, s9
                                        ; implicit-def: $vgpr3
.LBB111_1997:
	s_and_not1_saveexec_b32 s8, s8
; %bb.1998:
	v_mov_b32_e32 v2, 0x7f
	v_cmp_lt_u32_e32 vcc_lo, 0x7f800000, v3
	s_delay_alu instid0(VALU_DEP_2)
	v_cndmask_b32_e32 v2, 0x7e, v2, vcc_lo
; %bb.1999:
	s_or_b32 exec_lo, exec_lo, s8
	v_lshrrev_b32_e32 v0, 24, v0
	s_delay_alu instid0(VALU_DEP_1)
	v_and_or_b32 v0, 0x80, v0, v2
	global_store_b8 v[6:7], v0, off
.LBB111_2000:
	s_mov_b32 s8, 0
.LBB111_2001:
	s_delay_alu instid0(SALU_CYCLE_1)
	s_and_not1_b32 vcc_lo, exec_lo, s8
	s_cbranch_vccnz .LBB111_2011
; %bb.2002:
	s_wait_xcnt 0x0
	v_bfe_i32 v0, v1, 0, 16
	s_mov_b32 s8, exec_lo
                                        ; implicit-def: $vgpr2
	s_delay_alu instid0(VALU_DEP_1) | instskip(NEXT) | instid1(VALU_DEP_1)
	v_cvt_f32_i32_e32 v0, v0
	v_and_b32_e32 v3, 0x7fffffff, v0
	s_delay_alu instid0(VALU_DEP_1)
	v_cmpx_gt_u32_e32 0x47800000, v3
	s_xor_b32 s8, exec_lo, s8
	s_cbranch_execz .LBB111_2008
; %bb.2003:
	s_mov_b32 s9, exec_lo
                                        ; implicit-def: $vgpr2
	v_cmpx_lt_u32_e32 0x387fffff, v3
	s_xor_b32 s9, exec_lo, s9
; %bb.2004:
	v_bfe_u32 v2, v0, 21, 1
	s_delay_alu instid0(VALU_DEP_1) | instskip(NEXT) | instid1(VALU_DEP_1)
	v_add3_u32 v2, v0, v2, 0x80fffff
	v_lshrrev_b32_e32 v2, 21, v2
; %bb.2005:
	s_and_not1_saveexec_b32 s9, s9
; %bb.2006:
	v_add_f32_e64 v2, 0x43000000, |v0|
; %bb.2007:
	s_or_b32 exec_lo, exec_lo, s9
                                        ; implicit-def: $vgpr3
.LBB111_2008:
	s_and_not1_saveexec_b32 s8, s8
; %bb.2009:
	v_mov_b32_e32 v2, 0x7f
	v_cmp_lt_u32_e32 vcc_lo, 0x7f800000, v3
	s_delay_alu instid0(VALU_DEP_2)
	v_cndmask_b32_e32 v2, 0x7c, v2, vcc_lo
; %bb.2010:
	s_or_b32 exec_lo, exec_lo, s8
	v_lshrrev_b32_e32 v0, 24, v0
	s_delay_alu instid0(VALU_DEP_1)
	v_and_or_b32 v0, 0x80, v0, v2
	global_store_b8 v[6:7], v0, off
.LBB111_2011:
	s_mov_b32 s8, 0
.LBB111_2012:
	s_delay_alu instid0(SALU_CYCLE_1)
	s_and_not1_b32 vcc_lo, exec_lo, s8
	s_mov_b32 s8, 0
	s_cbranch_vccnz .LBB111_2020
; %bb.2013:
	s_cmp_gt_i32 s4, 14
	s_mov_b32 s8, -1
	s_cbranch_scc0 .LBB111_2017
; %bb.2014:
	s_cmp_eq_u32 s4, 15
	s_mov_b32 s0, -1
	s_cbranch_scc0 .LBB111_2016
; %bb.2015:
	s_wait_xcnt 0x0
	v_bfe_i32 v0, v1, 0, 16
	s_mov_b32 s0, 0
	s_delay_alu instid0(VALU_DEP_1) | instskip(NEXT) | instid1(VALU_DEP_1)
	v_cvt_f32_i32_e32 v0, v0
	v_bfe_u32 v2, v0, 16, 1
	s_delay_alu instid0(VALU_DEP_1)
	v_add3_u32 v0, v0, v2, 0x7fff
	global_store_d16_hi_b16 v[6:7], v0, off
.LBB111_2016:
	s_mov_b32 s8, 0
.LBB111_2017:
	s_delay_alu instid0(SALU_CYCLE_1)
	s_and_b32 vcc_lo, exec_lo, s8
	s_mov_b32 s8, 0
	s_cbranch_vccz .LBB111_2020
; %bb.2018:
	s_cmp_lg_u32 s4, 11
	s_mov_b32 s8, -1
	s_cselect_b32 s4, -1, 0
	s_and_not1_b32 s0, s0, exec_lo
	s_and_b32 s4, s4, exec_lo
	s_delay_alu instid0(SALU_CYCLE_1)
	s_or_b32 s0, s0, s4
	s_branch .LBB111_2020
.LBB111_2019:
	s_mov_b32 s8, 0
.LBB111_2020:
	s_and_b32 s9, s5, exec_lo
	s_and_not1_b32 s4, s42, exec_lo
	s_and_b32 s5, s0, exec_lo
	s_and_b32 s0, s8, exec_lo
	s_or_b32 s42, s4, s5
	s_wait_xcnt 0x0
	s_or_b32 exec_lo, exec_lo, s7
	s_and_saveexec_b32 s4, s42
	s_cbranch_execz .LBB111_1949
.LBB111_2021:
	s_or_b32 s1, s1, exec_lo
	s_and_not1_b32 s0, s0, exec_lo
	s_trap 2
	s_or_b32 exec_lo, exec_lo, s4
	s_and_saveexec_b32 s4, s0
	s_delay_alu instid0(SALU_CYCLE_1)
	s_xor_b32 s0, exec_lo, s4
	s_cbranch_execnz .LBB111_1950
.LBB111_2022:
	s_or_b32 exec_lo, exec_lo, s0
	s_and_saveexec_b32 s0, s9
	s_delay_alu instid0(SALU_CYCLE_1)
	s_xor_b32 s0, exec_lo, s0
	s_cbranch_execz .LBB111_2060
.LBB111_2023:
	s_sext_i32_i16 s5, s6
	s_mov_b32 s4, -1
	s_cmp_lt_i32 s5, 5
	s_cbranch_scc1 .LBB111_2044
; %bb.2024:
	s_cmp_lt_i32 s5, 8
	s_cbranch_scc1 .LBB111_2034
; %bb.2025:
	;; [unrolled: 3-line block ×3, first 2 shown]
	s_cmp_gt_i32 s5, 9
	s_cbranch_scc0 .LBB111_2028
; %bb.2027:
	s_wait_loadcnt 0x0
	v_bfe_i32 v0, v1, 0, 8
	v_mov_b32_e32 v4, 0
	s_mov_b32 s4, 0
	s_delay_alu instid0(VALU_DEP_2) | instskip(NEXT) | instid1(VALU_DEP_2)
	v_bfe_i32 v0, v0, 0, 16
	v_mov_b32_e32 v5, v4
	s_delay_alu instid0(VALU_DEP_2)
	v_cvt_f64_i32_e32 v[2:3], v0
	global_store_b128 v[6:7], v[2:5], off
.LBB111_2028:
	s_and_not1_b32 vcc_lo, exec_lo, s4
	s_cbranch_vccnz .LBB111_2030
; %bb.2029:
	s_wait_loadcnt 0x0
	v_bfe_i32 v0, v1, 0, 8
	s_wait_xcnt 0x0
	v_mov_b32_e32 v3, 0
	s_delay_alu instid0(VALU_DEP_2) | instskip(NEXT) | instid1(VALU_DEP_1)
	v_bfe_i32 v0, v0, 0, 16
	v_cvt_f32_i32_e32 v2, v0
	global_store_b64 v[6:7], v[2:3], off
.LBB111_2030:
	s_mov_b32 s4, 0
.LBB111_2031:
	s_delay_alu instid0(SALU_CYCLE_1)
	s_and_not1_b32 vcc_lo, exec_lo, s4
	s_cbranch_vccnz .LBB111_2033
; %bb.2032:
	s_wait_loadcnt 0x0
	v_bfe_i32 v0, v1, 0, 8
	s_delay_alu instid0(VALU_DEP_1) | instskip(NEXT) | instid1(VALU_DEP_1)
	v_cvt_f16_i16_e32 v0, v0
	v_and_b32_e32 v0, 0xffff, v0
	global_store_b32 v[6:7], v0, off
.LBB111_2033:
	s_mov_b32 s4, 0
.LBB111_2034:
	s_delay_alu instid0(SALU_CYCLE_1)
	s_and_not1_b32 vcc_lo, exec_lo, s4
	s_cbranch_vccnz .LBB111_2043
; %bb.2035:
	s_sext_i32_i16 s5, s6
	s_mov_b32 s4, -1
	s_cmp_lt_i32 s5, 6
	s_cbranch_scc1 .LBB111_2041
; %bb.2036:
	s_cmp_gt_i32 s5, 6
	s_cbranch_scc0 .LBB111_2038
; %bb.2037:
	s_wait_loadcnt 0x0
	v_bfe_i32 v0, v1, 0, 8
	s_mov_b32 s4, 0
	s_delay_alu instid0(VALU_DEP_1) | instskip(NEXT) | instid1(VALU_DEP_1)
	v_bfe_i32 v0, v0, 0, 16
	v_cvt_f64_i32_e32 v[2:3], v0
	global_store_b64 v[6:7], v[2:3], off
.LBB111_2038:
	s_and_not1_b32 vcc_lo, exec_lo, s4
	s_cbranch_vccnz .LBB111_2040
; %bb.2039:
	s_wait_loadcnt 0x0
	v_bfe_i32 v0, v1, 0, 8
	s_delay_alu instid0(VALU_DEP_1) | instskip(NEXT) | instid1(VALU_DEP_1)
	v_bfe_i32 v0, v0, 0, 16
	v_cvt_f32_i32_e32 v0, v0
	global_store_b32 v[6:7], v0, off
.LBB111_2040:
	s_mov_b32 s4, 0
.LBB111_2041:
	s_delay_alu instid0(SALU_CYCLE_1)
	s_and_not1_b32 vcc_lo, exec_lo, s4
	s_cbranch_vccnz .LBB111_2043
; %bb.2042:
	s_wait_loadcnt 0x0
	v_bfe_i32 v0, v1, 0, 8
	s_delay_alu instid0(VALU_DEP_1)
	v_cvt_f16_i16_e32 v0, v0
	global_store_b16 v[6:7], v0, off
.LBB111_2043:
	s_mov_b32 s4, 0
.LBB111_2044:
	s_delay_alu instid0(SALU_CYCLE_1)
	s_and_not1_b32 vcc_lo, exec_lo, s4
	s_cbranch_vccnz .LBB111_2060
; %bb.2045:
	s_sext_i32_i16 s5, s6
	s_mov_b32 s4, -1
	s_cmp_lt_i32 s5, 2
	s_cbranch_scc1 .LBB111_2055
; %bb.2046:
	s_cmp_lt_i32 s5, 3
	s_cbranch_scc1 .LBB111_2052
; %bb.2047:
	s_cmp_gt_i32 s5, 3
	s_cbranch_scc0 .LBB111_2049
; %bb.2048:
	s_wait_loadcnt 0x0
	v_bfe_i32 v2, v1, 0, 8
	s_mov_b32 s4, 0
	s_delay_alu instid0(VALU_DEP_1)
	v_ashrrev_i32_e32 v3, 31, v2
	global_store_b64 v[6:7], v[2:3], off
.LBB111_2049:
	s_and_not1_b32 vcc_lo, exec_lo, s4
	s_cbranch_vccnz .LBB111_2051
; %bb.2050:
	s_wait_loadcnt 0x0
	v_bfe_i32 v0, v1, 0, 8
	global_store_b32 v[6:7], v0, off
.LBB111_2051:
	s_mov_b32 s4, 0
.LBB111_2052:
	s_delay_alu instid0(SALU_CYCLE_1)
	s_and_not1_b32 vcc_lo, exec_lo, s4
	s_cbranch_vccnz .LBB111_2054
; %bb.2053:
	s_wait_loadcnt 0x0
	v_bfe_i32 v0, v1, 0, 8
	global_store_b16 v[6:7], v0, off
.LBB111_2054:
	s_mov_b32 s4, 0
.LBB111_2055:
	s_delay_alu instid0(SALU_CYCLE_1)
	s_and_not1_b32 vcc_lo, exec_lo, s4
	s_cbranch_vccnz .LBB111_2060
; %bb.2056:
	s_sext_i32_i16 s4, s6
	s_delay_alu instid0(SALU_CYCLE_1)
	s_cmp_gt_i32 s4, 0
	s_mov_b32 s4, -1
	s_cbranch_scc0 .LBB111_2058
; %bb.2057:
	s_mov_b32 s4, 0
	s_wait_loadcnt 0x0
	global_store_b8 v[6:7], v1, off
.LBB111_2058:
	s_and_not1_b32 vcc_lo, exec_lo, s4
	s_cbranch_vccnz .LBB111_2060
; %bb.2059:
	s_wait_loadcnt 0x0
	global_store_b8 v[6:7], v1, off
.LBB111_2060:
	s_wait_xcnt 0x0
	s_or_b32 exec_lo, exec_lo, s0
	s_delay_alu instid0(SALU_CYCLE_1)
	s_and_b32 s10, s1, exec_lo
                                        ; implicit-def: $vgpr5
                                        ; implicit-def: $vgpr0
.LBB111_2061:
	s_or_saveexec_b32 s11, s37
	s_mov_b32 s0, 0
                                        ; implicit-def: $vgpr2_vgpr3
                                        ; implicit-def: $sgpr1
                                        ; implicit-def: $vgpr1
	s_xor_b32 exec_lo, exec_lo, s11
	s_cbranch_execz .LBB111_4060
; %bb.2062:
	s_wait_loadcnt 0x0
	v_cndmask_b32_e64 v1, 0, 1, s36
	s_and_not1_b32 vcc_lo, exec_lo, s36
	s_cbranch_vccnz .LBB111_2068
; %bb.2063:
	s_cmp_lg_u32 s33, 0
	s_mov_b32 s6, 0
	s_cbranch_scc0 .LBB111_2072
; %bb.2064:
	s_min_u32 s7, s34, 15
	v_dual_mov_b32 v12, 0 :: v_dual_mov_b32 v2, v0
	v_dual_mov_b32 v18, 0 :: v_dual_mov_b32 v6, 0
	v_mov_b32_e32 v8, 0
	s_add_co_i32 s4, s7, 1
	s_mov_b64 s[0:1], 0xffffffffffffffe0
	s_and_b32 s8, s4, 30
	s_add_nc_u64 s[0:1], s[2:3], s[0:1]
	s_mov_b64 s[4:5], s[2:3]
.LBB111_2065:                           ; =>This Inner Loop Header: Depth=1
	s_clause 0x1
	s_load_b128 s[20:23], s[4:5], 0x4
	s_load_b64 s[24:25], s[4:5], 0x14
	s_load_b256 s[12:19], s[0:1], 0xe4
	s_add_co_i32 s8, s8, -2
	s_wait_xcnt 0x0
	s_add_nc_u64 s[4:5], s[4:5], 24
	s_cmp_lg_u32 s8, 0
	s_add_nc_u64 s[0:1], s[0:1], 32
	s_wait_kmcnt 0x0
	v_mul_hi_u32 v3, s21, v2
	s_delay_alu instid0(VALU_DEP_1) | instskip(NEXT) | instid1(VALU_DEP_1)
	v_add_nc_u32_e32 v3, v2, v3
	v_lshrrev_b32_e32 v3, s22, v3
	s_delay_alu instid0(VALU_DEP_1) | instskip(SKIP_1) | instid1(VALU_DEP_1)
	v_mul_hi_u32 v4, s24, v3
	v_mul_lo_u32 v7, v3, s20
	v_dual_add_nc_u32 v4, v3, v4 :: v_dual_sub_nc_u32 v7, v2, v7
	s_delay_alu instid0(VALU_DEP_1) | instskip(NEXT) | instid1(VALU_DEP_2)
	v_lshrrev_b32_e32 v2, s25, v4
	v_mad_u32 v8, v7, s13, v8
	v_mad_u32 v6, v7, s12, v6
	;; [unrolled: 1-line block ×4, first 2 shown]
	v_mul_lo_u32 v4, v2, s23
	s_delay_alu instid0(VALU_DEP_1) | instskip(NEXT) | instid1(VALU_DEP_1)
	v_sub_nc_u32_e32 v3, v3, v4
	v_mad_u32 v8, v3, s17, v8
	v_mad_u32 v6, v3, s16, v6
	v_mad_u32 v18, v3, s19, v9
	v_mad_u32 v12, v3, s18, v7
	s_cbranch_scc1 .LBB111_2065
; %bb.2066:
	s_bitcmp1_b32 s7, 0
	s_cselect_b32 s7, -1, 0
	s_delay_alu instid0(SALU_CYCLE_1)
	s_and_b32 vcc_lo, exec_lo, s7
	s_cbranch_vccnz .LBB111_2069
; %bb.2067:
	s_load_b96 s[16:18], s[4:5], 0x4
	s_load_b128 s[12:15], s[0:1], 0xe4
	s_wait_kmcnt 0x0
	v_mul_hi_u32 v3, s17, v2
	s_delay_alu instid0(VALU_DEP_1) | instskip(NEXT) | instid1(VALU_DEP_1)
	v_add_nc_u32_e32 v3, v2, v3
	v_lshrrev_b32_e32 v3, s18, v3
	s_delay_alu instid0(VALU_DEP_1) | instskip(NEXT) | instid1(VALU_DEP_1)
	v_mul_lo_u32 v3, v3, s16
	v_sub_nc_u32_e32 v2, v2, v3
	s_delay_alu instid0(VALU_DEP_1)
	v_mad_u32 v6, v2, s12, v6
	v_mad_u32 v8, v2, s13, v8
	;; [unrolled: 1-line block ×4, first 2 shown]
	s_and_not1_b32 vcc_lo, exec_lo, s6
	s_cbranch_vccz .LBB111_2070
	s_branch .LBB111_2073
.LBB111_2068:
	s_mov_b32 s6, -1
                                        ; implicit-def: $vgpr8
                                        ; implicit-def: $vgpr6
                                        ; implicit-def: $vgpr18
                                        ; implicit-def: $vgpr12
.LBB111_2069:
	s_delay_alu instid0(SALU_CYCLE_1)
	s_and_not1_b32 vcc_lo, exec_lo, s6
	s_cbranch_vccnz .LBB111_2073
.LBB111_2070:
	s_clause 0x1
	s_load_b96 s[12:14], s[2:3], 0x4
	s_load_b128 s[4:7], s[2:3], 0xc4
	s_cmp_lt_u32 s33, 2
	s_wait_kmcnt 0x0
	v_mul_hi_u32 v2, s13, v0
	s_delay_alu instid0(VALU_DEP_1) | instskip(NEXT) | instid1(VALU_DEP_1)
	v_add_nc_u32_e32 v2, v0, v2
	v_lshrrev_b32_e32 v2, s14, v2
	s_delay_alu instid0(VALU_DEP_1) | instskip(NEXT) | instid1(VALU_DEP_1)
	v_mul_lo_u32 v3, v2, s12
	v_sub_nc_u32_e32 v3, v0, v3
	s_delay_alu instid0(VALU_DEP_1)
	v_mul_lo_u32 v8, v3, s5
	v_mul_lo_u32 v6, v3, s4
	;; [unrolled: 1-line block ×4, first 2 shown]
	s_cbranch_scc1 .LBB111_2073
; %bb.2071:
	s_clause 0x1
	s_load_b96 s[12:14], s[2:3], 0x10
	s_load_b128 s[4:7], s[2:3], 0xd4
	s_wait_kmcnt 0x0
	v_mul_hi_u32 v3, s13, v2
	s_delay_alu instid0(VALU_DEP_1) | instskip(NEXT) | instid1(VALU_DEP_1)
	v_add_nc_u32_e32 v3, v2, v3
	v_lshrrev_b32_e32 v3, s14, v3
	s_delay_alu instid0(VALU_DEP_1) | instskip(NEXT) | instid1(VALU_DEP_1)
	v_mul_lo_u32 v3, v3, s12
	v_sub_nc_u32_e32 v2, v2, v3
	s_delay_alu instid0(VALU_DEP_1)
	v_mad_u32 v6, v2, s4, v6
	v_mad_u32 v8, v2, s5, v8
	;; [unrolled: 1-line block ×4, first 2 shown]
	s_branch .LBB111_2073
.LBB111_2072:
	v_dual_mov_b32 v8, 0 :: v_dual_mov_b32 v6, 0
	v_dual_mov_b32 v18, 0 :: v_dual_mov_b32 v12, 0
	s_and_not1_b32 vcc_lo, exec_lo, s6
	s_cbranch_vccz .LBB111_2070
.LBB111_2073:
	v_cmp_ne_u32_e32 vcc_lo, 1, v1
	v_add_nc_u32_e32 v2, 0x80, v0
	s_cbranch_vccnz .LBB111_2079
; %bb.2074:
	s_cmp_lg_u32 s33, 0
	s_mov_b32 s6, 0
	s_cbranch_scc0 .LBB111_2083
; %bb.2075:
	s_min_u32 s7, s34, 15
	v_dual_mov_b32 v22, 0 :: v_dual_mov_b32 v3, v2
	v_dual_mov_b32 v28, 0 :: v_dual_mov_b32 v4, 0
	v_mov_b32_e32 v16, 0
	s_add_co_i32 s4, s7, 1
	s_mov_b64 s[0:1], 0xffffffffffffffe0
	s_and_b32 s8, s4, 30
	s_add_nc_u64 s[0:1], s[2:3], s[0:1]
	s_mov_b64 s[4:5], s[2:3]
.LBB111_2076:                           ; =>This Inner Loop Header: Depth=1
	s_clause 0x1
	s_load_b128 s[20:23], s[4:5], 0x4
	s_load_b64 s[24:25], s[4:5], 0x14
	s_load_b256 s[12:19], s[0:1], 0xe4
	s_add_co_i32 s8, s8, -2
	s_wait_xcnt 0x0
	s_add_nc_u64 s[4:5], s[4:5], 24
	s_cmp_lg_u32 s8, 0
	s_add_nc_u64 s[0:1], s[0:1], 32
	s_wait_kmcnt 0x0
	v_mul_hi_u32 v7, s21, v3
	s_delay_alu instid0(VALU_DEP_1) | instskip(NEXT) | instid1(VALU_DEP_1)
	v_add_nc_u32_e32 v7, v3, v7
	v_lshrrev_b32_e32 v7, s22, v7
	s_delay_alu instid0(VALU_DEP_1) | instskip(SKIP_1) | instid1(VALU_DEP_2)
	v_mul_hi_u32 v9, s24, v7
	v_mul_lo_u32 v10, v7, s20
	v_add_nc_u32_e32 v9, v7, v9
	s_delay_alu instid0(VALU_DEP_1) | instskip(NEXT) | instid1(VALU_DEP_1)
	v_dual_sub_nc_u32 v10, v3, v10 :: v_dual_lshrrev_b32 v3, s25, v9
	v_mad_u32 v11, v10, s13, v16
	v_mad_u32 v4, v10, s12, v4
	;; [unrolled: 1-line block ×4, first 2 shown]
	v_mul_lo_u32 v9, v3, s23
	s_delay_alu instid0(VALU_DEP_1) | instskip(NEXT) | instid1(VALU_DEP_1)
	v_sub_nc_u32_e32 v7, v7, v9
	v_mad_u32 v16, v7, s17, v11
	v_mad_u32 v4, v7, s16, v4
	;; [unrolled: 1-line block ×4, first 2 shown]
	s_cbranch_scc1 .LBB111_2076
; %bb.2077:
	s_bitcmp1_b32 s7, 0
	s_cselect_b32 s7, -1, 0
	s_delay_alu instid0(SALU_CYCLE_1)
	s_and_b32 vcc_lo, exec_lo, s7
	s_cbranch_vccnz .LBB111_2080
; %bb.2078:
	s_load_b96 s[16:18], s[4:5], 0x4
	s_load_b128 s[12:15], s[0:1], 0xe4
	s_wait_kmcnt 0x0
	v_mul_hi_u32 v7, s17, v3
	s_delay_alu instid0(VALU_DEP_1) | instskip(NEXT) | instid1(VALU_DEP_1)
	v_add_nc_u32_e32 v7, v3, v7
	v_lshrrev_b32_e32 v7, s18, v7
	s_delay_alu instid0(VALU_DEP_1) | instskip(NEXT) | instid1(VALU_DEP_1)
	v_mul_lo_u32 v7, v7, s16
	v_sub_nc_u32_e32 v3, v3, v7
	s_delay_alu instid0(VALU_DEP_1)
	v_mad_u32 v4, v3, s12, v4
	v_mad_u32 v16, v3, s13, v16
	v_mad_u32 v22, v3, s14, v22
	v_mad_u32 v28, v3, s15, v28
	s_and_not1_b32 vcc_lo, exec_lo, s6
	s_cbranch_vccz .LBB111_2081
	s_branch .LBB111_2084
.LBB111_2079:
	s_mov_b32 s6, -1
                                        ; implicit-def: $vgpr16
                                        ; implicit-def: $vgpr4
                                        ; implicit-def: $vgpr28
                                        ; implicit-def: $vgpr22
.LBB111_2080:
	s_delay_alu instid0(SALU_CYCLE_1)
	s_and_not1_b32 vcc_lo, exec_lo, s6
	s_cbranch_vccnz .LBB111_2084
.LBB111_2081:
	s_clause 0x1
	s_load_b96 s[12:14], s[2:3], 0x4
	s_load_b128 s[4:7], s[2:3], 0xc4
	s_cmp_lt_u32 s33, 2
	s_wait_kmcnt 0x0
	v_mul_hi_u32 v3, s13, v2
	s_delay_alu instid0(VALU_DEP_1) | instskip(NEXT) | instid1(VALU_DEP_1)
	v_add_nc_u32_e32 v3, v2, v3
	v_lshrrev_b32_e32 v3, s14, v3
	s_delay_alu instid0(VALU_DEP_1) | instskip(NEXT) | instid1(VALU_DEP_1)
	v_mul_lo_u32 v4, v3, s12
	v_sub_nc_u32_e32 v2, v2, v4
	s_delay_alu instid0(VALU_DEP_1)
	v_mul_lo_u32 v16, v2, s5
	v_mul_lo_u32 v4, v2, s4
	;; [unrolled: 1-line block ×4, first 2 shown]
	s_cbranch_scc1 .LBB111_2084
; %bb.2082:
	s_clause 0x1
	s_load_b96 s[12:14], s[2:3], 0x10
	s_load_b128 s[4:7], s[2:3], 0xd4
	s_wait_kmcnt 0x0
	v_mul_hi_u32 v2, s13, v3
	s_delay_alu instid0(VALU_DEP_1) | instskip(NEXT) | instid1(VALU_DEP_1)
	v_add_nc_u32_e32 v2, v3, v2
	v_lshrrev_b32_e32 v2, s14, v2
	s_delay_alu instid0(VALU_DEP_1) | instskip(NEXT) | instid1(VALU_DEP_1)
	v_mul_lo_u32 v2, v2, s12
	v_sub_nc_u32_e32 v2, v3, v2
	s_delay_alu instid0(VALU_DEP_1)
	v_mad_u32 v4, v2, s4, v4
	v_mad_u32 v16, v2, s5, v16
	;; [unrolled: 1-line block ×4, first 2 shown]
	s_branch .LBB111_2084
.LBB111_2083:
	v_dual_mov_b32 v16, 0 :: v_dual_mov_b32 v4, 0
	v_dual_mov_b32 v28, 0 :: v_dual_mov_b32 v22, 0
	s_and_not1_b32 vcc_lo, exec_lo, s6
	s_cbranch_vccz .LBB111_2081
.LBB111_2084:
	v_cmp_ne_u32_e32 vcc_lo, 1, v1
	v_add_nc_u32_e32 v0, 0x100, v0
	s_cbranch_vccnz .LBB111_2090
; %bb.2085:
	s_cmp_lg_u32 s33, 0
	s_mov_b32 s6, 0
	s_cbranch_scc0 .LBB111_2094
; %bb.2086:
	s_min_u32 s7, s34, 15
	v_dual_mov_b32 v30, 0 :: v_dual_mov_b32 v3, v0
	v_dual_mov_b32 v24, 0 :: v_dual_mov_b32 v2, 0
	v_mov_b32_e32 v26, 0
	s_add_co_i32 s4, s7, 1
	s_mov_b64 s[0:1], 0xffffffffffffffe0
	s_and_b32 s8, s4, 30
	s_add_nc_u64 s[0:1], s[2:3], s[0:1]
	s_mov_b64 s[4:5], s[2:3]
.LBB111_2087:                           ; =>This Inner Loop Header: Depth=1
	s_clause 0x1
	s_load_b128 s[20:23], s[4:5], 0x4
	s_load_b64 s[24:25], s[4:5], 0x14
	s_load_b256 s[12:19], s[0:1], 0xe4
	s_add_co_i32 s8, s8, -2
	s_wait_xcnt 0x0
	s_add_nc_u64 s[4:5], s[4:5], 24
	s_cmp_lg_u32 s8, 0
	s_add_nc_u64 s[0:1], s[0:1], 32
	s_wait_kmcnt 0x0
	v_mul_hi_u32 v7, s21, v3
	s_delay_alu instid0(VALU_DEP_1) | instskip(NEXT) | instid1(VALU_DEP_1)
	v_add_nc_u32_e32 v7, v3, v7
	v_lshrrev_b32_e32 v7, s22, v7
	s_delay_alu instid0(VALU_DEP_1) | instskip(SKIP_1) | instid1(VALU_DEP_2)
	v_mul_hi_u32 v9, s24, v7
	v_mul_lo_u32 v10, v7, s20
	v_add_nc_u32_e32 v9, v7, v9
	s_delay_alu instid0(VALU_DEP_1) | instskip(NEXT) | instid1(VALU_DEP_1)
	v_dual_sub_nc_u32 v10, v3, v10 :: v_dual_lshrrev_b32 v3, s25, v9
	v_mad_u32 v11, v10, s13, v26
	v_mad_u32 v2, v10, s12, v2
	;; [unrolled: 1-line block ×4, first 2 shown]
	v_mul_lo_u32 v9, v3, s23
	s_delay_alu instid0(VALU_DEP_1) | instskip(NEXT) | instid1(VALU_DEP_1)
	v_sub_nc_u32_e32 v7, v7, v9
	v_mad_u32 v26, v7, s17, v11
	v_mad_u32 v2, v7, s16, v2
	;; [unrolled: 1-line block ×4, first 2 shown]
	s_cbranch_scc1 .LBB111_2087
; %bb.2088:
	s_bitcmp1_b32 s7, 0
	s_cselect_b32 s7, -1, 0
	s_delay_alu instid0(SALU_CYCLE_1)
	s_and_b32 vcc_lo, exec_lo, s7
	s_cbranch_vccnz .LBB111_2091
; %bb.2089:
	s_load_b96 s[16:18], s[4:5], 0x4
	s_load_b128 s[12:15], s[0:1], 0xe4
	s_wait_kmcnt 0x0
	v_mul_hi_u32 v7, s17, v3
	s_delay_alu instid0(VALU_DEP_1) | instskip(NEXT) | instid1(VALU_DEP_1)
	v_add_nc_u32_e32 v7, v3, v7
	v_lshrrev_b32_e32 v7, s18, v7
	s_delay_alu instid0(VALU_DEP_1) | instskip(NEXT) | instid1(VALU_DEP_1)
	v_mul_lo_u32 v7, v7, s16
	v_sub_nc_u32_e32 v3, v3, v7
	s_delay_alu instid0(VALU_DEP_1)
	v_mad_u32 v2, v3, s12, v2
	v_mad_u32 v26, v3, s13, v26
	;; [unrolled: 1-line block ×4, first 2 shown]
	s_and_not1_b32 vcc_lo, exec_lo, s6
	s_cbranch_vccz .LBB111_2092
	s_branch .LBB111_2095
.LBB111_2090:
	s_mov_b32 s6, -1
                                        ; implicit-def: $vgpr26
                                        ; implicit-def: $vgpr2
                                        ; implicit-def: $vgpr24
                                        ; implicit-def: $vgpr30
.LBB111_2091:
	s_delay_alu instid0(SALU_CYCLE_1)
	s_and_not1_b32 vcc_lo, exec_lo, s6
	s_cbranch_vccnz .LBB111_2095
.LBB111_2092:
	s_clause 0x1
	s_load_b96 s[12:14], s[2:3], 0x4
	s_load_b128 s[4:7], s[2:3], 0xc4
	s_cmp_lt_u32 s33, 2
	s_wait_kmcnt 0x0
	v_mul_hi_u32 v2, s13, v0
	s_delay_alu instid0(VALU_DEP_1) | instskip(NEXT) | instid1(VALU_DEP_1)
	v_add_nc_u32_e32 v2, v0, v2
	v_lshrrev_b32_e32 v3, s14, v2
	s_delay_alu instid0(VALU_DEP_1) | instskip(NEXT) | instid1(VALU_DEP_1)
	v_mul_lo_u32 v2, v3, s12
	v_sub_nc_u32_e32 v0, v0, v2
	s_delay_alu instid0(VALU_DEP_1)
	v_mul_lo_u32 v26, v0, s5
	v_mul_lo_u32 v2, v0, s4
	v_mul_lo_u32 v24, v0, s7
	v_mul_lo_u32 v30, v0, s6
	s_cbranch_scc1 .LBB111_2095
; %bb.2093:
	s_clause 0x1
	s_load_b96 s[12:14], s[2:3], 0x10
	s_load_b128 s[4:7], s[2:3], 0xd4
	s_wait_kmcnt 0x0
	v_mul_hi_u32 v0, s13, v3
	s_delay_alu instid0(VALU_DEP_1) | instskip(NEXT) | instid1(VALU_DEP_1)
	v_add_nc_u32_e32 v0, v3, v0
	v_lshrrev_b32_e32 v0, s14, v0
	s_delay_alu instid0(VALU_DEP_1) | instskip(NEXT) | instid1(VALU_DEP_1)
	v_mul_lo_u32 v0, v0, s12
	v_sub_nc_u32_e32 v0, v3, v0
	s_delay_alu instid0(VALU_DEP_1)
	v_mad_u32 v2, v0, s4, v2
	v_mad_u32 v26, v0, s5, v26
	;; [unrolled: 1-line block ×4, first 2 shown]
	s_branch .LBB111_2095
.LBB111_2094:
	v_dual_mov_b32 v26, 0 :: v_dual_mov_b32 v2, 0
	v_dual_mov_b32 v24, 0 :: v_dual_mov_b32 v30, 0
	s_and_not1_b32 vcc_lo, exec_lo, s6
	s_cbranch_vccz .LBB111_2092
.LBB111_2095:
	v_cmp_ne_u32_e32 vcc_lo, 1, v1
	s_cbranch_vccnz .LBB111_2101
; %bb.2096:
	s_cmp_lg_u32 s33, 0
	s_mov_b32 s6, 0
	s_cbranch_scc0 .LBB111_2105
; %bb.2097:
	s_min_u32 s7, s34, 15
	v_dual_mov_b32 v14, 0 :: v_dual_mov_b32 v1, v5
	v_dual_mov_b32 v10, 0 :: v_dual_mov_b32 v0, 0
	v_mov_b32_e32 v20, 0
	s_add_co_i32 s4, s7, 1
	s_mov_b64 s[0:1], 0xffffffffffffffe0
	s_and_b32 s8, s4, 30
	s_add_nc_u64 s[0:1], s[2:3], s[0:1]
	s_mov_b64 s[4:5], s[2:3]
.LBB111_2098:                           ; =>This Inner Loop Header: Depth=1
	s_clause 0x1
	s_load_b128 s[20:23], s[4:5], 0x4
	s_load_b64 s[24:25], s[4:5], 0x14
	s_load_b256 s[12:19], s[0:1], 0xe4
	s_add_co_i32 s8, s8, -2
	s_wait_xcnt 0x0
	s_add_nc_u64 s[4:5], s[4:5], 24
	s_cmp_lg_u32 s8, 0
	s_add_nc_u64 s[0:1], s[0:1], 32
	s_wait_kmcnt 0x0
	v_mul_hi_u32 v3, s21, v1
	s_delay_alu instid0(VALU_DEP_1) | instskip(NEXT) | instid1(VALU_DEP_1)
	v_add_nc_u32_e32 v3, v1, v3
	v_lshrrev_b32_e32 v3, s22, v3
	s_delay_alu instid0(VALU_DEP_1) | instskip(SKIP_1) | instid1(VALU_DEP_1)
	v_mul_hi_u32 v7, s24, v3
	v_mul_lo_u32 v9, v3, s20
	v_dual_add_nc_u32 v7, v3, v7 :: v_dual_sub_nc_u32 v9, v1, v9
	s_delay_alu instid0(VALU_DEP_1) | instskip(NEXT) | instid1(VALU_DEP_2)
	v_lshrrev_b32_e32 v1, s25, v7
	v_mad_u32 v11, v9, s13, v20
	v_mad_u32 v0, v9, s12, v0
	;; [unrolled: 1-line block ×4, first 2 shown]
	v_mul_lo_u32 v7, v1, s23
	s_delay_alu instid0(VALU_DEP_1) | instskip(NEXT) | instid1(VALU_DEP_1)
	v_sub_nc_u32_e32 v3, v3, v7
	v_mad_u32 v20, v3, s17, v11
	v_mad_u32 v0, v3, s16, v0
	;; [unrolled: 1-line block ×4, first 2 shown]
	s_cbranch_scc1 .LBB111_2098
; %bb.2099:
	s_bitcmp1_b32 s7, 0
	s_cselect_b32 s7, -1, 0
	s_delay_alu instid0(SALU_CYCLE_1)
	s_and_b32 vcc_lo, exec_lo, s7
	s_cbranch_vccnz .LBB111_2102
; %bb.2100:
	s_load_b96 s[16:18], s[4:5], 0x4
	s_load_b128 s[12:15], s[0:1], 0xe4
	s_wait_kmcnt 0x0
	v_mul_hi_u32 v3, s17, v1
	s_delay_alu instid0(VALU_DEP_1) | instskip(NEXT) | instid1(VALU_DEP_1)
	v_add_nc_u32_e32 v3, v1, v3
	v_lshrrev_b32_e32 v3, s18, v3
	s_delay_alu instid0(VALU_DEP_1) | instskip(NEXT) | instid1(VALU_DEP_1)
	v_mul_lo_u32 v3, v3, s16
	v_sub_nc_u32_e32 v1, v1, v3
	s_delay_alu instid0(VALU_DEP_1)
	v_mad_u32 v0, v1, s12, v0
	v_mad_u32 v20, v1, s13, v20
	;; [unrolled: 1-line block ×4, first 2 shown]
	s_and_not1_b32 vcc_lo, exec_lo, s6
	s_cbranch_vccz .LBB111_2103
	s_branch .LBB111_2106
.LBB111_2101:
	s_mov_b32 s6, -1
                                        ; implicit-def: $vgpr20
                                        ; implicit-def: $vgpr0
                                        ; implicit-def: $vgpr10
                                        ; implicit-def: $vgpr14
.LBB111_2102:
	s_delay_alu instid0(SALU_CYCLE_1)
	s_and_not1_b32 vcc_lo, exec_lo, s6
	s_cbranch_vccnz .LBB111_2106
.LBB111_2103:
	s_clause 0x1
	s_load_b96 s[12:14], s[2:3], 0x4
	s_load_b128 s[4:7], s[2:3], 0xc4
	s_cmp_lt_u32 s33, 2
	s_wait_kmcnt 0x0
	v_mul_hi_u32 v0, s13, v5
	s_delay_alu instid0(VALU_DEP_1) | instskip(NEXT) | instid1(VALU_DEP_1)
	v_add_nc_u32_e32 v0, v5, v0
	v_lshrrev_b32_e32 v1, s14, v0
	s_delay_alu instid0(VALU_DEP_1) | instskip(NEXT) | instid1(VALU_DEP_1)
	v_mul_lo_u32 v0, v1, s12
	v_sub_nc_u32_e32 v3, v5, v0
	s_delay_alu instid0(VALU_DEP_1)
	v_mul_lo_u32 v20, v3, s5
	v_mul_lo_u32 v0, v3, s4
	;; [unrolled: 1-line block ×4, first 2 shown]
	s_cbranch_scc1 .LBB111_2106
; %bb.2104:
	s_clause 0x1
	s_load_b96 s[12:14], s[2:3], 0x10
	s_load_b128 s[4:7], s[2:3], 0xd4
	s_wait_kmcnt 0x0
	v_mul_hi_u32 v3, s13, v1
	s_delay_alu instid0(VALU_DEP_1) | instskip(NEXT) | instid1(VALU_DEP_1)
	v_add_nc_u32_e32 v3, v1, v3
	v_lshrrev_b32_e32 v3, s14, v3
	s_delay_alu instid0(VALU_DEP_1) | instskip(NEXT) | instid1(VALU_DEP_1)
	v_mul_lo_u32 v3, v3, s12
	v_sub_nc_u32_e32 v1, v1, v3
	s_delay_alu instid0(VALU_DEP_1)
	v_mad_u32 v0, v1, s4, v0
	v_mad_u32 v20, v1, s5, v20
	;; [unrolled: 1-line block ×4, first 2 shown]
	s_branch .LBB111_2106
.LBB111_2105:
	v_dual_mov_b32 v20, 0 :: v_dual_mov_b32 v0, 0
	v_dual_mov_b32 v10, 0 :: v_dual_mov_b32 v14, 0
	s_and_not1_b32 vcc_lo, exec_lo, s6
	s_cbranch_vccz .LBB111_2103
.LBB111_2106:
	v_mov_b32_e32 v9, 0
	s_load_b128 s[4:7], s[2:3], 0x1c8
	global_load_u8 v1, v9, s[2:3] offset:490
	s_wait_kmcnt 0x0
	v_add_nc_u64_e32 v[32:33], s[6:7], v[8:9]
	s_wait_loadcnt 0x0
	v_and_b32_e32 v3, 0xffff, v1
	v_readfirstlane_b32 s13, v1
	s_delay_alu instid0(VALU_DEP_2)
	v_cmp_gt_i32_e32 vcc_lo, 11, v3
	s_cbranch_vccnz .LBB111_2113
; %bb.2107:
	s_and_b32 s0, 0xffff, s13
	s_mov_b32 s8, 0
	s_cmp_gt_i32 s0, 25
	s_cbranch_scc0 .LBB111_2115
; %bb.2108:
	s_cmp_gt_i32 s0, 28
	s_cbranch_scc0 .LBB111_2116
; %bb.2109:
	;; [unrolled: 3-line block ×4, first 2 shown]
	s_cmp_eq_u32 s0, 46
	s_mov_b32 s12, 0
	s_cbranch_scc0 .LBB111_2121
; %bb.2112:
	global_load_b32 v1, v[32:33], off
	s_mov_b32 s1, 0
	s_mov_b32 s9, -1
	s_wait_loadcnt 0x0
	v_lshlrev_b32_e32 v1, 16, v1
	s_delay_alu instid0(VALU_DEP_1)
	v_cvt_i32_f32_e32 v8, v1
	s_branch .LBB111_2123
.LBB111_2113:
	s_mov_b32 s9, 0
	s_mov_b32 s12, s10
                                        ; implicit-def: $vgpr8
	s_cbranch_execnz .LBB111_2181
.LBB111_2114:
	s_and_not1_b32 vcc_lo, exec_lo, s9
	s_cbranch_vccz .LBB111_2226
	s_branch .LBB111_4058
.LBB111_2115:
	s_mov_b32 s9, 0
	s_mov_b32 s1, 0
                                        ; implicit-def: $vgpr8
	s_cbranch_execnz .LBB111_2148
	s_branch .LBB111_2177
.LBB111_2116:
	s_mov_b32 s9, 0
	s_mov_b32 s1, 0
                                        ; implicit-def: $vgpr8
	s_cbranch_execz .LBB111_2147
	s_branch .LBB111_2132
.LBB111_2117:
	s_mov_b32 s9, 0
	s_mov_b32 s1, 0
                                        ; implicit-def: $vgpr8
	s_cbranch_execnz .LBB111_2128
	s_branch .LBB111_2131
.LBB111_2118:
	s_mov_b32 s12, -1
	s_mov_b32 s9, 0
	s_mov_b32 s1, 0
	s_branch .LBB111_2122
.LBB111_2119:
	s_and_not1_saveexec_b32 s9, s9
	s_cbranch_execz .LBB111_1974
.LBB111_2120:
	v_add_f32_e64 v2, 0x46000000, |v0|
	s_and_not1_b32 s8, s8, exec_lo
	s_delay_alu instid0(VALU_DEP_1) | instskip(NEXT) | instid1(VALU_DEP_1)
	v_and_b32_e32 v2, 0xff, v2
	v_cmp_ne_u32_e32 vcc_lo, 0, v2
	s_and_b32 s10, vcc_lo, exec_lo
	s_delay_alu instid0(SALU_CYCLE_1)
	s_or_b32 s8, s8, s10
	s_or_b32 exec_lo, exec_lo, s9
	v_mov_b32_e32 v3, 0
	s_and_saveexec_b32 s9, s8
	s_cbranch_execnz .LBB111_1975
	s_branch .LBB111_1976
.LBB111_2121:
	s_mov_b32 s1, -1
	s_mov_b32 s9, 0
.LBB111_2122:
                                        ; implicit-def: $vgpr8
.LBB111_2123:
	s_and_b32 vcc_lo, exec_lo, s12
	s_cbranch_vccz .LBB111_2126
; %bb.2124:
	s_cmp_eq_u32 s0, 44
	s_cbranch_scc0 .LBB111_2127
; %bb.2125:
	global_load_u8 v1, v[32:33], off
	s_mov_b32 s1, 0
	s_mov_b32 s9, -1
	s_wait_loadcnt 0x0
	v_lshlrev_b32_e32 v3, 23, v1
	v_cmp_ne_u32_e32 vcc_lo, 0, v1
	s_delay_alu instid0(VALU_DEP_2) | instskip(NEXT) | instid1(VALU_DEP_1)
	v_cvt_i32_f32_e32 v3, v3
	v_cndmask_b32_e32 v8, 0, v3, vcc_lo
.LBB111_2126:
	s_branch .LBB111_2131
.LBB111_2127:
	s_mov_b32 s1, -1
                                        ; implicit-def: $vgpr8
	s_branch .LBB111_2131
.LBB111_2128:
	s_cmp_eq_u32 s0, 29
	s_cbranch_scc0 .LBB111_2130
; %bb.2129:
	global_load_b64 v[8:9], v[32:33], off
	s_mov_b32 s1, 0
	s_mov_b32 s9, -1
	s_branch .LBB111_2131
.LBB111_2130:
	s_mov_b32 s1, -1
                                        ; implicit-def: $vgpr8
.LBB111_2131:
	s_branch .LBB111_2147
.LBB111_2132:
	s_cmp_lt_i32 s0, 27
	s_cbranch_scc1 .LBB111_2135
; %bb.2133:
	s_cmp_gt_i32 s0, 27
	s_cbranch_scc0 .LBB111_2136
; %bb.2134:
	s_wait_loadcnt 0x0
	global_load_b32 v8, v[32:33], off
	s_mov_b32 s9, 0
	s_branch .LBB111_2137
.LBB111_2135:
	s_mov_b32 s9, -1
                                        ; implicit-def: $vgpr8
	s_branch .LBB111_2140
.LBB111_2136:
	s_mov_b32 s9, -1
                                        ; implicit-def: $vgpr8
.LBB111_2137:
	s_delay_alu instid0(SALU_CYCLE_1)
	s_and_not1_b32 vcc_lo, exec_lo, s9
	s_cbranch_vccnz .LBB111_2139
; %bb.2138:
	s_wait_loadcnt 0x0
	global_load_u16 v8, v[32:33], off
.LBB111_2139:
	s_mov_b32 s9, 0
.LBB111_2140:
	s_delay_alu instid0(SALU_CYCLE_1)
	s_and_not1_b32 vcc_lo, exec_lo, s9
	s_cbranch_vccnz .LBB111_2146
; %bb.2141:
	global_load_u8 v1, v[32:33], off
	s_mov_b32 s12, 0
	s_mov_b32 s9, exec_lo
	s_wait_loadcnt 0x0
	v_cmpx_lt_i16_e32 0x7f, v1
	s_xor_b32 s9, exec_lo, s9
	s_cbranch_execz .LBB111_2157
; %bb.2142:
	v_cmp_ne_u16_e32 vcc_lo, 0x80, v1
	s_and_b32 s12, vcc_lo, exec_lo
	s_and_not1_saveexec_b32 s9, s9
	s_cbranch_execnz .LBB111_2158
.LBB111_2143:
	s_or_b32 exec_lo, exec_lo, s9
	v_mov_b32_e32 v8, 0
	s_and_saveexec_b32 s9, s12
	s_cbranch_execz .LBB111_2145
.LBB111_2144:
	v_and_b32_e32 v3, 0xffff, v1
	s_delay_alu instid0(VALU_DEP_1) | instskip(SKIP_1) | instid1(VALU_DEP_2)
	v_dual_lshlrev_b32 v1, 24, v1 :: v_dual_bitop2_b32 v5, 7, v3 bitop3:0x40
	v_bfe_u32 v9, v3, 3, 4
	v_and_b32_e32 v1, 0x80000000, v1
	s_delay_alu instid0(VALU_DEP_3) | instskip(NEXT) | instid1(VALU_DEP_3)
	v_clz_i32_u32_e32 v7, v5
	v_cmp_eq_u32_e32 vcc_lo, 0, v9
	s_delay_alu instid0(VALU_DEP_2) | instskip(NEXT) | instid1(VALU_DEP_1)
	v_min_u32_e32 v7, 32, v7
	v_subrev_nc_u32_e32 v8, 28, v7
	v_sub_nc_u32_e32 v7, 29, v7
	s_delay_alu instid0(VALU_DEP_2) | instskip(NEXT) | instid1(VALU_DEP_2)
	v_lshlrev_b32_e32 v3, v8, v3
	v_cndmask_b32_e32 v7, v9, v7, vcc_lo
	s_delay_alu instid0(VALU_DEP_2) | instskip(NEXT) | instid1(VALU_DEP_1)
	v_and_b32_e32 v3, 7, v3
	v_cndmask_b32_e32 v3, v5, v3, vcc_lo
	s_delay_alu instid0(VALU_DEP_3) | instskip(NEXT) | instid1(VALU_DEP_2)
	v_lshl_add_u32 v5, v7, 23, 0x3b800000
	v_lshlrev_b32_e32 v3, 20, v3
	s_delay_alu instid0(VALU_DEP_1) | instskip(NEXT) | instid1(VALU_DEP_1)
	v_or3_b32 v1, v1, v5, v3
	v_cvt_i32_f32_e32 v8, v1
.LBB111_2145:
	s_or_b32 exec_lo, exec_lo, s9
.LBB111_2146:
	s_mov_b32 s9, -1
.LBB111_2147:
	s_branch .LBB111_2177
.LBB111_2148:
	s_cmp_gt_i32 s0, 22
	s_cbranch_scc0 .LBB111_2156
; %bb.2149:
	s_cmp_lt_i32 s0, 24
	s_cbranch_scc1 .LBB111_2159
; %bb.2150:
	s_cmp_gt_i32 s0, 24
	s_cbranch_scc0 .LBB111_2160
; %bb.2151:
	global_load_u8 v1, v[32:33], off
	s_mov_b32 s9, 0
	s_mov_b32 s8, exec_lo
	s_wait_loadcnt 0x0
	v_cmpx_lt_i16_e32 0x7f, v1
	s_xor_b32 s8, exec_lo, s8
	s_cbranch_execz .LBB111_2171
; %bb.2152:
	v_cmp_ne_u16_e32 vcc_lo, 0x80, v1
	s_and_b32 s9, vcc_lo, exec_lo
	s_and_not1_saveexec_b32 s8, s8
	s_cbranch_execnz .LBB111_2172
.LBB111_2153:
	s_or_b32 exec_lo, exec_lo, s8
	v_mov_b32_e32 v8, 0
	s_and_saveexec_b32 s8, s9
	s_cbranch_execz .LBB111_2155
.LBB111_2154:
	v_and_b32_e32 v3, 0xffff, v1
	s_delay_alu instid0(VALU_DEP_1) | instskip(SKIP_1) | instid1(VALU_DEP_2)
	v_dual_lshlrev_b32 v1, 24, v1 :: v_dual_bitop2_b32 v5, 3, v3 bitop3:0x40
	v_bfe_u32 v9, v3, 2, 5
	v_and_b32_e32 v1, 0x80000000, v1
	s_delay_alu instid0(VALU_DEP_3) | instskip(NEXT) | instid1(VALU_DEP_3)
	v_clz_i32_u32_e32 v7, v5
	v_cmp_eq_u32_e32 vcc_lo, 0, v9
	s_delay_alu instid0(VALU_DEP_2) | instskip(NEXT) | instid1(VALU_DEP_1)
	v_min_u32_e32 v7, 32, v7
	v_subrev_nc_u32_e32 v8, 29, v7
	v_sub_nc_u32_e32 v7, 30, v7
	s_delay_alu instid0(VALU_DEP_2) | instskip(NEXT) | instid1(VALU_DEP_2)
	v_lshlrev_b32_e32 v3, v8, v3
	v_cndmask_b32_e32 v7, v9, v7, vcc_lo
	s_delay_alu instid0(VALU_DEP_2) | instskip(NEXT) | instid1(VALU_DEP_1)
	v_and_b32_e32 v3, 3, v3
	v_cndmask_b32_e32 v3, v5, v3, vcc_lo
	s_delay_alu instid0(VALU_DEP_3) | instskip(NEXT) | instid1(VALU_DEP_2)
	v_lshl_add_u32 v5, v7, 23, 0x37800000
	v_lshlrev_b32_e32 v3, 21, v3
	s_delay_alu instid0(VALU_DEP_1) | instskip(NEXT) | instid1(VALU_DEP_1)
	v_or3_b32 v1, v1, v5, v3
	v_cvt_i32_f32_e32 v8, v1
.LBB111_2155:
	s_or_b32 exec_lo, exec_lo, s8
	s_mov_b32 s8, 0
	s_branch .LBB111_2161
.LBB111_2156:
                                        ; implicit-def: $vgpr8
	s_mov_b32 s8, 0
	s_branch .LBB111_2167
.LBB111_2157:
	s_and_not1_saveexec_b32 s9, s9
	s_cbranch_execz .LBB111_2143
.LBB111_2158:
	v_cmp_ne_u16_e32 vcc_lo, 0, v1
	s_and_not1_b32 s12, s12, exec_lo
	s_and_b32 s14, vcc_lo, exec_lo
	s_delay_alu instid0(SALU_CYCLE_1)
	s_or_b32 s12, s12, s14
	s_or_b32 exec_lo, exec_lo, s9
	v_mov_b32_e32 v8, 0
	s_and_saveexec_b32 s9, s12
	s_cbranch_execnz .LBB111_2144
	s_branch .LBB111_2145
.LBB111_2159:
	s_mov_b32 s8, -1
                                        ; implicit-def: $vgpr8
	s_branch .LBB111_2164
.LBB111_2160:
	s_mov_b32 s8, -1
                                        ; implicit-def: $vgpr8
.LBB111_2161:
	s_delay_alu instid0(SALU_CYCLE_1)
	s_and_b32 vcc_lo, exec_lo, s8
	s_cbranch_vccz .LBB111_2163
; %bb.2162:
	global_load_u8 v1, v[32:33], off
	s_wait_loadcnt 0x0
	v_lshlrev_b32_e32 v1, 24, v1
	s_delay_alu instid0(VALU_DEP_1) | instskip(NEXT) | instid1(VALU_DEP_1)
	v_and_b32_e32 v3, 0x7f000000, v1
	v_clz_i32_u32_e32 v5, v3
	v_cmp_ne_u32_e32 vcc_lo, 0, v3
	v_add_nc_u32_e32 v8, 0x1000000, v3
	s_delay_alu instid0(VALU_DEP_3) | instskip(NEXT) | instid1(VALU_DEP_1)
	v_min_u32_e32 v5, 32, v5
	v_sub_nc_u32_e64 v5, v5, 4 clamp
	s_delay_alu instid0(VALU_DEP_1) | instskip(NEXT) | instid1(VALU_DEP_1)
	v_dual_lshlrev_b32 v7, v5, v3 :: v_dual_lshlrev_b32 v5, 23, v5
	v_lshrrev_b32_e32 v7, 4, v7
	s_delay_alu instid0(VALU_DEP_1) | instskip(NEXT) | instid1(VALU_DEP_1)
	v_dual_sub_nc_u32 v5, v7, v5 :: v_dual_ashrrev_i32 v7, 8, v8
	v_add_nc_u32_e32 v5, 0x3c000000, v5
	s_delay_alu instid0(VALU_DEP_1) | instskip(NEXT) | instid1(VALU_DEP_1)
	v_and_or_b32 v5, 0x7f800000, v7, v5
	v_cndmask_b32_e32 v3, 0, v5, vcc_lo
	s_delay_alu instid0(VALU_DEP_1) | instskip(NEXT) | instid1(VALU_DEP_1)
	v_and_or_b32 v1, 0x80000000, v1, v3
	v_cvt_i32_f32_e32 v8, v1
.LBB111_2163:
	s_mov_b32 s8, 0
.LBB111_2164:
	s_delay_alu instid0(SALU_CYCLE_1)
	s_and_not1_b32 vcc_lo, exec_lo, s8
	s_cbranch_vccnz .LBB111_2166
; %bb.2165:
	global_load_u8 v1, v[32:33], off
	s_wait_loadcnt 0x0
	v_lshlrev_b32_e32 v3, 25, v1
	v_lshlrev_b16 v1, 8, v1
	s_delay_alu instid0(VALU_DEP_1) | instskip(SKIP_1) | instid1(VALU_DEP_2)
	v_and_or_b32 v7, 0x7f00, v1, 0.5
	v_bfe_i32 v1, v1, 0, 16
	v_add_f32_e32 v7, -0.5, v7
	v_lshrrev_b32_e32 v5, 4, v3
	v_cmp_gt_u32_e32 vcc_lo, 0x8000000, v3
	s_delay_alu instid0(VALU_DEP_2) | instskip(NEXT) | instid1(VALU_DEP_1)
	v_or_b32_e32 v5, 0x70000000, v5
	v_mul_f32_e32 v5, 0x7800000, v5
	s_delay_alu instid0(VALU_DEP_1) | instskip(NEXT) | instid1(VALU_DEP_1)
	v_cndmask_b32_e32 v3, v5, v7, vcc_lo
	v_and_or_b32 v1, 0x80000000, v1, v3
	s_delay_alu instid0(VALU_DEP_1)
	v_cvt_i32_f32_e32 v8, v1
.LBB111_2166:
	s_mov_b32 s9, -1
	s_mov_b32 s8, 0
	s_cbranch_execnz .LBB111_2177
.LBB111_2167:
	s_cmp_gt_i32 s0, 14
	s_cbranch_scc0 .LBB111_2170
; %bb.2168:
	s_cmp_eq_u32 s0, 15
	s_cbranch_scc0 .LBB111_2173
; %bb.2169:
	global_load_u16 v1, v[32:33], off
	s_mov_b32 s1, 0
	s_mov_b32 s9, -1
	s_wait_loadcnt 0x0
	v_lshlrev_b32_e32 v1, 16, v1
	s_delay_alu instid0(VALU_DEP_1)
	v_cvt_i32_f32_e32 v8, v1
	s_branch .LBB111_2175
.LBB111_2170:
	s_mov_b32 s8, -1
	s_branch .LBB111_2174
.LBB111_2171:
	s_and_not1_saveexec_b32 s8, s8
	s_cbranch_execz .LBB111_2153
.LBB111_2172:
	v_cmp_ne_u16_e32 vcc_lo, 0, v1
	s_and_not1_b32 s9, s9, exec_lo
	s_and_b32 s12, vcc_lo, exec_lo
	s_delay_alu instid0(SALU_CYCLE_1)
	s_or_b32 s9, s9, s12
	s_or_b32 exec_lo, exec_lo, s8
	v_mov_b32_e32 v8, 0
	s_and_saveexec_b32 s8, s9
	s_cbranch_execnz .LBB111_2154
	s_branch .LBB111_2155
.LBB111_2173:
	s_mov_b32 s1, -1
.LBB111_2174:
                                        ; implicit-def: $vgpr8
.LBB111_2175:
	s_and_b32 vcc_lo, exec_lo, s8
	s_mov_b32 s8, 0
	s_cbranch_vccz .LBB111_2177
; %bb.2176:
	s_cmp_lg_u32 s0, 11
	s_mov_b32 s8, -1
	s_cselect_b32 s1, -1, 0
.LBB111_2177:
	s_delay_alu instid0(SALU_CYCLE_1)
	s_and_b32 vcc_lo, exec_lo, s1
	s_mov_b32 s12, s10
	s_cbranch_vccnz .LBB111_2238
; %bb.2178:
	s_and_not1_b32 vcc_lo, exec_lo, s8
	s_cbranch_vccnz .LBB111_2180
.LBB111_2179:
	global_load_u8 v1, v[32:33], off
	s_mov_b32 s9, -1
	s_wait_loadcnt 0x0
	v_cmp_ne_u16_e32 vcc_lo, 0, v1
	v_cndmask_b32_e64 v8, 0, 1, vcc_lo
.LBB111_2180:
	s_branch .LBB111_2114
.LBB111_2181:
	s_and_b32 s0, 0xffff, s13
	s_delay_alu instid0(SALU_CYCLE_1)
	s_cmp_lt_i32 s0, 5
	s_cbranch_scc1 .LBB111_2186
; %bb.2182:
	s_cmp_lt_i32 s0, 8
	s_cbranch_scc1 .LBB111_2187
; %bb.2183:
	;; [unrolled: 3-line block ×3, first 2 shown]
	s_cmp_gt_i32 s0, 9
	s_cbranch_scc0 .LBB111_2189
; %bb.2185:
	s_wait_loadcnt 0x0
	global_load_b64 v[8:9], v[32:33], off
	s_mov_b32 s1, 0
	s_wait_loadcnt 0x0
	v_cvt_i32_f64_e32 v8, v[8:9]
	s_branch .LBB111_2190
.LBB111_2186:
                                        ; implicit-def: $vgpr8
	s_branch .LBB111_2207
.LBB111_2187:
                                        ; implicit-def: $vgpr8
	s_branch .LBB111_2196
.LBB111_2188:
	s_mov_b32 s1, -1
                                        ; implicit-def: $vgpr8
	s_branch .LBB111_2193
.LBB111_2189:
	s_mov_b32 s1, -1
                                        ; implicit-def: $vgpr8
.LBB111_2190:
	s_delay_alu instid0(SALU_CYCLE_1)
	s_and_not1_b32 vcc_lo, exec_lo, s1
	s_cbranch_vccnz .LBB111_2192
; %bb.2191:
	global_load_b32 v1, v[32:33], off
	s_wait_loadcnt 0x0
	v_cvt_i32_f32_e32 v8, v1
.LBB111_2192:
	s_mov_b32 s1, 0
.LBB111_2193:
	s_delay_alu instid0(SALU_CYCLE_1)
	s_and_not1_b32 vcc_lo, exec_lo, s1
	s_cbranch_vccnz .LBB111_2195
; %bb.2194:
	global_load_b32 v1, v[32:33], off
	s_wait_loadcnt 0x0
	v_cvt_i16_f16_e32 v8, v1
.LBB111_2195:
	s_cbranch_execnz .LBB111_2206
.LBB111_2196:
	s_cmp_lt_i32 s0, 6
	s_cbranch_scc1 .LBB111_2199
; %bb.2197:
	s_cmp_gt_i32 s0, 6
	s_cbranch_scc0 .LBB111_2200
; %bb.2198:
	s_wait_loadcnt 0x0
	global_load_b64 v[8:9], v[32:33], off
	s_mov_b32 s1, 0
	s_wait_loadcnt 0x0
	v_cvt_i32_f64_e32 v8, v[8:9]
	s_branch .LBB111_2201
.LBB111_2199:
	s_mov_b32 s1, -1
                                        ; implicit-def: $vgpr8
	s_branch .LBB111_2204
.LBB111_2200:
	s_mov_b32 s1, -1
                                        ; implicit-def: $vgpr8
.LBB111_2201:
	s_delay_alu instid0(SALU_CYCLE_1)
	s_and_not1_b32 vcc_lo, exec_lo, s1
	s_cbranch_vccnz .LBB111_2203
; %bb.2202:
	global_load_b32 v1, v[32:33], off
	s_wait_loadcnt 0x0
	v_cvt_i32_f32_e32 v8, v1
.LBB111_2203:
	s_mov_b32 s1, 0
.LBB111_2204:
	s_delay_alu instid0(SALU_CYCLE_1)
	s_and_not1_b32 vcc_lo, exec_lo, s1
	s_cbranch_vccnz .LBB111_2206
; %bb.2205:
	global_load_u16 v1, v[32:33], off
	s_wait_loadcnt 0x0
	v_cvt_i16_f16_e32 v8, v1
.LBB111_2206:
	s_cbranch_execnz .LBB111_2225
.LBB111_2207:
	s_cmp_lt_i32 s0, 2
	s_cbranch_scc1 .LBB111_2211
; %bb.2208:
	s_cmp_lt_i32 s0, 3
	s_cbranch_scc1 .LBB111_2212
; %bb.2209:
	s_cmp_gt_i32 s0, 3
	s_cbranch_scc0 .LBB111_2213
; %bb.2210:
	s_wait_loadcnt 0x0
	global_load_b64 v[8:9], v[32:33], off
	s_mov_b32 s1, 0
	s_branch .LBB111_2214
.LBB111_2211:
                                        ; implicit-def: $vgpr8
	s_branch .LBB111_2220
.LBB111_2212:
	s_mov_b32 s1, -1
                                        ; implicit-def: $vgpr8
	s_branch .LBB111_2217
.LBB111_2213:
	s_mov_b32 s1, -1
                                        ; implicit-def: $vgpr8
.LBB111_2214:
	s_delay_alu instid0(SALU_CYCLE_1)
	s_and_not1_b32 vcc_lo, exec_lo, s1
	s_cbranch_vccnz .LBB111_2216
; %bb.2215:
	s_wait_loadcnt 0x0
	global_load_b32 v8, v[32:33], off
.LBB111_2216:
	s_mov_b32 s1, 0
.LBB111_2217:
	s_delay_alu instid0(SALU_CYCLE_1)
	s_and_not1_b32 vcc_lo, exec_lo, s1
	s_cbranch_vccnz .LBB111_2219
; %bb.2218:
	s_wait_loadcnt 0x0
	global_load_u16 v8, v[32:33], off
.LBB111_2219:
	s_cbranch_execnz .LBB111_2225
.LBB111_2220:
	s_cmp_gt_i32 s0, 0
	s_mov_b32 s0, 0
	s_cbranch_scc0 .LBB111_2222
; %bb.2221:
	s_wait_loadcnt 0x0
	global_load_u8 v8, v[32:33], off
	s_branch .LBB111_2223
.LBB111_2222:
	s_mov_b32 s0, -1
                                        ; implicit-def: $vgpr8
.LBB111_2223:
	s_delay_alu instid0(SALU_CYCLE_1)
	s_and_not1_b32 vcc_lo, exec_lo, s0
	s_cbranch_vccnz .LBB111_2225
; %bb.2224:
	s_wait_loadcnt 0x0
	global_load_u8 v8, v[32:33], off
.LBB111_2225:
.LBB111_2226:
	v_mov_b32_e32 v13, 0
	s_load_b64 s[0:1], s[2:3], 0x1d8
	global_load_u8 v1, v13, s[2:3] offset:491
	s_wait_kmcnt 0x0
	v_add_nc_u64_e32 v[32:33], s[0:1], v[12:13]
	s_wait_loadcnt 0x0
	v_and_b32_e32 v3, 0xffff, v1
	v_readfirstlane_b32 s14, v1
	s_delay_alu instid0(VALU_DEP_2)
	v_cmp_gt_i32_e32 vcc_lo, 11, v3
	s_cbranch_vccnz .LBB111_2233
; %bb.2227:
	s_and_b32 s8, 0xffff, s14
	s_mov_b32 s15, 0
	s_cmp_gt_i32 s8, 25
	s_cbranch_scc0 .LBB111_2235
; %bb.2228:
	s_cmp_gt_i32 s8, 28
	s_cbranch_scc0 .LBB111_2236
; %bb.2229:
	;; [unrolled: 3-line block ×4, first 2 shown]
	s_cmp_eq_u32 s8, 46
	s_mov_b32 s17, 0
	s_cbranch_scc0 .LBB111_2242
; %bb.2232:
	global_load_b32 v1, v[32:33], off
	s_mov_b32 s9, 0
	s_mov_b32 s16, -1
	s_wait_loadcnt 0x0
	v_lshlrev_b32_e32 v1, 16, v1
	s_delay_alu instid0(VALU_DEP_1)
	v_cvt_i32_f32_e32 v12, v1
	s_branch .LBB111_2244
.LBB111_2233:
	s_mov_b32 s16, 0
                                        ; implicit-def: $vgpr12
	s_cbranch_execnz .LBB111_2305
.LBB111_2234:
	s_and_not1_b32 vcc_lo, exec_lo, s16
	s_cbranch_vccnz .LBB111_4058
	s_branch .LBB111_2352
.LBB111_2235:
	s_mov_b32 s16, 0
	s_mov_b32 s9, 0
                                        ; implicit-def: $vgpr12
	s_cbranch_execnz .LBB111_2271
	s_branch .LBB111_2301
.LBB111_2236:
	s_mov_b32 s17, -1
	s_mov_b32 s16, 0
	s_mov_b32 s9, 0
                                        ; implicit-def: $vgpr12
	s_branch .LBB111_2254
.LBB111_2237:
	s_mov_b32 s17, -1
	s_mov_b32 s16, 0
	s_mov_b32 s9, 0
                                        ; implicit-def: $vgpr12
	s_branch .LBB111_2249
.LBB111_2238:
	s_or_b32 s12, s10, exec_lo
	s_trap 2
	s_cbranch_execz .LBB111_2179
	s_branch .LBB111_2180
.LBB111_2239:
	s_mov_b32 s17, -1
	s_mov_b32 s16, 0
	s_mov_b32 s9, 0
	s_branch .LBB111_2243
.LBB111_2240:
	s_and_not1_saveexec_b32 s10, s10
	s_cbranch_execz .LBB111_1986
.LBB111_2241:
	v_add_f32_e64 v2, 0x42800000, |v0|
	s_and_not1_b32 s9, s9, exec_lo
	s_delay_alu instid0(VALU_DEP_1) | instskip(NEXT) | instid1(VALU_DEP_1)
	v_and_b32_e32 v2, 0xff, v2
	v_cmp_ne_u32_e32 vcc_lo, 0, v2
	s_and_b32 s11, vcc_lo, exec_lo
	s_delay_alu instid0(SALU_CYCLE_1)
	s_or_b32 s9, s9, s11
	s_or_b32 exec_lo, exec_lo, s10
	v_mov_b32_e32 v3, 0
	s_and_saveexec_b32 s10, s9
	s_cbranch_execnz .LBB111_1987
	s_branch .LBB111_1988
.LBB111_2242:
	s_mov_b32 s9, -1
	s_mov_b32 s16, 0
.LBB111_2243:
                                        ; implicit-def: $vgpr12
.LBB111_2244:
	s_and_b32 vcc_lo, exec_lo, s17
	s_cbranch_vccz .LBB111_2248
; %bb.2245:
	s_cmp_eq_u32 s8, 44
	s_cbranch_scc0 .LBB111_2247
; %bb.2246:
	global_load_u8 v1, v[32:33], off
	s_mov_b32 s9, 0
	s_mov_b32 s16, -1
	s_wait_loadcnt 0x0
	v_lshlrev_b32_e32 v3, 23, v1
	v_cmp_ne_u32_e32 vcc_lo, 0, v1
	s_delay_alu instid0(VALU_DEP_2) | instskip(NEXT) | instid1(VALU_DEP_1)
	v_cvt_i32_f32_e32 v3, v3
	v_cndmask_b32_e32 v12, 0, v3, vcc_lo
	s_branch .LBB111_2248
.LBB111_2247:
	s_mov_b32 s9, -1
                                        ; implicit-def: $vgpr12
.LBB111_2248:
	s_mov_b32 s17, 0
.LBB111_2249:
	s_delay_alu instid0(SALU_CYCLE_1)
	s_and_b32 vcc_lo, exec_lo, s17
	s_cbranch_vccz .LBB111_2253
; %bb.2250:
	s_cmp_eq_u32 s8, 29
	s_cbranch_scc0 .LBB111_2252
; %bb.2251:
	global_load_b64 v[12:13], v[32:33], off
	s_mov_b32 s9, 0
	s_mov_b32 s16, -1
	s_branch .LBB111_2253
.LBB111_2252:
	s_mov_b32 s9, -1
                                        ; implicit-def: $vgpr12
.LBB111_2253:
	s_mov_b32 s17, 0
.LBB111_2254:
	s_delay_alu instid0(SALU_CYCLE_1)
	s_and_b32 vcc_lo, exec_lo, s17
	s_cbranch_vccz .LBB111_2270
; %bb.2255:
	s_cmp_lt_i32 s8, 27
	s_cbranch_scc1 .LBB111_2258
; %bb.2256:
	s_cmp_gt_i32 s8, 27
	s_cbranch_scc0 .LBB111_2259
; %bb.2257:
	s_wait_loadcnt 0x0
	global_load_b32 v12, v[32:33], off
	s_mov_b32 s16, 0
	s_branch .LBB111_2260
.LBB111_2258:
	s_mov_b32 s16, -1
                                        ; implicit-def: $vgpr12
	s_branch .LBB111_2263
.LBB111_2259:
	s_mov_b32 s16, -1
                                        ; implicit-def: $vgpr12
.LBB111_2260:
	s_delay_alu instid0(SALU_CYCLE_1)
	s_and_not1_b32 vcc_lo, exec_lo, s16
	s_cbranch_vccnz .LBB111_2262
; %bb.2261:
	s_wait_loadcnt 0x0
	global_load_u16 v12, v[32:33], off
.LBB111_2262:
	s_mov_b32 s16, 0
.LBB111_2263:
	s_delay_alu instid0(SALU_CYCLE_1)
	s_and_not1_b32 vcc_lo, exec_lo, s16
	s_cbranch_vccnz .LBB111_2269
; %bb.2264:
	global_load_u8 v1, v[32:33], off
	s_mov_b32 s17, 0
	s_mov_b32 s16, exec_lo
	s_wait_loadcnt 0x0
	v_cmpx_lt_i16_e32 0x7f, v1
	s_xor_b32 s16, exec_lo, s16
	s_cbranch_execz .LBB111_2280
; %bb.2265:
	v_cmp_ne_u16_e32 vcc_lo, 0x80, v1
	s_and_b32 s17, vcc_lo, exec_lo
	s_and_not1_saveexec_b32 s16, s16
	s_cbranch_execnz .LBB111_2281
.LBB111_2266:
	s_or_b32 exec_lo, exec_lo, s16
	v_mov_b32_e32 v12, 0
	s_and_saveexec_b32 s16, s17
	s_cbranch_execz .LBB111_2268
.LBB111_2267:
	v_and_b32_e32 v3, 0xffff, v1
	s_delay_alu instid0(VALU_DEP_1) | instskip(SKIP_1) | instid1(VALU_DEP_2)
	v_dual_lshlrev_b32 v1, 24, v1 :: v_dual_bitop2_b32 v5, 7, v3 bitop3:0x40
	v_bfe_u32 v11, v3, 3, 4
	v_and_b32_e32 v1, 0x80000000, v1
	s_delay_alu instid0(VALU_DEP_3) | instskip(NEXT) | instid1(VALU_DEP_3)
	v_clz_i32_u32_e32 v7, v5
	v_cmp_eq_u32_e32 vcc_lo, 0, v11
	s_delay_alu instid0(VALU_DEP_2) | instskip(NEXT) | instid1(VALU_DEP_1)
	v_min_u32_e32 v7, 32, v7
	v_subrev_nc_u32_e32 v9, 28, v7
	v_sub_nc_u32_e32 v7, 29, v7
	s_delay_alu instid0(VALU_DEP_2) | instskip(NEXT) | instid1(VALU_DEP_2)
	v_lshlrev_b32_e32 v3, v9, v3
	v_cndmask_b32_e32 v7, v11, v7, vcc_lo
	s_delay_alu instid0(VALU_DEP_2) | instskip(NEXT) | instid1(VALU_DEP_1)
	v_and_b32_e32 v3, 7, v3
	v_cndmask_b32_e32 v3, v5, v3, vcc_lo
	s_delay_alu instid0(VALU_DEP_3) | instskip(NEXT) | instid1(VALU_DEP_2)
	v_lshl_add_u32 v5, v7, 23, 0x3b800000
	v_lshlrev_b32_e32 v3, 20, v3
	s_delay_alu instid0(VALU_DEP_1) | instskip(NEXT) | instid1(VALU_DEP_1)
	v_or3_b32 v1, v1, v5, v3
	v_cvt_i32_f32_e32 v12, v1
.LBB111_2268:
	s_or_b32 exec_lo, exec_lo, s16
.LBB111_2269:
	s_mov_b32 s16, -1
.LBB111_2270:
	s_branch .LBB111_2301
.LBB111_2271:
	s_cmp_gt_i32 s8, 22
	s_cbranch_scc0 .LBB111_2279
; %bb.2272:
	s_cmp_lt_i32 s8, 24
	s_cbranch_scc1 .LBB111_2282
; %bb.2273:
	s_cmp_gt_i32 s8, 24
	s_cbranch_scc0 .LBB111_2283
; %bb.2274:
	global_load_u8 v1, v[32:33], off
	s_mov_b32 s16, 0
	s_mov_b32 s15, exec_lo
	s_wait_loadcnt 0x0
	v_cmpx_lt_i16_e32 0x7f, v1
	s_xor_b32 s15, exec_lo, s15
	s_cbranch_execz .LBB111_2295
; %bb.2275:
	v_cmp_ne_u16_e32 vcc_lo, 0x80, v1
	s_and_b32 s16, vcc_lo, exec_lo
	s_and_not1_saveexec_b32 s15, s15
	s_cbranch_execnz .LBB111_2296
.LBB111_2276:
	s_or_b32 exec_lo, exec_lo, s15
	v_mov_b32_e32 v12, 0
	s_and_saveexec_b32 s15, s16
	s_cbranch_execz .LBB111_2278
.LBB111_2277:
	v_and_b32_e32 v3, 0xffff, v1
	s_delay_alu instid0(VALU_DEP_1) | instskip(SKIP_1) | instid1(VALU_DEP_2)
	v_dual_lshlrev_b32 v1, 24, v1 :: v_dual_bitop2_b32 v5, 3, v3 bitop3:0x40
	v_bfe_u32 v11, v3, 2, 5
	v_and_b32_e32 v1, 0x80000000, v1
	s_delay_alu instid0(VALU_DEP_3) | instskip(NEXT) | instid1(VALU_DEP_3)
	v_clz_i32_u32_e32 v7, v5
	v_cmp_eq_u32_e32 vcc_lo, 0, v11
	s_delay_alu instid0(VALU_DEP_2) | instskip(NEXT) | instid1(VALU_DEP_1)
	v_min_u32_e32 v7, 32, v7
	v_subrev_nc_u32_e32 v9, 29, v7
	v_sub_nc_u32_e32 v7, 30, v7
	s_delay_alu instid0(VALU_DEP_2) | instskip(NEXT) | instid1(VALU_DEP_2)
	v_lshlrev_b32_e32 v3, v9, v3
	v_cndmask_b32_e32 v7, v11, v7, vcc_lo
	s_delay_alu instid0(VALU_DEP_2) | instskip(NEXT) | instid1(VALU_DEP_1)
	v_and_b32_e32 v3, 3, v3
	v_cndmask_b32_e32 v3, v5, v3, vcc_lo
	s_delay_alu instid0(VALU_DEP_3) | instskip(NEXT) | instid1(VALU_DEP_2)
	v_lshl_add_u32 v5, v7, 23, 0x37800000
	v_lshlrev_b32_e32 v3, 21, v3
	s_delay_alu instid0(VALU_DEP_1) | instskip(NEXT) | instid1(VALU_DEP_1)
	v_or3_b32 v1, v1, v5, v3
	v_cvt_i32_f32_e32 v12, v1
.LBB111_2278:
	s_or_b32 exec_lo, exec_lo, s15
	s_mov_b32 s15, 0
	s_branch .LBB111_2284
.LBB111_2279:
	s_mov_b32 s15, -1
                                        ; implicit-def: $vgpr12
	s_branch .LBB111_2290
.LBB111_2280:
	s_and_not1_saveexec_b32 s16, s16
	s_cbranch_execz .LBB111_2266
.LBB111_2281:
	v_cmp_ne_u16_e32 vcc_lo, 0, v1
	s_and_not1_b32 s17, s17, exec_lo
	s_and_b32 s18, vcc_lo, exec_lo
	s_delay_alu instid0(SALU_CYCLE_1)
	s_or_b32 s17, s17, s18
	s_or_b32 exec_lo, exec_lo, s16
	v_mov_b32_e32 v12, 0
	s_and_saveexec_b32 s16, s17
	s_cbranch_execnz .LBB111_2267
	s_branch .LBB111_2268
.LBB111_2282:
	s_mov_b32 s15, -1
                                        ; implicit-def: $vgpr12
	s_branch .LBB111_2287
.LBB111_2283:
	s_mov_b32 s15, -1
                                        ; implicit-def: $vgpr12
.LBB111_2284:
	s_delay_alu instid0(SALU_CYCLE_1)
	s_and_b32 vcc_lo, exec_lo, s15
	s_cbranch_vccz .LBB111_2286
; %bb.2285:
	global_load_u8 v1, v[32:33], off
	s_wait_loadcnt 0x0
	v_lshlrev_b32_e32 v1, 24, v1
	s_delay_alu instid0(VALU_DEP_1) | instskip(NEXT) | instid1(VALU_DEP_1)
	v_and_b32_e32 v3, 0x7f000000, v1
	v_clz_i32_u32_e32 v5, v3
	v_add_nc_u32_e32 v9, 0x1000000, v3
	v_cmp_ne_u32_e32 vcc_lo, 0, v3
	s_delay_alu instid0(VALU_DEP_3) | instskip(NEXT) | instid1(VALU_DEP_1)
	v_min_u32_e32 v5, 32, v5
	v_sub_nc_u32_e64 v5, v5, 4 clamp
	s_delay_alu instid0(VALU_DEP_1) | instskip(NEXT) | instid1(VALU_DEP_1)
	v_dual_lshlrev_b32 v7, v5, v3 :: v_dual_lshlrev_b32 v5, 23, v5
	v_lshrrev_b32_e32 v7, 4, v7
	s_delay_alu instid0(VALU_DEP_1) | instskip(SKIP_1) | instid1(VALU_DEP_2)
	v_sub_nc_u32_e32 v5, v7, v5
	v_ashrrev_i32_e32 v7, 8, v9
	v_add_nc_u32_e32 v5, 0x3c000000, v5
	s_delay_alu instid0(VALU_DEP_1) | instskip(NEXT) | instid1(VALU_DEP_1)
	v_and_or_b32 v5, 0x7f800000, v7, v5
	v_cndmask_b32_e32 v3, 0, v5, vcc_lo
	s_delay_alu instid0(VALU_DEP_1) | instskip(NEXT) | instid1(VALU_DEP_1)
	v_and_or_b32 v1, 0x80000000, v1, v3
	v_cvt_i32_f32_e32 v12, v1
.LBB111_2286:
	s_mov_b32 s15, 0
.LBB111_2287:
	s_delay_alu instid0(SALU_CYCLE_1)
	s_and_not1_b32 vcc_lo, exec_lo, s15
	s_cbranch_vccnz .LBB111_2289
; %bb.2288:
	global_load_u8 v1, v[32:33], off
	s_wait_loadcnt 0x0
	v_lshlrev_b32_e32 v3, 25, v1
	v_lshlrev_b16 v1, 8, v1
	s_delay_alu instid0(VALU_DEP_1) | instskip(SKIP_1) | instid1(VALU_DEP_2)
	v_and_or_b32 v7, 0x7f00, v1, 0.5
	v_bfe_i32 v1, v1, 0, 16
	v_add_f32_e32 v7, -0.5, v7
	v_lshrrev_b32_e32 v5, 4, v3
	v_cmp_gt_u32_e32 vcc_lo, 0x8000000, v3
	s_delay_alu instid0(VALU_DEP_2) | instskip(NEXT) | instid1(VALU_DEP_1)
	v_or_b32_e32 v5, 0x70000000, v5
	v_mul_f32_e32 v5, 0x7800000, v5
	s_delay_alu instid0(VALU_DEP_1) | instskip(NEXT) | instid1(VALU_DEP_1)
	v_cndmask_b32_e32 v3, v5, v7, vcc_lo
	v_and_or_b32 v1, 0x80000000, v1, v3
	s_delay_alu instid0(VALU_DEP_1)
	v_cvt_i32_f32_e32 v12, v1
.LBB111_2289:
	s_mov_b32 s15, 0
	s_mov_b32 s16, -1
.LBB111_2290:
	s_and_not1_b32 vcc_lo, exec_lo, s15
	s_mov_b32 s15, 0
	s_cbranch_vccnz .LBB111_2301
; %bb.2291:
	s_cmp_gt_i32 s8, 14
	s_cbranch_scc0 .LBB111_2294
; %bb.2292:
	s_cmp_eq_u32 s8, 15
	s_cbranch_scc0 .LBB111_2297
; %bb.2293:
	global_load_u16 v1, v[32:33], off
	s_mov_b32 s9, 0
	s_mov_b32 s16, -1
	s_wait_loadcnt 0x0
	v_lshlrev_b32_e32 v1, 16, v1
	s_delay_alu instid0(VALU_DEP_1)
	v_cvt_i32_f32_e32 v12, v1
	s_branch .LBB111_2299
.LBB111_2294:
	s_mov_b32 s15, -1
	s_branch .LBB111_2298
.LBB111_2295:
	s_and_not1_saveexec_b32 s15, s15
	s_cbranch_execz .LBB111_2276
.LBB111_2296:
	v_cmp_ne_u16_e32 vcc_lo, 0, v1
	s_and_not1_b32 s16, s16, exec_lo
	s_and_b32 s17, vcc_lo, exec_lo
	s_delay_alu instid0(SALU_CYCLE_1)
	s_or_b32 s16, s16, s17
	s_or_b32 exec_lo, exec_lo, s15
	v_mov_b32_e32 v12, 0
	s_and_saveexec_b32 s15, s16
	s_cbranch_execnz .LBB111_2277
	s_branch .LBB111_2278
.LBB111_2297:
	s_mov_b32 s9, -1
.LBB111_2298:
                                        ; implicit-def: $vgpr12
.LBB111_2299:
	s_and_b32 vcc_lo, exec_lo, s15
	s_mov_b32 s15, 0
	s_cbranch_vccz .LBB111_2301
; %bb.2300:
	s_cmp_lg_u32 s8, 11
	s_mov_b32 s15, -1
	s_cselect_b32 s9, -1, 0
.LBB111_2301:
	s_delay_alu instid0(SALU_CYCLE_1)
	s_and_b32 vcc_lo, exec_lo, s9
	s_cbranch_vccnz .LBB111_2364
; %bb.2302:
	s_and_not1_b32 vcc_lo, exec_lo, s15
	s_cbranch_vccnz .LBB111_2304
.LBB111_2303:
	global_load_u8 v1, v[32:33], off
	s_mov_b32 s16, -1
	s_wait_loadcnt 0x0
	v_cmp_ne_u16_e32 vcc_lo, 0, v1
	v_cndmask_b32_e64 v12, 0, 1, vcc_lo
.LBB111_2304:
	s_branch .LBB111_2234
.LBB111_2305:
	s_and_b32 s8, 0xffff, s14
	s_delay_alu instid0(SALU_CYCLE_1)
	s_cmp_lt_i32 s8, 5
	s_cbranch_scc1 .LBB111_2310
; %bb.2306:
	s_cmp_lt_i32 s8, 8
	s_cbranch_scc1 .LBB111_2311
; %bb.2307:
	;; [unrolled: 3-line block ×3, first 2 shown]
	s_cmp_gt_i32 s8, 9
	s_cbranch_scc0 .LBB111_2313
; %bb.2309:
	s_wait_loadcnt 0x0
	global_load_b64 v[12:13], v[32:33], off
	s_mov_b32 s9, 0
	s_wait_loadcnt 0x0
	v_cvt_i32_f64_e32 v12, v[12:13]
	s_branch .LBB111_2314
.LBB111_2310:
                                        ; implicit-def: $vgpr12
	s_branch .LBB111_2332
.LBB111_2311:
	s_mov_b32 s9, -1
                                        ; implicit-def: $vgpr12
	s_branch .LBB111_2320
.LBB111_2312:
	s_mov_b32 s9, -1
                                        ; implicit-def: $vgpr12
	s_branch .LBB111_2317
.LBB111_2313:
	s_mov_b32 s9, -1
                                        ; implicit-def: $vgpr12
.LBB111_2314:
	s_delay_alu instid0(SALU_CYCLE_1)
	s_and_not1_b32 vcc_lo, exec_lo, s9
	s_cbranch_vccnz .LBB111_2316
; %bb.2315:
	global_load_b32 v1, v[32:33], off
	s_wait_loadcnt 0x0
	v_cvt_i32_f32_e32 v12, v1
.LBB111_2316:
	s_mov_b32 s9, 0
.LBB111_2317:
	s_delay_alu instid0(SALU_CYCLE_1)
	s_and_not1_b32 vcc_lo, exec_lo, s9
	s_cbranch_vccnz .LBB111_2319
; %bb.2318:
	global_load_b32 v1, v[32:33], off
	s_wait_loadcnt 0x0
	v_cvt_i16_f16_e32 v12, v1
.LBB111_2319:
	s_mov_b32 s9, 0
.LBB111_2320:
	s_delay_alu instid0(SALU_CYCLE_1)
	s_and_not1_b32 vcc_lo, exec_lo, s9
	s_cbranch_vccnz .LBB111_2331
; %bb.2321:
	s_cmp_lt_i32 s8, 6
	s_cbranch_scc1 .LBB111_2324
; %bb.2322:
	s_cmp_gt_i32 s8, 6
	s_cbranch_scc0 .LBB111_2325
; %bb.2323:
	s_wait_loadcnt 0x0
	global_load_b64 v[12:13], v[32:33], off
	s_mov_b32 s9, 0
	s_wait_loadcnt 0x0
	v_cvt_i32_f64_e32 v12, v[12:13]
	s_branch .LBB111_2326
.LBB111_2324:
	s_mov_b32 s9, -1
                                        ; implicit-def: $vgpr12
	s_branch .LBB111_2329
.LBB111_2325:
	s_mov_b32 s9, -1
                                        ; implicit-def: $vgpr12
.LBB111_2326:
	s_delay_alu instid0(SALU_CYCLE_1)
	s_and_not1_b32 vcc_lo, exec_lo, s9
	s_cbranch_vccnz .LBB111_2328
; %bb.2327:
	global_load_b32 v1, v[32:33], off
	s_wait_loadcnt 0x0
	v_cvt_i32_f32_e32 v12, v1
.LBB111_2328:
	s_mov_b32 s9, 0
.LBB111_2329:
	s_delay_alu instid0(SALU_CYCLE_1)
	s_and_not1_b32 vcc_lo, exec_lo, s9
	s_cbranch_vccnz .LBB111_2331
; %bb.2330:
	global_load_u16 v1, v[32:33], off
	s_wait_loadcnt 0x0
	v_cvt_i16_f16_e32 v12, v1
.LBB111_2331:
	s_cbranch_execnz .LBB111_2351
.LBB111_2332:
	s_cmp_lt_i32 s8, 2
	s_cbranch_scc1 .LBB111_2336
; %bb.2333:
	s_cmp_lt_i32 s8, 3
	s_cbranch_scc1 .LBB111_2337
; %bb.2334:
	s_cmp_gt_i32 s8, 3
	s_cbranch_scc0 .LBB111_2338
; %bb.2335:
	s_wait_loadcnt 0x0
	global_load_b64 v[12:13], v[32:33], off
	s_mov_b32 s9, 0
	s_branch .LBB111_2339
.LBB111_2336:
	s_mov_b32 s9, -1
                                        ; implicit-def: $vgpr12
	s_branch .LBB111_2345
.LBB111_2337:
	s_mov_b32 s9, -1
                                        ; implicit-def: $vgpr12
	s_branch .LBB111_2342
.LBB111_2338:
	s_mov_b32 s9, -1
                                        ; implicit-def: $vgpr12
.LBB111_2339:
	s_delay_alu instid0(SALU_CYCLE_1)
	s_and_not1_b32 vcc_lo, exec_lo, s9
	s_cbranch_vccnz .LBB111_2341
; %bb.2340:
	s_wait_loadcnt 0x0
	global_load_b32 v12, v[32:33], off
.LBB111_2341:
	s_mov_b32 s9, 0
.LBB111_2342:
	s_delay_alu instid0(SALU_CYCLE_1)
	s_and_not1_b32 vcc_lo, exec_lo, s9
	s_cbranch_vccnz .LBB111_2344
; %bb.2343:
	s_wait_loadcnt 0x0
	global_load_u16 v12, v[32:33], off
.LBB111_2344:
	s_mov_b32 s9, 0
.LBB111_2345:
	s_delay_alu instid0(SALU_CYCLE_1)
	s_and_not1_b32 vcc_lo, exec_lo, s9
	s_cbranch_vccnz .LBB111_2351
; %bb.2346:
	s_cmp_gt_i32 s8, 0
	s_mov_b32 s8, 0
	s_cbranch_scc0 .LBB111_2348
; %bb.2347:
	s_wait_loadcnt 0x0
	global_load_u8 v12, v[32:33], off
	s_branch .LBB111_2349
.LBB111_2348:
	s_mov_b32 s8, -1
                                        ; implicit-def: $vgpr12
.LBB111_2349:
	s_delay_alu instid0(SALU_CYCLE_1)
	s_and_not1_b32 vcc_lo, exec_lo, s8
	s_cbranch_vccnz .LBB111_2351
; %bb.2350:
	s_wait_loadcnt 0x0
	global_load_u8 v12, v[32:33], off
.LBB111_2351:
.LBB111_2352:
	s_clause 0x1
	s_load_b64 s[8:9], s[2:3], 0x1e0
	s_load_b32 s15, s[2:3], 0x1ec
	v_mov_b32_e32 v19, 0
	s_wait_kmcnt 0x0
	s_delay_alu instid0(VALU_DEP_1) | instskip(SKIP_1) | instid1(SALU_CYCLE_1)
	v_add_nc_u64_e32 v[32:33], s[8:9], v[18:19]
	s_and_b32 s15, s15, 0xff
	s_cmp_lt_i32 s15, 11
	s_cbranch_scc1 .LBB111_2359
; %bb.2353:
	s_and_b32 s16, 0xffff, s15
	s_mov_b32 s18, 0
	s_cmp_gt_i32 s16, 25
	s_cbranch_scc0 .LBB111_2361
; %bb.2354:
	s_cmp_gt_i32 s16, 28
	s_cbranch_scc0 .LBB111_2362
; %bb.2355:
	;; [unrolled: 3-line block ×4, first 2 shown]
	s_cmp_eq_u32 s16, 46
	s_mov_b32 s20, 0
	s_cbranch_scc0 .LBB111_2366
; %bb.2358:
	global_load_b32 v1, v[32:33], off
	s_mov_b32 s17, 0
	s_mov_b32 s19, -1
	s_wait_loadcnt 0x0
	v_lshlrev_b32_e32 v1, 16, v1
	s_delay_alu instid0(VALU_DEP_1)
	v_cvt_i32_f32_e32 v18, v1
	s_branch .LBB111_2368
.LBB111_2359:
	s_mov_b32 s19, 0
                                        ; implicit-def: $vgpr18
	s_cbranch_execnz .LBB111_2430
.LBB111_2360:
	s_and_not1_b32 vcc_lo, exec_lo, s19
	s_cbranch_vccnz .LBB111_4058
	s_branch .LBB111_2478
.LBB111_2361:
	s_mov_b32 s20, -1
	s_mov_b32 s19, 0
	s_mov_b32 s17, 0
                                        ; implicit-def: $vgpr18
	s_branch .LBB111_2395
.LBB111_2362:
	s_mov_b32 s20, -1
	s_mov_b32 s19, 0
	s_mov_b32 s17, 0
                                        ; implicit-def: $vgpr18
	s_branch .LBB111_2378
.LBB111_2363:
	s_mov_b32 s20, -1
	s_mov_b32 s19, 0
	s_mov_b32 s17, 0
                                        ; implicit-def: $vgpr18
	s_branch .LBB111_2373
.LBB111_2364:
	s_or_b32 s12, s12, exec_lo
	s_trap 2
	s_cbranch_execz .LBB111_2303
	s_branch .LBB111_2304
.LBB111_2365:
	s_mov_b32 s20, -1
	s_mov_b32 s19, 0
	s_mov_b32 s17, 0
	s_branch .LBB111_2367
.LBB111_2366:
	s_mov_b32 s17, -1
	s_mov_b32 s19, 0
.LBB111_2367:
                                        ; implicit-def: $vgpr18
.LBB111_2368:
	s_and_b32 vcc_lo, exec_lo, s20
	s_cbranch_vccz .LBB111_2372
; %bb.2369:
	s_cmp_eq_u32 s16, 44
	s_cbranch_scc0 .LBB111_2371
; %bb.2370:
	global_load_u8 v1, v[32:33], off
	s_mov_b32 s17, 0
	s_mov_b32 s19, -1
	s_wait_loadcnt 0x0
	v_lshlrev_b32_e32 v3, 23, v1
	v_cmp_ne_u32_e32 vcc_lo, 0, v1
	s_delay_alu instid0(VALU_DEP_2) | instskip(NEXT) | instid1(VALU_DEP_1)
	v_cvt_i32_f32_e32 v3, v3
	v_cndmask_b32_e32 v18, 0, v3, vcc_lo
	s_branch .LBB111_2372
.LBB111_2371:
	s_mov_b32 s17, -1
                                        ; implicit-def: $vgpr18
.LBB111_2372:
	s_mov_b32 s20, 0
.LBB111_2373:
	s_delay_alu instid0(SALU_CYCLE_1)
	s_and_b32 vcc_lo, exec_lo, s20
	s_cbranch_vccz .LBB111_2377
; %bb.2374:
	s_cmp_eq_u32 s16, 29
	s_cbranch_scc0 .LBB111_2376
; %bb.2375:
	global_load_b64 v[18:19], v[32:33], off
	s_mov_b32 s17, 0
	s_mov_b32 s19, -1
	s_branch .LBB111_2377
.LBB111_2376:
	s_mov_b32 s17, -1
                                        ; implicit-def: $vgpr18
.LBB111_2377:
	s_mov_b32 s20, 0
.LBB111_2378:
	s_delay_alu instid0(SALU_CYCLE_1)
	s_and_b32 vcc_lo, exec_lo, s20
	s_cbranch_vccz .LBB111_2394
; %bb.2379:
	s_cmp_lt_i32 s16, 27
	s_cbranch_scc1 .LBB111_2382
; %bb.2380:
	s_cmp_gt_i32 s16, 27
	s_cbranch_scc0 .LBB111_2383
; %bb.2381:
	s_wait_loadcnt 0x0
	global_load_b32 v18, v[32:33], off
	s_mov_b32 s19, 0
	s_branch .LBB111_2384
.LBB111_2382:
	s_mov_b32 s19, -1
                                        ; implicit-def: $vgpr18
	s_branch .LBB111_2387
.LBB111_2383:
	s_mov_b32 s19, -1
                                        ; implicit-def: $vgpr18
.LBB111_2384:
	s_delay_alu instid0(SALU_CYCLE_1)
	s_and_not1_b32 vcc_lo, exec_lo, s19
	s_cbranch_vccnz .LBB111_2386
; %bb.2385:
	s_wait_loadcnt 0x0
	global_load_u16 v18, v[32:33], off
.LBB111_2386:
	s_mov_b32 s19, 0
.LBB111_2387:
	s_delay_alu instid0(SALU_CYCLE_1)
	s_and_not1_b32 vcc_lo, exec_lo, s19
	s_cbranch_vccnz .LBB111_2393
; %bb.2388:
	global_load_u8 v1, v[32:33], off
	s_mov_b32 s20, 0
	s_mov_b32 s19, exec_lo
	s_wait_loadcnt 0x0
	v_cmpx_lt_i16_e32 0x7f, v1
	s_xor_b32 s19, exec_lo, s19
	s_cbranch_execz .LBB111_2405
; %bb.2389:
	v_cmp_ne_u16_e32 vcc_lo, 0x80, v1
	s_and_b32 s20, vcc_lo, exec_lo
	s_and_not1_saveexec_b32 s19, s19
	s_cbranch_execnz .LBB111_2406
.LBB111_2390:
	s_or_b32 exec_lo, exec_lo, s19
	v_mov_b32_e32 v18, 0
	s_and_saveexec_b32 s19, s20
	s_cbranch_execz .LBB111_2392
.LBB111_2391:
	v_and_b32_e32 v3, 0xffff, v1
	s_delay_alu instid0(VALU_DEP_1) | instskip(SKIP_1) | instid1(VALU_DEP_2)
	v_dual_lshlrev_b32 v1, 24, v1 :: v_dual_bitop2_b32 v5, 7, v3 bitop3:0x40
	v_bfe_u32 v11, v3, 3, 4
	v_and_b32_e32 v1, 0x80000000, v1
	s_delay_alu instid0(VALU_DEP_3) | instskip(NEXT) | instid1(VALU_DEP_3)
	v_clz_i32_u32_e32 v7, v5
	v_cmp_eq_u32_e32 vcc_lo, 0, v11
	s_delay_alu instid0(VALU_DEP_2) | instskip(NEXT) | instid1(VALU_DEP_1)
	v_min_u32_e32 v7, 32, v7
	v_subrev_nc_u32_e32 v9, 28, v7
	v_sub_nc_u32_e32 v7, 29, v7
	s_delay_alu instid0(VALU_DEP_2) | instskip(NEXT) | instid1(VALU_DEP_2)
	v_lshlrev_b32_e32 v3, v9, v3
	v_cndmask_b32_e32 v7, v11, v7, vcc_lo
	s_delay_alu instid0(VALU_DEP_2) | instskip(NEXT) | instid1(VALU_DEP_1)
	v_and_b32_e32 v3, 7, v3
	v_cndmask_b32_e32 v3, v5, v3, vcc_lo
	s_delay_alu instid0(VALU_DEP_3) | instskip(NEXT) | instid1(VALU_DEP_2)
	v_lshl_add_u32 v5, v7, 23, 0x3b800000
	v_lshlrev_b32_e32 v3, 20, v3
	s_delay_alu instid0(VALU_DEP_1) | instskip(NEXT) | instid1(VALU_DEP_1)
	v_or3_b32 v1, v1, v5, v3
	v_cvt_i32_f32_e32 v18, v1
.LBB111_2392:
	s_or_b32 exec_lo, exec_lo, s19
.LBB111_2393:
	s_mov_b32 s19, -1
.LBB111_2394:
	s_mov_b32 s20, 0
.LBB111_2395:
	s_delay_alu instid0(SALU_CYCLE_1)
	s_and_b32 vcc_lo, exec_lo, s20
	s_cbranch_vccz .LBB111_2426
; %bb.2396:
	s_cmp_gt_i32 s16, 22
	s_cbranch_scc0 .LBB111_2404
; %bb.2397:
	s_cmp_lt_i32 s16, 24
	s_cbranch_scc1 .LBB111_2407
; %bb.2398:
	s_cmp_gt_i32 s16, 24
	s_cbranch_scc0 .LBB111_2408
; %bb.2399:
	global_load_u8 v1, v[32:33], off
	s_mov_b32 s19, 0
	s_mov_b32 s18, exec_lo
	s_wait_loadcnt 0x0
	v_cmpx_lt_i16_e32 0x7f, v1
	s_xor_b32 s18, exec_lo, s18
	s_cbranch_execz .LBB111_2420
; %bb.2400:
	v_cmp_ne_u16_e32 vcc_lo, 0x80, v1
	s_and_b32 s19, vcc_lo, exec_lo
	s_and_not1_saveexec_b32 s18, s18
	s_cbranch_execnz .LBB111_2421
.LBB111_2401:
	s_or_b32 exec_lo, exec_lo, s18
	v_mov_b32_e32 v18, 0
	s_and_saveexec_b32 s18, s19
	s_cbranch_execz .LBB111_2403
.LBB111_2402:
	v_and_b32_e32 v3, 0xffff, v1
	s_delay_alu instid0(VALU_DEP_1) | instskip(SKIP_1) | instid1(VALU_DEP_2)
	v_dual_lshlrev_b32 v1, 24, v1 :: v_dual_bitop2_b32 v5, 3, v3 bitop3:0x40
	v_bfe_u32 v11, v3, 2, 5
	v_and_b32_e32 v1, 0x80000000, v1
	s_delay_alu instid0(VALU_DEP_3) | instskip(NEXT) | instid1(VALU_DEP_3)
	v_clz_i32_u32_e32 v7, v5
	v_cmp_eq_u32_e32 vcc_lo, 0, v11
	s_delay_alu instid0(VALU_DEP_2) | instskip(NEXT) | instid1(VALU_DEP_1)
	v_min_u32_e32 v7, 32, v7
	v_subrev_nc_u32_e32 v9, 29, v7
	v_sub_nc_u32_e32 v7, 30, v7
	s_delay_alu instid0(VALU_DEP_2) | instskip(NEXT) | instid1(VALU_DEP_2)
	v_lshlrev_b32_e32 v3, v9, v3
	v_cndmask_b32_e32 v7, v11, v7, vcc_lo
	s_delay_alu instid0(VALU_DEP_2) | instskip(NEXT) | instid1(VALU_DEP_1)
	v_and_b32_e32 v3, 3, v3
	v_cndmask_b32_e32 v3, v5, v3, vcc_lo
	s_delay_alu instid0(VALU_DEP_3) | instskip(NEXT) | instid1(VALU_DEP_2)
	v_lshl_add_u32 v5, v7, 23, 0x37800000
	v_lshlrev_b32_e32 v3, 21, v3
	s_delay_alu instid0(VALU_DEP_1) | instskip(NEXT) | instid1(VALU_DEP_1)
	v_or3_b32 v1, v1, v5, v3
	v_cvt_i32_f32_e32 v18, v1
.LBB111_2403:
	s_or_b32 exec_lo, exec_lo, s18
	s_mov_b32 s18, 0
	s_branch .LBB111_2409
.LBB111_2404:
	s_mov_b32 s18, -1
                                        ; implicit-def: $vgpr18
	s_branch .LBB111_2415
.LBB111_2405:
	s_and_not1_saveexec_b32 s19, s19
	s_cbranch_execz .LBB111_2390
.LBB111_2406:
	v_cmp_ne_u16_e32 vcc_lo, 0, v1
	s_and_not1_b32 s20, s20, exec_lo
	s_and_b32 s21, vcc_lo, exec_lo
	s_delay_alu instid0(SALU_CYCLE_1)
	s_or_b32 s20, s20, s21
	s_or_b32 exec_lo, exec_lo, s19
	v_mov_b32_e32 v18, 0
	s_and_saveexec_b32 s19, s20
	s_cbranch_execnz .LBB111_2391
	s_branch .LBB111_2392
.LBB111_2407:
	s_mov_b32 s18, -1
                                        ; implicit-def: $vgpr18
	s_branch .LBB111_2412
.LBB111_2408:
	s_mov_b32 s18, -1
                                        ; implicit-def: $vgpr18
.LBB111_2409:
	s_delay_alu instid0(SALU_CYCLE_1)
	s_and_b32 vcc_lo, exec_lo, s18
	s_cbranch_vccz .LBB111_2411
; %bb.2410:
	global_load_u8 v1, v[32:33], off
	s_wait_loadcnt 0x0
	v_lshlrev_b32_e32 v1, 24, v1
	s_delay_alu instid0(VALU_DEP_1) | instskip(NEXT) | instid1(VALU_DEP_1)
	v_and_b32_e32 v3, 0x7f000000, v1
	v_clz_i32_u32_e32 v5, v3
	v_add_nc_u32_e32 v9, 0x1000000, v3
	v_cmp_ne_u32_e32 vcc_lo, 0, v3
	s_delay_alu instid0(VALU_DEP_3) | instskip(NEXT) | instid1(VALU_DEP_1)
	v_min_u32_e32 v5, 32, v5
	v_sub_nc_u32_e64 v5, v5, 4 clamp
	s_delay_alu instid0(VALU_DEP_1) | instskip(NEXT) | instid1(VALU_DEP_1)
	v_dual_lshlrev_b32 v7, v5, v3 :: v_dual_lshlrev_b32 v5, 23, v5
	v_lshrrev_b32_e32 v7, 4, v7
	s_delay_alu instid0(VALU_DEP_1) | instskip(SKIP_1) | instid1(VALU_DEP_2)
	v_sub_nc_u32_e32 v5, v7, v5
	v_ashrrev_i32_e32 v7, 8, v9
	v_add_nc_u32_e32 v5, 0x3c000000, v5
	s_delay_alu instid0(VALU_DEP_1) | instskip(NEXT) | instid1(VALU_DEP_1)
	v_and_or_b32 v5, 0x7f800000, v7, v5
	v_cndmask_b32_e32 v3, 0, v5, vcc_lo
	s_delay_alu instid0(VALU_DEP_1) | instskip(NEXT) | instid1(VALU_DEP_1)
	v_and_or_b32 v1, 0x80000000, v1, v3
	v_cvt_i32_f32_e32 v18, v1
.LBB111_2411:
	s_mov_b32 s18, 0
.LBB111_2412:
	s_delay_alu instid0(SALU_CYCLE_1)
	s_and_not1_b32 vcc_lo, exec_lo, s18
	s_cbranch_vccnz .LBB111_2414
; %bb.2413:
	global_load_u8 v1, v[32:33], off
	s_wait_loadcnt 0x0
	v_lshlrev_b32_e32 v3, 25, v1
	v_lshlrev_b16 v1, 8, v1
	s_delay_alu instid0(VALU_DEP_1) | instskip(SKIP_1) | instid1(VALU_DEP_2)
	v_and_or_b32 v7, 0x7f00, v1, 0.5
	v_bfe_i32 v1, v1, 0, 16
	v_add_f32_e32 v7, -0.5, v7
	v_lshrrev_b32_e32 v5, 4, v3
	v_cmp_gt_u32_e32 vcc_lo, 0x8000000, v3
	s_delay_alu instid0(VALU_DEP_2) | instskip(NEXT) | instid1(VALU_DEP_1)
	v_or_b32_e32 v5, 0x70000000, v5
	v_mul_f32_e32 v5, 0x7800000, v5
	s_delay_alu instid0(VALU_DEP_1) | instskip(NEXT) | instid1(VALU_DEP_1)
	v_cndmask_b32_e32 v3, v5, v7, vcc_lo
	v_and_or_b32 v1, 0x80000000, v1, v3
	s_delay_alu instid0(VALU_DEP_1)
	v_cvt_i32_f32_e32 v18, v1
.LBB111_2414:
	s_mov_b32 s18, 0
	s_mov_b32 s19, -1
.LBB111_2415:
	s_and_not1_b32 vcc_lo, exec_lo, s18
	s_mov_b32 s18, 0
	s_cbranch_vccnz .LBB111_2426
; %bb.2416:
	s_cmp_gt_i32 s16, 14
	s_cbranch_scc0 .LBB111_2419
; %bb.2417:
	s_cmp_eq_u32 s16, 15
	s_cbranch_scc0 .LBB111_2422
; %bb.2418:
	global_load_u16 v1, v[32:33], off
	s_mov_b32 s17, 0
	s_mov_b32 s19, -1
	s_wait_loadcnt 0x0
	v_lshlrev_b32_e32 v1, 16, v1
	s_delay_alu instid0(VALU_DEP_1)
	v_cvt_i32_f32_e32 v18, v1
	s_branch .LBB111_2424
.LBB111_2419:
	s_mov_b32 s18, -1
	s_branch .LBB111_2423
.LBB111_2420:
	s_and_not1_saveexec_b32 s18, s18
	s_cbranch_execz .LBB111_2401
.LBB111_2421:
	v_cmp_ne_u16_e32 vcc_lo, 0, v1
	s_and_not1_b32 s19, s19, exec_lo
	s_and_b32 s20, vcc_lo, exec_lo
	s_delay_alu instid0(SALU_CYCLE_1)
	s_or_b32 s19, s19, s20
	s_or_b32 exec_lo, exec_lo, s18
	v_mov_b32_e32 v18, 0
	s_and_saveexec_b32 s18, s19
	s_cbranch_execnz .LBB111_2402
	s_branch .LBB111_2403
.LBB111_2422:
	s_mov_b32 s17, -1
.LBB111_2423:
                                        ; implicit-def: $vgpr18
.LBB111_2424:
	s_and_b32 vcc_lo, exec_lo, s18
	s_mov_b32 s18, 0
	s_cbranch_vccz .LBB111_2426
; %bb.2425:
	s_cmp_lg_u32 s16, 11
	s_mov_b32 s18, -1
	s_cselect_b32 s17, -1, 0
.LBB111_2426:
	s_delay_alu instid0(SALU_CYCLE_1)
	s_and_b32 vcc_lo, exec_lo, s17
	s_cbranch_vccnz .LBB111_2489
; %bb.2427:
	s_and_not1_b32 vcc_lo, exec_lo, s18
	s_cbranch_vccnz .LBB111_2429
.LBB111_2428:
	global_load_u8 v1, v[32:33], off
	s_mov_b32 s19, -1
	s_wait_loadcnt 0x0
	v_cmp_ne_u16_e32 vcc_lo, 0, v1
	v_cndmask_b32_e64 v18, 0, 1, vcc_lo
.LBB111_2429:
	s_branch .LBB111_2360
.LBB111_2430:
	s_and_b32 s16, 0xffff, s15
	s_delay_alu instid0(SALU_CYCLE_1)
	s_cmp_lt_i32 s16, 5
	s_cbranch_scc1 .LBB111_2435
; %bb.2431:
	s_cmp_lt_i32 s16, 8
	s_cbranch_scc1 .LBB111_2436
; %bb.2432:
	;; [unrolled: 3-line block ×3, first 2 shown]
	s_cmp_gt_i32 s16, 9
	s_cbranch_scc0 .LBB111_2438
; %bb.2434:
	s_wait_loadcnt 0x0
	global_load_b64 v[18:19], v[32:33], off
	s_mov_b32 s17, 0
	s_wait_loadcnt 0x0
	v_cvt_i32_f64_e32 v18, v[18:19]
	s_branch .LBB111_2439
.LBB111_2435:
	s_mov_b32 s17, -1
                                        ; implicit-def: $vgpr18
	s_branch .LBB111_2457
.LBB111_2436:
	s_mov_b32 s17, -1
                                        ; implicit-def: $vgpr18
	s_branch .LBB111_2445
.LBB111_2437:
	s_mov_b32 s17, -1
                                        ; implicit-def: $vgpr18
	s_branch .LBB111_2442
.LBB111_2438:
	s_mov_b32 s17, -1
                                        ; implicit-def: $vgpr18
.LBB111_2439:
	s_delay_alu instid0(SALU_CYCLE_1)
	s_and_not1_b32 vcc_lo, exec_lo, s17
	s_cbranch_vccnz .LBB111_2441
; %bb.2440:
	global_load_b32 v1, v[32:33], off
	s_wait_loadcnt 0x0
	v_cvt_i32_f32_e32 v18, v1
.LBB111_2441:
	s_mov_b32 s17, 0
.LBB111_2442:
	s_delay_alu instid0(SALU_CYCLE_1)
	s_and_not1_b32 vcc_lo, exec_lo, s17
	s_cbranch_vccnz .LBB111_2444
; %bb.2443:
	global_load_b32 v1, v[32:33], off
	s_wait_loadcnt 0x0
	v_cvt_i16_f16_e32 v18, v1
.LBB111_2444:
	s_mov_b32 s17, 0
.LBB111_2445:
	s_delay_alu instid0(SALU_CYCLE_1)
	s_and_not1_b32 vcc_lo, exec_lo, s17
	s_cbranch_vccnz .LBB111_2456
; %bb.2446:
	s_cmp_lt_i32 s16, 6
	s_cbranch_scc1 .LBB111_2449
; %bb.2447:
	s_cmp_gt_i32 s16, 6
	s_cbranch_scc0 .LBB111_2450
; %bb.2448:
	s_wait_loadcnt 0x0
	global_load_b64 v[18:19], v[32:33], off
	s_mov_b32 s17, 0
	s_wait_loadcnt 0x0
	v_cvt_i32_f64_e32 v18, v[18:19]
	s_branch .LBB111_2451
.LBB111_2449:
	s_mov_b32 s17, -1
                                        ; implicit-def: $vgpr18
	s_branch .LBB111_2454
.LBB111_2450:
	s_mov_b32 s17, -1
                                        ; implicit-def: $vgpr18
.LBB111_2451:
	s_delay_alu instid0(SALU_CYCLE_1)
	s_and_not1_b32 vcc_lo, exec_lo, s17
	s_cbranch_vccnz .LBB111_2453
; %bb.2452:
	global_load_b32 v1, v[32:33], off
	s_wait_loadcnt 0x0
	v_cvt_i32_f32_e32 v18, v1
.LBB111_2453:
	s_mov_b32 s17, 0
.LBB111_2454:
	s_delay_alu instid0(SALU_CYCLE_1)
	s_and_not1_b32 vcc_lo, exec_lo, s17
	s_cbranch_vccnz .LBB111_2456
; %bb.2455:
	global_load_u16 v1, v[32:33], off
	s_wait_loadcnt 0x0
	v_cvt_i16_f16_e32 v18, v1
.LBB111_2456:
	s_mov_b32 s17, 0
.LBB111_2457:
	s_delay_alu instid0(SALU_CYCLE_1)
	s_and_not1_b32 vcc_lo, exec_lo, s17
	s_cbranch_vccnz .LBB111_2477
; %bb.2458:
	s_cmp_lt_i32 s16, 2
	s_cbranch_scc1 .LBB111_2462
; %bb.2459:
	s_cmp_lt_i32 s16, 3
	s_cbranch_scc1 .LBB111_2463
; %bb.2460:
	s_cmp_gt_i32 s16, 3
	s_cbranch_scc0 .LBB111_2464
; %bb.2461:
	s_wait_loadcnt 0x0
	global_load_b64 v[18:19], v[32:33], off
	s_mov_b32 s17, 0
	s_branch .LBB111_2465
.LBB111_2462:
	s_mov_b32 s17, -1
                                        ; implicit-def: $vgpr18
	s_branch .LBB111_2471
.LBB111_2463:
	s_mov_b32 s17, -1
                                        ; implicit-def: $vgpr18
	s_branch .LBB111_2468
.LBB111_2464:
	s_mov_b32 s17, -1
                                        ; implicit-def: $vgpr18
.LBB111_2465:
	s_delay_alu instid0(SALU_CYCLE_1)
	s_and_not1_b32 vcc_lo, exec_lo, s17
	s_cbranch_vccnz .LBB111_2467
; %bb.2466:
	s_wait_loadcnt 0x0
	global_load_b32 v18, v[32:33], off
.LBB111_2467:
	s_mov_b32 s17, 0
.LBB111_2468:
	s_delay_alu instid0(SALU_CYCLE_1)
	s_and_not1_b32 vcc_lo, exec_lo, s17
	s_cbranch_vccnz .LBB111_2470
; %bb.2469:
	s_wait_loadcnt 0x0
	global_load_u16 v18, v[32:33], off
.LBB111_2470:
	s_mov_b32 s17, 0
.LBB111_2471:
	s_delay_alu instid0(SALU_CYCLE_1)
	s_and_not1_b32 vcc_lo, exec_lo, s17
	s_cbranch_vccnz .LBB111_2477
; %bb.2472:
	s_cmp_gt_i32 s16, 0
	s_mov_b32 s16, 0
	s_cbranch_scc0 .LBB111_2474
; %bb.2473:
	s_wait_loadcnt 0x0
	global_load_u8 v18, v[32:33], off
	s_branch .LBB111_2475
.LBB111_2474:
	s_mov_b32 s16, -1
                                        ; implicit-def: $vgpr18
.LBB111_2475:
	s_delay_alu instid0(SALU_CYCLE_1)
	s_and_not1_b32 vcc_lo, exec_lo, s16
	s_cbranch_vccnz .LBB111_2477
; %bb.2476:
	s_wait_loadcnt 0x0
	global_load_u8 v18, v[32:33], off
.LBB111_2477:
.LBB111_2478:
	v_mov_b32_e32 v17, 0
	s_and_b32 s13, 0xffff, s13
	s_delay_alu instid0(SALU_CYCLE_1) | instskip(SKIP_1) | instid1(VALU_DEP_1)
	s_cmp_lt_i32 s13, 11
	s_wait_xcnt 0x0
	v_add_nc_u64_e32 v[32:33], s[6:7], v[16:17]
	s_cbranch_scc1 .LBB111_2485
; %bb.2479:
	s_cmp_gt_i32 s13, 25
	s_mov_b32 s17, 0
	s_cbranch_scc0 .LBB111_2486
; %bb.2480:
	s_cmp_gt_i32 s13, 28
	s_cbranch_scc0 .LBB111_2487
; %bb.2481:
	s_cmp_gt_i32 s13, 43
	;; [unrolled: 3-line block ×3, first 2 shown]
	s_cbranch_scc0 .LBB111_2490
; %bb.2483:
	s_cmp_eq_u32 s13, 46
	s_mov_b32 s19, 0
	s_cbranch_scc0 .LBB111_2491
; %bb.2484:
	global_load_b32 v1, v[32:33], off
	s_mov_b32 s16, 0
	s_mov_b32 s18, -1
	s_wait_loadcnt 0x0
	v_lshlrev_b32_e32 v1, 16, v1
	s_delay_alu instid0(VALU_DEP_1)
	v_cvt_i32_f32_e32 v16, v1
	s_branch .LBB111_2493
.LBB111_2485:
	s_mov_b32 s16, -1
	s_mov_b32 s18, 0
                                        ; implicit-def: $vgpr16
	s_branch .LBB111_2555
.LBB111_2486:
	s_mov_b32 s19, -1
	s_mov_b32 s18, 0
	s_mov_b32 s16, 0
                                        ; implicit-def: $vgpr16
	s_branch .LBB111_2520
.LBB111_2487:
	s_mov_b32 s19, -1
	s_mov_b32 s18, 0
	s_mov_b32 s16, 0
                                        ; implicit-def: $vgpr16
	s_branch .LBB111_2503
.LBB111_2488:
	s_mov_b32 s19, -1
	s_mov_b32 s18, 0
	s_mov_b32 s16, 0
                                        ; implicit-def: $vgpr16
	s_branch .LBB111_2498
.LBB111_2489:
	s_or_b32 s12, s12, exec_lo
	s_trap 2
	s_cbranch_execz .LBB111_2428
	s_branch .LBB111_2429
.LBB111_2490:
	s_mov_b32 s19, -1
	s_mov_b32 s18, 0
	s_mov_b32 s16, 0
	s_branch .LBB111_2492
.LBB111_2491:
	s_mov_b32 s16, -1
	s_mov_b32 s18, 0
.LBB111_2492:
                                        ; implicit-def: $vgpr16
.LBB111_2493:
	s_and_b32 vcc_lo, exec_lo, s19
	s_cbranch_vccz .LBB111_2497
; %bb.2494:
	s_cmp_eq_u32 s13, 44
	s_cbranch_scc0 .LBB111_2496
; %bb.2495:
	global_load_u8 v1, v[32:33], off
	s_mov_b32 s16, 0
	s_mov_b32 s18, -1
	s_wait_loadcnt 0x0
	v_lshlrev_b32_e32 v3, 23, v1
	v_cmp_ne_u32_e32 vcc_lo, 0, v1
	s_delay_alu instid0(VALU_DEP_2) | instskip(NEXT) | instid1(VALU_DEP_1)
	v_cvt_i32_f32_e32 v3, v3
	v_cndmask_b32_e32 v16, 0, v3, vcc_lo
	s_branch .LBB111_2497
.LBB111_2496:
	s_mov_b32 s16, -1
                                        ; implicit-def: $vgpr16
.LBB111_2497:
	s_mov_b32 s19, 0
.LBB111_2498:
	s_delay_alu instid0(SALU_CYCLE_1)
	s_and_b32 vcc_lo, exec_lo, s19
	s_cbranch_vccz .LBB111_2502
; %bb.2499:
	s_cmp_eq_u32 s13, 29
	s_cbranch_scc0 .LBB111_2501
; %bb.2500:
	global_load_b64 v[16:17], v[32:33], off
	s_mov_b32 s16, 0
	s_mov_b32 s18, -1
	s_branch .LBB111_2502
.LBB111_2501:
	s_mov_b32 s16, -1
                                        ; implicit-def: $vgpr16
.LBB111_2502:
	s_mov_b32 s19, 0
.LBB111_2503:
	s_delay_alu instid0(SALU_CYCLE_1)
	s_and_b32 vcc_lo, exec_lo, s19
	s_cbranch_vccz .LBB111_2519
; %bb.2504:
	s_cmp_lt_i32 s13, 27
	s_cbranch_scc1 .LBB111_2507
; %bb.2505:
	s_cmp_gt_i32 s13, 27
	s_cbranch_scc0 .LBB111_2508
; %bb.2506:
	s_wait_loadcnt 0x0
	global_load_b32 v16, v[32:33], off
	s_mov_b32 s18, 0
	s_branch .LBB111_2509
.LBB111_2507:
	s_mov_b32 s18, -1
                                        ; implicit-def: $vgpr16
	s_branch .LBB111_2512
.LBB111_2508:
	s_mov_b32 s18, -1
                                        ; implicit-def: $vgpr16
.LBB111_2509:
	s_delay_alu instid0(SALU_CYCLE_1)
	s_and_not1_b32 vcc_lo, exec_lo, s18
	s_cbranch_vccnz .LBB111_2511
; %bb.2510:
	s_wait_loadcnt 0x0
	global_load_u16 v16, v[32:33], off
.LBB111_2511:
	s_mov_b32 s18, 0
.LBB111_2512:
	s_delay_alu instid0(SALU_CYCLE_1)
	s_and_not1_b32 vcc_lo, exec_lo, s18
	s_cbranch_vccnz .LBB111_2518
; %bb.2513:
	global_load_u8 v1, v[32:33], off
	s_mov_b32 s19, 0
	s_mov_b32 s18, exec_lo
	s_wait_loadcnt 0x0
	v_cmpx_lt_i16_e32 0x7f, v1
	s_xor_b32 s18, exec_lo, s18
	s_cbranch_execz .LBB111_2530
; %bb.2514:
	v_cmp_ne_u16_e32 vcc_lo, 0x80, v1
	s_and_b32 s19, vcc_lo, exec_lo
	s_and_not1_saveexec_b32 s18, s18
	s_cbranch_execnz .LBB111_2531
.LBB111_2515:
	s_or_b32 exec_lo, exec_lo, s18
	v_mov_b32_e32 v16, 0
	s_and_saveexec_b32 s18, s19
	s_cbranch_execz .LBB111_2517
.LBB111_2516:
	v_and_b32_e32 v3, 0xffff, v1
	s_delay_alu instid0(VALU_DEP_1) | instskip(SKIP_1) | instid1(VALU_DEP_2)
	v_dual_lshlrev_b32 v1, 24, v1 :: v_dual_bitop2_b32 v5, 7, v3 bitop3:0x40
	v_bfe_u32 v11, v3, 3, 4
	v_and_b32_e32 v1, 0x80000000, v1
	s_delay_alu instid0(VALU_DEP_3) | instskip(NEXT) | instid1(VALU_DEP_3)
	v_clz_i32_u32_e32 v7, v5
	v_cmp_eq_u32_e32 vcc_lo, 0, v11
	s_delay_alu instid0(VALU_DEP_2) | instskip(NEXT) | instid1(VALU_DEP_1)
	v_min_u32_e32 v7, 32, v7
	v_subrev_nc_u32_e32 v9, 28, v7
	v_sub_nc_u32_e32 v7, 29, v7
	s_delay_alu instid0(VALU_DEP_2) | instskip(NEXT) | instid1(VALU_DEP_2)
	v_lshlrev_b32_e32 v3, v9, v3
	v_cndmask_b32_e32 v7, v11, v7, vcc_lo
	s_delay_alu instid0(VALU_DEP_2) | instskip(NEXT) | instid1(VALU_DEP_1)
	v_and_b32_e32 v3, 7, v3
	v_cndmask_b32_e32 v3, v5, v3, vcc_lo
	s_delay_alu instid0(VALU_DEP_3) | instskip(NEXT) | instid1(VALU_DEP_2)
	v_lshl_add_u32 v5, v7, 23, 0x3b800000
	v_lshlrev_b32_e32 v3, 20, v3
	s_delay_alu instid0(VALU_DEP_1) | instskip(NEXT) | instid1(VALU_DEP_1)
	v_or3_b32 v1, v1, v5, v3
	v_cvt_i32_f32_e32 v16, v1
.LBB111_2517:
	s_or_b32 exec_lo, exec_lo, s18
.LBB111_2518:
	s_mov_b32 s18, -1
.LBB111_2519:
	s_mov_b32 s19, 0
.LBB111_2520:
	s_delay_alu instid0(SALU_CYCLE_1)
	s_and_b32 vcc_lo, exec_lo, s19
	s_cbranch_vccz .LBB111_2551
; %bb.2521:
	s_cmp_gt_i32 s13, 22
	s_cbranch_scc0 .LBB111_2529
; %bb.2522:
	s_cmp_lt_i32 s13, 24
	s_cbranch_scc1 .LBB111_2532
; %bb.2523:
	s_cmp_gt_i32 s13, 24
	s_cbranch_scc0 .LBB111_2533
; %bb.2524:
	global_load_u8 v1, v[32:33], off
	s_mov_b32 s18, 0
	s_mov_b32 s17, exec_lo
	s_wait_loadcnt 0x0
	v_cmpx_lt_i16_e32 0x7f, v1
	s_xor_b32 s17, exec_lo, s17
	s_cbranch_execz .LBB111_2545
; %bb.2525:
	v_cmp_ne_u16_e32 vcc_lo, 0x80, v1
	s_and_b32 s18, vcc_lo, exec_lo
	s_and_not1_saveexec_b32 s17, s17
	s_cbranch_execnz .LBB111_2546
.LBB111_2526:
	s_or_b32 exec_lo, exec_lo, s17
	v_mov_b32_e32 v16, 0
	s_and_saveexec_b32 s17, s18
	s_cbranch_execz .LBB111_2528
.LBB111_2527:
	v_and_b32_e32 v3, 0xffff, v1
	s_delay_alu instid0(VALU_DEP_1) | instskip(SKIP_1) | instid1(VALU_DEP_2)
	v_dual_lshlrev_b32 v1, 24, v1 :: v_dual_bitop2_b32 v5, 3, v3 bitop3:0x40
	v_bfe_u32 v11, v3, 2, 5
	v_and_b32_e32 v1, 0x80000000, v1
	s_delay_alu instid0(VALU_DEP_3) | instskip(NEXT) | instid1(VALU_DEP_3)
	v_clz_i32_u32_e32 v7, v5
	v_cmp_eq_u32_e32 vcc_lo, 0, v11
	s_delay_alu instid0(VALU_DEP_2) | instskip(NEXT) | instid1(VALU_DEP_1)
	v_min_u32_e32 v7, 32, v7
	v_subrev_nc_u32_e32 v9, 29, v7
	v_sub_nc_u32_e32 v7, 30, v7
	s_delay_alu instid0(VALU_DEP_2) | instskip(NEXT) | instid1(VALU_DEP_2)
	v_lshlrev_b32_e32 v3, v9, v3
	v_cndmask_b32_e32 v7, v11, v7, vcc_lo
	s_delay_alu instid0(VALU_DEP_2) | instskip(NEXT) | instid1(VALU_DEP_1)
	v_and_b32_e32 v3, 3, v3
	v_cndmask_b32_e32 v3, v5, v3, vcc_lo
	s_delay_alu instid0(VALU_DEP_3) | instskip(NEXT) | instid1(VALU_DEP_2)
	v_lshl_add_u32 v5, v7, 23, 0x37800000
	v_lshlrev_b32_e32 v3, 21, v3
	s_delay_alu instid0(VALU_DEP_1) | instskip(NEXT) | instid1(VALU_DEP_1)
	v_or3_b32 v1, v1, v5, v3
	v_cvt_i32_f32_e32 v16, v1
.LBB111_2528:
	s_or_b32 exec_lo, exec_lo, s17
	s_mov_b32 s17, 0
	s_branch .LBB111_2534
.LBB111_2529:
	s_mov_b32 s17, -1
                                        ; implicit-def: $vgpr16
	s_branch .LBB111_2540
.LBB111_2530:
	s_and_not1_saveexec_b32 s18, s18
	s_cbranch_execz .LBB111_2515
.LBB111_2531:
	v_cmp_ne_u16_e32 vcc_lo, 0, v1
	s_and_not1_b32 s19, s19, exec_lo
	s_and_b32 s20, vcc_lo, exec_lo
	s_delay_alu instid0(SALU_CYCLE_1)
	s_or_b32 s19, s19, s20
	s_or_b32 exec_lo, exec_lo, s18
	v_mov_b32_e32 v16, 0
	s_and_saveexec_b32 s18, s19
	s_cbranch_execnz .LBB111_2516
	s_branch .LBB111_2517
.LBB111_2532:
	s_mov_b32 s17, -1
                                        ; implicit-def: $vgpr16
	s_branch .LBB111_2537
.LBB111_2533:
	s_mov_b32 s17, -1
                                        ; implicit-def: $vgpr16
.LBB111_2534:
	s_delay_alu instid0(SALU_CYCLE_1)
	s_and_b32 vcc_lo, exec_lo, s17
	s_cbranch_vccz .LBB111_2536
; %bb.2535:
	global_load_u8 v1, v[32:33], off
	s_wait_loadcnt 0x0
	v_lshlrev_b32_e32 v1, 24, v1
	s_delay_alu instid0(VALU_DEP_1) | instskip(NEXT) | instid1(VALU_DEP_1)
	v_and_b32_e32 v3, 0x7f000000, v1
	v_clz_i32_u32_e32 v5, v3
	v_add_nc_u32_e32 v9, 0x1000000, v3
	v_cmp_ne_u32_e32 vcc_lo, 0, v3
	s_delay_alu instid0(VALU_DEP_3) | instskip(NEXT) | instid1(VALU_DEP_1)
	v_min_u32_e32 v5, 32, v5
	v_sub_nc_u32_e64 v5, v5, 4 clamp
	s_delay_alu instid0(VALU_DEP_1) | instskip(NEXT) | instid1(VALU_DEP_1)
	v_dual_lshlrev_b32 v7, v5, v3 :: v_dual_lshlrev_b32 v5, 23, v5
	v_lshrrev_b32_e32 v7, 4, v7
	s_delay_alu instid0(VALU_DEP_1) | instskip(SKIP_1) | instid1(VALU_DEP_2)
	v_sub_nc_u32_e32 v5, v7, v5
	v_ashrrev_i32_e32 v7, 8, v9
	v_add_nc_u32_e32 v5, 0x3c000000, v5
	s_delay_alu instid0(VALU_DEP_1) | instskip(NEXT) | instid1(VALU_DEP_1)
	v_and_or_b32 v5, 0x7f800000, v7, v5
	v_cndmask_b32_e32 v3, 0, v5, vcc_lo
	s_delay_alu instid0(VALU_DEP_1) | instskip(NEXT) | instid1(VALU_DEP_1)
	v_and_or_b32 v1, 0x80000000, v1, v3
	v_cvt_i32_f32_e32 v16, v1
.LBB111_2536:
	s_mov_b32 s17, 0
.LBB111_2537:
	s_delay_alu instid0(SALU_CYCLE_1)
	s_and_not1_b32 vcc_lo, exec_lo, s17
	s_cbranch_vccnz .LBB111_2539
; %bb.2538:
	global_load_u8 v1, v[32:33], off
	s_wait_loadcnt 0x0
	v_lshlrev_b32_e32 v3, 25, v1
	v_lshlrev_b16 v1, 8, v1
	s_delay_alu instid0(VALU_DEP_1) | instskip(SKIP_1) | instid1(VALU_DEP_2)
	v_and_or_b32 v7, 0x7f00, v1, 0.5
	v_bfe_i32 v1, v1, 0, 16
	v_add_f32_e32 v7, -0.5, v7
	v_lshrrev_b32_e32 v5, 4, v3
	v_cmp_gt_u32_e32 vcc_lo, 0x8000000, v3
	s_delay_alu instid0(VALU_DEP_2) | instskip(NEXT) | instid1(VALU_DEP_1)
	v_or_b32_e32 v5, 0x70000000, v5
	v_mul_f32_e32 v5, 0x7800000, v5
	s_delay_alu instid0(VALU_DEP_1) | instskip(NEXT) | instid1(VALU_DEP_1)
	v_cndmask_b32_e32 v3, v5, v7, vcc_lo
	v_and_or_b32 v1, 0x80000000, v1, v3
	s_delay_alu instid0(VALU_DEP_1)
	v_cvt_i32_f32_e32 v16, v1
.LBB111_2539:
	s_mov_b32 s17, 0
	s_mov_b32 s18, -1
.LBB111_2540:
	s_and_not1_b32 vcc_lo, exec_lo, s17
	s_mov_b32 s17, 0
	s_cbranch_vccnz .LBB111_2551
; %bb.2541:
	s_cmp_gt_i32 s13, 14
	s_cbranch_scc0 .LBB111_2544
; %bb.2542:
	s_cmp_eq_u32 s13, 15
	s_cbranch_scc0 .LBB111_2547
; %bb.2543:
	global_load_u16 v1, v[32:33], off
	s_mov_b32 s16, 0
	s_mov_b32 s18, -1
	s_wait_loadcnt 0x0
	v_lshlrev_b32_e32 v1, 16, v1
	s_delay_alu instid0(VALU_DEP_1)
	v_cvt_i32_f32_e32 v16, v1
	s_branch .LBB111_2549
.LBB111_2544:
	s_mov_b32 s17, -1
	s_branch .LBB111_2548
.LBB111_2545:
	s_and_not1_saveexec_b32 s17, s17
	s_cbranch_execz .LBB111_2526
.LBB111_2546:
	v_cmp_ne_u16_e32 vcc_lo, 0, v1
	s_and_not1_b32 s18, s18, exec_lo
	s_and_b32 s19, vcc_lo, exec_lo
	s_delay_alu instid0(SALU_CYCLE_1)
	s_or_b32 s18, s18, s19
	s_or_b32 exec_lo, exec_lo, s17
	v_mov_b32_e32 v16, 0
	s_and_saveexec_b32 s17, s18
	s_cbranch_execnz .LBB111_2527
	s_branch .LBB111_2528
.LBB111_2547:
	s_mov_b32 s16, -1
.LBB111_2548:
                                        ; implicit-def: $vgpr16
.LBB111_2549:
	s_and_b32 vcc_lo, exec_lo, s17
	s_mov_b32 s17, 0
	s_cbranch_vccz .LBB111_2551
; %bb.2550:
	s_cmp_lg_u32 s13, 11
	s_mov_b32 s17, -1
	s_cselect_b32 s16, -1, 0
.LBB111_2551:
	s_delay_alu instid0(SALU_CYCLE_1)
	s_and_b32 vcc_lo, exec_lo, s16
	s_cbranch_vccnz .LBB111_2616
; %bb.2552:
	s_and_not1_b32 vcc_lo, exec_lo, s17
	s_cbranch_vccnz .LBB111_2554
.LBB111_2553:
	global_load_u8 v1, v[32:33], off
	s_mov_b32 s18, -1
	s_wait_loadcnt 0x0
	v_cmp_ne_u16_e32 vcc_lo, 0, v1
	v_cndmask_b32_e64 v16, 0, 1, vcc_lo
.LBB111_2554:
	s_mov_b32 s16, 0
.LBB111_2555:
	s_delay_alu instid0(SALU_CYCLE_1)
	s_and_b32 vcc_lo, exec_lo, s16
	s_cbranch_vccz .LBB111_2604
; %bb.2556:
	s_cmp_lt_i32 s13, 5
	s_cbranch_scc1 .LBB111_2561
; %bb.2557:
	s_cmp_lt_i32 s13, 8
	s_cbranch_scc1 .LBB111_2562
	;; [unrolled: 3-line block ×3, first 2 shown]
; %bb.2559:
	s_cmp_gt_i32 s13, 9
	s_cbranch_scc0 .LBB111_2564
; %bb.2560:
	s_wait_loadcnt 0x0
	global_load_b64 v[16:17], v[32:33], off
	s_mov_b32 s16, 0
	s_wait_loadcnt 0x0
	v_cvt_i32_f64_e32 v16, v[16:17]
	s_branch .LBB111_2565
.LBB111_2561:
	s_mov_b32 s16, -1
                                        ; implicit-def: $vgpr16
	s_branch .LBB111_2583
.LBB111_2562:
	s_mov_b32 s16, -1
                                        ; implicit-def: $vgpr16
	s_branch .LBB111_2571
.LBB111_2563:
	s_mov_b32 s16, -1
                                        ; implicit-def: $vgpr16
	s_branch .LBB111_2568
.LBB111_2564:
	s_mov_b32 s16, -1
                                        ; implicit-def: $vgpr16
.LBB111_2565:
	s_delay_alu instid0(SALU_CYCLE_1)
	s_and_not1_b32 vcc_lo, exec_lo, s16
	s_cbranch_vccnz .LBB111_2567
; %bb.2566:
	global_load_b32 v1, v[32:33], off
	s_wait_loadcnt 0x0
	v_cvt_i32_f32_e32 v16, v1
.LBB111_2567:
	s_mov_b32 s16, 0
.LBB111_2568:
	s_delay_alu instid0(SALU_CYCLE_1)
	s_and_not1_b32 vcc_lo, exec_lo, s16
	s_cbranch_vccnz .LBB111_2570
; %bb.2569:
	global_load_b32 v1, v[32:33], off
	s_wait_loadcnt 0x0
	v_cvt_i16_f16_e32 v16, v1
.LBB111_2570:
	s_mov_b32 s16, 0
.LBB111_2571:
	s_delay_alu instid0(SALU_CYCLE_1)
	s_and_not1_b32 vcc_lo, exec_lo, s16
	s_cbranch_vccnz .LBB111_2582
; %bb.2572:
	s_cmp_lt_i32 s13, 6
	s_cbranch_scc1 .LBB111_2575
; %bb.2573:
	s_cmp_gt_i32 s13, 6
	s_cbranch_scc0 .LBB111_2576
; %bb.2574:
	s_wait_loadcnt 0x0
	global_load_b64 v[16:17], v[32:33], off
	s_mov_b32 s16, 0
	s_wait_loadcnt 0x0
	v_cvt_i32_f64_e32 v16, v[16:17]
	s_branch .LBB111_2577
.LBB111_2575:
	s_mov_b32 s16, -1
                                        ; implicit-def: $vgpr16
	s_branch .LBB111_2580
.LBB111_2576:
	s_mov_b32 s16, -1
                                        ; implicit-def: $vgpr16
.LBB111_2577:
	s_delay_alu instid0(SALU_CYCLE_1)
	s_and_not1_b32 vcc_lo, exec_lo, s16
	s_cbranch_vccnz .LBB111_2579
; %bb.2578:
	global_load_b32 v1, v[32:33], off
	s_wait_loadcnt 0x0
	v_cvt_i32_f32_e32 v16, v1
.LBB111_2579:
	s_mov_b32 s16, 0
.LBB111_2580:
	s_delay_alu instid0(SALU_CYCLE_1)
	s_and_not1_b32 vcc_lo, exec_lo, s16
	s_cbranch_vccnz .LBB111_2582
; %bb.2581:
	global_load_u16 v1, v[32:33], off
	s_wait_loadcnt 0x0
	v_cvt_i16_f16_e32 v16, v1
.LBB111_2582:
	s_mov_b32 s16, 0
.LBB111_2583:
	s_delay_alu instid0(SALU_CYCLE_1)
	s_and_not1_b32 vcc_lo, exec_lo, s16
	s_cbranch_vccnz .LBB111_2603
; %bb.2584:
	s_cmp_lt_i32 s13, 2
	s_cbranch_scc1 .LBB111_2588
; %bb.2585:
	s_cmp_lt_i32 s13, 3
	s_cbranch_scc1 .LBB111_2589
; %bb.2586:
	s_cmp_gt_i32 s13, 3
	s_cbranch_scc0 .LBB111_2590
; %bb.2587:
	s_wait_loadcnt 0x0
	global_load_b64 v[16:17], v[32:33], off
	s_mov_b32 s16, 0
	s_branch .LBB111_2591
.LBB111_2588:
	s_mov_b32 s16, -1
                                        ; implicit-def: $vgpr16
	s_branch .LBB111_2597
.LBB111_2589:
	s_mov_b32 s16, -1
                                        ; implicit-def: $vgpr16
	s_branch .LBB111_2594
.LBB111_2590:
	s_mov_b32 s16, -1
                                        ; implicit-def: $vgpr16
.LBB111_2591:
	s_delay_alu instid0(SALU_CYCLE_1)
	s_and_not1_b32 vcc_lo, exec_lo, s16
	s_cbranch_vccnz .LBB111_2593
; %bb.2592:
	s_wait_loadcnt 0x0
	global_load_b32 v16, v[32:33], off
.LBB111_2593:
	s_mov_b32 s16, 0
.LBB111_2594:
	s_delay_alu instid0(SALU_CYCLE_1)
	s_and_not1_b32 vcc_lo, exec_lo, s16
	s_cbranch_vccnz .LBB111_2596
; %bb.2595:
	s_wait_loadcnt 0x0
	global_load_u16 v16, v[32:33], off
.LBB111_2596:
	s_mov_b32 s16, 0
.LBB111_2597:
	s_delay_alu instid0(SALU_CYCLE_1)
	s_and_not1_b32 vcc_lo, exec_lo, s16
	s_cbranch_vccnz .LBB111_2603
; %bb.2598:
	s_cmp_gt_i32 s13, 0
	s_mov_b32 s16, 0
	s_cbranch_scc0 .LBB111_2600
; %bb.2599:
	s_wait_loadcnt 0x0
	global_load_u8 v16, v[32:33], off
	s_branch .LBB111_2601
.LBB111_2600:
	s_mov_b32 s16, -1
                                        ; implicit-def: $vgpr16
.LBB111_2601:
	s_delay_alu instid0(SALU_CYCLE_1)
	s_and_not1_b32 vcc_lo, exec_lo, s16
	s_cbranch_vccnz .LBB111_2603
; %bb.2602:
	s_wait_loadcnt 0x0
	global_load_u8 v16, v[32:33], off
.LBB111_2603:
	s_mov_b32 s18, -1
.LBB111_2604:
	s_delay_alu instid0(SALU_CYCLE_1)
	s_and_not1_b32 vcc_lo, exec_lo, s18
	s_cbranch_vccnz .LBB111_4058
; %bb.2605:
	v_mov_b32_e32 v23, 0
	s_and_b32 s14, 0xffff, s14
	s_delay_alu instid0(SALU_CYCLE_1) | instskip(SKIP_1) | instid1(VALU_DEP_1)
	s_cmp_lt_i32 s14, 11
	s_wait_xcnt 0x0
	v_add_nc_u64_e32 v[32:33], s[0:1], v[22:23]
	s_cbranch_scc1 .LBB111_2612
; %bb.2606:
	s_cmp_gt_i32 s14, 25
	s_mov_b32 s17, 0
	s_cbranch_scc0 .LBB111_2613
; %bb.2607:
	s_cmp_gt_i32 s14, 28
	s_cbranch_scc0 .LBB111_2614
; %bb.2608:
	s_cmp_gt_i32 s14, 43
	;; [unrolled: 3-line block ×3, first 2 shown]
	s_cbranch_scc0 .LBB111_2617
; %bb.2610:
	s_cmp_eq_u32 s14, 46
	s_mov_b32 s19, 0
	s_cbranch_scc0 .LBB111_2618
; %bb.2611:
	global_load_b32 v1, v[32:33], off
	s_mov_b32 s16, 0
	s_mov_b32 s18, -1
	s_wait_loadcnt 0x0
	v_lshlrev_b32_e32 v1, 16, v1
	s_delay_alu instid0(VALU_DEP_1)
	v_cvt_i32_f32_e32 v22, v1
	s_branch .LBB111_2620
.LBB111_2612:
	s_mov_b32 s16, -1
	s_mov_b32 s18, 0
                                        ; implicit-def: $vgpr22
	s_branch .LBB111_2682
.LBB111_2613:
	s_mov_b32 s19, -1
	s_mov_b32 s18, 0
	s_mov_b32 s16, 0
                                        ; implicit-def: $vgpr22
	s_branch .LBB111_2647
.LBB111_2614:
	s_mov_b32 s19, -1
	s_mov_b32 s18, 0
	s_mov_b32 s16, 0
                                        ; implicit-def: $vgpr22
	s_branch .LBB111_2630
.LBB111_2615:
	s_mov_b32 s19, -1
	s_mov_b32 s18, 0
	s_mov_b32 s16, 0
                                        ; implicit-def: $vgpr22
	s_branch .LBB111_2625
.LBB111_2616:
	s_or_b32 s12, s12, exec_lo
	s_trap 2
	s_cbranch_execz .LBB111_2553
	s_branch .LBB111_2554
.LBB111_2617:
	s_mov_b32 s19, -1
	s_mov_b32 s18, 0
	s_mov_b32 s16, 0
	s_branch .LBB111_2619
.LBB111_2618:
	s_mov_b32 s16, -1
	s_mov_b32 s18, 0
.LBB111_2619:
                                        ; implicit-def: $vgpr22
.LBB111_2620:
	s_and_b32 vcc_lo, exec_lo, s19
	s_cbranch_vccz .LBB111_2624
; %bb.2621:
	s_cmp_eq_u32 s14, 44
	s_cbranch_scc0 .LBB111_2623
; %bb.2622:
	global_load_u8 v1, v[32:33], off
	s_mov_b32 s16, 0
	s_mov_b32 s18, -1
	s_wait_loadcnt 0x0
	v_lshlrev_b32_e32 v3, 23, v1
	v_cmp_ne_u32_e32 vcc_lo, 0, v1
	s_delay_alu instid0(VALU_DEP_2) | instskip(NEXT) | instid1(VALU_DEP_1)
	v_cvt_i32_f32_e32 v3, v3
	v_cndmask_b32_e32 v22, 0, v3, vcc_lo
	s_branch .LBB111_2624
.LBB111_2623:
	s_mov_b32 s16, -1
                                        ; implicit-def: $vgpr22
.LBB111_2624:
	s_mov_b32 s19, 0
.LBB111_2625:
	s_delay_alu instid0(SALU_CYCLE_1)
	s_and_b32 vcc_lo, exec_lo, s19
	s_cbranch_vccz .LBB111_2629
; %bb.2626:
	s_cmp_eq_u32 s14, 29
	s_cbranch_scc0 .LBB111_2628
; %bb.2627:
	global_load_b64 v[22:23], v[32:33], off
	s_mov_b32 s16, 0
	s_mov_b32 s18, -1
	s_branch .LBB111_2629
.LBB111_2628:
	s_mov_b32 s16, -1
                                        ; implicit-def: $vgpr22
.LBB111_2629:
	s_mov_b32 s19, 0
.LBB111_2630:
	s_delay_alu instid0(SALU_CYCLE_1)
	s_and_b32 vcc_lo, exec_lo, s19
	s_cbranch_vccz .LBB111_2646
; %bb.2631:
	s_cmp_lt_i32 s14, 27
	s_cbranch_scc1 .LBB111_2634
; %bb.2632:
	s_cmp_gt_i32 s14, 27
	s_cbranch_scc0 .LBB111_2635
; %bb.2633:
	s_wait_loadcnt 0x0
	global_load_b32 v22, v[32:33], off
	s_mov_b32 s18, 0
	s_branch .LBB111_2636
.LBB111_2634:
	s_mov_b32 s18, -1
                                        ; implicit-def: $vgpr22
	s_branch .LBB111_2639
.LBB111_2635:
	s_mov_b32 s18, -1
                                        ; implicit-def: $vgpr22
.LBB111_2636:
	s_delay_alu instid0(SALU_CYCLE_1)
	s_and_not1_b32 vcc_lo, exec_lo, s18
	s_cbranch_vccnz .LBB111_2638
; %bb.2637:
	s_wait_loadcnt 0x0
	global_load_u16 v22, v[32:33], off
.LBB111_2638:
	s_mov_b32 s18, 0
.LBB111_2639:
	s_delay_alu instid0(SALU_CYCLE_1)
	s_and_not1_b32 vcc_lo, exec_lo, s18
	s_cbranch_vccnz .LBB111_2645
; %bb.2640:
	global_load_u8 v1, v[32:33], off
	s_mov_b32 s19, 0
	s_mov_b32 s18, exec_lo
	s_wait_loadcnt 0x0
	v_cmpx_lt_i16_e32 0x7f, v1
	s_xor_b32 s18, exec_lo, s18
	s_cbranch_execz .LBB111_2657
; %bb.2641:
	v_cmp_ne_u16_e32 vcc_lo, 0x80, v1
	s_and_b32 s19, vcc_lo, exec_lo
	s_and_not1_saveexec_b32 s18, s18
	s_cbranch_execnz .LBB111_2658
.LBB111_2642:
	s_or_b32 exec_lo, exec_lo, s18
	v_mov_b32_e32 v22, 0
	s_and_saveexec_b32 s18, s19
	s_cbranch_execz .LBB111_2644
.LBB111_2643:
	v_and_b32_e32 v3, 0xffff, v1
	s_delay_alu instid0(VALU_DEP_1) | instskip(SKIP_1) | instid1(VALU_DEP_2)
	v_dual_lshlrev_b32 v1, 24, v1 :: v_dual_bitop2_b32 v5, 7, v3 bitop3:0x40
	v_bfe_u32 v11, v3, 3, 4
	v_and_b32_e32 v1, 0x80000000, v1
	s_delay_alu instid0(VALU_DEP_3) | instskip(NEXT) | instid1(VALU_DEP_3)
	v_clz_i32_u32_e32 v7, v5
	v_cmp_eq_u32_e32 vcc_lo, 0, v11
	s_delay_alu instid0(VALU_DEP_2) | instskip(NEXT) | instid1(VALU_DEP_1)
	v_min_u32_e32 v7, 32, v7
	v_subrev_nc_u32_e32 v9, 28, v7
	v_sub_nc_u32_e32 v7, 29, v7
	s_delay_alu instid0(VALU_DEP_2) | instskip(NEXT) | instid1(VALU_DEP_2)
	v_lshlrev_b32_e32 v3, v9, v3
	v_cndmask_b32_e32 v7, v11, v7, vcc_lo
	s_delay_alu instid0(VALU_DEP_2) | instskip(NEXT) | instid1(VALU_DEP_1)
	v_and_b32_e32 v3, 7, v3
	v_cndmask_b32_e32 v3, v5, v3, vcc_lo
	s_delay_alu instid0(VALU_DEP_3) | instskip(NEXT) | instid1(VALU_DEP_2)
	v_lshl_add_u32 v5, v7, 23, 0x3b800000
	v_lshlrev_b32_e32 v3, 20, v3
	s_delay_alu instid0(VALU_DEP_1) | instskip(NEXT) | instid1(VALU_DEP_1)
	v_or3_b32 v1, v1, v5, v3
	v_cvt_i32_f32_e32 v22, v1
.LBB111_2644:
	s_or_b32 exec_lo, exec_lo, s18
.LBB111_2645:
	s_mov_b32 s18, -1
.LBB111_2646:
	s_mov_b32 s19, 0
.LBB111_2647:
	s_delay_alu instid0(SALU_CYCLE_1)
	s_and_b32 vcc_lo, exec_lo, s19
	s_cbranch_vccz .LBB111_2678
; %bb.2648:
	s_cmp_gt_i32 s14, 22
	s_cbranch_scc0 .LBB111_2656
; %bb.2649:
	s_cmp_lt_i32 s14, 24
	s_cbranch_scc1 .LBB111_2659
; %bb.2650:
	s_cmp_gt_i32 s14, 24
	s_cbranch_scc0 .LBB111_2660
; %bb.2651:
	global_load_u8 v1, v[32:33], off
	s_mov_b32 s18, 0
	s_mov_b32 s17, exec_lo
	s_wait_loadcnt 0x0
	v_cmpx_lt_i16_e32 0x7f, v1
	s_xor_b32 s17, exec_lo, s17
	s_cbranch_execz .LBB111_2672
; %bb.2652:
	v_cmp_ne_u16_e32 vcc_lo, 0x80, v1
	s_and_b32 s18, vcc_lo, exec_lo
	s_and_not1_saveexec_b32 s17, s17
	s_cbranch_execnz .LBB111_2673
.LBB111_2653:
	s_or_b32 exec_lo, exec_lo, s17
	v_mov_b32_e32 v22, 0
	s_and_saveexec_b32 s17, s18
	s_cbranch_execz .LBB111_2655
.LBB111_2654:
	v_and_b32_e32 v3, 0xffff, v1
	s_delay_alu instid0(VALU_DEP_1) | instskip(SKIP_1) | instid1(VALU_DEP_2)
	v_dual_lshlrev_b32 v1, 24, v1 :: v_dual_bitop2_b32 v5, 3, v3 bitop3:0x40
	v_bfe_u32 v11, v3, 2, 5
	v_and_b32_e32 v1, 0x80000000, v1
	s_delay_alu instid0(VALU_DEP_3) | instskip(NEXT) | instid1(VALU_DEP_3)
	v_clz_i32_u32_e32 v7, v5
	v_cmp_eq_u32_e32 vcc_lo, 0, v11
	s_delay_alu instid0(VALU_DEP_2) | instskip(NEXT) | instid1(VALU_DEP_1)
	v_min_u32_e32 v7, 32, v7
	v_subrev_nc_u32_e32 v9, 29, v7
	v_sub_nc_u32_e32 v7, 30, v7
	s_delay_alu instid0(VALU_DEP_2) | instskip(NEXT) | instid1(VALU_DEP_2)
	v_lshlrev_b32_e32 v3, v9, v3
	v_cndmask_b32_e32 v7, v11, v7, vcc_lo
	s_delay_alu instid0(VALU_DEP_2) | instskip(NEXT) | instid1(VALU_DEP_1)
	v_and_b32_e32 v3, 3, v3
	v_cndmask_b32_e32 v3, v5, v3, vcc_lo
	s_delay_alu instid0(VALU_DEP_3) | instskip(NEXT) | instid1(VALU_DEP_2)
	v_lshl_add_u32 v5, v7, 23, 0x37800000
	v_lshlrev_b32_e32 v3, 21, v3
	s_delay_alu instid0(VALU_DEP_1) | instskip(NEXT) | instid1(VALU_DEP_1)
	v_or3_b32 v1, v1, v5, v3
	v_cvt_i32_f32_e32 v22, v1
.LBB111_2655:
	s_or_b32 exec_lo, exec_lo, s17
	s_mov_b32 s17, 0
	s_branch .LBB111_2661
.LBB111_2656:
	s_mov_b32 s17, -1
                                        ; implicit-def: $vgpr22
	s_branch .LBB111_2667
.LBB111_2657:
	s_and_not1_saveexec_b32 s18, s18
	s_cbranch_execz .LBB111_2642
.LBB111_2658:
	v_cmp_ne_u16_e32 vcc_lo, 0, v1
	s_and_not1_b32 s19, s19, exec_lo
	s_and_b32 s20, vcc_lo, exec_lo
	s_delay_alu instid0(SALU_CYCLE_1)
	s_or_b32 s19, s19, s20
	s_or_b32 exec_lo, exec_lo, s18
	v_mov_b32_e32 v22, 0
	s_and_saveexec_b32 s18, s19
	s_cbranch_execnz .LBB111_2643
	s_branch .LBB111_2644
.LBB111_2659:
	s_mov_b32 s17, -1
                                        ; implicit-def: $vgpr22
	s_branch .LBB111_2664
.LBB111_2660:
	s_mov_b32 s17, -1
                                        ; implicit-def: $vgpr22
.LBB111_2661:
	s_delay_alu instid0(SALU_CYCLE_1)
	s_and_b32 vcc_lo, exec_lo, s17
	s_cbranch_vccz .LBB111_2663
; %bb.2662:
	global_load_u8 v1, v[32:33], off
	s_wait_loadcnt 0x0
	v_lshlrev_b32_e32 v1, 24, v1
	s_delay_alu instid0(VALU_DEP_1) | instskip(NEXT) | instid1(VALU_DEP_1)
	v_and_b32_e32 v3, 0x7f000000, v1
	v_clz_i32_u32_e32 v5, v3
	v_add_nc_u32_e32 v9, 0x1000000, v3
	v_cmp_ne_u32_e32 vcc_lo, 0, v3
	s_delay_alu instid0(VALU_DEP_3) | instskip(NEXT) | instid1(VALU_DEP_1)
	v_min_u32_e32 v5, 32, v5
	v_sub_nc_u32_e64 v5, v5, 4 clamp
	s_delay_alu instid0(VALU_DEP_1) | instskip(NEXT) | instid1(VALU_DEP_1)
	v_dual_lshlrev_b32 v7, v5, v3 :: v_dual_lshlrev_b32 v5, 23, v5
	v_lshrrev_b32_e32 v7, 4, v7
	s_delay_alu instid0(VALU_DEP_1) | instskip(SKIP_1) | instid1(VALU_DEP_2)
	v_sub_nc_u32_e32 v5, v7, v5
	v_ashrrev_i32_e32 v7, 8, v9
	v_add_nc_u32_e32 v5, 0x3c000000, v5
	s_delay_alu instid0(VALU_DEP_1) | instskip(NEXT) | instid1(VALU_DEP_1)
	v_and_or_b32 v5, 0x7f800000, v7, v5
	v_cndmask_b32_e32 v3, 0, v5, vcc_lo
	s_delay_alu instid0(VALU_DEP_1) | instskip(NEXT) | instid1(VALU_DEP_1)
	v_and_or_b32 v1, 0x80000000, v1, v3
	v_cvt_i32_f32_e32 v22, v1
.LBB111_2663:
	s_mov_b32 s17, 0
.LBB111_2664:
	s_delay_alu instid0(SALU_CYCLE_1)
	s_and_not1_b32 vcc_lo, exec_lo, s17
	s_cbranch_vccnz .LBB111_2666
; %bb.2665:
	global_load_u8 v1, v[32:33], off
	s_wait_loadcnt 0x0
	v_lshlrev_b32_e32 v3, 25, v1
	v_lshlrev_b16 v1, 8, v1
	s_delay_alu instid0(VALU_DEP_1) | instskip(SKIP_1) | instid1(VALU_DEP_2)
	v_and_or_b32 v7, 0x7f00, v1, 0.5
	v_bfe_i32 v1, v1, 0, 16
	v_add_f32_e32 v7, -0.5, v7
	v_lshrrev_b32_e32 v5, 4, v3
	v_cmp_gt_u32_e32 vcc_lo, 0x8000000, v3
	s_delay_alu instid0(VALU_DEP_2) | instskip(NEXT) | instid1(VALU_DEP_1)
	v_or_b32_e32 v5, 0x70000000, v5
	v_mul_f32_e32 v5, 0x7800000, v5
	s_delay_alu instid0(VALU_DEP_1) | instskip(NEXT) | instid1(VALU_DEP_1)
	v_cndmask_b32_e32 v3, v5, v7, vcc_lo
	v_and_or_b32 v1, 0x80000000, v1, v3
	s_delay_alu instid0(VALU_DEP_1)
	v_cvt_i32_f32_e32 v22, v1
.LBB111_2666:
	s_mov_b32 s17, 0
	s_mov_b32 s18, -1
.LBB111_2667:
	s_and_not1_b32 vcc_lo, exec_lo, s17
	s_mov_b32 s17, 0
	s_cbranch_vccnz .LBB111_2678
; %bb.2668:
	s_cmp_gt_i32 s14, 14
	s_cbranch_scc0 .LBB111_2671
; %bb.2669:
	s_cmp_eq_u32 s14, 15
	s_cbranch_scc0 .LBB111_2674
; %bb.2670:
	global_load_u16 v1, v[32:33], off
	s_mov_b32 s16, 0
	s_mov_b32 s18, -1
	s_wait_loadcnt 0x0
	v_lshlrev_b32_e32 v1, 16, v1
	s_delay_alu instid0(VALU_DEP_1)
	v_cvt_i32_f32_e32 v22, v1
	s_branch .LBB111_2676
.LBB111_2671:
	s_mov_b32 s17, -1
	s_branch .LBB111_2675
.LBB111_2672:
	s_and_not1_saveexec_b32 s17, s17
	s_cbranch_execz .LBB111_2653
.LBB111_2673:
	v_cmp_ne_u16_e32 vcc_lo, 0, v1
	s_and_not1_b32 s18, s18, exec_lo
	s_and_b32 s19, vcc_lo, exec_lo
	s_delay_alu instid0(SALU_CYCLE_1)
	s_or_b32 s18, s18, s19
	s_or_b32 exec_lo, exec_lo, s17
	v_mov_b32_e32 v22, 0
	s_and_saveexec_b32 s17, s18
	s_cbranch_execnz .LBB111_2654
	s_branch .LBB111_2655
.LBB111_2674:
	s_mov_b32 s16, -1
.LBB111_2675:
                                        ; implicit-def: $vgpr22
.LBB111_2676:
	s_and_b32 vcc_lo, exec_lo, s17
	s_mov_b32 s17, 0
	s_cbranch_vccz .LBB111_2678
; %bb.2677:
	s_cmp_lg_u32 s14, 11
	s_mov_b32 s17, -1
	s_cselect_b32 s16, -1, 0
.LBB111_2678:
	s_delay_alu instid0(SALU_CYCLE_1)
	s_and_b32 vcc_lo, exec_lo, s16
	s_cbranch_vccnz .LBB111_2743
; %bb.2679:
	s_and_not1_b32 vcc_lo, exec_lo, s17
	s_cbranch_vccnz .LBB111_2681
.LBB111_2680:
	global_load_u8 v1, v[32:33], off
	s_mov_b32 s18, -1
	s_wait_loadcnt 0x0
	v_cmp_ne_u16_e32 vcc_lo, 0, v1
	v_cndmask_b32_e64 v22, 0, 1, vcc_lo
.LBB111_2681:
	s_mov_b32 s16, 0
.LBB111_2682:
	s_delay_alu instid0(SALU_CYCLE_1)
	s_and_b32 vcc_lo, exec_lo, s16
	s_cbranch_vccz .LBB111_2731
; %bb.2683:
	s_cmp_lt_i32 s14, 5
	s_cbranch_scc1 .LBB111_2688
; %bb.2684:
	s_cmp_lt_i32 s14, 8
	s_cbranch_scc1 .LBB111_2689
; %bb.2685:
	s_cmp_lt_i32 s14, 9
	s_cbranch_scc1 .LBB111_2690
; %bb.2686:
	s_cmp_gt_i32 s14, 9
	s_cbranch_scc0 .LBB111_2691
; %bb.2687:
	s_wait_loadcnt 0x0
	global_load_b64 v[22:23], v[32:33], off
	s_mov_b32 s16, 0
	s_wait_loadcnt 0x0
	v_cvt_i32_f64_e32 v22, v[22:23]
	s_branch .LBB111_2692
.LBB111_2688:
	s_mov_b32 s16, -1
                                        ; implicit-def: $vgpr22
	s_branch .LBB111_2710
.LBB111_2689:
	s_mov_b32 s16, -1
                                        ; implicit-def: $vgpr22
	s_branch .LBB111_2698
.LBB111_2690:
	s_mov_b32 s16, -1
                                        ; implicit-def: $vgpr22
	s_branch .LBB111_2695
.LBB111_2691:
	s_mov_b32 s16, -1
                                        ; implicit-def: $vgpr22
.LBB111_2692:
	s_delay_alu instid0(SALU_CYCLE_1)
	s_and_not1_b32 vcc_lo, exec_lo, s16
	s_cbranch_vccnz .LBB111_2694
; %bb.2693:
	global_load_b32 v1, v[32:33], off
	s_wait_loadcnt 0x0
	v_cvt_i32_f32_e32 v22, v1
.LBB111_2694:
	s_mov_b32 s16, 0
.LBB111_2695:
	s_delay_alu instid0(SALU_CYCLE_1)
	s_and_not1_b32 vcc_lo, exec_lo, s16
	s_cbranch_vccnz .LBB111_2697
; %bb.2696:
	global_load_b32 v1, v[32:33], off
	s_wait_loadcnt 0x0
	v_cvt_i16_f16_e32 v22, v1
.LBB111_2697:
	s_mov_b32 s16, 0
.LBB111_2698:
	s_delay_alu instid0(SALU_CYCLE_1)
	s_and_not1_b32 vcc_lo, exec_lo, s16
	s_cbranch_vccnz .LBB111_2709
; %bb.2699:
	s_cmp_lt_i32 s14, 6
	s_cbranch_scc1 .LBB111_2702
; %bb.2700:
	s_cmp_gt_i32 s14, 6
	s_cbranch_scc0 .LBB111_2703
; %bb.2701:
	s_wait_loadcnt 0x0
	global_load_b64 v[22:23], v[32:33], off
	s_mov_b32 s16, 0
	s_wait_loadcnt 0x0
	v_cvt_i32_f64_e32 v22, v[22:23]
	s_branch .LBB111_2704
.LBB111_2702:
	s_mov_b32 s16, -1
                                        ; implicit-def: $vgpr22
	s_branch .LBB111_2707
.LBB111_2703:
	s_mov_b32 s16, -1
                                        ; implicit-def: $vgpr22
.LBB111_2704:
	s_delay_alu instid0(SALU_CYCLE_1)
	s_and_not1_b32 vcc_lo, exec_lo, s16
	s_cbranch_vccnz .LBB111_2706
; %bb.2705:
	global_load_b32 v1, v[32:33], off
	s_wait_loadcnt 0x0
	v_cvt_i32_f32_e32 v22, v1
.LBB111_2706:
	s_mov_b32 s16, 0
.LBB111_2707:
	s_delay_alu instid0(SALU_CYCLE_1)
	s_and_not1_b32 vcc_lo, exec_lo, s16
	s_cbranch_vccnz .LBB111_2709
; %bb.2708:
	global_load_u16 v1, v[32:33], off
	s_wait_loadcnt 0x0
	v_cvt_i16_f16_e32 v22, v1
.LBB111_2709:
	s_mov_b32 s16, 0
.LBB111_2710:
	s_delay_alu instid0(SALU_CYCLE_1)
	s_and_not1_b32 vcc_lo, exec_lo, s16
	s_cbranch_vccnz .LBB111_2730
; %bb.2711:
	s_cmp_lt_i32 s14, 2
	s_cbranch_scc1 .LBB111_2715
; %bb.2712:
	s_cmp_lt_i32 s14, 3
	s_cbranch_scc1 .LBB111_2716
; %bb.2713:
	s_cmp_gt_i32 s14, 3
	s_cbranch_scc0 .LBB111_2717
; %bb.2714:
	s_wait_loadcnt 0x0
	global_load_b64 v[22:23], v[32:33], off
	s_mov_b32 s16, 0
	s_branch .LBB111_2718
.LBB111_2715:
	s_mov_b32 s16, -1
                                        ; implicit-def: $vgpr22
	s_branch .LBB111_2724
.LBB111_2716:
	s_mov_b32 s16, -1
                                        ; implicit-def: $vgpr22
	s_branch .LBB111_2721
.LBB111_2717:
	s_mov_b32 s16, -1
                                        ; implicit-def: $vgpr22
.LBB111_2718:
	s_delay_alu instid0(SALU_CYCLE_1)
	s_and_not1_b32 vcc_lo, exec_lo, s16
	s_cbranch_vccnz .LBB111_2720
; %bb.2719:
	s_wait_loadcnt 0x0
	global_load_b32 v22, v[32:33], off
.LBB111_2720:
	s_mov_b32 s16, 0
.LBB111_2721:
	s_delay_alu instid0(SALU_CYCLE_1)
	s_and_not1_b32 vcc_lo, exec_lo, s16
	s_cbranch_vccnz .LBB111_2723
; %bb.2722:
	s_wait_loadcnt 0x0
	global_load_u16 v22, v[32:33], off
.LBB111_2723:
	s_mov_b32 s16, 0
.LBB111_2724:
	s_delay_alu instid0(SALU_CYCLE_1)
	s_and_not1_b32 vcc_lo, exec_lo, s16
	s_cbranch_vccnz .LBB111_2730
; %bb.2725:
	s_cmp_gt_i32 s14, 0
	s_mov_b32 s16, 0
	s_cbranch_scc0 .LBB111_2727
; %bb.2726:
	s_wait_loadcnt 0x0
	global_load_u8 v22, v[32:33], off
	s_branch .LBB111_2728
.LBB111_2727:
	s_mov_b32 s16, -1
                                        ; implicit-def: $vgpr22
.LBB111_2728:
	s_delay_alu instid0(SALU_CYCLE_1)
	s_and_not1_b32 vcc_lo, exec_lo, s16
	s_cbranch_vccnz .LBB111_2730
; %bb.2729:
	s_wait_loadcnt 0x0
	global_load_u8 v22, v[32:33], off
.LBB111_2730:
	s_mov_b32 s18, -1
.LBB111_2731:
	s_delay_alu instid0(SALU_CYCLE_1)
	s_and_not1_b32 vcc_lo, exec_lo, s18
	s_cbranch_vccnz .LBB111_4058
; %bb.2732:
	v_mov_b32_e32 v29, 0
	s_and_b32 s15, 0xffff, s15
	s_delay_alu instid0(SALU_CYCLE_1) | instskip(SKIP_1) | instid1(VALU_DEP_1)
	s_cmp_lt_i32 s15, 11
	s_wait_xcnt 0x0
	v_add_nc_u64_e32 v[32:33], s[8:9], v[28:29]
	s_cbranch_scc1 .LBB111_2739
; %bb.2733:
	s_cmp_gt_i32 s15, 25
	s_mov_b32 s17, 0
	s_cbranch_scc0 .LBB111_2740
; %bb.2734:
	s_cmp_gt_i32 s15, 28
	s_cbranch_scc0 .LBB111_2741
; %bb.2735:
	s_cmp_gt_i32 s15, 43
	;; [unrolled: 3-line block ×3, first 2 shown]
	s_cbranch_scc0 .LBB111_2744
; %bb.2737:
	s_cmp_eq_u32 s15, 46
	s_mov_b32 s19, 0
	s_cbranch_scc0 .LBB111_2747
; %bb.2738:
	global_load_b32 v1, v[32:33], off
	s_mov_b32 s16, 0
	s_mov_b32 s18, -1
	s_wait_loadcnt 0x0
	v_lshlrev_b32_e32 v1, 16, v1
	s_delay_alu instid0(VALU_DEP_1)
	v_cvt_i32_f32_e32 v28, v1
	s_branch .LBB111_2749
.LBB111_2739:
	s_mov_b32 s16, -1
	s_mov_b32 s18, 0
                                        ; implicit-def: $vgpr28
	s_branch .LBB111_2811
.LBB111_2740:
	s_mov_b32 s19, -1
	s_mov_b32 s18, 0
	s_mov_b32 s16, 0
                                        ; implicit-def: $vgpr28
	s_branch .LBB111_2776
.LBB111_2741:
	s_mov_b32 s19, -1
	s_mov_b32 s18, 0
	s_mov_b32 s16, 0
                                        ; implicit-def: $vgpr28
	s_branch .LBB111_2759
.LBB111_2742:
	s_mov_b32 s19, -1
	s_mov_b32 s18, 0
	s_mov_b32 s16, 0
                                        ; implicit-def: $vgpr28
	s_branch .LBB111_2754
.LBB111_2743:
	s_or_b32 s12, s12, exec_lo
	s_trap 2
	s_cbranch_execz .LBB111_2680
	s_branch .LBB111_2681
.LBB111_2744:
	s_mov_b32 s19, -1
	s_mov_b32 s18, 0
	s_mov_b32 s16, 0
	s_branch .LBB111_2748
.LBB111_2745:
	s_and_not1_saveexec_b32 s59, s59
	s_cbranch_execz .LBB111_1462
.LBB111_2746:
	v_add_f32_e64 v5, 0x46000000, |v4|
	s_and_not1_b32 s58, s58, exec_lo
	s_delay_alu instid0(VALU_DEP_1) | instskip(NEXT) | instid1(VALU_DEP_1)
	v_and_b32_e32 v5, 0xff, v5
	v_cmp_ne_u32_e32 vcc_lo, 0, v5
	s_and_b32 s60, vcc_lo, exec_lo
	s_delay_alu instid0(SALU_CYCLE_1)
	s_or_b32 s58, s58, s60
	s_or_b32 exec_lo, exec_lo, s59
	v_mov_b32_e32 v6, 0
	s_and_saveexec_b32 s59, s58
	s_cbranch_execnz .LBB111_1463
	s_branch .LBB111_1464
.LBB111_2747:
	s_mov_b32 s16, -1
	s_mov_b32 s18, 0
.LBB111_2748:
                                        ; implicit-def: $vgpr28
.LBB111_2749:
	s_and_b32 vcc_lo, exec_lo, s19
	s_cbranch_vccz .LBB111_2753
; %bb.2750:
	s_cmp_eq_u32 s15, 44
	s_cbranch_scc0 .LBB111_2752
; %bb.2751:
	global_load_u8 v1, v[32:33], off
	s_mov_b32 s16, 0
	s_mov_b32 s18, -1
	s_wait_loadcnt 0x0
	v_lshlrev_b32_e32 v3, 23, v1
	v_cmp_ne_u32_e32 vcc_lo, 0, v1
	s_delay_alu instid0(VALU_DEP_2) | instskip(NEXT) | instid1(VALU_DEP_1)
	v_cvt_i32_f32_e32 v3, v3
	v_cndmask_b32_e32 v28, 0, v3, vcc_lo
	s_branch .LBB111_2753
.LBB111_2752:
	s_mov_b32 s16, -1
                                        ; implicit-def: $vgpr28
.LBB111_2753:
	s_mov_b32 s19, 0
.LBB111_2754:
	s_delay_alu instid0(SALU_CYCLE_1)
	s_and_b32 vcc_lo, exec_lo, s19
	s_cbranch_vccz .LBB111_2758
; %bb.2755:
	s_cmp_eq_u32 s15, 29
	s_cbranch_scc0 .LBB111_2757
; %bb.2756:
	global_load_b64 v[28:29], v[32:33], off
	s_mov_b32 s16, 0
	s_mov_b32 s18, -1
	s_branch .LBB111_2758
.LBB111_2757:
	s_mov_b32 s16, -1
                                        ; implicit-def: $vgpr28
.LBB111_2758:
	s_mov_b32 s19, 0
.LBB111_2759:
	s_delay_alu instid0(SALU_CYCLE_1)
	s_and_b32 vcc_lo, exec_lo, s19
	s_cbranch_vccz .LBB111_2775
; %bb.2760:
	s_cmp_lt_i32 s15, 27
	s_cbranch_scc1 .LBB111_2763
; %bb.2761:
	s_cmp_gt_i32 s15, 27
	s_cbranch_scc0 .LBB111_2764
; %bb.2762:
	s_wait_loadcnt 0x0
	global_load_b32 v28, v[32:33], off
	s_mov_b32 s18, 0
	s_branch .LBB111_2765
.LBB111_2763:
	s_mov_b32 s18, -1
                                        ; implicit-def: $vgpr28
	s_branch .LBB111_2768
.LBB111_2764:
	s_mov_b32 s18, -1
                                        ; implicit-def: $vgpr28
.LBB111_2765:
	s_delay_alu instid0(SALU_CYCLE_1)
	s_and_not1_b32 vcc_lo, exec_lo, s18
	s_cbranch_vccnz .LBB111_2767
; %bb.2766:
	s_wait_loadcnt 0x0
	global_load_u16 v28, v[32:33], off
.LBB111_2767:
	s_mov_b32 s18, 0
.LBB111_2768:
	s_delay_alu instid0(SALU_CYCLE_1)
	s_and_not1_b32 vcc_lo, exec_lo, s18
	s_cbranch_vccnz .LBB111_2774
; %bb.2769:
	global_load_u8 v1, v[32:33], off
	s_mov_b32 s19, 0
	s_mov_b32 s18, exec_lo
	s_wait_loadcnt 0x0
	v_cmpx_lt_i16_e32 0x7f, v1
	s_xor_b32 s18, exec_lo, s18
	s_cbranch_execz .LBB111_2786
; %bb.2770:
	v_cmp_ne_u16_e32 vcc_lo, 0x80, v1
	s_and_b32 s19, vcc_lo, exec_lo
	s_and_not1_saveexec_b32 s18, s18
	s_cbranch_execnz .LBB111_2787
.LBB111_2771:
	s_or_b32 exec_lo, exec_lo, s18
	v_mov_b32_e32 v28, 0
	s_and_saveexec_b32 s18, s19
	s_cbranch_execz .LBB111_2773
.LBB111_2772:
	v_and_b32_e32 v3, 0xffff, v1
	s_delay_alu instid0(VALU_DEP_1) | instskip(SKIP_1) | instid1(VALU_DEP_2)
	v_dual_lshlrev_b32 v1, 24, v1 :: v_dual_bitop2_b32 v5, 7, v3 bitop3:0x40
	v_bfe_u32 v11, v3, 3, 4
	v_and_b32_e32 v1, 0x80000000, v1
	s_delay_alu instid0(VALU_DEP_3) | instskip(NEXT) | instid1(VALU_DEP_3)
	v_clz_i32_u32_e32 v7, v5
	v_cmp_eq_u32_e32 vcc_lo, 0, v11
	s_delay_alu instid0(VALU_DEP_2) | instskip(NEXT) | instid1(VALU_DEP_1)
	v_min_u32_e32 v7, 32, v7
	v_subrev_nc_u32_e32 v9, 28, v7
	v_sub_nc_u32_e32 v7, 29, v7
	s_delay_alu instid0(VALU_DEP_2) | instskip(NEXT) | instid1(VALU_DEP_2)
	v_lshlrev_b32_e32 v3, v9, v3
	v_cndmask_b32_e32 v7, v11, v7, vcc_lo
	s_delay_alu instid0(VALU_DEP_2) | instskip(NEXT) | instid1(VALU_DEP_1)
	v_and_b32_e32 v3, 7, v3
	v_cndmask_b32_e32 v3, v5, v3, vcc_lo
	s_delay_alu instid0(VALU_DEP_3) | instskip(NEXT) | instid1(VALU_DEP_2)
	v_lshl_add_u32 v5, v7, 23, 0x3b800000
	v_lshlrev_b32_e32 v3, 20, v3
	s_delay_alu instid0(VALU_DEP_1) | instskip(NEXT) | instid1(VALU_DEP_1)
	v_or3_b32 v1, v1, v5, v3
	v_cvt_i32_f32_e32 v28, v1
.LBB111_2773:
	s_or_b32 exec_lo, exec_lo, s18
.LBB111_2774:
	s_mov_b32 s18, -1
.LBB111_2775:
	s_mov_b32 s19, 0
.LBB111_2776:
	s_delay_alu instid0(SALU_CYCLE_1)
	s_and_b32 vcc_lo, exec_lo, s19
	s_cbranch_vccz .LBB111_2807
; %bb.2777:
	s_cmp_gt_i32 s15, 22
	s_cbranch_scc0 .LBB111_2785
; %bb.2778:
	s_cmp_lt_i32 s15, 24
	s_cbranch_scc1 .LBB111_2788
; %bb.2779:
	s_cmp_gt_i32 s15, 24
	s_cbranch_scc0 .LBB111_2789
; %bb.2780:
	global_load_u8 v1, v[32:33], off
	s_mov_b32 s18, 0
	s_mov_b32 s17, exec_lo
	s_wait_loadcnt 0x0
	v_cmpx_lt_i16_e32 0x7f, v1
	s_xor_b32 s17, exec_lo, s17
	s_cbranch_execz .LBB111_2801
; %bb.2781:
	v_cmp_ne_u16_e32 vcc_lo, 0x80, v1
	s_and_b32 s18, vcc_lo, exec_lo
	s_and_not1_saveexec_b32 s17, s17
	s_cbranch_execnz .LBB111_2802
.LBB111_2782:
	s_or_b32 exec_lo, exec_lo, s17
	v_mov_b32_e32 v28, 0
	s_and_saveexec_b32 s17, s18
	s_cbranch_execz .LBB111_2784
.LBB111_2783:
	v_and_b32_e32 v3, 0xffff, v1
	s_delay_alu instid0(VALU_DEP_1) | instskip(SKIP_1) | instid1(VALU_DEP_2)
	v_dual_lshlrev_b32 v1, 24, v1 :: v_dual_bitop2_b32 v5, 3, v3 bitop3:0x40
	v_bfe_u32 v11, v3, 2, 5
	v_and_b32_e32 v1, 0x80000000, v1
	s_delay_alu instid0(VALU_DEP_3) | instskip(NEXT) | instid1(VALU_DEP_3)
	v_clz_i32_u32_e32 v7, v5
	v_cmp_eq_u32_e32 vcc_lo, 0, v11
	s_delay_alu instid0(VALU_DEP_2) | instskip(NEXT) | instid1(VALU_DEP_1)
	v_min_u32_e32 v7, 32, v7
	v_subrev_nc_u32_e32 v9, 29, v7
	v_sub_nc_u32_e32 v7, 30, v7
	s_delay_alu instid0(VALU_DEP_2) | instskip(NEXT) | instid1(VALU_DEP_2)
	v_lshlrev_b32_e32 v3, v9, v3
	v_cndmask_b32_e32 v7, v11, v7, vcc_lo
	s_delay_alu instid0(VALU_DEP_2) | instskip(NEXT) | instid1(VALU_DEP_1)
	v_and_b32_e32 v3, 3, v3
	v_cndmask_b32_e32 v3, v5, v3, vcc_lo
	s_delay_alu instid0(VALU_DEP_3) | instskip(NEXT) | instid1(VALU_DEP_2)
	v_lshl_add_u32 v5, v7, 23, 0x37800000
	v_lshlrev_b32_e32 v3, 21, v3
	s_delay_alu instid0(VALU_DEP_1) | instskip(NEXT) | instid1(VALU_DEP_1)
	v_or3_b32 v1, v1, v5, v3
	v_cvt_i32_f32_e32 v28, v1
.LBB111_2784:
	s_or_b32 exec_lo, exec_lo, s17
	s_mov_b32 s17, 0
	s_branch .LBB111_2790
.LBB111_2785:
	s_mov_b32 s17, -1
                                        ; implicit-def: $vgpr28
	s_branch .LBB111_2796
.LBB111_2786:
	s_and_not1_saveexec_b32 s18, s18
	s_cbranch_execz .LBB111_2771
.LBB111_2787:
	v_cmp_ne_u16_e32 vcc_lo, 0, v1
	s_and_not1_b32 s19, s19, exec_lo
	s_and_b32 s20, vcc_lo, exec_lo
	s_delay_alu instid0(SALU_CYCLE_1)
	s_or_b32 s19, s19, s20
	s_or_b32 exec_lo, exec_lo, s18
	v_mov_b32_e32 v28, 0
	s_and_saveexec_b32 s18, s19
	s_cbranch_execnz .LBB111_2772
	s_branch .LBB111_2773
.LBB111_2788:
	s_mov_b32 s17, -1
                                        ; implicit-def: $vgpr28
	s_branch .LBB111_2793
.LBB111_2789:
	s_mov_b32 s17, -1
                                        ; implicit-def: $vgpr28
.LBB111_2790:
	s_delay_alu instid0(SALU_CYCLE_1)
	s_and_b32 vcc_lo, exec_lo, s17
	s_cbranch_vccz .LBB111_2792
; %bb.2791:
	global_load_u8 v1, v[32:33], off
	s_wait_loadcnt 0x0
	v_lshlrev_b32_e32 v1, 24, v1
	s_delay_alu instid0(VALU_DEP_1) | instskip(NEXT) | instid1(VALU_DEP_1)
	v_and_b32_e32 v3, 0x7f000000, v1
	v_clz_i32_u32_e32 v5, v3
	v_add_nc_u32_e32 v9, 0x1000000, v3
	v_cmp_ne_u32_e32 vcc_lo, 0, v3
	s_delay_alu instid0(VALU_DEP_3) | instskip(NEXT) | instid1(VALU_DEP_1)
	v_min_u32_e32 v5, 32, v5
	v_sub_nc_u32_e64 v5, v5, 4 clamp
	s_delay_alu instid0(VALU_DEP_1) | instskip(NEXT) | instid1(VALU_DEP_1)
	v_dual_lshlrev_b32 v7, v5, v3 :: v_dual_lshlrev_b32 v5, 23, v5
	v_lshrrev_b32_e32 v7, 4, v7
	s_delay_alu instid0(VALU_DEP_1) | instskip(SKIP_1) | instid1(VALU_DEP_2)
	v_sub_nc_u32_e32 v5, v7, v5
	v_ashrrev_i32_e32 v7, 8, v9
	v_add_nc_u32_e32 v5, 0x3c000000, v5
	s_delay_alu instid0(VALU_DEP_1) | instskip(NEXT) | instid1(VALU_DEP_1)
	v_and_or_b32 v5, 0x7f800000, v7, v5
	v_cndmask_b32_e32 v3, 0, v5, vcc_lo
	s_delay_alu instid0(VALU_DEP_1) | instskip(NEXT) | instid1(VALU_DEP_1)
	v_and_or_b32 v1, 0x80000000, v1, v3
	v_cvt_i32_f32_e32 v28, v1
.LBB111_2792:
	s_mov_b32 s17, 0
.LBB111_2793:
	s_delay_alu instid0(SALU_CYCLE_1)
	s_and_not1_b32 vcc_lo, exec_lo, s17
	s_cbranch_vccnz .LBB111_2795
; %bb.2794:
	global_load_u8 v1, v[32:33], off
	s_wait_loadcnt 0x0
	v_lshlrev_b32_e32 v3, 25, v1
	v_lshlrev_b16 v1, 8, v1
	s_delay_alu instid0(VALU_DEP_1) | instskip(SKIP_1) | instid1(VALU_DEP_2)
	v_and_or_b32 v7, 0x7f00, v1, 0.5
	v_bfe_i32 v1, v1, 0, 16
	v_add_f32_e32 v7, -0.5, v7
	v_lshrrev_b32_e32 v5, 4, v3
	v_cmp_gt_u32_e32 vcc_lo, 0x8000000, v3
	s_delay_alu instid0(VALU_DEP_2) | instskip(NEXT) | instid1(VALU_DEP_1)
	v_or_b32_e32 v5, 0x70000000, v5
	v_mul_f32_e32 v5, 0x7800000, v5
	s_delay_alu instid0(VALU_DEP_1) | instskip(NEXT) | instid1(VALU_DEP_1)
	v_cndmask_b32_e32 v3, v5, v7, vcc_lo
	v_and_or_b32 v1, 0x80000000, v1, v3
	s_delay_alu instid0(VALU_DEP_1)
	v_cvt_i32_f32_e32 v28, v1
.LBB111_2795:
	s_mov_b32 s17, 0
	s_mov_b32 s18, -1
.LBB111_2796:
	s_and_not1_b32 vcc_lo, exec_lo, s17
	s_mov_b32 s17, 0
	s_cbranch_vccnz .LBB111_2807
; %bb.2797:
	s_cmp_gt_i32 s15, 14
	s_cbranch_scc0 .LBB111_2800
; %bb.2798:
	s_cmp_eq_u32 s15, 15
	s_cbranch_scc0 .LBB111_2803
; %bb.2799:
	global_load_u16 v1, v[32:33], off
	s_mov_b32 s16, 0
	s_mov_b32 s18, -1
	s_wait_loadcnt 0x0
	v_lshlrev_b32_e32 v1, 16, v1
	s_delay_alu instid0(VALU_DEP_1)
	v_cvt_i32_f32_e32 v28, v1
	s_branch .LBB111_2805
.LBB111_2800:
	s_mov_b32 s17, -1
	s_branch .LBB111_2804
.LBB111_2801:
	s_and_not1_saveexec_b32 s17, s17
	s_cbranch_execz .LBB111_2782
.LBB111_2802:
	v_cmp_ne_u16_e32 vcc_lo, 0, v1
	s_and_not1_b32 s18, s18, exec_lo
	s_and_b32 s19, vcc_lo, exec_lo
	s_delay_alu instid0(SALU_CYCLE_1)
	s_or_b32 s18, s18, s19
	s_or_b32 exec_lo, exec_lo, s17
	v_mov_b32_e32 v28, 0
	s_and_saveexec_b32 s17, s18
	s_cbranch_execnz .LBB111_2783
	s_branch .LBB111_2784
.LBB111_2803:
	s_mov_b32 s16, -1
.LBB111_2804:
                                        ; implicit-def: $vgpr28
.LBB111_2805:
	s_and_b32 vcc_lo, exec_lo, s17
	s_mov_b32 s17, 0
	s_cbranch_vccz .LBB111_2807
; %bb.2806:
	s_cmp_lg_u32 s15, 11
	s_mov_b32 s17, -1
	s_cselect_b32 s16, -1, 0
.LBB111_2807:
	s_delay_alu instid0(SALU_CYCLE_1)
	s_and_b32 vcc_lo, exec_lo, s16
	s_cbranch_vccnz .LBB111_2872
; %bb.2808:
	s_and_not1_b32 vcc_lo, exec_lo, s17
	s_cbranch_vccnz .LBB111_2810
.LBB111_2809:
	global_load_u8 v1, v[32:33], off
	s_mov_b32 s18, -1
	s_wait_loadcnt 0x0
	v_cmp_ne_u16_e32 vcc_lo, 0, v1
	v_cndmask_b32_e64 v28, 0, 1, vcc_lo
.LBB111_2810:
	s_mov_b32 s16, 0
.LBB111_2811:
	s_delay_alu instid0(SALU_CYCLE_1)
	s_and_b32 vcc_lo, exec_lo, s16
	s_cbranch_vccz .LBB111_2860
; %bb.2812:
	s_cmp_lt_i32 s15, 5
	s_cbranch_scc1 .LBB111_2817
; %bb.2813:
	s_cmp_lt_i32 s15, 8
	s_cbranch_scc1 .LBB111_2818
	;; [unrolled: 3-line block ×3, first 2 shown]
; %bb.2815:
	s_cmp_gt_i32 s15, 9
	s_cbranch_scc0 .LBB111_2820
; %bb.2816:
	s_wait_loadcnt 0x0
	global_load_b64 v[28:29], v[32:33], off
	s_mov_b32 s16, 0
	s_wait_loadcnt 0x0
	v_cvt_i32_f64_e32 v28, v[28:29]
	s_branch .LBB111_2821
.LBB111_2817:
	s_mov_b32 s16, -1
                                        ; implicit-def: $vgpr28
	s_branch .LBB111_2839
.LBB111_2818:
	s_mov_b32 s16, -1
                                        ; implicit-def: $vgpr28
	s_branch .LBB111_2827
.LBB111_2819:
	s_mov_b32 s16, -1
                                        ; implicit-def: $vgpr28
	s_branch .LBB111_2824
.LBB111_2820:
	s_mov_b32 s16, -1
                                        ; implicit-def: $vgpr28
.LBB111_2821:
	s_delay_alu instid0(SALU_CYCLE_1)
	s_and_not1_b32 vcc_lo, exec_lo, s16
	s_cbranch_vccnz .LBB111_2823
; %bb.2822:
	global_load_b32 v1, v[32:33], off
	s_wait_loadcnt 0x0
	v_cvt_i32_f32_e32 v28, v1
.LBB111_2823:
	s_mov_b32 s16, 0
.LBB111_2824:
	s_delay_alu instid0(SALU_CYCLE_1)
	s_and_not1_b32 vcc_lo, exec_lo, s16
	s_cbranch_vccnz .LBB111_2826
; %bb.2825:
	global_load_b32 v1, v[32:33], off
	s_wait_loadcnt 0x0
	v_cvt_i16_f16_e32 v28, v1
.LBB111_2826:
	s_mov_b32 s16, 0
.LBB111_2827:
	s_delay_alu instid0(SALU_CYCLE_1)
	s_and_not1_b32 vcc_lo, exec_lo, s16
	s_cbranch_vccnz .LBB111_2838
; %bb.2828:
	s_cmp_lt_i32 s15, 6
	s_cbranch_scc1 .LBB111_2831
; %bb.2829:
	s_cmp_gt_i32 s15, 6
	s_cbranch_scc0 .LBB111_2832
; %bb.2830:
	s_wait_loadcnt 0x0
	global_load_b64 v[28:29], v[32:33], off
	s_mov_b32 s16, 0
	s_wait_loadcnt 0x0
	v_cvt_i32_f64_e32 v28, v[28:29]
	s_branch .LBB111_2833
.LBB111_2831:
	s_mov_b32 s16, -1
                                        ; implicit-def: $vgpr28
	s_branch .LBB111_2836
.LBB111_2832:
	s_mov_b32 s16, -1
                                        ; implicit-def: $vgpr28
.LBB111_2833:
	s_delay_alu instid0(SALU_CYCLE_1)
	s_and_not1_b32 vcc_lo, exec_lo, s16
	s_cbranch_vccnz .LBB111_2835
; %bb.2834:
	global_load_b32 v1, v[32:33], off
	s_wait_loadcnt 0x0
	v_cvt_i32_f32_e32 v28, v1
.LBB111_2835:
	s_mov_b32 s16, 0
.LBB111_2836:
	s_delay_alu instid0(SALU_CYCLE_1)
	s_and_not1_b32 vcc_lo, exec_lo, s16
	s_cbranch_vccnz .LBB111_2838
; %bb.2837:
	global_load_u16 v1, v[32:33], off
	s_wait_loadcnt 0x0
	v_cvt_i16_f16_e32 v28, v1
.LBB111_2838:
	s_mov_b32 s16, 0
.LBB111_2839:
	s_delay_alu instid0(SALU_CYCLE_1)
	s_and_not1_b32 vcc_lo, exec_lo, s16
	s_cbranch_vccnz .LBB111_2859
; %bb.2840:
	s_cmp_lt_i32 s15, 2
	s_cbranch_scc1 .LBB111_2844
; %bb.2841:
	s_cmp_lt_i32 s15, 3
	s_cbranch_scc1 .LBB111_2845
; %bb.2842:
	s_cmp_gt_i32 s15, 3
	s_cbranch_scc0 .LBB111_2846
; %bb.2843:
	s_wait_loadcnt 0x0
	global_load_b64 v[28:29], v[32:33], off
	s_mov_b32 s16, 0
	s_branch .LBB111_2847
.LBB111_2844:
	s_mov_b32 s16, -1
                                        ; implicit-def: $vgpr28
	s_branch .LBB111_2853
.LBB111_2845:
	s_mov_b32 s16, -1
                                        ; implicit-def: $vgpr28
	s_branch .LBB111_2850
.LBB111_2846:
	s_mov_b32 s16, -1
                                        ; implicit-def: $vgpr28
.LBB111_2847:
	s_delay_alu instid0(SALU_CYCLE_1)
	s_and_not1_b32 vcc_lo, exec_lo, s16
	s_cbranch_vccnz .LBB111_2849
; %bb.2848:
	s_wait_loadcnt 0x0
	global_load_b32 v28, v[32:33], off
.LBB111_2849:
	s_mov_b32 s16, 0
.LBB111_2850:
	s_delay_alu instid0(SALU_CYCLE_1)
	s_and_not1_b32 vcc_lo, exec_lo, s16
	s_cbranch_vccnz .LBB111_2852
; %bb.2851:
	s_wait_loadcnt 0x0
	global_load_u16 v28, v[32:33], off
.LBB111_2852:
	s_mov_b32 s16, 0
.LBB111_2853:
	s_delay_alu instid0(SALU_CYCLE_1)
	s_and_not1_b32 vcc_lo, exec_lo, s16
	s_cbranch_vccnz .LBB111_2859
; %bb.2854:
	s_cmp_gt_i32 s15, 0
	s_mov_b32 s16, 0
	s_cbranch_scc0 .LBB111_2856
; %bb.2855:
	s_wait_loadcnt 0x0
	global_load_u8 v28, v[32:33], off
	s_branch .LBB111_2857
.LBB111_2856:
	s_mov_b32 s16, -1
                                        ; implicit-def: $vgpr28
.LBB111_2857:
	s_delay_alu instid0(SALU_CYCLE_1)
	s_and_not1_b32 vcc_lo, exec_lo, s16
	s_cbranch_vccnz .LBB111_2859
; %bb.2858:
	s_wait_loadcnt 0x0
	global_load_u8 v28, v[32:33], off
.LBB111_2859:
	s_mov_b32 s18, -1
.LBB111_2860:
	s_delay_alu instid0(SALU_CYCLE_1)
	s_and_not1_b32 vcc_lo, exec_lo, s18
	s_cbranch_vccnz .LBB111_4058
; %bb.2861:
	v_mov_b32_e32 v27, 0
	s_cmp_lt_i32 s13, 11
	s_wait_xcnt 0x0
	s_delay_alu instid0(VALU_DEP_1)
	v_add_nc_u64_e32 v[32:33], s[6:7], v[26:27]
	s_cbranch_scc1 .LBB111_2868
; %bb.2862:
	s_cmp_gt_i32 s13, 25
	s_mov_b32 s17, 0
	s_cbranch_scc0 .LBB111_2869
; %bb.2863:
	s_cmp_gt_i32 s13, 28
	s_cbranch_scc0 .LBB111_2870
; %bb.2864:
	s_cmp_gt_i32 s13, 43
	;; [unrolled: 3-line block ×3, first 2 shown]
	s_cbranch_scc0 .LBB111_2873
; %bb.2866:
	s_cmp_eq_u32 s13, 46
	s_mov_b32 s19, 0
	s_cbranch_scc0 .LBB111_2876
; %bb.2867:
	global_load_b32 v1, v[32:33], off
	s_mov_b32 s16, 0
	s_mov_b32 s18, -1
	s_wait_loadcnt 0x0
	v_lshlrev_b32_e32 v1, 16, v1
	s_delay_alu instid0(VALU_DEP_1)
	v_cvt_i32_f32_e32 v26, v1
	s_branch .LBB111_2878
.LBB111_2868:
	s_mov_b32 s16, -1
	s_mov_b32 s18, 0
                                        ; implicit-def: $vgpr26
	s_branch .LBB111_2940
.LBB111_2869:
	s_mov_b32 s19, -1
	s_mov_b32 s18, 0
	s_mov_b32 s16, 0
                                        ; implicit-def: $vgpr26
	s_branch .LBB111_2905
.LBB111_2870:
	s_mov_b32 s19, -1
	s_mov_b32 s18, 0
	s_mov_b32 s16, 0
                                        ; implicit-def: $vgpr26
	s_branch .LBB111_2888
.LBB111_2871:
	s_mov_b32 s19, -1
	s_mov_b32 s18, 0
	s_mov_b32 s16, 0
                                        ; implicit-def: $vgpr26
	s_branch .LBB111_2883
.LBB111_2872:
	s_or_b32 s12, s12, exec_lo
	s_trap 2
	s_cbranch_execz .LBB111_2809
	s_branch .LBB111_2810
.LBB111_2873:
	s_mov_b32 s19, -1
	s_mov_b32 s18, 0
	s_mov_b32 s16, 0
	s_branch .LBB111_2877
.LBB111_2874:
	s_and_not1_saveexec_b32 s59, s59
	s_cbranch_execz .LBB111_1475
.LBB111_2875:
	v_add_f32_e64 v5, 0x42800000, |v4|
	s_and_not1_b32 s58, s58, exec_lo
	s_delay_alu instid0(VALU_DEP_1) | instskip(NEXT) | instid1(VALU_DEP_1)
	v_and_b32_e32 v5, 0xff, v5
	v_cmp_ne_u32_e32 vcc_lo, 0, v5
	s_and_b32 s60, vcc_lo, exec_lo
	s_delay_alu instid0(SALU_CYCLE_1)
	s_or_b32 s58, s58, s60
	s_or_b32 exec_lo, exec_lo, s59
	v_mov_b32_e32 v6, 0
	s_and_saveexec_b32 s59, s58
	s_cbranch_execnz .LBB111_1476
	s_branch .LBB111_1477
.LBB111_2876:
	s_mov_b32 s16, -1
	s_mov_b32 s18, 0
.LBB111_2877:
                                        ; implicit-def: $vgpr26
.LBB111_2878:
	s_and_b32 vcc_lo, exec_lo, s19
	s_cbranch_vccz .LBB111_2882
; %bb.2879:
	s_cmp_eq_u32 s13, 44
	s_cbranch_scc0 .LBB111_2881
; %bb.2880:
	global_load_u8 v1, v[32:33], off
	s_mov_b32 s16, 0
	s_mov_b32 s18, -1
	s_wait_loadcnt 0x0
	v_lshlrev_b32_e32 v3, 23, v1
	v_cmp_ne_u32_e32 vcc_lo, 0, v1
	s_delay_alu instid0(VALU_DEP_2) | instskip(NEXT) | instid1(VALU_DEP_1)
	v_cvt_i32_f32_e32 v3, v3
	v_cndmask_b32_e32 v26, 0, v3, vcc_lo
	s_branch .LBB111_2882
.LBB111_2881:
	s_mov_b32 s16, -1
                                        ; implicit-def: $vgpr26
.LBB111_2882:
	s_mov_b32 s19, 0
.LBB111_2883:
	s_delay_alu instid0(SALU_CYCLE_1)
	s_and_b32 vcc_lo, exec_lo, s19
	s_cbranch_vccz .LBB111_2887
; %bb.2884:
	s_cmp_eq_u32 s13, 29
	s_cbranch_scc0 .LBB111_2886
; %bb.2885:
	global_load_b64 v[26:27], v[32:33], off
	s_mov_b32 s16, 0
	s_mov_b32 s18, -1
	s_branch .LBB111_2887
.LBB111_2886:
	s_mov_b32 s16, -1
                                        ; implicit-def: $vgpr26
.LBB111_2887:
	s_mov_b32 s19, 0
.LBB111_2888:
	s_delay_alu instid0(SALU_CYCLE_1)
	s_and_b32 vcc_lo, exec_lo, s19
	s_cbranch_vccz .LBB111_2904
; %bb.2889:
	s_cmp_lt_i32 s13, 27
	s_cbranch_scc1 .LBB111_2892
; %bb.2890:
	s_cmp_gt_i32 s13, 27
	s_cbranch_scc0 .LBB111_2893
; %bb.2891:
	s_wait_loadcnt 0x0
	global_load_b32 v26, v[32:33], off
	s_mov_b32 s18, 0
	s_branch .LBB111_2894
.LBB111_2892:
	s_mov_b32 s18, -1
                                        ; implicit-def: $vgpr26
	s_branch .LBB111_2897
.LBB111_2893:
	s_mov_b32 s18, -1
                                        ; implicit-def: $vgpr26
.LBB111_2894:
	s_delay_alu instid0(SALU_CYCLE_1)
	s_and_not1_b32 vcc_lo, exec_lo, s18
	s_cbranch_vccnz .LBB111_2896
; %bb.2895:
	s_wait_loadcnt 0x0
	global_load_u16 v26, v[32:33], off
.LBB111_2896:
	s_mov_b32 s18, 0
.LBB111_2897:
	s_delay_alu instid0(SALU_CYCLE_1)
	s_and_not1_b32 vcc_lo, exec_lo, s18
	s_cbranch_vccnz .LBB111_2903
; %bb.2898:
	global_load_u8 v1, v[32:33], off
	s_mov_b32 s19, 0
	s_mov_b32 s18, exec_lo
	s_wait_loadcnt 0x0
	v_cmpx_lt_i16_e32 0x7f, v1
	s_xor_b32 s18, exec_lo, s18
	s_cbranch_execz .LBB111_2915
; %bb.2899:
	v_cmp_ne_u16_e32 vcc_lo, 0x80, v1
	s_and_b32 s19, vcc_lo, exec_lo
	s_and_not1_saveexec_b32 s18, s18
	s_cbranch_execnz .LBB111_2916
.LBB111_2900:
	s_or_b32 exec_lo, exec_lo, s18
	v_mov_b32_e32 v26, 0
	s_and_saveexec_b32 s18, s19
	s_cbranch_execz .LBB111_2902
.LBB111_2901:
	v_and_b32_e32 v3, 0xffff, v1
	s_delay_alu instid0(VALU_DEP_1) | instskip(SKIP_1) | instid1(VALU_DEP_2)
	v_dual_lshlrev_b32 v1, 24, v1 :: v_dual_bitop2_b32 v5, 7, v3 bitop3:0x40
	v_bfe_u32 v11, v3, 3, 4
	v_and_b32_e32 v1, 0x80000000, v1
	s_delay_alu instid0(VALU_DEP_3) | instskip(NEXT) | instid1(VALU_DEP_3)
	v_clz_i32_u32_e32 v7, v5
	v_cmp_eq_u32_e32 vcc_lo, 0, v11
	s_delay_alu instid0(VALU_DEP_2) | instskip(NEXT) | instid1(VALU_DEP_1)
	v_min_u32_e32 v7, 32, v7
	v_subrev_nc_u32_e32 v9, 28, v7
	v_sub_nc_u32_e32 v7, 29, v7
	s_delay_alu instid0(VALU_DEP_2) | instskip(NEXT) | instid1(VALU_DEP_2)
	v_lshlrev_b32_e32 v3, v9, v3
	v_cndmask_b32_e32 v7, v11, v7, vcc_lo
	s_delay_alu instid0(VALU_DEP_2) | instskip(NEXT) | instid1(VALU_DEP_1)
	v_and_b32_e32 v3, 7, v3
	v_cndmask_b32_e32 v3, v5, v3, vcc_lo
	s_delay_alu instid0(VALU_DEP_3) | instskip(NEXT) | instid1(VALU_DEP_2)
	v_lshl_add_u32 v5, v7, 23, 0x3b800000
	v_lshlrev_b32_e32 v3, 20, v3
	s_delay_alu instid0(VALU_DEP_1) | instskip(NEXT) | instid1(VALU_DEP_1)
	v_or3_b32 v1, v1, v5, v3
	v_cvt_i32_f32_e32 v26, v1
.LBB111_2902:
	s_or_b32 exec_lo, exec_lo, s18
.LBB111_2903:
	s_mov_b32 s18, -1
.LBB111_2904:
	s_mov_b32 s19, 0
.LBB111_2905:
	s_delay_alu instid0(SALU_CYCLE_1)
	s_and_b32 vcc_lo, exec_lo, s19
	s_cbranch_vccz .LBB111_2936
; %bb.2906:
	s_cmp_gt_i32 s13, 22
	s_cbranch_scc0 .LBB111_2914
; %bb.2907:
	s_cmp_lt_i32 s13, 24
	s_cbranch_scc1 .LBB111_2917
; %bb.2908:
	s_cmp_gt_i32 s13, 24
	s_cbranch_scc0 .LBB111_2918
; %bb.2909:
	global_load_u8 v1, v[32:33], off
	s_mov_b32 s18, 0
	s_mov_b32 s17, exec_lo
	s_wait_loadcnt 0x0
	v_cmpx_lt_i16_e32 0x7f, v1
	s_xor_b32 s17, exec_lo, s17
	s_cbranch_execz .LBB111_2930
; %bb.2910:
	v_cmp_ne_u16_e32 vcc_lo, 0x80, v1
	s_and_b32 s18, vcc_lo, exec_lo
	s_and_not1_saveexec_b32 s17, s17
	s_cbranch_execnz .LBB111_2931
.LBB111_2911:
	s_or_b32 exec_lo, exec_lo, s17
	v_mov_b32_e32 v26, 0
	s_and_saveexec_b32 s17, s18
	s_cbranch_execz .LBB111_2913
.LBB111_2912:
	v_and_b32_e32 v3, 0xffff, v1
	s_delay_alu instid0(VALU_DEP_1) | instskip(SKIP_1) | instid1(VALU_DEP_2)
	v_dual_lshlrev_b32 v1, 24, v1 :: v_dual_bitop2_b32 v5, 3, v3 bitop3:0x40
	v_bfe_u32 v11, v3, 2, 5
	v_and_b32_e32 v1, 0x80000000, v1
	s_delay_alu instid0(VALU_DEP_3) | instskip(NEXT) | instid1(VALU_DEP_3)
	v_clz_i32_u32_e32 v7, v5
	v_cmp_eq_u32_e32 vcc_lo, 0, v11
	s_delay_alu instid0(VALU_DEP_2) | instskip(NEXT) | instid1(VALU_DEP_1)
	v_min_u32_e32 v7, 32, v7
	v_subrev_nc_u32_e32 v9, 29, v7
	v_sub_nc_u32_e32 v7, 30, v7
	s_delay_alu instid0(VALU_DEP_2) | instskip(NEXT) | instid1(VALU_DEP_2)
	v_lshlrev_b32_e32 v3, v9, v3
	v_cndmask_b32_e32 v7, v11, v7, vcc_lo
	s_delay_alu instid0(VALU_DEP_2) | instskip(NEXT) | instid1(VALU_DEP_1)
	v_and_b32_e32 v3, 3, v3
	v_cndmask_b32_e32 v3, v5, v3, vcc_lo
	s_delay_alu instid0(VALU_DEP_3) | instskip(NEXT) | instid1(VALU_DEP_2)
	v_lshl_add_u32 v5, v7, 23, 0x37800000
	v_lshlrev_b32_e32 v3, 21, v3
	s_delay_alu instid0(VALU_DEP_1) | instskip(NEXT) | instid1(VALU_DEP_1)
	v_or3_b32 v1, v1, v5, v3
	v_cvt_i32_f32_e32 v26, v1
.LBB111_2913:
	s_or_b32 exec_lo, exec_lo, s17
	s_mov_b32 s17, 0
	s_branch .LBB111_2919
.LBB111_2914:
	s_mov_b32 s17, -1
                                        ; implicit-def: $vgpr26
	s_branch .LBB111_2925
.LBB111_2915:
	s_and_not1_saveexec_b32 s18, s18
	s_cbranch_execz .LBB111_2900
.LBB111_2916:
	v_cmp_ne_u16_e32 vcc_lo, 0, v1
	s_and_not1_b32 s19, s19, exec_lo
	s_and_b32 s20, vcc_lo, exec_lo
	s_delay_alu instid0(SALU_CYCLE_1)
	s_or_b32 s19, s19, s20
	s_or_b32 exec_lo, exec_lo, s18
	v_mov_b32_e32 v26, 0
	s_and_saveexec_b32 s18, s19
	s_cbranch_execnz .LBB111_2901
	s_branch .LBB111_2902
.LBB111_2917:
	s_mov_b32 s17, -1
                                        ; implicit-def: $vgpr26
	s_branch .LBB111_2922
.LBB111_2918:
	s_mov_b32 s17, -1
                                        ; implicit-def: $vgpr26
.LBB111_2919:
	s_delay_alu instid0(SALU_CYCLE_1)
	s_and_b32 vcc_lo, exec_lo, s17
	s_cbranch_vccz .LBB111_2921
; %bb.2920:
	global_load_u8 v1, v[32:33], off
	s_wait_loadcnt 0x0
	v_lshlrev_b32_e32 v1, 24, v1
	s_delay_alu instid0(VALU_DEP_1) | instskip(NEXT) | instid1(VALU_DEP_1)
	v_and_b32_e32 v3, 0x7f000000, v1
	v_clz_i32_u32_e32 v5, v3
	v_add_nc_u32_e32 v9, 0x1000000, v3
	v_cmp_ne_u32_e32 vcc_lo, 0, v3
	s_delay_alu instid0(VALU_DEP_3) | instskip(NEXT) | instid1(VALU_DEP_1)
	v_min_u32_e32 v5, 32, v5
	v_sub_nc_u32_e64 v5, v5, 4 clamp
	s_delay_alu instid0(VALU_DEP_1) | instskip(NEXT) | instid1(VALU_DEP_1)
	v_dual_lshlrev_b32 v7, v5, v3 :: v_dual_lshlrev_b32 v5, 23, v5
	v_lshrrev_b32_e32 v7, 4, v7
	s_delay_alu instid0(VALU_DEP_1) | instskip(SKIP_1) | instid1(VALU_DEP_2)
	v_sub_nc_u32_e32 v5, v7, v5
	v_ashrrev_i32_e32 v7, 8, v9
	v_add_nc_u32_e32 v5, 0x3c000000, v5
	s_delay_alu instid0(VALU_DEP_1) | instskip(NEXT) | instid1(VALU_DEP_1)
	v_and_or_b32 v5, 0x7f800000, v7, v5
	v_cndmask_b32_e32 v3, 0, v5, vcc_lo
	s_delay_alu instid0(VALU_DEP_1) | instskip(NEXT) | instid1(VALU_DEP_1)
	v_and_or_b32 v1, 0x80000000, v1, v3
	v_cvt_i32_f32_e32 v26, v1
.LBB111_2921:
	s_mov_b32 s17, 0
.LBB111_2922:
	s_delay_alu instid0(SALU_CYCLE_1)
	s_and_not1_b32 vcc_lo, exec_lo, s17
	s_cbranch_vccnz .LBB111_2924
; %bb.2923:
	global_load_u8 v1, v[32:33], off
	s_wait_loadcnt 0x0
	v_lshlrev_b32_e32 v3, 25, v1
	v_lshlrev_b16 v1, 8, v1
	s_delay_alu instid0(VALU_DEP_1) | instskip(SKIP_1) | instid1(VALU_DEP_2)
	v_and_or_b32 v7, 0x7f00, v1, 0.5
	v_bfe_i32 v1, v1, 0, 16
	v_add_f32_e32 v7, -0.5, v7
	v_lshrrev_b32_e32 v5, 4, v3
	v_cmp_gt_u32_e32 vcc_lo, 0x8000000, v3
	s_delay_alu instid0(VALU_DEP_2) | instskip(NEXT) | instid1(VALU_DEP_1)
	v_or_b32_e32 v5, 0x70000000, v5
	v_mul_f32_e32 v5, 0x7800000, v5
	s_delay_alu instid0(VALU_DEP_1) | instskip(NEXT) | instid1(VALU_DEP_1)
	v_cndmask_b32_e32 v3, v5, v7, vcc_lo
	v_and_or_b32 v1, 0x80000000, v1, v3
	s_delay_alu instid0(VALU_DEP_1)
	v_cvt_i32_f32_e32 v26, v1
.LBB111_2924:
	s_mov_b32 s17, 0
	s_mov_b32 s18, -1
.LBB111_2925:
	s_and_not1_b32 vcc_lo, exec_lo, s17
	s_mov_b32 s17, 0
	s_cbranch_vccnz .LBB111_2936
; %bb.2926:
	s_cmp_gt_i32 s13, 14
	s_cbranch_scc0 .LBB111_2929
; %bb.2927:
	s_cmp_eq_u32 s13, 15
	s_cbranch_scc0 .LBB111_2932
; %bb.2928:
	global_load_u16 v1, v[32:33], off
	s_mov_b32 s16, 0
	s_mov_b32 s18, -1
	s_wait_loadcnt 0x0
	v_lshlrev_b32_e32 v1, 16, v1
	s_delay_alu instid0(VALU_DEP_1)
	v_cvt_i32_f32_e32 v26, v1
	s_branch .LBB111_2934
.LBB111_2929:
	s_mov_b32 s17, -1
	s_branch .LBB111_2933
.LBB111_2930:
	s_and_not1_saveexec_b32 s17, s17
	s_cbranch_execz .LBB111_2911
.LBB111_2931:
	v_cmp_ne_u16_e32 vcc_lo, 0, v1
	s_and_not1_b32 s18, s18, exec_lo
	s_and_b32 s19, vcc_lo, exec_lo
	s_delay_alu instid0(SALU_CYCLE_1)
	s_or_b32 s18, s18, s19
	s_or_b32 exec_lo, exec_lo, s17
	v_mov_b32_e32 v26, 0
	s_and_saveexec_b32 s17, s18
	s_cbranch_execnz .LBB111_2912
	s_branch .LBB111_2913
.LBB111_2932:
	s_mov_b32 s16, -1
.LBB111_2933:
                                        ; implicit-def: $vgpr26
.LBB111_2934:
	s_and_b32 vcc_lo, exec_lo, s17
	s_mov_b32 s17, 0
	s_cbranch_vccz .LBB111_2936
; %bb.2935:
	s_cmp_lg_u32 s13, 11
	s_mov_b32 s17, -1
	s_cselect_b32 s16, -1, 0
.LBB111_2936:
	s_delay_alu instid0(SALU_CYCLE_1)
	s_and_b32 vcc_lo, exec_lo, s16
	s_cbranch_vccnz .LBB111_3001
; %bb.2937:
	s_and_not1_b32 vcc_lo, exec_lo, s17
	s_cbranch_vccnz .LBB111_2939
.LBB111_2938:
	global_load_u8 v1, v[32:33], off
	s_mov_b32 s18, -1
	s_wait_loadcnt 0x0
	v_cmp_ne_u16_e32 vcc_lo, 0, v1
	v_cndmask_b32_e64 v26, 0, 1, vcc_lo
.LBB111_2939:
	s_mov_b32 s16, 0
.LBB111_2940:
	s_delay_alu instid0(SALU_CYCLE_1)
	s_and_b32 vcc_lo, exec_lo, s16
	s_cbranch_vccz .LBB111_2989
; %bb.2941:
	s_cmp_lt_i32 s13, 5
	s_cbranch_scc1 .LBB111_2946
; %bb.2942:
	s_cmp_lt_i32 s13, 8
	s_cbranch_scc1 .LBB111_2947
	;; [unrolled: 3-line block ×3, first 2 shown]
; %bb.2944:
	s_cmp_gt_i32 s13, 9
	s_cbranch_scc0 .LBB111_2949
; %bb.2945:
	s_wait_loadcnt 0x0
	global_load_b64 v[26:27], v[32:33], off
	s_mov_b32 s16, 0
	s_wait_loadcnt 0x0
	v_cvt_i32_f64_e32 v26, v[26:27]
	s_branch .LBB111_2950
.LBB111_2946:
	s_mov_b32 s16, -1
                                        ; implicit-def: $vgpr26
	s_branch .LBB111_2968
.LBB111_2947:
	s_mov_b32 s16, -1
                                        ; implicit-def: $vgpr26
	s_branch .LBB111_2956
.LBB111_2948:
	s_mov_b32 s16, -1
                                        ; implicit-def: $vgpr26
	s_branch .LBB111_2953
.LBB111_2949:
	s_mov_b32 s16, -1
                                        ; implicit-def: $vgpr26
.LBB111_2950:
	s_delay_alu instid0(SALU_CYCLE_1)
	s_and_not1_b32 vcc_lo, exec_lo, s16
	s_cbranch_vccnz .LBB111_2952
; %bb.2951:
	global_load_b32 v1, v[32:33], off
	s_wait_loadcnt 0x0
	v_cvt_i32_f32_e32 v26, v1
.LBB111_2952:
	s_mov_b32 s16, 0
.LBB111_2953:
	s_delay_alu instid0(SALU_CYCLE_1)
	s_and_not1_b32 vcc_lo, exec_lo, s16
	s_cbranch_vccnz .LBB111_2955
; %bb.2954:
	global_load_b32 v1, v[32:33], off
	s_wait_loadcnt 0x0
	v_cvt_i16_f16_e32 v26, v1
.LBB111_2955:
	s_mov_b32 s16, 0
.LBB111_2956:
	s_delay_alu instid0(SALU_CYCLE_1)
	s_and_not1_b32 vcc_lo, exec_lo, s16
	s_cbranch_vccnz .LBB111_2967
; %bb.2957:
	s_cmp_lt_i32 s13, 6
	s_cbranch_scc1 .LBB111_2960
; %bb.2958:
	s_cmp_gt_i32 s13, 6
	s_cbranch_scc0 .LBB111_2961
; %bb.2959:
	s_wait_loadcnt 0x0
	global_load_b64 v[26:27], v[32:33], off
	s_mov_b32 s16, 0
	s_wait_loadcnt 0x0
	v_cvt_i32_f64_e32 v26, v[26:27]
	s_branch .LBB111_2962
.LBB111_2960:
	s_mov_b32 s16, -1
                                        ; implicit-def: $vgpr26
	s_branch .LBB111_2965
.LBB111_2961:
	s_mov_b32 s16, -1
                                        ; implicit-def: $vgpr26
.LBB111_2962:
	s_delay_alu instid0(SALU_CYCLE_1)
	s_and_not1_b32 vcc_lo, exec_lo, s16
	s_cbranch_vccnz .LBB111_2964
; %bb.2963:
	global_load_b32 v1, v[32:33], off
	s_wait_loadcnt 0x0
	v_cvt_i32_f32_e32 v26, v1
.LBB111_2964:
	s_mov_b32 s16, 0
.LBB111_2965:
	s_delay_alu instid0(SALU_CYCLE_1)
	s_and_not1_b32 vcc_lo, exec_lo, s16
	s_cbranch_vccnz .LBB111_2967
; %bb.2966:
	global_load_u16 v1, v[32:33], off
	s_wait_loadcnt 0x0
	v_cvt_i16_f16_e32 v26, v1
.LBB111_2967:
	s_mov_b32 s16, 0
.LBB111_2968:
	s_delay_alu instid0(SALU_CYCLE_1)
	s_and_not1_b32 vcc_lo, exec_lo, s16
	s_cbranch_vccnz .LBB111_2988
; %bb.2969:
	s_cmp_lt_i32 s13, 2
	s_cbranch_scc1 .LBB111_2973
; %bb.2970:
	s_cmp_lt_i32 s13, 3
	s_cbranch_scc1 .LBB111_2974
; %bb.2971:
	s_cmp_gt_i32 s13, 3
	s_cbranch_scc0 .LBB111_2975
; %bb.2972:
	s_wait_loadcnt 0x0
	global_load_b64 v[26:27], v[32:33], off
	s_mov_b32 s16, 0
	s_branch .LBB111_2976
.LBB111_2973:
	s_mov_b32 s16, -1
                                        ; implicit-def: $vgpr26
	s_branch .LBB111_2982
.LBB111_2974:
	s_mov_b32 s16, -1
                                        ; implicit-def: $vgpr26
	s_branch .LBB111_2979
.LBB111_2975:
	s_mov_b32 s16, -1
                                        ; implicit-def: $vgpr26
.LBB111_2976:
	s_delay_alu instid0(SALU_CYCLE_1)
	s_and_not1_b32 vcc_lo, exec_lo, s16
	s_cbranch_vccnz .LBB111_2978
; %bb.2977:
	s_wait_loadcnt 0x0
	global_load_b32 v26, v[32:33], off
.LBB111_2978:
	s_mov_b32 s16, 0
.LBB111_2979:
	s_delay_alu instid0(SALU_CYCLE_1)
	s_and_not1_b32 vcc_lo, exec_lo, s16
	s_cbranch_vccnz .LBB111_2981
; %bb.2980:
	s_wait_loadcnt 0x0
	global_load_u16 v26, v[32:33], off
.LBB111_2981:
	s_mov_b32 s16, 0
.LBB111_2982:
	s_delay_alu instid0(SALU_CYCLE_1)
	s_and_not1_b32 vcc_lo, exec_lo, s16
	s_cbranch_vccnz .LBB111_2988
; %bb.2983:
	s_cmp_gt_i32 s13, 0
	s_mov_b32 s16, 0
	s_cbranch_scc0 .LBB111_2985
; %bb.2984:
	s_wait_loadcnt 0x0
	global_load_u8 v26, v[32:33], off
	s_branch .LBB111_2986
.LBB111_2985:
	s_mov_b32 s16, -1
                                        ; implicit-def: $vgpr26
.LBB111_2986:
	s_delay_alu instid0(SALU_CYCLE_1)
	s_and_not1_b32 vcc_lo, exec_lo, s16
	s_cbranch_vccnz .LBB111_2988
; %bb.2987:
	s_wait_loadcnt 0x0
	global_load_u8 v26, v[32:33], off
.LBB111_2988:
	s_mov_b32 s18, -1
.LBB111_2989:
	s_delay_alu instid0(SALU_CYCLE_1)
	s_and_not1_b32 vcc_lo, exec_lo, s18
	s_cbranch_vccnz .LBB111_4058
; %bb.2990:
	v_mov_b32_e32 v31, 0
	s_cmp_lt_i32 s14, 11
	s_wait_xcnt 0x0
	s_delay_alu instid0(VALU_DEP_1)
	v_add_nc_u64_e32 v[32:33], s[0:1], v[30:31]
	s_cbranch_scc1 .LBB111_2997
; %bb.2991:
	s_cmp_gt_i32 s14, 25
	s_mov_b32 s17, 0
	s_cbranch_scc0 .LBB111_2998
; %bb.2992:
	s_cmp_gt_i32 s14, 28
	s_cbranch_scc0 .LBB111_2999
; %bb.2993:
	s_cmp_gt_i32 s14, 43
	;; [unrolled: 3-line block ×3, first 2 shown]
	s_cbranch_scc0 .LBB111_3002
; %bb.2995:
	s_cmp_eq_u32 s14, 46
	s_mov_b32 s19, 0
	s_cbranch_scc0 .LBB111_3003
; %bb.2996:
	global_load_b32 v1, v[32:33], off
	s_mov_b32 s16, 0
	s_mov_b32 s18, -1
	s_wait_loadcnt 0x0
	v_lshlrev_b32_e32 v1, 16, v1
	s_delay_alu instid0(VALU_DEP_1)
	v_cvt_i32_f32_e32 v30, v1
	s_branch .LBB111_3005
.LBB111_2997:
	s_mov_b32 s16, -1
	s_mov_b32 s18, 0
                                        ; implicit-def: $vgpr30
	s_branch .LBB111_3067
.LBB111_2998:
	s_mov_b32 s19, -1
	s_mov_b32 s18, 0
	s_mov_b32 s16, 0
                                        ; implicit-def: $vgpr30
	s_branch .LBB111_3032
.LBB111_2999:
	s_mov_b32 s19, -1
	s_mov_b32 s18, 0
	s_mov_b32 s16, 0
                                        ; implicit-def: $vgpr30
	s_branch .LBB111_3015
.LBB111_3000:
	s_mov_b32 s19, -1
	s_mov_b32 s18, 0
	s_mov_b32 s16, 0
                                        ; implicit-def: $vgpr30
	s_branch .LBB111_3010
.LBB111_3001:
	s_or_b32 s12, s12, exec_lo
	s_trap 2
	s_cbranch_execz .LBB111_2938
	s_branch .LBB111_2939
.LBB111_3002:
	s_mov_b32 s19, -1
	s_mov_b32 s18, 0
	s_mov_b32 s16, 0
	s_branch .LBB111_3004
.LBB111_3003:
	s_mov_b32 s16, -1
	s_mov_b32 s18, 0
.LBB111_3004:
                                        ; implicit-def: $vgpr30
.LBB111_3005:
	s_and_b32 vcc_lo, exec_lo, s19
	s_cbranch_vccz .LBB111_3009
; %bb.3006:
	s_cmp_eq_u32 s14, 44
	s_cbranch_scc0 .LBB111_3008
; %bb.3007:
	global_load_u8 v1, v[32:33], off
	s_mov_b32 s16, 0
	s_mov_b32 s18, -1
	s_wait_loadcnt 0x0
	v_lshlrev_b32_e32 v3, 23, v1
	v_cmp_ne_u32_e32 vcc_lo, 0, v1
	s_delay_alu instid0(VALU_DEP_2) | instskip(NEXT) | instid1(VALU_DEP_1)
	v_cvt_i32_f32_e32 v3, v3
	v_cndmask_b32_e32 v30, 0, v3, vcc_lo
	s_branch .LBB111_3009
.LBB111_3008:
	s_mov_b32 s16, -1
                                        ; implicit-def: $vgpr30
.LBB111_3009:
	s_mov_b32 s19, 0
.LBB111_3010:
	s_delay_alu instid0(SALU_CYCLE_1)
	s_and_b32 vcc_lo, exec_lo, s19
	s_cbranch_vccz .LBB111_3014
; %bb.3011:
	s_cmp_eq_u32 s14, 29
	s_cbranch_scc0 .LBB111_3013
; %bb.3012:
	global_load_b64 v[30:31], v[32:33], off
	s_mov_b32 s16, 0
	s_mov_b32 s18, -1
	s_branch .LBB111_3014
.LBB111_3013:
	s_mov_b32 s16, -1
                                        ; implicit-def: $vgpr30
.LBB111_3014:
	s_mov_b32 s19, 0
.LBB111_3015:
	s_delay_alu instid0(SALU_CYCLE_1)
	s_and_b32 vcc_lo, exec_lo, s19
	s_cbranch_vccz .LBB111_3031
; %bb.3016:
	s_cmp_lt_i32 s14, 27
	s_cbranch_scc1 .LBB111_3019
; %bb.3017:
	s_cmp_gt_i32 s14, 27
	s_cbranch_scc0 .LBB111_3020
; %bb.3018:
	s_wait_loadcnt 0x0
	global_load_b32 v30, v[32:33], off
	s_mov_b32 s18, 0
	s_branch .LBB111_3021
.LBB111_3019:
	s_mov_b32 s18, -1
                                        ; implicit-def: $vgpr30
	s_branch .LBB111_3024
.LBB111_3020:
	s_mov_b32 s18, -1
                                        ; implicit-def: $vgpr30
.LBB111_3021:
	s_delay_alu instid0(SALU_CYCLE_1)
	s_and_not1_b32 vcc_lo, exec_lo, s18
	s_cbranch_vccnz .LBB111_3023
; %bb.3022:
	s_wait_loadcnt 0x0
	global_load_u16 v30, v[32:33], off
.LBB111_3023:
	s_mov_b32 s18, 0
.LBB111_3024:
	s_delay_alu instid0(SALU_CYCLE_1)
	s_and_not1_b32 vcc_lo, exec_lo, s18
	s_cbranch_vccnz .LBB111_3030
; %bb.3025:
	global_load_u8 v1, v[32:33], off
	s_mov_b32 s19, 0
	s_mov_b32 s18, exec_lo
	s_wait_loadcnt 0x0
	v_cmpx_lt_i16_e32 0x7f, v1
	s_xor_b32 s18, exec_lo, s18
	s_cbranch_execz .LBB111_3042
; %bb.3026:
	v_cmp_ne_u16_e32 vcc_lo, 0x80, v1
	s_and_b32 s19, vcc_lo, exec_lo
	s_and_not1_saveexec_b32 s18, s18
	s_cbranch_execnz .LBB111_3043
.LBB111_3027:
	s_or_b32 exec_lo, exec_lo, s18
	v_mov_b32_e32 v30, 0
	s_and_saveexec_b32 s18, s19
	s_cbranch_execz .LBB111_3029
.LBB111_3028:
	v_and_b32_e32 v3, 0xffff, v1
	s_delay_alu instid0(VALU_DEP_1) | instskip(SKIP_1) | instid1(VALU_DEP_2)
	v_dual_lshlrev_b32 v1, 24, v1 :: v_dual_bitop2_b32 v5, 7, v3 bitop3:0x40
	v_bfe_u32 v11, v3, 3, 4
	v_and_b32_e32 v1, 0x80000000, v1
	s_delay_alu instid0(VALU_DEP_3) | instskip(NEXT) | instid1(VALU_DEP_3)
	v_clz_i32_u32_e32 v7, v5
	v_cmp_eq_u32_e32 vcc_lo, 0, v11
	s_delay_alu instid0(VALU_DEP_2) | instskip(NEXT) | instid1(VALU_DEP_1)
	v_min_u32_e32 v7, 32, v7
	v_subrev_nc_u32_e32 v9, 28, v7
	v_sub_nc_u32_e32 v7, 29, v7
	s_delay_alu instid0(VALU_DEP_2) | instskip(NEXT) | instid1(VALU_DEP_2)
	v_lshlrev_b32_e32 v3, v9, v3
	v_cndmask_b32_e32 v7, v11, v7, vcc_lo
	s_delay_alu instid0(VALU_DEP_2) | instskip(NEXT) | instid1(VALU_DEP_1)
	v_and_b32_e32 v3, 7, v3
	v_cndmask_b32_e32 v3, v5, v3, vcc_lo
	s_delay_alu instid0(VALU_DEP_3) | instskip(NEXT) | instid1(VALU_DEP_2)
	v_lshl_add_u32 v5, v7, 23, 0x3b800000
	v_lshlrev_b32_e32 v3, 20, v3
	s_delay_alu instid0(VALU_DEP_1) | instskip(NEXT) | instid1(VALU_DEP_1)
	v_or3_b32 v1, v1, v5, v3
	v_cvt_i32_f32_e32 v30, v1
.LBB111_3029:
	s_or_b32 exec_lo, exec_lo, s18
.LBB111_3030:
	s_mov_b32 s18, -1
.LBB111_3031:
	s_mov_b32 s19, 0
.LBB111_3032:
	s_delay_alu instid0(SALU_CYCLE_1)
	s_and_b32 vcc_lo, exec_lo, s19
	s_cbranch_vccz .LBB111_3063
; %bb.3033:
	s_cmp_gt_i32 s14, 22
	s_cbranch_scc0 .LBB111_3041
; %bb.3034:
	s_cmp_lt_i32 s14, 24
	s_cbranch_scc1 .LBB111_3044
; %bb.3035:
	s_cmp_gt_i32 s14, 24
	s_cbranch_scc0 .LBB111_3045
; %bb.3036:
	global_load_u8 v1, v[32:33], off
	s_mov_b32 s18, 0
	s_mov_b32 s17, exec_lo
	s_wait_loadcnt 0x0
	v_cmpx_lt_i16_e32 0x7f, v1
	s_xor_b32 s17, exec_lo, s17
	s_cbranch_execz .LBB111_3057
; %bb.3037:
	v_cmp_ne_u16_e32 vcc_lo, 0x80, v1
	s_and_b32 s18, vcc_lo, exec_lo
	s_and_not1_saveexec_b32 s17, s17
	s_cbranch_execnz .LBB111_3058
.LBB111_3038:
	s_or_b32 exec_lo, exec_lo, s17
	v_mov_b32_e32 v30, 0
	s_and_saveexec_b32 s17, s18
	s_cbranch_execz .LBB111_3040
.LBB111_3039:
	v_and_b32_e32 v3, 0xffff, v1
	s_delay_alu instid0(VALU_DEP_1) | instskip(SKIP_1) | instid1(VALU_DEP_2)
	v_dual_lshlrev_b32 v1, 24, v1 :: v_dual_bitop2_b32 v5, 3, v3 bitop3:0x40
	v_bfe_u32 v11, v3, 2, 5
	v_and_b32_e32 v1, 0x80000000, v1
	s_delay_alu instid0(VALU_DEP_3) | instskip(NEXT) | instid1(VALU_DEP_3)
	v_clz_i32_u32_e32 v7, v5
	v_cmp_eq_u32_e32 vcc_lo, 0, v11
	s_delay_alu instid0(VALU_DEP_2) | instskip(NEXT) | instid1(VALU_DEP_1)
	v_min_u32_e32 v7, 32, v7
	v_subrev_nc_u32_e32 v9, 29, v7
	v_sub_nc_u32_e32 v7, 30, v7
	s_delay_alu instid0(VALU_DEP_2) | instskip(NEXT) | instid1(VALU_DEP_2)
	v_lshlrev_b32_e32 v3, v9, v3
	v_cndmask_b32_e32 v7, v11, v7, vcc_lo
	s_delay_alu instid0(VALU_DEP_2) | instskip(NEXT) | instid1(VALU_DEP_1)
	v_and_b32_e32 v3, 3, v3
	v_cndmask_b32_e32 v3, v5, v3, vcc_lo
	s_delay_alu instid0(VALU_DEP_3) | instskip(NEXT) | instid1(VALU_DEP_2)
	v_lshl_add_u32 v5, v7, 23, 0x37800000
	v_lshlrev_b32_e32 v3, 21, v3
	s_delay_alu instid0(VALU_DEP_1) | instskip(NEXT) | instid1(VALU_DEP_1)
	v_or3_b32 v1, v1, v5, v3
	v_cvt_i32_f32_e32 v30, v1
.LBB111_3040:
	s_or_b32 exec_lo, exec_lo, s17
	s_mov_b32 s17, 0
	s_branch .LBB111_3046
.LBB111_3041:
	s_mov_b32 s17, -1
                                        ; implicit-def: $vgpr30
	s_branch .LBB111_3052
.LBB111_3042:
	s_and_not1_saveexec_b32 s18, s18
	s_cbranch_execz .LBB111_3027
.LBB111_3043:
	v_cmp_ne_u16_e32 vcc_lo, 0, v1
	s_and_not1_b32 s19, s19, exec_lo
	s_and_b32 s20, vcc_lo, exec_lo
	s_delay_alu instid0(SALU_CYCLE_1)
	s_or_b32 s19, s19, s20
	s_or_b32 exec_lo, exec_lo, s18
	v_mov_b32_e32 v30, 0
	s_and_saveexec_b32 s18, s19
	s_cbranch_execnz .LBB111_3028
	s_branch .LBB111_3029
.LBB111_3044:
	s_mov_b32 s17, -1
                                        ; implicit-def: $vgpr30
	s_branch .LBB111_3049
.LBB111_3045:
	s_mov_b32 s17, -1
                                        ; implicit-def: $vgpr30
.LBB111_3046:
	s_delay_alu instid0(SALU_CYCLE_1)
	s_and_b32 vcc_lo, exec_lo, s17
	s_cbranch_vccz .LBB111_3048
; %bb.3047:
	global_load_u8 v1, v[32:33], off
	s_wait_loadcnt 0x0
	v_lshlrev_b32_e32 v1, 24, v1
	s_delay_alu instid0(VALU_DEP_1) | instskip(NEXT) | instid1(VALU_DEP_1)
	v_and_b32_e32 v3, 0x7f000000, v1
	v_clz_i32_u32_e32 v5, v3
	v_add_nc_u32_e32 v9, 0x1000000, v3
	v_cmp_ne_u32_e32 vcc_lo, 0, v3
	s_delay_alu instid0(VALU_DEP_3) | instskip(NEXT) | instid1(VALU_DEP_1)
	v_min_u32_e32 v5, 32, v5
	v_sub_nc_u32_e64 v5, v5, 4 clamp
	s_delay_alu instid0(VALU_DEP_1) | instskip(NEXT) | instid1(VALU_DEP_1)
	v_dual_lshlrev_b32 v7, v5, v3 :: v_dual_lshlrev_b32 v5, 23, v5
	v_lshrrev_b32_e32 v7, 4, v7
	s_delay_alu instid0(VALU_DEP_1) | instskip(SKIP_1) | instid1(VALU_DEP_2)
	v_sub_nc_u32_e32 v5, v7, v5
	v_ashrrev_i32_e32 v7, 8, v9
	v_add_nc_u32_e32 v5, 0x3c000000, v5
	s_delay_alu instid0(VALU_DEP_1) | instskip(NEXT) | instid1(VALU_DEP_1)
	v_and_or_b32 v5, 0x7f800000, v7, v5
	v_cndmask_b32_e32 v3, 0, v5, vcc_lo
	s_delay_alu instid0(VALU_DEP_1) | instskip(NEXT) | instid1(VALU_DEP_1)
	v_and_or_b32 v1, 0x80000000, v1, v3
	v_cvt_i32_f32_e32 v30, v1
.LBB111_3048:
	s_mov_b32 s17, 0
.LBB111_3049:
	s_delay_alu instid0(SALU_CYCLE_1)
	s_and_not1_b32 vcc_lo, exec_lo, s17
	s_cbranch_vccnz .LBB111_3051
; %bb.3050:
	global_load_u8 v1, v[32:33], off
	s_wait_loadcnt 0x0
	v_lshlrev_b32_e32 v3, 25, v1
	v_lshlrev_b16 v1, 8, v1
	s_delay_alu instid0(VALU_DEP_1) | instskip(SKIP_1) | instid1(VALU_DEP_2)
	v_and_or_b32 v7, 0x7f00, v1, 0.5
	v_bfe_i32 v1, v1, 0, 16
	v_add_f32_e32 v7, -0.5, v7
	v_lshrrev_b32_e32 v5, 4, v3
	v_cmp_gt_u32_e32 vcc_lo, 0x8000000, v3
	s_delay_alu instid0(VALU_DEP_2) | instskip(NEXT) | instid1(VALU_DEP_1)
	v_or_b32_e32 v5, 0x70000000, v5
	v_mul_f32_e32 v5, 0x7800000, v5
	s_delay_alu instid0(VALU_DEP_1) | instskip(NEXT) | instid1(VALU_DEP_1)
	v_cndmask_b32_e32 v3, v5, v7, vcc_lo
	v_and_or_b32 v1, 0x80000000, v1, v3
	s_delay_alu instid0(VALU_DEP_1)
	v_cvt_i32_f32_e32 v30, v1
.LBB111_3051:
	s_mov_b32 s17, 0
	s_mov_b32 s18, -1
.LBB111_3052:
	s_and_not1_b32 vcc_lo, exec_lo, s17
	s_mov_b32 s17, 0
	s_cbranch_vccnz .LBB111_3063
; %bb.3053:
	s_cmp_gt_i32 s14, 14
	s_cbranch_scc0 .LBB111_3056
; %bb.3054:
	s_cmp_eq_u32 s14, 15
	s_cbranch_scc0 .LBB111_3059
; %bb.3055:
	global_load_u16 v1, v[32:33], off
	s_mov_b32 s16, 0
	s_mov_b32 s18, -1
	s_wait_loadcnt 0x0
	v_lshlrev_b32_e32 v1, 16, v1
	s_delay_alu instid0(VALU_DEP_1)
	v_cvt_i32_f32_e32 v30, v1
	s_branch .LBB111_3061
.LBB111_3056:
	s_mov_b32 s17, -1
	s_branch .LBB111_3060
.LBB111_3057:
	s_and_not1_saveexec_b32 s17, s17
	s_cbranch_execz .LBB111_3038
.LBB111_3058:
	v_cmp_ne_u16_e32 vcc_lo, 0, v1
	s_and_not1_b32 s18, s18, exec_lo
	s_and_b32 s19, vcc_lo, exec_lo
	s_delay_alu instid0(SALU_CYCLE_1)
	s_or_b32 s18, s18, s19
	s_or_b32 exec_lo, exec_lo, s17
	v_mov_b32_e32 v30, 0
	s_and_saveexec_b32 s17, s18
	s_cbranch_execnz .LBB111_3039
	s_branch .LBB111_3040
.LBB111_3059:
	s_mov_b32 s16, -1
.LBB111_3060:
                                        ; implicit-def: $vgpr30
.LBB111_3061:
	s_and_b32 vcc_lo, exec_lo, s17
	s_mov_b32 s17, 0
	s_cbranch_vccz .LBB111_3063
; %bb.3062:
	s_cmp_lg_u32 s14, 11
	s_mov_b32 s17, -1
	s_cselect_b32 s16, -1, 0
.LBB111_3063:
	s_delay_alu instid0(SALU_CYCLE_1)
	s_and_b32 vcc_lo, exec_lo, s16
	s_cbranch_vccnz .LBB111_3128
; %bb.3064:
	s_and_not1_b32 vcc_lo, exec_lo, s17
	s_cbranch_vccnz .LBB111_3066
.LBB111_3065:
	global_load_u8 v1, v[32:33], off
	s_mov_b32 s18, -1
	s_wait_loadcnt 0x0
	v_cmp_ne_u16_e32 vcc_lo, 0, v1
	v_cndmask_b32_e64 v30, 0, 1, vcc_lo
.LBB111_3066:
	s_mov_b32 s16, 0
.LBB111_3067:
	s_delay_alu instid0(SALU_CYCLE_1)
	s_and_b32 vcc_lo, exec_lo, s16
	s_cbranch_vccz .LBB111_3116
; %bb.3068:
	s_cmp_lt_i32 s14, 5
	s_cbranch_scc1 .LBB111_3073
; %bb.3069:
	s_cmp_lt_i32 s14, 8
	s_cbranch_scc1 .LBB111_3074
	;; [unrolled: 3-line block ×3, first 2 shown]
; %bb.3071:
	s_cmp_gt_i32 s14, 9
	s_cbranch_scc0 .LBB111_3076
; %bb.3072:
	s_wait_loadcnt 0x0
	global_load_b64 v[30:31], v[32:33], off
	s_mov_b32 s16, 0
	s_wait_loadcnt 0x0
	v_cvt_i32_f64_e32 v30, v[30:31]
	s_branch .LBB111_3077
.LBB111_3073:
	s_mov_b32 s16, -1
                                        ; implicit-def: $vgpr30
	s_branch .LBB111_3095
.LBB111_3074:
	s_mov_b32 s16, -1
                                        ; implicit-def: $vgpr30
	s_branch .LBB111_3083
.LBB111_3075:
	s_mov_b32 s16, -1
                                        ; implicit-def: $vgpr30
	s_branch .LBB111_3080
.LBB111_3076:
	s_mov_b32 s16, -1
                                        ; implicit-def: $vgpr30
.LBB111_3077:
	s_delay_alu instid0(SALU_CYCLE_1)
	s_and_not1_b32 vcc_lo, exec_lo, s16
	s_cbranch_vccnz .LBB111_3079
; %bb.3078:
	global_load_b32 v1, v[32:33], off
	s_wait_loadcnt 0x0
	v_cvt_i32_f32_e32 v30, v1
.LBB111_3079:
	s_mov_b32 s16, 0
.LBB111_3080:
	s_delay_alu instid0(SALU_CYCLE_1)
	s_and_not1_b32 vcc_lo, exec_lo, s16
	s_cbranch_vccnz .LBB111_3082
; %bb.3081:
	global_load_b32 v1, v[32:33], off
	s_wait_loadcnt 0x0
	v_cvt_i16_f16_e32 v30, v1
.LBB111_3082:
	s_mov_b32 s16, 0
.LBB111_3083:
	s_delay_alu instid0(SALU_CYCLE_1)
	s_and_not1_b32 vcc_lo, exec_lo, s16
	s_cbranch_vccnz .LBB111_3094
; %bb.3084:
	s_cmp_lt_i32 s14, 6
	s_cbranch_scc1 .LBB111_3087
; %bb.3085:
	s_cmp_gt_i32 s14, 6
	s_cbranch_scc0 .LBB111_3088
; %bb.3086:
	s_wait_loadcnt 0x0
	global_load_b64 v[30:31], v[32:33], off
	s_mov_b32 s16, 0
	s_wait_loadcnt 0x0
	v_cvt_i32_f64_e32 v30, v[30:31]
	s_branch .LBB111_3089
.LBB111_3087:
	s_mov_b32 s16, -1
                                        ; implicit-def: $vgpr30
	s_branch .LBB111_3092
.LBB111_3088:
	s_mov_b32 s16, -1
                                        ; implicit-def: $vgpr30
.LBB111_3089:
	s_delay_alu instid0(SALU_CYCLE_1)
	s_and_not1_b32 vcc_lo, exec_lo, s16
	s_cbranch_vccnz .LBB111_3091
; %bb.3090:
	global_load_b32 v1, v[32:33], off
	s_wait_loadcnt 0x0
	v_cvt_i32_f32_e32 v30, v1
.LBB111_3091:
	s_mov_b32 s16, 0
.LBB111_3092:
	s_delay_alu instid0(SALU_CYCLE_1)
	s_and_not1_b32 vcc_lo, exec_lo, s16
	s_cbranch_vccnz .LBB111_3094
; %bb.3093:
	global_load_u16 v1, v[32:33], off
	s_wait_loadcnt 0x0
	v_cvt_i16_f16_e32 v30, v1
.LBB111_3094:
	s_mov_b32 s16, 0
.LBB111_3095:
	s_delay_alu instid0(SALU_CYCLE_1)
	s_and_not1_b32 vcc_lo, exec_lo, s16
	s_cbranch_vccnz .LBB111_3115
; %bb.3096:
	s_cmp_lt_i32 s14, 2
	s_cbranch_scc1 .LBB111_3100
; %bb.3097:
	s_cmp_lt_i32 s14, 3
	s_cbranch_scc1 .LBB111_3101
; %bb.3098:
	s_cmp_gt_i32 s14, 3
	s_cbranch_scc0 .LBB111_3102
; %bb.3099:
	s_wait_loadcnt 0x0
	global_load_b64 v[30:31], v[32:33], off
	s_mov_b32 s16, 0
	s_branch .LBB111_3103
.LBB111_3100:
	s_mov_b32 s16, -1
                                        ; implicit-def: $vgpr30
	s_branch .LBB111_3109
.LBB111_3101:
	s_mov_b32 s16, -1
                                        ; implicit-def: $vgpr30
	s_branch .LBB111_3106
.LBB111_3102:
	s_mov_b32 s16, -1
                                        ; implicit-def: $vgpr30
.LBB111_3103:
	s_delay_alu instid0(SALU_CYCLE_1)
	s_and_not1_b32 vcc_lo, exec_lo, s16
	s_cbranch_vccnz .LBB111_3105
; %bb.3104:
	s_wait_loadcnt 0x0
	global_load_b32 v30, v[32:33], off
.LBB111_3105:
	s_mov_b32 s16, 0
.LBB111_3106:
	s_delay_alu instid0(SALU_CYCLE_1)
	s_and_not1_b32 vcc_lo, exec_lo, s16
	s_cbranch_vccnz .LBB111_3108
; %bb.3107:
	s_wait_loadcnt 0x0
	global_load_u16 v30, v[32:33], off
.LBB111_3108:
	s_mov_b32 s16, 0
.LBB111_3109:
	s_delay_alu instid0(SALU_CYCLE_1)
	s_and_not1_b32 vcc_lo, exec_lo, s16
	s_cbranch_vccnz .LBB111_3115
; %bb.3110:
	s_cmp_gt_i32 s14, 0
	s_mov_b32 s16, 0
	s_cbranch_scc0 .LBB111_3112
; %bb.3111:
	s_wait_loadcnt 0x0
	global_load_u8 v30, v[32:33], off
	s_branch .LBB111_3113
.LBB111_3112:
	s_mov_b32 s16, -1
                                        ; implicit-def: $vgpr30
.LBB111_3113:
	s_delay_alu instid0(SALU_CYCLE_1)
	s_and_not1_b32 vcc_lo, exec_lo, s16
	s_cbranch_vccnz .LBB111_3115
; %bb.3114:
	s_wait_loadcnt 0x0
	global_load_u8 v30, v[32:33], off
.LBB111_3115:
	s_mov_b32 s18, -1
.LBB111_3116:
	s_delay_alu instid0(SALU_CYCLE_1)
	s_and_not1_b32 vcc_lo, exec_lo, s18
	s_cbranch_vccnz .LBB111_4058
; %bb.3117:
	v_mov_b32_e32 v25, 0
	s_cmp_lt_i32 s15, 11
	s_wait_xcnt 0x0
	s_delay_alu instid0(VALU_DEP_1)
	v_add_nc_u64_e32 v[32:33], s[8:9], v[24:25]
	s_cbranch_scc1 .LBB111_3124
; %bb.3118:
	s_cmp_gt_i32 s15, 25
	s_mov_b32 s17, 0
	s_cbranch_scc0 .LBB111_3125
; %bb.3119:
	s_cmp_gt_i32 s15, 28
	s_cbranch_scc0 .LBB111_3126
; %bb.3120:
	s_cmp_gt_i32 s15, 43
	;; [unrolled: 3-line block ×3, first 2 shown]
	s_cbranch_scc0 .LBB111_3129
; %bb.3122:
	s_cmp_eq_u32 s15, 46
	s_mov_b32 s19, 0
	s_cbranch_scc0 .LBB111_3130
; %bb.3123:
	global_load_b32 v1, v[32:33], off
	s_mov_b32 s16, 0
	s_mov_b32 s18, -1
	s_wait_loadcnt 0x0
	v_lshlrev_b32_e32 v1, 16, v1
	s_delay_alu instid0(VALU_DEP_1)
	v_cvt_i32_f32_e32 v24, v1
	s_branch .LBB111_3132
.LBB111_3124:
	s_mov_b32 s16, -1
	s_mov_b32 s18, 0
                                        ; implicit-def: $vgpr24
	s_branch .LBB111_3194
.LBB111_3125:
	s_mov_b32 s19, -1
	s_mov_b32 s18, 0
	s_mov_b32 s16, 0
                                        ; implicit-def: $vgpr24
	s_branch .LBB111_3159
.LBB111_3126:
	s_mov_b32 s19, -1
	s_mov_b32 s18, 0
	s_mov_b32 s16, 0
                                        ; implicit-def: $vgpr24
	s_branch .LBB111_3142
.LBB111_3127:
	s_mov_b32 s19, -1
	s_mov_b32 s18, 0
	s_mov_b32 s16, 0
                                        ; implicit-def: $vgpr24
	s_branch .LBB111_3137
.LBB111_3128:
	s_or_b32 s12, s12, exec_lo
	s_trap 2
	s_cbranch_execz .LBB111_3065
	s_branch .LBB111_3066
.LBB111_3129:
	s_mov_b32 s19, -1
	s_mov_b32 s18, 0
	s_mov_b32 s16, 0
	s_branch .LBB111_3131
.LBB111_3130:
	s_mov_b32 s16, -1
	s_mov_b32 s18, 0
.LBB111_3131:
                                        ; implicit-def: $vgpr24
.LBB111_3132:
	s_and_b32 vcc_lo, exec_lo, s19
	s_cbranch_vccz .LBB111_3136
; %bb.3133:
	s_cmp_eq_u32 s15, 44
	s_cbranch_scc0 .LBB111_3135
; %bb.3134:
	global_load_u8 v1, v[32:33], off
	s_mov_b32 s16, 0
	s_mov_b32 s18, -1
	s_wait_loadcnt 0x0
	v_lshlrev_b32_e32 v3, 23, v1
	v_cmp_ne_u32_e32 vcc_lo, 0, v1
	s_delay_alu instid0(VALU_DEP_2) | instskip(NEXT) | instid1(VALU_DEP_1)
	v_cvt_i32_f32_e32 v3, v3
	v_cndmask_b32_e32 v24, 0, v3, vcc_lo
	s_branch .LBB111_3136
.LBB111_3135:
	s_mov_b32 s16, -1
                                        ; implicit-def: $vgpr24
.LBB111_3136:
	s_mov_b32 s19, 0
.LBB111_3137:
	s_delay_alu instid0(SALU_CYCLE_1)
	s_and_b32 vcc_lo, exec_lo, s19
	s_cbranch_vccz .LBB111_3141
; %bb.3138:
	s_cmp_eq_u32 s15, 29
	s_cbranch_scc0 .LBB111_3140
; %bb.3139:
	global_load_b64 v[24:25], v[32:33], off
	s_mov_b32 s16, 0
	s_mov_b32 s18, -1
	s_branch .LBB111_3141
.LBB111_3140:
	s_mov_b32 s16, -1
                                        ; implicit-def: $vgpr24
.LBB111_3141:
	s_mov_b32 s19, 0
.LBB111_3142:
	s_delay_alu instid0(SALU_CYCLE_1)
	s_and_b32 vcc_lo, exec_lo, s19
	s_cbranch_vccz .LBB111_3158
; %bb.3143:
	s_cmp_lt_i32 s15, 27
	s_cbranch_scc1 .LBB111_3146
; %bb.3144:
	s_cmp_gt_i32 s15, 27
	s_cbranch_scc0 .LBB111_3147
; %bb.3145:
	s_wait_loadcnt 0x0
	global_load_b32 v24, v[32:33], off
	s_mov_b32 s18, 0
	s_branch .LBB111_3148
.LBB111_3146:
	s_mov_b32 s18, -1
                                        ; implicit-def: $vgpr24
	s_branch .LBB111_3151
.LBB111_3147:
	s_mov_b32 s18, -1
                                        ; implicit-def: $vgpr24
.LBB111_3148:
	s_delay_alu instid0(SALU_CYCLE_1)
	s_and_not1_b32 vcc_lo, exec_lo, s18
	s_cbranch_vccnz .LBB111_3150
; %bb.3149:
	s_wait_loadcnt 0x0
	global_load_u16 v24, v[32:33], off
.LBB111_3150:
	s_mov_b32 s18, 0
.LBB111_3151:
	s_delay_alu instid0(SALU_CYCLE_1)
	s_and_not1_b32 vcc_lo, exec_lo, s18
	s_cbranch_vccnz .LBB111_3157
; %bb.3152:
	global_load_u8 v1, v[32:33], off
	s_mov_b32 s19, 0
	s_mov_b32 s18, exec_lo
	s_wait_loadcnt 0x0
	v_cmpx_lt_i16_e32 0x7f, v1
	s_xor_b32 s18, exec_lo, s18
	s_cbranch_execz .LBB111_3169
; %bb.3153:
	v_cmp_ne_u16_e32 vcc_lo, 0x80, v1
	s_and_b32 s19, vcc_lo, exec_lo
	s_and_not1_saveexec_b32 s18, s18
	s_cbranch_execnz .LBB111_3170
.LBB111_3154:
	s_or_b32 exec_lo, exec_lo, s18
	v_mov_b32_e32 v24, 0
	s_and_saveexec_b32 s18, s19
	s_cbranch_execz .LBB111_3156
.LBB111_3155:
	v_and_b32_e32 v3, 0xffff, v1
	s_delay_alu instid0(VALU_DEP_1) | instskip(SKIP_1) | instid1(VALU_DEP_2)
	v_dual_lshlrev_b32 v1, 24, v1 :: v_dual_bitop2_b32 v5, 7, v3 bitop3:0x40
	v_bfe_u32 v11, v3, 3, 4
	v_and_b32_e32 v1, 0x80000000, v1
	s_delay_alu instid0(VALU_DEP_3) | instskip(NEXT) | instid1(VALU_DEP_3)
	v_clz_i32_u32_e32 v7, v5
	v_cmp_eq_u32_e32 vcc_lo, 0, v11
	s_delay_alu instid0(VALU_DEP_2) | instskip(NEXT) | instid1(VALU_DEP_1)
	v_min_u32_e32 v7, 32, v7
	v_subrev_nc_u32_e32 v9, 28, v7
	v_sub_nc_u32_e32 v7, 29, v7
	s_delay_alu instid0(VALU_DEP_2) | instskip(NEXT) | instid1(VALU_DEP_2)
	v_lshlrev_b32_e32 v3, v9, v3
	v_cndmask_b32_e32 v7, v11, v7, vcc_lo
	s_delay_alu instid0(VALU_DEP_2) | instskip(NEXT) | instid1(VALU_DEP_1)
	v_and_b32_e32 v3, 7, v3
	v_cndmask_b32_e32 v3, v5, v3, vcc_lo
	s_delay_alu instid0(VALU_DEP_3) | instskip(NEXT) | instid1(VALU_DEP_2)
	v_lshl_add_u32 v5, v7, 23, 0x3b800000
	v_lshlrev_b32_e32 v3, 20, v3
	s_delay_alu instid0(VALU_DEP_1) | instskip(NEXT) | instid1(VALU_DEP_1)
	v_or3_b32 v1, v1, v5, v3
	v_cvt_i32_f32_e32 v24, v1
.LBB111_3156:
	s_or_b32 exec_lo, exec_lo, s18
.LBB111_3157:
	s_mov_b32 s18, -1
.LBB111_3158:
	s_mov_b32 s19, 0
.LBB111_3159:
	s_delay_alu instid0(SALU_CYCLE_1)
	s_and_b32 vcc_lo, exec_lo, s19
	s_cbranch_vccz .LBB111_3190
; %bb.3160:
	s_cmp_gt_i32 s15, 22
	s_cbranch_scc0 .LBB111_3168
; %bb.3161:
	s_cmp_lt_i32 s15, 24
	s_cbranch_scc1 .LBB111_3171
; %bb.3162:
	s_cmp_gt_i32 s15, 24
	s_cbranch_scc0 .LBB111_3172
; %bb.3163:
	global_load_u8 v1, v[32:33], off
	s_mov_b32 s18, 0
	s_mov_b32 s17, exec_lo
	s_wait_loadcnt 0x0
	v_cmpx_lt_i16_e32 0x7f, v1
	s_xor_b32 s17, exec_lo, s17
	s_cbranch_execz .LBB111_3184
; %bb.3164:
	v_cmp_ne_u16_e32 vcc_lo, 0x80, v1
	s_and_b32 s18, vcc_lo, exec_lo
	s_and_not1_saveexec_b32 s17, s17
	s_cbranch_execnz .LBB111_3185
.LBB111_3165:
	s_or_b32 exec_lo, exec_lo, s17
	v_mov_b32_e32 v24, 0
	s_and_saveexec_b32 s17, s18
	s_cbranch_execz .LBB111_3167
.LBB111_3166:
	v_and_b32_e32 v3, 0xffff, v1
	s_delay_alu instid0(VALU_DEP_1) | instskip(SKIP_1) | instid1(VALU_DEP_2)
	v_dual_lshlrev_b32 v1, 24, v1 :: v_dual_bitop2_b32 v5, 3, v3 bitop3:0x40
	v_bfe_u32 v11, v3, 2, 5
	v_and_b32_e32 v1, 0x80000000, v1
	s_delay_alu instid0(VALU_DEP_3) | instskip(NEXT) | instid1(VALU_DEP_3)
	v_clz_i32_u32_e32 v7, v5
	v_cmp_eq_u32_e32 vcc_lo, 0, v11
	s_delay_alu instid0(VALU_DEP_2) | instskip(NEXT) | instid1(VALU_DEP_1)
	v_min_u32_e32 v7, 32, v7
	v_subrev_nc_u32_e32 v9, 29, v7
	v_sub_nc_u32_e32 v7, 30, v7
	s_delay_alu instid0(VALU_DEP_2) | instskip(NEXT) | instid1(VALU_DEP_2)
	v_lshlrev_b32_e32 v3, v9, v3
	v_cndmask_b32_e32 v7, v11, v7, vcc_lo
	s_delay_alu instid0(VALU_DEP_2) | instskip(NEXT) | instid1(VALU_DEP_1)
	v_and_b32_e32 v3, 3, v3
	v_cndmask_b32_e32 v3, v5, v3, vcc_lo
	s_delay_alu instid0(VALU_DEP_3) | instskip(NEXT) | instid1(VALU_DEP_2)
	v_lshl_add_u32 v5, v7, 23, 0x37800000
	v_lshlrev_b32_e32 v3, 21, v3
	s_delay_alu instid0(VALU_DEP_1) | instskip(NEXT) | instid1(VALU_DEP_1)
	v_or3_b32 v1, v1, v5, v3
	v_cvt_i32_f32_e32 v24, v1
.LBB111_3167:
	s_or_b32 exec_lo, exec_lo, s17
	s_mov_b32 s17, 0
	s_branch .LBB111_3173
.LBB111_3168:
	s_mov_b32 s17, -1
                                        ; implicit-def: $vgpr24
	s_branch .LBB111_3179
.LBB111_3169:
	s_and_not1_saveexec_b32 s18, s18
	s_cbranch_execz .LBB111_3154
.LBB111_3170:
	v_cmp_ne_u16_e32 vcc_lo, 0, v1
	s_and_not1_b32 s19, s19, exec_lo
	s_and_b32 s20, vcc_lo, exec_lo
	s_delay_alu instid0(SALU_CYCLE_1)
	s_or_b32 s19, s19, s20
	s_or_b32 exec_lo, exec_lo, s18
	v_mov_b32_e32 v24, 0
	s_and_saveexec_b32 s18, s19
	s_cbranch_execnz .LBB111_3155
	s_branch .LBB111_3156
.LBB111_3171:
	s_mov_b32 s17, -1
                                        ; implicit-def: $vgpr24
	s_branch .LBB111_3176
.LBB111_3172:
	s_mov_b32 s17, -1
                                        ; implicit-def: $vgpr24
.LBB111_3173:
	s_delay_alu instid0(SALU_CYCLE_1)
	s_and_b32 vcc_lo, exec_lo, s17
	s_cbranch_vccz .LBB111_3175
; %bb.3174:
	global_load_u8 v1, v[32:33], off
	s_wait_loadcnt 0x0
	v_lshlrev_b32_e32 v1, 24, v1
	s_delay_alu instid0(VALU_DEP_1) | instskip(NEXT) | instid1(VALU_DEP_1)
	v_and_b32_e32 v3, 0x7f000000, v1
	v_clz_i32_u32_e32 v5, v3
	v_add_nc_u32_e32 v9, 0x1000000, v3
	v_cmp_ne_u32_e32 vcc_lo, 0, v3
	s_delay_alu instid0(VALU_DEP_3) | instskip(NEXT) | instid1(VALU_DEP_1)
	v_min_u32_e32 v5, 32, v5
	v_sub_nc_u32_e64 v5, v5, 4 clamp
	s_delay_alu instid0(VALU_DEP_1) | instskip(NEXT) | instid1(VALU_DEP_1)
	v_dual_lshlrev_b32 v7, v5, v3 :: v_dual_lshlrev_b32 v5, 23, v5
	v_lshrrev_b32_e32 v7, 4, v7
	s_delay_alu instid0(VALU_DEP_1) | instskip(SKIP_1) | instid1(VALU_DEP_2)
	v_sub_nc_u32_e32 v5, v7, v5
	v_ashrrev_i32_e32 v7, 8, v9
	v_add_nc_u32_e32 v5, 0x3c000000, v5
	s_delay_alu instid0(VALU_DEP_1) | instskip(NEXT) | instid1(VALU_DEP_1)
	v_and_or_b32 v5, 0x7f800000, v7, v5
	v_cndmask_b32_e32 v3, 0, v5, vcc_lo
	s_delay_alu instid0(VALU_DEP_1) | instskip(NEXT) | instid1(VALU_DEP_1)
	v_and_or_b32 v1, 0x80000000, v1, v3
	v_cvt_i32_f32_e32 v24, v1
.LBB111_3175:
	s_mov_b32 s17, 0
.LBB111_3176:
	s_delay_alu instid0(SALU_CYCLE_1)
	s_and_not1_b32 vcc_lo, exec_lo, s17
	s_cbranch_vccnz .LBB111_3178
; %bb.3177:
	global_load_u8 v1, v[32:33], off
	s_wait_loadcnt 0x0
	v_lshlrev_b32_e32 v3, 25, v1
	v_lshlrev_b16 v1, 8, v1
	s_delay_alu instid0(VALU_DEP_1) | instskip(SKIP_1) | instid1(VALU_DEP_2)
	v_and_or_b32 v7, 0x7f00, v1, 0.5
	v_bfe_i32 v1, v1, 0, 16
	v_add_f32_e32 v7, -0.5, v7
	v_lshrrev_b32_e32 v5, 4, v3
	v_cmp_gt_u32_e32 vcc_lo, 0x8000000, v3
	s_delay_alu instid0(VALU_DEP_2) | instskip(NEXT) | instid1(VALU_DEP_1)
	v_or_b32_e32 v5, 0x70000000, v5
	v_mul_f32_e32 v5, 0x7800000, v5
	s_delay_alu instid0(VALU_DEP_1) | instskip(NEXT) | instid1(VALU_DEP_1)
	v_cndmask_b32_e32 v3, v5, v7, vcc_lo
	v_and_or_b32 v1, 0x80000000, v1, v3
	s_delay_alu instid0(VALU_DEP_1)
	v_cvt_i32_f32_e32 v24, v1
.LBB111_3178:
	s_mov_b32 s17, 0
	s_mov_b32 s18, -1
.LBB111_3179:
	s_and_not1_b32 vcc_lo, exec_lo, s17
	s_mov_b32 s17, 0
	s_cbranch_vccnz .LBB111_3190
; %bb.3180:
	s_cmp_gt_i32 s15, 14
	s_cbranch_scc0 .LBB111_3183
; %bb.3181:
	s_cmp_eq_u32 s15, 15
	s_cbranch_scc0 .LBB111_3186
; %bb.3182:
	global_load_u16 v1, v[32:33], off
	s_mov_b32 s16, 0
	s_mov_b32 s18, -1
	s_wait_loadcnt 0x0
	v_lshlrev_b32_e32 v1, 16, v1
	s_delay_alu instid0(VALU_DEP_1)
	v_cvt_i32_f32_e32 v24, v1
	s_branch .LBB111_3188
.LBB111_3183:
	s_mov_b32 s17, -1
	s_branch .LBB111_3187
.LBB111_3184:
	s_and_not1_saveexec_b32 s17, s17
	s_cbranch_execz .LBB111_3165
.LBB111_3185:
	v_cmp_ne_u16_e32 vcc_lo, 0, v1
	s_and_not1_b32 s18, s18, exec_lo
	s_and_b32 s19, vcc_lo, exec_lo
	s_delay_alu instid0(SALU_CYCLE_1)
	s_or_b32 s18, s18, s19
	s_or_b32 exec_lo, exec_lo, s17
	v_mov_b32_e32 v24, 0
	s_and_saveexec_b32 s17, s18
	s_cbranch_execnz .LBB111_3166
	s_branch .LBB111_3167
.LBB111_3186:
	s_mov_b32 s16, -1
.LBB111_3187:
                                        ; implicit-def: $vgpr24
.LBB111_3188:
	s_and_b32 vcc_lo, exec_lo, s17
	s_mov_b32 s17, 0
	s_cbranch_vccz .LBB111_3190
; %bb.3189:
	s_cmp_lg_u32 s15, 11
	s_mov_b32 s17, -1
	s_cselect_b32 s16, -1, 0
.LBB111_3190:
	s_delay_alu instid0(SALU_CYCLE_1)
	s_and_b32 vcc_lo, exec_lo, s16
	s_cbranch_vccnz .LBB111_3255
; %bb.3191:
	s_and_not1_b32 vcc_lo, exec_lo, s17
	s_cbranch_vccnz .LBB111_3193
.LBB111_3192:
	global_load_u8 v1, v[32:33], off
	s_mov_b32 s18, -1
	s_wait_loadcnt 0x0
	v_cmp_ne_u16_e32 vcc_lo, 0, v1
	v_cndmask_b32_e64 v24, 0, 1, vcc_lo
.LBB111_3193:
	s_mov_b32 s16, 0
.LBB111_3194:
	s_delay_alu instid0(SALU_CYCLE_1)
	s_and_b32 vcc_lo, exec_lo, s16
	s_cbranch_vccz .LBB111_3243
; %bb.3195:
	s_cmp_lt_i32 s15, 5
	s_cbranch_scc1 .LBB111_3200
; %bb.3196:
	s_cmp_lt_i32 s15, 8
	s_cbranch_scc1 .LBB111_3201
; %bb.3197:
	s_cmp_lt_i32 s15, 9
	s_cbranch_scc1 .LBB111_3202
; %bb.3198:
	s_cmp_gt_i32 s15, 9
	s_cbranch_scc0 .LBB111_3203
; %bb.3199:
	s_wait_loadcnt 0x0
	global_load_b64 v[24:25], v[32:33], off
	s_mov_b32 s16, 0
	s_wait_loadcnt 0x0
	v_cvt_i32_f64_e32 v24, v[24:25]
	s_branch .LBB111_3204
.LBB111_3200:
	s_mov_b32 s16, -1
                                        ; implicit-def: $vgpr24
	s_branch .LBB111_3222
.LBB111_3201:
	s_mov_b32 s16, -1
                                        ; implicit-def: $vgpr24
	s_branch .LBB111_3210
.LBB111_3202:
	s_mov_b32 s16, -1
                                        ; implicit-def: $vgpr24
	s_branch .LBB111_3207
.LBB111_3203:
	s_mov_b32 s16, -1
                                        ; implicit-def: $vgpr24
.LBB111_3204:
	s_delay_alu instid0(SALU_CYCLE_1)
	s_and_not1_b32 vcc_lo, exec_lo, s16
	s_cbranch_vccnz .LBB111_3206
; %bb.3205:
	global_load_b32 v1, v[32:33], off
	s_wait_loadcnt 0x0
	v_cvt_i32_f32_e32 v24, v1
.LBB111_3206:
	s_mov_b32 s16, 0
.LBB111_3207:
	s_delay_alu instid0(SALU_CYCLE_1)
	s_and_not1_b32 vcc_lo, exec_lo, s16
	s_cbranch_vccnz .LBB111_3209
; %bb.3208:
	global_load_b32 v1, v[32:33], off
	s_wait_loadcnt 0x0
	v_cvt_i16_f16_e32 v24, v1
.LBB111_3209:
	s_mov_b32 s16, 0
.LBB111_3210:
	s_delay_alu instid0(SALU_CYCLE_1)
	s_and_not1_b32 vcc_lo, exec_lo, s16
	s_cbranch_vccnz .LBB111_3221
; %bb.3211:
	s_cmp_lt_i32 s15, 6
	s_cbranch_scc1 .LBB111_3214
; %bb.3212:
	s_cmp_gt_i32 s15, 6
	s_cbranch_scc0 .LBB111_3215
; %bb.3213:
	s_wait_loadcnt 0x0
	global_load_b64 v[24:25], v[32:33], off
	s_mov_b32 s16, 0
	s_wait_loadcnt 0x0
	v_cvt_i32_f64_e32 v24, v[24:25]
	s_branch .LBB111_3216
.LBB111_3214:
	s_mov_b32 s16, -1
                                        ; implicit-def: $vgpr24
	s_branch .LBB111_3219
.LBB111_3215:
	s_mov_b32 s16, -1
                                        ; implicit-def: $vgpr24
.LBB111_3216:
	s_delay_alu instid0(SALU_CYCLE_1)
	s_and_not1_b32 vcc_lo, exec_lo, s16
	s_cbranch_vccnz .LBB111_3218
; %bb.3217:
	global_load_b32 v1, v[32:33], off
	s_wait_loadcnt 0x0
	v_cvt_i32_f32_e32 v24, v1
.LBB111_3218:
	s_mov_b32 s16, 0
.LBB111_3219:
	s_delay_alu instid0(SALU_CYCLE_1)
	s_and_not1_b32 vcc_lo, exec_lo, s16
	s_cbranch_vccnz .LBB111_3221
; %bb.3220:
	global_load_u16 v1, v[32:33], off
	s_wait_loadcnt 0x0
	v_cvt_i16_f16_e32 v24, v1
.LBB111_3221:
	s_mov_b32 s16, 0
.LBB111_3222:
	s_delay_alu instid0(SALU_CYCLE_1)
	s_and_not1_b32 vcc_lo, exec_lo, s16
	s_cbranch_vccnz .LBB111_3242
; %bb.3223:
	s_cmp_lt_i32 s15, 2
	s_cbranch_scc1 .LBB111_3227
; %bb.3224:
	s_cmp_lt_i32 s15, 3
	s_cbranch_scc1 .LBB111_3228
; %bb.3225:
	s_cmp_gt_i32 s15, 3
	s_cbranch_scc0 .LBB111_3229
; %bb.3226:
	s_wait_loadcnt 0x0
	global_load_b64 v[24:25], v[32:33], off
	s_mov_b32 s16, 0
	s_branch .LBB111_3230
.LBB111_3227:
	s_mov_b32 s16, -1
                                        ; implicit-def: $vgpr24
	s_branch .LBB111_3236
.LBB111_3228:
	s_mov_b32 s16, -1
                                        ; implicit-def: $vgpr24
	s_branch .LBB111_3233
.LBB111_3229:
	s_mov_b32 s16, -1
                                        ; implicit-def: $vgpr24
.LBB111_3230:
	s_delay_alu instid0(SALU_CYCLE_1)
	s_and_not1_b32 vcc_lo, exec_lo, s16
	s_cbranch_vccnz .LBB111_3232
; %bb.3231:
	s_wait_loadcnt 0x0
	global_load_b32 v24, v[32:33], off
.LBB111_3232:
	s_mov_b32 s16, 0
.LBB111_3233:
	s_delay_alu instid0(SALU_CYCLE_1)
	s_and_not1_b32 vcc_lo, exec_lo, s16
	s_cbranch_vccnz .LBB111_3235
; %bb.3234:
	s_wait_loadcnt 0x0
	global_load_u16 v24, v[32:33], off
.LBB111_3235:
	s_mov_b32 s16, 0
.LBB111_3236:
	s_delay_alu instid0(SALU_CYCLE_1)
	s_and_not1_b32 vcc_lo, exec_lo, s16
	s_cbranch_vccnz .LBB111_3242
; %bb.3237:
	s_cmp_gt_i32 s15, 0
	s_mov_b32 s16, 0
	s_cbranch_scc0 .LBB111_3239
; %bb.3238:
	s_wait_loadcnt 0x0
	global_load_u8 v24, v[32:33], off
	s_branch .LBB111_3240
.LBB111_3239:
	s_mov_b32 s16, -1
                                        ; implicit-def: $vgpr24
.LBB111_3240:
	s_delay_alu instid0(SALU_CYCLE_1)
	s_and_not1_b32 vcc_lo, exec_lo, s16
	s_cbranch_vccnz .LBB111_3242
; %bb.3241:
	s_wait_loadcnt 0x0
	global_load_u8 v24, v[32:33], off
.LBB111_3242:
	s_mov_b32 s18, -1
.LBB111_3243:
	s_delay_alu instid0(SALU_CYCLE_1)
	s_and_not1_b32 vcc_lo, exec_lo, s18
	s_cbranch_vccnz .LBB111_4058
; %bb.3244:
	v_mov_b32_e32 v21, 0
	s_cmp_lt_i32 s13, 11
	s_wait_xcnt 0x0
	s_delay_alu instid0(VALU_DEP_1)
	v_add_nc_u64_e32 v[32:33], s[6:7], v[20:21]
	s_cbranch_scc1 .LBB111_3251
; %bb.3245:
	s_cmp_gt_i32 s13, 25
	s_mov_b32 s7, 0
	s_cbranch_scc0 .LBB111_3252
; %bb.3246:
	s_cmp_gt_i32 s13, 28
	s_cbranch_scc0 .LBB111_3253
; %bb.3247:
	s_cmp_gt_i32 s13, 43
	s_cbranch_scc0 .LBB111_3254
; %bb.3248:
	s_cmp_gt_i32 s13, 45
	s_cbranch_scc0 .LBB111_3256
; %bb.3249:
	s_cmp_eq_u32 s13, 46
	s_mov_b32 s17, 0
	s_cbranch_scc0 .LBB111_3257
; %bb.3250:
	global_load_b32 v1, v[32:33], off
	s_mov_b32 s6, 0
	s_mov_b32 s16, -1
	s_wait_loadcnt 0x0
	v_lshlrev_b32_e32 v1, 16, v1
	s_delay_alu instid0(VALU_DEP_1)
	v_cvt_i32_f32_e32 v20, v1
	s_branch .LBB111_3259
.LBB111_3251:
	s_mov_b32 s6, -1
	s_mov_b32 s16, 0
                                        ; implicit-def: $vgpr20
	s_branch .LBB111_3321
.LBB111_3252:
	s_mov_b32 s17, -1
	s_mov_b32 s16, 0
	s_mov_b32 s6, 0
                                        ; implicit-def: $vgpr20
	s_branch .LBB111_3286
.LBB111_3253:
	s_mov_b32 s17, -1
	s_mov_b32 s16, 0
	s_mov_b32 s6, 0
                                        ; implicit-def: $vgpr20
	s_branch .LBB111_3269
.LBB111_3254:
	s_mov_b32 s17, -1
	s_mov_b32 s16, 0
	s_mov_b32 s6, 0
                                        ; implicit-def: $vgpr20
	s_branch .LBB111_3264
.LBB111_3255:
	s_or_b32 s12, s12, exec_lo
	s_trap 2
	s_cbranch_execz .LBB111_3192
	s_branch .LBB111_3193
.LBB111_3256:
	s_mov_b32 s17, -1
	s_mov_b32 s16, 0
	s_mov_b32 s6, 0
	s_branch .LBB111_3258
.LBB111_3257:
	s_mov_b32 s6, -1
	s_mov_b32 s16, 0
.LBB111_3258:
                                        ; implicit-def: $vgpr20
.LBB111_3259:
	s_and_b32 vcc_lo, exec_lo, s17
	s_cbranch_vccz .LBB111_3263
; %bb.3260:
	s_cmp_eq_u32 s13, 44
	s_cbranch_scc0 .LBB111_3262
; %bb.3261:
	global_load_u8 v1, v[32:33], off
	s_mov_b32 s6, 0
	s_mov_b32 s16, -1
	s_wait_loadcnt 0x0
	v_lshlrev_b32_e32 v3, 23, v1
	v_cmp_ne_u32_e32 vcc_lo, 0, v1
	s_delay_alu instid0(VALU_DEP_2) | instskip(NEXT) | instid1(VALU_DEP_1)
	v_cvt_i32_f32_e32 v3, v3
	v_cndmask_b32_e32 v20, 0, v3, vcc_lo
	s_branch .LBB111_3263
.LBB111_3262:
	s_mov_b32 s6, -1
                                        ; implicit-def: $vgpr20
.LBB111_3263:
	s_mov_b32 s17, 0
.LBB111_3264:
	s_delay_alu instid0(SALU_CYCLE_1)
	s_and_b32 vcc_lo, exec_lo, s17
	s_cbranch_vccz .LBB111_3268
; %bb.3265:
	s_cmp_eq_u32 s13, 29
	s_cbranch_scc0 .LBB111_3267
; %bb.3266:
	global_load_b64 v[20:21], v[32:33], off
	s_mov_b32 s6, 0
	s_mov_b32 s16, -1
	s_branch .LBB111_3268
.LBB111_3267:
	s_mov_b32 s6, -1
                                        ; implicit-def: $vgpr20
.LBB111_3268:
	s_mov_b32 s17, 0
.LBB111_3269:
	s_delay_alu instid0(SALU_CYCLE_1)
	s_and_b32 vcc_lo, exec_lo, s17
	s_cbranch_vccz .LBB111_3285
; %bb.3270:
	s_cmp_lt_i32 s13, 27
	s_cbranch_scc1 .LBB111_3273
; %bb.3271:
	s_cmp_gt_i32 s13, 27
	s_cbranch_scc0 .LBB111_3274
; %bb.3272:
	s_wait_loadcnt 0x0
	global_load_b32 v20, v[32:33], off
	s_mov_b32 s16, 0
	s_branch .LBB111_3275
.LBB111_3273:
	s_mov_b32 s16, -1
                                        ; implicit-def: $vgpr20
	s_branch .LBB111_3278
.LBB111_3274:
	s_mov_b32 s16, -1
                                        ; implicit-def: $vgpr20
.LBB111_3275:
	s_delay_alu instid0(SALU_CYCLE_1)
	s_and_not1_b32 vcc_lo, exec_lo, s16
	s_cbranch_vccnz .LBB111_3277
; %bb.3276:
	s_wait_loadcnt 0x0
	global_load_u16 v20, v[32:33], off
.LBB111_3277:
	s_mov_b32 s16, 0
.LBB111_3278:
	s_delay_alu instid0(SALU_CYCLE_1)
	s_and_not1_b32 vcc_lo, exec_lo, s16
	s_cbranch_vccnz .LBB111_3284
; %bb.3279:
	global_load_u8 v1, v[32:33], off
	s_mov_b32 s17, 0
	s_mov_b32 s16, exec_lo
	s_wait_loadcnt 0x0
	v_cmpx_lt_i16_e32 0x7f, v1
	s_xor_b32 s16, exec_lo, s16
	s_cbranch_execz .LBB111_3296
; %bb.3280:
	v_cmp_ne_u16_e32 vcc_lo, 0x80, v1
	s_and_b32 s17, vcc_lo, exec_lo
	s_and_not1_saveexec_b32 s16, s16
	s_cbranch_execnz .LBB111_3297
.LBB111_3281:
	s_or_b32 exec_lo, exec_lo, s16
	v_mov_b32_e32 v20, 0
	s_and_saveexec_b32 s16, s17
	s_cbranch_execz .LBB111_3283
.LBB111_3282:
	v_and_b32_e32 v3, 0xffff, v1
	s_delay_alu instid0(VALU_DEP_1) | instskip(SKIP_1) | instid1(VALU_DEP_2)
	v_dual_lshlrev_b32 v1, 24, v1 :: v_dual_bitop2_b32 v5, 7, v3 bitop3:0x40
	v_bfe_u32 v11, v3, 3, 4
	v_and_b32_e32 v1, 0x80000000, v1
	s_delay_alu instid0(VALU_DEP_3) | instskip(NEXT) | instid1(VALU_DEP_3)
	v_clz_i32_u32_e32 v7, v5
	v_cmp_eq_u32_e32 vcc_lo, 0, v11
	s_delay_alu instid0(VALU_DEP_2) | instskip(NEXT) | instid1(VALU_DEP_1)
	v_min_u32_e32 v7, 32, v7
	v_subrev_nc_u32_e32 v9, 28, v7
	v_sub_nc_u32_e32 v7, 29, v7
	s_delay_alu instid0(VALU_DEP_2) | instskip(NEXT) | instid1(VALU_DEP_2)
	v_lshlrev_b32_e32 v3, v9, v3
	v_cndmask_b32_e32 v7, v11, v7, vcc_lo
	s_delay_alu instid0(VALU_DEP_2) | instskip(NEXT) | instid1(VALU_DEP_1)
	v_and_b32_e32 v3, 7, v3
	v_cndmask_b32_e32 v3, v5, v3, vcc_lo
	s_delay_alu instid0(VALU_DEP_3) | instskip(NEXT) | instid1(VALU_DEP_2)
	v_lshl_add_u32 v5, v7, 23, 0x3b800000
	v_lshlrev_b32_e32 v3, 20, v3
	s_delay_alu instid0(VALU_DEP_1) | instskip(NEXT) | instid1(VALU_DEP_1)
	v_or3_b32 v1, v1, v5, v3
	v_cvt_i32_f32_e32 v20, v1
.LBB111_3283:
	s_or_b32 exec_lo, exec_lo, s16
.LBB111_3284:
	s_mov_b32 s16, -1
.LBB111_3285:
	s_mov_b32 s17, 0
.LBB111_3286:
	s_delay_alu instid0(SALU_CYCLE_1)
	s_and_b32 vcc_lo, exec_lo, s17
	s_cbranch_vccz .LBB111_3317
; %bb.3287:
	s_cmp_gt_i32 s13, 22
	s_cbranch_scc0 .LBB111_3295
; %bb.3288:
	s_cmp_lt_i32 s13, 24
	s_cbranch_scc1 .LBB111_3298
; %bb.3289:
	s_cmp_gt_i32 s13, 24
	s_cbranch_scc0 .LBB111_3299
; %bb.3290:
	global_load_u8 v1, v[32:33], off
	s_mov_b32 s16, 0
	s_mov_b32 s7, exec_lo
	s_wait_loadcnt 0x0
	v_cmpx_lt_i16_e32 0x7f, v1
	s_xor_b32 s7, exec_lo, s7
	s_cbranch_execz .LBB111_3311
; %bb.3291:
	v_cmp_ne_u16_e32 vcc_lo, 0x80, v1
	s_and_b32 s16, vcc_lo, exec_lo
	s_and_not1_saveexec_b32 s7, s7
	s_cbranch_execnz .LBB111_3312
.LBB111_3292:
	s_or_b32 exec_lo, exec_lo, s7
	v_mov_b32_e32 v20, 0
	s_and_saveexec_b32 s7, s16
	s_cbranch_execz .LBB111_3294
.LBB111_3293:
	v_and_b32_e32 v3, 0xffff, v1
	s_delay_alu instid0(VALU_DEP_1) | instskip(SKIP_1) | instid1(VALU_DEP_2)
	v_dual_lshlrev_b32 v1, 24, v1 :: v_dual_bitop2_b32 v5, 3, v3 bitop3:0x40
	v_bfe_u32 v11, v3, 2, 5
	v_and_b32_e32 v1, 0x80000000, v1
	s_delay_alu instid0(VALU_DEP_3) | instskip(NEXT) | instid1(VALU_DEP_3)
	v_clz_i32_u32_e32 v7, v5
	v_cmp_eq_u32_e32 vcc_lo, 0, v11
	s_delay_alu instid0(VALU_DEP_2) | instskip(NEXT) | instid1(VALU_DEP_1)
	v_min_u32_e32 v7, 32, v7
	v_subrev_nc_u32_e32 v9, 29, v7
	v_sub_nc_u32_e32 v7, 30, v7
	s_delay_alu instid0(VALU_DEP_2) | instskip(NEXT) | instid1(VALU_DEP_2)
	v_lshlrev_b32_e32 v3, v9, v3
	v_cndmask_b32_e32 v7, v11, v7, vcc_lo
	s_delay_alu instid0(VALU_DEP_2) | instskip(NEXT) | instid1(VALU_DEP_1)
	v_and_b32_e32 v3, 3, v3
	v_cndmask_b32_e32 v3, v5, v3, vcc_lo
	s_delay_alu instid0(VALU_DEP_3) | instskip(NEXT) | instid1(VALU_DEP_2)
	v_lshl_add_u32 v5, v7, 23, 0x37800000
	v_lshlrev_b32_e32 v3, 21, v3
	s_delay_alu instid0(VALU_DEP_1) | instskip(NEXT) | instid1(VALU_DEP_1)
	v_or3_b32 v1, v1, v5, v3
	v_cvt_i32_f32_e32 v20, v1
.LBB111_3294:
	s_or_b32 exec_lo, exec_lo, s7
	s_mov_b32 s7, 0
	s_branch .LBB111_3300
.LBB111_3295:
	s_mov_b32 s7, -1
                                        ; implicit-def: $vgpr20
	s_branch .LBB111_3306
.LBB111_3296:
	s_and_not1_saveexec_b32 s16, s16
	s_cbranch_execz .LBB111_3281
.LBB111_3297:
	v_cmp_ne_u16_e32 vcc_lo, 0, v1
	s_and_not1_b32 s17, s17, exec_lo
	s_and_b32 s18, vcc_lo, exec_lo
	s_delay_alu instid0(SALU_CYCLE_1)
	s_or_b32 s17, s17, s18
	s_or_b32 exec_lo, exec_lo, s16
	v_mov_b32_e32 v20, 0
	s_and_saveexec_b32 s16, s17
	s_cbranch_execnz .LBB111_3282
	s_branch .LBB111_3283
.LBB111_3298:
	s_mov_b32 s7, -1
                                        ; implicit-def: $vgpr20
	s_branch .LBB111_3303
.LBB111_3299:
	s_mov_b32 s7, -1
                                        ; implicit-def: $vgpr20
.LBB111_3300:
	s_delay_alu instid0(SALU_CYCLE_1)
	s_and_b32 vcc_lo, exec_lo, s7
	s_cbranch_vccz .LBB111_3302
; %bb.3301:
	global_load_u8 v1, v[32:33], off
	s_wait_loadcnt 0x0
	v_lshlrev_b32_e32 v1, 24, v1
	s_delay_alu instid0(VALU_DEP_1) | instskip(NEXT) | instid1(VALU_DEP_1)
	v_and_b32_e32 v3, 0x7f000000, v1
	v_clz_i32_u32_e32 v5, v3
	v_add_nc_u32_e32 v9, 0x1000000, v3
	v_cmp_ne_u32_e32 vcc_lo, 0, v3
	s_delay_alu instid0(VALU_DEP_3) | instskip(NEXT) | instid1(VALU_DEP_1)
	v_min_u32_e32 v5, 32, v5
	v_sub_nc_u32_e64 v5, v5, 4 clamp
	s_delay_alu instid0(VALU_DEP_1) | instskip(NEXT) | instid1(VALU_DEP_1)
	v_dual_lshlrev_b32 v7, v5, v3 :: v_dual_lshlrev_b32 v5, 23, v5
	v_lshrrev_b32_e32 v7, 4, v7
	s_delay_alu instid0(VALU_DEP_1) | instskip(SKIP_1) | instid1(VALU_DEP_2)
	v_sub_nc_u32_e32 v5, v7, v5
	v_ashrrev_i32_e32 v7, 8, v9
	v_add_nc_u32_e32 v5, 0x3c000000, v5
	s_delay_alu instid0(VALU_DEP_1) | instskip(NEXT) | instid1(VALU_DEP_1)
	v_and_or_b32 v5, 0x7f800000, v7, v5
	v_cndmask_b32_e32 v3, 0, v5, vcc_lo
	s_delay_alu instid0(VALU_DEP_1) | instskip(NEXT) | instid1(VALU_DEP_1)
	v_and_or_b32 v1, 0x80000000, v1, v3
	v_cvt_i32_f32_e32 v20, v1
.LBB111_3302:
	s_mov_b32 s7, 0
.LBB111_3303:
	s_delay_alu instid0(SALU_CYCLE_1)
	s_and_not1_b32 vcc_lo, exec_lo, s7
	s_cbranch_vccnz .LBB111_3305
; %bb.3304:
	global_load_u8 v1, v[32:33], off
	s_wait_loadcnt 0x0
	v_lshlrev_b32_e32 v3, 25, v1
	v_lshlrev_b16 v1, 8, v1
	s_delay_alu instid0(VALU_DEP_1) | instskip(SKIP_1) | instid1(VALU_DEP_2)
	v_and_or_b32 v7, 0x7f00, v1, 0.5
	v_bfe_i32 v1, v1, 0, 16
	v_add_f32_e32 v7, -0.5, v7
	v_lshrrev_b32_e32 v5, 4, v3
	v_cmp_gt_u32_e32 vcc_lo, 0x8000000, v3
	s_delay_alu instid0(VALU_DEP_2) | instskip(NEXT) | instid1(VALU_DEP_1)
	v_or_b32_e32 v5, 0x70000000, v5
	v_mul_f32_e32 v5, 0x7800000, v5
	s_delay_alu instid0(VALU_DEP_1) | instskip(NEXT) | instid1(VALU_DEP_1)
	v_cndmask_b32_e32 v3, v5, v7, vcc_lo
	v_and_or_b32 v1, 0x80000000, v1, v3
	s_delay_alu instid0(VALU_DEP_1)
	v_cvt_i32_f32_e32 v20, v1
.LBB111_3305:
	s_mov_b32 s7, 0
	s_mov_b32 s16, -1
.LBB111_3306:
	s_and_not1_b32 vcc_lo, exec_lo, s7
	s_mov_b32 s7, 0
	s_cbranch_vccnz .LBB111_3317
; %bb.3307:
	s_cmp_gt_i32 s13, 14
	s_cbranch_scc0 .LBB111_3310
; %bb.3308:
	s_cmp_eq_u32 s13, 15
	s_cbranch_scc0 .LBB111_3313
; %bb.3309:
	global_load_u16 v1, v[32:33], off
	s_mov_b32 s6, 0
	s_mov_b32 s16, -1
	s_wait_loadcnt 0x0
	v_lshlrev_b32_e32 v1, 16, v1
	s_delay_alu instid0(VALU_DEP_1)
	v_cvt_i32_f32_e32 v20, v1
	s_branch .LBB111_3315
.LBB111_3310:
	s_mov_b32 s7, -1
	s_branch .LBB111_3314
.LBB111_3311:
	s_and_not1_saveexec_b32 s7, s7
	s_cbranch_execz .LBB111_3292
.LBB111_3312:
	v_cmp_ne_u16_e32 vcc_lo, 0, v1
	s_and_not1_b32 s16, s16, exec_lo
	s_and_b32 s17, vcc_lo, exec_lo
	s_delay_alu instid0(SALU_CYCLE_1)
	s_or_b32 s16, s16, s17
	s_or_b32 exec_lo, exec_lo, s7
	v_mov_b32_e32 v20, 0
	s_and_saveexec_b32 s7, s16
	s_cbranch_execnz .LBB111_3293
	s_branch .LBB111_3294
.LBB111_3313:
	s_mov_b32 s6, -1
.LBB111_3314:
                                        ; implicit-def: $vgpr20
.LBB111_3315:
	s_and_b32 vcc_lo, exec_lo, s7
	s_mov_b32 s7, 0
	s_cbranch_vccz .LBB111_3317
; %bb.3316:
	s_cmp_lg_u32 s13, 11
	s_mov_b32 s7, -1
	s_cselect_b32 s6, -1, 0
.LBB111_3317:
	s_delay_alu instid0(SALU_CYCLE_1)
	s_and_b32 vcc_lo, exec_lo, s6
	s_cbranch_vccnz .LBB111_3382
; %bb.3318:
	s_and_not1_b32 vcc_lo, exec_lo, s7
	s_cbranch_vccnz .LBB111_3320
.LBB111_3319:
	global_load_u8 v1, v[32:33], off
	s_mov_b32 s16, -1
	s_wait_loadcnt 0x0
	v_cmp_ne_u16_e32 vcc_lo, 0, v1
	v_cndmask_b32_e64 v20, 0, 1, vcc_lo
.LBB111_3320:
	s_mov_b32 s6, 0
.LBB111_3321:
	s_delay_alu instid0(SALU_CYCLE_1)
	s_and_b32 vcc_lo, exec_lo, s6
	s_cbranch_vccz .LBB111_3370
; %bb.3322:
	s_cmp_lt_i32 s13, 5
	s_cbranch_scc1 .LBB111_3327
; %bb.3323:
	s_cmp_lt_i32 s13, 8
	s_cbranch_scc1 .LBB111_3328
	;; [unrolled: 3-line block ×3, first 2 shown]
; %bb.3325:
	s_cmp_gt_i32 s13, 9
	s_cbranch_scc0 .LBB111_3330
; %bb.3326:
	s_wait_loadcnt 0x0
	global_load_b64 v[20:21], v[32:33], off
	s_mov_b32 s6, 0
	s_wait_loadcnt 0x0
	v_cvt_i32_f64_e32 v20, v[20:21]
	s_branch .LBB111_3331
.LBB111_3327:
	s_mov_b32 s6, -1
                                        ; implicit-def: $vgpr20
	s_branch .LBB111_3349
.LBB111_3328:
	s_mov_b32 s6, -1
                                        ; implicit-def: $vgpr20
	s_branch .LBB111_3337
.LBB111_3329:
	s_mov_b32 s6, -1
                                        ; implicit-def: $vgpr20
	s_branch .LBB111_3334
.LBB111_3330:
	s_mov_b32 s6, -1
                                        ; implicit-def: $vgpr20
.LBB111_3331:
	s_delay_alu instid0(SALU_CYCLE_1)
	s_and_not1_b32 vcc_lo, exec_lo, s6
	s_cbranch_vccnz .LBB111_3333
; %bb.3332:
	global_load_b32 v1, v[32:33], off
	s_wait_loadcnt 0x0
	v_cvt_i32_f32_e32 v20, v1
.LBB111_3333:
	s_mov_b32 s6, 0
.LBB111_3334:
	s_delay_alu instid0(SALU_CYCLE_1)
	s_and_not1_b32 vcc_lo, exec_lo, s6
	s_cbranch_vccnz .LBB111_3336
; %bb.3335:
	global_load_b32 v1, v[32:33], off
	s_wait_loadcnt 0x0
	v_cvt_i16_f16_e32 v20, v1
.LBB111_3336:
	s_mov_b32 s6, 0
.LBB111_3337:
	s_delay_alu instid0(SALU_CYCLE_1)
	s_and_not1_b32 vcc_lo, exec_lo, s6
	s_cbranch_vccnz .LBB111_3348
; %bb.3338:
	s_cmp_lt_i32 s13, 6
	s_cbranch_scc1 .LBB111_3341
; %bb.3339:
	s_cmp_gt_i32 s13, 6
	s_cbranch_scc0 .LBB111_3342
; %bb.3340:
	s_wait_loadcnt 0x0
	global_load_b64 v[20:21], v[32:33], off
	s_mov_b32 s6, 0
	s_wait_loadcnt 0x0
	v_cvt_i32_f64_e32 v20, v[20:21]
	s_branch .LBB111_3343
.LBB111_3341:
	s_mov_b32 s6, -1
                                        ; implicit-def: $vgpr20
	s_branch .LBB111_3346
.LBB111_3342:
	s_mov_b32 s6, -1
                                        ; implicit-def: $vgpr20
.LBB111_3343:
	s_delay_alu instid0(SALU_CYCLE_1)
	s_and_not1_b32 vcc_lo, exec_lo, s6
	s_cbranch_vccnz .LBB111_3345
; %bb.3344:
	global_load_b32 v1, v[32:33], off
	s_wait_loadcnt 0x0
	v_cvt_i32_f32_e32 v20, v1
.LBB111_3345:
	s_mov_b32 s6, 0
.LBB111_3346:
	s_delay_alu instid0(SALU_CYCLE_1)
	s_and_not1_b32 vcc_lo, exec_lo, s6
	s_cbranch_vccnz .LBB111_3348
; %bb.3347:
	global_load_u16 v1, v[32:33], off
	s_wait_loadcnt 0x0
	v_cvt_i16_f16_e32 v20, v1
.LBB111_3348:
	s_mov_b32 s6, 0
.LBB111_3349:
	s_delay_alu instid0(SALU_CYCLE_1)
	s_and_not1_b32 vcc_lo, exec_lo, s6
	s_cbranch_vccnz .LBB111_3369
; %bb.3350:
	s_cmp_lt_i32 s13, 2
	s_cbranch_scc1 .LBB111_3354
; %bb.3351:
	s_cmp_lt_i32 s13, 3
	s_cbranch_scc1 .LBB111_3355
; %bb.3352:
	s_cmp_gt_i32 s13, 3
	s_cbranch_scc0 .LBB111_3356
; %bb.3353:
	s_wait_loadcnt 0x0
	global_load_b64 v[20:21], v[32:33], off
	s_mov_b32 s6, 0
	s_branch .LBB111_3357
.LBB111_3354:
	s_mov_b32 s6, -1
                                        ; implicit-def: $vgpr20
	s_branch .LBB111_3363
.LBB111_3355:
	s_mov_b32 s6, -1
                                        ; implicit-def: $vgpr20
	s_branch .LBB111_3360
.LBB111_3356:
	s_mov_b32 s6, -1
                                        ; implicit-def: $vgpr20
.LBB111_3357:
	s_delay_alu instid0(SALU_CYCLE_1)
	s_and_not1_b32 vcc_lo, exec_lo, s6
	s_cbranch_vccnz .LBB111_3359
; %bb.3358:
	s_wait_loadcnt 0x0
	global_load_b32 v20, v[32:33], off
.LBB111_3359:
	s_mov_b32 s6, 0
.LBB111_3360:
	s_delay_alu instid0(SALU_CYCLE_1)
	s_and_not1_b32 vcc_lo, exec_lo, s6
	s_cbranch_vccnz .LBB111_3362
; %bb.3361:
	s_wait_loadcnt 0x0
	global_load_u16 v20, v[32:33], off
.LBB111_3362:
	s_mov_b32 s6, 0
.LBB111_3363:
	s_delay_alu instid0(SALU_CYCLE_1)
	s_and_not1_b32 vcc_lo, exec_lo, s6
	s_cbranch_vccnz .LBB111_3369
; %bb.3364:
	s_cmp_gt_i32 s13, 0
	s_mov_b32 s6, 0
	s_cbranch_scc0 .LBB111_3366
; %bb.3365:
	s_wait_loadcnt 0x0
	global_load_u8 v20, v[32:33], off
	s_branch .LBB111_3367
.LBB111_3366:
	s_mov_b32 s6, -1
                                        ; implicit-def: $vgpr20
.LBB111_3367:
	s_delay_alu instid0(SALU_CYCLE_1)
	s_and_not1_b32 vcc_lo, exec_lo, s6
	s_cbranch_vccnz .LBB111_3369
; %bb.3368:
	s_wait_loadcnt 0x0
	global_load_u8 v20, v[32:33], off
.LBB111_3369:
	s_mov_b32 s16, -1
.LBB111_3370:
	s_delay_alu instid0(SALU_CYCLE_1)
	s_and_not1_b32 vcc_lo, exec_lo, s16
	s_cbranch_vccnz .LBB111_4058
; %bb.3371:
	v_mov_b32_e32 v15, 0
	s_cmp_lt_i32 s14, 11
	s_wait_xcnt 0x0
	s_delay_alu instid0(VALU_DEP_1)
	v_add_nc_u64_e32 v[32:33], s[0:1], v[14:15]
	s_cbranch_scc1 .LBB111_3378
; %bb.3372:
	s_cmp_gt_i32 s14, 25
	s_mov_b32 s1, 0
	s_cbranch_scc0 .LBB111_3379
; %bb.3373:
	s_cmp_gt_i32 s14, 28
	s_cbranch_scc0 .LBB111_3380
; %bb.3374:
	s_cmp_gt_i32 s14, 43
	;; [unrolled: 3-line block ×3, first 2 shown]
	s_cbranch_scc0 .LBB111_3383
; %bb.3376:
	s_cmp_eq_u32 s14, 46
	s_mov_b32 s7, 0
	s_cbranch_scc0 .LBB111_3384
; %bb.3377:
	global_load_b32 v1, v[32:33], off
	s_mov_b32 s0, 0
	s_mov_b32 s6, -1
	s_wait_loadcnt 0x0
	v_lshlrev_b32_e32 v1, 16, v1
	s_delay_alu instid0(VALU_DEP_1)
	v_cvt_i32_f32_e32 v14, v1
	s_branch .LBB111_3386
.LBB111_3378:
	s_mov_b32 s0, -1
	s_mov_b32 s6, 0
                                        ; implicit-def: $vgpr14
	s_branch .LBB111_3448
.LBB111_3379:
	s_mov_b32 s7, -1
	s_mov_b32 s6, 0
	s_mov_b32 s0, 0
                                        ; implicit-def: $vgpr14
	s_branch .LBB111_3413
.LBB111_3380:
	s_mov_b32 s7, -1
	s_mov_b32 s6, 0
	s_mov_b32 s0, 0
                                        ; implicit-def: $vgpr14
	s_branch .LBB111_3396
.LBB111_3381:
	s_mov_b32 s7, -1
	s_mov_b32 s6, 0
	s_mov_b32 s0, 0
                                        ; implicit-def: $vgpr14
	s_branch .LBB111_3391
.LBB111_3382:
	s_or_b32 s12, s12, exec_lo
	s_trap 2
	s_cbranch_execz .LBB111_3319
	s_branch .LBB111_3320
.LBB111_3383:
	s_mov_b32 s7, -1
	s_mov_b32 s6, 0
	s_mov_b32 s0, 0
	s_branch .LBB111_3385
.LBB111_3384:
	s_mov_b32 s0, -1
	s_mov_b32 s6, 0
.LBB111_3385:
                                        ; implicit-def: $vgpr14
.LBB111_3386:
	s_and_b32 vcc_lo, exec_lo, s7
	s_cbranch_vccz .LBB111_3390
; %bb.3387:
	s_cmp_eq_u32 s14, 44
	s_cbranch_scc0 .LBB111_3389
; %bb.3388:
	global_load_u8 v1, v[32:33], off
	s_mov_b32 s0, 0
	s_mov_b32 s6, -1
	s_wait_loadcnt 0x0
	v_lshlrev_b32_e32 v3, 23, v1
	v_cmp_ne_u32_e32 vcc_lo, 0, v1
	s_delay_alu instid0(VALU_DEP_2) | instskip(NEXT) | instid1(VALU_DEP_1)
	v_cvt_i32_f32_e32 v3, v3
	v_cndmask_b32_e32 v14, 0, v3, vcc_lo
	s_branch .LBB111_3390
.LBB111_3389:
	s_mov_b32 s0, -1
                                        ; implicit-def: $vgpr14
.LBB111_3390:
	s_mov_b32 s7, 0
.LBB111_3391:
	s_delay_alu instid0(SALU_CYCLE_1)
	s_and_b32 vcc_lo, exec_lo, s7
	s_cbranch_vccz .LBB111_3395
; %bb.3392:
	s_cmp_eq_u32 s14, 29
	s_cbranch_scc0 .LBB111_3394
; %bb.3393:
	global_load_b64 v[14:15], v[32:33], off
	s_mov_b32 s0, 0
	s_mov_b32 s6, -1
	s_branch .LBB111_3395
.LBB111_3394:
	s_mov_b32 s0, -1
                                        ; implicit-def: $vgpr14
.LBB111_3395:
	s_mov_b32 s7, 0
.LBB111_3396:
	s_delay_alu instid0(SALU_CYCLE_1)
	s_and_b32 vcc_lo, exec_lo, s7
	s_cbranch_vccz .LBB111_3412
; %bb.3397:
	s_cmp_lt_i32 s14, 27
	s_cbranch_scc1 .LBB111_3400
; %bb.3398:
	s_cmp_gt_i32 s14, 27
	s_cbranch_scc0 .LBB111_3401
; %bb.3399:
	s_wait_loadcnt 0x0
	global_load_b32 v14, v[32:33], off
	s_mov_b32 s6, 0
	s_branch .LBB111_3402
.LBB111_3400:
	s_mov_b32 s6, -1
                                        ; implicit-def: $vgpr14
	s_branch .LBB111_3405
.LBB111_3401:
	s_mov_b32 s6, -1
                                        ; implicit-def: $vgpr14
.LBB111_3402:
	s_delay_alu instid0(SALU_CYCLE_1)
	s_and_not1_b32 vcc_lo, exec_lo, s6
	s_cbranch_vccnz .LBB111_3404
; %bb.3403:
	s_wait_loadcnt 0x0
	global_load_u16 v14, v[32:33], off
.LBB111_3404:
	s_mov_b32 s6, 0
.LBB111_3405:
	s_delay_alu instid0(SALU_CYCLE_1)
	s_and_not1_b32 vcc_lo, exec_lo, s6
	s_cbranch_vccnz .LBB111_3411
; %bb.3406:
	global_load_u8 v1, v[32:33], off
	s_mov_b32 s7, 0
	s_mov_b32 s6, exec_lo
	s_wait_loadcnt 0x0
	v_cmpx_lt_i16_e32 0x7f, v1
	s_xor_b32 s6, exec_lo, s6
	s_cbranch_execz .LBB111_3423
; %bb.3407:
	v_cmp_ne_u16_e32 vcc_lo, 0x80, v1
	s_and_b32 s7, vcc_lo, exec_lo
	s_and_not1_saveexec_b32 s6, s6
	s_cbranch_execnz .LBB111_3424
.LBB111_3408:
	s_or_b32 exec_lo, exec_lo, s6
	v_mov_b32_e32 v14, 0
	s_and_saveexec_b32 s6, s7
	s_cbranch_execz .LBB111_3410
.LBB111_3409:
	v_and_b32_e32 v3, 0xffff, v1
	s_delay_alu instid0(VALU_DEP_1) | instskip(SKIP_1) | instid1(VALU_DEP_2)
	v_dual_lshlrev_b32 v1, 24, v1 :: v_dual_bitop2_b32 v5, 7, v3 bitop3:0x40
	v_bfe_u32 v11, v3, 3, 4
	v_and_b32_e32 v1, 0x80000000, v1
	s_delay_alu instid0(VALU_DEP_3) | instskip(NEXT) | instid1(VALU_DEP_3)
	v_clz_i32_u32_e32 v7, v5
	v_cmp_eq_u32_e32 vcc_lo, 0, v11
	s_delay_alu instid0(VALU_DEP_2) | instskip(NEXT) | instid1(VALU_DEP_1)
	v_min_u32_e32 v7, 32, v7
	v_subrev_nc_u32_e32 v9, 28, v7
	v_sub_nc_u32_e32 v7, 29, v7
	s_delay_alu instid0(VALU_DEP_2) | instskip(NEXT) | instid1(VALU_DEP_2)
	v_lshlrev_b32_e32 v3, v9, v3
	v_cndmask_b32_e32 v7, v11, v7, vcc_lo
	s_delay_alu instid0(VALU_DEP_2) | instskip(NEXT) | instid1(VALU_DEP_1)
	v_and_b32_e32 v3, 7, v3
	v_cndmask_b32_e32 v3, v5, v3, vcc_lo
	s_delay_alu instid0(VALU_DEP_3) | instskip(NEXT) | instid1(VALU_DEP_2)
	v_lshl_add_u32 v5, v7, 23, 0x3b800000
	v_lshlrev_b32_e32 v3, 20, v3
	s_delay_alu instid0(VALU_DEP_1) | instskip(NEXT) | instid1(VALU_DEP_1)
	v_or3_b32 v1, v1, v5, v3
	v_cvt_i32_f32_e32 v14, v1
.LBB111_3410:
	s_or_b32 exec_lo, exec_lo, s6
.LBB111_3411:
	s_mov_b32 s6, -1
.LBB111_3412:
	s_mov_b32 s7, 0
.LBB111_3413:
	s_delay_alu instid0(SALU_CYCLE_1)
	s_and_b32 vcc_lo, exec_lo, s7
	s_cbranch_vccz .LBB111_3444
; %bb.3414:
	s_cmp_gt_i32 s14, 22
	s_cbranch_scc0 .LBB111_3422
; %bb.3415:
	s_cmp_lt_i32 s14, 24
	s_cbranch_scc1 .LBB111_3425
; %bb.3416:
	s_cmp_gt_i32 s14, 24
	s_cbranch_scc0 .LBB111_3426
; %bb.3417:
	global_load_u8 v1, v[32:33], off
	s_mov_b32 s6, 0
	s_mov_b32 s1, exec_lo
	s_wait_loadcnt 0x0
	v_cmpx_lt_i16_e32 0x7f, v1
	s_xor_b32 s1, exec_lo, s1
	s_cbranch_execz .LBB111_3438
; %bb.3418:
	v_cmp_ne_u16_e32 vcc_lo, 0x80, v1
	s_and_b32 s6, vcc_lo, exec_lo
	s_and_not1_saveexec_b32 s1, s1
	s_cbranch_execnz .LBB111_3439
.LBB111_3419:
	s_or_b32 exec_lo, exec_lo, s1
	v_mov_b32_e32 v14, 0
	s_and_saveexec_b32 s1, s6
	s_cbranch_execz .LBB111_3421
.LBB111_3420:
	v_and_b32_e32 v3, 0xffff, v1
	s_delay_alu instid0(VALU_DEP_1) | instskip(SKIP_1) | instid1(VALU_DEP_2)
	v_dual_lshlrev_b32 v1, 24, v1 :: v_dual_bitop2_b32 v5, 3, v3 bitop3:0x40
	v_bfe_u32 v11, v3, 2, 5
	v_and_b32_e32 v1, 0x80000000, v1
	s_delay_alu instid0(VALU_DEP_3) | instskip(NEXT) | instid1(VALU_DEP_3)
	v_clz_i32_u32_e32 v7, v5
	v_cmp_eq_u32_e32 vcc_lo, 0, v11
	s_delay_alu instid0(VALU_DEP_2) | instskip(NEXT) | instid1(VALU_DEP_1)
	v_min_u32_e32 v7, 32, v7
	v_subrev_nc_u32_e32 v9, 29, v7
	v_sub_nc_u32_e32 v7, 30, v7
	s_delay_alu instid0(VALU_DEP_2) | instskip(NEXT) | instid1(VALU_DEP_2)
	v_lshlrev_b32_e32 v3, v9, v3
	v_cndmask_b32_e32 v7, v11, v7, vcc_lo
	s_delay_alu instid0(VALU_DEP_2) | instskip(NEXT) | instid1(VALU_DEP_1)
	v_and_b32_e32 v3, 3, v3
	v_cndmask_b32_e32 v3, v5, v3, vcc_lo
	s_delay_alu instid0(VALU_DEP_3) | instskip(NEXT) | instid1(VALU_DEP_2)
	v_lshl_add_u32 v5, v7, 23, 0x37800000
	v_lshlrev_b32_e32 v3, 21, v3
	s_delay_alu instid0(VALU_DEP_1) | instskip(NEXT) | instid1(VALU_DEP_1)
	v_or3_b32 v1, v1, v5, v3
	v_cvt_i32_f32_e32 v14, v1
.LBB111_3421:
	s_or_b32 exec_lo, exec_lo, s1
	s_mov_b32 s1, 0
	s_branch .LBB111_3427
.LBB111_3422:
	s_mov_b32 s1, -1
                                        ; implicit-def: $vgpr14
	s_branch .LBB111_3433
.LBB111_3423:
	s_and_not1_saveexec_b32 s6, s6
	s_cbranch_execz .LBB111_3408
.LBB111_3424:
	v_cmp_ne_u16_e32 vcc_lo, 0, v1
	s_and_not1_b32 s7, s7, exec_lo
	s_and_b32 s13, vcc_lo, exec_lo
	s_delay_alu instid0(SALU_CYCLE_1)
	s_or_b32 s7, s7, s13
	s_or_b32 exec_lo, exec_lo, s6
	v_mov_b32_e32 v14, 0
	s_and_saveexec_b32 s6, s7
	s_cbranch_execnz .LBB111_3409
	s_branch .LBB111_3410
.LBB111_3425:
	s_mov_b32 s1, -1
                                        ; implicit-def: $vgpr14
	s_branch .LBB111_3430
.LBB111_3426:
	s_mov_b32 s1, -1
                                        ; implicit-def: $vgpr14
.LBB111_3427:
	s_delay_alu instid0(SALU_CYCLE_1)
	s_and_b32 vcc_lo, exec_lo, s1
	s_cbranch_vccz .LBB111_3429
; %bb.3428:
	global_load_u8 v1, v[32:33], off
	s_wait_loadcnt 0x0
	v_lshlrev_b32_e32 v1, 24, v1
	s_delay_alu instid0(VALU_DEP_1) | instskip(NEXT) | instid1(VALU_DEP_1)
	v_and_b32_e32 v3, 0x7f000000, v1
	v_clz_i32_u32_e32 v5, v3
	v_add_nc_u32_e32 v9, 0x1000000, v3
	v_cmp_ne_u32_e32 vcc_lo, 0, v3
	s_delay_alu instid0(VALU_DEP_3) | instskip(NEXT) | instid1(VALU_DEP_1)
	v_min_u32_e32 v5, 32, v5
	v_sub_nc_u32_e64 v5, v5, 4 clamp
	s_delay_alu instid0(VALU_DEP_1) | instskip(NEXT) | instid1(VALU_DEP_1)
	v_dual_lshlrev_b32 v7, v5, v3 :: v_dual_lshlrev_b32 v5, 23, v5
	v_lshrrev_b32_e32 v7, 4, v7
	s_delay_alu instid0(VALU_DEP_1) | instskip(SKIP_1) | instid1(VALU_DEP_2)
	v_sub_nc_u32_e32 v5, v7, v5
	v_ashrrev_i32_e32 v7, 8, v9
	v_add_nc_u32_e32 v5, 0x3c000000, v5
	s_delay_alu instid0(VALU_DEP_1) | instskip(NEXT) | instid1(VALU_DEP_1)
	v_and_or_b32 v5, 0x7f800000, v7, v5
	v_cndmask_b32_e32 v3, 0, v5, vcc_lo
	s_delay_alu instid0(VALU_DEP_1) | instskip(NEXT) | instid1(VALU_DEP_1)
	v_and_or_b32 v1, 0x80000000, v1, v3
	v_cvt_i32_f32_e32 v14, v1
.LBB111_3429:
	s_mov_b32 s1, 0
.LBB111_3430:
	s_delay_alu instid0(SALU_CYCLE_1)
	s_and_not1_b32 vcc_lo, exec_lo, s1
	s_cbranch_vccnz .LBB111_3432
; %bb.3431:
	global_load_u8 v1, v[32:33], off
	s_wait_loadcnt 0x0
	v_lshlrev_b32_e32 v3, 25, v1
	v_lshlrev_b16 v1, 8, v1
	s_delay_alu instid0(VALU_DEP_1) | instskip(SKIP_1) | instid1(VALU_DEP_2)
	v_and_or_b32 v7, 0x7f00, v1, 0.5
	v_bfe_i32 v1, v1, 0, 16
	v_add_f32_e32 v7, -0.5, v7
	v_lshrrev_b32_e32 v5, 4, v3
	v_cmp_gt_u32_e32 vcc_lo, 0x8000000, v3
	s_delay_alu instid0(VALU_DEP_2) | instskip(NEXT) | instid1(VALU_DEP_1)
	v_or_b32_e32 v5, 0x70000000, v5
	v_mul_f32_e32 v5, 0x7800000, v5
	s_delay_alu instid0(VALU_DEP_1) | instskip(NEXT) | instid1(VALU_DEP_1)
	v_cndmask_b32_e32 v3, v5, v7, vcc_lo
	v_and_or_b32 v1, 0x80000000, v1, v3
	s_delay_alu instid0(VALU_DEP_1)
	v_cvt_i32_f32_e32 v14, v1
.LBB111_3432:
	s_mov_b32 s1, 0
	s_mov_b32 s6, -1
.LBB111_3433:
	s_and_not1_b32 vcc_lo, exec_lo, s1
	s_mov_b32 s1, 0
	s_cbranch_vccnz .LBB111_3444
; %bb.3434:
	s_cmp_gt_i32 s14, 14
	s_cbranch_scc0 .LBB111_3437
; %bb.3435:
	s_cmp_eq_u32 s14, 15
	s_cbranch_scc0 .LBB111_3440
; %bb.3436:
	global_load_u16 v1, v[32:33], off
	s_mov_b32 s0, 0
	s_mov_b32 s6, -1
	s_wait_loadcnt 0x0
	v_lshlrev_b32_e32 v1, 16, v1
	s_delay_alu instid0(VALU_DEP_1)
	v_cvt_i32_f32_e32 v14, v1
	s_branch .LBB111_3442
.LBB111_3437:
	s_mov_b32 s1, -1
	s_branch .LBB111_3441
.LBB111_3438:
	s_and_not1_saveexec_b32 s1, s1
	s_cbranch_execz .LBB111_3419
.LBB111_3439:
	v_cmp_ne_u16_e32 vcc_lo, 0, v1
	s_and_not1_b32 s6, s6, exec_lo
	s_and_b32 s7, vcc_lo, exec_lo
	s_delay_alu instid0(SALU_CYCLE_1)
	s_or_b32 s6, s6, s7
	s_or_b32 exec_lo, exec_lo, s1
	v_mov_b32_e32 v14, 0
	s_and_saveexec_b32 s1, s6
	s_cbranch_execnz .LBB111_3420
	s_branch .LBB111_3421
.LBB111_3440:
	s_mov_b32 s0, -1
.LBB111_3441:
                                        ; implicit-def: $vgpr14
.LBB111_3442:
	s_and_b32 vcc_lo, exec_lo, s1
	s_mov_b32 s1, 0
	s_cbranch_vccz .LBB111_3444
; %bb.3443:
	s_cmp_lg_u32 s14, 11
	s_mov_b32 s1, -1
	s_cselect_b32 s0, -1, 0
.LBB111_3444:
	s_delay_alu instid0(SALU_CYCLE_1)
	s_and_b32 vcc_lo, exec_lo, s0
	s_cbranch_vccnz .LBB111_3509
; %bb.3445:
	s_and_not1_b32 vcc_lo, exec_lo, s1
	s_cbranch_vccnz .LBB111_3447
.LBB111_3446:
	global_load_u8 v1, v[32:33], off
	s_mov_b32 s6, -1
	s_wait_loadcnt 0x0
	v_cmp_ne_u16_e32 vcc_lo, 0, v1
	v_cndmask_b32_e64 v14, 0, 1, vcc_lo
.LBB111_3447:
	s_mov_b32 s0, 0
.LBB111_3448:
	s_delay_alu instid0(SALU_CYCLE_1)
	s_and_b32 vcc_lo, exec_lo, s0
	s_cbranch_vccz .LBB111_3497
; %bb.3449:
	s_cmp_lt_i32 s14, 5
	s_cbranch_scc1 .LBB111_3454
; %bb.3450:
	s_cmp_lt_i32 s14, 8
	s_cbranch_scc1 .LBB111_3455
	;; [unrolled: 3-line block ×3, first 2 shown]
; %bb.3452:
	s_cmp_gt_i32 s14, 9
	s_cbranch_scc0 .LBB111_3457
; %bb.3453:
	s_wait_loadcnt 0x0
	global_load_b64 v[14:15], v[32:33], off
	s_mov_b32 s0, 0
	s_wait_loadcnt 0x0
	v_cvt_i32_f64_e32 v14, v[14:15]
	s_branch .LBB111_3458
.LBB111_3454:
	s_mov_b32 s0, -1
                                        ; implicit-def: $vgpr14
	s_branch .LBB111_3476
.LBB111_3455:
	s_mov_b32 s0, -1
                                        ; implicit-def: $vgpr14
	s_branch .LBB111_3464
.LBB111_3456:
	s_mov_b32 s0, -1
                                        ; implicit-def: $vgpr14
	s_branch .LBB111_3461
.LBB111_3457:
	s_mov_b32 s0, -1
                                        ; implicit-def: $vgpr14
.LBB111_3458:
	s_delay_alu instid0(SALU_CYCLE_1)
	s_and_not1_b32 vcc_lo, exec_lo, s0
	s_cbranch_vccnz .LBB111_3460
; %bb.3459:
	global_load_b32 v1, v[32:33], off
	s_wait_loadcnt 0x0
	v_cvt_i32_f32_e32 v14, v1
.LBB111_3460:
	s_mov_b32 s0, 0
.LBB111_3461:
	s_delay_alu instid0(SALU_CYCLE_1)
	s_and_not1_b32 vcc_lo, exec_lo, s0
	s_cbranch_vccnz .LBB111_3463
; %bb.3462:
	global_load_b32 v1, v[32:33], off
	s_wait_loadcnt 0x0
	v_cvt_i16_f16_e32 v14, v1
.LBB111_3463:
	s_mov_b32 s0, 0
.LBB111_3464:
	s_delay_alu instid0(SALU_CYCLE_1)
	s_and_not1_b32 vcc_lo, exec_lo, s0
	s_cbranch_vccnz .LBB111_3475
; %bb.3465:
	s_cmp_lt_i32 s14, 6
	s_cbranch_scc1 .LBB111_3468
; %bb.3466:
	s_cmp_gt_i32 s14, 6
	s_cbranch_scc0 .LBB111_3469
; %bb.3467:
	s_wait_loadcnt 0x0
	global_load_b64 v[14:15], v[32:33], off
	s_mov_b32 s0, 0
	s_wait_loadcnt 0x0
	v_cvt_i32_f64_e32 v14, v[14:15]
	s_branch .LBB111_3470
.LBB111_3468:
	s_mov_b32 s0, -1
                                        ; implicit-def: $vgpr14
	s_branch .LBB111_3473
.LBB111_3469:
	s_mov_b32 s0, -1
                                        ; implicit-def: $vgpr14
.LBB111_3470:
	s_delay_alu instid0(SALU_CYCLE_1)
	s_and_not1_b32 vcc_lo, exec_lo, s0
	s_cbranch_vccnz .LBB111_3472
; %bb.3471:
	global_load_b32 v1, v[32:33], off
	s_wait_loadcnt 0x0
	v_cvt_i32_f32_e32 v14, v1
.LBB111_3472:
	s_mov_b32 s0, 0
.LBB111_3473:
	s_delay_alu instid0(SALU_CYCLE_1)
	s_and_not1_b32 vcc_lo, exec_lo, s0
	s_cbranch_vccnz .LBB111_3475
; %bb.3474:
	global_load_u16 v1, v[32:33], off
	s_wait_loadcnt 0x0
	v_cvt_i16_f16_e32 v14, v1
.LBB111_3475:
	s_mov_b32 s0, 0
.LBB111_3476:
	s_delay_alu instid0(SALU_CYCLE_1)
	s_and_not1_b32 vcc_lo, exec_lo, s0
	s_cbranch_vccnz .LBB111_3496
; %bb.3477:
	s_cmp_lt_i32 s14, 2
	s_cbranch_scc1 .LBB111_3481
; %bb.3478:
	s_cmp_lt_i32 s14, 3
	s_cbranch_scc1 .LBB111_3482
; %bb.3479:
	s_cmp_gt_i32 s14, 3
	s_cbranch_scc0 .LBB111_3483
; %bb.3480:
	s_wait_loadcnt 0x0
	global_load_b64 v[14:15], v[32:33], off
	s_mov_b32 s0, 0
	s_branch .LBB111_3484
.LBB111_3481:
	s_mov_b32 s0, -1
                                        ; implicit-def: $vgpr14
	s_branch .LBB111_3490
.LBB111_3482:
	s_mov_b32 s0, -1
                                        ; implicit-def: $vgpr14
	s_branch .LBB111_3487
.LBB111_3483:
	s_mov_b32 s0, -1
                                        ; implicit-def: $vgpr14
.LBB111_3484:
	s_delay_alu instid0(SALU_CYCLE_1)
	s_and_not1_b32 vcc_lo, exec_lo, s0
	s_cbranch_vccnz .LBB111_3486
; %bb.3485:
	s_wait_loadcnt 0x0
	global_load_b32 v14, v[32:33], off
.LBB111_3486:
	s_mov_b32 s0, 0
.LBB111_3487:
	s_delay_alu instid0(SALU_CYCLE_1)
	s_and_not1_b32 vcc_lo, exec_lo, s0
	s_cbranch_vccnz .LBB111_3489
; %bb.3488:
	s_wait_loadcnt 0x0
	global_load_u16 v14, v[32:33], off
.LBB111_3489:
	s_mov_b32 s0, 0
.LBB111_3490:
	s_delay_alu instid0(SALU_CYCLE_1)
	s_and_not1_b32 vcc_lo, exec_lo, s0
	s_cbranch_vccnz .LBB111_3496
; %bb.3491:
	s_cmp_gt_i32 s14, 0
	s_mov_b32 s0, 0
	s_cbranch_scc0 .LBB111_3493
; %bb.3492:
	s_wait_loadcnt 0x0
	global_load_u8 v14, v[32:33], off
	s_branch .LBB111_3494
.LBB111_3493:
	s_mov_b32 s0, -1
                                        ; implicit-def: $vgpr14
.LBB111_3494:
	s_delay_alu instid0(SALU_CYCLE_1)
	s_and_not1_b32 vcc_lo, exec_lo, s0
	s_cbranch_vccnz .LBB111_3496
; %bb.3495:
	s_wait_loadcnt 0x0
	global_load_u8 v14, v[32:33], off
.LBB111_3496:
	s_mov_b32 s6, -1
.LBB111_3497:
	s_delay_alu instid0(SALU_CYCLE_1)
	s_and_not1_b32 vcc_lo, exec_lo, s6
	s_cbranch_vccnz .LBB111_4058
; %bb.3498:
	v_mov_b32_e32 v11, 0
	s_cmp_lt_i32 s15, 11
	s_wait_xcnt 0x0
	s_delay_alu instid0(VALU_DEP_1)
	v_add_nc_u64_e32 v[32:33], s[8:9], v[10:11]
	s_cbranch_scc1 .LBB111_3505
; %bb.3499:
	s_cmp_gt_i32 s15, 25
	s_mov_b32 s1, 0
	s_cbranch_scc0 .LBB111_3506
; %bb.3500:
	s_cmp_gt_i32 s15, 28
	s_cbranch_scc0 .LBB111_3507
; %bb.3501:
	s_cmp_gt_i32 s15, 43
	;; [unrolled: 3-line block ×3, first 2 shown]
	s_cbranch_scc0 .LBB111_3510
; %bb.3503:
	s_cmp_eq_u32 s15, 46
	s_mov_b32 s7, 0
	s_cbranch_scc0 .LBB111_3511
; %bb.3504:
	global_load_b32 v1, v[32:33], off
	s_mov_b32 s0, 0
	s_mov_b32 s6, -1
	s_wait_loadcnt 0x0
	v_lshlrev_b32_e32 v1, 16, v1
	s_delay_alu instid0(VALU_DEP_1)
	v_cvt_i32_f32_e32 v10, v1
	s_branch .LBB111_3513
.LBB111_3505:
	s_mov_b32 s0, -1
	s_mov_b32 s6, 0
                                        ; implicit-def: $vgpr10
	s_branch .LBB111_3575
.LBB111_3506:
	s_mov_b32 s7, -1
	s_mov_b32 s6, 0
	s_mov_b32 s0, 0
                                        ; implicit-def: $vgpr10
	s_branch .LBB111_3540
.LBB111_3507:
	s_mov_b32 s7, -1
	s_mov_b32 s6, 0
	s_mov_b32 s0, 0
                                        ; implicit-def: $vgpr10
	s_branch .LBB111_3523
.LBB111_3508:
	s_mov_b32 s7, -1
	s_mov_b32 s6, 0
	s_mov_b32 s0, 0
                                        ; implicit-def: $vgpr10
	s_branch .LBB111_3518
.LBB111_3509:
	s_or_b32 s12, s12, exec_lo
	s_trap 2
	s_cbranch_execz .LBB111_3446
	s_branch .LBB111_3447
.LBB111_3510:
	s_mov_b32 s7, -1
	s_mov_b32 s6, 0
	s_mov_b32 s0, 0
	s_branch .LBB111_3512
.LBB111_3511:
	s_mov_b32 s0, -1
	s_mov_b32 s6, 0
.LBB111_3512:
                                        ; implicit-def: $vgpr10
.LBB111_3513:
	s_and_b32 vcc_lo, exec_lo, s7
	s_cbranch_vccz .LBB111_3517
; %bb.3514:
	s_cmp_eq_u32 s15, 44
	s_cbranch_scc0 .LBB111_3516
; %bb.3515:
	global_load_u8 v1, v[32:33], off
	s_mov_b32 s0, 0
	s_mov_b32 s6, -1
	s_wait_loadcnt 0x0
	v_lshlrev_b32_e32 v3, 23, v1
	v_cmp_ne_u32_e32 vcc_lo, 0, v1
	s_delay_alu instid0(VALU_DEP_2) | instskip(NEXT) | instid1(VALU_DEP_1)
	v_cvt_i32_f32_e32 v3, v3
	v_cndmask_b32_e32 v10, 0, v3, vcc_lo
	s_branch .LBB111_3517
.LBB111_3516:
	s_mov_b32 s0, -1
                                        ; implicit-def: $vgpr10
.LBB111_3517:
	s_mov_b32 s7, 0
.LBB111_3518:
	s_delay_alu instid0(SALU_CYCLE_1)
	s_and_b32 vcc_lo, exec_lo, s7
	s_cbranch_vccz .LBB111_3522
; %bb.3519:
	s_cmp_eq_u32 s15, 29
	s_cbranch_scc0 .LBB111_3521
; %bb.3520:
	global_load_b64 v[10:11], v[32:33], off
	s_mov_b32 s0, 0
	s_mov_b32 s6, -1
	s_branch .LBB111_3522
.LBB111_3521:
	s_mov_b32 s0, -1
                                        ; implicit-def: $vgpr10
.LBB111_3522:
	s_mov_b32 s7, 0
.LBB111_3523:
	s_delay_alu instid0(SALU_CYCLE_1)
	s_and_b32 vcc_lo, exec_lo, s7
	s_cbranch_vccz .LBB111_3539
; %bb.3524:
	s_cmp_lt_i32 s15, 27
	s_cbranch_scc1 .LBB111_3527
; %bb.3525:
	s_cmp_gt_i32 s15, 27
	s_cbranch_scc0 .LBB111_3528
; %bb.3526:
	s_wait_loadcnt 0x0
	global_load_b32 v10, v[32:33], off
	s_mov_b32 s6, 0
	s_branch .LBB111_3529
.LBB111_3527:
	s_mov_b32 s6, -1
                                        ; implicit-def: $vgpr10
	s_branch .LBB111_3532
.LBB111_3528:
	s_mov_b32 s6, -1
                                        ; implicit-def: $vgpr10
.LBB111_3529:
	s_delay_alu instid0(SALU_CYCLE_1)
	s_and_not1_b32 vcc_lo, exec_lo, s6
	s_cbranch_vccnz .LBB111_3531
; %bb.3530:
	s_wait_loadcnt 0x0
	global_load_u16 v10, v[32:33], off
.LBB111_3531:
	s_mov_b32 s6, 0
.LBB111_3532:
	s_delay_alu instid0(SALU_CYCLE_1)
	s_and_not1_b32 vcc_lo, exec_lo, s6
	s_cbranch_vccnz .LBB111_3538
; %bb.3533:
	global_load_u8 v1, v[32:33], off
	s_mov_b32 s7, 0
	s_mov_b32 s6, exec_lo
	s_wait_loadcnt 0x0
	v_cmpx_lt_i16_e32 0x7f, v1
	s_xor_b32 s6, exec_lo, s6
	s_cbranch_execz .LBB111_3550
; %bb.3534:
	v_cmp_ne_u16_e32 vcc_lo, 0x80, v1
	s_and_b32 s7, vcc_lo, exec_lo
	s_and_not1_saveexec_b32 s6, s6
	s_cbranch_execnz .LBB111_3551
.LBB111_3535:
	s_or_b32 exec_lo, exec_lo, s6
	v_mov_b32_e32 v10, 0
	s_and_saveexec_b32 s6, s7
	s_cbranch_execz .LBB111_3537
.LBB111_3536:
	v_and_b32_e32 v3, 0xffff, v1
	s_delay_alu instid0(VALU_DEP_1) | instskip(SKIP_1) | instid1(VALU_DEP_2)
	v_dual_lshlrev_b32 v1, 24, v1 :: v_dual_bitop2_b32 v5, 7, v3 bitop3:0x40
	v_bfe_u32 v10, v3, 3, 4
	v_and_b32_e32 v1, 0x80000000, v1
	s_delay_alu instid0(VALU_DEP_3) | instskip(NEXT) | instid1(VALU_DEP_3)
	v_clz_i32_u32_e32 v7, v5
	v_cmp_eq_u32_e32 vcc_lo, 0, v10
	s_delay_alu instid0(VALU_DEP_2) | instskip(NEXT) | instid1(VALU_DEP_1)
	v_min_u32_e32 v7, 32, v7
	v_subrev_nc_u32_e32 v9, 28, v7
	v_sub_nc_u32_e32 v7, 29, v7
	s_delay_alu instid0(VALU_DEP_2) | instskip(NEXT) | instid1(VALU_DEP_2)
	v_lshlrev_b32_e32 v3, v9, v3
	v_cndmask_b32_e32 v7, v10, v7, vcc_lo
	s_delay_alu instid0(VALU_DEP_2) | instskip(NEXT) | instid1(VALU_DEP_1)
	v_and_b32_e32 v3, 7, v3
	v_cndmask_b32_e32 v3, v5, v3, vcc_lo
	s_delay_alu instid0(VALU_DEP_3) | instskip(NEXT) | instid1(VALU_DEP_2)
	v_lshl_add_u32 v5, v7, 23, 0x3b800000
	v_lshlrev_b32_e32 v3, 20, v3
	s_delay_alu instid0(VALU_DEP_1) | instskip(NEXT) | instid1(VALU_DEP_1)
	v_or3_b32 v1, v1, v5, v3
	v_cvt_i32_f32_e32 v10, v1
.LBB111_3537:
	s_or_b32 exec_lo, exec_lo, s6
.LBB111_3538:
	s_mov_b32 s6, -1
.LBB111_3539:
	s_mov_b32 s7, 0
.LBB111_3540:
	s_delay_alu instid0(SALU_CYCLE_1)
	s_and_b32 vcc_lo, exec_lo, s7
	s_cbranch_vccz .LBB111_3571
; %bb.3541:
	s_cmp_gt_i32 s15, 22
	s_cbranch_scc0 .LBB111_3549
; %bb.3542:
	s_cmp_lt_i32 s15, 24
	s_cbranch_scc1 .LBB111_3552
; %bb.3543:
	s_cmp_gt_i32 s15, 24
	s_cbranch_scc0 .LBB111_3553
; %bb.3544:
	global_load_u8 v1, v[32:33], off
	s_mov_b32 s6, 0
	s_mov_b32 s1, exec_lo
	s_wait_loadcnt 0x0
	v_cmpx_lt_i16_e32 0x7f, v1
	s_xor_b32 s1, exec_lo, s1
	s_cbranch_execz .LBB111_3565
; %bb.3545:
	v_cmp_ne_u16_e32 vcc_lo, 0x80, v1
	s_and_b32 s6, vcc_lo, exec_lo
	s_and_not1_saveexec_b32 s1, s1
	s_cbranch_execnz .LBB111_3566
.LBB111_3546:
	s_or_b32 exec_lo, exec_lo, s1
	v_mov_b32_e32 v10, 0
	s_and_saveexec_b32 s1, s6
	s_cbranch_execz .LBB111_3548
.LBB111_3547:
	v_and_b32_e32 v3, 0xffff, v1
	s_delay_alu instid0(VALU_DEP_1) | instskip(SKIP_1) | instid1(VALU_DEP_2)
	v_dual_lshlrev_b32 v1, 24, v1 :: v_dual_bitop2_b32 v5, 3, v3 bitop3:0x40
	v_bfe_u32 v10, v3, 2, 5
	v_and_b32_e32 v1, 0x80000000, v1
	s_delay_alu instid0(VALU_DEP_3) | instskip(NEXT) | instid1(VALU_DEP_3)
	v_clz_i32_u32_e32 v7, v5
	v_cmp_eq_u32_e32 vcc_lo, 0, v10
	s_delay_alu instid0(VALU_DEP_2) | instskip(NEXT) | instid1(VALU_DEP_1)
	v_min_u32_e32 v7, 32, v7
	v_subrev_nc_u32_e32 v9, 29, v7
	v_sub_nc_u32_e32 v7, 30, v7
	s_delay_alu instid0(VALU_DEP_2) | instskip(NEXT) | instid1(VALU_DEP_2)
	v_lshlrev_b32_e32 v3, v9, v3
	v_cndmask_b32_e32 v7, v10, v7, vcc_lo
	s_delay_alu instid0(VALU_DEP_2) | instskip(NEXT) | instid1(VALU_DEP_1)
	v_and_b32_e32 v3, 3, v3
	v_cndmask_b32_e32 v3, v5, v3, vcc_lo
	s_delay_alu instid0(VALU_DEP_3) | instskip(NEXT) | instid1(VALU_DEP_2)
	v_lshl_add_u32 v5, v7, 23, 0x37800000
	v_lshlrev_b32_e32 v3, 21, v3
	s_delay_alu instid0(VALU_DEP_1) | instskip(NEXT) | instid1(VALU_DEP_1)
	v_or3_b32 v1, v1, v5, v3
	v_cvt_i32_f32_e32 v10, v1
.LBB111_3548:
	s_or_b32 exec_lo, exec_lo, s1
	s_mov_b32 s1, 0
	s_branch .LBB111_3554
.LBB111_3549:
	s_mov_b32 s1, -1
                                        ; implicit-def: $vgpr10
	s_branch .LBB111_3560
.LBB111_3550:
	s_and_not1_saveexec_b32 s6, s6
	s_cbranch_execz .LBB111_3535
.LBB111_3551:
	v_cmp_ne_u16_e32 vcc_lo, 0, v1
	s_and_not1_b32 s7, s7, exec_lo
	s_and_b32 s8, vcc_lo, exec_lo
	s_delay_alu instid0(SALU_CYCLE_1)
	s_or_b32 s7, s7, s8
	s_or_b32 exec_lo, exec_lo, s6
	v_mov_b32_e32 v10, 0
	s_and_saveexec_b32 s6, s7
	s_cbranch_execnz .LBB111_3536
	s_branch .LBB111_3537
.LBB111_3552:
	s_mov_b32 s1, -1
                                        ; implicit-def: $vgpr10
	s_branch .LBB111_3557
.LBB111_3553:
	s_mov_b32 s1, -1
                                        ; implicit-def: $vgpr10
.LBB111_3554:
	s_delay_alu instid0(SALU_CYCLE_1)
	s_and_b32 vcc_lo, exec_lo, s1
	s_cbranch_vccz .LBB111_3556
; %bb.3555:
	global_load_u8 v1, v[32:33], off
	s_wait_loadcnt 0x0
	v_lshlrev_b32_e32 v1, 24, v1
	s_delay_alu instid0(VALU_DEP_1) | instskip(NEXT) | instid1(VALU_DEP_1)
	v_and_b32_e32 v3, 0x7f000000, v1
	v_clz_i32_u32_e32 v5, v3
	v_add_nc_u32_e32 v9, 0x1000000, v3
	v_cmp_ne_u32_e32 vcc_lo, 0, v3
	s_delay_alu instid0(VALU_DEP_3) | instskip(NEXT) | instid1(VALU_DEP_1)
	v_min_u32_e32 v5, 32, v5
	v_sub_nc_u32_e64 v5, v5, 4 clamp
	s_delay_alu instid0(VALU_DEP_1) | instskip(NEXT) | instid1(VALU_DEP_1)
	v_dual_lshlrev_b32 v7, v5, v3 :: v_dual_lshlrev_b32 v5, 23, v5
	v_lshrrev_b32_e32 v7, 4, v7
	s_delay_alu instid0(VALU_DEP_1) | instskip(SKIP_1) | instid1(VALU_DEP_2)
	v_sub_nc_u32_e32 v5, v7, v5
	v_ashrrev_i32_e32 v7, 8, v9
	v_add_nc_u32_e32 v5, 0x3c000000, v5
	s_delay_alu instid0(VALU_DEP_1) | instskip(NEXT) | instid1(VALU_DEP_1)
	v_and_or_b32 v5, 0x7f800000, v7, v5
	v_cndmask_b32_e32 v3, 0, v5, vcc_lo
	s_delay_alu instid0(VALU_DEP_1) | instskip(NEXT) | instid1(VALU_DEP_1)
	v_and_or_b32 v1, 0x80000000, v1, v3
	v_cvt_i32_f32_e32 v10, v1
.LBB111_3556:
	s_mov_b32 s1, 0
.LBB111_3557:
	s_delay_alu instid0(SALU_CYCLE_1)
	s_and_not1_b32 vcc_lo, exec_lo, s1
	s_cbranch_vccnz .LBB111_3559
; %bb.3558:
	global_load_u8 v1, v[32:33], off
	s_wait_loadcnt 0x0
	v_lshlrev_b32_e32 v3, 25, v1
	v_lshlrev_b16 v1, 8, v1
	s_delay_alu instid0(VALU_DEP_1) | instskip(SKIP_1) | instid1(VALU_DEP_2)
	v_and_or_b32 v7, 0x7f00, v1, 0.5
	v_bfe_i32 v1, v1, 0, 16
	v_add_f32_e32 v7, -0.5, v7
	v_lshrrev_b32_e32 v5, 4, v3
	v_cmp_gt_u32_e32 vcc_lo, 0x8000000, v3
	s_delay_alu instid0(VALU_DEP_2) | instskip(NEXT) | instid1(VALU_DEP_1)
	v_or_b32_e32 v5, 0x70000000, v5
	v_mul_f32_e32 v5, 0x7800000, v5
	s_delay_alu instid0(VALU_DEP_1) | instskip(NEXT) | instid1(VALU_DEP_1)
	v_cndmask_b32_e32 v3, v5, v7, vcc_lo
	v_and_or_b32 v1, 0x80000000, v1, v3
	s_delay_alu instid0(VALU_DEP_1)
	v_cvt_i32_f32_e32 v10, v1
.LBB111_3559:
	s_mov_b32 s1, 0
	s_mov_b32 s6, -1
.LBB111_3560:
	s_and_not1_b32 vcc_lo, exec_lo, s1
	s_mov_b32 s1, 0
	s_cbranch_vccnz .LBB111_3571
; %bb.3561:
	s_cmp_gt_i32 s15, 14
	s_cbranch_scc0 .LBB111_3564
; %bb.3562:
	s_cmp_eq_u32 s15, 15
	s_cbranch_scc0 .LBB111_3567
; %bb.3563:
	global_load_u16 v1, v[32:33], off
	s_mov_b32 s0, 0
	s_mov_b32 s6, -1
	s_wait_loadcnt 0x0
	v_lshlrev_b32_e32 v1, 16, v1
	s_delay_alu instid0(VALU_DEP_1)
	v_cvt_i32_f32_e32 v10, v1
	s_branch .LBB111_3569
.LBB111_3564:
	s_mov_b32 s1, -1
	s_branch .LBB111_3568
.LBB111_3565:
	s_and_not1_saveexec_b32 s1, s1
	s_cbranch_execz .LBB111_3546
.LBB111_3566:
	v_cmp_ne_u16_e32 vcc_lo, 0, v1
	s_and_not1_b32 s6, s6, exec_lo
	s_and_b32 s7, vcc_lo, exec_lo
	s_delay_alu instid0(SALU_CYCLE_1)
	s_or_b32 s6, s6, s7
	s_or_b32 exec_lo, exec_lo, s1
	v_mov_b32_e32 v10, 0
	s_and_saveexec_b32 s1, s6
	s_cbranch_execnz .LBB111_3547
	s_branch .LBB111_3548
.LBB111_3567:
	s_mov_b32 s0, -1
.LBB111_3568:
                                        ; implicit-def: $vgpr10
.LBB111_3569:
	s_and_b32 vcc_lo, exec_lo, s1
	s_mov_b32 s1, 0
	s_cbranch_vccz .LBB111_3571
; %bb.3570:
	s_cmp_lg_u32 s15, 11
	s_mov_b32 s1, -1
	s_cselect_b32 s0, -1, 0
.LBB111_3571:
	s_delay_alu instid0(SALU_CYCLE_1)
	s_and_b32 vcc_lo, exec_lo, s0
	s_cbranch_vccnz .LBB111_4104
; %bb.3572:
	s_and_not1_b32 vcc_lo, exec_lo, s1
	s_cbranch_vccnz .LBB111_3574
.LBB111_3573:
	global_load_u8 v1, v[32:33], off
	s_mov_b32 s6, -1
	s_wait_loadcnt 0x0
	v_cmp_ne_u16_e32 vcc_lo, 0, v1
	v_cndmask_b32_e64 v10, 0, 1, vcc_lo
.LBB111_3574:
	s_mov_b32 s0, 0
.LBB111_3575:
	s_delay_alu instid0(SALU_CYCLE_1)
	s_and_b32 vcc_lo, exec_lo, s0
	s_cbranch_vccz .LBB111_3624
; %bb.3576:
	s_cmp_lt_i32 s15, 5
	s_cbranch_scc1 .LBB111_3581
; %bb.3577:
	s_cmp_lt_i32 s15, 8
	s_cbranch_scc1 .LBB111_3582
	;; [unrolled: 3-line block ×3, first 2 shown]
; %bb.3579:
	s_cmp_gt_i32 s15, 9
	s_cbranch_scc0 .LBB111_3584
; %bb.3580:
	s_wait_loadcnt 0x0
	global_load_b64 v[10:11], v[32:33], off
	s_mov_b32 s0, 0
	s_wait_loadcnt 0x0
	v_cvt_i32_f64_e32 v10, v[10:11]
	s_branch .LBB111_3585
.LBB111_3581:
	s_mov_b32 s0, -1
                                        ; implicit-def: $vgpr10
	s_branch .LBB111_3603
.LBB111_3582:
	s_mov_b32 s0, -1
                                        ; implicit-def: $vgpr10
	s_branch .LBB111_3591
.LBB111_3583:
	s_mov_b32 s0, -1
                                        ; implicit-def: $vgpr10
	s_branch .LBB111_3588
.LBB111_3584:
	s_mov_b32 s0, -1
                                        ; implicit-def: $vgpr10
.LBB111_3585:
	s_delay_alu instid0(SALU_CYCLE_1)
	s_and_not1_b32 vcc_lo, exec_lo, s0
	s_cbranch_vccnz .LBB111_3587
; %bb.3586:
	global_load_b32 v1, v[32:33], off
	s_wait_loadcnt 0x0
	v_cvt_i32_f32_e32 v10, v1
.LBB111_3587:
	s_mov_b32 s0, 0
.LBB111_3588:
	s_delay_alu instid0(SALU_CYCLE_1)
	s_and_not1_b32 vcc_lo, exec_lo, s0
	s_cbranch_vccnz .LBB111_3590
; %bb.3589:
	global_load_b32 v1, v[32:33], off
	s_wait_loadcnt 0x0
	v_cvt_i16_f16_e32 v10, v1
.LBB111_3590:
	s_mov_b32 s0, 0
.LBB111_3591:
	s_delay_alu instid0(SALU_CYCLE_1)
	s_and_not1_b32 vcc_lo, exec_lo, s0
	s_cbranch_vccnz .LBB111_3602
; %bb.3592:
	s_cmp_lt_i32 s15, 6
	s_cbranch_scc1 .LBB111_3595
; %bb.3593:
	s_cmp_gt_i32 s15, 6
	s_cbranch_scc0 .LBB111_3596
; %bb.3594:
	s_wait_loadcnt 0x0
	global_load_b64 v[10:11], v[32:33], off
	s_mov_b32 s0, 0
	s_wait_loadcnt 0x0
	v_cvt_i32_f64_e32 v10, v[10:11]
	s_branch .LBB111_3597
.LBB111_3595:
	s_mov_b32 s0, -1
                                        ; implicit-def: $vgpr10
	s_branch .LBB111_3600
.LBB111_3596:
	s_mov_b32 s0, -1
                                        ; implicit-def: $vgpr10
.LBB111_3597:
	s_delay_alu instid0(SALU_CYCLE_1)
	s_and_not1_b32 vcc_lo, exec_lo, s0
	s_cbranch_vccnz .LBB111_3599
; %bb.3598:
	global_load_b32 v1, v[32:33], off
	s_wait_loadcnt 0x0
	v_cvt_i32_f32_e32 v10, v1
.LBB111_3599:
	s_mov_b32 s0, 0
.LBB111_3600:
	s_delay_alu instid0(SALU_CYCLE_1)
	s_and_not1_b32 vcc_lo, exec_lo, s0
	s_cbranch_vccnz .LBB111_3602
; %bb.3601:
	global_load_u16 v1, v[32:33], off
	s_wait_loadcnt 0x0
	v_cvt_i16_f16_e32 v10, v1
.LBB111_3602:
	s_mov_b32 s0, 0
.LBB111_3603:
	s_delay_alu instid0(SALU_CYCLE_1)
	s_and_not1_b32 vcc_lo, exec_lo, s0
	s_cbranch_vccnz .LBB111_3623
; %bb.3604:
	s_cmp_lt_i32 s15, 2
	s_cbranch_scc1 .LBB111_3608
; %bb.3605:
	s_cmp_lt_i32 s15, 3
	s_cbranch_scc1 .LBB111_3609
; %bb.3606:
	s_cmp_gt_i32 s15, 3
	s_cbranch_scc0 .LBB111_3610
; %bb.3607:
	s_wait_loadcnt 0x0
	global_load_b64 v[10:11], v[32:33], off
	s_mov_b32 s0, 0
	s_branch .LBB111_3611
.LBB111_3608:
	s_mov_b32 s0, -1
                                        ; implicit-def: $vgpr10
	s_branch .LBB111_3617
.LBB111_3609:
	s_mov_b32 s0, -1
                                        ; implicit-def: $vgpr10
	s_branch .LBB111_3614
.LBB111_3610:
	s_mov_b32 s0, -1
                                        ; implicit-def: $vgpr10
.LBB111_3611:
	s_delay_alu instid0(SALU_CYCLE_1)
	s_and_not1_b32 vcc_lo, exec_lo, s0
	s_cbranch_vccnz .LBB111_3613
; %bb.3612:
	s_wait_loadcnt 0x0
	global_load_b32 v10, v[32:33], off
.LBB111_3613:
	s_mov_b32 s0, 0
.LBB111_3614:
	s_delay_alu instid0(SALU_CYCLE_1)
	s_and_not1_b32 vcc_lo, exec_lo, s0
	s_cbranch_vccnz .LBB111_3616
; %bb.3615:
	s_wait_loadcnt 0x0
	global_load_u16 v10, v[32:33], off
.LBB111_3616:
	s_mov_b32 s0, 0
.LBB111_3617:
	s_delay_alu instid0(SALU_CYCLE_1)
	s_and_not1_b32 vcc_lo, exec_lo, s0
	s_cbranch_vccnz .LBB111_3623
; %bb.3618:
	s_cmp_gt_i32 s15, 0
	s_mov_b32 s0, 0
	s_cbranch_scc0 .LBB111_3620
; %bb.3619:
	s_wait_loadcnt 0x0
	global_load_u8 v10, v[32:33], off
	s_branch .LBB111_3621
.LBB111_3620:
	s_mov_b32 s0, -1
                                        ; implicit-def: $vgpr10
.LBB111_3621:
	s_delay_alu instid0(SALU_CYCLE_1)
	s_and_not1_b32 vcc_lo, exec_lo, s0
	s_cbranch_vccnz .LBB111_3623
; %bb.3622:
	s_wait_loadcnt 0x0
	global_load_u8 v10, v[32:33], off
.LBB111_3623:
	s_mov_b32 s6, -1
.LBB111_3624:
	s_delay_alu instid0(SALU_CYCLE_1)
	s_and_not1_b32 vcc_lo, exec_lo, s6
	s_cbranch_vccnz .LBB111_4058
; %bb.3625:
	v_mov_b32_e32 v7, 0
	s_wait_loadcnt 0x0
	v_bfe_i32 v3, v12, 0, 8
	v_bfe_i32 v5, v8, 0, 8
	global_load_u8 v1, v7, s[2:3] offset:489
	s_wait_xcnt 0x0
	v_add_nc_u64_e32 v[6:7], s[4:5], v[6:7]
	v_max_i16 v3, v5, v3
	v_bfe_i32 v5, v18, 0, 8
	s_wait_loadcnt 0x0
	v_and_b32_e32 v8, 0xffff, v1
	v_readfirstlane_b32 s1, v1
	s_delay_alu instid0(VALU_DEP_3) | instskip(NEXT) | instid1(VALU_DEP_3)
	v_min_i16 v1, v3, v5
	v_cmp_gt_i32_e32 vcc_lo, 11, v8
	s_cbranch_vccnz .LBB111_3703
; %bb.3626:
	s_and_b32 s2, 0xffff, s1
	s_mov_b32 s7, -1
	s_mov_b32 s3, 0
	s_cmp_gt_i32 s2, 25
	s_mov_b32 s6, 0
	s_mov_b32 s0, 0
	s_cbranch_scc0 .LBB111_3659
; %bb.3627:
	s_cmp_gt_i32 s2, 28
	s_cbranch_scc0 .LBB111_3642
; %bb.3628:
	s_cmp_gt_i32 s2, 43
	;; [unrolled: 3-line block ×3, first 2 shown]
	s_cbranch_scc0 .LBB111_3632
; %bb.3630:
	s_mov_b32 s0, -1
	s_mov_b32 s7, 0
	s_cmp_eq_u32 s2, 46
	s_cbranch_scc0 .LBB111_3632
; %bb.3631:
	v_bfe_i32 v3, v1, 0, 16
	s_mov_b32 s0, 0
	s_mov_b32 s6, -1
	s_delay_alu instid0(VALU_DEP_1) | instskip(NEXT) | instid1(VALU_DEP_1)
	v_cvt_f32_i32_e32 v3, v3
	v_bfe_u32 v5, v3, 16, 1
	s_delay_alu instid0(VALU_DEP_1) | instskip(NEXT) | instid1(VALU_DEP_1)
	v_add3_u32 v3, v3, v5, 0x7fff
	v_lshrrev_b32_e32 v3, 16, v3
	global_store_b32 v[6:7], v3, off
.LBB111_3632:
	s_and_b32 vcc_lo, exec_lo, s7
	s_cbranch_vccz .LBB111_3637
; %bb.3633:
	s_cmp_eq_u32 s2, 44
	s_mov_b32 s0, -1
	s_cbranch_scc0 .LBB111_3637
; %bb.3634:
	s_wait_xcnt 0x0
	v_bfe_i32 v3, v1, 0, 16
	v_mov_b32_e32 v5, 0xff
	s_mov_b32 s6, exec_lo
	s_delay_alu instid0(VALU_DEP_2) | instskip(NEXT) | instid1(VALU_DEP_1)
	v_cvt_f32_i32_e32 v3, v3
	v_bfe_u32 v8, v3, 23, 8
	s_delay_alu instid0(VALU_DEP_1)
	v_cmpx_ne_u32_e32 0xff, v8
	s_cbranch_execz .LBB111_3636
; %bb.3635:
	v_and_b32_e32 v5, 0x400000, v3
	v_and_or_b32 v8, 0x3fffff, v3, v8
	v_lshrrev_b32_e32 v3, 23, v3
	s_delay_alu instid0(VALU_DEP_3) | instskip(NEXT) | instid1(VALU_DEP_3)
	v_cmp_ne_u32_e32 vcc_lo, 0, v5
	v_cmp_ne_u32_e64 s0, 0, v8
	s_and_b32 s0, vcc_lo, s0
	s_delay_alu instid0(SALU_CYCLE_1) | instskip(NEXT) | instid1(VALU_DEP_1)
	v_cndmask_b32_e64 v5, 0, 1, s0
	v_add_nc_u32_e32 v5, v3, v5
.LBB111_3636:
	s_or_b32 exec_lo, exec_lo, s6
	s_mov_b32 s0, 0
	s_mov_b32 s6, -1
	global_store_b8 v[6:7], v5, off
.LBB111_3637:
	s_mov_b32 s7, 0
.LBB111_3638:
	s_delay_alu instid0(SALU_CYCLE_1)
	s_and_b32 vcc_lo, exec_lo, s7
	s_cbranch_vccz .LBB111_3641
; %bb.3639:
	s_cmp_eq_u32 s2, 29
	s_mov_b32 s0, -1
	s_cbranch_scc0 .LBB111_3641
; %bb.3640:
	v_bfe_i32 v8, v1, 0, 16
	s_mov_b32 s0, 0
	s_mov_b32 s6, -1
	s_delay_alu instid0(VALU_DEP_1)
	v_ashrrev_i32_e32 v9, 31, v8
	global_store_b64 v[6:7], v[8:9], off
.LBB111_3641:
	s_mov_b32 s7, 0
.LBB111_3642:
	s_delay_alu instid0(SALU_CYCLE_1)
	s_and_b32 vcc_lo, exec_lo, s7
	s_cbranch_vccz .LBB111_3658
; %bb.3643:
	s_cmp_lt_i32 s2, 27
	s_mov_b32 s6, -1
	s_cbranch_scc1 .LBB111_3649
; %bb.3644:
	s_cmp_gt_i32 s2, 27
	s_cbranch_scc0 .LBB111_3646
; %bb.3645:
	s_wait_xcnt 0x0
	v_bfe_i32 v3, v1, 0, 16
	s_mov_b32 s6, 0
	global_store_b32 v[6:7], v3, off
.LBB111_3646:
	s_and_not1_b32 vcc_lo, exec_lo, s6
	s_cbranch_vccnz .LBB111_3648
; %bb.3647:
	global_store_b16 v[6:7], v1, off
.LBB111_3648:
	s_mov_b32 s6, 0
.LBB111_3649:
	s_delay_alu instid0(SALU_CYCLE_1)
	s_and_not1_b32 vcc_lo, exec_lo, s6
	s_cbranch_vccnz .LBB111_3657
; %bb.3650:
	s_wait_xcnt 0x0
	v_bfe_i32 v3, v1, 0, 16
	v_mov_b32_e32 v8, 0x80
	s_mov_b32 s6, exec_lo
	s_delay_alu instid0(VALU_DEP_2) | instskip(NEXT) | instid1(VALU_DEP_1)
	v_cvt_f32_i32_e32 v3, v3
	v_and_b32_e32 v5, 0x7fffffff, v3
	s_delay_alu instid0(VALU_DEP_1)
	v_cmpx_gt_u32_e32 0x43800000, v5
	s_cbranch_execz .LBB111_3656
; %bb.3651:
	v_cmp_lt_u32_e32 vcc_lo, 0x3bffffff, v5
	s_mov_b32 s7, 0
                                        ; implicit-def: $vgpr5
	s_and_saveexec_b32 s8, vcc_lo
	s_delay_alu instid0(SALU_CYCLE_1)
	s_xor_b32 s8, exec_lo, s8
	s_cbranch_execz .LBB111_4105
; %bb.3652:
	v_bfe_u32 v5, v3, 20, 1
	s_mov_b32 s7, exec_lo
	s_delay_alu instid0(VALU_DEP_1) | instskip(NEXT) | instid1(VALU_DEP_1)
	v_add3_u32 v5, v3, v5, 0x487ffff
	v_lshrrev_b32_e32 v5, 20, v5
	s_and_not1_saveexec_b32 s8, s8
	s_cbranch_execnz .LBB111_4106
.LBB111_3653:
	s_or_b32 exec_lo, exec_lo, s8
	v_mov_b32_e32 v8, 0
	s_and_saveexec_b32 s8, s7
.LBB111_3654:
	v_lshrrev_b32_e32 v3, 24, v3
	s_delay_alu instid0(VALU_DEP_1)
	v_and_or_b32 v8, 0x80, v3, v5
.LBB111_3655:
	s_or_b32 exec_lo, exec_lo, s8
.LBB111_3656:
	s_delay_alu instid0(SALU_CYCLE_1)
	s_or_b32 exec_lo, exec_lo, s6
	global_store_b8 v[6:7], v8, off
.LBB111_3657:
	s_mov_b32 s6, -1
.LBB111_3658:
	s_mov_b32 s7, 0
.LBB111_3659:
	s_delay_alu instid0(SALU_CYCLE_1)
	s_and_b32 vcc_lo, exec_lo, s7
	s_cbranch_vccz .LBB111_3699
; %bb.3660:
	s_cmp_gt_i32 s2, 22
	s_mov_b32 s3, -1
	s_cbranch_scc0 .LBB111_3692
; %bb.3661:
	s_cmp_lt_i32 s2, 24
	s_cbranch_scc1 .LBB111_3681
; %bb.3662:
	s_cmp_gt_i32 s2, 24
	s_cbranch_scc0 .LBB111_3670
; %bb.3663:
	s_wait_xcnt 0x0
	v_bfe_i32 v3, v1, 0, 16
	v_mov_b32_e32 v8, 0x80
	s_mov_b32 s3, exec_lo
	s_delay_alu instid0(VALU_DEP_2) | instskip(NEXT) | instid1(VALU_DEP_1)
	v_cvt_f32_i32_e32 v3, v3
	v_and_b32_e32 v5, 0x7fffffff, v3
	s_delay_alu instid0(VALU_DEP_1)
	v_cmpx_gt_u32_e32 0x47800000, v5
	s_cbranch_execz .LBB111_3669
; %bb.3664:
	v_cmp_lt_u32_e32 vcc_lo, 0x37ffffff, v5
	s_mov_b32 s6, 0
                                        ; implicit-def: $vgpr5
	s_and_saveexec_b32 s7, vcc_lo
	s_delay_alu instid0(SALU_CYCLE_1)
	s_xor_b32 s7, exec_lo, s7
	s_cbranch_execz .LBB111_4108
; %bb.3665:
	v_bfe_u32 v5, v3, 21, 1
	s_mov_b32 s6, exec_lo
	s_delay_alu instid0(VALU_DEP_1) | instskip(NEXT) | instid1(VALU_DEP_1)
	v_add3_u32 v5, v3, v5, 0x88fffff
	v_lshrrev_b32_e32 v5, 21, v5
	s_and_not1_saveexec_b32 s7, s7
	s_cbranch_execnz .LBB111_4109
.LBB111_3666:
	s_or_b32 exec_lo, exec_lo, s7
	v_mov_b32_e32 v8, 0
	s_and_saveexec_b32 s7, s6
.LBB111_3667:
	v_lshrrev_b32_e32 v3, 24, v3
	s_delay_alu instid0(VALU_DEP_1)
	v_and_or_b32 v8, 0x80, v3, v5
.LBB111_3668:
	s_or_b32 exec_lo, exec_lo, s7
.LBB111_3669:
	s_delay_alu instid0(SALU_CYCLE_1)
	s_or_b32 exec_lo, exec_lo, s3
	s_mov_b32 s3, 0
	global_store_b8 v[6:7], v8, off
.LBB111_3670:
	s_and_b32 vcc_lo, exec_lo, s3
	s_cbranch_vccz .LBB111_3680
; %bb.3671:
	s_wait_xcnt 0x0
	v_bfe_i32 v3, v1, 0, 16
	s_mov_b32 s3, exec_lo
                                        ; implicit-def: $vgpr5
	s_delay_alu instid0(VALU_DEP_1) | instskip(NEXT) | instid1(VALU_DEP_1)
	v_cvt_f32_i32_e32 v3, v3
	v_and_b32_e32 v8, 0x7fffffff, v3
	s_delay_alu instid0(VALU_DEP_1)
	v_cmpx_gt_u32_e32 0x43f00000, v8
	s_xor_b32 s3, exec_lo, s3
	s_cbranch_execz .LBB111_3677
; %bb.3672:
	s_mov_b32 s6, exec_lo
                                        ; implicit-def: $vgpr5
	v_cmpx_lt_u32_e32 0x3c7fffff, v8
	s_xor_b32 s6, exec_lo, s6
; %bb.3673:
	v_bfe_u32 v5, v3, 20, 1
	s_delay_alu instid0(VALU_DEP_1) | instskip(NEXT) | instid1(VALU_DEP_1)
	v_add3_u32 v5, v3, v5, 0x407ffff
	v_and_b32_e32 v8, 0xff00000, v5
	v_lshrrev_b32_e32 v5, 20, v5
	s_delay_alu instid0(VALU_DEP_2) | instskip(NEXT) | instid1(VALU_DEP_2)
	v_cmp_ne_u32_e32 vcc_lo, 0x7f00000, v8
	v_cndmask_b32_e32 v5, 0x7e, v5, vcc_lo
; %bb.3674:
	s_and_not1_saveexec_b32 s6, s6
; %bb.3675:
	v_add_f32_e64 v5, 0x46800000, |v3|
; %bb.3676:
	s_or_b32 exec_lo, exec_lo, s6
                                        ; implicit-def: $vgpr8
.LBB111_3677:
	s_and_not1_saveexec_b32 s3, s3
; %bb.3678:
	v_mov_b32_e32 v5, 0x7f
	v_cmp_lt_u32_e32 vcc_lo, 0x7f800000, v8
	s_delay_alu instid0(VALU_DEP_2)
	v_cndmask_b32_e32 v5, 0x7e, v5, vcc_lo
; %bb.3679:
	s_or_b32 exec_lo, exec_lo, s3
	v_lshrrev_b32_e32 v3, 24, v3
	s_delay_alu instid0(VALU_DEP_1)
	v_and_or_b32 v3, 0x80, v3, v5
	global_store_b8 v[6:7], v3, off
.LBB111_3680:
	s_mov_b32 s3, 0
.LBB111_3681:
	s_delay_alu instid0(SALU_CYCLE_1)
	s_and_not1_b32 vcc_lo, exec_lo, s3
	s_cbranch_vccnz .LBB111_3691
; %bb.3682:
	s_wait_xcnt 0x0
	v_bfe_i32 v3, v1, 0, 16
	s_mov_b32 s3, exec_lo
                                        ; implicit-def: $vgpr5
	s_delay_alu instid0(VALU_DEP_1) | instskip(NEXT) | instid1(VALU_DEP_1)
	v_cvt_f32_i32_e32 v3, v3
	v_and_b32_e32 v8, 0x7fffffff, v3
	s_delay_alu instid0(VALU_DEP_1)
	v_cmpx_gt_u32_e32 0x47800000, v8
	s_xor_b32 s3, exec_lo, s3
	s_cbranch_execz .LBB111_3688
; %bb.3683:
	s_mov_b32 s6, exec_lo
                                        ; implicit-def: $vgpr5
	v_cmpx_lt_u32_e32 0x387fffff, v8
	s_xor_b32 s6, exec_lo, s6
; %bb.3684:
	v_bfe_u32 v5, v3, 21, 1
	s_delay_alu instid0(VALU_DEP_1) | instskip(NEXT) | instid1(VALU_DEP_1)
	v_add3_u32 v5, v3, v5, 0x80fffff
	v_lshrrev_b32_e32 v5, 21, v5
; %bb.3685:
	s_and_not1_saveexec_b32 s6, s6
; %bb.3686:
	v_add_f32_e64 v5, 0x43000000, |v3|
; %bb.3687:
	s_or_b32 exec_lo, exec_lo, s6
                                        ; implicit-def: $vgpr8
.LBB111_3688:
	s_and_not1_saveexec_b32 s3, s3
; %bb.3689:
	v_mov_b32_e32 v5, 0x7f
	v_cmp_lt_u32_e32 vcc_lo, 0x7f800000, v8
	s_delay_alu instid0(VALU_DEP_2)
	v_cndmask_b32_e32 v5, 0x7c, v5, vcc_lo
; %bb.3690:
	s_or_b32 exec_lo, exec_lo, s3
	v_lshrrev_b32_e32 v3, 24, v3
	s_delay_alu instid0(VALU_DEP_1)
	v_and_or_b32 v3, 0x80, v3, v5
	global_store_b8 v[6:7], v3, off
.LBB111_3691:
	s_mov_b32 s3, 0
	s_mov_b32 s6, -1
.LBB111_3692:
	s_and_not1_b32 vcc_lo, exec_lo, s3
	s_mov_b32 s3, 0
	s_cbranch_vccnz .LBB111_3699
; %bb.3693:
	s_cmp_gt_i32 s2, 14
	s_mov_b32 s3, -1
	s_cbranch_scc0 .LBB111_3697
; %bb.3694:
	s_cmp_eq_u32 s2, 15
	s_mov_b32 s0, -1
	s_cbranch_scc0 .LBB111_3696
; %bb.3695:
	s_wait_xcnt 0x0
	v_bfe_i32 v3, v1, 0, 16
	s_mov_b32 s0, 0
	s_mov_b32 s6, -1
	s_delay_alu instid0(VALU_DEP_1) | instskip(NEXT) | instid1(VALU_DEP_1)
	v_cvt_f32_i32_e32 v3, v3
	v_bfe_u32 v5, v3, 16, 1
	s_delay_alu instid0(VALU_DEP_1)
	v_add3_u32 v3, v3, v5, 0x7fff
	global_store_d16_hi_b16 v[6:7], v3, off
.LBB111_3696:
	s_mov_b32 s3, 0
.LBB111_3697:
	s_delay_alu instid0(SALU_CYCLE_1)
	s_and_b32 vcc_lo, exec_lo, s3
	s_mov_b32 s3, 0
	s_cbranch_vccz .LBB111_3699
; %bb.3698:
	s_cmp_lg_u32 s2, 11
	s_mov_b32 s3, -1
	s_cselect_b32 s0, -1, 0
.LBB111_3699:
	s_delay_alu instid0(SALU_CYCLE_1)
	s_and_b32 vcc_lo, exec_lo, s0
	s_cbranch_vccnz .LBB111_4107
; %bb.3700:
	s_and_not1_b32 vcc_lo, exec_lo, s3
	s_cbranch_vccnz .LBB111_3702
.LBB111_3701:
	v_cmp_ne_u16_e32 vcc_lo, 0, v1
	s_mov_b32 s6, -1
	s_wait_xcnt 0x0
	v_cndmask_b32_e64 v3, 0, 1, vcc_lo
	global_store_b8 v[6:7], v3, off
.LBB111_3702:
	s_mov_b32 s0, 0
	s_branch .LBB111_3704
.LBB111_3703:
	s_mov_b32 s0, -1
	s_mov_b32 s6, 0
.LBB111_3704:
	s_and_b32 vcc_lo, exec_lo, s0
	s_cbranch_vccz .LBB111_3743
; %bb.3705:
	s_and_b32 s0, 0xffff, s1
	s_mov_b32 s2, -1
	s_cmp_lt_i32 s0, 5
	s_cbranch_scc1 .LBB111_3726
; %bb.3706:
	s_cmp_lt_i32 s0, 8
	s_cbranch_scc1 .LBB111_3716
; %bb.3707:
	;; [unrolled: 3-line block ×3, first 2 shown]
	s_cmp_gt_i32 s0, 9
	s_cbranch_scc0 .LBB111_3710
; %bb.3709:
	s_wait_xcnt 0x0
	v_bfe_i32 v3, v1, 0, 16
	v_mov_b32_e32 v34, 0
	s_mov_b32 s2, 0
	s_delay_alu instid0(VALU_DEP_2) | instskip(NEXT) | instid1(VALU_DEP_2)
	v_cvt_f64_i32_e32 v[32:33], v3
	v_mov_b32_e32 v35, v34
	global_store_b128 v[6:7], v[32:35], off
.LBB111_3710:
	s_and_not1_b32 vcc_lo, exec_lo, s2
	s_cbranch_vccnz .LBB111_3712
; %bb.3711:
	s_wait_xcnt 0x0
	v_bfe_i32 v3, v1, 0, 16
	v_mov_b32_e32 v9, 0
	s_delay_alu instid0(VALU_DEP_2)
	v_cvt_f32_i32_e32 v8, v3
	global_store_b64 v[6:7], v[8:9], off
.LBB111_3712:
	s_mov_b32 s2, 0
.LBB111_3713:
	s_delay_alu instid0(SALU_CYCLE_1)
	s_and_not1_b32 vcc_lo, exec_lo, s2
	s_cbranch_vccnz .LBB111_3715
; %bb.3714:
	s_wait_xcnt 0x0
	v_cvt_f16_i16_e32 v3, v1
	s_delay_alu instid0(VALU_DEP_1)
	v_and_b32_e32 v3, 0xffff, v3
	global_store_b32 v[6:7], v3, off
.LBB111_3715:
	s_mov_b32 s2, 0
.LBB111_3716:
	s_delay_alu instid0(SALU_CYCLE_1)
	s_and_not1_b32 vcc_lo, exec_lo, s2
	s_cbranch_vccnz .LBB111_3725
; %bb.3717:
	s_cmp_lt_i32 s0, 6
	s_mov_b32 s2, -1
	s_cbranch_scc1 .LBB111_3723
; %bb.3718:
	s_cmp_gt_i32 s0, 6
	s_cbranch_scc0 .LBB111_3720
; %bb.3719:
	s_wait_xcnt 0x0
	v_bfe_i32 v3, v1, 0, 16
	s_mov_b32 s2, 0
	s_delay_alu instid0(VALU_DEP_1)
	v_cvt_f64_i32_e32 v[8:9], v3
	global_store_b64 v[6:7], v[8:9], off
.LBB111_3720:
	s_and_not1_b32 vcc_lo, exec_lo, s2
	s_cbranch_vccnz .LBB111_3722
; %bb.3721:
	s_wait_xcnt 0x0
	v_bfe_i32 v3, v1, 0, 16
	s_delay_alu instid0(VALU_DEP_1)
	v_cvt_f32_i32_e32 v3, v3
	global_store_b32 v[6:7], v3, off
.LBB111_3722:
	s_mov_b32 s2, 0
.LBB111_3723:
	s_delay_alu instid0(SALU_CYCLE_1)
	s_and_not1_b32 vcc_lo, exec_lo, s2
	s_cbranch_vccnz .LBB111_3725
; %bb.3724:
	s_wait_xcnt 0x0
	v_cvt_f16_i16_e32 v3, v1
	global_store_b16 v[6:7], v3, off
.LBB111_3725:
	s_mov_b32 s2, 0
.LBB111_3726:
	s_delay_alu instid0(SALU_CYCLE_1)
	s_and_not1_b32 vcc_lo, exec_lo, s2
	s_cbranch_vccnz .LBB111_3742
; %bb.3727:
	s_cmp_lt_i32 s0, 2
	s_mov_b32 s2, -1
	s_cbranch_scc1 .LBB111_3737
; %bb.3728:
	s_cmp_lt_i32 s0, 3
	s_cbranch_scc1 .LBB111_3734
; %bb.3729:
	s_wait_xcnt 0x0
	v_bfe_i32 v8, v1, 0, 16
	s_cmp_gt_i32 s0, 3
	s_cbranch_scc0 .LBB111_3731
; %bb.3730:
	s_delay_alu instid0(VALU_DEP_1)
	v_ashrrev_i32_e32 v9, 31, v8
	s_mov_b32 s2, 0
	global_store_b64 v[6:7], v[8:9], off
.LBB111_3731:
	s_and_not1_b32 vcc_lo, exec_lo, s2
	s_cbranch_vccnz .LBB111_3733
; %bb.3732:
	global_store_b32 v[6:7], v8, off
.LBB111_3733:
	s_mov_b32 s2, 0
.LBB111_3734:
	s_delay_alu instid0(SALU_CYCLE_1)
	s_and_not1_b32 vcc_lo, exec_lo, s2
	s_cbranch_vccnz .LBB111_3736
; %bb.3735:
	global_store_b16 v[6:7], v1, off
.LBB111_3736:
	s_mov_b32 s2, 0
.LBB111_3737:
	s_delay_alu instid0(SALU_CYCLE_1)
	s_and_not1_b32 vcc_lo, exec_lo, s2
	s_cbranch_vccnz .LBB111_3742
; %bb.3738:
	s_cmp_gt_i32 s0, 0
	s_mov_b32 s0, -1
	s_cbranch_scc0 .LBB111_3740
; %bb.3739:
	s_mov_b32 s0, 0
	global_store_b8 v[6:7], v1, off
.LBB111_3740:
	s_and_not1_b32 vcc_lo, exec_lo, s0
	s_cbranch_vccnz .LBB111_3742
; %bb.3741:
	global_store_b8 v[6:7], v1, off
.LBB111_3742:
	s_mov_b32 s6, -1
.LBB111_3743:
	s_delay_alu instid0(SALU_CYCLE_1)
	s_and_not1_b32 vcc_lo, exec_lo, s6
	s_cbranch_vccnz .LBB111_4058
; %bb.3744:
	s_wait_xcnt 0x0
	v_bfe_i32 v1, v22, 0, 8
	v_bfe_i32 v3, v16, 0, 8
	v_mov_b32_e32 v5, 0
	v_bfe_i32 v6, v28, 0, 8
	s_and_b32 s2, 0xffff, s1
	s_delay_alu instid0(VALU_DEP_3) | instskip(NEXT) | instid1(VALU_DEP_3)
	v_max_i16 v1, v3, v1
	v_add_nc_u64_e32 v[4:5], s[4:5], v[4:5]
	s_cmp_lt_i32 s2, 11
	s_delay_alu instid0(VALU_DEP_2)
	v_min_i16 v1, v1, v6
	s_cbranch_scc1 .LBB111_3822
; %bb.3745:
	s_mov_b32 s7, -1
	s_mov_b32 s3, 0
	s_cmp_gt_i32 s2, 25
	s_mov_b32 s6, 0
	s_mov_b32 s0, 0
	s_cbranch_scc0 .LBB111_3778
; %bb.3746:
	s_cmp_gt_i32 s2, 28
	s_cbranch_scc0 .LBB111_3761
; %bb.3747:
	s_cmp_gt_i32 s2, 43
	;; [unrolled: 3-line block ×3, first 2 shown]
	s_cbranch_scc0 .LBB111_3751
; %bb.3749:
	s_mov_b32 s0, -1
	s_mov_b32 s7, 0
	s_cmp_eq_u32 s2, 46
	s_cbranch_scc0 .LBB111_3751
; %bb.3750:
	v_bfe_i32 v3, v1, 0, 16
	s_mov_b32 s0, 0
	s_mov_b32 s6, -1
	s_delay_alu instid0(VALU_DEP_1) | instskip(NEXT) | instid1(VALU_DEP_1)
	v_cvt_f32_i32_e32 v3, v3
	v_bfe_u32 v6, v3, 16, 1
	s_delay_alu instid0(VALU_DEP_1) | instskip(NEXT) | instid1(VALU_DEP_1)
	v_add3_u32 v3, v3, v6, 0x7fff
	v_lshrrev_b32_e32 v3, 16, v3
	global_store_b32 v[4:5], v3, off
.LBB111_3751:
	s_and_b32 vcc_lo, exec_lo, s7
	s_cbranch_vccz .LBB111_3756
; %bb.3752:
	s_cmp_eq_u32 s2, 44
	s_mov_b32 s0, -1
	s_cbranch_scc0 .LBB111_3756
; %bb.3753:
	s_wait_xcnt 0x0
	v_bfe_i32 v3, v1, 0, 16
	v_mov_b32_e32 v6, 0xff
	s_mov_b32 s6, exec_lo
	s_delay_alu instid0(VALU_DEP_2) | instskip(NEXT) | instid1(VALU_DEP_1)
	v_cvt_f32_i32_e32 v3, v3
	v_bfe_u32 v7, v3, 23, 8
	s_delay_alu instid0(VALU_DEP_1)
	v_cmpx_ne_u32_e32 0xff, v7
	s_cbranch_execz .LBB111_3755
; %bb.3754:
	v_and_b32_e32 v6, 0x400000, v3
	v_and_or_b32 v7, 0x3fffff, v3, v7
	v_lshrrev_b32_e32 v3, 23, v3
	s_delay_alu instid0(VALU_DEP_3) | instskip(NEXT) | instid1(VALU_DEP_3)
	v_cmp_ne_u32_e32 vcc_lo, 0, v6
	v_cmp_ne_u32_e64 s0, 0, v7
	s_and_b32 s0, vcc_lo, s0
	s_delay_alu instid0(SALU_CYCLE_1) | instskip(NEXT) | instid1(VALU_DEP_1)
	v_cndmask_b32_e64 v6, 0, 1, s0
	v_add_nc_u32_e32 v6, v3, v6
.LBB111_3755:
	s_or_b32 exec_lo, exec_lo, s6
	s_mov_b32 s0, 0
	s_mov_b32 s6, -1
	global_store_b8 v[4:5], v6, off
.LBB111_3756:
	s_mov_b32 s7, 0
.LBB111_3757:
	s_delay_alu instid0(SALU_CYCLE_1)
	s_and_b32 vcc_lo, exec_lo, s7
	s_cbranch_vccz .LBB111_3760
; %bb.3758:
	s_cmp_eq_u32 s2, 29
	s_mov_b32 s0, -1
	s_cbranch_scc0 .LBB111_3760
; %bb.3759:
	s_wait_xcnt 0x0
	v_bfe_i32 v6, v1, 0, 16
	s_mov_b32 s0, 0
	s_mov_b32 s6, -1
	s_delay_alu instid0(VALU_DEP_1)
	v_ashrrev_i32_e32 v7, 31, v6
	global_store_b64 v[4:5], v[6:7], off
.LBB111_3760:
	s_mov_b32 s7, 0
.LBB111_3761:
	s_delay_alu instid0(SALU_CYCLE_1)
	s_and_b32 vcc_lo, exec_lo, s7
	s_cbranch_vccz .LBB111_3777
; %bb.3762:
	s_cmp_lt_i32 s2, 27
	s_mov_b32 s6, -1
	s_cbranch_scc1 .LBB111_3768
; %bb.3763:
	s_cmp_gt_i32 s2, 27
	s_cbranch_scc0 .LBB111_3765
; %bb.3764:
	s_wait_xcnt 0x0
	v_bfe_i32 v3, v1, 0, 16
	s_mov_b32 s6, 0
	global_store_b32 v[4:5], v3, off
.LBB111_3765:
	s_and_not1_b32 vcc_lo, exec_lo, s6
	s_cbranch_vccnz .LBB111_3767
; %bb.3766:
	global_store_b16 v[4:5], v1, off
.LBB111_3767:
	s_mov_b32 s6, 0
.LBB111_3768:
	s_delay_alu instid0(SALU_CYCLE_1)
	s_and_not1_b32 vcc_lo, exec_lo, s6
	s_cbranch_vccnz .LBB111_3776
; %bb.3769:
	s_wait_xcnt 0x0
	v_bfe_i32 v3, v1, 0, 16
	v_mov_b32_e32 v7, 0x80
	s_mov_b32 s6, exec_lo
	s_delay_alu instid0(VALU_DEP_2) | instskip(NEXT) | instid1(VALU_DEP_1)
	v_cvt_f32_i32_e32 v3, v3
	v_and_b32_e32 v6, 0x7fffffff, v3
	s_delay_alu instid0(VALU_DEP_1)
	v_cmpx_gt_u32_e32 0x43800000, v6
	s_cbranch_execz .LBB111_3775
; %bb.3770:
	v_cmp_lt_u32_e32 vcc_lo, 0x3bffffff, v6
	s_mov_b32 s7, 0
                                        ; implicit-def: $vgpr6
	s_and_saveexec_b32 s8, vcc_lo
	s_delay_alu instid0(SALU_CYCLE_1)
	s_xor_b32 s8, exec_lo, s8
	s_cbranch_execz .LBB111_4110
; %bb.3771:
	v_bfe_u32 v6, v3, 20, 1
	s_mov_b32 s7, exec_lo
	s_delay_alu instid0(VALU_DEP_1) | instskip(NEXT) | instid1(VALU_DEP_1)
	v_add3_u32 v6, v3, v6, 0x487ffff
	v_lshrrev_b32_e32 v6, 20, v6
	s_and_not1_saveexec_b32 s8, s8
	s_cbranch_execnz .LBB111_4111
.LBB111_3772:
	s_or_b32 exec_lo, exec_lo, s8
	v_mov_b32_e32 v7, 0
	s_and_saveexec_b32 s8, s7
.LBB111_3773:
	v_lshrrev_b32_e32 v3, 24, v3
	s_delay_alu instid0(VALU_DEP_1)
	v_and_or_b32 v7, 0x80, v3, v6
.LBB111_3774:
	s_or_b32 exec_lo, exec_lo, s8
.LBB111_3775:
	s_delay_alu instid0(SALU_CYCLE_1)
	s_or_b32 exec_lo, exec_lo, s6
	global_store_b8 v[4:5], v7, off
.LBB111_3776:
	s_mov_b32 s6, -1
.LBB111_3777:
	s_mov_b32 s7, 0
.LBB111_3778:
	s_delay_alu instid0(SALU_CYCLE_1)
	s_and_b32 vcc_lo, exec_lo, s7
	s_cbranch_vccz .LBB111_3818
; %bb.3779:
	s_cmp_gt_i32 s2, 22
	s_mov_b32 s3, -1
	s_cbranch_scc0 .LBB111_3811
; %bb.3780:
	s_cmp_lt_i32 s2, 24
	s_cbranch_scc1 .LBB111_3800
; %bb.3781:
	s_cmp_gt_i32 s2, 24
	s_cbranch_scc0 .LBB111_3789
; %bb.3782:
	s_wait_xcnt 0x0
	v_bfe_i32 v3, v1, 0, 16
	v_mov_b32_e32 v7, 0x80
	s_mov_b32 s3, exec_lo
	s_delay_alu instid0(VALU_DEP_2) | instskip(NEXT) | instid1(VALU_DEP_1)
	v_cvt_f32_i32_e32 v3, v3
	v_and_b32_e32 v6, 0x7fffffff, v3
	s_delay_alu instid0(VALU_DEP_1)
	v_cmpx_gt_u32_e32 0x47800000, v6
	s_cbranch_execz .LBB111_3788
; %bb.3783:
	v_cmp_lt_u32_e32 vcc_lo, 0x37ffffff, v6
	s_mov_b32 s6, 0
                                        ; implicit-def: $vgpr6
	s_and_saveexec_b32 s7, vcc_lo
	s_delay_alu instid0(SALU_CYCLE_1)
	s_xor_b32 s7, exec_lo, s7
	s_cbranch_execz .LBB111_4113
; %bb.3784:
	v_bfe_u32 v6, v3, 21, 1
	s_mov_b32 s6, exec_lo
	s_delay_alu instid0(VALU_DEP_1) | instskip(NEXT) | instid1(VALU_DEP_1)
	v_add3_u32 v6, v3, v6, 0x88fffff
	v_lshrrev_b32_e32 v6, 21, v6
	s_and_not1_saveexec_b32 s7, s7
	s_cbranch_execnz .LBB111_4114
.LBB111_3785:
	s_or_b32 exec_lo, exec_lo, s7
	v_mov_b32_e32 v7, 0
	s_and_saveexec_b32 s7, s6
.LBB111_3786:
	v_lshrrev_b32_e32 v3, 24, v3
	s_delay_alu instid0(VALU_DEP_1)
	v_and_or_b32 v7, 0x80, v3, v6
.LBB111_3787:
	s_or_b32 exec_lo, exec_lo, s7
.LBB111_3788:
	s_delay_alu instid0(SALU_CYCLE_1)
	s_or_b32 exec_lo, exec_lo, s3
	s_mov_b32 s3, 0
	global_store_b8 v[4:5], v7, off
.LBB111_3789:
	s_and_b32 vcc_lo, exec_lo, s3
	s_cbranch_vccz .LBB111_3799
; %bb.3790:
	s_wait_xcnt 0x0
	v_bfe_i32 v3, v1, 0, 16
	s_mov_b32 s3, exec_lo
                                        ; implicit-def: $vgpr6
	s_delay_alu instid0(VALU_DEP_1) | instskip(NEXT) | instid1(VALU_DEP_1)
	v_cvt_f32_i32_e32 v3, v3
	v_and_b32_e32 v7, 0x7fffffff, v3
	s_delay_alu instid0(VALU_DEP_1)
	v_cmpx_gt_u32_e32 0x43f00000, v7
	s_xor_b32 s3, exec_lo, s3
	s_cbranch_execz .LBB111_3796
; %bb.3791:
	s_mov_b32 s6, exec_lo
                                        ; implicit-def: $vgpr6
	v_cmpx_lt_u32_e32 0x3c7fffff, v7
	s_xor_b32 s6, exec_lo, s6
; %bb.3792:
	v_bfe_u32 v6, v3, 20, 1
	s_delay_alu instid0(VALU_DEP_1) | instskip(NEXT) | instid1(VALU_DEP_1)
	v_add3_u32 v6, v3, v6, 0x407ffff
	v_and_b32_e32 v7, 0xff00000, v6
	v_lshrrev_b32_e32 v6, 20, v6
	s_delay_alu instid0(VALU_DEP_2) | instskip(NEXT) | instid1(VALU_DEP_2)
	v_cmp_ne_u32_e32 vcc_lo, 0x7f00000, v7
	v_cndmask_b32_e32 v6, 0x7e, v6, vcc_lo
; %bb.3793:
	s_and_not1_saveexec_b32 s6, s6
; %bb.3794:
	v_add_f32_e64 v6, 0x46800000, |v3|
; %bb.3795:
	s_or_b32 exec_lo, exec_lo, s6
                                        ; implicit-def: $vgpr7
.LBB111_3796:
	s_and_not1_saveexec_b32 s3, s3
; %bb.3797:
	v_mov_b32_e32 v6, 0x7f
	v_cmp_lt_u32_e32 vcc_lo, 0x7f800000, v7
	s_delay_alu instid0(VALU_DEP_2)
	v_cndmask_b32_e32 v6, 0x7e, v6, vcc_lo
; %bb.3798:
	s_or_b32 exec_lo, exec_lo, s3
	v_lshrrev_b32_e32 v3, 24, v3
	s_delay_alu instid0(VALU_DEP_1)
	v_and_or_b32 v3, 0x80, v3, v6
	global_store_b8 v[4:5], v3, off
.LBB111_3799:
	s_mov_b32 s3, 0
.LBB111_3800:
	s_delay_alu instid0(SALU_CYCLE_1)
	s_and_not1_b32 vcc_lo, exec_lo, s3
	s_cbranch_vccnz .LBB111_3810
; %bb.3801:
	s_wait_xcnt 0x0
	v_bfe_i32 v3, v1, 0, 16
	s_mov_b32 s3, exec_lo
                                        ; implicit-def: $vgpr6
	s_delay_alu instid0(VALU_DEP_1) | instskip(NEXT) | instid1(VALU_DEP_1)
	v_cvt_f32_i32_e32 v3, v3
	v_and_b32_e32 v7, 0x7fffffff, v3
	s_delay_alu instid0(VALU_DEP_1)
	v_cmpx_gt_u32_e32 0x47800000, v7
	s_xor_b32 s3, exec_lo, s3
	s_cbranch_execz .LBB111_3807
; %bb.3802:
	s_mov_b32 s6, exec_lo
                                        ; implicit-def: $vgpr6
	v_cmpx_lt_u32_e32 0x387fffff, v7
	s_xor_b32 s6, exec_lo, s6
; %bb.3803:
	v_bfe_u32 v6, v3, 21, 1
	s_delay_alu instid0(VALU_DEP_1) | instskip(NEXT) | instid1(VALU_DEP_1)
	v_add3_u32 v6, v3, v6, 0x80fffff
	v_lshrrev_b32_e32 v6, 21, v6
; %bb.3804:
	s_and_not1_saveexec_b32 s6, s6
; %bb.3805:
	v_add_f32_e64 v6, 0x43000000, |v3|
; %bb.3806:
	s_or_b32 exec_lo, exec_lo, s6
                                        ; implicit-def: $vgpr7
.LBB111_3807:
	s_and_not1_saveexec_b32 s3, s3
; %bb.3808:
	v_mov_b32_e32 v6, 0x7f
	v_cmp_lt_u32_e32 vcc_lo, 0x7f800000, v7
	s_delay_alu instid0(VALU_DEP_2)
	v_cndmask_b32_e32 v6, 0x7c, v6, vcc_lo
; %bb.3809:
	s_or_b32 exec_lo, exec_lo, s3
	v_lshrrev_b32_e32 v3, 24, v3
	s_delay_alu instid0(VALU_DEP_1)
	v_and_or_b32 v3, 0x80, v3, v6
	global_store_b8 v[4:5], v3, off
.LBB111_3810:
	s_mov_b32 s3, 0
	s_mov_b32 s6, -1
.LBB111_3811:
	s_and_not1_b32 vcc_lo, exec_lo, s3
	s_mov_b32 s3, 0
	s_cbranch_vccnz .LBB111_3818
; %bb.3812:
	s_cmp_gt_i32 s2, 14
	s_mov_b32 s3, -1
	s_cbranch_scc0 .LBB111_3816
; %bb.3813:
	s_cmp_eq_u32 s2, 15
	s_mov_b32 s0, -1
	s_cbranch_scc0 .LBB111_3815
; %bb.3814:
	s_wait_xcnt 0x0
	v_bfe_i32 v3, v1, 0, 16
	s_mov_b32 s0, 0
	s_mov_b32 s6, -1
	s_delay_alu instid0(VALU_DEP_1) | instskip(NEXT) | instid1(VALU_DEP_1)
	v_cvt_f32_i32_e32 v3, v3
	v_bfe_u32 v6, v3, 16, 1
	s_delay_alu instid0(VALU_DEP_1)
	v_add3_u32 v3, v3, v6, 0x7fff
	global_store_d16_hi_b16 v[4:5], v3, off
.LBB111_3815:
	s_mov_b32 s3, 0
.LBB111_3816:
	s_delay_alu instid0(SALU_CYCLE_1)
	s_and_b32 vcc_lo, exec_lo, s3
	s_mov_b32 s3, 0
	s_cbranch_vccz .LBB111_3818
; %bb.3817:
	s_cmp_lg_u32 s2, 11
	s_mov_b32 s3, -1
	s_cselect_b32 s0, -1, 0
.LBB111_3818:
	s_delay_alu instid0(SALU_CYCLE_1)
	s_and_b32 vcc_lo, exec_lo, s0
	s_cbranch_vccnz .LBB111_4112
; %bb.3819:
	s_and_not1_b32 vcc_lo, exec_lo, s3
	s_cbranch_vccnz .LBB111_3821
.LBB111_3820:
	v_cmp_ne_u16_e32 vcc_lo, 0, v1
	s_mov_b32 s6, -1
	s_wait_xcnt 0x0
	v_cndmask_b32_e64 v3, 0, 1, vcc_lo
	global_store_b8 v[4:5], v3, off
.LBB111_3821:
	s_mov_b32 s0, 0
	s_branch .LBB111_3823
.LBB111_3822:
	s_mov_b32 s0, -1
	s_mov_b32 s6, 0
.LBB111_3823:
	s_and_b32 vcc_lo, exec_lo, s0
	s_cbranch_vccz .LBB111_3862
; %bb.3824:
	s_cmp_lt_i32 s2, 5
	s_mov_b32 s0, -1
	s_cbranch_scc1 .LBB111_3845
; %bb.3825:
	s_cmp_lt_i32 s2, 8
	s_cbranch_scc1 .LBB111_3835
; %bb.3826:
	s_cmp_lt_i32 s2, 9
	s_cbranch_scc1 .LBB111_3832
; %bb.3827:
	s_cmp_gt_i32 s2, 9
	s_cbranch_scc0 .LBB111_3829
; %bb.3828:
	s_wait_xcnt 0x0
	v_bfe_i32 v3, v1, 0, 16
	v_mov_b32_e32 v8, 0
	s_mov_b32 s0, 0
	s_delay_alu instid0(VALU_DEP_2) | instskip(NEXT) | instid1(VALU_DEP_2)
	v_cvt_f64_i32_e32 v[6:7], v3
	v_mov_b32_e32 v9, v8
	global_store_b128 v[4:5], v[6:9], off
.LBB111_3829:
	s_and_not1_b32 vcc_lo, exec_lo, s0
	s_cbranch_vccnz .LBB111_3831
; %bb.3830:
	s_wait_xcnt 0x0
	v_bfe_i32 v3, v1, 0, 16
	v_mov_b32_e32 v7, 0
	s_delay_alu instid0(VALU_DEP_2)
	v_cvt_f32_i32_e32 v6, v3
	global_store_b64 v[4:5], v[6:7], off
.LBB111_3831:
	s_mov_b32 s0, 0
.LBB111_3832:
	s_delay_alu instid0(SALU_CYCLE_1)
	s_and_not1_b32 vcc_lo, exec_lo, s0
	s_cbranch_vccnz .LBB111_3834
; %bb.3833:
	s_wait_xcnt 0x0
	v_cvt_f16_i16_e32 v3, v1
	s_delay_alu instid0(VALU_DEP_1)
	v_and_b32_e32 v3, 0xffff, v3
	global_store_b32 v[4:5], v3, off
.LBB111_3834:
	s_mov_b32 s0, 0
.LBB111_3835:
	s_delay_alu instid0(SALU_CYCLE_1)
	s_and_not1_b32 vcc_lo, exec_lo, s0
	s_cbranch_vccnz .LBB111_3844
; %bb.3836:
	s_cmp_lt_i32 s2, 6
	s_mov_b32 s0, -1
	s_cbranch_scc1 .LBB111_3842
; %bb.3837:
	s_cmp_gt_i32 s2, 6
	s_cbranch_scc0 .LBB111_3839
; %bb.3838:
	s_wait_xcnt 0x0
	v_bfe_i32 v3, v1, 0, 16
	s_mov_b32 s0, 0
	s_delay_alu instid0(VALU_DEP_1)
	v_cvt_f64_i32_e32 v[6:7], v3
	global_store_b64 v[4:5], v[6:7], off
.LBB111_3839:
	s_and_not1_b32 vcc_lo, exec_lo, s0
	s_cbranch_vccnz .LBB111_3841
; %bb.3840:
	s_wait_xcnt 0x0
	v_bfe_i32 v3, v1, 0, 16
	s_delay_alu instid0(VALU_DEP_1)
	v_cvt_f32_i32_e32 v3, v3
	global_store_b32 v[4:5], v3, off
.LBB111_3841:
	s_mov_b32 s0, 0
.LBB111_3842:
	s_delay_alu instid0(SALU_CYCLE_1)
	s_and_not1_b32 vcc_lo, exec_lo, s0
	s_cbranch_vccnz .LBB111_3844
; %bb.3843:
	s_wait_xcnt 0x0
	v_cvt_f16_i16_e32 v3, v1
	global_store_b16 v[4:5], v3, off
.LBB111_3844:
	s_mov_b32 s0, 0
.LBB111_3845:
	s_delay_alu instid0(SALU_CYCLE_1)
	s_and_not1_b32 vcc_lo, exec_lo, s0
	s_cbranch_vccnz .LBB111_3861
; %bb.3846:
	s_cmp_lt_i32 s2, 2
	s_mov_b32 s0, -1
	s_cbranch_scc1 .LBB111_3856
; %bb.3847:
	s_cmp_lt_i32 s2, 3
	s_cbranch_scc1 .LBB111_3853
; %bb.3848:
	s_cmp_gt_i32 s2, 3
	s_cbranch_scc0 .LBB111_3850
; %bb.3849:
	s_wait_xcnt 0x0
	v_bfe_i32 v6, v1, 0, 16
	s_mov_b32 s0, 0
	s_delay_alu instid0(VALU_DEP_1)
	v_ashrrev_i32_e32 v7, 31, v6
	global_store_b64 v[4:5], v[6:7], off
.LBB111_3850:
	s_and_not1_b32 vcc_lo, exec_lo, s0
	s_cbranch_vccnz .LBB111_3852
; %bb.3851:
	s_wait_xcnt 0x0
	v_bfe_i32 v3, v1, 0, 16
	global_store_b32 v[4:5], v3, off
.LBB111_3852:
	s_mov_b32 s0, 0
.LBB111_3853:
	s_delay_alu instid0(SALU_CYCLE_1)
	s_and_not1_b32 vcc_lo, exec_lo, s0
	s_cbranch_vccnz .LBB111_3855
; %bb.3854:
	global_store_b16 v[4:5], v1, off
.LBB111_3855:
	s_mov_b32 s0, 0
.LBB111_3856:
	s_delay_alu instid0(SALU_CYCLE_1)
	s_and_not1_b32 vcc_lo, exec_lo, s0
	s_cbranch_vccnz .LBB111_3861
; %bb.3857:
	s_cmp_gt_i32 s2, 0
	s_mov_b32 s0, -1
	s_cbranch_scc0 .LBB111_3859
; %bb.3858:
	s_mov_b32 s0, 0
	global_store_b8 v[4:5], v1, off
.LBB111_3859:
	s_and_not1_b32 vcc_lo, exec_lo, s0
	s_cbranch_vccnz .LBB111_3861
; %bb.3860:
	global_store_b8 v[4:5], v1, off
.LBB111_3861:
	s_mov_b32 s6, -1
.LBB111_3862:
	s_delay_alu instid0(SALU_CYCLE_1)
	s_and_not1_b32 vcc_lo, exec_lo, s6
	s_cbranch_vccnz .LBB111_4058
; %bb.3863:
	s_wait_xcnt 0x0
	v_bfe_i32 v1, v30, 0, 8
	v_bfe_i32 v4, v26, 0, 8
	v_mov_b32_e32 v3, 0
	s_cmp_lt_i32 s2, 11
	s_delay_alu instid0(VALU_DEP_2) | instskip(SKIP_1) | instid1(VALU_DEP_3)
	v_max_i16 v1, v4, v1
	v_bfe_i32 v4, v24, 0, 8
	v_add_nc_u64_e32 v[2:3], s[4:5], v[2:3]
	s_delay_alu instid0(VALU_DEP_2)
	v_min_i16 v1, v1, v4
	s_cbranch_scc1 .LBB111_3941
; %bb.3864:
	s_mov_b32 s7, -1
	s_mov_b32 s3, 0
	s_cmp_gt_i32 s2, 25
	s_mov_b32 s6, 0
	s_mov_b32 s0, 0
	s_cbranch_scc0 .LBB111_3897
; %bb.3865:
	s_cmp_gt_i32 s2, 28
	s_cbranch_scc0 .LBB111_3880
; %bb.3866:
	s_cmp_gt_i32 s2, 43
	;; [unrolled: 3-line block ×3, first 2 shown]
	s_cbranch_scc0 .LBB111_3870
; %bb.3868:
	s_mov_b32 s0, -1
	s_mov_b32 s7, 0
	s_cmp_eq_u32 s2, 46
	s_cbranch_scc0 .LBB111_3870
; %bb.3869:
	v_bfe_i32 v4, v1, 0, 16
	s_mov_b32 s0, 0
	s_mov_b32 s6, -1
	s_delay_alu instid0(VALU_DEP_1) | instskip(NEXT) | instid1(VALU_DEP_1)
	v_cvt_f32_i32_e32 v4, v4
	v_bfe_u32 v5, v4, 16, 1
	s_delay_alu instid0(VALU_DEP_1) | instskip(NEXT) | instid1(VALU_DEP_1)
	v_add3_u32 v4, v4, v5, 0x7fff
	v_lshrrev_b32_e32 v4, 16, v4
	global_store_b32 v[2:3], v4, off
.LBB111_3870:
	s_and_b32 vcc_lo, exec_lo, s7
	s_cbranch_vccz .LBB111_3875
; %bb.3871:
	s_cmp_eq_u32 s2, 44
	s_mov_b32 s0, -1
	s_cbranch_scc0 .LBB111_3875
; %bb.3872:
	s_wait_xcnt 0x0
	v_bfe_i32 v4, v1, 0, 16
	v_mov_b32_e32 v5, 0xff
	s_mov_b32 s6, exec_lo
	s_delay_alu instid0(VALU_DEP_2) | instskip(NEXT) | instid1(VALU_DEP_1)
	v_cvt_f32_i32_e32 v4, v4
	v_bfe_u32 v6, v4, 23, 8
	s_delay_alu instid0(VALU_DEP_1)
	v_cmpx_ne_u32_e32 0xff, v6
	s_cbranch_execz .LBB111_3874
; %bb.3873:
	v_and_b32_e32 v5, 0x400000, v4
	v_and_or_b32 v6, 0x3fffff, v4, v6
	v_lshrrev_b32_e32 v4, 23, v4
	s_delay_alu instid0(VALU_DEP_3) | instskip(NEXT) | instid1(VALU_DEP_3)
	v_cmp_ne_u32_e32 vcc_lo, 0, v5
	v_cmp_ne_u32_e64 s0, 0, v6
	s_and_b32 s0, vcc_lo, s0
	s_delay_alu instid0(SALU_CYCLE_1) | instskip(NEXT) | instid1(VALU_DEP_1)
	v_cndmask_b32_e64 v5, 0, 1, s0
	v_add_nc_u32_e32 v5, v4, v5
.LBB111_3874:
	s_or_b32 exec_lo, exec_lo, s6
	s_mov_b32 s0, 0
	s_mov_b32 s6, -1
	global_store_b8 v[2:3], v5, off
.LBB111_3875:
	s_mov_b32 s7, 0
.LBB111_3876:
	s_delay_alu instid0(SALU_CYCLE_1)
	s_and_b32 vcc_lo, exec_lo, s7
	s_cbranch_vccz .LBB111_3879
; %bb.3877:
	s_cmp_eq_u32 s2, 29
	s_mov_b32 s0, -1
	s_cbranch_scc0 .LBB111_3879
; %bb.3878:
	s_wait_xcnt 0x0
	v_bfe_i32 v4, v1, 0, 16
	s_mov_b32 s0, 0
	s_mov_b32 s6, -1
	s_delay_alu instid0(VALU_DEP_1)
	v_ashrrev_i32_e32 v5, 31, v4
	global_store_b64 v[2:3], v[4:5], off
.LBB111_3879:
	s_mov_b32 s7, 0
.LBB111_3880:
	s_delay_alu instid0(SALU_CYCLE_1)
	s_and_b32 vcc_lo, exec_lo, s7
	s_cbranch_vccz .LBB111_3896
; %bb.3881:
	s_cmp_lt_i32 s2, 27
	s_mov_b32 s6, -1
	s_cbranch_scc1 .LBB111_3887
; %bb.3882:
	s_cmp_gt_i32 s2, 27
	s_cbranch_scc0 .LBB111_3884
; %bb.3883:
	s_wait_xcnt 0x0
	v_bfe_i32 v4, v1, 0, 16
	s_mov_b32 s6, 0
	global_store_b32 v[2:3], v4, off
.LBB111_3884:
	s_and_not1_b32 vcc_lo, exec_lo, s6
	s_cbranch_vccnz .LBB111_3886
; %bb.3885:
	global_store_b16 v[2:3], v1, off
.LBB111_3886:
	s_mov_b32 s6, 0
.LBB111_3887:
	s_delay_alu instid0(SALU_CYCLE_1)
	s_and_not1_b32 vcc_lo, exec_lo, s6
	s_cbranch_vccnz .LBB111_3895
; %bb.3888:
	s_wait_xcnt 0x0
	v_bfe_i32 v4, v1, 0, 16
	v_mov_b32_e32 v6, 0x80
	s_mov_b32 s6, exec_lo
	s_delay_alu instid0(VALU_DEP_2) | instskip(NEXT) | instid1(VALU_DEP_1)
	v_cvt_f32_i32_e32 v4, v4
	v_and_b32_e32 v5, 0x7fffffff, v4
	s_delay_alu instid0(VALU_DEP_1)
	v_cmpx_gt_u32_e32 0x43800000, v5
	s_cbranch_execz .LBB111_3894
; %bb.3889:
	v_cmp_lt_u32_e32 vcc_lo, 0x3bffffff, v5
	s_mov_b32 s7, 0
                                        ; implicit-def: $vgpr5
	s_and_saveexec_b32 s8, vcc_lo
	s_delay_alu instid0(SALU_CYCLE_1)
	s_xor_b32 s8, exec_lo, s8
	s_cbranch_execz .LBB111_4115
; %bb.3890:
	v_bfe_u32 v5, v4, 20, 1
	s_mov_b32 s7, exec_lo
	s_delay_alu instid0(VALU_DEP_1) | instskip(NEXT) | instid1(VALU_DEP_1)
	v_add3_u32 v5, v4, v5, 0x487ffff
	v_lshrrev_b32_e32 v5, 20, v5
	s_and_not1_saveexec_b32 s8, s8
	s_cbranch_execnz .LBB111_4116
.LBB111_3891:
	s_or_b32 exec_lo, exec_lo, s8
	v_mov_b32_e32 v6, 0
	s_and_saveexec_b32 s8, s7
.LBB111_3892:
	v_lshrrev_b32_e32 v4, 24, v4
	s_delay_alu instid0(VALU_DEP_1)
	v_and_or_b32 v6, 0x80, v4, v5
.LBB111_3893:
	s_or_b32 exec_lo, exec_lo, s8
.LBB111_3894:
	s_delay_alu instid0(SALU_CYCLE_1)
	s_or_b32 exec_lo, exec_lo, s6
	global_store_b8 v[2:3], v6, off
.LBB111_3895:
	s_mov_b32 s6, -1
.LBB111_3896:
	s_mov_b32 s7, 0
.LBB111_3897:
	s_delay_alu instid0(SALU_CYCLE_1)
	s_and_b32 vcc_lo, exec_lo, s7
	s_cbranch_vccz .LBB111_3937
; %bb.3898:
	s_cmp_gt_i32 s2, 22
	s_mov_b32 s3, -1
	s_cbranch_scc0 .LBB111_3930
; %bb.3899:
	s_cmp_lt_i32 s2, 24
	s_cbranch_scc1 .LBB111_3919
; %bb.3900:
	s_cmp_gt_i32 s2, 24
	s_cbranch_scc0 .LBB111_3908
; %bb.3901:
	s_wait_xcnt 0x0
	v_bfe_i32 v4, v1, 0, 16
	v_mov_b32_e32 v6, 0x80
	s_mov_b32 s3, exec_lo
	s_delay_alu instid0(VALU_DEP_2) | instskip(NEXT) | instid1(VALU_DEP_1)
	v_cvt_f32_i32_e32 v4, v4
	v_and_b32_e32 v5, 0x7fffffff, v4
	s_delay_alu instid0(VALU_DEP_1)
	v_cmpx_gt_u32_e32 0x47800000, v5
	s_cbranch_execz .LBB111_3907
; %bb.3902:
	v_cmp_lt_u32_e32 vcc_lo, 0x37ffffff, v5
	s_mov_b32 s6, 0
                                        ; implicit-def: $vgpr5
	s_and_saveexec_b32 s7, vcc_lo
	s_delay_alu instid0(SALU_CYCLE_1)
	s_xor_b32 s7, exec_lo, s7
	s_cbranch_execz .LBB111_4118
; %bb.3903:
	v_bfe_u32 v5, v4, 21, 1
	s_mov_b32 s6, exec_lo
	s_delay_alu instid0(VALU_DEP_1) | instskip(NEXT) | instid1(VALU_DEP_1)
	v_add3_u32 v5, v4, v5, 0x88fffff
	v_lshrrev_b32_e32 v5, 21, v5
	s_and_not1_saveexec_b32 s7, s7
	s_cbranch_execnz .LBB111_4119
.LBB111_3904:
	s_or_b32 exec_lo, exec_lo, s7
	v_mov_b32_e32 v6, 0
	s_and_saveexec_b32 s7, s6
.LBB111_3905:
	v_lshrrev_b32_e32 v4, 24, v4
	s_delay_alu instid0(VALU_DEP_1)
	v_and_or_b32 v6, 0x80, v4, v5
.LBB111_3906:
	s_or_b32 exec_lo, exec_lo, s7
.LBB111_3907:
	s_delay_alu instid0(SALU_CYCLE_1)
	s_or_b32 exec_lo, exec_lo, s3
	s_mov_b32 s3, 0
	global_store_b8 v[2:3], v6, off
.LBB111_3908:
	s_and_b32 vcc_lo, exec_lo, s3
	s_cbranch_vccz .LBB111_3918
; %bb.3909:
	s_wait_xcnt 0x0
	v_bfe_i32 v4, v1, 0, 16
	s_mov_b32 s3, exec_lo
                                        ; implicit-def: $vgpr5
	s_delay_alu instid0(VALU_DEP_1) | instskip(NEXT) | instid1(VALU_DEP_1)
	v_cvt_f32_i32_e32 v4, v4
	v_and_b32_e32 v6, 0x7fffffff, v4
	s_delay_alu instid0(VALU_DEP_1)
	v_cmpx_gt_u32_e32 0x43f00000, v6
	s_xor_b32 s3, exec_lo, s3
	s_cbranch_execz .LBB111_3915
; %bb.3910:
	s_mov_b32 s6, exec_lo
                                        ; implicit-def: $vgpr5
	v_cmpx_lt_u32_e32 0x3c7fffff, v6
	s_xor_b32 s6, exec_lo, s6
; %bb.3911:
	v_bfe_u32 v5, v4, 20, 1
	s_delay_alu instid0(VALU_DEP_1) | instskip(NEXT) | instid1(VALU_DEP_1)
	v_add3_u32 v5, v4, v5, 0x407ffff
	v_and_b32_e32 v6, 0xff00000, v5
	v_lshrrev_b32_e32 v5, 20, v5
	s_delay_alu instid0(VALU_DEP_2) | instskip(NEXT) | instid1(VALU_DEP_2)
	v_cmp_ne_u32_e32 vcc_lo, 0x7f00000, v6
	v_cndmask_b32_e32 v5, 0x7e, v5, vcc_lo
; %bb.3912:
	s_and_not1_saveexec_b32 s6, s6
; %bb.3913:
	v_add_f32_e64 v5, 0x46800000, |v4|
; %bb.3914:
	s_or_b32 exec_lo, exec_lo, s6
                                        ; implicit-def: $vgpr6
.LBB111_3915:
	s_and_not1_saveexec_b32 s3, s3
; %bb.3916:
	v_mov_b32_e32 v5, 0x7f
	v_cmp_lt_u32_e32 vcc_lo, 0x7f800000, v6
	s_delay_alu instid0(VALU_DEP_2)
	v_cndmask_b32_e32 v5, 0x7e, v5, vcc_lo
; %bb.3917:
	s_or_b32 exec_lo, exec_lo, s3
	v_lshrrev_b32_e32 v4, 24, v4
	s_delay_alu instid0(VALU_DEP_1)
	v_and_or_b32 v4, 0x80, v4, v5
	global_store_b8 v[2:3], v4, off
.LBB111_3918:
	s_mov_b32 s3, 0
.LBB111_3919:
	s_delay_alu instid0(SALU_CYCLE_1)
	s_and_not1_b32 vcc_lo, exec_lo, s3
	s_cbranch_vccnz .LBB111_3929
; %bb.3920:
	s_wait_xcnt 0x0
	v_bfe_i32 v4, v1, 0, 16
	s_mov_b32 s3, exec_lo
                                        ; implicit-def: $vgpr5
	s_delay_alu instid0(VALU_DEP_1) | instskip(NEXT) | instid1(VALU_DEP_1)
	v_cvt_f32_i32_e32 v4, v4
	v_and_b32_e32 v6, 0x7fffffff, v4
	s_delay_alu instid0(VALU_DEP_1)
	v_cmpx_gt_u32_e32 0x47800000, v6
	s_xor_b32 s3, exec_lo, s3
	s_cbranch_execz .LBB111_3926
; %bb.3921:
	s_mov_b32 s6, exec_lo
                                        ; implicit-def: $vgpr5
	v_cmpx_lt_u32_e32 0x387fffff, v6
	s_xor_b32 s6, exec_lo, s6
; %bb.3922:
	v_bfe_u32 v5, v4, 21, 1
	s_delay_alu instid0(VALU_DEP_1) | instskip(NEXT) | instid1(VALU_DEP_1)
	v_add3_u32 v5, v4, v5, 0x80fffff
	v_lshrrev_b32_e32 v5, 21, v5
; %bb.3923:
	s_and_not1_saveexec_b32 s6, s6
; %bb.3924:
	v_add_f32_e64 v5, 0x43000000, |v4|
; %bb.3925:
	s_or_b32 exec_lo, exec_lo, s6
                                        ; implicit-def: $vgpr6
.LBB111_3926:
	s_and_not1_saveexec_b32 s3, s3
; %bb.3927:
	v_mov_b32_e32 v5, 0x7f
	v_cmp_lt_u32_e32 vcc_lo, 0x7f800000, v6
	s_delay_alu instid0(VALU_DEP_2)
	v_cndmask_b32_e32 v5, 0x7c, v5, vcc_lo
; %bb.3928:
	s_or_b32 exec_lo, exec_lo, s3
	v_lshrrev_b32_e32 v4, 24, v4
	s_delay_alu instid0(VALU_DEP_1)
	v_and_or_b32 v4, 0x80, v4, v5
	global_store_b8 v[2:3], v4, off
.LBB111_3929:
	s_mov_b32 s3, 0
	s_mov_b32 s6, -1
.LBB111_3930:
	s_and_not1_b32 vcc_lo, exec_lo, s3
	s_mov_b32 s3, 0
	s_cbranch_vccnz .LBB111_3937
; %bb.3931:
	s_cmp_gt_i32 s2, 14
	s_mov_b32 s3, -1
	s_cbranch_scc0 .LBB111_3935
; %bb.3932:
	s_cmp_eq_u32 s2, 15
	s_mov_b32 s0, -1
	s_cbranch_scc0 .LBB111_3934
; %bb.3933:
	s_wait_xcnt 0x0
	v_bfe_i32 v4, v1, 0, 16
	s_mov_b32 s0, 0
	s_mov_b32 s6, -1
	s_delay_alu instid0(VALU_DEP_1) | instskip(NEXT) | instid1(VALU_DEP_1)
	v_cvt_f32_i32_e32 v4, v4
	v_bfe_u32 v5, v4, 16, 1
	s_delay_alu instid0(VALU_DEP_1)
	v_add3_u32 v4, v4, v5, 0x7fff
	global_store_d16_hi_b16 v[2:3], v4, off
.LBB111_3934:
	s_mov_b32 s3, 0
.LBB111_3935:
	s_delay_alu instid0(SALU_CYCLE_1)
	s_and_b32 vcc_lo, exec_lo, s3
	s_mov_b32 s3, 0
	s_cbranch_vccz .LBB111_3937
; %bb.3936:
	s_cmp_lg_u32 s2, 11
	s_mov_b32 s3, -1
	s_cselect_b32 s0, -1, 0
.LBB111_3937:
	s_delay_alu instid0(SALU_CYCLE_1)
	s_and_b32 vcc_lo, exec_lo, s0
	s_cbranch_vccnz .LBB111_4117
; %bb.3938:
	s_and_not1_b32 vcc_lo, exec_lo, s3
	s_cbranch_vccnz .LBB111_3940
.LBB111_3939:
	v_cmp_ne_u16_e32 vcc_lo, 0, v1
	s_mov_b32 s6, -1
	s_wait_xcnt 0x0
	v_cndmask_b32_e64 v4, 0, 1, vcc_lo
	global_store_b8 v[2:3], v4, off
.LBB111_3940:
	s_mov_b32 s0, 0
	s_branch .LBB111_3942
.LBB111_3941:
	s_mov_b32 s0, -1
	s_mov_b32 s6, 0
.LBB111_3942:
	s_and_b32 vcc_lo, exec_lo, s0
	s_cbranch_vccz .LBB111_3981
; %bb.3943:
	s_cmp_lt_i32 s2, 5
	s_mov_b32 s0, -1
	s_cbranch_scc1 .LBB111_3964
; %bb.3944:
	s_cmp_lt_i32 s2, 8
	s_cbranch_scc1 .LBB111_3954
; %bb.3945:
	s_cmp_lt_i32 s2, 9
	s_cbranch_scc1 .LBB111_3951
; %bb.3946:
	s_cmp_gt_i32 s2, 9
	s_cbranch_scc0 .LBB111_3948
; %bb.3947:
	s_wait_xcnt 0x0
	v_bfe_i32 v4, v1, 0, 16
	v_mov_b32_e32 v6, 0
	s_mov_b32 s0, 0
	s_delay_alu instid0(VALU_DEP_2) | instskip(NEXT) | instid1(VALU_DEP_2)
	v_cvt_f64_i32_e32 v[4:5], v4
	v_mov_b32_e32 v7, v6
	global_store_b128 v[2:3], v[4:7], off
.LBB111_3948:
	s_and_not1_b32 vcc_lo, exec_lo, s0
	s_cbranch_vccnz .LBB111_3950
; %bb.3949:
	s_wait_xcnt 0x0
	v_bfe_i32 v4, v1, 0, 16
	v_mov_b32_e32 v5, 0
	s_delay_alu instid0(VALU_DEP_2)
	v_cvt_f32_i32_e32 v4, v4
	global_store_b64 v[2:3], v[4:5], off
.LBB111_3950:
	s_mov_b32 s0, 0
.LBB111_3951:
	s_delay_alu instid0(SALU_CYCLE_1)
	s_and_not1_b32 vcc_lo, exec_lo, s0
	s_cbranch_vccnz .LBB111_3953
; %bb.3952:
	s_wait_xcnt 0x0
	v_cvt_f16_i16_e32 v4, v1
	s_delay_alu instid0(VALU_DEP_1)
	v_and_b32_e32 v4, 0xffff, v4
	global_store_b32 v[2:3], v4, off
.LBB111_3953:
	s_mov_b32 s0, 0
.LBB111_3954:
	s_delay_alu instid0(SALU_CYCLE_1)
	s_and_not1_b32 vcc_lo, exec_lo, s0
	s_cbranch_vccnz .LBB111_3963
; %bb.3955:
	s_cmp_lt_i32 s2, 6
	s_mov_b32 s0, -1
	s_cbranch_scc1 .LBB111_3961
; %bb.3956:
	s_cmp_gt_i32 s2, 6
	s_cbranch_scc0 .LBB111_3958
; %bb.3957:
	s_wait_xcnt 0x0
	v_bfe_i32 v4, v1, 0, 16
	s_mov_b32 s0, 0
	s_delay_alu instid0(VALU_DEP_1)
	v_cvt_f64_i32_e32 v[4:5], v4
	global_store_b64 v[2:3], v[4:5], off
.LBB111_3958:
	s_and_not1_b32 vcc_lo, exec_lo, s0
	s_cbranch_vccnz .LBB111_3960
; %bb.3959:
	s_wait_xcnt 0x0
	v_bfe_i32 v4, v1, 0, 16
	s_delay_alu instid0(VALU_DEP_1)
	v_cvt_f32_i32_e32 v4, v4
	global_store_b32 v[2:3], v4, off
.LBB111_3960:
	s_mov_b32 s0, 0
.LBB111_3961:
	s_delay_alu instid0(SALU_CYCLE_1)
	s_and_not1_b32 vcc_lo, exec_lo, s0
	s_cbranch_vccnz .LBB111_3963
; %bb.3962:
	s_wait_xcnt 0x0
	v_cvt_f16_i16_e32 v4, v1
	global_store_b16 v[2:3], v4, off
.LBB111_3963:
	s_mov_b32 s0, 0
.LBB111_3964:
	s_delay_alu instid0(SALU_CYCLE_1)
	s_and_not1_b32 vcc_lo, exec_lo, s0
	s_cbranch_vccnz .LBB111_3980
; %bb.3965:
	s_cmp_lt_i32 s2, 2
	s_mov_b32 s0, -1
	s_cbranch_scc1 .LBB111_3975
; %bb.3966:
	s_cmp_lt_i32 s2, 3
	s_cbranch_scc1 .LBB111_3972
; %bb.3967:
	s_cmp_gt_i32 s2, 3
	s_cbranch_scc0 .LBB111_3969
; %bb.3968:
	s_wait_xcnt 0x0
	v_bfe_i32 v4, v1, 0, 16
	s_mov_b32 s0, 0
	s_delay_alu instid0(VALU_DEP_1)
	v_ashrrev_i32_e32 v5, 31, v4
	global_store_b64 v[2:3], v[4:5], off
.LBB111_3969:
	s_and_not1_b32 vcc_lo, exec_lo, s0
	s_cbranch_vccnz .LBB111_3971
; %bb.3970:
	s_wait_xcnt 0x0
	v_bfe_i32 v4, v1, 0, 16
	global_store_b32 v[2:3], v4, off
.LBB111_3971:
	s_mov_b32 s0, 0
.LBB111_3972:
	s_delay_alu instid0(SALU_CYCLE_1)
	s_and_not1_b32 vcc_lo, exec_lo, s0
	s_cbranch_vccnz .LBB111_3974
; %bb.3973:
	global_store_b16 v[2:3], v1, off
.LBB111_3974:
	s_mov_b32 s0, 0
.LBB111_3975:
	s_delay_alu instid0(SALU_CYCLE_1)
	s_and_not1_b32 vcc_lo, exec_lo, s0
	s_cbranch_vccnz .LBB111_3980
; %bb.3976:
	s_cmp_gt_i32 s2, 0
	s_mov_b32 s0, -1
	s_cbranch_scc0 .LBB111_3978
; %bb.3977:
	s_mov_b32 s0, 0
	global_store_b8 v[2:3], v1, off
.LBB111_3978:
	s_and_not1_b32 vcc_lo, exec_lo, s0
	s_cbranch_vccnz .LBB111_3980
; %bb.3979:
	global_store_b8 v[2:3], v1, off
.LBB111_3980:
	s_mov_b32 s6, -1
.LBB111_3981:
	s_delay_alu instid0(SALU_CYCLE_1)
	s_and_not1_b32 vcc_lo, exec_lo, s6
	s_cbranch_vccnz .LBB111_4058
; %bb.3982:
	s_wait_xcnt 0x0
	v_bfe_i32 v2, v14, 0, 8
	v_bfe_i32 v3, v20, 0, 8
	v_mov_b32_e32 v1, 0
	v_bfe_i32 v5, v10, 0, 8
	s_cmp_lt_i32 s2, 11
	s_delay_alu instid0(VALU_DEP_3) | instskip(NEXT) | instid1(VALU_DEP_3)
	v_max_i16 v4, v3, v2
	v_add_nc_u64_e32 v[2:3], s[4:5], v[0:1]
	s_delay_alu instid0(VALU_DEP_2)
	v_min_i16 v1, v4, v5
	s_cbranch_scc1 .LBB111_4103
; %bb.3983:
	s_mov_b32 s4, -1
	s_mov_b32 s3, 0
	s_cmp_gt_i32 s2, 25
	s_mov_b32 s0, 0
	s_cbranch_scc0 .LBB111_4016
; %bb.3984:
	s_cmp_gt_i32 s2, 28
	s_cbranch_scc0 .LBB111_4000
; %bb.3985:
	s_cmp_gt_i32 s2, 43
	;; [unrolled: 3-line block ×3, first 2 shown]
	s_cbranch_scc0 .LBB111_3990
; %bb.3987:
	s_cmp_eq_u32 s2, 46
	s_mov_b32 s0, -1
	s_cbranch_scc0 .LBB111_3989
; %bb.3988:
	v_bfe_i32 v0, v1, 0, 16
	s_mov_b32 s0, 0
	s_delay_alu instid0(VALU_DEP_1) | instskip(NEXT) | instid1(VALU_DEP_1)
	v_cvt_f32_i32_e32 v0, v0
	v_bfe_u32 v4, v0, 16, 1
	s_delay_alu instid0(VALU_DEP_1) | instskip(NEXT) | instid1(VALU_DEP_1)
	v_add3_u32 v0, v0, v4, 0x7fff
	v_lshrrev_b32_e32 v0, 16, v0
	global_store_b32 v[2:3], v0, off
.LBB111_3989:
	s_mov_b32 s4, 0
.LBB111_3990:
	s_delay_alu instid0(SALU_CYCLE_1)
	s_and_b32 vcc_lo, exec_lo, s4
	s_cbranch_vccz .LBB111_3995
; %bb.3991:
	s_cmp_eq_u32 s2, 44
	s_mov_b32 s0, -1
	s_cbranch_scc0 .LBB111_3995
; %bb.3992:
	s_wait_xcnt 0x0
	v_bfe_i32 v0, v1, 0, 16
	v_mov_b32_e32 v4, 0xff
	s_mov_b32 s4, exec_lo
	s_delay_alu instid0(VALU_DEP_2) | instskip(NEXT) | instid1(VALU_DEP_1)
	v_cvt_f32_i32_e32 v0, v0
	v_bfe_u32 v5, v0, 23, 8
	s_delay_alu instid0(VALU_DEP_1)
	v_cmpx_ne_u32_e32 0xff, v5
	s_cbranch_execz .LBB111_3994
; %bb.3993:
	v_and_b32_e32 v4, 0x400000, v0
	v_and_or_b32 v5, 0x3fffff, v0, v5
	v_lshrrev_b32_e32 v0, 23, v0
	s_delay_alu instid0(VALU_DEP_3) | instskip(NEXT) | instid1(VALU_DEP_3)
	v_cmp_ne_u32_e32 vcc_lo, 0, v4
	v_cmp_ne_u32_e64 s0, 0, v5
	s_and_b32 s0, vcc_lo, s0
	s_delay_alu instid0(SALU_CYCLE_1) | instskip(NEXT) | instid1(VALU_DEP_1)
	v_cndmask_b32_e64 v4, 0, 1, s0
	v_add_nc_u32_e32 v4, v0, v4
.LBB111_3994:
	s_or_b32 exec_lo, exec_lo, s4
	s_mov_b32 s0, 0
	global_store_b8 v[2:3], v4, off
.LBB111_3995:
	s_mov_b32 s4, 0
.LBB111_3996:
	s_delay_alu instid0(SALU_CYCLE_1)
	s_and_b32 vcc_lo, exec_lo, s4
	s_cbranch_vccz .LBB111_3999
; %bb.3997:
	s_cmp_eq_u32 s2, 29
	s_mov_b32 s0, -1
	s_cbranch_scc0 .LBB111_3999
; %bb.3998:
	s_wait_xcnt 0x0
	v_bfe_i32 v4, v1, 0, 16
	s_mov_b32 s0, 0
	s_delay_alu instid0(VALU_DEP_1)
	v_ashrrev_i32_e32 v5, 31, v4
	global_store_b64 v[2:3], v[4:5], off
.LBB111_3999:
	s_mov_b32 s4, 0
.LBB111_4000:
	s_delay_alu instid0(SALU_CYCLE_1)
	s_and_b32 vcc_lo, exec_lo, s4
	s_cbranch_vccz .LBB111_4015
; %bb.4001:
	s_cmp_lt_i32 s2, 27
	s_mov_b32 s4, -1
	s_cbranch_scc1 .LBB111_4007
; %bb.4002:
	s_cmp_gt_i32 s2, 27
	s_cbranch_scc0 .LBB111_4004
; %bb.4003:
	s_wait_xcnt 0x0
	v_bfe_i32 v0, v1, 0, 16
	s_mov_b32 s4, 0
	global_store_b32 v[2:3], v0, off
.LBB111_4004:
	s_and_not1_b32 vcc_lo, exec_lo, s4
	s_cbranch_vccnz .LBB111_4006
; %bb.4005:
	global_store_b16 v[2:3], v1, off
.LBB111_4006:
	s_mov_b32 s4, 0
.LBB111_4007:
	s_delay_alu instid0(SALU_CYCLE_1)
	s_and_not1_b32 vcc_lo, exec_lo, s4
	s_cbranch_vccnz .LBB111_4015
; %bb.4008:
	s_wait_xcnt 0x0
	v_bfe_i32 v0, v1, 0, 16
	v_mov_b32_e32 v5, 0x80
	s_mov_b32 s4, exec_lo
	s_delay_alu instid0(VALU_DEP_2) | instskip(NEXT) | instid1(VALU_DEP_1)
	v_cvt_f32_i32_e32 v0, v0
	v_and_b32_e32 v4, 0x7fffffff, v0
	s_delay_alu instid0(VALU_DEP_1)
	v_cmpx_gt_u32_e32 0x43800000, v4
	s_cbranch_execz .LBB111_4014
; %bb.4009:
	v_cmp_lt_u32_e32 vcc_lo, 0x3bffffff, v4
	s_mov_b32 s5, 0
                                        ; implicit-def: $vgpr4
	s_and_saveexec_b32 s6, vcc_lo
	s_delay_alu instid0(SALU_CYCLE_1)
	s_xor_b32 s6, exec_lo, s6
	s_cbranch_execz .LBB111_4120
; %bb.4010:
	v_bfe_u32 v4, v0, 20, 1
	s_mov_b32 s5, exec_lo
	s_delay_alu instid0(VALU_DEP_1) | instskip(NEXT) | instid1(VALU_DEP_1)
	v_add3_u32 v4, v0, v4, 0x487ffff
	v_lshrrev_b32_e32 v4, 20, v4
	s_and_not1_saveexec_b32 s6, s6
	s_cbranch_execnz .LBB111_4121
.LBB111_4011:
	s_or_b32 exec_lo, exec_lo, s6
	v_mov_b32_e32 v5, 0
	s_and_saveexec_b32 s6, s5
.LBB111_4012:
	v_lshrrev_b32_e32 v0, 24, v0
	s_delay_alu instid0(VALU_DEP_1)
	v_and_or_b32 v5, 0x80, v0, v4
.LBB111_4013:
	s_or_b32 exec_lo, exec_lo, s6
.LBB111_4014:
	s_delay_alu instid0(SALU_CYCLE_1)
	s_or_b32 exec_lo, exec_lo, s4
	global_store_b8 v[2:3], v5, off
.LBB111_4015:
	s_mov_b32 s4, 0
.LBB111_4016:
	s_delay_alu instid0(SALU_CYCLE_1)
	s_and_b32 vcc_lo, exec_lo, s4
	s_cbranch_vccz .LBB111_4056
; %bb.4017:
	s_cmp_gt_i32 s2, 22
	s_mov_b32 s3, -1
	s_cbranch_scc0 .LBB111_4049
; %bb.4018:
	s_cmp_lt_i32 s2, 24
	s_cbranch_scc1 .LBB111_4038
; %bb.4019:
	s_cmp_gt_i32 s2, 24
	s_cbranch_scc0 .LBB111_4027
; %bb.4020:
	s_wait_xcnt 0x0
	v_bfe_i32 v0, v1, 0, 16
	v_mov_b32_e32 v5, 0x80
	s_mov_b32 s3, exec_lo
	s_delay_alu instid0(VALU_DEP_2) | instskip(NEXT) | instid1(VALU_DEP_1)
	v_cvt_f32_i32_e32 v0, v0
	v_and_b32_e32 v4, 0x7fffffff, v0
	s_delay_alu instid0(VALU_DEP_1)
	v_cmpx_gt_u32_e32 0x47800000, v4
	s_cbranch_execz .LBB111_4026
; %bb.4021:
	v_cmp_lt_u32_e32 vcc_lo, 0x37ffffff, v4
	s_mov_b32 s4, 0
                                        ; implicit-def: $vgpr4
	s_and_saveexec_b32 s5, vcc_lo
	s_delay_alu instid0(SALU_CYCLE_1)
	s_xor_b32 s5, exec_lo, s5
	s_cbranch_execz .LBB111_4123
; %bb.4022:
	v_bfe_u32 v4, v0, 21, 1
	s_mov_b32 s4, exec_lo
	s_delay_alu instid0(VALU_DEP_1) | instskip(NEXT) | instid1(VALU_DEP_1)
	v_add3_u32 v4, v0, v4, 0x88fffff
	v_lshrrev_b32_e32 v4, 21, v4
	s_and_not1_saveexec_b32 s5, s5
	s_cbranch_execnz .LBB111_4124
.LBB111_4023:
	s_or_b32 exec_lo, exec_lo, s5
	v_mov_b32_e32 v5, 0
	s_and_saveexec_b32 s5, s4
.LBB111_4024:
	v_lshrrev_b32_e32 v0, 24, v0
	s_delay_alu instid0(VALU_DEP_1)
	v_and_or_b32 v5, 0x80, v0, v4
.LBB111_4025:
	s_or_b32 exec_lo, exec_lo, s5
.LBB111_4026:
	s_delay_alu instid0(SALU_CYCLE_1)
	s_or_b32 exec_lo, exec_lo, s3
	s_mov_b32 s3, 0
	global_store_b8 v[2:3], v5, off
.LBB111_4027:
	s_and_b32 vcc_lo, exec_lo, s3
	s_cbranch_vccz .LBB111_4037
; %bb.4028:
	s_wait_xcnt 0x0
	v_bfe_i32 v0, v1, 0, 16
	s_mov_b32 s3, exec_lo
                                        ; implicit-def: $vgpr4
	s_delay_alu instid0(VALU_DEP_1) | instskip(NEXT) | instid1(VALU_DEP_1)
	v_cvt_f32_i32_e32 v0, v0
	v_and_b32_e32 v5, 0x7fffffff, v0
	s_delay_alu instid0(VALU_DEP_1)
	v_cmpx_gt_u32_e32 0x43f00000, v5
	s_xor_b32 s3, exec_lo, s3
	s_cbranch_execz .LBB111_4034
; %bb.4029:
	s_mov_b32 s4, exec_lo
                                        ; implicit-def: $vgpr4
	v_cmpx_lt_u32_e32 0x3c7fffff, v5
	s_xor_b32 s4, exec_lo, s4
; %bb.4030:
	v_bfe_u32 v4, v0, 20, 1
	s_delay_alu instid0(VALU_DEP_1) | instskip(NEXT) | instid1(VALU_DEP_1)
	v_add3_u32 v4, v0, v4, 0x407ffff
	v_and_b32_e32 v5, 0xff00000, v4
	v_lshrrev_b32_e32 v4, 20, v4
	s_delay_alu instid0(VALU_DEP_2) | instskip(NEXT) | instid1(VALU_DEP_2)
	v_cmp_ne_u32_e32 vcc_lo, 0x7f00000, v5
	v_cndmask_b32_e32 v4, 0x7e, v4, vcc_lo
; %bb.4031:
	s_and_not1_saveexec_b32 s4, s4
; %bb.4032:
	v_add_f32_e64 v4, 0x46800000, |v0|
; %bb.4033:
	s_or_b32 exec_lo, exec_lo, s4
                                        ; implicit-def: $vgpr5
.LBB111_4034:
	s_and_not1_saveexec_b32 s3, s3
; %bb.4035:
	v_mov_b32_e32 v4, 0x7f
	v_cmp_lt_u32_e32 vcc_lo, 0x7f800000, v5
	s_delay_alu instid0(VALU_DEP_2)
	v_cndmask_b32_e32 v4, 0x7e, v4, vcc_lo
; %bb.4036:
	s_or_b32 exec_lo, exec_lo, s3
	v_lshrrev_b32_e32 v0, 24, v0
	s_delay_alu instid0(VALU_DEP_1)
	v_and_or_b32 v0, 0x80, v0, v4
	global_store_b8 v[2:3], v0, off
.LBB111_4037:
	s_mov_b32 s3, 0
.LBB111_4038:
	s_delay_alu instid0(SALU_CYCLE_1)
	s_and_not1_b32 vcc_lo, exec_lo, s3
	s_cbranch_vccnz .LBB111_4048
; %bb.4039:
	s_wait_xcnt 0x0
	v_bfe_i32 v0, v1, 0, 16
	s_mov_b32 s3, exec_lo
                                        ; implicit-def: $vgpr4
	s_delay_alu instid0(VALU_DEP_1) | instskip(NEXT) | instid1(VALU_DEP_1)
	v_cvt_f32_i32_e32 v0, v0
	v_and_b32_e32 v5, 0x7fffffff, v0
	s_delay_alu instid0(VALU_DEP_1)
	v_cmpx_gt_u32_e32 0x47800000, v5
	s_xor_b32 s3, exec_lo, s3
	s_cbranch_execz .LBB111_4045
; %bb.4040:
	s_mov_b32 s4, exec_lo
                                        ; implicit-def: $vgpr4
	v_cmpx_lt_u32_e32 0x387fffff, v5
	s_xor_b32 s4, exec_lo, s4
; %bb.4041:
	v_bfe_u32 v4, v0, 21, 1
	s_delay_alu instid0(VALU_DEP_1) | instskip(NEXT) | instid1(VALU_DEP_1)
	v_add3_u32 v4, v0, v4, 0x80fffff
	v_lshrrev_b32_e32 v4, 21, v4
; %bb.4042:
	s_and_not1_saveexec_b32 s4, s4
; %bb.4043:
	v_add_f32_e64 v4, 0x43000000, |v0|
; %bb.4044:
	s_or_b32 exec_lo, exec_lo, s4
                                        ; implicit-def: $vgpr5
.LBB111_4045:
	s_and_not1_saveexec_b32 s3, s3
; %bb.4046:
	v_mov_b32_e32 v4, 0x7f
	v_cmp_lt_u32_e32 vcc_lo, 0x7f800000, v5
	s_delay_alu instid0(VALU_DEP_2)
	v_cndmask_b32_e32 v4, 0x7c, v4, vcc_lo
; %bb.4047:
	s_or_b32 exec_lo, exec_lo, s3
	v_lshrrev_b32_e32 v0, 24, v0
	s_delay_alu instid0(VALU_DEP_1)
	v_and_or_b32 v0, 0x80, v0, v4
	global_store_b8 v[2:3], v0, off
.LBB111_4048:
	s_mov_b32 s3, 0
.LBB111_4049:
	s_delay_alu instid0(SALU_CYCLE_1)
	s_and_not1_b32 vcc_lo, exec_lo, s3
	s_mov_b32 s3, 0
	s_cbranch_vccnz .LBB111_4056
; %bb.4050:
	s_cmp_gt_i32 s2, 14
	s_mov_b32 s3, -1
	s_cbranch_scc0 .LBB111_4054
; %bb.4051:
	s_cmp_eq_u32 s2, 15
	s_mov_b32 s0, -1
	s_cbranch_scc0 .LBB111_4053
; %bb.4052:
	s_wait_xcnt 0x0
	v_bfe_i32 v0, v1, 0, 16
	s_mov_b32 s0, 0
	s_delay_alu instid0(VALU_DEP_1) | instskip(NEXT) | instid1(VALU_DEP_1)
	v_cvt_f32_i32_e32 v0, v0
	v_bfe_u32 v4, v0, 16, 1
	s_delay_alu instid0(VALU_DEP_1)
	v_add3_u32 v0, v0, v4, 0x7fff
	global_store_d16_hi_b16 v[2:3], v0, off
.LBB111_4053:
	s_mov_b32 s3, 0
.LBB111_4054:
	s_delay_alu instid0(SALU_CYCLE_1)
	s_and_b32 vcc_lo, exec_lo, s3
	s_mov_b32 s3, 0
	s_cbranch_vccz .LBB111_4056
; %bb.4055:
	s_cmp_lg_u32 s2, 11
	s_mov_b32 s3, -1
	s_cselect_b32 s0, -1, 0
.LBB111_4056:
	s_delay_alu instid0(SALU_CYCLE_1)
	s_and_b32 vcc_lo, exec_lo, s0
	s_cbranch_vccnz .LBB111_4122
.LBB111_4057:
	s_mov_b32 s0, 0
	s_branch .LBB111_4059
.LBB111_4058:
	s_mov_b32 s0, 0
	s_wait_xcnt 0x0
	s_mov_b32 s3, 0
                                        ; implicit-def: $vgpr2_vgpr3
                                        ; implicit-def: $sgpr1
                                        ; implicit-def: $vgpr1
.LBB111_4059:
	s_and_not1_b32 s2, s10, exec_lo
	s_and_b32 s4, s12, exec_lo
	s_and_b32 s0, s0, exec_lo
	s_and_b32 s35, s3, exec_lo
	s_or_b32 s10, s2, s4
.LBB111_4060:
	s_wait_xcnt 0x0
	s_or_b32 exec_lo, exec_lo, s11
	s_and_saveexec_b32 s2, s10
	s_cbranch_execz .LBB111_4063
; %bb.4061:
	; divergent unreachable
	s_or_b32 exec_lo, exec_lo, s2
	s_and_saveexec_b32 s2, s35
	s_delay_alu instid0(SALU_CYCLE_1)
	s_xor_b32 s2, exec_lo, s2
	s_cbranch_execnz .LBB111_4064
.LBB111_4062:
	s_or_b32 exec_lo, exec_lo, s2
	s_and_saveexec_b32 s2, s0
	s_cbranch_execnz .LBB111_4065
	s_branch .LBB111_4102
.LBB111_4063:
	s_or_b32 exec_lo, exec_lo, s2
	s_and_saveexec_b32 s2, s35
	s_delay_alu instid0(SALU_CYCLE_1)
	s_xor_b32 s2, exec_lo, s2
	s_cbranch_execz .LBB111_4062
.LBB111_4064:
	s_wait_loadcnt 0x0
	v_and_b32_e32 v0, 0xff, v1
	s_delay_alu instid0(VALU_DEP_1)
	v_cmp_ne_u16_e32 vcc_lo, 0, v0
	v_cndmask_b32_e64 v0, 0, 1, vcc_lo
	global_store_b8 v[2:3], v0, off
	s_wait_xcnt 0x0
	s_or_b32 exec_lo, exec_lo, s2
	s_and_saveexec_b32 s2, s0
	s_cbranch_execz .LBB111_4102
.LBB111_4065:
	s_sext_i32_i16 s2, s1
	s_mov_b32 s0, -1
	s_cmp_lt_i32 s2, 5
	s_cbranch_scc1 .LBB111_4086
; %bb.4066:
	s_cmp_lt_i32 s2, 8
	s_cbranch_scc1 .LBB111_4076
; %bb.4067:
	;; [unrolled: 3-line block ×3, first 2 shown]
	s_cmp_gt_i32 s2, 9
	s_cbranch_scc0 .LBB111_4070
; %bb.4069:
	s_wait_loadcnt 0x0
	v_bfe_i32 v0, v1, 0, 8
	v_mov_b32_e32 v6, 0
	s_mov_b32 s0, 0
	s_delay_alu instid0(VALU_DEP_2) | instskip(NEXT) | instid1(VALU_DEP_2)
	v_bfe_i32 v0, v0, 0, 16
	v_mov_b32_e32 v7, v6
	s_delay_alu instid0(VALU_DEP_2)
	v_cvt_f64_i32_e32 v[4:5], v0
	global_store_b128 v[2:3], v[4:7], off
.LBB111_4070:
	s_and_not1_b32 vcc_lo, exec_lo, s0
	s_cbranch_vccnz .LBB111_4072
; %bb.4071:
	s_wait_loadcnt 0x0
	v_bfe_i32 v0, v1, 0, 8
	s_wait_xcnt 0x0
	v_mov_b32_e32 v5, 0
	s_delay_alu instid0(VALU_DEP_2) | instskip(NEXT) | instid1(VALU_DEP_1)
	v_bfe_i32 v0, v0, 0, 16
	v_cvt_f32_i32_e32 v4, v0
	global_store_b64 v[2:3], v[4:5], off
.LBB111_4072:
	s_mov_b32 s0, 0
.LBB111_4073:
	s_delay_alu instid0(SALU_CYCLE_1)
	s_and_not1_b32 vcc_lo, exec_lo, s0
	s_cbranch_vccnz .LBB111_4075
; %bb.4074:
	s_wait_loadcnt 0x0
	v_bfe_i32 v0, v1, 0, 8
	s_delay_alu instid0(VALU_DEP_1) | instskip(NEXT) | instid1(VALU_DEP_1)
	v_cvt_f16_i16_e32 v0, v0
	v_and_b32_e32 v0, 0xffff, v0
	global_store_b32 v[2:3], v0, off
.LBB111_4075:
	s_mov_b32 s0, 0
.LBB111_4076:
	s_delay_alu instid0(SALU_CYCLE_1)
	s_and_not1_b32 vcc_lo, exec_lo, s0
	s_cbranch_vccnz .LBB111_4085
; %bb.4077:
	s_sext_i32_i16 s2, s1
	s_mov_b32 s0, -1
	s_cmp_lt_i32 s2, 6
	s_cbranch_scc1 .LBB111_4083
; %bb.4078:
	s_cmp_gt_i32 s2, 6
	s_cbranch_scc0 .LBB111_4080
; %bb.4079:
	s_wait_loadcnt 0x0
	v_bfe_i32 v0, v1, 0, 8
	s_mov_b32 s0, 0
	s_delay_alu instid0(VALU_DEP_1) | instskip(NEXT) | instid1(VALU_DEP_1)
	v_bfe_i32 v0, v0, 0, 16
	v_cvt_f64_i32_e32 v[4:5], v0
	global_store_b64 v[2:3], v[4:5], off
.LBB111_4080:
	s_and_not1_b32 vcc_lo, exec_lo, s0
	s_cbranch_vccnz .LBB111_4082
; %bb.4081:
	s_wait_loadcnt 0x0
	v_bfe_i32 v0, v1, 0, 8
	s_delay_alu instid0(VALU_DEP_1) | instskip(NEXT) | instid1(VALU_DEP_1)
	v_bfe_i32 v0, v0, 0, 16
	v_cvt_f32_i32_e32 v0, v0
	global_store_b32 v[2:3], v0, off
.LBB111_4082:
	s_mov_b32 s0, 0
.LBB111_4083:
	s_delay_alu instid0(SALU_CYCLE_1)
	s_and_not1_b32 vcc_lo, exec_lo, s0
	s_cbranch_vccnz .LBB111_4085
; %bb.4084:
	s_wait_loadcnt 0x0
	v_bfe_i32 v0, v1, 0, 8
	s_delay_alu instid0(VALU_DEP_1)
	v_cvt_f16_i16_e32 v0, v0
	global_store_b16 v[2:3], v0, off
.LBB111_4085:
	s_mov_b32 s0, 0
.LBB111_4086:
	s_delay_alu instid0(SALU_CYCLE_1)
	s_and_not1_b32 vcc_lo, exec_lo, s0
	s_cbranch_vccnz .LBB111_4102
; %bb.4087:
	s_sext_i32_i16 s2, s1
	s_mov_b32 s0, -1
	s_cmp_lt_i32 s2, 2
	s_cbranch_scc1 .LBB111_4097
; %bb.4088:
	s_cmp_lt_i32 s2, 3
	s_cbranch_scc1 .LBB111_4094
; %bb.4089:
	s_cmp_gt_i32 s2, 3
	s_cbranch_scc0 .LBB111_4091
; %bb.4090:
	s_wait_loadcnt 0x0
	v_bfe_i32 v4, v1, 0, 8
	s_mov_b32 s0, 0
	s_delay_alu instid0(VALU_DEP_1)
	v_ashrrev_i32_e32 v5, 31, v4
	global_store_b64 v[2:3], v[4:5], off
.LBB111_4091:
	s_and_not1_b32 vcc_lo, exec_lo, s0
	s_cbranch_vccnz .LBB111_4093
; %bb.4092:
	s_wait_loadcnt 0x0
	v_bfe_i32 v0, v1, 0, 8
	global_store_b32 v[2:3], v0, off
.LBB111_4093:
	s_mov_b32 s0, 0
.LBB111_4094:
	s_delay_alu instid0(SALU_CYCLE_1)
	s_and_not1_b32 vcc_lo, exec_lo, s0
	s_cbranch_vccnz .LBB111_4096
; %bb.4095:
	s_wait_loadcnt 0x0
	v_bfe_i32 v0, v1, 0, 8
	global_store_b16 v[2:3], v0, off
.LBB111_4096:
	s_mov_b32 s0, 0
.LBB111_4097:
	s_delay_alu instid0(SALU_CYCLE_1)
	s_and_not1_b32 vcc_lo, exec_lo, s0
	s_cbranch_vccnz .LBB111_4102
; %bb.4098:
	s_sext_i32_i16 s0, s1
	s_delay_alu instid0(SALU_CYCLE_1)
	s_cmp_gt_i32 s0, 0
	s_mov_b32 s0, -1
	s_cbranch_scc0 .LBB111_4100
; %bb.4099:
	s_mov_b32 s0, 0
	s_wait_loadcnt 0x0
	global_store_b8 v[2:3], v1, off
.LBB111_4100:
	s_and_not1_b32 vcc_lo, exec_lo, s0
	s_cbranch_vccnz .LBB111_4102
; %bb.4101:
	s_wait_loadcnt 0x0
	global_store_b8 v[2:3], v1, off
	s_endpgm
.LBB111_4102:
	s_endpgm
.LBB111_4103:
	s_mov_b32 s3, 0
	s_mov_b32 s0, -1
	s_branch .LBB111_4059
.LBB111_4104:
	s_or_b32 s12, s12, exec_lo
	s_trap 2
	s_cbranch_execz .LBB111_3573
	s_branch .LBB111_3574
.LBB111_4105:
	s_and_not1_saveexec_b32 s8, s8
	s_cbranch_execz .LBB111_3653
.LBB111_4106:
	v_add_f32_e64 v5, 0x46000000, |v3|
	s_and_not1_b32 s7, s7, exec_lo
	s_delay_alu instid0(VALU_DEP_1) | instskip(NEXT) | instid1(VALU_DEP_1)
	v_and_b32_e32 v5, 0xff, v5
	v_cmp_ne_u32_e32 vcc_lo, 0, v5
	s_and_b32 s9, vcc_lo, exec_lo
	s_delay_alu instid0(SALU_CYCLE_1)
	s_or_b32 s7, s7, s9
	s_or_b32 exec_lo, exec_lo, s8
	v_mov_b32_e32 v8, 0
	s_and_saveexec_b32 s8, s7
	s_cbranch_execnz .LBB111_3654
	s_branch .LBB111_3655
.LBB111_4107:
	s_or_b32 s12, s12, exec_lo
	s_trap 2
	s_cbranch_execz .LBB111_3701
	s_branch .LBB111_3702
.LBB111_4108:
	s_and_not1_saveexec_b32 s7, s7
	s_cbranch_execz .LBB111_3666
.LBB111_4109:
	v_add_f32_e64 v5, 0x42800000, |v3|
	s_and_not1_b32 s6, s6, exec_lo
	s_delay_alu instid0(VALU_DEP_1) | instskip(NEXT) | instid1(VALU_DEP_1)
	v_and_b32_e32 v5, 0xff, v5
	v_cmp_ne_u32_e32 vcc_lo, 0, v5
	s_and_b32 s8, vcc_lo, exec_lo
	s_delay_alu instid0(SALU_CYCLE_1)
	s_or_b32 s6, s6, s8
	s_or_b32 exec_lo, exec_lo, s7
	v_mov_b32_e32 v8, 0
	s_and_saveexec_b32 s7, s6
	s_cbranch_execnz .LBB111_3667
	s_branch .LBB111_3668
.LBB111_4110:
	s_and_not1_saveexec_b32 s8, s8
	s_cbranch_execz .LBB111_3772
.LBB111_4111:
	v_add_f32_e64 v6, 0x46000000, |v3|
	s_and_not1_b32 s7, s7, exec_lo
	s_delay_alu instid0(VALU_DEP_1) | instskip(NEXT) | instid1(VALU_DEP_1)
	v_and_b32_e32 v6, 0xff, v6
	v_cmp_ne_u32_e32 vcc_lo, 0, v6
	s_and_b32 s9, vcc_lo, exec_lo
	s_delay_alu instid0(SALU_CYCLE_1)
	s_or_b32 s7, s7, s9
	s_or_b32 exec_lo, exec_lo, s8
	v_mov_b32_e32 v7, 0
	s_and_saveexec_b32 s8, s7
	s_cbranch_execnz .LBB111_3773
	s_branch .LBB111_3774
.LBB111_4112:
	s_or_b32 s12, s12, exec_lo
	s_trap 2
	s_cbranch_execz .LBB111_3820
	s_branch .LBB111_3821
.LBB111_4113:
	s_and_not1_saveexec_b32 s7, s7
	s_cbranch_execz .LBB111_3785
.LBB111_4114:
	v_add_f32_e64 v6, 0x42800000, |v3|
	s_and_not1_b32 s6, s6, exec_lo
	s_delay_alu instid0(VALU_DEP_1) | instskip(NEXT) | instid1(VALU_DEP_1)
	v_and_b32_e32 v6, 0xff, v6
	v_cmp_ne_u32_e32 vcc_lo, 0, v6
	s_and_b32 s8, vcc_lo, exec_lo
	s_delay_alu instid0(SALU_CYCLE_1)
	s_or_b32 s6, s6, s8
	s_or_b32 exec_lo, exec_lo, s7
	v_mov_b32_e32 v7, 0
	s_and_saveexec_b32 s7, s6
	s_cbranch_execnz .LBB111_3786
	s_branch .LBB111_3787
.LBB111_4115:
	s_and_not1_saveexec_b32 s8, s8
	s_cbranch_execz .LBB111_3891
.LBB111_4116:
	v_add_f32_e64 v5, 0x46000000, |v4|
	s_and_not1_b32 s7, s7, exec_lo
	s_delay_alu instid0(VALU_DEP_1) | instskip(NEXT) | instid1(VALU_DEP_1)
	v_and_b32_e32 v5, 0xff, v5
	v_cmp_ne_u32_e32 vcc_lo, 0, v5
	s_and_b32 s9, vcc_lo, exec_lo
	s_delay_alu instid0(SALU_CYCLE_1)
	s_or_b32 s7, s7, s9
	s_or_b32 exec_lo, exec_lo, s8
	v_mov_b32_e32 v6, 0
	s_and_saveexec_b32 s8, s7
	s_cbranch_execnz .LBB111_3892
	s_branch .LBB111_3893
.LBB111_4117:
	s_or_b32 s12, s12, exec_lo
	s_trap 2
	s_cbranch_execz .LBB111_3939
	s_branch .LBB111_3940
.LBB111_4118:
	s_and_not1_saveexec_b32 s7, s7
	s_cbranch_execz .LBB111_3904
.LBB111_4119:
	v_add_f32_e64 v5, 0x42800000, |v4|
	s_and_not1_b32 s6, s6, exec_lo
	s_delay_alu instid0(VALU_DEP_1) | instskip(NEXT) | instid1(VALU_DEP_1)
	v_and_b32_e32 v5, 0xff, v5
	v_cmp_ne_u32_e32 vcc_lo, 0, v5
	s_and_b32 s8, vcc_lo, exec_lo
	s_delay_alu instid0(SALU_CYCLE_1)
	s_or_b32 s6, s6, s8
	s_or_b32 exec_lo, exec_lo, s7
	v_mov_b32_e32 v6, 0
	s_and_saveexec_b32 s7, s6
	s_cbranch_execnz .LBB111_3905
	s_branch .LBB111_3906
.LBB111_4120:
	s_and_not1_saveexec_b32 s6, s6
	s_cbranch_execz .LBB111_4011
.LBB111_4121:
	v_add_f32_e64 v4, 0x46000000, |v0|
	s_and_not1_b32 s5, s5, exec_lo
	s_delay_alu instid0(VALU_DEP_1) | instskip(NEXT) | instid1(VALU_DEP_1)
	v_and_b32_e32 v4, 0xff, v4
	v_cmp_ne_u32_e32 vcc_lo, 0, v4
	s_and_b32 s7, vcc_lo, exec_lo
	s_delay_alu instid0(SALU_CYCLE_1)
	s_or_b32 s5, s5, s7
	s_or_b32 exec_lo, exec_lo, s6
	v_mov_b32_e32 v5, 0
	s_and_saveexec_b32 s6, s5
	s_cbranch_execnz .LBB111_4012
	s_branch .LBB111_4013
.LBB111_4122:
	s_mov_b32 s3, 0
	s_or_b32 s12, s12, exec_lo
	s_trap 2
	s_branch .LBB111_4057
.LBB111_4123:
	s_and_not1_saveexec_b32 s5, s5
	s_cbranch_execz .LBB111_4023
.LBB111_4124:
	v_add_f32_e64 v4, 0x42800000, |v0|
	s_and_not1_b32 s4, s4, exec_lo
	s_delay_alu instid0(VALU_DEP_1) | instskip(NEXT) | instid1(VALU_DEP_1)
	v_and_b32_e32 v4, 0xff, v4
	v_cmp_ne_u32_e32 vcc_lo, 0, v4
	s_and_b32 s6, vcc_lo, exec_lo
	s_delay_alu instid0(SALU_CYCLE_1)
	s_or_b32 s4, s4, s6
	s_or_b32 exec_lo, exec_lo, s5
	v_mov_b32_e32 v5, 0
	s_and_saveexec_b32 s5, s4
	s_cbranch_execnz .LBB111_4024
	s_branch .LBB111_4025
	.section	.rodata,"a",@progbits
	.p2align	6, 0x0
	.amdhsa_kernel _ZN2at6native32elementwise_kernel_manual_unrollILi128ELi4EZNS0_15gpu_kernel_implIZZZNS0_12_GLOBAL__N_117clamp_kernel_implERNS_18TensorIteratorBaseEENKUlvE_clEvENKUlvE0_clEvEUlaaaE_EEvS5_RKT_EUlibE0_EEviT1_
		.amdhsa_group_segment_fixed_size 0
		.amdhsa_private_segment_fixed_size 0
		.amdhsa_kernarg_size 504
		.amdhsa_user_sgpr_count 2
		.amdhsa_user_sgpr_dispatch_ptr 0
		.amdhsa_user_sgpr_queue_ptr 0
		.amdhsa_user_sgpr_kernarg_segment_ptr 1
		.amdhsa_user_sgpr_dispatch_id 0
		.amdhsa_user_sgpr_kernarg_preload_length 0
		.amdhsa_user_sgpr_kernarg_preload_offset 0
		.amdhsa_user_sgpr_private_segment_size 0
		.amdhsa_wavefront_size32 1
		.amdhsa_uses_dynamic_stack 0
		.amdhsa_enable_private_segment 0
		.amdhsa_system_sgpr_workgroup_id_x 1
		.amdhsa_system_sgpr_workgroup_id_y 0
		.amdhsa_system_sgpr_workgroup_id_z 0
		.amdhsa_system_sgpr_workgroup_info 0
		.amdhsa_system_vgpr_workitem_id 0
		.amdhsa_next_free_vgpr 36
		.amdhsa_next_free_sgpr 74
		.amdhsa_named_barrier_count 0
		.amdhsa_reserve_vcc 1
		.amdhsa_float_round_mode_32 0
		.amdhsa_float_round_mode_16_64 0
		.amdhsa_float_denorm_mode_32 3
		.amdhsa_float_denorm_mode_16_64 3
		.amdhsa_fp16_overflow 0
		.amdhsa_memory_ordered 1
		.amdhsa_forward_progress 1
		.amdhsa_inst_pref_size 255
		.amdhsa_round_robin_scheduling 0
		.amdhsa_exception_fp_ieee_invalid_op 0
		.amdhsa_exception_fp_denorm_src 0
		.amdhsa_exception_fp_ieee_div_zero 0
		.amdhsa_exception_fp_ieee_overflow 0
		.amdhsa_exception_fp_ieee_underflow 0
		.amdhsa_exception_fp_ieee_inexact 0
		.amdhsa_exception_int_div_zero 0
	.end_amdhsa_kernel
	.section	.text._ZN2at6native32elementwise_kernel_manual_unrollILi128ELi4EZNS0_15gpu_kernel_implIZZZNS0_12_GLOBAL__N_117clamp_kernel_implERNS_18TensorIteratorBaseEENKUlvE_clEvENKUlvE0_clEvEUlaaaE_EEvS5_RKT_EUlibE0_EEviT1_,"axG",@progbits,_ZN2at6native32elementwise_kernel_manual_unrollILi128ELi4EZNS0_15gpu_kernel_implIZZZNS0_12_GLOBAL__N_117clamp_kernel_implERNS_18TensorIteratorBaseEENKUlvE_clEvENKUlvE0_clEvEUlaaaE_EEvS5_RKT_EUlibE0_EEviT1_,comdat
.Lfunc_end111:
	.size	_ZN2at6native32elementwise_kernel_manual_unrollILi128ELi4EZNS0_15gpu_kernel_implIZZZNS0_12_GLOBAL__N_117clamp_kernel_implERNS_18TensorIteratorBaseEENKUlvE_clEvENKUlvE0_clEvEUlaaaE_EEvS5_RKT_EUlibE0_EEviT1_, .Lfunc_end111-_ZN2at6native32elementwise_kernel_manual_unrollILi128ELi4EZNS0_15gpu_kernel_implIZZZNS0_12_GLOBAL__N_117clamp_kernel_implERNS_18TensorIteratorBaseEENKUlvE_clEvENKUlvE0_clEvEUlaaaE_EEvS5_RKT_EUlibE0_EEviT1_
                                        ; -- End function
	.set _ZN2at6native32elementwise_kernel_manual_unrollILi128ELi4EZNS0_15gpu_kernel_implIZZZNS0_12_GLOBAL__N_117clamp_kernel_implERNS_18TensorIteratorBaseEENKUlvE_clEvENKUlvE0_clEvEUlaaaE_EEvS5_RKT_EUlibE0_EEviT1_.num_vgpr, 36
	.set _ZN2at6native32elementwise_kernel_manual_unrollILi128ELi4EZNS0_15gpu_kernel_implIZZZNS0_12_GLOBAL__N_117clamp_kernel_implERNS_18TensorIteratorBaseEENKUlvE_clEvENKUlvE0_clEvEUlaaaE_EEvS5_RKT_EUlibE0_EEviT1_.num_agpr, 0
	.set _ZN2at6native32elementwise_kernel_manual_unrollILi128ELi4EZNS0_15gpu_kernel_implIZZZNS0_12_GLOBAL__N_117clamp_kernel_implERNS_18TensorIteratorBaseEENKUlvE_clEvENKUlvE0_clEvEUlaaaE_EEvS5_RKT_EUlibE0_EEviT1_.numbered_sgpr, 74
	.set _ZN2at6native32elementwise_kernel_manual_unrollILi128ELi4EZNS0_15gpu_kernel_implIZZZNS0_12_GLOBAL__N_117clamp_kernel_implERNS_18TensorIteratorBaseEENKUlvE_clEvENKUlvE0_clEvEUlaaaE_EEvS5_RKT_EUlibE0_EEviT1_.num_named_barrier, 0
	.set _ZN2at6native32elementwise_kernel_manual_unrollILi128ELi4EZNS0_15gpu_kernel_implIZZZNS0_12_GLOBAL__N_117clamp_kernel_implERNS_18TensorIteratorBaseEENKUlvE_clEvENKUlvE0_clEvEUlaaaE_EEvS5_RKT_EUlibE0_EEviT1_.private_seg_size, 0
	.set _ZN2at6native32elementwise_kernel_manual_unrollILi128ELi4EZNS0_15gpu_kernel_implIZZZNS0_12_GLOBAL__N_117clamp_kernel_implERNS_18TensorIteratorBaseEENKUlvE_clEvENKUlvE0_clEvEUlaaaE_EEvS5_RKT_EUlibE0_EEviT1_.uses_vcc, 1
	.set _ZN2at6native32elementwise_kernel_manual_unrollILi128ELi4EZNS0_15gpu_kernel_implIZZZNS0_12_GLOBAL__N_117clamp_kernel_implERNS_18TensorIteratorBaseEENKUlvE_clEvENKUlvE0_clEvEUlaaaE_EEvS5_RKT_EUlibE0_EEviT1_.uses_flat_scratch, 0
	.set _ZN2at6native32elementwise_kernel_manual_unrollILi128ELi4EZNS0_15gpu_kernel_implIZZZNS0_12_GLOBAL__N_117clamp_kernel_implERNS_18TensorIteratorBaseEENKUlvE_clEvENKUlvE0_clEvEUlaaaE_EEvS5_RKT_EUlibE0_EEviT1_.has_dyn_sized_stack, 0
	.set _ZN2at6native32elementwise_kernel_manual_unrollILi128ELi4EZNS0_15gpu_kernel_implIZZZNS0_12_GLOBAL__N_117clamp_kernel_implERNS_18TensorIteratorBaseEENKUlvE_clEvENKUlvE0_clEvEUlaaaE_EEvS5_RKT_EUlibE0_EEviT1_.has_recursion, 0
	.set _ZN2at6native32elementwise_kernel_manual_unrollILi128ELi4EZNS0_15gpu_kernel_implIZZZNS0_12_GLOBAL__N_117clamp_kernel_implERNS_18TensorIteratorBaseEENKUlvE_clEvENKUlvE0_clEvEUlaaaE_EEvS5_RKT_EUlibE0_EEviT1_.has_indirect_call, 0
	.section	.AMDGPU.csdata,"",@progbits
; Kernel info:
; codeLenInByte = 74148
; TotalNumSgprs: 76
; NumVgprs: 36
; ScratchSize: 0
; MemoryBound: 1
; FloatMode: 240
; IeeeMode: 1
; LDSByteSize: 0 bytes/workgroup (compile time only)
; SGPRBlocks: 0
; VGPRBlocks: 2
; NumSGPRsForWavesPerEU: 76
; NumVGPRsForWavesPerEU: 36
; NamedBarCnt: 0
; Occupancy: 16
; WaveLimiterHint : 1
; COMPUTE_PGM_RSRC2:SCRATCH_EN: 0
; COMPUTE_PGM_RSRC2:USER_SGPR: 2
; COMPUTE_PGM_RSRC2:TRAP_HANDLER: 0
; COMPUTE_PGM_RSRC2:TGID_X_EN: 1
; COMPUTE_PGM_RSRC2:TGID_Y_EN: 0
; COMPUTE_PGM_RSRC2:TGID_Z_EN: 0
; COMPUTE_PGM_RSRC2:TIDIG_COMP_CNT: 0
	.section	.text._ZN2at6native29vectorized_elementwise_kernelILi16EZZZNS0_12_GLOBAL__N_117clamp_kernel_implERNS_18TensorIteratorBaseEENKUlvE_clEvENKUlvE1_clEvEUliiiE_St5arrayIPcLm4EEEEviT0_T1_,"axG",@progbits,_ZN2at6native29vectorized_elementwise_kernelILi16EZZZNS0_12_GLOBAL__N_117clamp_kernel_implERNS_18TensorIteratorBaseEENKUlvE_clEvENKUlvE1_clEvEUliiiE_St5arrayIPcLm4EEEEviT0_T1_,comdat
	.globl	_ZN2at6native29vectorized_elementwise_kernelILi16EZZZNS0_12_GLOBAL__N_117clamp_kernel_implERNS_18TensorIteratorBaseEENKUlvE_clEvENKUlvE1_clEvEUliiiE_St5arrayIPcLm4EEEEviT0_T1_ ; -- Begin function _ZN2at6native29vectorized_elementwise_kernelILi16EZZZNS0_12_GLOBAL__N_117clamp_kernel_implERNS_18TensorIteratorBaseEENKUlvE_clEvENKUlvE1_clEvEUliiiE_St5arrayIPcLm4EEEEviT0_T1_
	.p2align	8
	.type	_ZN2at6native29vectorized_elementwise_kernelILi16EZZZNS0_12_GLOBAL__N_117clamp_kernel_implERNS_18TensorIteratorBaseEENKUlvE_clEvENKUlvE1_clEvEUliiiE_St5arrayIPcLm4EEEEviT0_T1_,@function
_ZN2at6native29vectorized_elementwise_kernelILi16EZZZNS0_12_GLOBAL__N_117clamp_kernel_implERNS_18TensorIteratorBaseEENKUlvE_clEvENKUlvE1_clEvEUliiiE_St5arrayIPcLm4EEEEviT0_T1_: ; @_ZN2at6native29vectorized_elementwise_kernelILi16EZZZNS0_12_GLOBAL__N_117clamp_kernel_implERNS_18TensorIteratorBaseEENKUlvE_clEvENKUlvE1_clEvEUliiiE_St5arrayIPcLm4EEEEviT0_T1_
; %bb.0:
	s_clause 0x1
	s_load_b32 s3, s[0:1], 0x0
	s_load_b256 s[4:11], s[0:1], 0x8
	s_wait_xcnt 0x0
	s_bfe_u32 s0, ttmp6, 0x4000c
	s_and_b32 s1, ttmp6, 15
	s_add_co_i32 s0, s0, 1
	s_getreg_b32 s2, hwreg(HW_REG_IB_STS2, 6, 4)
	s_mul_i32 s0, ttmp9, s0
	s_delay_alu instid0(SALU_CYCLE_1) | instskip(SKIP_2) | instid1(SALU_CYCLE_1)
	s_add_co_i32 s1, s1, s0
	s_cmp_eq_u32 s2, 0
	s_cselect_b32 s0, ttmp9, s1
	s_lshl_b32 s2, s0, 10
	s_mov_b32 s0, -1
	s_wait_kmcnt 0x0
	s_sub_co_i32 s1, s3, s2
	s_delay_alu instid0(SALU_CYCLE_1)
	s_cmp_gt_i32 s1, 0x3ff
	s_cbranch_scc0 .LBB112_2
; %bb.1:
	s_ashr_i32 s3, s2, 31
	s_mov_b32 s0, 0
	s_lshl_b64 s[12:13], s[2:3], 2
	s_delay_alu instid0(SALU_CYCLE_1)
	s_add_nc_u64 s[14:15], s[6:7], s[12:13]
	s_add_nc_u64 s[16:17], s[8:9], s[12:13]
	;; [unrolled: 1-line block ×3, first 2 shown]
	s_clause 0x2
	global_load_b128 v[2:5], v0, s[14:15] scale_offset
	global_load_b128 v[6:9], v0, s[16:17] scale_offset
	;; [unrolled: 1-line block ×3, first 2 shown]
	s_add_nc_u64 s[12:13], s[4:5], s[12:13]
	s_wait_loadcnt 0x0
	v_maxmin_i32 v5, v5, v9, v13
	v_maxmin_i32 v4, v4, v8, v12
	;; [unrolled: 1-line block ×4, first 2 shown]
	global_store_b128 v0, v[2:5], s[12:13] scale_offset
.LBB112_2:
	s_and_not1_b32 vcc_lo, exec_lo, s0
	s_cbranch_vccnz .LBB112_11
; %bb.3:
	v_cmp_le_i32_e64 s0, s1, v0
	v_or_b32_e32 v1, 0x100, v0
	v_cmp_gt_i32_e32 vcc_lo, s1, v0
	s_wait_xcnt 0x0
	s_and_saveexec_b32 s3, s0
	s_delay_alu instid0(SALU_CYCLE_1)
	s_xor_b32 s0, exec_lo, s3
; %bb.4:
	v_or_b32_e32 v1, 0x100, v0
; %bb.5:
	s_or_saveexec_b32 s3, s0
	v_dual_mov_b32 v4, 0 :: v_dual_bitop2_b32 v10, s2, v0 bitop3:0x54
	v_dual_mov_b32 v12, 0 :: v_dual_mov_b32 v11, 0
	v_dual_mov_b32 v3, 0 :: v_dual_mov_b32 v13, 0
	;; [unrolled: 1-line block ×4, first 2 shown]
	v_mov_b32_e32 v18, 0
	s_xor_b32 exec_lo, exec_lo, s3
	s_cbranch_execnz .LBB112_12
; %bb.6:
	s_or_b32 exec_lo, exec_lo, s3
	s_and_saveexec_b32 s0, vcc_lo
	s_cbranch_execnz .LBB112_19
.LBB112_7:
	s_or_b32 exec_lo, exec_lo, s0
	s_delay_alu instid0(SALU_CYCLE_1)
	s_mov_b32 s0, exec_lo
	v_cmpx_gt_i32_e64 s1, v0
	s_cbranch_execnz .LBB112_20
.LBB112_8:
	s_or_b32 exec_lo, exec_lo, s0
	s_delay_alu instid0(SALU_CYCLE_1)
	s_mov_b32 s0, exec_lo
	v_cmpx_gt_i32_e64 s1, v0
	s_cbranch_execnz .LBB112_21
.LBB112_9:
	s_or_b32 exec_lo, exec_lo, s0
	s_delay_alu instid0(SALU_CYCLE_1)
	s_mov_b32 s0, exec_lo
	v_cmpx_gt_i32_e64 s1, v0
	s_cbranch_execz .LBB112_11
.LBB112_10:
	v_add_nc_u32_e32 v0, s2, v0
	global_store_b32 v0, v4, s[4:5] scale_offset
.LBB112_11:
	s_endpgm
.LBB112_12:
	s_clause 0x2
	global_load_b32 v16, v10, s[6:7] scale_offset
	global_load_b32 v17, v10, s[8:9] scale_offset
	;; [unrolled: 1-line block ×3, first 2 shown]
	v_dual_mov_b32 v15, 0 :: v_dual_mov_b32 v14, 0
	v_dual_mov_b32 v13, 0 :: v_dual_mov_b32 v3, 0
	;; [unrolled: 1-line block ×3, first 2 shown]
	v_mov_b32_e32 v4, 0
	s_mov_b32 s12, exec_lo
	s_wait_xcnt 0x0
	v_cmpx_gt_u32_e64 s1, v1
	s_cbranch_execz .LBB112_18
; %bb.13:
	v_dual_mov_b32 v3, 0 :: v_dual_add_nc_u32 v2, s2, v0
	v_or_b32_e32 v4, 0x200, v0
	v_dual_mov_b32 v11, 0 :: v_dual_mov_b32 v12, 0
	s_clause 0x2
	global_load_b32 v13, v2, s[6:7] offset:1024 scale_offset
	global_load_b32 v14, v2, s[8:9] offset:1024 scale_offset
	;; [unrolled: 1-line block ×3, first 2 shown]
	v_cmp_gt_u32_e64 s0, s1, v4
	v_mov_b32_e32 v4, 0
	s_wait_xcnt 0x0
	s_and_saveexec_b32 s13, s0
	s_cbranch_execz .LBB112_17
; %bb.14:
	v_lshlrev_b64_e32 v[8:9], 2, v[2:3]
	v_or_b32_e32 v19, 0x300, v0
	s_delay_alu instid0(VALU_DEP_2)
	v_add_nc_u64_e32 v[4:5], s[6:7], v[8:9]
	v_add_nc_u64_e32 v[6:7], s[8:9], v[8:9]
	;; [unrolled: 1-line block ×3, first 2 shown]
	s_mov_b32 s6, exec_lo
	global_load_b32 v12, v[4:5], off offset:2048
	global_load_b32 v11, v[6:7], off offset:2048
	;; [unrolled: 1-line block ×3, first 2 shown]
	s_wait_xcnt 0x0
	v_cmpx_gt_u32_e64 s1, v19
	s_cbranch_execz .LBB112_16
; %bb.15:
	global_load_b32 v3, v[4:5], off offset:3072
	global_load_b32 v19, v[6:7], off offset:3072
	;; [unrolled: 1-line block ×3, first 2 shown]
	s_wait_loadcnt 0x0
	v_maxmin_i32 v3, v3, v19, v20
.LBB112_16:
	s_wait_xcnt 0x0
	s_or_b32 exec_lo, exec_lo, s6
	s_wait_loadcnt 0x0
	s_delay_alu instid0(VALU_DEP_1)
	v_dual_mov_b32 v4, v3 :: v_dual_mov_b32 v3, v2
.LBB112_17:
	s_or_b32 exec_lo, exec_lo, s13
.LBB112_18:
	s_delay_alu instid0(SALU_CYCLE_1) | instskip(NEXT) | instid1(SALU_CYCLE_1)
	s_or_b32 exec_lo, exec_lo, s12
	s_or_b32 exec_lo, exec_lo, s3
	s_and_saveexec_b32 s0, vcc_lo
	s_cbranch_execz .LBB112_7
.LBB112_19:
	s_wait_loadcnt 0x0
	v_maxmin_i32 v2, v16, v17, v18
	v_mov_b32_e32 v0, v1
	global_store_b32 v10, v2, s[4:5] scale_offset
	s_wait_xcnt 0x0
	s_or_b32 exec_lo, exec_lo, s0
	s_delay_alu instid0(SALU_CYCLE_1)
	s_mov_b32 s0, exec_lo
	v_cmpx_gt_i32_e64 s1, v0
	s_cbranch_execz .LBB112_8
.LBB112_20:
	s_wait_loadcnt 0x0
	v_maxmin_i32 v1, v13, v14, v15
	v_add_nc_u32_e32 v2, s2, v0
	v_add_nc_u32_e32 v0, 0x100, v0
	global_store_b32 v2, v1, s[4:5] scale_offset
	s_wait_xcnt 0x0
	s_or_b32 exec_lo, exec_lo, s0
	s_delay_alu instid0(SALU_CYCLE_1)
	s_mov_b32 s0, exec_lo
	v_cmpx_gt_i32_e64 s1, v0
	s_cbranch_execz .LBB112_9
.LBB112_21:
	v_maxmin_i32 v1, v12, v11, v3
	v_add_nc_u32_e32 v2, s2, v0
	v_add_nc_u32_e32 v0, 0x100, v0
	global_store_b32 v2, v1, s[4:5] scale_offset
	s_wait_xcnt 0x0
	s_or_b32 exec_lo, exec_lo, s0
	s_delay_alu instid0(SALU_CYCLE_1)
	s_mov_b32 s0, exec_lo
	v_cmpx_gt_i32_e64 s1, v0
	s_cbranch_execnz .LBB112_10
	s_branch .LBB112_11
	.section	.rodata,"a",@progbits
	.p2align	6, 0x0
	.amdhsa_kernel _ZN2at6native29vectorized_elementwise_kernelILi16EZZZNS0_12_GLOBAL__N_117clamp_kernel_implERNS_18TensorIteratorBaseEENKUlvE_clEvENKUlvE1_clEvEUliiiE_St5arrayIPcLm4EEEEviT0_T1_
		.amdhsa_group_segment_fixed_size 0
		.amdhsa_private_segment_fixed_size 0
		.amdhsa_kernarg_size 40
		.amdhsa_user_sgpr_count 2
		.amdhsa_user_sgpr_dispatch_ptr 0
		.amdhsa_user_sgpr_queue_ptr 0
		.amdhsa_user_sgpr_kernarg_segment_ptr 1
		.amdhsa_user_sgpr_dispatch_id 0
		.amdhsa_user_sgpr_kernarg_preload_length 0
		.amdhsa_user_sgpr_kernarg_preload_offset 0
		.amdhsa_user_sgpr_private_segment_size 0
		.amdhsa_wavefront_size32 1
		.amdhsa_uses_dynamic_stack 0
		.amdhsa_enable_private_segment 0
		.amdhsa_system_sgpr_workgroup_id_x 1
		.amdhsa_system_sgpr_workgroup_id_y 0
		.amdhsa_system_sgpr_workgroup_id_z 0
		.amdhsa_system_sgpr_workgroup_info 0
		.amdhsa_system_vgpr_workitem_id 0
		.amdhsa_next_free_vgpr 21
		.amdhsa_next_free_sgpr 20
		.amdhsa_named_barrier_count 0
		.amdhsa_reserve_vcc 1
		.amdhsa_float_round_mode_32 0
		.amdhsa_float_round_mode_16_64 0
		.amdhsa_float_denorm_mode_32 3
		.amdhsa_float_denorm_mode_16_64 3
		.amdhsa_fp16_overflow 0
		.amdhsa_memory_ordered 1
		.amdhsa_forward_progress 1
		.amdhsa_inst_pref_size 8
		.amdhsa_round_robin_scheduling 0
		.amdhsa_exception_fp_ieee_invalid_op 0
		.amdhsa_exception_fp_denorm_src 0
		.amdhsa_exception_fp_ieee_div_zero 0
		.amdhsa_exception_fp_ieee_overflow 0
		.amdhsa_exception_fp_ieee_underflow 0
		.amdhsa_exception_fp_ieee_inexact 0
		.amdhsa_exception_int_div_zero 0
	.end_amdhsa_kernel
	.section	.text._ZN2at6native29vectorized_elementwise_kernelILi16EZZZNS0_12_GLOBAL__N_117clamp_kernel_implERNS_18TensorIteratorBaseEENKUlvE_clEvENKUlvE1_clEvEUliiiE_St5arrayIPcLm4EEEEviT0_T1_,"axG",@progbits,_ZN2at6native29vectorized_elementwise_kernelILi16EZZZNS0_12_GLOBAL__N_117clamp_kernel_implERNS_18TensorIteratorBaseEENKUlvE_clEvENKUlvE1_clEvEUliiiE_St5arrayIPcLm4EEEEviT0_T1_,comdat
.Lfunc_end112:
	.size	_ZN2at6native29vectorized_elementwise_kernelILi16EZZZNS0_12_GLOBAL__N_117clamp_kernel_implERNS_18TensorIteratorBaseEENKUlvE_clEvENKUlvE1_clEvEUliiiE_St5arrayIPcLm4EEEEviT0_T1_, .Lfunc_end112-_ZN2at6native29vectorized_elementwise_kernelILi16EZZZNS0_12_GLOBAL__N_117clamp_kernel_implERNS_18TensorIteratorBaseEENKUlvE_clEvENKUlvE1_clEvEUliiiE_St5arrayIPcLm4EEEEviT0_T1_
                                        ; -- End function
	.set _ZN2at6native29vectorized_elementwise_kernelILi16EZZZNS0_12_GLOBAL__N_117clamp_kernel_implERNS_18TensorIteratorBaseEENKUlvE_clEvENKUlvE1_clEvEUliiiE_St5arrayIPcLm4EEEEviT0_T1_.num_vgpr, 21
	.set _ZN2at6native29vectorized_elementwise_kernelILi16EZZZNS0_12_GLOBAL__N_117clamp_kernel_implERNS_18TensorIteratorBaseEENKUlvE_clEvENKUlvE1_clEvEUliiiE_St5arrayIPcLm4EEEEviT0_T1_.num_agpr, 0
	.set _ZN2at6native29vectorized_elementwise_kernelILi16EZZZNS0_12_GLOBAL__N_117clamp_kernel_implERNS_18TensorIteratorBaseEENKUlvE_clEvENKUlvE1_clEvEUliiiE_St5arrayIPcLm4EEEEviT0_T1_.numbered_sgpr, 20
	.set _ZN2at6native29vectorized_elementwise_kernelILi16EZZZNS0_12_GLOBAL__N_117clamp_kernel_implERNS_18TensorIteratorBaseEENKUlvE_clEvENKUlvE1_clEvEUliiiE_St5arrayIPcLm4EEEEviT0_T1_.num_named_barrier, 0
	.set _ZN2at6native29vectorized_elementwise_kernelILi16EZZZNS0_12_GLOBAL__N_117clamp_kernel_implERNS_18TensorIteratorBaseEENKUlvE_clEvENKUlvE1_clEvEUliiiE_St5arrayIPcLm4EEEEviT0_T1_.private_seg_size, 0
	.set _ZN2at6native29vectorized_elementwise_kernelILi16EZZZNS0_12_GLOBAL__N_117clamp_kernel_implERNS_18TensorIteratorBaseEENKUlvE_clEvENKUlvE1_clEvEUliiiE_St5arrayIPcLm4EEEEviT0_T1_.uses_vcc, 1
	.set _ZN2at6native29vectorized_elementwise_kernelILi16EZZZNS0_12_GLOBAL__N_117clamp_kernel_implERNS_18TensorIteratorBaseEENKUlvE_clEvENKUlvE1_clEvEUliiiE_St5arrayIPcLm4EEEEviT0_T1_.uses_flat_scratch, 0
	.set _ZN2at6native29vectorized_elementwise_kernelILi16EZZZNS0_12_GLOBAL__N_117clamp_kernel_implERNS_18TensorIteratorBaseEENKUlvE_clEvENKUlvE1_clEvEUliiiE_St5arrayIPcLm4EEEEviT0_T1_.has_dyn_sized_stack, 0
	.set _ZN2at6native29vectorized_elementwise_kernelILi16EZZZNS0_12_GLOBAL__N_117clamp_kernel_implERNS_18TensorIteratorBaseEENKUlvE_clEvENKUlvE1_clEvEUliiiE_St5arrayIPcLm4EEEEviT0_T1_.has_recursion, 0
	.set _ZN2at6native29vectorized_elementwise_kernelILi16EZZZNS0_12_GLOBAL__N_117clamp_kernel_implERNS_18TensorIteratorBaseEENKUlvE_clEvENKUlvE1_clEvEUliiiE_St5arrayIPcLm4EEEEviT0_T1_.has_indirect_call, 0
	.section	.AMDGPU.csdata,"",@progbits
; Kernel info:
; codeLenInByte = 980
; TotalNumSgprs: 22
; NumVgprs: 21
; ScratchSize: 0
; MemoryBound: 1
; FloatMode: 240
; IeeeMode: 1
; LDSByteSize: 0 bytes/workgroup (compile time only)
; SGPRBlocks: 0
; VGPRBlocks: 1
; NumSGPRsForWavesPerEU: 22
; NumVGPRsForWavesPerEU: 21
; NamedBarCnt: 0
; Occupancy: 16
; WaveLimiterHint : 0
; COMPUTE_PGM_RSRC2:SCRATCH_EN: 0
; COMPUTE_PGM_RSRC2:USER_SGPR: 2
; COMPUTE_PGM_RSRC2:TRAP_HANDLER: 0
; COMPUTE_PGM_RSRC2:TGID_X_EN: 1
; COMPUTE_PGM_RSRC2:TGID_Y_EN: 0
; COMPUTE_PGM_RSRC2:TGID_Z_EN: 0
; COMPUTE_PGM_RSRC2:TIDIG_COMP_CNT: 0
	.section	.text._ZN2at6native29vectorized_elementwise_kernelILi8EZZZNS0_12_GLOBAL__N_117clamp_kernel_implERNS_18TensorIteratorBaseEENKUlvE_clEvENKUlvE1_clEvEUliiiE_St5arrayIPcLm4EEEEviT0_T1_,"axG",@progbits,_ZN2at6native29vectorized_elementwise_kernelILi8EZZZNS0_12_GLOBAL__N_117clamp_kernel_implERNS_18TensorIteratorBaseEENKUlvE_clEvENKUlvE1_clEvEUliiiE_St5arrayIPcLm4EEEEviT0_T1_,comdat
	.globl	_ZN2at6native29vectorized_elementwise_kernelILi8EZZZNS0_12_GLOBAL__N_117clamp_kernel_implERNS_18TensorIteratorBaseEENKUlvE_clEvENKUlvE1_clEvEUliiiE_St5arrayIPcLm4EEEEviT0_T1_ ; -- Begin function _ZN2at6native29vectorized_elementwise_kernelILi8EZZZNS0_12_GLOBAL__N_117clamp_kernel_implERNS_18TensorIteratorBaseEENKUlvE_clEvENKUlvE1_clEvEUliiiE_St5arrayIPcLm4EEEEviT0_T1_
	.p2align	8
	.type	_ZN2at6native29vectorized_elementwise_kernelILi8EZZZNS0_12_GLOBAL__N_117clamp_kernel_implERNS_18TensorIteratorBaseEENKUlvE_clEvENKUlvE1_clEvEUliiiE_St5arrayIPcLm4EEEEviT0_T1_,@function
_ZN2at6native29vectorized_elementwise_kernelILi8EZZZNS0_12_GLOBAL__N_117clamp_kernel_implERNS_18TensorIteratorBaseEENKUlvE_clEvENKUlvE1_clEvEUliiiE_St5arrayIPcLm4EEEEviT0_T1_: ; @_ZN2at6native29vectorized_elementwise_kernelILi8EZZZNS0_12_GLOBAL__N_117clamp_kernel_implERNS_18TensorIteratorBaseEENKUlvE_clEvENKUlvE1_clEvEUliiiE_St5arrayIPcLm4EEEEviT0_T1_
; %bb.0:
	s_clause 0x1
	s_load_b32 s3, s[0:1], 0x0
	s_load_b256 s[4:11], s[0:1], 0x8
	s_wait_xcnt 0x0
	s_bfe_u32 s0, ttmp6, 0x4000c
	s_and_b32 s1, ttmp6, 15
	s_add_co_i32 s0, s0, 1
	s_getreg_b32 s2, hwreg(HW_REG_IB_STS2, 6, 4)
	s_mul_i32 s0, ttmp9, s0
	s_delay_alu instid0(SALU_CYCLE_1) | instskip(SKIP_2) | instid1(SALU_CYCLE_1)
	s_add_co_i32 s1, s1, s0
	s_cmp_eq_u32 s2, 0
	s_cselect_b32 s0, ttmp9, s1
	s_lshl_b32 s2, s0, 10
	s_mov_b32 s0, -1
	s_wait_kmcnt 0x0
	s_sub_co_i32 s1, s3, s2
	s_delay_alu instid0(SALU_CYCLE_1)
	s_cmp_gt_i32 s1, 0x3ff
	s_cbranch_scc0 .LBB113_2
; %bb.1:
	s_ashr_i32 s3, s2, 31
	s_mov_b32 s0, 0
	s_lshl_b64 s[12:13], s[2:3], 2
	s_delay_alu instid0(SALU_CYCLE_1)
	s_add_nc_u64 s[14:15], s[6:7], s[12:13]
	s_add_nc_u64 s[16:17], s[8:9], s[12:13]
	;; [unrolled: 1-line block ×3, first 2 shown]
	s_clause 0x2
	global_load_b128 v[2:5], v0, s[14:15] scale_offset
	global_load_b128 v[6:9], v0, s[16:17] scale_offset
	;; [unrolled: 1-line block ×3, first 2 shown]
	s_add_nc_u64 s[12:13], s[4:5], s[12:13]
	s_wait_loadcnt 0x0
	v_maxmin_i32 v5, v5, v9, v13
	v_maxmin_i32 v4, v4, v8, v12
	;; [unrolled: 1-line block ×4, first 2 shown]
	global_store_b128 v0, v[2:5], s[12:13] scale_offset
.LBB113_2:
	s_and_not1_b32 vcc_lo, exec_lo, s0
	s_cbranch_vccnz .LBB113_11
; %bb.3:
	v_cmp_le_i32_e64 s0, s1, v0
	v_or_b32_e32 v1, 0x100, v0
	v_cmp_gt_i32_e32 vcc_lo, s1, v0
	s_wait_xcnt 0x0
	s_and_saveexec_b32 s3, s0
	s_delay_alu instid0(SALU_CYCLE_1)
	s_xor_b32 s0, exec_lo, s3
; %bb.4:
	v_or_b32_e32 v1, 0x100, v0
; %bb.5:
	s_or_saveexec_b32 s3, s0
	v_dual_mov_b32 v4, 0 :: v_dual_bitop2_b32 v10, s2, v0 bitop3:0x54
	v_dual_mov_b32 v12, 0 :: v_dual_mov_b32 v11, 0
	v_dual_mov_b32 v3, 0 :: v_dual_mov_b32 v13, 0
	;; [unrolled: 1-line block ×4, first 2 shown]
	v_mov_b32_e32 v18, 0
	s_xor_b32 exec_lo, exec_lo, s3
	s_cbranch_execnz .LBB113_12
; %bb.6:
	s_or_b32 exec_lo, exec_lo, s3
	s_and_saveexec_b32 s0, vcc_lo
	s_cbranch_execnz .LBB113_19
.LBB113_7:
	s_or_b32 exec_lo, exec_lo, s0
	s_delay_alu instid0(SALU_CYCLE_1)
	s_mov_b32 s0, exec_lo
	v_cmpx_gt_i32_e64 s1, v0
	s_cbranch_execnz .LBB113_20
.LBB113_8:
	s_or_b32 exec_lo, exec_lo, s0
	s_delay_alu instid0(SALU_CYCLE_1)
	s_mov_b32 s0, exec_lo
	v_cmpx_gt_i32_e64 s1, v0
	s_cbranch_execnz .LBB113_21
.LBB113_9:
	s_or_b32 exec_lo, exec_lo, s0
	s_delay_alu instid0(SALU_CYCLE_1)
	s_mov_b32 s0, exec_lo
	v_cmpx_gt_i32_e64 s1, v0
	s_cbranch_execz .LBB113_11
.LBB113_10:
	v_add_nc_u32_e32 v0, s2, v0
	global_store_b32 v0, v4, s[4:5] scale_offset
.LBB113_11:
	s_endpgm
.LBB113_12:
	s_clause 0x2
	global_load_b32 v16, v10, s[6:7] scale_offset
	global_load_b32 v17, v10, s[8:9] scale_offset
	;; [unrolled: 1-line block ×3, first 2 shown]
	v_dual_mov_b32 v15, 0 :: v_dual_mov_b32 v14, 0
	v_dual_mov_b32 v13, 0 :: v_dual_mov_b32 v3, 0
	v_dual_mov_b32 v11, 0 :: v_dual_mov_b32 v12, 0
	v_mov_b32_e32 v4, 0
	s_mov_b32 s12, exec_lo
	s_wait_xcnt 0x0
	v_cmpx_gt_u32_e64 s1, v1
	s_cbranch_execz .LBB113_18
; %bb.13:
	v_dual_mov_b32 v3, 0 :: v_dual_add_nc_u32 v2, s2, v0
	v_or_b32_e32 v4, 0x200, v0
	v_dual_mov_b32 v11, 0 :: v_dual_mov_b32 v12, 0
	s_clause 0x2
	global_load_b32 v13, v2, s[6:7] offset:1024 scale_offset
	global_load_b32 v14, v2, s[8:9] offset:1024 scale_offset
	;; [unrolled: 1-line block ×3, first 2 shown]
	v_cmp_gt_u32_e64 s0, s1, v4
	v_mov_b32_e32 v4, 0
	s_wait_xcnt 0x0
	s_and_saveexec_b32 s13, s0
	s_cbranch_execz .LBB113_17
; %bb.14:
	v_lshlrev_b64_e32 v[8:9], 2, v[2:3]
	v_or_b32_e32 v19, 0x300, v0
	s_delay_alu instid0(VALU_DEP_2)
	v_add_nc_u64_e32 v[4:5], s[6:7], v[8:9]
	v_add_nc_u64_e32 v[6:7], s[8:9], v[8:9]
	;; [unrolled: 1-line block ×3, first 2 shown]
	s_mov_b32 s6, exec_lo
	global_load_b32 v12, v[4:5], off offset:2048
	global_load_b32 v11, v[6:7], off offset:2048
	;; [unrolled: 1-line block ×3, first 2 shown]
	s_wait_xcnt 0x0
	v_cmpx_gt_u32_e64 s1, v19
	s_cbranch_execz .LBB113_16
; %bb.15:
	global_load_b32 v3, v[4:5], off offset:3072
	global_load_b32 v19, v[6:7], off offset:3072
	;; [unrolled: 1-line block ×3, first 2 shown]
	s_wait_loadcnt 0x0
	v_maxmin_i32 v3, v3, v19, v20
.LBB113_16:
	s_wait_xcnt 0x0
	s_or_b32 exec_lo, exec_lo, s6
	s_wait_loadcnt 0x0
	s_delay_alu instid0(VALU_DEP_1)
	v_dual_mov_b32 v4, v3 :: v_dual_mov_b32 v3, v2
.LBB113_17:
	s_or_b32 exec_lo, exec_lo, s13
.LBB113_18:
	s_delay_alu instid0(SALU_CYCLE_1) | instskip(NEXT) | instid1(SALU_CYCLE_1)
	s_or_b32 exec_lo, exec_lo, s12
	s_or_b32 exec_lo, exec_lo, s3
	s_and_saveexec_b32 s0, vcc_lo
	s_cbranch_execz .LBB113_7
.LBB113_19:
	s_wait_loadcnt 0x0
	v_maxmin_i32 v2, v16, v17, v18
	v_mov_b32_e32 v0, v1
	global_store_b32 v10, v2, s[4:5] scale_offset
	s_wait_xcnt 0x0
	s_or_b32 exec_lo, exec_lo, s0
	s_delay_alu instid0(SALU_CYCLE_1)
	s_mov_b32 s0, exec_lo
	v_cmpx_gt_i32_e64 s1, v0
	s_cbranch_execz .LBB113_8
.LBB113_20:
	s_wait_loadcnt 0x0
	v_maxmin_i32 v1, v13, v14, v15
	v_add_nc_u32_e32 v2, s2, v0
	v_add_nc_u32_e32 v0, 0x100, v0
	global_store_b32 v2, v1, s[4:5] scale_offset
	s_wait_xcnt 0x0
	s_or_b32 exec_lo, exec_lo, s0
	s_delay_alu instid0(SALU_CYCLE_1)
	s_mov_b32 s0, exec_lo
	v_cmpx_gt_i32_e64 s1, v0
	s_cbranch_execz .LBB113_9
.LBB113_21:
	v_maxmin_i32 v1, v12, v11, v3
	v_add_nc_u32_e32 v2, s2, v0
	v_add_nc_u32_e32 v0, 0x100, v0
	global_store_b32 v2, v1, s[4:5] scale_offset
	s_wait_xcnt 0x0
	s_or_b32 exec_lo, exec_lo, s0
	s_delay_alu instid0(SALU_CYCLE_1)
	s_mov_b32 s0, exec_lo
	v_cmpx_gt_i32_e64 s1, v0
	s_cbranch_execnz .LBB113_10
	s_branch .LBB113_11
	.section	.rodata,"a",@progbits
	.p2align	6, 0x0
	.amdhsa_kernel _ZN2at6native29vectorized_elementwise_kernelILi8EZZZNS0_12_GLOBAL__N_117clamp_kernel_implERNS_18TensorIteratorBaseEENKUlvE_clEvENKUlvE1_clEvEUliiiE_St5arrayIPcLm4EEEEviT0_T1_
		.amdhsa_group_segment_fixed_size 0
		.amdhsa_private_segment_fixed_size 0
		.amdhsa_kernarg_size 40
		.amdhsa_user_sgpr_count 2
		.amdhsa_user_sgpr_dispatch_ptr 0
		.amdhsa_user_sgpr_queue_ptr 0
		.amdhsa_user_sgpr_kernarg_segment_ptr 1
		.amdhsa_user_sgpr_dispatch_id 0
		.amdhsa_user_sgpr_kernarg_preload_length 0
		.amdhsa_user_sgpr_kernarg_preload_offset 0
		.amdhsa_user_sgpr_private_segment_size 0
		.amdhsa_wavefront_size32 1
		.amdhsa_uses_dynamic_stack 0
		.amdhsa_enable_private_segment 0
		.amdhsa_system_sgpr_workgroup_id_x 1
		.amdhsa_system_sgpr_workgroup_id_y 0
		.amdhsa_system_sgpr_workgroup_id_z 0
		.amdhsa_system_sgpr_workgroup_info 0
		.amdhsa_system_vgpr_workitem_id 0
		.amdhsa_next_free_vgpr 21
		.amdhsa_next_free_sgpr 20
		.amdhsa_named_barrier_count 0
		.amdhsa_reserve_vcc 1
		.amdhsa_float_round_mode_32 0
		.amdhsa_float_round_mode_16_64 0
		.amdhsa_float_denorm_mode_32 3
		.amdhsa_float_denorm_mode_16_64 3
		.amdhsa_fp16_overflow 0
		.amdhsa_memory_ordered 1
		.amdhsa_forward_progress 1
		.amdhsa_inst_pref_size 8
		.amdhsa_round_robin_scheduling 0
		.amdhsa_exception_fp_ieee_invalid_op 0
		.amdhsa_exception_fp_denorm_src 0
		.amdhsa_exception_fp_ieee_div_zero 0
		.amdhsa_exception_fp_ieee_overflow 0
		.amdhsa_exception_fp_ieee_underflow 0
		.amdhsa_exception_fp_ieee_inexact 0
		.amdhsa_exception_int_div_zero 0
	.end_amdhsa_kernel
	.section	.text._ZN2at6native29vectorized_elementwise_kernelILi8EZZZNS0_12_GLOBAL__N_117clamp_kernel_implERNS_18TensorIteratorBaseEENKUlvE_clEvENKUlvE1_clEvEUliiiE_St5arrayIPcLm4EEEEviT0_T1_,"axG",@progbits,_ZN2at6native29vectorized_elementwise_kernelILi8EZZZNS0_12_GLOBAL__N_117clamp_kernel_implERNS_18TensorIteratorBaseEENKUlvE_clEvENKUlvE1_clEvEUliiiE_St5arrayIPcLm4EEEEviT0_T1_,comdat
.Lfunc_end113:
	.size	_ZN2at6native29vectorized_elementwise_kernelILi8EZZZNS0_12_GLOBAL__N_117clamp_kernel_implERNS_18TensorIteratorBaseEENKUlvE_clEvENKUlvE1_clEvEUliiiE_St5arrayIPcLm4EEEEviT0_T1_, .Lfunc_end113-_ZN2at6native29vectorized_elementwise_kernelILi8EZZZNS0_12_GLOBAL__N_117clamp_kernel_implERNS_18TensorIteratorBaseEENKUlvE_clEvENKUlvE1_clEvEUliiiE_St5arrayIPcLm4EEEEviT0_T1_
                                        ; -- End function
	.set _ZN2at6native29vectorized_elementwise_kernelILi8EZZZNS0_12_GLOBAL__N_117clamp_kernel_implERNS_18TensorIteratorBaseEENKUlvE_clEvENKUlvE1_clEvEUliiiE_St5arrayIPcLm4EEEEviT0_T1_.num_vgpr, 21
	.set _ZN2at6native29vectorized_elementwise_kernelILi8EZZZNS0_12_GLOBAL__N_117clamp_kernel_implERNS_18TensorIteratorBaseEENKUlvE_clEvENKUlvE1_clEvEUliiiE_St5arrayIPcLm4EEEEviT0_T1_.num_agpr, 0
	.set _ZN2at6native29vectorized_elementwise_kernelILi8EZZZNS0_12_GLOBAL__N_117clamp_kernel_implERNS_18TensorIteratorBaseEENKUlvE_clEvENKUlvE1_clEvEUliiiE_St5arrayIPcLm4EEEEviT0_T1_.numbered_sgpr, 20
	.set _ZN2at6native29vectorized_elementwise_kernelILi8EZZZNS0_12_GLOBAL__N_117clamp_kernel_implERNS_18TensorIteratorBaseEENKUlvE_clEvENKUlvE1_clEvEUliiiE_St5arrayIPcLm4EEEEviT0_T1_.num_named_barrier, 0
	.set _ZN2at6native29vectorized_elementwise_kernelILi8EZZZNS0_12_GLOBAL__N_117clamp_kernel_implERNS_18TensorIteratorBaseEENKUlvE_clEvENKUlvE1_clEvEUliiiE_St5arrayIPcLm4EEEEviT0_T1_.private_seg_size, 0
	.set _ZN2at6native29vectorized_elementwise_kernelILi8EZZZNS0_12_GLOBAL__N_117clamp_kernel_implERNS_18TensorIteratorBaseEENKUlvE_clEvENKUlvE1_clEvEUliiiE_St5arrayIPcLm4EEEEviT0_T1_.uses_vcc, 1
	.set _ZN2at6native29vectorized_elementwise_kernelILi8EZZZNS0_12_GLOBAL__N_117clamp_kernel_implERNS_18TensorIteratorBaseEENKUlvE_clEvENKUlvE1_clEvEUliiiE_St5arrayIPcLm4EEEEviT0_T1_.uses_flat_scratch, 0
	.set _ZN2at6native29vectorized_elementwise_kernelILi8EZZZNS0_12_GLOBAL__N_117clamp_kernel_implERNS_18TensorIteratorBaseEENKUlvE_clEvENKUlvE1_clEvEUliiiE_St5arrayIPcLm4EEEEviT0_T1_.has_dyn_sized_stack, 0
	.set _ZN2at6native29vectorized_elementwise_kernelILi8EZZZNS0_12_GLOBAL__N_117clamp_kernel_implERNS_18TensorIteratorBaseEENKUlvE_clEvENKUlvE1_clEvEUliiiE_St5arrayIPcLm4EEEEviT0_T1_.has_recursion, 0
	.set _ZN2at6native29vectorized_elementwise_kernelILi8EZZZNS0_12_GLOBAL__N_117clamp_kernel_implERNS_18TensorIteratorBaseEENKUlvE_clEvENKUlvE1_clEvEUliiiE_St5arrayIPcLm4EEEEviT0_T1_.has_indirect_call, 0
	.section	.AMDGPU.csdata,"",@progbits
; Kernel info:
; codeLenInByte = 980
; TotalNumSgprs: 22
; NumVgprs: 21
; ScratchSize: 0
; MemoryBound: 1
; FloatMode: 240
; IeeeMode: 1
; LDSByteSize: 0 bytes/workgroup (compile time only)
; SGPRBlocks: 0
; VGPRBlocks: 1
; NumSGPRsForWavesPerEU: 22
; NumVGPRsForWavesPerEU: 21
; NamedBarCnt: 0
; Occupancy: 16
; WaveLimiterHint : 0
; COMPUTE_PGM_RSRC2:SCRATCH_EN: 0
; COMPUTE_PGM_RSRC2:USER_SGPR: 2
; COMPUTE_PGM_RSRC2:TRAP_HANDLER: 0
; COMPUTE_PGM_RSRC2:TGID_X_EN: 1
; COMPUTE_PGM_RSRC2:TGID_Y_EN: 0
; COMPUTE_PGM_RSRC2:TGID_Z_EN: 0
; COMPUTE_PGM_RSRC2:TIDIG_COMP_CNT: 0
	.section	.text._ZN2at6native29vectorized_elementwise_kernelILi4EZZZNS0_12_GLOBAL__N_117clamp_kernel_implERNS_18TensorIteratorBaseEENKUlvE_clEvENKUlvE1_clEvEUliiiE_St5arrayIPcLm4EEEEviT0_T1_,"axG",@progbits,_ZN2at6native29vectorized_elementwise_kernelILi4EZZZNS0_12_GLOBAL__N_117clamp_kernel_implERNS_18TensorIteratorBaseEENKUlvE_clEvENKUlvE1_clEvEUliiiE_St5arrayIPcLm4EEEEviT0_T1_,comdat
	.globl	_ZN2at6native29vectorized_elementwise_kernelILi4EZZZNS0_12_GLOBAL__N_117clamp_kernel_implERNS_18TensorIteratorBaseEENKUlvE_clEvENKUlvE1_clEvEUliiiE_St5arrayIPcLm4EEEEviT0_T1_ ; -- Begin function _ZN2at6native29vectorized_elementwise_kernelILi4EZZZNS0_12_GLOBAL__N_117clamp_kernel_implERNS_18TensorIteratorBaseEENKUlvE_clEvENKUlvE1_clEvEUliiiE_St5arrayIPcLm4EEEEviT0_T1_
	.p2align	8
	.type	_ZN2at6native29vectorized_elementwise_kernelILi4EZZZNS0_12_GLOBAL__N_117clamp_kernel_implERNS_18TensorIteratorBaseEENKUlvE_clEvENKUlvE1_clEvEUliiiE_St5arrayIPcLm4EEEEviT0_T1_,@function
_ZN2at6native29vectorized_elementwise_kernelILi4EZZZNS0_12_GLOBAL__N_117clamp_kernel_implERNS_18TensorIteratorBaseEENKUlvE_clEvENKUlvE1_clEvEUliiiE_St5arrayIPcLm4EEEEviT0_T1_: ; @_ZN2at6native29vectorized_elementwise_kernelILi4EZZZNS0_12_GLOBAL__N_117clamp_kernel_implERNS_18TensorIteratorBaseEENKUlvE_clEvENKUlvE1_clEvEUliiiE_St5arrayIPcLm4EEEEviT0_T1_
; %bb.0:
	s_clause 0x1
	s_load_b32 s3, s[0:1], 0x0
	s_load_b256 s[4:11], s[0:1], 0x8
	s_wait_xcnt 0x0
	s_bfe_u32 s0, ttmp6, 0x4000c
	s_and_b32 s1, ttmp6, 15
	s_add_co_i32 s0, s0, 1
	s_getreg_b32 s2, hwreg(HW_REG_IB_STS2, 6, 4)
	s_mul_i32 s0, ttmp9, s0
	s_delay_alu instid0(SALU_CYCLE_1) | instskip(SKIP_2) | instid1(SALU_CYCLE_1)
	s_add_co_i32 s1, s1, s0
	s_cmp_eq_u32 s2, 0
	s_cselect_b32 s0, ttmp9, s1
	s_lshl_b32 s2, s0, 10
	s_mov_b32 s0, -1
	s_wait_kmcnt 0x0
	s_sub_co_i32 s1, s3, s2
	s_delay_alu instid0(SALU_CYCLE_1)
	s_cmp_gt_i32 s1, 0x3ff
	s_cbranch_scc0 .LBB114_2
; %bb.1:
	s_ashr_i32 s3, s2, 31
	s_mov_b32 s0, 0
	s_lshl_b64 s[12:13], s[2:3], 2
	s_delay_alu instid0(SALU_CYCLE_1)
	s_add_nc_u64 s[14:15], s[6:7], s[12:13]
	s_add_nc_u64 s[16:17], s[8:9], s[12:13]
	;; [unrolled: 1-line block ×3, first 2 shown]
	s_clause 0x2
	global_load_b128 v[2:5], v0, s[14:15] scale_offset
	global_load_b128 v[6:9], v0, s[16:17] scale_offset
	;; [unrolled: 1-line block ×3, first 2 shown]
	s_add_nc_u64 s[12:13], s[4:5], s[12:13]
	s_wait_loadcnt 0x0
	v_maxmin_i32 v5, v5, v9, v13
	v_maxmin_i32 v4, v4, v8, v12
	;; [unrolled: 1-line block ×4, first 2 shown]
	global_store_b128 v0, v[2:5], s[12:13] scale_offset
.LBB114_2:
	s_and_not1_b32 vcc_lo, exec_lo, s0
	s_cbranch_vccnz .LBB114_11
; %bb.3:
	v_cmp_le_i32_e64 s0, s1, v0
	v_or_b32_e32 v1, 0x100, v0
	v_cmp_gt_i32_e32 vcc_lo, s1, v0
	s_wait_xcnt 0x0
	s_and_saveexec_b32 s3, s0
	s_delay_alu instid0(SALU_CYCLE_1)
	s_xor_b32 s0, exec_lo, s3
; %bb.4:
	v_or_b32_e32 v1, 0x100, v0
; %bb.5:
	s_or_saveexec_b32 s3, s0
	v_dual_mov_b32 v4, 0 :: v_dual_bitop2_b32 v10, s2, v0 bitop3:0x54
	v_dual_mov_b32 v12, 0 :: v_dual_mov_b32 v11, 0
	v_dual_mov_b32 v3, 0 :: v_dual_mov_b32 v13, 0
	;; [unrolled: 1-line block ×4, first 2 shown]
	v_mov_b32_e32 v18, 0
	s_xor_b32 exec_lo, exec_lo, s3
	s_cbranch_execnz .LBB114_12
; %bb.6:
	s_or_b32 exec_lo, exec_lo, s3
	s_and_saveexec_b32 s0, vcc_lo
	s_cbranch_execnz .LBB114_19
.LBB114_7:
	s_or_b32 exec_lo, exec_lo, s0
	s_delay_alu instid0(SALU_CYCLE_1)
	s_mov_b32 s0, exec_lo
	v_cmpx_gt_i32_e64 s1, v0
	s_cbranch_execnz .LBB114_20
.LBB114_8:
	s_or_b32 exec_lo, exec_lo, s0
	s_delay_alu instid0(SALU_CYCLE_1)
	s_mov_b32 s0, exec_lo
	v_cmpx_gt_i32_e64 s1, v0
	s_cbranch_execnz .LBB114_21
.LBB114_9:
	s_or_b32 exec_lo, exec_lo, s0
	s_delay_alu instid0(SALU_CYCLE_1)
	s_mov_b32 s0, exec_lo
	v_cmpx_gt_i32_e64 s1, v0
	s_cbranch_execz .LBB114_11
.LBB114_10:
	v_add_nc_u32_e32 v0, s2, v0
	global_store_b32 v0, v4, s[4:5] scale_offset
.LBB114_11:
	s_endpgm
.LBB114_12:
	s_clause 0x2
	global_load_b32 v16, v10, s[6:7] scale_offset
	global_load_b32 v17, v10, s[8:9] scale_offset
	;; [unrolled: 1-line block ×3, first 2 shown]
	v_dual_mov_b32 v15, 0 :: v_dual_mov_b32 v14, 0
	v_dual_mov_b32 v13, 0 :: v_dual_mov_b32 v3, 0
	;; [unrolled: 1-line block ×3, first 2 shown]
	v_mov_b32_e32 v4, 0
	s_mov_b32 s12, exec_lo
	s_wait_xcnt 0x0
	v_cmpx_gt_u32_e64 s1, v1
	s_cbranch_execz .LBB114_18
; %bb.13:
	v_dual_mov_b32 v3, 0 :: v_dual_add_nc_u32 v2, s2, v0
	v_or_b32_e32 v4, 0x200, v0
	v_dual_mov_b32 v11, 0 :: v_dual_mov_b32 v12, 0
	s_clause 0x2
	global_load_b32 v13, v2, s[6:7] offset:1024 scale_offset
	global_load_b32 v14, v2, s[8:9] offset:1024 scale_offset
	;; [unrolled: 1-line block ×3, first 2 shown]
	v_cmp_gt_u32_e64 s0, s1, v4
	v_mov_b32_e32 v4, 0
	s_wait_xcnt 0x0
	s_and_saveexec_b32 s13, s0
	s_cbranch_execz .LBB114_17
; %bb.14:
	v_lshlrev_b64_e32 v[8:9], 2, v[2:3]
	v_or_b32_e32 v19, 0x300, v0
	s_delay_alu instid0(VALU_DEP_2)
	v_add_nc_u64_e32 v[4:5], s[6:7], v[8:9]
	v_add_nc_u64_e32 v[6:7], s[8:9], v[8:9]
	;; [unrolled: 1-line block ×3, first 2 shown]
	s_mov_b32 s6, exec_lo
	global_load_b32 v12, v[4:5], off offset:2048
	global_load_b32 v11, v[6:7], off offset:2048
	;; [unrolled: 1-line block ×3, first 2 shown]
	s_wait_xcnt 0x0
	v_cmpx_gt_u32_e64 s1, v19
	s_cbranch_execz .LBB114_16
; %bb.15:
	global_load_b32 v3, v[4:5], off offset:3072
	global_load_b32 v19, v[6:7], off offset:3072
	global_load_b32 v20, v[8:9], off offset:3072
	s_wait_loadcnt 0x0
	v_maxmin_i32 v3, v3, v19, v20
.LBB114_16:
	s_wait_xcnt 0x0
	s_or_b32 exec_lo, exec_lo, s6
	s_wait_loadcnt 0x0
	s_delay_alu instid0(VALU_DEP_1)
	v_dual_mov_b32 v4, v3 :: v_dual_mov_b32 v3, v2
.LBB114_17:
	s_or_b32 exec_lo, exec_lo, s13
.LBB114_18:
	s_delay_alu instid0(SALU_CYCLE_1) | instskip(NEXT) | instid1(SALU_CYCLE_1)
	s_or_b32 exec_lo, exec_lo, s12
	s_or_b32 exec_lo, exec_lo, s3
	s_and_saveexec_b32 s0, vcc_lo
	s_cbranch_execz .LBB114_7
.LBB114_19:
	s_wait_loadcnt 0x0
	v_maxmin_i32 v2, v16, v17, v18
	v_mov_b32_e32 v0, v1
	global_store_b32 v10, v2, s[4:5] scale_offset
	s_wait_xcnt 0x0
	s_or_b32 exec_lo, exec_lo, s0
	s_delay_alu instid0(SALU_CYCLE_1)
	s_mov_b32 s0, exec_lo
	v_cmpx_gt_i32_e64 s1, v0
	s_cbranch_execz .LBB114_8
.LBB114_20:
	s_wait_loadcnt 0x0
	v_maxmin_i32 v1, v13, v14, v15
	v_add_nc_u32_e32 v2, s2, v0
	v_add_nc_u32_e32 v0, 0x100, v0
	global_store_b32 v2, v1, s[4:5] scale_offset
	s_wait_xcnt 0x0
	s_or_b32 exec_lo, exec_lo, s0
	s_delay_alu instid0(SALU_CYCLE_1)
	s_mov_b32 s0, exec_lo
	v_cmpx_gt_i32_e64 s1, v0
	s_cbranch_execz .LBB114_9
.LBB114_21:
	v_maxmin_i32 v1, v12, v11, v3
	v_add_nc_u32_e32 v2, s2, v0
	v_add_nc_u32_e32 v0, 0x100, v0
	global_store_b32 v2, v1, s[4:5] scale_offset
	s_wait_xcnt 0x0
	s_or_b32 exec_lo, exec_lo, s0
	s_delay_alu instid0(SALU_CYCLE_1)
	s_mov_b32 s0, exec_lo
	v_cmpx_gt_i32_e64 s1, v0
	s_cbranch_execnz .LBB114_10
	s_branch .LBB114_11
	.section	.rodata,"a",@progbits
	.p2align	6, 0x0
	.amdhsa_kernel _ZN2at6native29vectorized_elementwise_kernelILi4EZZZNS0_12_GLOBAL__N_117clamp_kernel_implERNS_18TensorIteratorBaseEENKUlvE_clEvENKUlvE1_clEvEUliiiE_St5arrayIPcLm4EEEEviT0_T1_
		.amdhsa_group_segment_fixed_size 0
		.amdhsa_private_segment_fixed_size 0
		.amdhsa_kernarg_size 40
		.amdhsa_user_sgpr_count 2
		.amdhsa_user_sgpr_dispatch_ptr 0
		.amdhsa_user_sgpr_queue_ptr 0
		.amdhsa_user_sgpr_kernarg_segment_ptr 1
		.amdhsa_user_sgpr_dispatch_id 0
		.amdhsa_user_sgpr_kernarg_preload_length 0
		.amdhsa_user_sgpr_kernarg_preload_offset 0
		.amdhsa_user_sgpr_private_segment_size 0
		.amdhsa_wavefront_size32 1
		.amdhsa_uses_dynamic_stack 0
		.amdhsa_enable_private_segment 0
		.amdhsa_system_sgpr_workgroup_id_x 1
		.amdhsa_system_sgpr_workgroup_id_y 0
		.amdhsa_system_sgpr_workgroup_id_z 0
		.amdhsa_system_sgpr_workgroup_info 0
		.amdhsa_system_vgpr_workitem_id 0
		.amdhsa_next_free_vgpr 21
		.amdhsa_next_free_sgpr 20
		.amdhsa_named_barrier_count 0
		.amdhsa_reserve_vcc 1
		.amdhsa_float_round_mode_32 0
		.amdhsa_float_round_mode_16_64 0
		.amdhsa_float_denorm_mode_32 3
		.amdhsa_float_denorm_mode_16_64 3
		.amdhsa_fp16_overflow 0
		.amdhsa_memory_ordered 1
		.amdhsa_forward_progress 1
		.amdhsa_inst_pref_size 8
		.amdhsa_round_robin_scheduling 0
		.amdhsa_exception_fp_ieee_invalid_op 0
		.amdhsa_exception_fp_denorm_src 0
		.amdhsa_exception_fp_ieee_div_zero 0
		.amdhsa_exception_fp_ieee_overflow 0
		.amdhsa_exception_fp_ieee_underflow 0
		.amdhsa_exception_fp_ieee_inexact 0
		.amdhsa_exception_int_div_zero 0
	.end_amdhsa_kernel
	.section	.text._ZN2at6native29vectorized_elementwise_kernelILi4EZZZNS0_12_GLOBAL__N_117clamp_kernel_implERNS_18TensorIteratorBaseEENKUlvE_clEvENKUlvE1_clEvEUliiiE_St5arrayIPcLm4EEEEviT0_T1_,"axG",@progbits,_ZN2at6native29vectorized_elementwise_kernelILi4EZZZNS0_12_GLOBAL__N_117clamp_kernel_implERNS_18TensorIteratorBaseEENKUlvE_clEvENKUlvE1_clEvEUliiiE_St5arrayIPcLm4EEEEviT0_T1_,comdat
.Lfunc_end114:
	.size	_ZN2at6native29vectorized_elementwise_kernelILi4EZZZNS0_12_GLOBAL__N_117clamp_kernel_implERNS_18TensorIteratorBaseEENKUlvE_clEvENKUlvE1_clEvEUliiiE_St5arrayIPcLm4EEEEviT0_T1_, .Lfunc_end114-_ZN2at6native29vectorized_elementwise_kernelILi4EZZZNS0_12_GLOBAL__N_117clamp_kernel_implERNS_18TensorIteratorBaseEENKUlvE_clEvENKUlvE1_clEvEUliiiE_St5arrayIPcLm4EEEEviT0_T1_
                                        ; -- End function
	.set _ZN2at6native29vectorized_elementwise_kernelILi4EZZZNS0_12_GLOBAL__N_117clamp_kernel_implERNS_18TensorIteratorBaseEENKUlvE_clEvENKUlvE1_clEvEUliiiE_St5arrayIPcLm4EEEEviT0_T1_.num_vgpr, 21
	.set _ZN2at6native29vectorized_elementwise_kernelILi4EZZZNS0_12_GLOBAL__N_117clamp_kernel_implERNS_18TensorIteratorBaseEENKUlvE_clEvENKUlvE1_clEvEUliiiE_St5arrayIPcLm4EEEEviT0_T1_.num_agpr, 0
	.set _ZN2at6native29vectorized_elementwise_kernelILi4EZZZNS0_12_GLOBAL__N_117clamp_kernel_implERNS_18TensorIteratorBaseEENKUlvE_clEvENKUlvE1_clEvEUliiiE_St5arrayIPcLm4EEEEviT0_T1_.numbered_sgpr, 20
	.set _ZN2at6native29vectorized_elementwise_kernelILi4EZZZNS0_12_GLOBAL__N_117clamp_kernel_implERNS_18TensorIteratorBaseEENKUlvE_clEvENKUlvE1_clEvEUliiiE_St5arrayIPcLm4EEEEviT0_T1_.num_named_barrier, 0
	.set _ZN2at6native29vectorized_elementwise_kernelILi4EZZZNS0_12_GLOBAL__N_117clamp_kernel_implERNS_18TensorIteratorBaseEENKUlvE_clEvENKUlvE1_clEvEUliiiE_St5arrayIPcLm4EEEEviT0_T1_.private_seg_size, 0
	.set _ZN2at6native29vectorized_elementwise_kernelILi4EZZZNS0_12_GLOBAL__N_117clamp_kernel_implERNS_18TensorIteratorBaseEENKUlvE_clEvENKUlvE1_clEvEUliiiE_St5arrayIPcLm4EEEEviT0_T1_.uses_vcc, 1
	.set _ZN2at6native29vectorized_elementwise_kernelILi4EZZZNS0_12_GLOBAL__N_117clamp_kernel_implERNS_18TensorIteratorBaseEENKUlvE_clEvENKUlvE1_clEvEUliiiE_St5arrayIPcLm4EEEEviT0_T1_.uses_flat_scratch, 0
	.set _ZN2at6native29vectorized_elementwise_kernelILi4EZZZNS0_12_GLOBAL__N_117clamp_kernel_implERNS_18TensorIteratorBaseEENKUlvE_clEvENKUlvE1_clEvEUliiiE_St5arrayIPcLm4EEEEviT0_T1_.has_dyn_sized_stack, 0
	.set _ZN2at6native29vectorized_elementwise_kernelILi4EZZZNS0_12_GLOBAL__N_117clamp_kernel_implERNS_18TensorIteratorBaseEENKUlvE_clEvENKUlvE1_clEvEUliiiE_St5arrayIPcLm4EEEEviT0_T1_.has_recursion, 0
	.set _ZN2at6native29vectorized_elementwise_kernelILi4EZZZNS0_12_GLOBAL__N_117clamp_kernel_implERNS_18TensorIteratorBaseEENKUlvE_clEvENKUlvE1_clEvEUliiiE_St5arrayIPcLm4EEEEviT0_T1_.has_indirect_call, 0
	.section	.AMDGPU.csdata,"",@progbits
; Kernel info:
; codeLenInByte = 980
; TotalNumSgprs: 22
; NumVgprs: 21
; ScratchSize: 0
; MemoryBound: 1
; FloatMode: 240
; IeeeMode: 1
; LDSByteSize: 0 bytes/workgroup (compile time only)
; SGPRBlocks: 0
; VGPRBlocks: 1
; NumSGPRsForWavesPerEU: 22
; NumVGPRsForWavesPerEU: 21
; NamedBarCnt: 0
; Occupancy: 16
; WaveLimiterHint : 0
; COMPUTE_PGM_RSRC2:SCRATCH_EN: 0
; COMPUTE_PGM_RSRC2:USER_SGPR: 2
; COMPUTE_PGM_RSRC2:TRAP_HANDLER: 0
; COMPUTE_PGM_RSRC2:TGID_X_EN: 1
; COMPUTE_PGM_RSRC2:TGID_Y_EN: 0
; COMPUTE_PGM_RSRC2:TGID_Z_EN: 0
; COMPUTE_PGM_RSRC2:TIDIG_COMP_CNT: 0
	.section	.text._ZN2at6native29vectorized_elementwise_kernelILi2EZZZNS0_12_GLOBAL__N_117clamp_kernel_implERNS_18TensorIteratorBaseEENKUlvE_clEvENKUlvE1_clEvEUliiiE_St5arrayIPcLm4EEEEviT0_T1_,"axG",@progbits,_ZN2at6native29vectorized_elementwise_kernelILi2EZZZNS0_12_GLOBAL__N_117clamp_kernel_implERNS_18TensorIteratorBaseEENKUlvE_clEvENKUlvE1_clEvEUliiiE_St5arrayIPcLm4EEEEviT0_T1_,comdat
	.globl	_ZN2at6native29vectorized_elementwise_kernelILi2EZZZNS0_12_GLOBAL__N_117clamp_kernel_implERNS_18TensorIteratorBaseEENKUlvE_clEvENKUlvE1_clEvEUliiiE_St5arrayIPcLm4EEEEviT0_T1_ ; -- Begin function _ZN2at6native29vectorized_elementwise_kernelILi2EZZZNS0_12_GLOBAL__N_117clamp_kernel_implERNS_18TensorIteratorBaseEENKUlvE_clEvENKUlvE1_clEvEUliiiE_St5arrayIPcLm4EEEEviT0_T1_
	.p2align	8
	.type	_ZN2at6native29vectorized_elementwise_kernelILi2EZZZNS0_12_GLOBAL__N_117clamp_kernel_implERNS_18TensorIteratorBaseEENKUlvE_clEvENKUlvE1_clEvEUliiiE_St5arrayIPcLm4EEEEviT0_T1_,@function
_ZN2at6native29vectorized_elementwise_kernelILi2EZZZNS0_12_GLOBAL__N_117clamp_kernel_implERNS_18TensorIteratorBaseEENKUlvE_clEvENKUlvE1_clEvEUliiiE_St5arrayIPcLm4EEEEviT0_T1_: ; @_ZN2at6native29vectorized_elementwise_kernelILi2EZZZNS0_12_GLOBAL__N_117clamp_kernel_implERNS_18TensorIteratorBaseEENKUlvE_clEvENKUlvE1_clEvEUliiiE_St5arrayIPcLm4EEEEviT0_T1_
; %bb.0:
	s_clause 0x1
	s_load_b32 s3, s[0:1], 0x0
	s_load_b256 s[4:11], s[0:1], 0x8
	s_wait_xcnt 0x0
	s_bfe_u32 s0, ttmp6, 0x4000c
	s_and_b32 s1, ttmp6, 15
	s_add_co_i32 s0, s0, 1
	s_getreg_b32 s2, hwreg(HW_REG_IB_STS2, 6, 4)
	s_mul_i32 s0, ttmp9, s0
	s_delay_alu instid0(SALU_CYCLE_1) | instskip(SKIP_2) | instid1(SALU_CYCLE_1)
	s_add_co_i32 s1, s1, s0
	s_cmp_eq_u32 s2, 0
	s_cselect_b32 s0, ttmp9, s1
	s_lshl_b32 s2, s0, 10
	s_mov_b32 s0, -1
	s_wait_kmcnt 0x0
	s_sub_co_i32 s1, s3, s2
	s_delay_alu instid0(SALU_CYCLE_1)
	s_cmp_gt_i32 s1, 0x3ff
	s_cbranch_scc0 .LBB115_2
; %bb.1:
	s_ashr_i32 s3, s2, 31
	s_mov_b32 s0, 0
	s_lshl_b64 s[12:13], s[2:3], 2
	s_delay_alu instid0(SALU_CYCLE_1)
	s_add_nc_u64 s[16:17], s[10:11], s[12:13]
	s_add_nc_u64 s[14:15], s[6:7], s[12:13]
	;; [unrolled: 1-line block ×3, first 2 shown]
	s_clause 0x5
	global_load_b64 v[2:3], v0, s[16:17] scale_offset
	global_load_b64 v[4:5], v0, s[14:15] scale_offset
	global_load_b64 v[6:7], v0, s[14:15] offset:2048 scale_offset
	global_load_b64 v[8:9], v0, s[18:19] scale_offset
	global_load_b64 v[10:11], v0, s[18:19] offset:2048 scale_offset
	global_load_b64 v[12:13], v0, s[16:17] offset:2048 scale_offset
	s_add_nc_u64 s[12:13], s[4:5], s[12:13]
	s_wait_loadcnt 0x2
	v_maxmin_i32 v2, v4, v8, v2
	v_maxmin_i32 v3, v5, v9, v3
	s_wait_loadcnt 0x0
	v_maxmin_i32 v4, v6, v10, v12
	v_maxmin_i32 v5, v7, v11, v13
	s_clause 0x1
	global_store_b64 v0, v[2:3], s[12:13] scale_offset
	global_store_b64 v0, v[4:5], s[12:13] offset:2048 scale_offset
.LBB115_2:
	s_and_not1_b32 vcc_lo, exec_lo, s0
	s_cbranch_vccnz .LBB115_11
; %bb.3:
	v_cmp_le_i32_e64 s0, s1, v0
	v_or_b32_e32 v1, 0x100, v0
	v_cmp_gt_i32_e32 vcc_lo, s1, v0
	s_wait_xcnt 0x0
	s_and_saveexec_b32 s3, s0
	s_delay_alu instid0(SALU_CYCLE_1)
	s_xor_b32 s0, exec_lo, s3
; %bb.4:
	v_or_b32_e32 v1, 0x100, v0
; %bb.5:
	s_or_saveexec_b32 s3, s0
	v_dual_mov_b32 v4, 0 :: v_dual_bitop2_b32 v10, s2, v0 bitop3:0x54
	v_dual_mov_b32 v12, 0 :: v_dual_mov_b32 v11, 0
	v_dual_mov_b32 v3, 0 :: v_dual_mov_b32 v13, 0
	;; [unrolled: 1-line block ×4, first 2 shown]
	v_mov_b32_e32 v18, 0
	s_xor_b32 exec_lo, exec_lo, s3
	s_cbranch_execnz .LBB115_12
; %bb.6:
	s_or_b32 exec_lo, exec_lo, s3
	s_and_saveexec_b32 s0, vcc_lo
	s_cbranch_execnz .LBB115_19
.LBB115_7:
	s_or_b32 exec_lo, exec_lo, s0
	s_delay_alu instid0(SALU_CYCLE_1)
	s_mov_b32 s0, exec_lo
	v_cmpx_gt_i32_e64 s1, v0
	s_cbranch_execnz .LBB115_20
.LBB115_8:
	s_or_b32 exec_lo, exec_lo, s0
	s_delay_alu instid0(SALU_CYCLE_1)
	s_mov_b32 s0, exec_lo
	v_cmpx_gt_i32_e64 s1, v0
	s_cbranch_execnz .LBB115_21
.LBB115_9:
	s_or_b32 exec_lo, exec_lo, s0
	s_delay_alu instid0(SALU_CYCLE_1)
	s_mov_b32 s0, exec_lo
	v_cmpx_gt_i32_e64 s1, v0
	s_cbranch_execz .LBB115_11
.LBB115_10:
	v_add_nc_u32_e32 v0, s2, v0
	global_store_b32 v0, v4, s[4:5] scale_offset
.LBB115_11:
	s_endpgm
.LBB115_12:
	s_clause 0x2
	global_load_b32 v16, v10, s[6:7] scale_offset
	global_load_b32 v17, v10, s[8:9] scale_offset
	;; [unrolled: 1-line block ×3, first 2 shown]
	v_dual_mov_b32 v15, 0 :: v_dual_mov_b32 v14, 0
	v_dual_mov_b32 v13, 0 :: v_dual_mov_b32 v3, 0
	;; [unrolled: 1-line block ×3, first 2 shown]
	v_mov_b32_e32 v4, 0
	s_mov_b32 s12, exec_lo
	s_wait_xcnt 0x0
	v_cmpx_gt_u32_e64 s1, v1
	s_cbranch_execz .LBB115_18
; %bb.13:
	v_dual_mov_b32 v3, 0 :: v_dual_add_nc_u32 v2, s2, v0
	v_or_b32_e32 v4, 0x200, v0
	v_dual_mov_b32 v11, 0 :: v_dual_mov_b32 v12, 0
	s_clause 0x2
	global_load_b32 v13, v2, s[6:7] offset:1024 scale_offset
	global_load_b32 v14, v2, s[8:9] offset:1024 scale_offset
	;; [unrolled: 1-line block ×3, first 2 shown]
	v_cmp_gt_u32_e64 s0, s1, v4
	v_mov_b32_e32 v4, 0
	s_wait_xcnt 0x0
	s_and_saveexec_b32 s13, s0
	s_cbranch_execz .LBB115_17
; %bb.14:
	v_lshlrev_b64_e32 v[8:9], 2, v[2:3]
	v_or_b32_e32 v19, 0x300, v0
	s_delay_alu instid0(VALU_DEP_2)
	v_add_nc_u64_e32 v[4:5], s[6:7], v[8:9]
	v_add_nc_u64_e32 v[6:7], s[8:9], v[8:9]
	;; [unrolled: 1-line block ×3, first 2 shown]
	s_mov_b32 s6, exec_lo
	global_load_b32 v12, v[4:5], off offset:2048
	global_load_b32 v11, v[6:7], off offset:2048
	;; [unrolled: 1-line block ×3, first 2 shown]
	s_wait_xcnt 0x0
	v_cmpx_gt_u32_e64 s1, v19
	s_cbranch_execz .LBB115_16
; %bb.15:
	global_load_b32 v3, v[4:5], off offset:3072
	global_load_b32 v19, v[6:7], off offset:3072
	;; [unrolled: 1-line block ×3, first 2 shown]
	s_wait_loadcnt 0x0
	v_maxmin_i32 v3, v3, v19, v20
.LBB115_16:
	s_wait_xcnt 0x0
	s_or_b32 exec_lo, exec_lo, s6
	s_wait_loadcnt 0x0
	s_delay_alu instid0(VALU_DEP_1)
	v_dual_mov_b32 v4, v3 :: v_dual_mov_b32 v3, v2
.LBB115_17:
	s_or_b32 exec_lo, exec_lo, s13
.LBB115_18:
	s_delay_alu instid0(SALU_CYCLE_1) | instskip(NEXT) | instid1(SALU_CYCLE_1)
	s_or_b32 exec_lo, exec_lo, s12
	s_or_b32 exec_lo, exec_lo, s3
	s_and_saveexec_b32 s0, vcc_lo
	s_cbranch_execz .LBB115_7
.LBB115_19:
	s_wait_loadcnt 0x0
	v_maxmin_i32 v2, v16, v17, v18
	v_mov_b32_e32 v0, v1
	global_store_b32 v10, v2, s[4:5] scale_offset
	s_wait_xcnt 0x0
	s_or_b32 exec_lo, exec_lo, s0
	s_delay_alu instid0(SALU_CYCLE_1)
	s_mov_b32 s0, exec_lo
	v_cmpx_gt_i32_e64 s1, v0
	s_cbranch_execz .LBB115_8
.LBB115_20:
	s_wait_loadcnt 0x0
	v_maxmin_i32 v1, v13, v14, v15
	v_add_nc_u32_e32 v2, s2, v0
	v_add_nc_u32_e32 v0, 0x100, v0
	global_store_b32 v2, v1, s[4:5] scale_offset
	s_wait_xcnt 0x0
	s_or_b32 exec_lo, exec_lo, s0
	s_delay_alu instid0(SALU_CYCLE_1)
	s_mov_b32 s0, exec_lo
	v_cmpx_gt_i32_e64 s1, v0
	s_cbranch_execz .LBB115_9
.LBB115_21:
	v_maxmin_i32 v1, v12, v11, v3
	v_add_nc_u32_e32 v2, s2, v0
	v_add_nc_u32_e32 v0, 0x100, v0
	global_store_b32 v2, v1, s[4:5] scale_offset
	s_wait_xcnt 0x0
	s_or_b32 exec_lo, exec_lo, s0
	s_delay_alu instid0(SALU_CYCLE_1)
	s_mov_b32 s0, exec_lo
	v_cmpx_gt_i32_e64 s1, v0
	s_cbranch_execnz .LBB115_10
	s_branch .LBB115_11
	.section	.rodata,"a",@progbits
	.p2align	6, 0x0
	.amdhsa_kernel _ZN2at6native29vectorized_elementwise_kernelILi2EZZZNS0_12_GLOBAL__N_117clamp_kernel_implERNS_18TensorIteratorBaseEENKUlvE_clEvENKUlvE1_clEvEUliiiE_St5arrayIPcLm4EEEEviT0_T1_
		.amdhsa_group_segment_fixed_size 0
		.amdhsa_private_segment_fixed_size 0
		.amdhsa_kernarg_size 40
		.amdhsa_user_sgpr_count 2
		.amdhsa_user_sgpr_dispatch_ptr 0
		.amdhsa_user_sgpr_queue_ptr 0
		.amdhsa_user_sgpr_kernarg_segment_ptr 1
		.amdhsa_user_sgpr_dispatch_id 0
		.amdhsa_user_sgpr_kernarg_preload_length 0
		.amdhsa_user_sgpr_kernarg_preload_offset 0
		.amdhsa_user_sgpr_private_segment_size 0
		.amdhsa_wavefront_size32 1
		.amdhsa_uses_dynamic_stack 0
		.amdhsa_enable_private_segment 0
		.amdhsa_system_sgpr_workgroup_id_x 1
		.amdhsa_system_sgpr_workgroup_id_y 0
		.amdhsa_system_sgpr_workgroup_id_z 0
		.amdhsa_system_sgpr_workgroup_info 0
		.amdhsa_system_vgpr_workitem_id 0
		.amdhsa_next_free_vgpr 21
		.amdhsa_next_free_sgpr 20
		.amdhsa_named_barrier_count 0
		.amdhsa_reserve_vcc 1
		.amdhsa_float_round_mode_32 0
		.amdhsa_float_round_mode_16_64 0
		.amdhsa_float_denorm_mode_32 3
		.amdhsa_float_denorm_mode_16_64 3
		.amdhsa_fp16_overflow 0
		.amdhsa_memory_ordered 1
		.amdhsa_forward_progress 1
		.amdhsa_inst_pref_size 9
		.amdhsa_round_robin_scheduling 0
		.amdhsa_exception_fp_ieee_invalid_op 0
		.amdhsa_exception_fp_denorm_src 0
		.amdhsa_exception_fp_ieee_div_zero 0
		.amdhsa_exception_fp_ieee_overflow 0
		.amdhsa_exception_fp_ieee_underflow 0
		.amdhsa_exception_fp_ieee_inexact 0
		.amdhsa_exception_int_div_zero 0
	.end_amdhsa_kernel
	.section	.text._ZN2at6native29vectorized_elementwise_kernelILi2EZZZNS0_12_GLOBAL__N_117clamp_kernel_implERNS_18TensorIteratorBaseEENKUlvE_clEvENKUlvE1_clEvEUliiiE_St5arrayIPcLm4EEEEviT0_T1_,"axG",@progbits,_ZN2at6native29vectorized_elementwise_kernelILi2EZZZNS0_12_GLOBAL__N_117clamp_kernel_implERNS_18TensorIteratorBaseEENKUlvE_clEvENKUlvE1_clEvEUliiiE_St5arrayIPcLm4EEEEviT0_T1_,comdat
.Lfunc_end115:
	.size	_ZN2at6native29vectorized_elementwise_kernelILi2EZZZNS0_12_GLOBAL__N_117clamp_kernel_implERNS_18TensorIteratorBaseEENKUlvE_clEvENKUlvE1_clEvEUliiiE_St5arrayIPcLm4EEEEviT0_T1_, .Lfunc_end115-_ZN2at6native29vectorized_elementwise_kernelILi2EZZZNS0_12_GLOBAL__N_117clamp_kernel_implERNS_18TensorIteratorBaseEENKUlvE_clEvENKUlvE1_clEvEUliiiE_St5arrayIPcLm4EEEEviT0_T1_
                                        ; -- End function
	.set _ZN2at6native29vectorized_elementwise_kernelILi2EZZZNS0_12_GLOBAL__N_117clamp_kernel_implERNS_18TensorIteratorBaseEENKUlvE_clEvENKUlvE1_clEvEUliiiE_St5arrayIPcLm4EEEEviT0_T1_.num_vgpr, 21
	.set _ZN2at6native29vectorized_elementwise_kernelILi2EZZZNS0_12_GLOBAL__N_117clamp_kernel_implERNS_18TensorIteratorBaseEENKUlvE_clEvENKUlvE1_clEvEUliiiE_St5arrayIPcLm4EEEEviT0_T1_.num_agpr, 0
	.set _ZN2at6native29vectorized_elementwise_kernelILi2EZZZNS0_12_GLOBAL__N_117clamp_kernel_implERNS_18TensorIteratorBaseEENKUlvE_clEvENKUlvE1_clEvEUliiiE_St5arrayIPcLm4EEEEviT0_T1_.numbered_sgpr, 20
	.set _ZN2at6native29vectorized_elementwise_kernelILi2EZZZNS0_12_GLOBAL__N_117clamp_kernel_implERNS_18TensorIteratorBaseEENKUlvE_clEvENKUlvE1_clEvEUliiiE_St5arrayIPcLm4EEEEviT0_T1_.num_named_barrier, 0
	.set _ZN2at6native29vectorized_elementwise_kernelILi2EZZZNS0_12_GLOBAL__N_117clamp_kernel_implERNS_18TensorIteratorBaseEENKUlvE_clEvENKUlvE1_clEvEUliiiE_St5arrayIPcLm4EEEEviT0_T1_.private_seg_size, 0
	.set _ZN2at6native29vectorized_elementwise_kernelILi2EZZZNS0_12_GLOBAL__N_117clamp_kernel_implERNS_18TensorIteratorBaseEENKUlvE_clEvENKUlvE1_clEvEUliiiE_St5arrayIPcLm4EEEEviT0_T1_.uses_vcc, 1
	.set _ZN2at6native29vectorized_elementwise_kernelILi2EZZZNS0_12_GLOBAL__N_117clamp_kernel_implERNS_18TensorIteratorBaseEENKUlvE_clEvENKUlvE1_clEvEUliiiE_St5arrayIPcLm4EEEEviT0_T1_.uses_flat_scratch, 0
	.set _ZN2at6native29vectorized_elementwise_kernelILi2EZZZNS0_12_GLOBAL__N_117clamp_kernel_implERNS_18TensorIteratorBaseEENKUlvE_clEvENKUlvE1_clEvEUliiiE_St5arrayIPcLm4EEEEviT0_T1_.has_dyn_sized_stack, 0
	.set _ZN2at6native29vectorized_elementwise_kernelILi2EZZZNS0_12_GLOBAL__N_117clamp_kernel_implERNS_18TensorIteratorBaseEENKUlvE_clEvENKUlvE1_clEvEUliiiE_St5arrayIPcLm4EEEEviT0_T1_.has_recursion, 0
	.set _ZN2at6native29vectorized_elementwise_kernelILi2EZZZNS0_12_GLOBAL__N_117clamp_kernel_implERNS_18TensorIteratorBaseEENKUlvE_clEvENKUlvE1_clEvEUliiiE_St5arrayIPcLm4EEEEviT0_T1_.has_indirect_call, 0
	.section	.AMDGPU.csdata,"",@progbits
; Kernel info:
; codeLenInByte = 1036
; TotalNumSgprs: 22
; NumVgprs: 21
; ScratchSize: 0
; MemoryBound: 0
; FloatMode: 240
; IeeeMode: 1
; LDSByteSize: 0 bytes/workgroup (compile time only)
; SGPRBlocks: 0
; VGPRBlocks: 1
; NumSGPRsForWavesPerEU: 22
; NumVGPRsForWavesPerEU: 21
; NamedBarCnt: 0
; Occupancy: 16
; WaveLimiterHint : 1
; COMPUTE_PGM_RSRC2:SCRATCH_EN: 0
; COMPUTE_PGM_RSRC2:USER_SGPR: 2
; COMPUTE_PGM_RSRC2:TRAP_HANDLER: 0
; COMPUTE_PGM_RSRC2:TGID_X_EN: 1
; COMPUTE_PGM_RSRC2:TGID_Y_EN: 0
; COMPUTE_PGM_RSRC2:TGID_Z_EN: 0
; COMPUTE_PGM_RSRC2:TIDIG_COMP_CNT: 0
	.section	.text._ZN2at6native27unrolled_elementwise_kernelIZZZNS0_12_GLOBAL__N_117clamp_kernel_implERNS_18TensorIteratorBaseEENKUlvE_clEvENKUlvE1_clEvEUliiiE_St5arrayIPcLm4EELi4E23TrivialOffsetCalculatorILi3EjESB_ILi1EjENS0_6memory15LoadWithoutCastENSE_16StoreWithoutCastEEEviT_T0_T2_T3_T4_T5_,"axG",@progbits,_ZN2at6native27unrolled_elementwise_kernelIZZZNS0_12_GLOBAL__N_117clamp_kernel_implERNS_18TensorIteratorBaseEENKUlvE_clEvENKUlvE1_clEvEUliiiE_St5arrayIPcLm4EELi4E23TrivialOffsetCalculatorILi3EjESB_ILi1EjENS0_6memory15LoadWithoutCastENSE_16StoreWithoutCastEEEviT_T0_T2_T3_T4_T5_,comdat
	.globl	_ZN2at6native27unrolled_elementwise_kernelIZZZNS0_12_GLOBAL__N_117clamp_kernel_implERNS_18TensorIteratorBaseEENKUlvE_clEvENKUlvE1_clEvEUliiiE_St5arrayIPcLm4EELi4E23TrivialOffsetCalculatorILi3EjESB_ILi1EjENS0_6memory15LoadWithoutCastENSE_16StoreWithoutCastEEEviT_T0_T2_T3_T4_T5_ ; -- Begin function _ZN2at6native27unrolled_elementwise_kernelIZZZNS0_12_GLOBAL__N_117clamp_kernel_implERNS_18TensorIteratorBaseEENKUlvE_clEvENKUlvE1_clEvEUliiiE_St5arrayIPcLm4EELi4E23TrivialOffsetCalculatorILi3EjESB_ILi1EjENS0_6memory15LoadWithoutCastENSE_16StoreWithoutCastEEEviT_T0_T2_T3_T4_T5_
	.p2align	8
	.type	_ZN2at6native27unrolled_elementwise_kernelIZZZNS0_12_GLOBAL__N_117clamp_kernel_implERNS_18TensorIteratorBaseEENKUlvE_clEvENKUlvE1_clEvEUliiiE_St5arrayIPcLm4EELi4E23TrivialOffsetCalculatorILi3EjESB_ILi1EjENS0_6memory15LoadWithoutCastENSE_16StoreWithoutCastEEEviT_T0_T2_T3_T4_T5_,@function
_ZN2at6native27unrolled_elementwise_kernelIZZZNS0_12_GLOBAL__N_117clamp_kernel_implERNS_18TensorIteratorBaseEENKUlvE_clEvENKUlvE1_clEvEUliiiE_St5arrayIPcLm4EELi4E23TrivialOffsetCalculatorILi3EjESB_ILi1EjENS0_6memory15LoadWithoutCastENSE_16StoreWithoutCastEEEviT_T0_T2_T3_T4_T5_: ; @_ZN2at6native27unrolled_elementwise_kernelIZZZNS0_12_GLOBAL__N_117clamp_kernel_implERNS_18TensorIteratorBaseEENKUlvE_clEvENKUlvE1_clEvEUliiiE_St5arrayIPcLm4EELi4E23TrivialOffsetCalculatorILi3EjESB_ILi1EjENS0_6memory15LoadWithoutCastENSE_16StoreWithoutCastEEEviT_T0_T2_T3_T4_T5_
; %bb.0:
	s_load_b32 s2, s[0:1], 0x0
	s_bfe_u32 s3, ttmp6, 0x4000c
	s_and_b32 s4, ttmp6, 15
	s_add_co_i32 s3, s3, 1
	s_getreg_b32 s5, hwreg(HW_REG_IB_STS2, 6, 4)
	s_mul_i32 s3, ttmp9, s3
	v_or_b32_e32 v1, 0x100, v0
	s_add_co_i32 s4, s4, s3
	s_cmp_eq_u32 s5, 0
	s_cselect_b32 s3, ttmp9, s4
	s_delay_alu instid0(SALU_CYCLE_1) | instskip(SKIP_2) | instid1(SALU_CYCLE_1)
	s_lshl_b32 s3, s3, 10
	s_wait_kmcnt 0x0
	s_sub_co_i32 s12, s2, s3
	v_cmp_le_i32_e64 s2, s12, v0
	v_cmp_gt_i32_e32 vcc_lo, s12, v0
	s_and_saveexec_b32 s4, s2
	s_delay_alu instid0(SALU_CYCLE_1)
	s_xor_b32 s2, exec_lo, s4
; %bb.1:
	v_or_b32_e32 v1, 0x100, v0
; %bb.2:
	s_or_saveexec_b32 s2, s2
	s_load_b256 s[4:11], s[0:1], 0x8
	v_dual_mov_b32 v2, 0 :: v_dual_bitop2_b32 v3, s3, v0 bitop3:0x54
	v_dual_mov_b32 v6, 0 :: v_dual_mov_b32 v5, 0
	v_dual_mov_b32 v4, 0 :: v_dual_mov_b32 v7, 0
	;; [unrolled: 1-line block ×4, first 2 shown]
	v_mov_b32_e32 v12, 0
	s_xor_b32 exec_lo, exec_lo, s2
	s_cbranch_execnz .LBB116_8
; %bb.3:
	s_or_b32 exec_lo, exec_lo, s2
	s_wait_xcnt 0x0
	s_and_saveexec_b32 s0, vcc_lo
	s_cbranch_execnz .LBB116_15
.LBB116_4:
	s_or_b32 exec_lo, exec_lo, s0
	s_delay_alu instid0(SALU_CYCLE_1)
	s_mov_b32 s0, exec_lo
	v_cmpx_gt_i32_e64 s12, v0
	s_cbranch_execnz .LBB116_16
.LBB116_5:
	s_or_b32 exec_lo, exec_lo, s0
	s_delay_alu instid0(SALU_CYCLE_1)
	s_mov_b32 s0, exec_lo
	v_cmpx_gt_i32_e64 s12, v0
	s_cbranch_execnz .LBB116_17
.LBB116_6:
	s_or_b32 exec_lo, exec_lo, s0
	s_delay_alu instid0(SALU_CYCLE_1)
	s_mov_b32 s0, exec_lo
	v_cmpx_gt_i32_e64 s12, v0
	s_cbranch_execnz .LBB116_18
.LBB116_7:
	s_endpgm
.LBB116_8:
	s_wait_kmcnt 0x0
	s_clause 0x2
	global_load_b32 v10, v3, s[6:7] scale_offset
	global_load_b32 v11, v3, s[8:9] scale_offset
	;; [unrolled: 1-line block ×3, first 2 shown]
	v_dual_mov_b32 v9, 0 :: v_dual_mov_b32 v8, 0
	v_dual_mov_b32 v7, 0 :: v_dual_mov_b32 v4, 0
	;; [unrolled: 1-line block ×3, first 2 shown]
	v_mov_b32_e32 v2, 0
	s_mov_b32 s1, exec_lo
	s_wait_xcnt 0x0
	v_cmpx_gt_u32_e64 s12, v1
	s_cbranch_execz .LBB116_14
; %bb.9:
	v_dual_add_nc_u32 v2, s3, v1 :: v_dual_mov_b32 v4, 0
	v_or_b32_e32 v13, 0x200, v0
	v_dual_mov_b32 v5, 0 :: v_dual_mov_b32 v6, 0
	s_clause 0x2
	global_load_b32 v7, v2, s[6:7] scale_offset
	global_load_b32 v8, v2, s[8:9] scale_offset
	;; [unrolled: 1-line block ×3, first 2 shown]
	s_wait_xcnt 0x0
	v_mov_b32_e32 v2, 0
	s_mov_b32 s13, exec_lo
	v_cmpx_gt_u32_e64 s12, v13
	s_cbranch_execz .LBB116_13
; %bb.10:
	v_add_nc_u32_e32 v2, s3, v13
	v_or_b32_e32 v13, 0x300, v0
	s_mov_b32 s14, exec_lo
	s_clause 0x2
	global_load_b32 v6, v2, s[6:7] scale_offset
	global_load_b32 v5, v2, s[8:9] scale_offset
	;; [unrolled: 1-line block ×3, first 2 shown]
	s_wait_xcnt 0x0
	v_mov_b32_e32 v2, 0
	v_cmpx_gt_u32_e64 s12, v13
	s_cbranch_execz .LBB116_12
; %bb.11:
	v_add_nc_u32_e32 v2, s3, v13
	s_clause 0x2
	global_load_b32 v13, v2, s[6:7] scale_offset
	global_load_b32 v14, v2, s[8:9] scale_offset
	;; [unrolled: 1-line block ×3, first 2 shown]
	s_wait_loadcnt 0x0
	v_maxmin_i32 v2, v13, v14, v15
.LBB116_12:
	s_or_b32 exec_lo, exec_lo, s14
.LBB116_13:
	s_delay_alu instid0(SALU_CYCLE_1)
	s_or_b32 exec_lo, exec_lo, s13
.LBB116_14:
	s_delay_alu instid0(SALU_CYCLE_1) | instskip(NEXT) | instid1(SALU_CYCLE_1)
	s_or_b32 exec_lo, exec_lo, s1
	s_or_b32 exec_lo, exec_lo, s2
	s_and_saveexec_b32 s0, vcc_lo
	s_cbranch_execz .LBB116_4
.LBB116_15:
	s_wait_loadcnt 0x0
	v_maxmin_i32 v10, v10, v11, v12
	v_mov_b32_e32 v0, v1
	s_wait_kmcnt 0x0
	global_store_b32 v3, v10, s[4:5] scale_offset
	s_wait_xcnt 0x0
	s_or_b32 exec_lo, exec_lo, s0
	s_delay_alu instid0(SALU_CYCLE_1)
	s_mov_b32 s0, exec_lo
	v_cmpx_gt_i32_e64 s12, v0
	s_cbranch_execz .LBB116_5
.LBB116_16:
	v_add_nc_u32_e32 v1, 0x100, v0
	s_wait_loadcnt 0x0
	v_maxmin_i32 v3, v7, v8, v9
	s_delay_alu instid0(VALU_DEP_2) | instskip(SKIP_4) | instid1(SALU_CYCLE_1)
	v_dual_mov_b32 v0, v1 :: v_dual_add_nc_u32 v7, s3, v0
	s_wait_kmcnt 0x0
	global_store_b32 v7, v3, s[4:5] scale_offset
	s_wait_xcnt 0x0
	s_or_b32 exec_lo, exec_lo, s0
	s_mov_b32 s0, exec_lo
	v_cmpx_gt_i32_e64 s12, v0
	s_cbranch_execz .LBB116_6
.LBB116_17:
	v_add_nc_u32_e32 v1, 0x100, v0
	s_wait_loadcnt 0x0
	v_maxmin_i32 v3, v6, v5, v4
	s_delay_alu instid0(VALU_DEP_2) | instskip(SKIP_4) | instid1(SALU_CYCLE_1)
	v_dual_add_nc_u32 v4, s3, v0 :: v_dual_mov_b32 v0, v1
	s_wait_kmcnt 0x0
	global_store_b32 v4, v3, s[4:5] scale_offset
	s_wait_xcnt 0x0
	s_or_b32 exec_lo, exec_lo, s0
	s_mov_b32 s0, exec_lo
	v_cmpx_gt_i32_e64 s12, v0
	s_cbranch_execz .LBB116_7
.LBB116_18:
	v_add_nc_u32_e32 v0, s3, v0
	s_wait_kmcnt 0x0
	global_store_b32 v0, v2, s[4:5] scale_offset
	s_endpgm
	.section	.rodata,"a",@progbits
	.p2align	6, 0x0
	.amdhsa_kernel _ZN2at6native27unrolled_elementwise_kernelIZZZNS0_12_GLOBAL__N_117clamp_kernel_implERNS_18TensorIteratorBaseEENKUlvE_clEvENKUlvE1_clEvEUliiiE_St5arrayIPcLm4EELi4E23TrivialOffsetCalculatorILi3EjESB_ILi1EjENS0_6memory15LoadWithoutCastENSE_16StoreWithoutCastEEEviT_T0_T2_T3_T4_T5_
		.amdhsa_group_segment_fixed_size 0
		.amdhsa_private_segment_fixed_size 0
		.amdhsa_kernarg_size 44
		.amdhsa_user_sgpr_count 2
		.amdhsa_user_sgpr_dispatch_ptr 0
		.amdhsa_user_sgpr_queue_ptr 0
		.amdhsa_user_sgpr_kernarg_segment_ptr 1
		.amdhsa_user_sgpr_dispatch_id 0
		.amdhsa_user_sgpr_kernarg_preload_length 0
		.amdhsa_user_sgpr_kernarg_preload_offset 0
		.amdhsa_user_sgpr_private_segment_size 0
		.amdhsa_wavefront_size32 1
		.amdhsa_uses_dynamic_stack 0
		.amdhsa_enable_private_segment 0
		.amdhsa_system_sgpr_workgroup_id_x 1
		.amdhsa_system_sgpr_workgroup_id_y 0
		.amdhsa_system_sgpr_workgroup_id_z 0
		.amdhsa_system_sgpr_workgroup_info 0
		.amdhsa_system_vgpr_workitem_id 0
		.amdhsa_next_free_vgpr 16
		.amdhsa_next_free_sgpr 15
		.amdhsa_named_barrier_count 0
		.amdhsa_reserve_vcc 1
		.amdhsa_float_round_mode_32 0
		.amdhsa_float_round_mode_16_64 0
		.amdhsa_float_denorm_mode_32 3
		.amdhsa_float_denorm_mode_16_64 3
		.amdhsa_fp16_overflow 0
		.amdhsa_memory_ordered 1
		.amdhsa_forward_progress 1
		.amdhsa_inst_pref_size 7
		.amdhsa_round_robin_scheduling 0
		.amdhsa_exception_fp_ieee_invalid_op 0
		.amdhsa_exception_fp_denorm_src 0
		.amdhsa_exception_fp_ieee_div_zero 0
		.amdhsa_exception_fp_ieee_overflow 0
		.amdhsa_exception_fp_ieee_underflow 0
		.amdhsa_exception_fp_ieee_inexact 0
		.amdhsa_exception_int_div_zero 0
	.end_amdhsa_kernel
	.section	.text._ZN2at6native27unrolled_elementwise_kernelIZZZNS0_12_GLOBAL__N_117clamp_kernel_implERNS_18TensorIteratorBaseEENKUlvE_clEvENKUlvE1_clEvEUliiiE_St5arrayIPcLm4EELi4E23TrivialOffsetCalculatorILi3EjESB_ILi1EjENS0_6memory15LoadWithoutCastENSE_16StoreWithoutCastEEEviT_T0_T2_T3_T4_T5_,"axG",@progbits,_ZN2at6native27unrolled_elementwise_kernelIZZZNS0_12_GLOBAL__N_117clamp_kernel_implERNS_18TensorIteratorBaseEENKUlvE_clEvENKUlvE1_clEvEUliiiE_St5arrayIPcLm4EELi4E23TrivialOffsetCalculatorILi3EjESB_ILi1EjENS0_6memory15LoadWithoutCastENSE_16StoreWithoutCastEEEviT_T0_T2_T3_T4_T5_,comdat
.Lfunc_end116:
	.size	_ZN2at6native27unrolled_elementwise_kernelIZZZNS0_12_GLOBAL__N_117clamp_kernel_implERNS_18TensorIteratorBaseEENKUlvE_clEvENKUlvE1_clEvEUliiiE_St5arrayIPcLm4EELi4E23TrivialOffsetCalculatorILi3EjESB_ILi1EjENS0_6memory15LoadWithoutCastENSE_16StoreWithoutCastEEEviT_T0_T2_T3_T4_T5_, .Lfunc_end116-_ZN2at6native27unrolled_elementwise_kernelIZZZNS0_12_GLOBAL__N_117clamp_kernel_implERNS_18TensorIteratorBaseEENKUlvE_clEvENKUlvE1_clEvEUliiiE_St5arrayIPcLm4EELi4E23TrivialOffsetCalculatorILi3EjESB_ILi1EjENS0_6memory15LoadWithoutCastENSE_16StoreWithoutCastEEEviT_T0_T2_T3_T4_T5_
                                        ; -- End function
	.set _ZN2at6native27unrolled_elementwise_kernelIZZZNS0_12_GLOBAL__N_117clamp_kernel_implERNS_18TensorIteratorBaseEENKUlvE_clEvENKUlvE1_clEvEUliiiE_St5arrayIPcLm4EELi4E23TrivialOffsetCalculatorILi3EjESB_ILi1EjENS0_6memory15LoadWithoutCastENSE_16StoreWithoutCastEEEviT_T0_T2_T3_T4_T5_.num_vgpr, 16
	.set _ZN2at6native27unrolled_elementwise_kernelIZZZNS0_12_GLOBAL__N_117clamp_kernel_implERNS_18TensorIteratorBaseEENKUlvE_clEvENKUlvE1_clEvEUliiiE_St5arrayIPcLm4EELi4E23TrivialOffsetCalculatorILi3EjESB_ILi1EjENS0_6memory15LoadWithoutCastENSE_16StoreWithoutCastEEEviT_T0_T2_T3_T4_T5_.num_agpr, 0
	.set _ZN2at6native27unrolled_elementwise_kernelIZZZNS0_12_GLOBAL__N_117clamp_kernel_implERNS_18TensorIteratorBaseEENKUlvE_clEvENKUlvE1_clEvEUliiiE_St5arrayIPcLm4EELi4E23TrivialOffsetCalculatorILi3EjESB_ILi1EjENS0_6memory15LoadWithoutCastENSE_16StoreWithoutCastEEEviT_T0_T2_T3_T4_T5_.numbered_sgpr, 15
	.set _ZN2at6native27unrolled_elementwise_kernelIZZZNS0_12_GLOBAL__N_117clamp_kernel_implERNS_18TensorIteratorBaseEENKUlvE_clEvENKUlvE1_clEvEUliiiE_St5arrayIPcLm4EELi4E23TrivialOffsetCalculatorILi3EjESB_ILi1EjENS0_6memory15LoadWithoutCastENSE_16StoreWithoutCastEEEviT_T0_T2_T3_T4_T5_.num_named_barrier, 0
	.set _ZN2at6native27unrolled_elementwise_kernelIZZZNS0_12_GLOBAL__N_117clamp_kernel_implERNS_18TensorIteratorBaseEENKUlvE_clEvENKUlvE1_clEvEUliiiE_St5arrayIPcLm4EELi4E23TrivialOffsetCalculatorILi3EjESB_ILi1EjENS0_6memory15LoadWithoutCastENSE_16StoreWithoutCastEEEviT_T0_T2_T3_T4_T5_.private_seg_size, 0
	.set _ZN2at6native27unrolled_elementwise_kernelIZZZNS0_12_GLOBAL__N_117clamp_kernel_implERNS_18TensorIteratorBaseEENKUlvE_clEvENKUlvE1_clEvEUliiiE_St5arrayIPcLm4EELi4E23TrivialOffsetCalculatorILi3EjESB_ILi1EjENS0_6memory15LoadWithoutCastENSE_16StoreWithoutCastEEEviT_T0_T2_T3_T4_T5_.uses_vcc, 1
	.set _ZN2at6native27unrolled_elementwise_kernelIZZZNS0_12_GLOBAL__N_117clamp_kernel_implERNS_18TensorIteratorBaseEENKUlvE_clEvENKUlvE1_clEvEUliiiE_St5arrayIPcLm4EELi4E23TrivialOffsetCalculatorILi3EjESB_ILi1EjENS0_6memory15LoadWithoutCastENSE_16StoreWithoutCastEEEviT_T0_T2_T3_T4_T5_.uses_flat_scratch, 0
	.set _ZN2at6native27unrolled_elementwise_kernelIZZZNS0_12_GLOBAL__N_117clamp_kernel_implERNS_18TensorIteratorBaseEENKUlvE_clEvENKUlvE1_clEvEUliiiE_St5arrayIPcLm4EELi4E23TrivialOffsetCalculatorILi3EjESB_ILi1EjENS0_6memory15LoadWithoutCastENSE_16StoreWithoutCastEEEviT_T0_T2_T3_T4_T5_.has_dyn_sized_stack, 0
	.set _ZN2at6native27unrolled_elementwise_kernelIZZZNS0_12_GLOBAL__N_117clamp_kernel_implERNS_18TensorIteratorBaseEENKUlvE_clEvENKUlvE1_clEvEUliiiE_St5arrayIPcLm4EELi4E23TrivialOffsetCalculatorILi3EjESB_ILi1EjENS0_6memory15LoadWithoutCastENSE_16StoreWithoutCastEEEviT_T0_T2_T3_T4_T5_.has_recursion, 0
	.set _ZN2at6native27unrolled_elementwise_kernelIZZZNS0_12_GLOBAL__N_117clamp_kernel_implERNS_18TensorIteratorBaseEENKUlvE_clEvENKUlvE1_clEvEUliiiE_St5arrayIPcLm4EELi4E23TrivialOffsetCalculatorILi3EjESB_ILi1EjENS0_6memory15LoadWithoutCastENSE_16StoreWithoutCastEEEviT_T0_T2_T3_T4_T5_.has_indirect_call, 0
	.section	.AMDGPU.csdata,"",@progbits
; Kernel info:
; codeLenInByte = 840
; TotalNumSgprs: 17
; NumVgprs: 16
; ScratchSize: 0
; MemoryBound: 0
; FloatMode: 240
; IeeeMode: 1
; LDSByteSize: 0 bytes/workgroup (compile time only)
; SGPRBlocks: 0
; VGPRBlocks: 0
; NumSGPRsForWavesPerEU: 17
; NumVGPRsForWavesPerEU: 16
; NamedBarCnt: 0
; Occupancy: 16
; WaveLimiterHint : 0
; COMPUTE_PGM_RSRC2:SCRATCH_EN: 0
; COMPUTE_PGM_RSRC2:USER_SGPR: 2
; COMPUTE_PGM_RSRC2:TRAP_HANDLER: 0
; COMPUTE_PGM_RSRC2:TGID_X_EN: 1
; COMPUTE_PGM_RSRC2:TGID_Y_EN: 0
; COMPUTE_PGM_RSRC2:TGID_Z_EN: 0
; COMPUTE_PGM_RSRC2:TIDIG_COMP_CNT: 0
	.section	.text._ZN2at6native32elementwise_kernel_manual_unrollILi128ELi4EZNS0_22gpu_kernel_impl_nocastIZZZNS0_12_GLOBAL__N_117clamp_kernel_implERNS_18TensorIteratorBaseEENKUlvE_clEvENKUlvE1_clEvEUliiiE_EEvS5_RKT_EUlibE_EEviT1_,"axG",@progbits,_ZN2at6native32elementwise_kernel_manual_unrollILi128ELi4EZNS0_22gpu_kernel_impl_nocastIZZZNS0_12_GLOBAL__N_117clamp_kernel_implERNS_18TensorIteratorBaseEENKUlvE_clEvENKUlvE1_clEvEUliiiE_EEvS5_RKT_EUlibE_EEviT1_,comdat
	.globl	_ZN2at6native32elementwise_kernel_manual_unrollILi128ELi4EZNS0_22gpu_kernel_impl_nocastIZZZNS0_12_GLOBAL__N_117clamp_kernel_implERNS_18TensorIteratorBaseEENKUlvE_clEvENKUlvE1_clEvEUliiiE_EEvS5_RKT_EUlibE_EEviT1_ ; -- Begin function _ZN2at6native32elementwise_kernel_manual_unrollILi128ELi4EZNS0_22gpu_kernel_impl_nocastIZZZNS0_12_GLOBAL__N_117clamp_kernel_implERNS_18TensorIteratorBaseEENKUlvE_clEvENKUlvE1_clEvEUliiiE_EEvS5_RKT_EUlibE_EEviT1_
	.p2align	8
	.type	_ZN2at6native32elementwise_kernel_manual_unrollILi128ELi4EZNS0_22gpu_kernel_impl_nocastIZZZNS0_12_GLOBAL__N_117clamp_kernel_implERNS_18TensorIteratorBaseEENKUlvE_clEvENKUlvE1_clEvEUliiiE_EEvS5_RKT_EUlibE_EEviT1_,@function
_ZN2at6native32elementwise_kernel_manual_unrollILi128ELi4EZNS0_22gpu_kernel_impl_nocastIZZZNS0_12_GLOBAL__N_117clamp_kernel_implERNS_18TensorIteratorBaseEENKUlvE_clEvENKUlvE1_clEvEUliiiE_EEvS5_RKT_EUlibE_EEviT1_: ; @_ZN2at6native32elementwise_kernel_manual_unrollILi128ELi4EZNS0_22gpu_kernel_impl_nocastIZZZNS0_12_GLOBAL__N_117clamp_kernel_implERNS_18TensorIteratorBaseEENKUlvE_clEvENKUlvE1_clEvEUliiiE_EEvS5_RKT_EUlibE_EEviT1_
; %bb.0:
	s_clause 0x1
	s_load_b32 s33, s[0:1], 0x8
	s_load_b32 s39, s[0:1], 0x0
	s_bfe_u32 s2, ttmp6, 0x4000c
	s_and_b32 s3, ttmp6, 15
	s_add_co_i32 s2, s2, 1
	s_getreg_b32 s4, hwreg(HW_REG_IB_STS2, 6, 4)
	s_mul_i32 s2, ttmp9, s2
	s_add_nc_u64 s[20:21], s[0:1], 8
	s_add_co_i32 s3, s3, s2
	s_cmp_eq_u32 s4, 0
	s_mov_b32 s25, 0
	s_cselect_b32 s2, ttmp9, s3
	s_wait_xcnt 0x0
	s_mov_b32 s0, exec_lo
	v_lshl_or_b32 v0, s2, 9, v0
	s_delay_alu instid0(VALU_DEP_1) | instskip(SKIP_2) | instid1(SALU_CYCLE_1)
	v_or_b32_e32 v4, 0x180, v0
	s_wait_kmcnt 0x0
	s_add_co_i32 s34, s33, -1
	s_cmp_gt_u32 s34, 1
	s_cselect_b32 s35, -1, 0
	v_cmpx_le_i32_e64 s39, v4
	s_xor_b32 s36, exec_lo, s0
	s_cbranch_execz .LBB117_54
; %bb.1:
	s_clause 0x3
	s_load_b128 s[16:19], s[20:21], 0x4
	s_load_b64 s[22:23], s[20:21], 0x14
	s_load_b256 s[8:15], s[20:21], 0xc4
	s_load_b256 s[0:7], s[20:21], 0x1c8
	s_cmp_lg_u32 s33, 0
	s_mov_b32 s27, s25
	s_cselect_b32 s40, -1, 0
	s_min_u32 s38, s34, 15
	s_cmp_gt_u32 s33, 1
	s_cselect_b32 s37, -1, 0
	s_wait_kmcnt 0x0
	s_mov_b32 s24, s17
	s_mov_b32 s26, s22
	s_mov_b32 s17, exec_lo
	v_cmpx_gt_i32_e64 s39, v0
	s_cbranch_execnz .LBB117_5
; %bb.2:
	s_or_b32 exec_lo, exec_lo, s17
	s_delay_alu instid0(SALU_CYCLE_1)
	s_mov_b32 s17, exec_lo
	v_cmpx_gt_i32_e64 s39, v0
	s_cbranch_execnz .LBB117_17
.LBB117_3:
	s_or_b32 exec_lo, exec_lo, s17
	s_delay_alu instid0(SALU_CYCLE_1)
	s_mov_b32 s17, exec_lo
	v_cmpx_gt_i32_e64 s39, v0
	s_cbranch_execnz .LBB117_29
.LBB117_4:
	s_or_b32 exec_lo, exec_lo, s17
	s_delay_alu instid0(SALU_CYCLE_1)
	s_mov_b32 s17, exec_lo
	v_cmpx_gt_i32_e64 s39, v0
	s_cbranch_execnz .LBB117_41
	s_branch .LBB117_53
.LBB117_5:
	s_and_not1_b32 vcc_lo, exec_lo, s35
	s_cbranch_vccnz .LBB117_11
; %bb.6:
	s_and_not1_b32 vcc_lo, exec_lo, s40
	s_cbranch_vccnz .LBB117_12
; %bb.7:
	v_dual_mov_b32 v5, 0 :: v_dual_mov_b32 v1, v0
	v_dual_mov_b32 v7, 0 :: v_dual_mov_b32 v4, 0
	v_mov_b32_e32 v6, 0
	s_add_co_i32 s22, s38, 1
	s_mov_b64 s[28:29], 0xffffffffffffffe0
	s_and_b32 s22, s22, 30
	s_add_nc_u64 s[28:29], s[20:21], s[28:29]
	s_mov_b64 s[30:31], s[20:21]
.LBB117_8:                              ; =>This Inner Loop Header: Depth=1
	s_clause 0x1
	s_load_b128 s[52:55], s[30:31], 0x4
	s_load_b64 s[42:43], s[30:31], 0x14
	s_load_b256 s[44:51], s[28:29], 0xe4
	s_add_co_i32 s22, s22, -2
	s_wait_xcnt 0x0
	s_add_nc_u64 s[30:31], s[30:31], 24
	s_cmp_lg_u32 s22, 0
	s_add_nc_u64 s[28:29], s[28:29], 32
	s_wait_kmcnt 0x0
	v_mul_hi_u32 v2, s53, v1
	s_delay_alu instid0(VALU_DEP_1) | instskip(NEXT) | instid1(VALU_DEP_1)
	v_add_nc_u32_e32 v2, v1, v2
	v_lshrrev_b32_e32 v2, s54, v2
	s_delay_alu instid0(VALU_DEP_1) | instskip(SKIP_1) | instid1(VALU_DEP_1)
	v_mul_hi_u32 v3, s42, v2
	v_mul_lo_u32 v8, v2, s52
	v_dual_add_nc_u32 v3, v2, v3 :: v_dual_sub_nc_u32 v8, v1, v8
	s_delay_alu instid0(VALU_DEP_1) | instskip(NEXT) | instid1(VALU_DEP_2)
	v_lshrrev_b32_e32 v1, s43, v3
	v_mad_u32 v6, v8, s45, v6
	v_mad_u32 v4, v8, s44, v4
	v_mad_u32 v7, v8, s47, v7
	v_mad_u32 v5, v8, s46, v5
	v_mul_lo_u32 v3, v1, s55
	s_delay_alu instid0(VALU_DEP_1) | instskip(NEXT) | instid1(VALU_DEP_1)
	v_sub_nc_u32_e32 v2, v2, v3
	v_mad_u32 v6, v2, s49, v6
	v_mad_u32 v4, v2, s48, v4
	;; [unrolled: 1-line block ×4, first 2 shown]
	s_cbranch_scc1 .LBB117_8
; %bb.9:
	s_bitcmp1_b32 s38, 0
	s_cselect_b32 s22, -1, 0
	s_delay_alu instid0(SALU_CYCLE_1)
	s_and_b32 vcc_lo, exec_lo, s22
	s_cbranch_vccnz .LBB117_13
; %bb.10:
	s_load_b96 s[48:50], s[30:31], 0x4
	s_load_b128 s[44:47], s[28:29], 0xe4
	s_wait_kmcnt 0x0
	v_mul_hi_u32 v2, s49, v1
	s_delay_alu instid0(VALU_DEP_1) | instskip(NEXT) | instid1(VALU_DEP_1)
	v_add_nc_u32_e32 v2, v1, v2
	v_lshrrev_b32_e32 v2, s50, v2
	s_delay_alu instid0(VALU_DEP_1) | instskip(NEXT) | instid1(VALU_DEP_1)
	v_mul_lo_u32 v2, v2, s48
	v_sub_nc_u32_e32 v1, v1, v2
	s_delay_alu instid0(VALU_DEP_1)
	v_mad_u32 v4, v1, s44, v4
	v_mad_u32 v6, v1, s45, v6
	;; [unrolled: 1-line block ×4, first 2 shown]
	s_cbranch_execz .LBB117_14
	s_branch .LBB117_16
.LBB117_11:
                                        ; implicit-def: $vgpr6
                                        ; implicit-def: $vgpr4
                                        ; implicit-def: $vgpr7
                                        ; implicit-def: $vgpr5
	s_branch .LBB117_14
.LBB117_12:
	v_dual_mov_b32 v6, 0 :: v_dual_mov_b32 v4, 0
	v_dual_mov_b32 v7, 0 :: v_dual_mov_b32 v5, 0
.LBB117_13:
	s_cbranch_execnz .LBB117_16
.LBB117_14:
	v_mov_b32_e32 v1, 0
	s_and_not1_b32 vcc_lo, exec_lo, s37
	s_delay_alu instid0(VALU_DEP_1) | instskip(NEXT) | instid1(VALU_DEP_1)
	v_mul_u64_e32 v[2:3], s[24:25], v[0:1]
	v_add_nc_u32_e32 v2, v0, v3
	s_delay_alu instid0(VALU_DEP_1) | instskip(NEXT) | instid1(VALU_DEP_1)
	v_lshrrev_b32_e32 v2, s18, v2
	v_mul_lo_u32 v3, v2, s16
	s_delay_alu instid0(VALU_DEP_1) | instskip(NEXT) | instid1(VALU_DEP_1)
	v_sub_nc_u32_e32 v3, v0, v3
	v_mul_lo_u32 v6, v3, s9
	v_mul_lo_u32 v4, v3, s8
	;; [unrolled: 1-line block ×4, first 2 shown]
	s_cbranch_vccnz .LBB117_16
; %bb.15:
	v_mov_b32_e32 v3, v1
	s_delay_alu instid0(VALU_DEP_1) | instskip(NEXT) | instid1(VALU_DEP_1)
	v_mul_u64_e32 v[8:9], s[26:27], v[2:3]
	v_add_nc_u32_e32 v1, v2, v9
	s_delay_alu instid0(VALU_DEP_1) | instskip(NEXT) | instid1(VALU_DEP_1)
	v_lshrrev_b32_e32 v1, s23, v1
	v_mul_lo_u32 v1, v1, s19
	s_delay_alu instid0(VALU_DEP_1) | instskip(NEXT) | instid1(VALU_DEP_1)
	v_sub_nc_u32_e32 v1, v2, v1
	v_mad_u32 v4, v1, s12, v4
	v_mad_u32 v6, v1, s13, v6
	;; [unrolled: 1-line block ×4, first 2 shown]
.LBB117_16:
	global_load_b32 v1, v6, s[2:3]
	global_load_b32 v2, v5, s[4:5]
	;; [unrolled: 1-line block ×3, first 2 shown]
	v_add_nc_u32_e32 v0, 0x80, v0
	s_wait_loadcnt 0x0
	v_maxmin_i32 v1, v1, v2, v3
	global_store_b32 v4, v1, s[0:1]
	s_wait_xcnt 0x0
	s_or_b32 exec_lo, exec_lo, s17
	s_delay_alu instid0(SALU_CYCLE_1)
	s_mov_b32 s17, exec_lo
	v_cmpx_gt_i32_e64 s39, v0
	s_cbranch_execz .LBB117_3
.LBB117_17:
	s_and_not1_b32 vcc_lo, exec_lo, s35
	s_cbranch_vccnz .LBB117_23
; %bb.18:
	s_and_not1_b32 vcc_lo, exec_lo, s40
	s_cbranch_vccnz .LBB117_24
; %bb.19:
	v_dual_mov_b32 v6, 0 :: v_dual_mov_b32 v1, v0
	v_dual_mov_b32 v7, 0 :: v_dual_mov_b32 v4, 0
	v_mov_b32_e32 v5, 0
	s_add_co_i32 s22, s38, 1
	s_mov_b64 s[28:29], 0xffffffffffffffe0
	s_and_b32 s22, s22, 30
	s_add_nc_u64 s[28:29], s[20:21], s[28:29]
	s_mov_b64 s[30:31], s[20:21]
.LBB117_20:                             ; =>This Inner Loop Header: Depth=1
	s_clause 0x1
	s_load_b128 s[52:55], s[30:31], 0x4
	s_load_b64 s[42:43], s[30:31], 0x14
	s_load_b256 s[44:51], s[28:29], 0xe4
	s_add_co_i32 s22, s22, -2
	s_wait_xcnt 0x0
	s_add_nc_u64 s[30:31], s[30:31], 24
	s_cmp_eq_u32 s22, 0
	s_add_nc_u64 s[28:29], s[28:29], 32
	s_wait_kmcnt 0x0
	v_mul_hi_u32 v2, s53, v1
	s_delay_alu instid0(VALU_DEP_1) | instskip(NEXT) | instid1(VALU_DEP_1)
	v_add_nc_u32_e32 v2, v1, v2
	v_lshrrev_b32_e32 v2, s54, v2
	s_delay_alu instid0(VALU_DEP_1) | instskip(SKIP_1) | instid1(VALU_DEP_1)
	v_mul_hi_u32 v3, s42, v2
	v_mul_lo_u32 v8, v2, s52
	v_dual_add_nc_u32 v3, v2, v3 :: v_dual_sub_nc_u32 v8, v1, v8
	s_delay_alu instid0(VALU_DEP_1) | instskip(NEXT) | instid1(VALU_DEP_2)
	v_lshrrev_b32_e32 v1, s43, v3
	v_mad_u32 v5, v8, s45, v5
	v_mad_u32 v4, v8, s44, v4
	;; [unrolled: 1-line block ×4, first 2 shown]
	v_mul_lo_u32 v3, v1, s55
	s_delay_alu instid0(VALU_DEP_1) | instskip(NEXT) | instid1(VALU_DEP_1)
	v_sub_nc_u32_e32 v2, v2, v3
	v_mad_u32 v5, v2, s49, v5
	v_mad_u32 v4, v2, s48, v4
	;; [unrolled: 1-line block ×4, first 2 shown]
	s_cbranch_scc0 .LBB117_20
; %bb.21:
	s_bitcmp1_b32 s38, 0
	s_cselect_b32 s22, -1, 0
	s_delay_alu instid0(SALU_CYCLE_1)
	s_and_b32 vcc_lo, exec_lo, s22
	s_cbranch_vccnz .LBB117_25
; %bb.22:
	s_load_b96 s[48:50], s[30:31], 0x4
	s_load_b128 s[44:47], s[28:29], 0xe4
	s_wait_kmcnt 0x0
	v_mul_hi_u32 v2, s49, v1
	s_delay_alu instid0(VALU_DEP_1) | instskip(NEXT) | instid1(VALU_DEP_1)
	v_add_nc_u32_e32 v2, v1, v2
	v_lshrrev_b32_e32 v2, s50, v2
	s_delay_alu instid0(VALU_DEP_1) | instskip(NEXT) | instid1(VALU_DEP_1)
	v_mul_lo_u32 v2, v2, s48
	v_sub_nc_u32_e32 v1, v1, v2
	s_delay_alu instid0(VALU_DEP_1)
	v_mad_u32 v4, v1, s44, v4
	v_mad_u32 v5, v1, s45, v5
	;; [unrolled: 1-line block ×4, first 2 shown]
	s_branch .LBB117_25
.LBB117_23:
                                        ; implicit-def: $vgpr5
                                        ; implicit-def: $vgpr4
                                        ; implicit-def: $vgpr7
                                        ; implicit-def: $vgpr6
	s_branch .LBB117_26
.LBB117_24:
	v_dual_mov_b32 v5, 0 :: v_dual_mov_b32 v4, 0
	v_dual_mov_b32 v7, 0 :: v_dual_mov_b32 v6, 0
.LBB117_25:
	s_cbranch_execnz .LBB117_28
.LBB117_26:
	v_mov_b32_e32 v1, 0
	s_and_not1_b32 vcc_lo, exec_lo, s37
	s_delay_alu instid0(VALU_DEP_1) | instskip(NEXT) | instid1(VALU_DEP_1)
	v_mul_u64_e32 v[2:3], s[24:25], v[0:1]
	v_add_nc_u32_e32 v2, v0, v3
	s_delay_alu instid0(VALU_DEP_1) | instskip(NEXT) | instid1(VALU_DEP_1)
	v_lshrrev_b32_e32 v2, s18, v2
	v_mul_lo_u32 v3, v2, s16
	s_delay_alu instid0(VALU_DEP_1) | instskip(NEXT) | instid1(VALU_DEP_1)
	v_sub_nc_u32_e32 v3, v0, v3
	v_mul_lo_u32 v5, v3, s9
	v_mul_lo_u32 v4, v3, s8
	;; [unrolled: 1-line block ×4, first 2 shown]
	s_cbranch_vccnz .LBB117_28
; %bb.27:
	v_mov_b32_e32 v3, v1
	s_delay_alu instid0(VALU_DEP_1) | instskip(NEXT) | instid1(VALU_DEP_1)
	v_mul_u64_e32 v[8:9], s[26:27], v[2:3]
	v_add_nc_u32_e32 v1, v2, v9
	s_delay_alu instid0(VALU_DEP_1) | instskip(NEXT) | instid1(VALU_DEP_1)
	v_lshrrev_b32_e32 v1, s23, v1
	v_mul_lo_u32 v1, v1, s19
	s_delay_alu instid0(VALU_DEP_1) | instskip(NEXT) | instid1(VALU_DEP_1)
	v_sub_nc_u32_e32 v1, v2, v1
	v_mad_u32 v4, v1, s12, v4
	v_mad_u32 v5, v1, s13, v5
	;; [unrolled: 1-line block ×4, first 2 shown]
.LBB117_28:
	global_load_b32 v1, v5, s[2:3]
	global_load_b32 v2, v6, s[4:5]
	;; [unrolled: 1-line block ×3, first 2 shown]
	v_add_nc_u32_e32 v0, 0x80, v0
	s_wait_loadcnt 0x0
	v_maxmin_i32 v1, v1, v2, v3
	global_store_b32 v4, v1, s[0:1]
	s_wait_xcnt 0x0
	s_or_b32 exec_lo, exec_lo, s17
	s_delay_alu instid0(SALU_CYCLE_1)
	s_mov_b32 s17, exec_lo
	v_cmpx_gt_i32_e64 s39, v0
	s_cbranch_execz .LBB117_4
.LBB117_29:
	s_and_not1_b32 vcc_lo, exec_lo, s35
	s_cbranch_vccnz .LBB117_35
; %bb.30:
	s_and_not1_b32 vcc_lo, exec_lo, s40
	s_cbranch_vccnz .LBB117_36
; %bb.31:
	v_dual_mov_b32 v6, 0 :: v_dual_mov_b32 v1, v0
	v_dual_mov_b32 v7, 0 :: v_dual_mov_b32 v4, 0
	v_mov_b32_e32 v5, 0
	s_add_co_i32 s22, s38, 1
	s_mov_b64 s[28:29], 0xffffffffffffffe0
	s_and_b32 s22, s22, 30
	s_add_nc_u64 s[28:29], s[20:21], s[28:29]
	s_mov_b64 s[30:31], s[20:21]
.LBB117_32:                             ; =>This Inner Loop Header: Depth=1
	s_clause 0x1
	s_load_b128 s[52:55], s[30:31], 0x4
	s_load_b64 s[42:43], s[30:31], 0x14
	s_load_b256 s[44:51], s[28:29], 0xe4
	s_add_co_i32 s22, s22, -2
	s_wait_xcnt 0x0
	s_add_nc_u64 s[30:31], s[30:31], 24
	s_cmp_eq_u32 s22, 0
	s_add_nc_u64 s[28:29], s[28:29], 32
	s_wait_kmcnt 0x0
	v_mul_hi_u32 v2, s53, v1
	s_delay_alu instid0(VALU_DEP_1) | instskip(NEXT) | instid1(VALU_DEP_1)
	v_add_nc_u32_e32 v2, v1, v2
	v_lshrrev_b32_e32 v2, s54, v2
	s_delay_alu instid0(VALU_DEP_1) | instskip(SKIP_1) | instid1(VALU_DEP_1)
	v_mul_hi_u32 v3, s42, v2
	v_mul_lo_u32 v8, v2, s52
	v_dual_add_nc_u32 v3, v2, v3 :: v_dual_sub_nc_u32 v8, v1, v8
	s_delay_alu instid0(VALU_DEP_1) | instskip(NEXT) | instid1(VALU_DEP_2)
	v_lshrrev_b32_e32 v1, s43, v3
	v_mad_u32 v5, v8, s45, v5
	v_mad_u32 v4, v8, s44, v4
	;; [unrolled: 1-line block ×4, first 2 shown]
	v_mul_lo_u32 v3, v1, s55
	s_delay_alu instid0(VALU_DEP_1) | instskip(NEXT) | instid1(VALU_DEP_1)
	v_sub_nc_u32_e32 v2, v2, v3
	v_mad_u32 v5, v2, s49, v5
	v_mad_u32 v4, v2, s48, v4
	;; [unrolled: 1-line block ×4, first 2 shown]
	s_cbranch_scc0 .LBB117_32
; %bb.33:
	s_bitcmp1_b32 s38, 0
	s_cselect_b32 s22, -1, 0
	s_delay_alu instid0(SALU_CYCLE_1)
	s_and_b32 vcc_lo, exec_lo, s22
	s_cbranch_vccnz .LBB117_37
; %bb.34:
	s_load_b96 s[48:50], s[30:31], 0x4
	s_load_b128 s[44:47], s[28:29], 0xe4
	s_wait_kmcnt 0x0
	v_mul_hi_u32 v2, s49, v1
	s_delay_alu instid0(VALU_DEP_1) | instskip(NEXT) | instid1(VALU_DEP_1)
	v_add_nc_u32_e32 v2, v1, v2
	v_lshrrev_b32_e32 v2, s50, v2
	s_delay_alu instid0(VALU_DEP_1) | instskip(NEXT) | instid1(VALU_DEP_1)
	v_mul_lo_u32 v2, v2, s48
	v_sub_nc_u32_e32 v1, v1, v2
	s_delay_alu instid0(VALU_DEP_1)
	v_mad_u32 v4, v1, s44, v4
	v_mad_u32 v5, v1, s45, v5
	;; [unrolled: 1-line block ×4, first 2 shown]
	s_branch .LBB117_37
.LBB117_35:
                                        ; implicit-def: $vgpr5
                                        ; implicit-def: $vgpr4
                                        ; implicit-def: $vgpr7
                                        ; implicit-def: $vgpr6
	s_branch .LBB117_38
.LBB117_36:
	v_dual_mov_b32 v5, 0 :: v_dual_mov_b32 v4, 0
	v_dual_mov_b32 v7, 0 :: v_dual_mov_b32 v6, 0
.LBB117_37:
	s_cbranch_execnz .LBB117_40
.LBB117_38:
	v_mov_b32_e32 v1, 0
	s_and_not1_b32 vcc_lo, exec_lo, s37
	s_delay_alu instid0(VALU_DEP_1) | instskip(NEXT) | instid1(VALU_DEP_1)
	v_mul_u64_e32 v[2:3], s[24:25], v[0:1]
	v_add_nc_u32_e32 v2, v0, v3
	s_delay_alu instid0(VALU_DEP_1) | instskip(NEXT) | instid1(VALU_DEP_1)
	v_lshrrev_b32_e32 v2, s18, v2
	v_mul_lo_u32 v3, v2, s16
	s_delay_alu instid0(VALU_DEP_1) | instskip(NEXT) | instid1(VALU_DEP_1)
	v_sub_nc_u32_e32 v3, v0, v3
	v_mul_lo_u32 v5, v3, s9
	v_mul_lo_u32 v4, v3, s8
	v_mul_lo_u32 v7, v3, s11
	v_mul_lo_u32 v6, v3, s10
	s_cbranch_vccnz .LBB117_40
; %bb.39:
	v_mov_b32_e32 v3, v1
	s_delay_alu instid0(VALU_DEP_1) | instskip(NEXT) | instid1(VALU_DEP_1)
	v_mul_u64_e32 v[8:9], s[26:27], v[2:3]
	v_add_nc_u32_e32 v1, v2, v9
	s_delay_alu instid0(VALU_DEP_1) | instskip(NEXT) | instid1(VALU_DEP_1)
	v_lshrrev_b32_e32 v1, s23, v1
	v_mul_lo_u32 v1, v1, s19
	s_delay_alu instid0(VALU_DEP_1) | instskip(NEXT) | instid1(VALU_DEP_1)
	v_sub_nc_u32_e32 v1, v2, v1
	v_mad_u32 v4, v1, s12, v4
	v_mad_u32 v5, v1, s13, v5
	;; [unrolled: 1-line block ×4, first 2 shown]
.LBB117_40:
	global_load_b32 v1, v5, s[2:3]
	global_load_b32 v2, v6, s[4:5]
	;; [unrolled: 1-line block ×3, first 2 shown]
	v_add_nc_u32_e32 v0, 0x80, v0
	s_wait_loadcnt 0x0
	v_maxmin_i32 v1, v1, v2, v3
	global_store_b32 v4, v1, s[0:1]
	s_wait_xcnt 0x0
	s_or_b32 exec_lo, exec_lo, s17
	s_delay_alu instid0(SALU_CYCLE_1)
	s_mov_b32 s17, exec_lo
	v_cmpx_gt_i32_e64 s39, v0
	s_cbranch_execz .LBB117_53
.LBB117_41:
	s_and_not1_b32 vcc_lo, exec_lo, s35
	s_cbranch_vccnz .LBB117_47
; %bb.42:
	s_and_not1_b32 vcc_lo, exec_lo, s40
	s_cbranch_vccnz .LBB117_48
; %bb.43:
	v_dual_mov_b32 v6, 0 :: v_dual_mov_b32 v1, v0
	v_dual_mov_b32 v7, 0 :: v_dual_mov_b32 v4, 0
	v_mov_b32_e32 v5, 0
	s_add_co_i32 s22, s38, 1
	s_mov_b64 s[28:29], 0xffffffffffffffe0
	s_and_b32 s22, s22, 30
	s_add_nc_u64 s[28:29], s[20:21], s[28:29]
	s_mov_b64 s[30:31], s[20:21]
.LBB117_44:                             ; =>This Inner Loop Header: Depth=1
	s_clause 0x1
	s_load_b128 s[48:51], s[30:31], 0x4
	s_load_b64 s[52:53], s[30:31], 0x14
	s_load_b256 s[40:47], s[28:29], 0xe4
	s_add_co_i32 s22, s22, -2
	s_wait_xcnt 0x0
	s_add_nc_u64 s[30:31], s[30:31], 24
	s_cmp_eq_u32 s22, 0
	s_add_nc_u64 s[28:29], s[28:29], 32
	s_wait_kmcnt 0x0
	v_mul_hi_u32 v2, s49, v1
	s_delay_alu instid0(VALU_DEP_1) | instskip(NEXT) | instid1(VALU_DEP_1)
	v_add_nc_u32_e32 v2, v1, v2
	v_lshrrev_b32_e32 v2, s50, v2
	s_delay_alu instid0(VALU_DEP_1) | instskip(SKIP_1) | instid1(VALU_DEP_1)
	v_mul_hi_u32 v3, s52, v2
	v_mul_lo_u32 v8, v2, s48
	v_dual_add_nc_u32 v3, v2, v3 :: v_dual_sub_nc_u32 v8, v1, v8
	s_delay_alu instid0(VALU_DEP_1) | instskip(NEXT) | instid1(VALU_DEP_2)
	v_lshrrev_b32_e32 v1, s53, v3
	v_mad_u32 v5, v8, s41, v5
	v_mad_u32 v4, v8, s40, v4
	;; [unrolled: 1-line block ×4, first 2 shown]
	v_mul_lo_u32 v3, v1, s51
	s_delay_alu instid0(VALU_DEP_1) | instskip(NEXT) | instid1(VALU_DEP_1)
	v_sub_nc_u32_e32 v2, v2, v3
	v_mad_u32 v5, v2, s45, v5
	v_mad_u32 v4, v2, s44, v4
	;; [unrolled: 1-line block ×4, first 2 shown]
	s_cbranch_scc0 .LBB117_44
; %bb.45:
	s_bitcmp1_b32 s38, 0
	s_cselect_b32 s22, -1, 0
	s_delay_alu instid0(SALU_CYCLE_1)
	s_and_b32 vcc_lo, exec_lo, s22
	s_cbranch_vccnz .LBB117_49
; %bb.46:
	s_load_b96 s[44:46], s[30:31], 0x4
	s_load_b128 s[40:43], s[28:29], 0xe4
	s_wait_kmcnt 0x0
	v_mul_hi_u32 v2, s45, v1
	s_delay_alu instid0(VALU_DEP_1) | instskip(NEXT) | instid1(VALU_DEP_1)
	v_add_nc_u32_e32 v2, v1, v2
	v_lshrrev_b32_e32 v2, s46, v2
	s_delay_alu instid0(VALU_DEP_1) | instskip(NEXT) | instid1(VALU_DEP_1)
	v_mul_lo_u32 v2, v2, s44
	v_sub_nc_u32_e32 v1, v1, v2
	s_delay_alu instid0(VALU_DEP_1)
	v_mad_u32 v4, v1, s40, v4
	v_mad_u32 v5, v1, s41, v5
	;; [unrolled: 1-line block ×4, first 2 shown]
	s_branch .LBB117_49
.LBB117_47:
                                        ; implicit-def: $vgpr5
                                        ; implicit-def: $vgpr4
                                        ; implicit-def: $vgpr7
                                        ; implicit-def: $vgpr6
	s_branch .LBB117_50
.LBB117_48:
	v_dual_mov_b32 v5, 0 :: v_dual_mov_b32 v4, 0
	v_dual_mov_b32 v7, 0 :: v_dual_mov_b32 v6, 0
.LBB117_49:
	s_cbranch_execnz .LBB117_52
.LBB117_50:
	v_mov_b32_e32 v1, 0
	s_and_not1_b32 vcc_lo, exec_lo, s37
	s_delay_alu instid0(VALU_DEP_1) | instskip(NEXT) | instid1(VALU_DEP_1)
	v_mul_u64_e32 v[2:3], s[24:25], v[0:1]
	v_add_nc_u32_e32 v2, v0, v3
	s_delay_alu instid0(VALU_DEP_1) | instskip(NEXT) | instid1(VALU_DEP_1)
	v_lshrrev_b32_e32 v2, s18, v2
	v_mul_lo_u32 v3, v2, s16
	s_delay_alu instid0(VALU_DEP_1) | instskip(NEXT) | instid1(VALU_DEP_1)
	v_sub_nc_u32_e32 v0, v0, v3
	v_mul_lo_u32 v5, v0, s9
	v_mul_lo_u32 v4, v0, s8
	;; [unrolled: 1-line block ×4, first 2 shown]
	s_cbranch_vccnz .LBB117_52
; %bb.51:
	v_mov_b32_e32 v3, v1
	s_delay_alu instid0(VALU_DEP_1) | instskip(NEXT) | instid1(VALU_DEP_1)
	v_mul_u64_e32 v[0:1], s[26:27], v[2:3]
	v_add_nc_u32_e32 v0, v2, v1
	s_delay_alu instid0(VALU_DEP_1) | instskip(NEXT) | instid1(VALU_DEP_1)
	v_lshrrev_b32_e32 v0, s23, v0
	v_mul_lo_u32 v0, v0, s19
	s_delay_alu instid0(VALU_DEP_1) | instskip(NEXT) | instid1(VALU_DEP_1)
	v_sub_nc_u32_e32 v0, v2, v0
	v_mad_u32 v4, v0, s12, v4
	v_mad_u32 v5, v0, s13, v5
	v_mad_u32 v6, v0, s14, v6
	v_mad_u32 v7, v0, s15, v7
.LBB117_52:
	global_load_b32 v0, v5, s[2:3]
	global_load_b32 v1, v6, s[4:5]
	;; [unrolled: 1-line block ×3, first 2 shown]
	s_wait_loadcnt 0x0
	v_maxmin_i32 v0, v0, v1, v2
	global_store_b32 v4, v0, s[0:1]
.LBB117_53:
	s_wait_xcnt 0x0
	s_or_b32 exec_lo, exec_lo, s17
                                        ; implicit-def: $vgpr4
                                        ; implicit-def: $vgpr0
.LBB117_54:
	s_and_not1_saveexec_b32 s0, s36
	s_cbranch_execz .LBB117_61
; %bb.55:
	v_cndmask_b32_e64 v6, 0, 1, s35
	s_and_not1_b32 vcc_lo, exec_lo, s35
	s_cbranch_vccnz .LBB117_62
; %bb.56:
	s_cmp_lg_u32 s33, 0
	s_mov_b32 s4, 0
	s_cbranch_scc0 .LBB117_66
; %bb.57:
	s_min_u32 s5, s34, 15
	v_dual_mov_b32 v3, 0 :: v_dual_mov_b32 v7, v0
	v_dual_mov_b32 v5, 0 :: v_dual_mov_b32 v1, 0
	v_mov_b32_e32 v2, 0
	s_add_co_i32 s2, s5, 1
	s_mov_b64 s[0:1], 0xffffffffffffffe0
	s_and_b32 s6, s2, 30
	s_add_nc_u64 s[0:1], s[20:21], s[0:1]
	s_mov_b64 s[2:3], s[20:21]
.LBB117_58:                             ; =>This Inner Loop Header: Depth=1
	s_clause 0x1
	s_load_b128 s[16:19], s[2:3], 0x4
	s_load_b64 s[22:23], s[2:3], 0x14
	s_load_b256 s[8:15], s[0:1], 0xe4
	s_add_co_i32 s6, s6, -2
	s_wait_xcnt 0x0
	s_add_nc_u64 s[2:3], s[2:3], 24
	s_cmp_lg_u32 s6, 0
	s_add_nc_u64 s[0:1], s[0:1], 32
	s_wait_kmcnt 0x0
	v_mul_hi_u32 v8, s17, v7
	s_delay_alu instid0(VALU_DEP_1) | instskip(NEXT) | instid1(VALU_DEP_1)
	v_add_nc_u32_e32 v8, v7, v8
	v_lshrrev_b32_e32 v8, s18, v8
	s_delay_alu instid0(VALU_DEP_1) | instskip(SKIP_1) | instid1(VALU_DEP_1)
	v_mul_hi_u32 v9, s22, v8
	v_mul_lo_u32 v10, v8, s16
	v_dual_add_nc_u32 v9, v8, v9 :: v_dual_sub_nc_u32 v10, v7, v10
	s_delay_alu instid0(VALU_DEP_1) | instskip(NEXT) | instid1(VALU_DEP_2)
	v_lshrrev_b32_e32 v7, s23, v9
	v_mad_u32 v2, v10, s9, v2
	v_mad_u32 v1, v10, s8, v1
	;; [unrolled: 1-line block ×4, first 2 shown]
	v_mul_lo_u32 v9, v7, s19
	s_delay_alu instid0(VALU_DEP_1) | instskip(NEXT) | instid1(VALU_DEP_1)
	v_sub_nc_u32_e32 v8, v8, v9
	v_mad_u32 v2, v8, s13, v2
	v_mad_u32 v1, v8, s12, v1
	;; [unrolled: 1-line block ×4, first 2 shown]
	s_cbranch_scc1 .LBB117_58
; %bb.59:
	s_bitcmp1_b32 s5, 0
	s_cselect_b32 s5, -1, 0
	s_delay_alu instid0(SALU_CYCLE_1)
	s_and_b32 vcc_lo, exec_lo, s5
	s_cbranch_vccnz .LBB117_63
; %bb.60:
	s_load_b96 s[12:14], s[2:3], 0x4
	s_load_b128 s[8:11], s[0:1], 0xe4
	s_wait_kmcnt 0x0
	v_mul_hi_u32 v8, s13, v7
	s_delay_alu instid0(VALU_DEP_1) | instskip(NEXT) | instid1(VALU_DEP_1)
	v_add_nc_u32_e32 v8, v7, v8
	v_lshrrev_b32_e32 v8, s14, v8
	s_delay_alu instid0(VALU_DEP_1) | instskip(NEXT) | instid1(VALU_DEP_1)
	v_mul_lo_u32 v8, v8, s12
	v_sub_nc_u32_e32 v7, v7, v8
	s_delay_alu instid0(VALU_DEP_1)
	v_mad_u32 v1, v7, s8, v1
	v_mad_u32 v2, v7, s9, v2
	;; [unrolled: 1-line block ×4, first 2 shown]
	s_and_not1_b32 vcc_lo, exec_lo, s4
	s_cbranch_vccz .LBB117_64
	s_branch .LBB117_67
.LBB117_61:
	s_endpgm
.LBB117_62:
	s_mov_b32 s4, -1
                                        ; implicit-def: $vgpr2
                                        ; implicit-def: $vgpr1
                                        ; implicit-def: $vgpr5
                                        ; implicit-def: $vgpr3
.LBB117_63:
	s_delay_alu instid0(SALU_CYCLE_1)
	s_and_not1_b32 vcc_lo, exec_lo, s4
	s_cbranch_vccnz .LBB117_67
.LBB117_64:
	s_clause 0x1
	s_load_b96 s[4:6], s[20:21], 0x4
	s_load_b128 s[0:3], s[20:21], 0xc4
	s_cmp_lt_u32 s33, 2
	s_wait_kmcnt 0x0
	v_mul_hi_u32 v1, s5, v0
	s_delay_alu instid0(VALU_DEP_1) | instskip(NEXT) | instid1(VALU_DEP_1)
	v_add_nc_u32_e32 v1, v0, v1
	v_lshrrev_b32_e32 v7, s6, v1
	s_delay_alu instid0(VALU_DEP_1) | instskip(NEXT) | instid1(VALU_DEP_1)
	v_mul_lo_u32 v1, v7, s4
	v_sub_nc_u32_e32 v3, v0, v1
	s_delay_alu instid0(VALU_DEP_1)
	v_mul_lo_u32 v2, v3, s1
	v_mul_lo_u32 v1, v3, s0
	v_mul_lo_u32 v5, v3, s3
	v_mul_lo_u32 v3, v3, s2
	s_cbranch_scc1 .LBB117_67
; %bb.65:
	s_clause 0x1
	s_load_b96 s[4:6], s[20:21], 0x10
	s_load_b128 s[0:3], s[20:21], 0xd4
	s_wait_kmcnt 0x0
	v_mul_hi_u32 v8, s5, v7
	s_delay_alu instid0(VALU_DEP_1) | instskip(NEXT) | instid1(VALU_DEP_1)
	v_add_nc_u32_e32 v8, v7, v8
	v_lshrrev_b32_e32 v8, s6, v8
	s_delay_alu instid0(VALU_DEP_1) | instskip(NEXT) | instid1(VALU_DEP_1)
	v_mul_lo_u32 v8, v8, s4
	v_sub_nc_u32_e32 v7, v7, v8
	s_delay_alu instid0(VALU_DEP_1)
	v_mad_u32 v1, v7, s0, v1
	v_mad_u32 v2, v7, s1, v2
	;; [unrolled: 1-line block ×4, first 2 shown]
	s_branch .LBB117_67
.LBB117_66:
	v_dual_mov_b32 v2, 0 :: v_dual_mov_b32 v1, 0
	v_dual_mov_b32 v5, 0 :: v_dual_mov_b32 v3, 0
	s_and_not1_b32 vcc_lo, exec_lo, s4
	s_cbranch_vccz .LBB117_64
.LBB117_67:
	v_cmp_ne_u32_e32 vcc_lo, 1, v6
	v_add_nc_u32_e32 v11, 0x80, v0
	s_cbranch_vccnz .LBB117_73
; %bb.68:
	s_cmp_lg_u32 s33, 0
	s_mov_b32 s4, 0
	s_cbranch_scc0 .LBB117_77
; %bb.69:
	s_min_u32 s5, s34, 15
	v_dual_mov_b32 v8, 0 :: v_dual_mov_b32 v12, v11
	v_dual_mov_b32 v10, 0 :: v_dual_mov_b32 v7, 0
	v_mov_b32_e32 v9, 0
	s_add_co_i32 s2, s5, 1
	s_mov_b64 s[0:1], 0xffffffffffffffe0
	s_and_b32 s6, s2, 30
	s_add_nc_u64 s[0:1], s[20:21], s[0:1]
	s_mov_b64 s[2:3], s[20:21]
.LBB117_70:                             ; =>This Inner Loop Header: Depth=1
	s_clause 0x1
	s_load_b128 s[16:19], s[2:3], 0x4
	s_load_b64 s[22:23], s[2:3], 0x14
	s_load_b256 s[8:15], s[0:1], 0xe4
	s_add_co_i32 s6, s6, -2
	s_wait_xcnt 0x0
	s_add_nc_u64 s[2:3], s[2:3], 24
	s_cmp_lg_u32 s6, 0
	s_add_nc_u64 s[0:1], s[0:1], 32
	s_wait_kmcnt 0x0
	v_mul_hi_u32 v13, s17, v12
	s_delay_alu instid0(VALU_DEP_1) | instskip(NEXT) | instid1(VALU_DEP_1)
	v_add_nc_u32_e32 v13, v12, v13
	v_lshrrev_b32_e32 v13, s18, v13
	s_delay_alu instid0(VALU_DEP_1) | instskip(SKIP_1) | instid1(VALU_DEP_1)
	v_mul_hi_u32 v14, s22, v13
	v_mul_lo_u32 v15, v13, s16
	v_dual_add_nc_u32 v14, v13, v14 :: v_dual_sub_nc_u32 v15, v12, v15
	s_delay_alu instid0(VALU_DEP_1) | instskip(NEXT) | instid1(VALU_DEP_2)
	v_lshrrev_b32_e32 v12, s23, v14
	v_mad_u32 v9, v15, s9, v9
	v_mad_u32 v7, v15, s8, v7
	;; [unrolled: 1-line block ×4, first 2 shown]
	v_mul_lo_u32 v14, v12, s19
	s_delay_alu instid0(VALU_DEP_1) | instskip(NEXT) | instid1(VALU_DEP_1)
	v_sub_nc_u32_e32 v13, v13, v14
	v_mad_u32 v9, v13, s13, v9
	v_mad_u32 v7, v13, s12, v7
	;; [unrolled: 1-line block ×4, first 2 shown]
	s_cbranch_scc1 .LBB117_70
; %bb.71:
	s_bitcmp1_b32 s5, 0
	s_cselect_b32 s5, -1, 0
	s_delay_alu instid0(SALU_CYCLE_1)
	s_and_b32 vcc_lo, exec_lo, s5
	s_cbranch_vccnz .LBB117_74
; %bb.72:
	s_load_b96 s[12:14], s[2:3], 0x4
	s_load_b128 s[8:11], s[0:1], 0xe4
	s_wait_kmcnt 0x0
	v_mul_hi_u32 v13, s13, v12
	s_delay_alu instid0(VALU_DEP_1) | instskip(NEXT) | instid1(VALU_DEP_1)
	v_add_nc_u32_e32 v13, v12, v13
	v_lshrrev_b32_e32 v13, s14, v13
	s_delay_alu instid0(VALU_DEP_1) | instskip(NEXT) | instid1(VALU_DEP_1)
	v_mul_lo_u32 v13, v13, s12
	v_sub_nc_u32_e32 v12, v12, v13
	s_delay_alu instid0(VALU_DEP_1)
	v_mad_u32 v7, v12, s8, v7
	v_mad_u32 v9, v12, s9, v9
	;; [unrolled: 1-line block ×4, first 2 shown]
	s_and_not1_b32 vcc_lo, exec_lo, s4
	s_cbranch_vccz .LBB117_75
	s_branch .LBB117_78
.LBB117_73:
	s_mov_b32 s4, -1
                                        ; implicit-def: $vgpr9
                                        ; implicit-def: $vgpr7
                                        ; implicit-def: $vgpr10
                                        ; implicit-def: $vgpr8
.LBB117_74:
	s_delay_alu instid0(SALU_CYCLE_1)
	s_and_not1_b32 vcc_lo, exec_lo, s4
	s_cbranch_vccnz .LBB117_78
.LBB117_75:
	s_clause 0x1
	s_load_b96 s[4:6], s[20:21], 0x4
	s_load_b128 s[0:3], s[20:21], 0xc4
	s_cmp_lt_u32 s33, 2
	s_wait_kmcnt 0x0
	v_mul_hi_u32 v7, s5, v11
	s_delay_alu instid0(VALU_DEP_1) | instskip(NEXT) | instid1(VALU_DEP_1)
	v_add_nc_u32_e32 v7, v11, v7
	v_lshrrev_b32_e32 v12, s6, v7
	s_delay_alu instid0(VALU_DEP_1) | instskip(NEXT) | instid1(VALU_DEP_1)
	v_mul_lo_u32 v7, v12, s4
	v_sub_nc_u32_e32 v8, v11, v7
	s_delay_alu instid0(VALU_DEP_1)
	v_mul_lo_u32 v9, v8, s1
	v_mul_lo_u32 v7, v8, s0
	;; [unrolled: 1-line block ×4, first 2 shown]
	s_cbranch_scc1 .LBB117_78
; %bb.76:
	s_clause 0x1
	s_load_b96 s[4:6], s[20:21], 0x10
	s_load_b128 s[0:3], s[20:21], 0xd4
	s_wait_kmcnt 0x0
	v_mul_hi_u32 v11, s5, v12
	s_delay_alu instid0(VALU_DEP_1) | instskip(NEXT) | instid1(VALU_DEP_1)
	v_add_nc_u32_e32 v11, v12, v11
	v_lshrrev_b32_e32 v11, s6, v11
	s_delay_alu instid0(VALU_DEP_1) | instskip(NEXT) | instid1(VALU_DEP_1)
	v_mul_lo_u32 v11, v11, s4
	v_sub_nc_u32_e32 v11, v12, v11
	s_delay_alu instid0(VALU_DEP_1)
	v_mad_u32 v7, v11, s0, v7
	v_mad_u32 v9, v11, s1, v9
	;; [unrolled: 1-line block ×4, first 2 shown]
	s_branch .LBB117_78
.LBB117_77:
	v_dual_mov_b32 v9, 0 :: v_dual_mov_b32 v7, 0
	v_dual_mov_b32 v10, 0 :: v_dual_mov_b32 v8, 0
	s_and_not1_b32 vcc_lo, exec_lo, s4
	s_cbranch_vccz .LBB117_75
.LBB117_78:
	v_cmp_ne_u32_e32 vcc_lo, 1, v6
	v_add_nc_u32_e32 v14, 0x100, v0
	s_cbranch_vccnz .LBB117_84
; %bb.79:
	s_cmp_lg_u32 s33, 0
	s_mov_b32 s4, 0
	s_cbranch_scc0 .LBB117_88
; %bb.80:
	s_min_u32 s5, s34, 15
	v_dual_mov_b32 v13, 0 :: v_dual_mov_b32 v15, v14
	v_dual_mov_b32 v12, 0 :: v_dual_mov_b32 v0, 0
	v_mov_b32_e32 v11, 0
	s_add_co_i32 s2, s5, 1
	s_mov_b64 s[0:1], 0xffffffffffffffe0
	s_and_b32 s6, s2, 30
	s_add_nc_u64 s[0:1], s[20:21], s[0:1]
	s_mov_b64 s[2:3], s[20:21]
.LBB117_81:                             ; =>This Inner Loop Header: Depth=1
	s_clause 0x1
	s_load_b128 s[16:19], s[2:3], 0x4
	s_load_b64 s[22:23], s[2:3], 0x14
	s_load_b256 s[8:15], s[0:1], 0xe4
	s_add_co_i32 s6, s6, -2
	s_wait_xcnt 0x0
	s_add_nc_u64 s[2:3], s[2:3], 24
	s_cmp_lg_u32 s6, 0
	s_add_nc_u64 s[0:1], s[0:1], 32
	s_wait_kmcnt 0x0
	v_mul_hi_u32 v16, s17, v15
	s_delay_alu instid0(VALU_DEP_1) | instskip(NEXT) | instid1(VALU_DEP_1)
	v_add_nc_u32_e32 v16, v15, v16
	v_lshrrev_b32_e32 v16, s18, v16
	s_delay_alu instid0(VALU_DEP_1) | instskip(SKIP_1) | instid1(VALU_DEP_1)
	v_mul_hi_u32 v17, s22, v16
	v_mul_lo_u32 v18, v16, s16
	v_dual_add_nc_u32 v17, v16, v17 :: v_dual_sub_nc_u32 v18, v15, v18
	s_delay_alu instid0(VALU_DEP_1) | instskip(NEXT) | instid1(VALU_DEP_2)
	v_lshrrev_b32_e32 v15, s23, v17
	v_mad_u32 v11, v18, s9, v11
	v_mad_u32 v0, v18, s8, v0
	;; [unrolled: 1-line block ×4, first 2 shown]
	v_mul_lo_u32 v17, v15, s19
	s_delay_alu instid0(VALU_DEP_1) | instskip(NEXT) | instid1(VALU_DEP_1)
	v_sub_nc_u32_e32 v16, v16, v17
	v_mad_u32 v11, v16, s13, v11
	v_mad_u32 v0, v16, s12, v0
	v_mad_u32 v12, v16, s15, v12
	v_mad_u32 v13, v16, s14, v13
	s_cbranch_scc1 .LBB117_81
; %bb.82:
	s_bitcmp1_b32 s5, 0
	s_cselect_b32 s5, -1, 0
	s_delay_alu instid0(SALU_CYCLE_1)
	s_and_b32 vcc_lo, exec_lo, s5
	s_cbranch_vccnz .LBB117_85
; %bb.83:
	s_load_b96 s[12:14], s[2:3], 0x4
	s_load_b128 s[8:11], s[0:1], 0xe4
	s_wait_kmcnt 0x0
	v_mul_hi_u32 v16, s13, v15
	s_delay_alu instid0(VALU_DEP_1) | instskip(NEXT) | instid1(VALU_DEP_1)
	v_add_nc_u32_e32 v16, v15, v16
	v_lshrrev_b32_e32 v16, s14, v16
	s_delay_alu instid0(VALU_DEP_1) | instskip(NEXT) | instid1(VALU_DEP_1)
	v_mul_lo_u32 v16, v16, s12
	v_sub_nc_u32_e32 v15, v15, v16
	s_delay_alu instid0(VALU_DEP_1)
	v_mad_u32 v0, v15, s8, v0
	v_mad_u32 v11, v15, s9, v11
	;; [unrolled: 1-line block ×4, first 2 shown]
	s_and_not1_b32 vcc_lo, exec_lo, s4
	s_cbranch_vccz .LBB117_86
	s_branch .LBB117_89
.LBB117_84:
	s_mov_b32 s4, -1
                                        ; implicit-def: $vgpr11
                                        ; implicit-def: $vgpr0
                                        ; implicit-def: $vgpr12
                                        ; implicit-def: $vgpr13
.LBB117_85:
	s_delay_alu instid0(SALU_CYCLE_1)
	s_and_not1_b32 vcc_lo, exec_lo, s4
	s_cbranch_vccnz .LBB117_89
.LBB117_86:
	s_clause 0x1
	s_load_b96 s[4:6], s[20:21], 0x4
	s_load_b128 s[0:3], s[20:21], 0xc4
	s_cmp_lt_u32 s33, 2
	s_wait_kmcnt 0x0
	v_mul_hi_u32 v0, s5, v14
	s_delay_alu instid0(VALU_DEP_1) | instskip(NEXT) | instid1(VALU_DEP_1)
	v_add_nc_u32_e32 v0, v14, v0
	v_lshrrev_b32_e32 v15, s6, v0
	s_delay_alu instid0(VALU_DEP_1) | instskip(NEXT) | instid1(VALU_DEP_1)
	v_mul_lo_u32 v0, v15, s4
	v_sub_nc_u32_e32 v13, v14, v0
	s_delay_alu instid0(VALU_DEP_1)
	v_mul_lo_u32 v11, v13, s1
	v_mul_lo_u32 v0, v13, s0
	;; [unrolled: 1-line block ×4, first 2 shown]
	s_cbranch_scc1 .LBB117_89
; %bb.87:
	s_clause 0x1
	s_load_b96 s[4:6], s[20:21], 0x10
	s_load_b128 s[0:3], s[20:21], 0xd4
	s_wait_kmcnt 0x0
	v_mul_hi_u32 v14, s5, v15
	s_delay_alu instid0(VALU_DEP_1) | instskip(NEXT) | instid1(VALU_DEP_1)
	v_add_nc_u32_e32 v14, v15, v14
	v_lshrrev_b32_e32 v14, s6, v14
	s_delay_alu instid0(VALU_DEP_1) | instskip(NEXT) | instid1(VALU_DEP_1)
	v_mul_lo_u32 v14, v14, s4
	v_sub_nc_u32_e32 v14, v15, v14
	s_delay_alu instid0(VALU_DEP_1)
	v_mad_u32 v0, v14, s0, v0
	v_mad_u32 v11, v14, s1, v11
	v_mad_u32 v13, v14, s2, v13
	v_mad_u32 v12, v14, s3, v12
	s_branch .LBB117_89
.LBB117_88:
	v_dual_mov_b32 v11, 0 :: v_dual_mov_b32 v0, 0
	v_dual_mov_b32 v12, 0 :: v_dual_mov_b32 v13, 0
	s_and_not1_b32 vcc_lo, exec_lo, s4
	s_cbranch_vccz .LBB117_86
.LBB117_89:
	v_cmp_ne_u32_e32 vcc_lo, 1, v6
	s_cbranch_vccnz .LBB117_95
; %bb.90:
	s_cmp_lg_u32 s33, 0
	s_mov_b32 s4, 0
	s_cbranch_scc0 .LBB117_99
; %bb.91:
	s_min_u32 s5, s34, 15
	v_dual_mov_b32 v16, 0 :: v_dual_mov_b32 v17, v4
	v_dual_mov_b32 v15, 0 :: v_dual_mov_b32 v6, 0
	v_mov_b32_e32 v14, 0
	s_add_co_i32 s2, s5, 1
	s_mov_b64 s[0:1], 0xffffffffffffffe0
	s_and_b32 s6, s2, 30
	s_add_nc_u64 s[0:1], s[20:21], s[0:1]
	s_mov_b64 s[2:3], s[20:21]
.LBB117_92:                             ; =>This Inner Loop Header: Depth=1
	s_clause 0x1
	s_load_b128 s[16:19], s[2:3], 0x4
	s_load_b64 s[22:23], s[2:3], 0x14
	s_load_b256 s[8:15], s[0:1], 0xe4
	s_add_co_i32 s6, s6, -2
	s_wait_xcnt 0x0
	s_add_nc_u64 s[2:3], s[2:3], 24
	s_cmp_lg_u32 s6, 0
	s_add_nc_u64 s[0:1], s[0:1], 32
	s_wait_kmcnt 0x0
	v_mul_hi_u32 v18, s17, v17
	s_delay_alu instid0(VALU_DEP_1) | instskip(NEXT) | instid1(VALU_DEP_1)
	v_add_nc_u32_e32 v18, v17, v18
	v_lshrrev_b32_e32 v18, s18, v18
	s_delay_alu instid0(VALU_DEP_1) | instskip(SKIP_1) | instid1(VALU_DEP_1)
	v_mul_hi_u32 v19, s22, v18
	v_mul_lo_u32 v20, v18, s16
	v_dual_add_nc_u32 v19, v18, v19 :: v_dual_sub_nc_u32 v20, v17, v20
	s_delay_alu instid0(VALU_DEP_1) | instskip(NEXT) | instid1(VALU_DEP_2)
	v_lshrrev_b32_e32 v17, s23, v19
	v_mad_u32 v14, v20, s9, v14
	v_mad_u32 v6, v20, s8, v6
	;; [unrolled: 1-line block ×4, first 2 shown]
	v_mul_lo_u32 v19, v17, s19
	s_delay_alu instid0(VALU_DEP_1) | instskip(NEXT) | instid1(VALU_DEP_1)
	v_sub_nc_u32_e32 v18, v18, v19
	v_mad_u32 v14, v18, s13, v14
	v_mad_u32 v6, v18, s12, v6
	;; [unrolled: 1-line block ×4, first 2 shown]
	s_cbranch_scc1 .LBB117_92
; %bb.93:
	s_bitcmp1_b32 s5, 0
	s_cselect_b32 s5, -1, 0
	s_delay_alu instid0(SALU_CYCLE_1)
	s_and_b32 vcc_lo, exec_lo, s5
	s_cbranch_vccnz .LBB117_96
; %bb.94:
	s_load_b96 s[12:14], s[2:3], 0x4
	s_load_b128 s[8:11], s[0:1], 0xe4
	s_wait_kmcnt 0x0
	v_mul_hi_u32 v18, s13, v17
	s_delay_alu instid0(VALU_DEP_1) | instskip(NEXT) | instid1(VALU_DEP_1)
	v_add_nc_u32_e32 v18, v17, v18
	v_lshrrev_b32_e32 v18, s14, v18
	s_delay_alu instid0(VALU_DEP_1) | instskip(NEXT) | instid1(VALU_DEP_1)
	v_mul_lo_u32 v18, v18, s12
	v_sub_nc_u32_e32 v17, v17, v18
	s_delay_alu instid0(VALU_DEP_1)
	v_mad_u32 v6, v17, s8, v6
	v_mad_u32 v14, v17, s9, v14
	v_mad_u32 v16, v17, s10, v16
	v_mad_u32 v15, v17, s11, v15
	s_and_not1_b32 vcc_lo, exec_lo, s4
	s_cbranch_vccz .LBB117_97
	s_branch .LBB117_100
.LBB117_95:
	s_mov_b32 s4, -1
                                        ; implicit-def: $vgpr14
                                        ; implicit-def: $vgpr6
                                        ; implicit-def: $vgpr15
                                        ; implicit-def: $vgpr16
.LBB117_96:
	s_delay_alu instid0(SALU_CYCLE_1)
	s_and_not1_b32 vcc_lo, exec_lo, s4
	s_cbranch_vccnz .LBB117_100
.LBB117_97:
	s_clause 0x1
	s_load_b96 s[4:6], s[20:21], 0x4
	s_load_b128 s[0:3], s[20:21], 0xc4
	s_cmp_lt_u32 s33, 2
	s_wait_kmcnt 0x0
	v_mul_hi_u32 v6, s5, v4
	s_delay_alu instid0(VALU_DEP_1) | instskip(NEXT) | instid1(VALU_DEP_1)
	v_add_nc_u32_e32 v6, v4, v6
	v_lshrrev_b32_e32 v17, s6, v6
	s_delay_alu instid0(VALU_DEP_1) | instskip(NEXT) | instid1(VALU_DEP_1)
	v_mul_lo_u32 v6, v17, s4
	v_sub_nc_u32_e32 v4, v4, v6
	s_delay_alu instid0(VALU_DEP_1)
	v_mul_lo_u32 v14, v4, s1
	v_mul_lo_u32 v6, v4, s0
	;; [unrolled: 1-line block ×4, first 2 shown]
	s_cbranch_scc1 .LBB117_100
; %bb.98:
	s_clause 0x1
	s_load_b96 s[4:6], s[20:21], 0x10
	s_load_b128 s[0:3], s[20:21], 0xd4
	s_wait_kmcnt 0x0
	v_mul_hi_u32 v4, s5, v17
	s_delay_alu instid0(VALU_DEP_1) | instskip(NEXT) | instid1(VALU_DEP_1)
	v_add_nc_u32_e32 v4, v17, v4
	v_lshrrev_b32_e32 v4, s6, v4
	s_delay_alu instid0(VALU_DEP_1) | instskip(NEXT) | instid1(VALU_DEP_1)
	v_mul_lo_u32 v4, v4, s4
	v_sub_nc_u32_e32 v4, v17, v4
	s_delay_alu instid0(VALU_DEP_1)
	v_mad_u32 v6, v4, s0, v6
	v_mad_u32 v14, v4, s1, v14
	v_mad_u32 v16, v4, s2, v16
	v_mad_u32 v15, v4, s3, v15
	s_branch .LBB117_100
.LBB117_99:
	v_dual_mov_b32 v14, 0 :: v_dual_mov_b32 v6, 0
	v_dual_mov_b32 v15, 0 :: v_dual_mov_b32 v16, 0
	s_and_not1_b32 vcc_lo, exec_lo, s4
	s_cbranch_vccz .LBB117_97
.LBB117_100:
	s_load_b256 s[0:7], s[20:21], 0x1c8
	s_wait_kmcnt 0x0
	global_load_b32 v4, v2, s[2:3]
	global_load_b32 v17, v3, s[4:5]
	;; [unrolled: 1-line block ×12, first 2 shown]
	s_wait_loadcnt 0x9
	s_wait_xcnt 0xb
	v_maxmin_i32 v2, v4, v17, v18
	s_wait_loadcnt 0x6
	s_wait_xcnt 0xa
	v_maxmin_i32 v3, v19, v20, v21
	s_wait_loadcnt 0x3
	v_maxmin_i32 v4, v22, v23, v24
	s_wait_loadcnt 0x0
	s_wait_xcnt 0x9
	v_maxmin_i32 v5, v25, v26, v27
	s_clause 0x3
	global_store_b32 v1, v2, s[0:1]
	global_store_b32 v7, v3, s[0:1]
	;; [unrolled: 1-line block ×4, first 2 shown]
	s_endpgm
	.section	.rodata,"a",@progbits
	.p2align	6, 0x0
	.amdhsa_kernel _ZN2at6native32elementwise_kernel_manual_unrollILi128ELi4EZNS0_22gpu_kernel_impl_nocastIZZZNS0_12_GLOBAL__N_117clamp_kernel_implERNS_18TensorIteratorBaseEENKUlvE_clEvENKUlvE1_clEvEUliiiE_EEvS5_RKT_EUlibE_EEviT1_
		.amdhsa_group_segment_fixed_size 0
		.amdhsa_private_segment_fixed_size 0
		.amdhsa_kernarg_size 504
		.amdhsa_user_sgpr_count 2
		.amdhsa_user_sgpr_dispatch_ptr 0
		.amdhsa_user_sgpr_queue_ptr 0
		.amdhsa_user_sgpr_kernarg_segment_ptr 1
		.amdhsa_user_sgpr_dispatch_id 0
		.amdhsa_user_sgpr_kernarg_preload_length 0
		.amdhsa_user_sgpr_kernarg_preload_offset 0
		.amdhsa_user_sgpr_private_segment_size 0
		.amdhsa_wavefront_size32 1
		.amdhsa_uses_dynamic_stack 0
		.amdhsa_enable_private_segment 0
		.amdhsa_system_sgpr_workgroup_id_x 1
		.amdhsa_system_sgpr_workgroup_id_y 0
		.amdhsa_system_sgpr_workgroup_id_z 0
		.amdhsa_system_sgpr_workgroup_info 0
		.amdhsa_system_vgpr_workitem_id 0
		.amdhsa_next_free_vgpr 28
		.amdhsa_next_free_sgpr 56
		.amdhsa_named_barrier_count 0
		.amdhsa_reserve_vcc 1
		.amdhsa_float_round_mode_32 0
		.amdhsa_float_round_mode_16_64 0
		.amdhsa_float_denorm_mode_32 3
		.amdhsa_float_denorm_mode_16_64 3
		.amdhsa_fp16_overflow 0
		.amdhsa_memory_ordered 1
		.amdhsa_forward_progress 1
		.amdhsa_inst_pref_size 45
		.amdhsa_round_robin_scheduling 0
		.amdhsa_exception_fp_ieee_invalid_op 0
		.amdhsa_exception_fp_denorm_src 0
		.amdhsa_exception_fp_ieee_div_zero 0
		.amdhsa_exception_fp_ieee_overflow 0
		.amdhsa_exception_fp_ieee_underflow 0
		.amdhsa_exception_fp_ieee_inexact 0
		.amdhsa_exception_int_div_zero 0
	.end_amdhsa_kernel
	.section	.text._ZN2at6native32elementwise_kernel_manual_unrollILi128ELi4EZNS0_22gpu_kernel_impl_nocastIZZZNS0_12_GLOBAL__N_117clamp_kernel_implERNS_18TensorIteratorBaseEENKUlvE_clEvENKUlvE1_clEvEUliiiE_EEvS5_RKT_EUlibE_EEviT1_,"axG",@progbits,_ZN2at6native32elementwise_kernel_manual_unrollILi128ELi4EZNS0_22gpu_kernel_impl_nocastIZZZNS0_12_GLOBAL__N_117clamp_kernel_implERNS_18TensorIteratorBaseEENKUlvE_clEvENKUlvE1_clEvEUliiiE_EEvS5_RKT_EUlibE_EEviT1_,comdat
.Lfunc_end117:
	.size	_ZN2at6native32elementwise_kernel_manual_unrollILi128ELi4EZNS0_22gpu_kernel_impl_nocastIZZZNS0_12_GLOBAL__N_117clamp_kernel_implERNS_18TensorIteratorBaseEENKUlvE_clEvENKUlvE1_clEvEUliiiE_EEvS5_RKT_EUlibE_EEviT1_, .Lfunc_end117-_ZN2at6native32elementwise_kernel_manual_unrollILi128ELi4EZNS0_22gpu_kernel_impl_nocastIZZZNS0_12_GLOBAL__N_117clamp_kernel_implERNS_18TensorIteratorBaseEENKUlvE_clEvENKUlvE1_clEvEUliiiE_EEvS5_RKT_EUlibE_EEviT1_
                                        ; -- End function
	.set _ZN2at6native32elementwise_kernel_manual_unrollILi128ELi4EZNS0_22gpu_kernel_impl_nocastIZZZNS0_12_GLOBAL__N_117clamp_kernel_implERNS_18TensorIteratorBaseEENKUlvE_clEvENKUlvE1_clEvEUliiiE_EEvS5_RKT_EUlibE_EEviT1_.num_vgpr, 28
	.set _ZN2at6native32elementwise_kernel_manual_unrollILi128ELi4EZNS0_22gpu_kernel_impl_nocastIZZZNS0_12_GLOBAL__N_117clamp_kernel_implERNS_18TensorIteratorBaseEENKUlvE_clEvENKUlvE1_clEvEUliiiE_EEvS5_RKT_EUlibE_EEviT1_.num_agpr, 0
	.set _ZN2at6native32elementwise_kernel_manual_unrollILi128ELi4EZNS0_22gpu_kernel_impl_nocastIZZZNS0_12_GLOBAL__N_117clamp_kernel_implERNS_18TensorIteratorBaseEENKUlvE_clEvENKUlvE1_clEvEUliiiE_EEvS5_RKT_EUlibE_EEviT1_.numbered_sgpr, 56
	.set _ZN2at6native32elementwise_kernel_manual_unrollILi128ELi4EZNS0_22gpu_kernel_impl_nocastIZZZNS0_12_GLOBAL__N_117clamp_kernel_implERNS_18TensorIteratorBaseEENKUlvE_clEvENKUlvE1_clEvEUliiiE_EEvS5_RKT_EUlibE_EEviT1_.num_named_barrier, 0
	.set _ZN2at6native32elementwise_kernel_manual_unrollILi128ELi4EZNS0_22gpu_kernel_impl_nocastIZZZNS0_12_GLOBAL__N_117clamp_kernel_implERNS_18TensorIteratorBaseEENKUlvE_clEvENKUlvE1_clEvEUliiiE_EEvS5_RKT_EUlibE_EEviT1_.private_seg_size, 0
	.set _ZN2at6native32elementwise_kernel_manual_unrollILi128ELi4EZNS0_22gpu_kernel_impl_nocastIZZZNS0_12_GLOBAL__N_117clamp_kernel_implERNS_18TensorIteratorBaseEENKUlvE_clEvENKUlvE1_clEvEUliiiE_EEvS5_RKT_EUlibE_EEviT1_.uses_vcc, 1
	.set _ZN2at6native32elementwise_kernel_manual_unrollILi128ELi4EZNS0_22gpu_kernel_impl_nocastIZZZNS0_12_GLOBAL__N_117clamp_kernel_implERNS_18TensorIteratorBaseEENKUlvE_clEvENKUlvE1_clEvEUliiiE_EEvS5_RKT_EUlibE_EEviT1_.uses_flat_scratch, 0
	.set _ZN2at6native32elementwise_kernel_manual_unrollILi128ELi4EZNS0_22gpu_kernel_impl_nocastIZZZNS0_12_GLOBAL__N_117clamp_kernel_implERNS_18TensorIteratorBaseEENKUlvE_clEvENKUlvE1_clEvEUliiiE_EEvS5_RKT_EUlibE_EEviT1_.has_dyn_sized_stack, 0
	.set _ZN2at6native32elementwise_kernel_manual_unrollILi128ELi4EZNS0_22gpu_kernel_impl_nocastIZZZNS0_12_GLOBAL__N_117clamp_kernel_implERNS_18TensorIteratorBaseEENKUlvE_clEvENKUlvE1_clEvEUliiiE_EEvS5_RKT_EUlibE_EEviT1_.has_recursion, 0
	.set _ZN2at6native32elementwise_kernel_manual_unrollILi128ELi4EZNS0_22gpu_kernel_impl_nocastIZZZNS0_12_GLOBAL__N_117clamp_kernel_implERNS_18TensorIteratorBaseEENKUlvE_clEvENKUlvE1_clEvEUliiiE_EEvS5_RKT_EUlibE_EEviT1_.has_indirect_call, 0
	.section	.AMDGPU.csdata,"",@progbits
; Kernel info:
; codeLenInByte = 5724
; TotalNumSgprs: 58
; NumVgprs: 28
; ScratchSize: 0
; MemoryBound: 0
; FloatMode: 240
; IeeeMode: 1
; LDSByteSize: 0 bytes/workgroup (compile time only)
; SGPRBlocks: 0
; VGPRBlocks: 1
; NumSGPRsForWavesPerEU: 58
; NumVGPRsForWavesPerEU: 28
; NamedBarCnt: 0
; Occupancy: 16
; WaveLimiterHint : 1
; COMPUTE_PGM_RSRC2:SCRATCH_EN: 0
; COMPUTE_PGM_RSRC2:USER_SGPR: 2
; COMPUTE_PGM_RSRC2:TRAP_HANDLER: 0
; COMPUTE_PGM_RSRC2:TGID_X_EN: 1
; COMPUTE_PGM_RSRC2:TGID_Y_EN: 0
; COMPUTE_PGM_RSRC2:TGID_Z_EN: 0
; COMPUTE_PGM_RSRC2:TIDIG_COMP_CNT: 0
	.section	.text._ZN2at6native32elementwise_kernel_manual_unrollILi128ELi4EZNS0_15gpu_kernel_implIZZZNS0_12_GLOBAL__N_117clamp_kernel_implERNS_18TensorIteratorBaseEENKUlvE_clEvENKUlvE1_clEvEUliiiE_EEvS5_RKT_EUlibE_EEviT1_,"axG",@progbits,_ZN2at6native32elementwise_kernel_manual_unrollILi128ELi4EZNS0_15gpu_kernel_implIZZZNS0_12_GLOBAL__N_117clamp_kernel_implERNS_18TensorIteratorBaseEENKUlvE_clEvENKUlvE1_clEvEUliiiE_EEvS5_RKT_EUlibE_EEviT1_,comdat
	.globl	_ZN2at6native32elementwise_kernel_manual_unrollILi128ELi4EZNS0_15gpu_kernel_implIZZZNS0_12_GLOBAL__N_117clamp_kernel_implERNS_18TensorIteratorBaseEENKUlvE_clEvENKUlvE1_clEvEUliiiE_EEvS5_RKT_EUlibE_EEviT1_ ; -- Begin function _ZN2at6native32elementwise_kernel_manual_unrollILi128ELi4EZNS0_15gpu_kernel_implIZZZNS0_12_GLOBAL__N_117clamp_kernel_implERNS_18TensorIteratorBaseEENKUlvE_clEvENKUlvE1_clEvEUliiiE_EEvS5_RKT_EUlibE_EEviT1_
	.p2align	8
	.type	_ZN2at6native32elementwise_kernel_manual_unrollILi128ELi4EZNS0_15gpu_kernel_implIZZZNS0_12_GLOBAL__N_117clamp_kernel_implERNS_18TensorIteratorBaseEENKUlvE_clEvENKUlvE1_clEvEUliiiE_EEvS5_RKT_EUlibE_EEviT1_,@function
_ZN2at6native32elementwise_kernel_manual_unrollILi128ELi4EZNS0_15gpu_kernel_implIZZZNS0_12_GLOBAL__N_117clamp_kernel_implERNS_18TensorIteratorBaseEENKUlvE_clEvENKUlvE1_clEvEUliiiE_EEvS5_RKT_EUlibE_EEviT1_: ; @_ZN2at6native32elementwise_kernel_manual_unrollILi128ELi4EZNS0_15gpu_kernel_implIZZZNS0_12_GLOBAL__N_117clamp_kernel_implERNS_18TensorIteratorBaseEENKUlvE_clEvENKUlvE1_clEvEUliiiE_EEvS5_RKT_EUlibE_EEviT1_
; %bb.0:
	v_mov_b32_e32 v1, 0
	s_bfe_u32 s3, ttmp6, 0x4000c
	s_clause 0x1
	s_load_b128 s[12:15], s[0:1], 0x28
	s_load_b256 s[4:11], s[0:1], 0x8
	s_add_co_i32 s3, s3, 1
	global_load_b32 v1, v1, s[0:1] offset:57
	s_load_b32 s20, s[0:1], 0x0
	s_and_b32 s16, ttmp6, 15
	s_wait_xcnt 0x0
	s_mul_i32 s0, ttmp9, s3
	s_getreg_b32 s18, hwreg(HW_REG_IB_STS2, 6, 4)
	s_add_co_i32 s16, s16, s0
	s_mov_b32 s19, 0
	s_wait_loadcnt 0x0
	v_readfirstlane_b32 s2, v1
	s_lshr_b32 s3, s2, 16
	s_lshr_b32 s17, s2, 8
	s_lshr_b32 s1, s2, 24
	s_cmp_eq_u32 s18, 0
	s_cselect_b32 s0, ttmp9, s16
	s_mov_b32 s16, 0
	v_lshl_or_b32 v8, s0, 9, v0
	s_mov_b32 s0, exec_lo
	s_delay_alu instid0(VALU_DEP_1) | instskip(SKIP_1) | instid1(VALU_DEP_1)
	v_or_b32_e32 v0, 0x180, v8
	s_wait_kmcnt 0x0
	v_cmpx_le_i32_e64 s20, v0
	s_xor_b32 s18, exec_lo, s0
	s_cbranch_execz .LBB118_2015
; %bb.1:
	s_mov_b32 s28, -1
	s_mov_b32 s25, 0
	s_mov_b32 s23, 0
	;; [unrolled: 1-line block ×4, first 2 shown]
	s_mov_b32 s24, exec_lo
	v_cmpx_gt_i32_e64 s20, v8
	s_cbranch_execz .LBB118_500
; %bb.2:
	v_mul_lo_u32 v0, v8, s13
	s_and_b32 s0, s17, 0xff
	s_delay_alu instid0(SALU_CYCLE_1) | instskip(NEXT) | instid1(VALU_DEP_1)
	s_cmp_lt_i32 s0, 11
	v_ashrrev_i32_e32 v1, 31, v0
	s_delay_alu instid0(VALU_DEP_1)
	v_add_nc_u64_e32 v[0:1], s[6:7], v[0:1]
	s_cbranch_scc1 .LBB118_9
; %bb.3:
	s_and_b32 s19, 0xffff, s0
	s_delay_alu instid0(SALU_CYCLE_1)
	s_cmp_gt_i32 s19, 25
	s_cbranch_scc0 .LBB118_18
; %bb.4:
	s_cmp_gt_i32 s19, 28
	s_cbranch_scc0 .LBB118_28
; %bb.5:
	;; [unrolled: 3-line block ×4, first 2 shown]
	s_cmp_eq_u32 s19, 46
	s_cbranch_scc0 .LBB118_37
; %bb.8:
	global_load_b32 v2, v[0:1], off
	s_mov_b32 s21, -1
	s_wait_loadcnt 0x0
	v_lshlrev_b32_e32 v2, 16, v2
	s_delay_alu instid0(VALU_DEP_1)
	v_cvt_i32_f32_e32 v2, v2
	s_branch .LBB118_39
.LBB118_9:
                                        ; implicit-def: $vgpr2
	s_cbranch_execnz .LBB118_101
.LBB118_10:
	s_and_not1_b32 vcc_lo, exec_lo, s21
	s_cbranch_vccnz .LBB118_148
.LBB118_11:
	s_wait_xcnt 0x0
	v_mul_lo_u32 v0, v8, s14
	s_and_b32 s0, s3, 0xff
	s_delay_alu instid0(SALU_CYCLE_1) | instskip(NEXT) | instid1(VALU_DEP_1)
	s_cmp_lt_i32 s0, 11
	v_ashrrev_i32_e32 v1, 31, v0
	s_delay_alu instid0(VALU_DEP_1)
	v_add_nc_u64_e32 v[0:1], s[8:9], v[0:1]
	s_cbranch_scc1 .LBB118_19
; %bb.12:
	s_and_b32 s19, 0xffff, s0
	s_delay_alu instid0(SALU_CYCLE_1)
	s_cmp_gt_i32 s19, 25
	s_cbranch_scc0 .LBB118_29
; %bb.13:
	s_cmp_gt_i32 s19, 28
	s_cbranch_scc0 .LBB118_32
; %bb.14:
	;; [unrolled: 3-line block ×4, first 2 shown]
	s_cmp_eq_u32 s19, 46
	s_mov_b32 s26, 0
	s_cbranch_scc0 .LBB118_149
; %bb.17:
	global_load_b32 v3, v[0:1], off
	s_mov_b32 s21, -1
	s_mov_b32 s22, 0
	s_wait_loadcnt 0x0
	v_lshlrev_b32_e32 v3, 16, v3
	s_delay_alu instid0(VALU_DEP_1)
	v_cvt_i32_f32_e32 v3, v3
	s_branch .LBB118_151
.LBB118_18:
                                        ; implicit-def: $vgpr2
	s_cbranch_execnz .LBB118_68
	s_branch .LBB118_100
.LBB118_19:
	s_mov_b32 s22, 0
	s_mov_b32 s21, 0
                                        ; implicit-def: $vgpr3
	s_cbranch_execnz .LBB118_213
.LBB118_20:
	s_and_not1_b32 vcc_lo, exec_lo, s21
	s_cbranch_vccnz .LBB118_261
.LBB118_21:
	s_wait_xcnt 0x0
	v_mul_lo_u32 v0, v8, s15
	s_and_b32 s0, 0xffff, s1
	s_delay_alu instid0(SALU_CYCLE_1) | instskip(NEXT) | instid1(VALU_DEP_1)
	s_cmp_lt_i32 s0, 11
	v_ashrrev_i32_e32 v1, 31, v0
	s_delay_alu instid0(VALU_DEP_1)
	v_add_nc_u64_e32 v[0:1], s[10:11], v[0:1]
	s_cbranch_scc1 .LBB118_30
; %bb.22:
	s_cmp_gt_i32 s0, 25
	s_cbranch_scc0 .LBB118_33
; %bb.23:
	s_cmp_gt_i32 s0, 28
	s_cbranch_scc0 .LBB118_36
	;; [unrolled: 3-line block ×4, first 2 shown]
; %bb.26:
	s_cmp_eq_u32 s0, 46
	s_mov_b32 s26, 0
	s_cbranch_scc0 .LBB118_262
; %bb.27:
	global_load_b32 v4, v[0:1], off
	s_mov_b32 s19, -1
	s_mov_b32 s21, 0
	s_wait_loadcnt 0x0
	v_lshlrev_b32_e32 v4, 16, v4
	s_delay_alu instid0(VALU_DEP_1)
	v_cvt_i32_f32_e32 v4, v4
	s_branch .LBB118_264
.LBB118_28:
	s_mov_b32 s22, -1
                                        ; implicit-def: $vgpr2
	s_branch .LBB118_51
.LBB118_29:
	s_mov_b32 s26, -1
	s_mov_b32 s22, 0
	s_mov_b32 s21, 0
                                        ; implicit-def: $vgpr3
	s_branch .LBB118_179
.LBB118_30:
	s_mov_b32 s26, -1
	s_mov_b32 s21, 0
	s_mov_b32 s19, 0
                                        ; implicit-def: $vgpr4
	s_branch .LBB118_325
.LBB118_31:
	s_mov_b32 s22, -1
                                        ; implicit-def: $vgpr2
	s_branch .LBB118_46
.LBB118_32:
	s_mov_b32 s26, -1
	s_mov_b32 s22, 0
	s_mov_b32 s21, 0
                                        ; implicit-def: $vgpr3
	s_branch .LBB118_162
.LBB118_33:
	s_mov_b32 s26, -1
	s_mov_b32 s21, 0
	s_mov_b32 s19, 0
                                        ; implicit-def: $vgpr4
	s_branch .LBB118_291
.LBB118_34:
	s_mov_b32 s22, -1
	s_branch .LBB118_38
.LBB118_35:
	s_mov_b32 s26, -1
	s_mov_b32 s22, 0
	s_mov_b32 s21, 0
                                        ; implicit-def: $vgpr3
	s_branch .LBB118_157
.LBB118_36:
	s_mov_b32 s26, -1
	s_mov_b32 s21, 0
	s_mov_b32 s19, 0
                                        ; implicit-def: $vgpr4
	s_branch .LBB118_274
.LBB118_37:
	s_mov_b32 s23, -1
.LBB118_38:
                                        ; implicit-def: $vgpr2
.LBB118_39:
	s_and_b32 vcc_lo, exec_lo, s22
	s_cbranch_vccz .LBB118_45
; %bb.40:
	s_cmp_eq_u32 s19, 44
	s_cbranch_scc0 .LBB118_44
; %bb.41:
	global_load_u8 v2, v[0:1], off
	s_mov_b32 s23, 0
	s_mov_b32 s21, -1
	s_wait_loadcnt 0x0
	v_lshlrev_b32_e32 v3, 23, v2
	v_cmp_ne_u32_e32 vcc_lo, 0, v2
	s_delay_alu instid0(VALU_DEP_2) | instskip(NEXT) | instid1(VALU_DEP_1)
	v_cvt_i32_f32_e32 v3, v3
	v_cndmask_b32_e32 v2, 0, v3, vcc_lo
	s_branch .LBB118_45
.LBB118_42:
	s_mov_b32 s26, -1
	s_mov_b32 s22, 0
	s_branch .LBB118_150
.LBB118_43:
	s_mov_b32 s26, -1
	s_mov_b32 s21, 0
	s_mov_b32 s19, 0
                                        ; implicit-def: $vgpr4
	s_branch .LBB118_269
.LBB118_44:
	s_mov_b32 s23, -1
                                        ; implicit-def: $vgpr2
.LBB118_45:
	s_mov_b32 s22, 0
.LBB118_46:
	s_delay_alu instid0(SALU_CYCLE_1)
	s_and_b32 vcc_lo, exec_lo, s22
	s_cbranch_vccz .LBB118_50
; %bb.47:
	s_cmp_eq_u32 s19, 29
	s_cbranch_scc0 .LBB118_49
; %bb.48:
	global_load_b32 v2, v[0:1], off
	s_mov_b32 s21, -1
	s_mov_b32 s23, 0
	s_branch .LBB118_50
.LBB118_49:
	s_mov_b32 s23, -1
                                        ; implicit-def: $vgpr2
.LBB118_50:
	s_mov_b32 s22, 0
.LBB118_51:
	s_delay_alu instid0(SALU_CYCLE_1)
	s_and_b32 vcc_lo, exec_lo, s22
	s_cbranch_vccz .LBB118_67
; %bb.52:
	s_cmp_lt_i32 s19, 27
	s_cbranch_scc1 .LBB118_55
; %bb.53:
	s_cmp_gt_i32 s19, 27
	s_cbranch_scc0 .LBB118_56
; %bb.54:
	s_wait_loadcnt 0x0
	global_load_b32 v2, v[0:1], off
	s_mov_b32 s21, 0
	s_branch .LBB118_57
.LBB118_55:
	s_mov_b32 s21, -1
                                        ; implicit-def: $vgpr2
	s_branch .LBB118_60
.LBB118_56:
	s_mov_b32 s21, -1
                                        ; implicit-def: $vgpr2
.LBB118_57:
	s_delay_alu instid0(SALU_CYCLE_1)
	s_and_not1_b32 vcc_lo, exec_lo, s21
	s_cbranch_vccnz .LBB118_59
; %bb.58:
	s_wait_loadcnt 0x0
	global_load_u16 v2, v[0:1], off
.LBB118_59:
	s_mov_b32 s21, 0
.LBB118_60:
	s_delay_alu instid0(SALU_CYCLE_1)
	s_and_not1_b32 vcc_lo, exec_lo, s21
	s_cbranch_vccnz .LBB118_66
; %bb.61:
	global_load_u8 v3, v[0:1], off
	s_mov_b32 s22, 0
	s_mov_b32 s21, exec_lo
	s_wait_loadcnt 0x0
	v_cmpx_lt_i16_e32 0x7f, v3
	s_xor_b32 s21, exec_lo, s21
	s_cbranch_execz .LBB118_77
; %bb.62:
	v_cmp_ne_u16_e32 vcc_lo, 0x80, v3
	s_and_b32 s22, vcc_lo, exec_lo
	s_and_not1_saveexec_b32 s21, s21
	s_cbranch_execnz .LBB118_78
.LBB118_63:
	s_or_b32 exec_lo, exec_lo, s21
	v_mov_b32_e32 v2, 0
	s_and_saveexec_b32 s21, s22
	s_cbranch_execz .LBB118_65
.LBB118_64:
	v_and_b32_e32 v2, 0xffff, v3
	s_delay_alu instid0(VALU_DEP_1) | instskip(SKIP_1) | instid1(VALU_DEP_2)
	v_and_b32_e32 v4, 7, v2
	v_bfe_u32 v7, v2, 3, 4
	v_clz_i32_u32_e32 v5, v4
	s_delay_alu instid0(VALU_DEP_2) | instskip(NEXT) | instid1(VALU_DEP_2)
	v_cmp_eq_u32_e32 vcc_lo, 0, v7
	v_min_u32_e32 v5, 32, v5
	s_delay_alu instid0(VALU_DEP_1) | instskip(NEXT) | instid1(VALU_DEP_1)
	v_subrev_nc_u32_e32 v6, 28, v5
	v_dual_lshlrev_b32 v2, v6, v2 :: v_dual_sub_nc_u32 v5, 29, v5
	s_delay_alu instid0(VALU_DEP_1) | instskip(NEXT) | instid1(VALU_DEP_1)
	v_dual_lshlrev_b32 v3, 24, v3 :: v_dual_bitop2_b32 v2, 7, v2 bitop3:0x40
	v_dual_cndmask_b32 v5, v7, v5 :: v_dual_cndmask_b32 v2, v4, v2
	s_delay_alu instid0(VALU_DEP_2) | instskip(NEXT) | instid1(VALU_DEP_2)
	v_and_b32_e32 v3, 0x80000000, v3
	v_lshl_add_u32 v4, v5, 23, 0x3b800000
	s_delay_alu instid0(VALU_DEP_3) | instskip(NEXT) | instid1(VALU_DEP_1)
	v_lshlrev_b32_e32 v2, 20, v2
	v_or3_b32 v2, v3, v4, v2
	s_delay_alu instid0(VALU_DEP_1)
	v_cvt_i32_f32_e32 v2, v2
.LBB118_65:
	s_or_b32 exec_lo, exec_lo, s21
.LBB118_66:
	s_mov_b32 s21, -1
.LBB118_67:
	s_branch .LBB118_100
.LBB118_68:
	s_cmp_gt_i32 s19, 22
	s_cbranch_scc0 .LBB118_76
; %bb.69:
	s_cmp_lt_i32 s19, 24
	s_cbranch_scc1 .LBB118_79
; %bb.70:
	s_cmp_gt_i32 s19, 24
	s_cbranch_scc0 .LBB118_80
; %bb.71:
	global_load_u8 v3, v[0:1], off
	s_mov_b32 s22, 0
	s_mov_b32 s21, exec_lo
	s_wait_loadcnt 0x0
	v_cmpx_lt_i16_e32 0x7f, v3
	s_xor_b32 s21, exec_lo, s21
	s_cbranch_execz .LBB118_92
; %bb.72:
	v_cmp_ne_u16_e32 vcc_lo, 0x80, v3
	s_and_b32 s22, vcc_lo, exec_lo
	s_and_not1_saveexec_b32 s21, s21
	s_cbranch_execnz .LBB118_93
.LBB118_73:
	s_or_b32 exec_lo, exec_lo, s21
	v_mov_b32_e32 v2, 0
	s_and_saveexec_b32 s21, s22
	s_cbranch_execz .LBB118_75
.LBB118_74:
	v_and_b32_e32 v2, 0xffff, v3
	s_delay_alu instid0(VALU_DEP_1) | instskip(SKIP_1) | instid1(VALU_DEP_2)
	v_and_b32_e32 v4, 3, v2
	v_bfe_u32 v7, v2, 2, 5
	v_clz_i32_u32_e32 v5, v4
	s_delay_alu instid0(VALU_DEP_2) | instskip(NEXT) | instid1(VALU_DEP_2)
	v_cmp_eq_u32_e32 vcc_lo, 0, v7
	v_min_u32_e32 v5, 32, v5
	s_delay_alu instid0(VALU_DEP_1) | instskip(NEXT) | instid1(VALU_DEP_1)
	v_subrev_nc_u32_e32 v6, 29, v5
	v_dual_lshlrev_b32 v2, v6, v2 :: v_dual_sub_nc_u32 v5, 30, v5
	s_delay_alu instid0(VALU_DEP_1) | instskip(NEXT) | instid1(VALU_DEP_1)
	v_dual_lshlrev_b32 v3, 24, v3 :: v_dual_bitop2_b32 v2, 3, v2 bitop3:0x40
	v_dual_cndmask_b32 v5, v7, v5 :: v_dual_cndmask_b32 v2, v4, v2
	s_delay_alu instid0(VALU_DEP_2) | instskip(NEXT) | instid1(VALU_DEP_2)
	v_and_b32_e32 v3, 0x80000000, v3
	v_lshl_add_u32 v4, v5, 23, 0x37800000
	s_delay_alu instid0(VALU_DEP_3) | instskip(NEXT) | instid1(VALU_DEP_1)
	v_lshlrev_b32_e32 v2, 21, v2
	v_or3_b32 v2, v3, v4, v2
	s_delay_alu instid0(VALU_DEP_1)
	v_cvt_i32_f32_e32 v2, v2
.LBB118_75:
	s_or_b32 exec_lo, exec_lo, s21
	s_mov_b32 s21, 0
	s_branch .LBB118_81
.LBB118_76:
	s_mov_b32 s22, -1
                                        ; implicit-def: $vgpr2
	s_branch .LBB118_87
.LBB118_77:
	s_and_not1_saveexec_b32 s21, s21
	s_cbranch_execz .LBB118_63
.LBB118_78:
	v_cmp_ne_u16_e32 vcc_lo, 0, v3
	s_and_not1_b32 s22, s22, exec_lo
	s_and_b32 s26, vcc_lo, exec_lo
	s_delay_alu instid0(SALU_CYCLE_1)
	s_or_b32 s22, s22, s26
	s_or_b32 exec_lo, exec_lo, s21
	v_mov_b32_e32 v2, 0
	s_and_saveexec_b32 s21, s22
	s_cbranch_execnz .LBB118_64
	s_branch .LBB118_65
.LBB118_79:
	s_mov_b32 s21, -1
                                        ; implicit-def: $vgpr2
	s_branch .LBB118_84
.LBB118_80:
	s_mov_b32 s21, -1
                                        ; implicit-def: $vgpr2
.LBB118_81:
	s_delay_alu instid0(SALU_CYCLE_1)
	s_and_b32 vcc_lo, exec_lo, s21
	s_cbranch_vccz .LBB118_83
; %bb.82:
	s_wait_loadcnt 0x0
	global_load_u8 v2, v[0:1], off
	s_wait_loadcnt 0x0
	v_lshlrev_b32_e32 v2, 24, v2
	s_delay_alu instid0(VALU_DEP_1) | instskip(NEXT) | instid1(VALU_DEP_1)
	v_and_b32_e32 v3, 0x7f000000, v2
	v_clz_i32_u32_e32 v4, v3
	v_cmp_ne_u32_e32 vcc_lo, 0, v3
	v_add_nc_u32_e32 v6, 0x1000000, v3
	s_delay_alu instid0(VALU_DEP_3) | instskip(NEXT) | instid1(VALU_DEP_1)
	v_min_u32_e32 v4, 32, v4
	v_sub_nc_u32_e64 v4, v4, 4 clamp
	s_delay_alu instid0(VALU_DEP_1) | instskip(NEXT) | instid1(VALU_DEP_1)
	v_dual_lshlrev_b32 v5, v4, v3 :: v_dual_lshlrev_b32 v4, 23, v4
	v_lshrrev_b32_e32 v5, 4, v5
	s_delay_alu instid0(VALU_DEP_1) | instskip(NEXT) | instid1(VALU_DEP_1)
	v_dual_sub_nc_u32 v4, v5, v4 :: v_dual_ashrrev_i32 v5, 8, v6
	v_add_nc_u32_e32 v4, 0x3c000000, v4
	s_delay_alu instid0(VALU_DEP_1) | instskip(NEXT) | instid1(VALU_DEP_1)
	v_and_or_b32 v4, 0x7f800000, v5, v4
	v_cndmask_b32_e32 v3, 0, v4, vcc_lo
	s_delay_alu instid0(VALU_DEP_1) | instskip(NEXT) | instid1(VALU_DEP_1)
	v_and_or_b32 v2, 0x80000000, v2, v3
	v_cvt_i32_f32_e32 v2, v2
.LBB118_83:
	s_mov_b32 s21, 0
.LBB118_84:
	s_delay_alu instid0(SALU_CYCLE_1)
	s_and_not1_b32 vcc_lo, exec_lo, s21
	s_cbranch_vccnz .LBB118_86
; %bb.85:
	s_wait_loadcnt 0x0
	global_load_u8 v2, v[0:1], off
	s_wait_loadcnt 0x0
	v_lshlrev_b32_e32 v3, 25, v2
	v_lshlrev_b16 v2, 8, v2
	s_delay_alu instid0(VALU_DEP_1) | instskip(SKIP_1) | instid1(VALU_DEP_2)
	v_and_or_b32 v5, 0x7f00, v2, 0.5
	v_bfe_i32 v2, v2, 0, 16
	v_dual_add_f32 v5, -0.5, v5 :: v_dual_lshrrev_b32 v4, 4, v3
	v_cmp_gt_u32_e32 vcc_lo, 0x8000000, v3
	s_delay_alu instid0(VALU_DEP_2) | instskip(NEXT) | instid1(VALU_DEP_1)
	v_or_b32_e32 v4, 0x70000000, v4
	v_mul_f32_e32 v4, 0x7800000, v4
	s_delay_alu instid0(VALU_DEP_1) | instskip(NEXT) | instid1(VALU_DEP_1)
	v_cndmask_b32_e32 v3, v4, v5, vcc_lo
	v_and_or_b32 v2, 0x80000000, v2, v3
	s_delay_alu instid0(VALU_DEP_1)
	v_cvt_i32_f32_e32 v2, v2
.LBB118_86:
	s_mov_b32 s22, 0
	s_mov_b32 s21, -1
.LBB118_87:
	s_and_not1_b32 vcc_lo, exec_lo, s22
	s_cbranch_vccnz .LBB118_100
; %bb.88:
	s_cmp_gt_i32 s19, 14
	s_cbranch_scc0 .LBB118_91
; %bb.89:
	s_cmp_eq_u32 s19, 15
	s_cbranch_scc0 .LBB118_94
; %bb.90:
	s_wait_loadcnt 0x0
	global_load_u16 v2, v[0:1], off
	s_mov_b32 s21, -1
	s_mov_b32 s23, 0
	s_wait_loadcnt 0x0
	v_lshlrev_b32_e32 v2, 16, v2
	s_delay_alu instid0(VALU_DEP_1)
	v_cvt_i32_f32_e32 v2, v2
	s_branch .LBB118_95
.LBB118_91:
	s_mov_b32 s22, -1
                                        ; implicit-def: $vgpr2
	s_branch .LBB118_96
.LBB118_92:
	s_and_not1_saveexec_b32 s21, s21
	s_cbranch_execz .LBB118_73
.LBB118_93:
	v_cmp_ne_u16_e32 vcc_lo, 0, v3
	s_and_not1_b32 s22, s22, exec_lo
	s_and_b32 s26, vcc_lo, exec_lo
	s_delay_alu instid0(SALU_CYCLE_1)
	s_or_b32 s22, s22, s26
	s_or_b32 exec_lo, exec_lo, s21
	v_mov_b32_e32 v2, 0
	s_and_saveexec_b32 s21, s22
	s_cbranch_execnz .LBB118_74
	s_branch .LBB118_75
.LBB118_94:
	s_mov_b32 s23, -1
                                        ; implicit-def: $vgpr2
.LBB118_95:
	s_mov_b32 s22, 0
.LBB118_96:
	s_delay_alu instid0(SALU_CYCLE_1)
	s_and_b32 vcc_lo, exec_lo, s22
	s_cbranch_vccz .LBB118_100
; %bb.97:
	s_cmp_eq_u32 s19, 11
	s_cbranch_scc0 .LBB118_99
; %bb.98:
	s_wait_loadcnt 0x0
	global_load_u8 v2, v[0:1], off
	s_mov_b32 s23, 0
	s_mov_b32 s21, -1
	s_wait_loadcnt 0x0
	v_cmp_ne_u16_e32 vcc_lo, 0, v2
	v_cndmask_b32_e64 v2, 0, 1, vcc_lo
	s_branch .LBB118_100
.LBB118_99:
	s_mov_b32 s23, -1
                                        ; implicit-def: $vgpr2
.LBB118_100:
	s_branch .LBB118_10
.LBB118_101:
	s_and_b32 s0, 0xffff, s0
	s_delay_alu instid0(SALU_CYCLE_1)
	s_cmp_lt_i32 s0, 5
	s_cbranch_scc1 .LBB118_106
; %bb.102:
	s_cmp_lt_i32 s0, 8
	s_cbranch_scc1 .LBB118_107
; %bb.103:
	;; [unrolled: 3-line block ×3, first 2 shown]
	s_cmp_gt_i32 s0, 9
	s_cbranch_scc0 .LBB118_109
; %bb.105:
	s_wait_loadcnt 0x0
	global_load_b64 v[2:3], v[0:1], off
	s_mov_b32 s19, 0
	s_wait_loadcnt 0x0
	v_cvt_i32_f64_e32 v2, v[2:3]
	s_branch .LBB118_110
.LBB118_106:
                                        ; implicit-def: $vgpr2
	s_branch .LBB118_128
.LBB118_107:
	s_mov_b32 s19, -1
                                        ; implicit-def: $vgpr2
	s_branch .LBB118_116
.LBB118_108:
	s_mov_b32 s19, -1
                                        ; implicit-def: $vgpr2
	s_branch .LBB118_113
.LBB118_109:
	s_mov_b32 s19, -1
                                        ; implicit-def: $vgpr2
.LBB118_110:
	s_delay_alu instid0(SALU_CYCLE_1)
	s_and_not1_b32 vcc_lo, exec_lo, s19
	s_cbranch_vccnz .LBB118_112
; %bb.111:
	s_wait_loadcnt 0x0
	global_load_b32 v2, v[0:1], off
	s_wait_loadcnt 0x0
	v_cvt_i32_f32_e32 v2, v2
.LBB118_112:
	s_mov_b32 s19, 0
.LBB118_113:
	s_delay_alu instid0(SALU_CYCLE_1)
	s_and_not1_b32 vcc_lo, exec_lo, s19
	s_cbranch_vccnz .LBB118_115
; %bb.114:
	s_wait_loadcnt 0x0
	global_load_b32 v2, v[0:1], off
	s_wait_loadcnt 0x0
	v_cvt_f32_f16_e32 v2, v2
	s_delay_alu instid0(VALU_DEP_1)
	v_cvt_i32_f32_e32 v2, v2
.LBB118_115:
	s_mov_b32 s19, 0
.LBB118_116:
	s_delay_alu instid0(SALU_CYCLE_1)
	s_and_not1_b32 vcc_lo, exec_lo, s19
	s_cbranch_vccnz .LBB118_127
; %bb.117:
	s_cmp_lt_i32 s0, 6
	s_cbranch_scc1 .LBB118_120
; %bb.118:
	s_cmp_gt_i32 s0, 6
	s_cbranch_scc0 .LBB118_121
; %bb.119:
	s_wait_loadcnt 0x0
	global_load_b64 v[2:3], v[0:1], off
	s_mov_b32 s19, 0
	s_wait_loadcnt 0x0
	v_cvt_i32_f64_e32 v2, v[2:3]
	s_branch .LBB118_122
.LBB118_120:
	s_mov_b32 s19, -1
                                        ; implicit-def: $vgpr2
	s_branch .LBB118_125
.LBB118_121:
	s_mov_b32 s19, -1
                                        ; implicit-def: $vgpr2
.LBB118_122:
	s_delay_alu instid0(SALU_CYCLE_1)
	s_and_not1_b32 vcc_lo, exec_lo, s19
	s_cbranch_vccnz .LBB118_124
; %bb.123:
	s_wait_loadcnt 0x0
	global_load_b32 v2, v[0:1], off
	s_wait_loadcnt 0x0
	v_cvt_i32_f32_e32 v2, v2
.LBB118_124:
	s_mov_b32 s19, 0
.LBB118_125:
	s_delay_alu instid0(SALU_CYCLE_1)
	s_and_not1_b32 vcc_lo, exec_lo, s19
	s_cbranch_vccnz .LBB118_127
; %bb.126:
	s_wait_loadcnt 0x0
	global_load_u16 v2, v[0:1], off
	s_wait_loadcnt 0x0
	v_cvt_f32_f16_e32 v2, v2
	s_delay_alu instid0(VALU_DEP_1)
	v_cvt_i32_f32_e32 v2, v2
.LBB118_127:
	s_cbranch_execnz .LBB118_147
.LBB118_128:
	s_cmp_lt_i32 s0, 2
	s_cbranch_scc1 .LBB118_132
; %bb.129:
	s_cmp_lt_i32 s0, 3
	s_cbranch_scc1 .LBB118_133
; %bb.130:
	s_cmp_gt_i32 s0, 3
	s_cbranch_scc0 .LBB118_134
; %bb.131:
	s_wait_loadcnt 0x0
	global_load_b32 v2, v[0:1], off
	s_mov_b32 s19, 0
	s_branch .LBB118_135
.LBB118_132:
	s_mov_b32 s19, -1
                                        ; implicit-def: $vgpr2
	s_branch .LBB118_141
.LBB118_133:
	s_mov_b32 s19, -1
                                        ; implicit-def: $vgpr2
	s_branch .LBB118_138
.LBB118_134:
	s_mov_b32 s19, -1
                                        ; implicit-def: $vgpr2
.LBB118_135:
	s_delay_alu instid0(SALU_CYCLE_1)
	s_and_not1_b32 vcc_lo, exec_lo, s19
	s_cbranch_vccnz .LBB118_137
; %bb.136:
	s_wait_loadcnt 0x0
	global_load_b32 v2, v[0:1], off
.LBB118_137:
	s_mov_b32 s19, 0
.LBB118_138:
	s_delay_alu instid0(SALU_CYCLE_1)
	s_and_not1_b32 vcc_lo, exec_lo, s19
	s_cbranch_vccnz .LBB118_140
; %bb.139:
	s_wait_loadcnt 0x0
	global_load_i16 v2, v[0:1], off
.LBB118_140:
	s_mov_b32 s19, 0
.LBB118_141:
	s_delay_alu instid0(SALU_CYCLE_1)
	s_and_not1_b32 vcc_lo, exec_lo, s19
	s_cbranch_vccnz .LBB118_147
; %bb.142:
	s_cmp_gt_i32 s0, 0
	s_mov_b32 s0, 0
	s_cbranch_scc0 .LBB118_144
; %bb.143:
	s_wait_loadcnt 0x0
	global_load_i8 v2, v[0:1], off
	s_branch .LBB118_145
.LBB118_144:
	s_mov_b32 s0, -1
                                        ; implicit-def: $vgpr2
.LBB118_145:
	s_delay_alu instid0(SALU_CYCLE_1)
	s_and_not1_b32 vcc_lo, exec_lo, s0
	s_cbranch_vccnz .LBB118_147
; %bb.146:
	s_wait_loadcnt 0x0
	global_load_u8 v2, v[0:1], off
.LBB118_147:
	s_branch .LBB118_11
.LBB118_148:
	s_mov_b32 s0, 0
	s_mov_b32 s21, 0
	;; [unrolled: 1-line block ×3, first 2 shown]
	s_branch .LBB118_498
.LBB118_149:
	s_mov_b32 s22, -1
.LBB118_150:
	s_mov_b32 s21, 0
                                        ; implicit-def: $vgpr3
.LBB118_151:
	s_and_b32 vcc_lo, exec_lo, s26
	s_cbranch_vccz .LBB118_156
; %bb.152:
	s_cmp_eq_u32 s19, 44
	s_cbranch_scc0 .LBB118_155
; %bb.153:
	global_load_u8 v3, v[0:1], off
	s_mov_b32 s22, 0
	s_mov_b32 s21, -1
	s_wait_loadcnt 0x0
	v_lshlrev_b32_e32 v4, 23, v3
	v_cmp_ne_u32_e32 vcc_lo, 0, v3
	s_delay_alu instid0(VALU_DEP_2) | instskip(NEXT) | instid1(VALU_DEP_1)
	v_cvt_i32_f32_e32 v4, v4
	v_cndmask_b32_e32 v3, 0, v4, vcc_lo
	s_branch .LBB118_156
.LBB118_154:
	s_mov_b32 s26, -1
	s_mov_b32 s21, 0
	s_branch .LBB118_263
.LBB118_155:
	s_mov_b32 s22, -1
                                        ; implicit-def: $vgpr3
.LBB118_156:
	s_mov_b32 s26, 0
.LBB118_157:
	s_delay_alu instid0(SALU_CYCLE_1)
	s_and_b32 vcc_lo, exec_lo, s26
	s_cbranch_vccz .LBB118_161
; %bb.158:
	s_cmp_eq_u32 s19, 29
	s_cbranch_scc0 .LBB118_160
; %bb.159:
	global_load_b32 v3, v[0:1], off
	s_mov_b32 s21, -1
	s_mov_b32 s22, 0
	s_branch .LBB118_161
.LBB118_160:
	s_mov_b32 s22, -1
                                        ; implicit-def: $vgpr3
.LBB118_161:
	s_mov_b32 s26, 0
.LBB118_162:
	s_delay_alu instid0(SALU_CYCLE_1)
	s_and_b32 vcc_lo, exec_lo, s26
	s_cbranch_vccz .LBB118_178
; %bb.163:
	s_cmp_lt_i32 s19, 27
	s_cbranch_scc1 .LBB118_166
; %bb.164:
	s_cmp_gt_i32 s19, 27
	s_cbranch_scc0 .LBB118_167
; %bb.165:
	s_wait_loadcnt 0x0
	global_load_b32 v3, v[0:1], off
	s_mov_b32 s21, 0
	s_branch .LBB118_168
.LBB118_166:
	s_mov_b32 s21, -1
                                        ; implicit-def: $vgpr3
	s_branch .LBB118_171
.LBB118_167:
	s_mov_b32 s21, -1
                                        ; implicit-def: $vgpr3
.LBB118_168:
	s_delay_alu instid0(SALU_CYCLE_1)
	s_and_not1_b32 vcc_lo, exec_lo, s21
	s_cbranch_vccnz .LBB118_170
; %bb.169:
	s_wait_loadcnt 0x0
	global_load_u16 v3, v[0:1], off
.LBB118_170:
	s_mov_b32 s21, 0
.LBB118_171:
	s_delay_alu instid0(SALU_CYCLE_1)
	s_and_not1_b32 vcc_lo, exec_lo, s21
	s_cbranch_vccnz .LBB118_177
; %bb.172:
	global_load_u8 v4, v[0:1], off
	s_mov_b32 s26, 0
	s_mov_b32 s21, exec_lo
	s_wait_loadcnt 0x0
	v_cmpx_lt_i16_e32 0x7f, v4
	s_xor_b32 s21, exec_lo, s21
	s_cbranch_execz .LBB118_189
; %bb.173:
	v_cmp_ne_u16_e32 vcc_lo, 0x80, v4
	s_and_b32 s26, vcc_lo, exec_lo
	s_and_not1_saveexec_b32 s21, s21
	s_cbranch_execnz .LBB118_190
.LBB118_174:
	s_or_b32 exec_lo, exec_lo, s21
	v_mov_b32_e32 v3, 0
	s_and_saveexec_b32 s21, s26
	s_cbranch_execz .LBB118_176
.LBB118_175:
	v_and_b32_e32 v3, 0xffff, v4
	s_delay_alu instid0(VALU_DEP_1) | instskip(SKIP_1) | instid1(VALU_DEP_2)
	v_and_b32_e32 v5, 7, v3
	v_bfe_u32 v9, v3, 3, 4
	v_clz_i32_u32_e32 v6, v5
	s_delay_alu instid0(VALU_DEP_2) | instskip(NEXT) | instid1(VALU_DEP_2)
	v_cmp_eq_u32_e32 vcc_lo, 0, v9
	v_min_u32_e32 v6, 32, v6
	s_delay_alu instid0(VALU_DEP_1) | instskip(NEXT) | instid1(VALU_DEP_1)
	v_subrev_nc_u32_e32 v7, 28, v6
	v_dual_lshlrev_b32 v3, v7, v3 :: v_dual_sub_nc_u32 v6, 29, v6
	s_delay_alu instid0(VALU_DEP_1) | instskip(NEXT) | instid1(VALU_DEP_2)
	v_dual_lshlrev_b32 v4, 24, v4 :: v_dual_bitop2_b32 v3, 7, v3 bitop3:0x40
	v_cndmask_b32_e32 v6, v9, v6, vcc_lo
	s_delay_alu instid0(VALU_DEP_2) | instskip(NEXT) | instid1(VALU_DEP_3)
	v_cndmask_b32_e32 v3, v5, v3, vcc_lo
	v_and_b32_e32 v4, 0x80000000, v4
	s_delay_alu instid0(VALU_DEP_3) | instskip(NEXT) | instid1(VALU_DEP_3)
	v_lshl_add_u32 v5, v6, 23, 0x3b800000
	v_lshlrev_b32_e32 v3, 20, v3
	s_delay_alu instid0(VALU_DEP_1) | instskip(NEXT) | instid1(VALU_DEP_1)
	v_or3_b32 v3, v4, v5, v3
	v_cvt_i32_f32_e32 v3, v3
.LBB118_176:
	s_or_b32 exec_lo, exec_lo, s21
.LBB118_177:
	s_mov_b32 s21, -1
.LBB118_178:
	s_mov_b32 s26, 0
.LBB118_179:
	s_delay_alu instid0(SALU_CYCLE_1)
	s_and_b32 vcc_lo, exec_lo, s26
	s_cbranch_vccz .LBB118_212
; %bb.180:
	s_cmp_gt_i32 s19, 22
	s_cbranch_scc0 .LBB118_188
; %bb.181:
	s_cmp_lt_i32 s19, 24
	s_cbranch_scc1 .LBB118_191
; %bb.182:
	s_cmp_gt_i32 s19, 24
	s_cbranch_scc0 .LBB118_192
; %bb.183:
	global_load_u8 v4, v[0:1], off
	s_mov_b32 s26, 0
	s_mov_b32 s21, exec_lo
	s_wait_loadcnt 0x0
	v_cmpx_lt_i16_e32 0x7f, v4
	s_xor_b32 s21, exec_lo, s21
	s_cbranch_execz .LBB118_204
; %bb.184:
	v_cmp_ne_u16_e32 vcc_lo, 0x80, v4
	s_and_b32 s26, vcc_lo, exec_lo
	s_and_not1_saveexec_b32 s21, s21
	s_cbranch_execnz .LBB118_205
.LBB118_185:
	s_or_b32 exec_lo, exec_lo, s21
	v_mov_b32_e32 v3, 0
	s_and_saveexec_b32 s21, s26
	s_cbranch_execz .LBB118_187
.LBB118_186:
	v_and_b32_e32 v3, 0xffff, v4
	s_delay_alu instid0(VALU_DEP_1) | instskip(SKIP_1) | instid1(VALU_DEP_2)
	v_and_b32_e32 v5, 3, v3
	v_bfe_u32 v9, v3, 2, 5
	v_clz_i32_u32_e32 v6, v5
	s_delay_alu instid0(VALU_DEP_2) | instskip(NEXT) | instid1(VALU_DEP_2)
	v_cmp_eq_u32_e32 vcc_lo, 0, v9
	v_min_u32_e32 v6, 32, v6
	s_delay_alu instid0(VALU_DEP_1) | instskip(NEXT) | instid1(VALU_DEP_1)
	v_subrev_nc_u32_e32 v7, 29, v6
	v_dual_lshlrev_b32 v3, v7, v3 :: v_dual_sub_nc_u32 v6, 30, v6
	s_delay_alu instid0(VALU_DEP_1) | instskip(NEXT) | instid1(VALU_DEP_2)
	v_dual_lshlrev_b32 v4, 24, v4 :: v_dual_bitop2_b32 v3, 3, v3 bitop3:0x40
	v_cndmask_b32_e32 v6, v9, v6, vcc_lo
	s_delay_alu instid0(VALU_DEP_2) | instskip(NEXT) | instid1(VALU_DEP_3)
	v_cndmask_b32_e32 v3, v5, v3, vcc_lo
	v_and_b32_e32 v4, 0x80000000, v4
	s_delay_alu instid0(VALU_DEP_3) | instskip(NEXT) | instid1(VALU_DEP_3)
	v_lshl_add_u32 v5, v6, 23, 0x37800000
	v_lshlrev_b32_e32 v3, 21, v3
	s_delay_alu instid0(VALU_DEP_1) | instskip(NEXT) | instid1(VALU_DEP_1)
	v_or3_b32 v3, v4, v5, v3
	v_cvt_i32_f32_e32 v3, v3
.LBB118_187:
	s_or_b32 exec_lo, exec_lo, s21
	s_mov_b32 s21, 0
	s_branch .LBB118_193
.LBB118_188:
	s_mov_b32 s26, -1
                                        ; implicit-def: $vgpr3
	s_branch .LBB118_199
.LBB118_189:
	s_and_not1_saveexec_b32 s21, s21
	s_cbranch_execz .LBB118_174
.LBB118_190:
	v_cmp_ne_u16_e32 vcc_lo, 0, v4
	s_and_not1_b32 s26, s26, exec_lo
	s_and_b32 s27, vcc_lo, exec_lo
	s_delay_alu instid0(SALU_CYCLE_1)
	s_or_b32 s26, s26, s27
	s_or_b32 exec_lo, exec_lo, s21
	v_mov_b32_e32 v3, 0
	s_and_saveexec_b32 s21, s26
	s_cbranch_execnz .LBB118_175
	s_branch .LBB118_176
.LBB118_191:
	s_mov_b32 s21, -1
                                        ; implicit-def: $vgpr3
	s_branch .LBB118_196
.LBB118_192:
	s_mov_b32 s21, -1
                                        ; implicit-def: $vgpr3
.LBB118_193:
	s_delay_alu instid0(SALU_CYCLE_1)
	s_and_b32 vcc_lo, exec_lo, s21
	s_cbranch_vccz .LBB118_195
; %bb.194:
	s_wait_loadcnt 0x0
	global_load_u8 v3, v[0:1], off
	s_wait_loadcnt 0x0
	v_lshlrev_b32_e32 v3, 24, v3
	s_delay_alu instid0(VALU_DEP_1) | instskip(NEXT) | instid1(VALU_DEP_1)
	v_and_b32_e32 v4, 0x7f000000, v3
	v_clz_i32_u32_e32 v5, v4
	v_cmp_ne_u32_e32 vcc_lo, 0, v4
	v_add_nc_u32_e32 v7, 0x1000000, v4
	s_delay_alu instid0(VALU_DEP_3) | instskip(NEXT) | instid1(VALU_DEP_1)
	v_min_u32_e32 v5, 32, v5
	v_sub_nc_u32_e64 v5, v5, 4 clamp
	s_delay_alu instid0(VALU_DEP_1) | instskip(NEXT) | instid1(VALU_DEP_1)
	v_dual_lshlrev_b32 v6, v5, v4 :: v_dual_lshlrev_b32 v5, 23, v5
	v_lshrrev_b32_e32 v6, 4, v6
	s_delay_alu instid0(VALU_DEP_1) | instskip(NEXT) | instid1(VALU_DEP_1)
	v_dual_sub_nc_u32 v5, v6, v5 :: v_dual_ashrrev_i32 v6, 8, v7
	v_add_nc_u32_e32 v5, 0x3c000000, v5
	s_delay_alu instid0(VALU_DEP_1) | instskip(NEXT) | instid1(VALU_DEP_1)
	v_and_or_b32 v5, 0x7f800000, v6, v5
	v_cndmask_b32_e32 v4, 0, v5, vcc_lo
	s_delay_alu instid0(VALU_DEP_1) | instskip(NEXT) | instid1(VALU_DEP_1)
	v_and_or_b32 v3, 0x80000000, v3, v4
	v_cvt_i32_f32_e32 v3, v3
.LBB118_195:
	s_mov_b32 s21, 0
.LBB118_196:
	s_delay_alu instid0(SALU_CYCLE_1)
	s_and_not1_b32 vcc_lo, exec_lo, s21
	s_cbranch_vccnz .LBB118_198
; %bb.197:
	s_wait_loadcnt 0x0
	global_load_u8 v3, v[0:1], off
	s_wait_loadcnt 0x0
	v_lshlrev_b32_e32 v4, 25, v3
	v_lshlrev_b16 v3, 8, v3
	s_delay_alu instid0(VALU_DEP_1) | instskip(SKIP_1) | instid1(VALU_DEP_2)
	v_and_or_b32 v6, 0x7f00, v3, 0.5
	v_bfe_i32 v3, v3, 0, 16
	v_dual_add_f32 v6, -0.5, v6 :: v_dual_lshrrev_b32 v5, 4, v4
	v_cmp_gt_u32_e32 vcc_lo, 0x8000000, v4
	s_delay_alu instid0(VALU_DEP_2) | instskip(NEXT) | instid1(VALU_DEP_1)
	v_or_b32_e32 v5, 0x70000000, v5
	v_mul_f32_e32 v5, 0x7800000, v5
	s_delay_alu instid0(VALU_DEP_1) | instskip(NEXT) | instid1(VALU_DEP_1)
	v_cndmask_b32_e32 v4, v5, v6, vcc_lo
	v_and_or_b32 v3, 0x80000000, v3, v4
	s_delay_alu instid0(VALU_DEP_1)
	v_cvt_i32_f32_e32 v3, v3
.LBB118_198:
	s_mov_b32 s26, 0
	s_mov_b32 s21, -1
.LBB118_199:
	s_and_not1_b32 vcc_lo, exec_lo, s26
	s_cbranch_vccnz .LBB118_212
; %bb.200:
	s_cmp_gt_i32 s19, 14
	s_cbranch_scc0 .LBB118_203
; %bb.201:
	s_cmp_eq_u32 s19, 15
	s_cbranch_scc0 .LBB118_206
; %bb.202:
	s_wait_loadcnt 0x0
	global_load_u16 v3, v[0:1], off
	s_mov_b32 s21, -1
	s_mov_b32 s22, 0
	s_wait_loadcnt 0x0
	v_lshlrev_b32_e32 v3, 16, v3
	s_delay_alu instid0(VALU_DEP_1)
	v_cvt_i32_f32_e32 v3, v3
	s_branch .LBB118_207
.LBB118_203:
	s_mov_b32 s26, -1
                                        ; implicit-def: $vgpr3
	s_branch .LBB118_208
.LBB118_204:
	s_and_not1_saveexec_b32 s21, s21
	s_cbranch_execz .LBB118_185
.LBB118_205:
	v_cmp_ne_u16_e32 vcc_lo, 0, v4
	s_and_not1_b32 s26, s26, exec_lo
	s_and_b32 s27, vcc_lo, exec_lo
	s_delay_alu instid0(SALU_CYCLE_1)
	s_or_b32 s26, s26, s27
	s_or_b32 exec_lo, exec_lo, s21
	v_mov_b32_e32 v3, 0
	s_and_saveexec_b32 s21, s26
	s_cbranch_execnz .LBB118_186
	s_branch .LBB118_187
.LBB118_206:
	s_mov_b32 s22, -1
                                        ; implicit-def: $vgpr3
.LBB118_207:
	s_mov_b32 s26, 0
.LBB118_208:
	s_delay_alu instid0(SALU_CYCLE_1)
	s_and_b32 vcc_lo, exec_lo, s26
	s_cbranch_vccz .LBB118_212
; %bb.209:
	s_cmp_eq_u32 s19, 11
	s_cbranch_scc0 .LBB118_211
; %bb.210:
	s_wait_loadcnt 0x0
	global_load_u8 v3, v[0:1], off
	s_mov_b32 s22, 0
	s_mov_b32 s21, -1
	s_wait_loadcnt 0x0
	v_cmp_ne_u16_e32 vcc_lo, 0, v3
	v_cndmask_b32_e64 v3, 0, 1, vcc_lo
	s_branch .LBB118_212
.LBB118_211:
	s_mov_b32 s22, -1
                                        ; implicit-def: $vgpr3
.LBB118_212:
	s_branch .LBB118_20
.LBB118_213:
	s_and_b32 s0, 0xffff, s0
	s_delay_alu instid0(SALU_CYCLE_1)
	s_cmp_lt_i32 s0, 5
	s_cbranch_scc1 .LBB118_218
; %bb.214:
	s_cmp_lt_i32 s0, 8
	s_cbranch_scc1 .LBB118_219
; %bb.215:
	;; [unrolled: 3-line block ×3, first 2 shown]
	s_cmp_gt_i32 s0, 9
	s_cbranch_scc0 .LBB118_221
; %bb.217:
	global_load_b64 v[4:5], v[0:1], off
	s_mov_b32 s19, 0
	s_wait_loadcnt 0x0
	v_cvt_i32_f64_e32 v3, v[4:5]
	s_branch .LBB118_222
.LBB118_218:
	s_mov_b32 s19, -1
                                        ; implicit-def: $vgpr3
	s_branch .LBB118_240
.LBB118_219:
	s_mov_b32 s19, -1
                                        ; implicit-def: $vgpr3
	s_branch .LBB118_228
.LBB118_220:
	s_mov_b32 s19, -1
                                        ; implicit-def: $vgpr3
	s_branch .LBB118_225
.LBB118_221:
	s_mov_b32 s19, -1
                                        ; implicit-def: $vgpr3
.LBB118_222:
	s_delay_alu instid0(SALU_CYCLE_1)
	s_and_not1_b32 vcc_lo, exec_lo, s19
	s_cbranch_vccnz .LBB118_224
; %bb.223:
	s_wait_loadcnt 0x0
	global_load_b32 v3, v[0:1], off
	s_wait_loadcnt 0x0
	v_cvt_i32_f32_e32 v3, v3
.LBB118_224:
	s_mov_b32 s19, 0
.LBB118_225:
	s_delay_alu instid0(SALU_CYCLE_1)
	s_and_not1_b32 vcc_lo, exec_lo, s19
	s_cbranch_vccnz .LBB118_227
; %bb.226:
	s_wait_loadcnt 0x0
	global_load_b32 v3, v[0:1], off
	s_wait_loadcnt 0x0
	v_cvt_f32_f16_e32 v3, v3
	s_delay_alu instid0(VALU_DEP_1)
	v_cvt_i32_f32_e32 v3, v3
.LBB118_227:
	s_mov_b32 s19, 0
.LBB118_228:
	s_delay_alu instid0(SALU_CYCLE_1)
	s_and_not1_b32 vcc_lo, exec_lo, s19
	s_cbranch_vccnz .LBB118_239
; %bb.229:
	s_cmp_lt_i32 s0, 6
	s_cbranch_scc1 .LBB118_232
; %bb.230:
	s_cmp_gt_i32 s0, 6
	s_cbranch_scc0 .LBB118_233
; %bb.231:
	global_load_b64 v[4:5], v[0:1], off
	s_mov_b32 s19, 0
	s_wait_loadcnt 0x0
	v_cvt_i32_f64_e32 v3, v[4:5]
	s_branch .LBB118_234
.LBB118_232:
	s_mov_b32 s19, -1
                                        ; implicit-def: $vgpr3
	s_branch .LBB118_237
.LBB118_233:
	s_mov_b32 s19, -1
                                        ; implicit-def: $vgpr3
.LBB118_234:
	s_delay_alu instid0(SALU_CYCLE_1)
	s_and_not1_b32 vcc_lo, exec_lo, s19
	s_cbranch_vccnz .LBB118_236
; %bb.235:
	s_wait_loadcnt 0x0
	global_load_b32 v3, v[0:1], off
	s_wait_loadcnt 0x0
	v_cvt_i32_f32_e32 v3, v3
.LBB118_236:
	s_mov_b32 s19, 0
.LBB118_237:
	s_delay_alu instid0(SALU_CYCLE_1)
	s_and_not1_b32 vcc_lo, exec_lo, s19
	s_cbranch_vccnz .LBB118_239
; %bb.238:
	s_wait_loadcnt 0x0
	global_load_u16 v3, v[0:1], off
	s_wait_loadcnt 0x0
	v_cvt_f32_f16_e32 v3, v3
	s_delay_alu instid0(VALU_DEP_1)
	v_cvt_i32_f32_e32 v3, v3
.LBB118_239:
	s_mov_b32 s19, 0
.LBB118_240:
	s_delay_alu instid0(SALU_CYCLE_1)
	s_and_not1_b32 vcc_lo, exec_lo, s19
	s_cbranch_vccnz .LBB118_260
; %bb.241:
	s_cmp_lt_i32 s0, 2
	s_cbranch_scc1 .LBB118_245
; %bb.242:
	s_cmp_lt_i32 s0, 3
	s_cbranch_scc1 .LBB118_246
; %bb.243:
	s_cmp_gt_i32 s0, 3
	s_cbranch_scc0 .LBB118_247
; %bb.244:
	s_wait_loadcnt 0x0
	global_load_b32 v3, v[0:1], off
	s_mov_b32 s19, 0
	s_branch .LBB118_248
.LBB118_245:
	s_mov_b32 s19, -1
                                        ; implicit-def: $vgpr3
	s_branch .LBB118_254
.LBB118_246:
	s_mov_b32 s19, -1
                                        ; implicit-def: $vgpr3
	s_branch .LBB118_251
.LBB118_247:
	s_mov_b32 s19, -1
                                        ; implicit-def: $vgpr3
.LBB118_248:
	s_delay_alu instid0(SALU_CYCLE_1)
	s_and_not1_b32 vcc_lo, exec_lo, s19
	s_cbranch_vccnz .LBB118_250
; %bb.249:
	s_wait_loadcnt 0x0
	global_load_b32 v3, v[0:1], off
.LBB118_250:
	s_mov_b32 s19, 0
.LBB118_251:
	s_delay_alu instid0(SALU_CYCLE_1)
	s_and_not1_b32 vcc_lo, exec_lo, s19
	s_cbranch_vccnz .LBB118_253
; %bb.252:
	s_wait_loadcnt 0x0
	global_load_i16 v3, v[0:1], off
.LBB118_253:
	s_mov_b32 s19, 0
.LBB118_254:
	s_delay_alu instid0(SALU_CYCLE_1)
	s_and_not1_b32 vcc_lo, exec_lo, s19
	s_cbranch_vccnz .LBB118_260
; %bb.255:
	s_cmp_gt_i32 s0, 0
	s_mov_b32 s0, 0
	s_cbranch_scc0 .LBB118_257
; %bb.256:
	s_wait_loadcnt 0x0
	global_load_i8 v3, v[0:1], off
	s_branch .LBB118_258
.LBB118_257:
	s_mov_b32 s0, -1
                                        ; implicit-def: $vgpr3
.LBB118_258:
	s_delay_alu instid0(SALU_CYCLE_1)
	s_and_not1_b32 vcc_lo, exec_lo, s0
	s_cbranch_vccnz .LBB118_260
; %bb.259:
	s_wait_loadcnt 0x0
	global_load_u8 v3, v[0:1], off
.LBB118_260:
	s_branch .LBB118_21
.LBB118_261:
	s_mov_b32 s0, 0
	s_mov_b32 s21, 0
	s_branch .LBB118_498
.LBB118_262:
	s_mov_b32 s21, -1
.LBB118_263:
	s_mov_b32 s19, 0
                                        ; implicit-def: $vgpr4
.LBB118_264:
	s_and_b32 vcc_lo, exec_lo, s26
	s_cbranch_vccz .LBB118_268
; %bb.265:
	s_cmp_eq_u32 s0, 44
	s_cbranch_scc0 .LBB118_267
; %bb.266:
	global_load_u8 v4, v[0:1], off
	s_mov_b32 s21, 0
	s_mov_b32 s19, -1
	s_wait_loadcnt 0x0
	v_lshlrev_b32_e32 v5, 23, v4
	v_cmp_ne_u32_e32 vcc_lo, 0, v4
	s_delay_alu instid0(VALU_DEP_2) | instskip(NEXT) | instid1(VALU_DEP_1)
	v_cvt_i32_f32_e32 v5, v5
	v_cndmask_b32_e32 v4, 0, v5, vcc_lo
	s_branch .LBB118_268
.LBB118_267:
	s_mov_b32 s21, -1
                                        ; implicit-def: $vgpr4
.LBB118_268:
	s_mov_b32 s26, 0
.LBB118_269:
	s_delay_alu instid0(SALU_CYCLE_1)
	s_and_b32 vcc_lo, exec_lo, s26
	s_cbranch_vccz .LBB118_273
; %bb.270:
	s_cmp_eq_u32 s0, 29
	s_cbranch_scc0 .LBB118_272
; %bb.271:
	global_load_b32 v4, v[0:1], off
	s_mov_b32 s19, -1
	s_mov_b32 s21, 0
	s_branch .LBB118_273
.LBB118_272:
	s_mov_b32 s21, -1
                                        ; implicit-def: $vgpr4
.LBB118_273:
	s_mov_b32 s26, 0
.LBB118_274:
	s_delay_alu instid0(SALU_CYCLE_1)
	s_and_b32 vcc_lo, exec_lo, s26
	s_cbranch_vccz .LBB118_290
; %bb.275:
	s_cmp_lt_i32 s0, 27
	s_cbranch_scc1 .LBB118_278
; %bb.276:
	s_cmp_gt_i32 s0, 27
	s_cbranch_scc0 .LBB118_279
; %bb.277:
	s_wait_loadcnt 0x0
	global_load_b32 v4, v[0:1], off
	s_mov_b32 s19, 0
	s_branch .LBB118_280
.LBB118_278:
	s_mov_b32 s19, -1
                                        ; implicit-def: $vgpr4
	s_branch .LBB118_283
.LBB118_279:
	s_mov_b32 s19, -1
                                        ; implicit-def: $vgpr4
.LBB118_280:
	s_delay_alu instid0(SALU_CYCLE_1)
	s_and_not1_b32 vcc_lo, exec_lo, s19
	s_cbranch_vccnz .LBB118_282
; %bb.281:
	s_wait_loadcnt 0x0
	global_load_u16 v4, v[0:1], off
.LBB118_282:
	s_mov_b32 s19, 0
.LBB118_283:
	s_delay_alu instid0(SALU_CYCLE_1)
	s_and_not1_b32 vcc_lo, exec_lo, s19
	s_cbranch_vccnz .LBB118_289
; %bb.284:
	global_load_u8 v5, v[0:1], off
	s_mov_b32 s26, 0
	s_mov_b32 s19, exec_lo
	s_wait_loadcnt 0x0
	v_cmpx_lt_i16_e32 0x7f, v5
	s_xor_b32 s19, exec_lo, s19
	s_cbranch_execz .LBB118_301
; %bb.285:
	v_cmp_ne_u16_e32 vcc_lo, 0x80, v5
	s_and_b32 s26, vcc_lo, exec_lo
	s_and_not1_saveexec_b32 s19, s19
	s_cbranch_execnz .LBB118_302
.LBB118_286:
	s_or_b32 exec_lo, exec_lo, s19
	v_mov_b32_e32 v4, 0
	s_and_saveexec_b32 s19, s26
	s_cbranch_execz .LBB118_288
.LBB118_287:
	v_and_b32_e32 v4, 0xffff, v5
	s_delay_alu instid0(VALU_DEP_1) | instskip(SKIP_1) | instid1(VALU_DEP_2)
	v_and_b32_e32 v6, 7, v4
	v_bfe_u32 v10, v4, 3, 4
	v_clz_i32_u32_e32 v7, v6
	s_delay_alu instid0(VALU_DEP_2) | instskip(NEXT) | instid1(VALU_DEP_2)
	v_cmp_eq_u32_e32 vcc_lo, 0, v10
	v_min_u32_e32 v7, 32, v7
	s_delay_alu instid0(VALU_DEP_1) | instskip(NEXT) | instid1(VALU_DEP_1)
	v_subrev_nc_u32_e32 v9, 28, v7
	v_dual_lshlrev_b32 v4, v9, v4 :: v_dual_sub_nc_u32 v7, 29, v7
	s_delay_alu instid0(VALU_DEP_1) | instskip(NEXT) | instid1(VALU_DEP_2)
	v_dual_lshlrev_b32 v5, 24, v5 :: v_dual_bitop2_b32 v4, 7, v4 bitop3:0x40
	v_cndmask_b32_e32 v7, v10, v7, vcc_lo
	s_delay_alu instid0(VALU_DEP_2) | instskip(NEXT) | instid1(VALU_DEP_3)
	v_cndmask_b32_e32 v4, v6, v4, vcc_lo
	v_and_b32_e32 v5, 0x80000000, v5
	s_delay_alu instid0(VALU_DEP_3) | instskip(NEXT) | instid1(VALU_DEP_3)
	v_lshl_add_u32 v6, v7, 23, 0x3b800000
	v_lshlrev_b32_e32 v4, 20, v4
	s_delay_alu instid0(VALU_DEP_1) | instskip(NEXT) | instid1(VALU_DEP_1)
	v_or3_b32 v4, v5, v6, v4
	v_cvt_i32_f32_e32 v4, v4
.LBB118_288:
	s_or_b32 exec_lo, exec_lo, s19
.LBB118_289:
	s_mov_b32 s19, -1
.LBB118_290:
	s_mov_b32 s26, 0
.LBB118_291:
	s_delay_alu instid0(SALU_CYCLE_1)
	s_and_b32 vcc_lo, exec_lo, s26
	s_cbranch_vccz .LBB118_324
; %bb.292:
	s_cmp_gt_i32 s0, 22
	s_cbranch_scc0 .LBB118_300
; %bb.293:
	s_cmp_lt_i32 s0, 24
	s_cbranch_scc1 .LBB118_303
; %bb.294:
	s_cmp_gt_i32 s0, 24
	s_cbranch_scc0 .LBB118_304
; %bb.295:
	global_load_u8 v5, v[0:1], off
	s_mov_b32 s26, 0
	s_mov_b32 s19, exec_lo
	s_wait_loadcnt 0x0
	v_cmpx_lt_i16_e32 0x7f, v5
	s_xor_b32 s19, exec_lo, s19
	s_cbranch_execz .LBB118_316
; %bb.296:
	v_cmp_ne_u16_e32 vcc_lo, 0x80, v5
	s_and_b32 s26, vcc_lo, exec_lo
	s_and_not1_saveexec_b32 s19, s19
	s_cbranch_execnz .LBB118_317
.LBB118_297:
	s_or_b32 exec_lo, exec_lo, s19
	v_mov_b32_e32 v4, 0
	s_and_saveexec_b32 s19, s26
	s_cbranch_execz .LBB118_299
.LBB118_298:
	v_and_b32_e32 v4, 0xffff, v5
	s_delay_alu instid0(VALU_DEP_1) | instskip(SKIP_1) | instid1(VALU_DEP_2)
	v_and_b32_e32 v6, 3, v4
	v_bfe_u32 v10, v4, 2, 5
	v_clz_i32_u32_e32 v7, v6
	s_delay_alu instid0(VALU_DEP_2) | instskip(NEXT) | instid1(VALU_DEP_2)
	v_cmp_eq_u32_e32 vcc_lo, 0, v10
	v_min_u32_e32 v7, 32, v7
	s_delay_alu instid0(VALU_DEP_1) | instskip(NEXT) | instid1(VALU_DEP_1)
	v_subrev_nc_u32_e32 v9, 29, v7
	v_dual_lshlrev_b32 v4, v9, v4 :: v_dual_sub_nc_u32 v7, 30, v7
	s_delay_alu instid0(VALU_DEP_1) | instskip(NEXT) | instid1(VALU_DEP_2)
	v_dual_lshlrev_b32 v5, 24, v5 :: v_dual_bitop2_b32 v4, 3, v4 bitop3:0x40
	v_cndmask_b32_e32 v7, v10, v7, vcc_lo
	s_delay_alu instid0(VALU_DEP_2) | instskip(NEXT) | instid1(VALU_DEP_3)
	v_cndmask_b32_e32 v4, v6, v4, vcc_lo
	v_and_b32_e32 v5, 0x80000000, v5
	s_delay_alu instid0(VALU_DEP_3) | instskip(NEXT) | instid1(VALU_DEP_3)
	v_lshl_add_u32 v6, v7, 23, 0x37800000
	v_lshlrev_b32_e32 v4, 21, v4
	s_delay_alu instid0(VALU_DEP_1) | instskip(NEXT) | instid1(VALU_DEP_1)
	v_or3_b32 v4, v5, v6, v4
	v_cvt_i32_f32_e32 v4, v4
.LBB118_299:
	s_or_b32 exec_lo, exec_lo, s19
	s_mov_b32 s19, 0
	s_branch .LBB118_305
.LBB118_300:
	s_mov_b32 s26, -1
                                        ; implicit-def: $vgpr4
	s_branch .LBB118_311
.LBB118_301:
	s_and_not1_saveexec_b32 s19, s19
	s_cbranch_execz .LBB118_286
.LBB118_302:
	v_cmp_ne_u16_e32 vcc_lo, 0, v5
	s_and_not1_b32 s26, s26, exec_lo
	s_and_b32 s27, vcc_lo, exec_lo
	s_delay_alu instid0(SALU_CYCLE_1)
	s_or_b32 s26, s26, s27
	s_or_b32 exec_lo, exec_lo, s19
	v_mov_b32_e32 v4, 0
	s_and_saveexec_b32 s19, s26
	s_cbranch_execnz .LBB118_287
	s_branch .LBB118_288
.LBB118_303:
	s_mov_b32 s19, -1
                                        ; implicit-def: $vgpr4
	s_branch .LBB118_308
.LBB118_304:
	s_mov_b32 s19, -1
                                        ; implicit-def: $vgpr4
.LBB118_305:
	s_delay_alu instid0(SALU_CYCLE_1)
	s_and_b32 vcc_lo, exec_lo, s19
	s_cbranch_vccz .LBB118_307
; %bb.306:
	s_wait_loadcnt 0x0
	global_load_u8 v4, v[0:1], off
	s_wait_loadcnt 0x0
	v_lshlrev_b32_e32 v4, 24, v4
	s_delay_alu instid0(VALU_DEP_1) | instskip(NEXT) | instid1(VALU_DEP_1)
	v_and_b32_e32 v5, 0x7f000000, v4
	v_clz_i32_u32_e32 v6, v5
	v_add_nc_u32_e32 v9, 0x1000000, v5
	v_cmp_ne_u32_e32 vcc_lo, 0, v5
	s_delay_alu instid0(VALU_DEP_3) | instskip(NEXT) | instid1(VALU_DEP_1)
	v_min_u32_e32 v6, 32, v6
	v_sub_nc_u32_e64 v6, v6, 4 clamp
	s_delay_alu instid0(VALU_DEP_1) | instskip(NEXT) | instid1(VALU_DEP_1)
	v_dual_lshlrev_b32 v7, v6, v5 :: v_dual_lshlrev_b32 v6, 23, v6
	v_lshrrev_b32_e32 v7, 4, v7
	s_delay_alu instid0(VALU_DEP_1) | instskip(NEXT) | instid1(VALU_DEP_1)
	v_dual_sub_nc_u32 v6, v7, v6 :: v_dual_ashrrev_i32 v7, 8, v9
	v_add_nc_u32_e32 v6, 0x3c000000, v6
	s_delay_alu instid0(VALU_DEP_1) | instskip(NEXT) | instid1(VALU_DEP_1)
	v_and_or_b32 v6, 0x7f800000, v7, v6
	v_cndmask_b32_e32 v5, 0, v6, vcc_lo
	s_delay_alu instid0(VALU_DEP_1) | instskip(NEXT) | instid1(VALU_DEP_1)
	v_and_or_b32 v4, 0x80000000, v4, v5
	v_cvt_i32_f32_e32 v4, v4
.LBB118_307:
	s_mov_b32 s19, 0
.LBB118_308:
	s_delay_alu instid0(SALU_CYCLE_1)
	s_and_not1_b32 vcc_lo, exec_lo, s19
	s_cbranch_vccnz .LBB118_310
; %bb.309:
	s_wait_loadcnt 0x0
	global_load_u8 v4, v[0:1], off
	s_wait_loadcnt 0x0
	v_lshlrev_b32_e32 v5, 25, v4
	v_lshlrev_b16 v4, 8, v4
	s_delay_alu instid0(VALU_DEP_1) | instskip(SKIP_1) | instid1(VALU_DEP_2)
	v_and_or_b32 v7, 0x7f00, v4, 0.5
	v_bfe_i32 v4, v4, 0, 16
	v_dual_add_f32 v7, -0.5, v7 :: v_dual_lshrrev_b32 v6, 4, v5
	v_cmp_gt_u32_e32 vcc_lo, 0x8000000, v5
	s_delay_alu instid0(VALU_DEP_2) | instskip(NEXT) | instid1(VALU_DEP_1)
	v_or_b32_e32 v6, 0x70000000, v6
	v_mul_f32_e32 v6, 0x7800000, v6
	s_delay_alu instid0(VALU_DEP_1) | instskip(NEXT) | instid1(VALU_DEP_1)
	v_cndmask_b32_e32 v5, v6, v7, vcc_lo
	v_and_or_b32 v4, 0x80000000, v4, v5
	s_delay_alu instid0(VALU_DEP_1)
	v_cvt_i32_f32_e32 v4, v4
.LBB118_310:
	s_mov_b32 s26, 0
	s_mov_b32 s19, -1
.LBB118_311:
	s_and_not1_b32 vcc_lo, exec_lo, s26
	s_cbranch_vccnz .LBB118_324
; %bb.312:
	s_cmp_gt_i32 s0, 14
	s_cbranch_scc0 .LBB118_315
; %bb.313:
	s_cmp_eq_u32 s0, 15
	s_cbranch_scc0 .LBB118_318
; %bb.314:
	s_wait_loadcnt 0x0
	global_load_u16 v4, v[0:1], off
	s_mov_b32 s19, -1
	s_mov_b32 s21, 0
	s_wait_loadcnt 0x0
	v_lshlrev_b32_e32 v4, 16, v4
	s_delay_alu instid0(VALU_DEP_1)
	v_cvt_i32_f32_e32 v4, v4
	s_branch .LBB118_319
.LBB118_315:
	s_mov_b32 s26, -1
                                        ; implicit-def: $vgpr4
	s_branch .LBB118_320
.LBB118_316:
	s_and_not1_saveexec_b32 s19, s19
	s_cbranch_execz .LBB118_297
.LBB118_317:
	v_cmp_ne_u16_e32 vcc_lo, 0, v5
	s_and_not1_b32 s26, s26, exec_lo
	s_and_b32 s27, vcc_lo, exec_lo
	s_delay_alu instid0(SALU_CYCLE_1)
	s_or_b32 s26, s26, s27
	s_or_b32 exec_lo, exec_lo, s19
	v_mov_b32_e32 v4, 0
	s_and_saveexec_b32 s19, s26
	s_cbranch_execnz .LBB118_298
	s_branch .LBB118_299
.LBB118_318:
	s_mov_b32 s21, -1
                                        ; implicit-def: $vgpr4
.LBB118_319:
	s_mov_b32 s26, 0
.LBB118_320:
	s_delay_alu instid0(SALU_CYCLE_1)
	s_and_b32 vcc_lo, exec_lo, s26
	s_cbranch_vccz .LBB118_324
; %bb.321:
	s_cmp_eq_u32 s0, 11
	s_cbranch_scc0 .LBB118_323
; %bb.322:
	s_wait_loadcnt 0x0
	global_load_u8 v4, v[0:1], off
	s_mov_b32 s21, 0
	s_mov_b32 s19, -1
	s_wait_loadcnt 0x0
	v_cmp_ne_u16_e32 vcc_lo, 0, v4
	v_cndmask_b32_e64 v4, 0, 1, vcc_lo
	s_branch .LBB118_324
.LBB118_323:
	s_mov_b32 s21, -1
                                        ; implicit-def: $vgpr4
.LBB118_324:
	s_mov_b32 s26, 0
.LBB118_325:
	s_delay_alu instid0(SALU_CYCLE_1)
	s_and_b32 vcc_lo, exec_lo, s26
	s_cbranch_vccz .LBB118_374
; %bb.326:
	s_cmp_lt_i32 s0, 5
	s_cbranch_scc1 .LBB118_331
; %bb.327:
	s_cmp_lt_i32 s0, 8
	s_cbranch_scc1 .LBB118_332
	;; [unrolled: 3-line block ×3, first 2 shown]
; %bb.329:
	s_cmp_gt_i32 s0, 9
	s_cbranch_scc0 .LBB118_334
; %bb.330:
	s_wait_loadcnt 0x0
	global_load_b64 v[4:5], v[0:1], off
	s_mov_b32 s19, 0
	s_wait_loadcnt 0x0
	v_cvt_i32_f64_e32 v4, v[4:5]
	s_branch .LBB118_335
.LBB118_331:
	s_mov_b32 s19, -1
                                        ; implicit-def: $vgpr4
	s_branch .LBB118_353
.LBB118_332:
	s_mov_b32 s19, -1
                                        ; implicit-def: $vgpr4
	s_branch .LBB118_341
.LBB118_333:
	s_mov_b32 s19, -1
                                        ; implicit-def: $vgpr4
	s_branch .LBB118_338
.LBB118_334:
	s_mov_b32 s19, -1
                                        ; implicit-def: $vgpr4
.LBB118_335:
	s_delay_alu instid0(SALU_CYCLE_1)
	s_and_not1_b32 vcc_lo, exec_lo, s19
	s_cbranch_vccnz .LBB118_337
; %bb.336:
	s_wait_loadcnt 0x0
	global_load_b32 v4, v[0:1], off
	s_wait_loadcnt 0x0
	v_cvt_i32_f32_e32 v4, v4
.LBB118_337:
	s_mov_b32 s19, 0
.LBB118_338:
	s_delay_alu instid0(SALU_CYCLE_1)
	s_and_not1_b32 vcc_lo, exec_lo, s19
	s_cbranch_vccnz .LBB118_340
; %bb.339:
	s_wait_loadcnt 0x0
	global_load_b32 v4, v[0:1], off
	s_wait_loadcnt 0x0
	v_cvt_f32_f16_e32 v4, v4
	s_delay_alu instid0(VALU_DEP_1)
	v_cvt_i32_f32_e32 v4, v4
.LBB118_340:
	s_mov_b32 s19, 0
.LBB118_341:
	s_delay_alu instid0(SALU_CYCLE_1)
	s_and_not1_b32 vcc_lo, exec_lo, s19
	s_cbranch_vccnz .LBB118_352
; %bb.342:
	s_cmp_lt_i32 s0, 6
	s_cbranch_scc1 .LBB118_345
; %bb.343:
	s_cmp_gt_i32 s0, 6
	s_cbranch_scc0 .LBB118_346
; %bb.344:
	s_wait_loadcnt 0x0
	global_load_b64 v[4:5], v[0:1], off
	s_mov_b32 s19, 0
	s_wait_loadcnt 0x0
	v_cvt_i32_f64_e32 v4, v[4:5]
	s_branch .LBB118_347
.LBB118_345:
	s_mov_b32 s19, -1
                                        ; implicit-def: $vgpr4
	s_branch .LBB118_350
.LBB118_346:
	s_mov_b32 s19, -1
                                        ; implicit-def: $vgpr4
.LBB118_347:
	s_delay_alu instid0(SALU_CYCLE_1)
	s_and_not1_b32 vcc_lo, exec_lo, s19
	s_cbranch_vccnz .LBB118_349
; %bb.348:
	s_wait_loadcnt 0x0
	global_load_b32 v4, v[0:1], off
	s_wait_loadcnt 0x0
	v_cvt_i32_f32_e32 v4, v4
.LBB118_349:
	s_mov_b32 s19, 0
.LBB118_350:
	s_delay_alu instid0(SALU_CYCLE_1)
	s_and_not1_b32 vcc_lo, exec_lo, s19
	s_cbranch_vccnz .LBB118_352
; %bb.351:
	s_wait_loadcnt 0x0
	global_load_u16 v4, v[0:1], off
	s_wait_loadcnt 0x0
	v_cvt_f32_f16_e32 v4, v4
	s_delay_alu instid0(VALU_DEP_1)
	v_cvt_i32_f32_e32 v4, v4
.LBB118_352:
	s_mov_b32 s19, 0
.LBB118_353:
	s_delay_alu instid0(SALU_CYCLE_1)
	s_and_not1_b32 vcc_lo, exec_lo, s19
	s_cbranch_vccnz .LBB118_373
; %bb.354:
	s_cmp_lt_i32 s0, 2
	s_cbranch_scc1 .LBB118_358
; %bb.355:
	s_cmp_lt_i32 s0, 3
	s_cbranch_scc1 .LBB118_359
; %bb.356:
	s_cmp_gt_i32 s0, 3
	s_cbranch_scc0 .LBB118_360
; %bb.357:
	s_wait_loadcnt 0x0
	global_load_b32 v4, v[0:1], off
	s_mov_b32 s19, 0
	s_branch .LBB118_361
.LBB118_358:
	s_mov_b32 s19, -1
                                        ; implicit-def: $vgpr4
	s_branch .LBB118_367
.LBB118_359:
	s_mov_b32 s19, -1
                                        ; implicit-def: $vgpr4
	s_branch .LBB118_364
.LBB118_360:
	s_mov_b32 s19, -1
                                        ; implicit-def: $vgpr4
.LBB118_361:
	s_delay_alu instid0(SALU_CYCLE_1)
	s_and_not1_b32 vcc_lo, exec_lo, s19
	s_cbranch_vccnz .LBB118_363
; %bb.362:
	s_wait_loadcnt 0x0
	global_load_b32 v4, v[0:1], off
.LBB118_363:
	s_mov_b32 s19, 0
.LBB118_364:
	s_delay_alu instid0(SALU_CYCLE_1)
	s_and_not1_b32 vcc_lo, exec_lo, s19
	s_cbranch_vccnz .LBB118_366
; %bb.365:
	s_wait_loadcnt 0x0
	global_load_i16 v4, v[0:1], off
.LBB118_366:
	s_mov_b32 s19, 0
.LBB118_367:
	s_delay_alu instid0(SALU_CYCLE_1)
	s_and_not1_b32 vcc_lo, exec_lo, s19
	s_cbranch_vccnz .LBB118_373
; %bb.368:
	s_cmp_gt_i32 s0, 0
	s_mov_b32 s0, 0
	s_cbranch_scc0 .LBB118_370
; %bb.369:
	s_wait_loadcnt 0x0
	global_load_i8 v4, v[0:1], off
	s_branch .LBB118_371
.LBB118_370:
	s_mov_b32 s0, -1
                                        ; implicit-def: $vgpr4
.LBB118_371:
	s_delay_alu instid0(SALU_CYCLE_1)
	s_and_not1_b32 vcc_lo, exec_lo, s0
	s_cbranch_vccnz .LBB118_373
; %bb.372:
	s_wait_loadcnt 0x0
	global_load_u8 v4, v[0:1], off
.LBB118_373:
	s_mov_b32 s19, -1
.LBB118_374:
	s_delay_alu instid0(SALU_CYCLE_1)
	s_and_not1_b32 vcc_lo, exec_lo, s19
	s_cbranch_vccnz .LBB118_382
; %bb.375:
	s_wait_xcnt 0x0
	v_mul_lo_u32 v0, v8, s12
	s_wait_loadcnt 0x0
	s_delay_alu instid0(VALU_DEP_2) | instskip(SKIP_1) | instid1(SALU_CYCLE_1)
	v_maxmin_i32 v2, v2, v3, v4
	s_and_b32 s19, s2, 0xff
	s_cmp_lt_i32 s19, 11
	s_delay_alu instid0(VALU_DEP_2) | instskip(NEXT) | instid1(VALU_DEP_1)
	v_ashrrev_i32_e32 v1, 31, v0
	v_add_nc_u64_e32 v[0:1], s[4:5], v[0:1]
	s_cbranch_scc1 .LBB118_383
; %bb.376:
	s_and_b32 s26, 0xffff, s19
	s_delay_alu instid0(SALU_CYCLE_1)
	s_cmp_gt_i32 s26, 25
	s_cbranch_scc0 .LBB118_384
; %bb.377:
	s_cmp_gt_i32 s26, 28
	s_cbranch_scc0 .LBB118_385
; %bb.378:
	;; [unrolled: 3-line block ×4, first 2 shown]
	s_mov_b32 s28, 0
	s_mov_b32 s0, -1
	s_cmp_eq_u32 s26, 46
	s_mov_b32 s27, 0
	s_cbranch_scc0 .LBB118_388
; %bb.381:
	v_cvt_f32_i32_e32 v3, v2
	s_mov_b32 s27, -1
	s_mov_b32 s0, 0
	s_delay_alu instid0(VALU_DEP_1) | instskip(NEXT) | instid1(VALU_DEP_1)
	v_bfe_u32 v4, v3, 16, 1
	v_add3_u32 v3, v3, v4, 0x7fff
	s_delay_alu instid0(VALU_DEP_1)
	v_lshrrev_b32_e32 v3, 16, v3
	global_store_b32 v[0:1], v3, off
	s_branch .LBB118_388
.LBB118_382:
	s_mov_b32 s0, 0
	s_branch .LBB118_498
.LBB118_383:
	s_mov_b32 s26, -1
	s_mov_b32 s0, 0
	s_mov_b32 s27, 0
	s_branch .LBB118_457
.LBB118_384:
	s_mov_b32 s0, 0
	s_mov_b32 s27, 0
	s_branch .LBB118_415
.LBB118_385:
	s_mov_b32 s0, 0
	s_mov_b32 s27, 0
	s_branch .LBB118_398
.LBB118_386:
	s_mov_b32 s0, 0
	s_mov_b32 s27, 0
	s_branch .LBB118_394
.LBB118_387:
	s_mov_b32 s0, 0
	s_mov_b32 s27, 0
.LBB118_388:
	s_and_b32 vcc_lo, exec_lo, s28
	s_cbranch_vccz .LBB118_393
; %bb.389:
	s_cmp_eq_u32 s26, 44
	s_mov_b32 s0, -1
	s_cbranch_scc0 .LBB118_393
; %bb.390:
	s_wait_xcnt 0x0
	v_cvt_f32_i32_e32 v3, v2
	v_mov_b32_e32 v4, 0xff
	s_mov_b32 s27, exec_lo
	s_delay_alu instid0(VALU_DEP_2) | instskip(NEXT) | instid1(VALU_DEP_1)
	v_bfe_u32 v5, v3, 23, 8
	v_cmpx_ne_u32_e32 0xff, v5
	s_cbranch_execz .LBB118_392
; %bb.391:
	v_and_b32_e32 v4, 0x400000, v3
	v_and_or_b32 v5, 0x3fffff, v3, v5
	v_lshrrev_b32_e32 v3, 23, v3
	s_delay_alu instid0(VALU_DEP_3) | instskip(NEXT) | instid1(VALU_DEP_3)
	v_cmp_ne_u32_e32 vcc_lo, 0, v4
	v_cmp_ne_u32_e64 s0, 0, v5
	s_and_b32 s0, vcc_lo, s0
	s_delay_alu instid0(SALU_CYCLE_1) | instskip(NEXT) | instid1(VALU_DEP_1)
	v_cndmask_b32_e64 v4, 0, 1, s0
	v_add_nc_u32_e32 v4, v3, v4
.LBB118_392:
	s_or_b32 exec_lo, exec_lo, s27
	s_mov_b32 s27, -1
	s_mov_b32 s0, 0
	global_store_b8 v[0:1], v4, off
.LBB118_393:
	s_mov_b32 s28, 0
.LBB118_394:
	s_delay_alu instid0(SALU_CYCLE_1)
	s_and_b32 vcc_lo, exec_lo, s28
	s_cbranch_vccz .LBB118_397
; %bb.395:
	s_cmp_eq_u32 s26, 29
	s_mov_b32 s0, -1
	s_cbranch_scc0 .LBB118_397
; %bb.396:
	s_wait_xcnt 0x0
	v_ashrrev_i32_e32 v3, 31, v2
	s_mov_b32 s27, -1
	s_mov_b32 s0, 0
	s_mov_b32 s28, 0
	global_store_b64 v[0:1], v[2:3], off
	s_branch .LBB118_398
.LBB118_397:
	s_mov_b32 s28, 0
.LBB118_398:
	s_delay_alu instid0(SALU_CYCLE_1)
	s_and_b32 vcc_lo, exec_lo, s28
	s_cbranch_vccz .LBB118_414
; %bb.399:
	s_cmp_lt_i32 s26, 27
	s_mov_b32 s27, -1
	s_cbranch_scc1 .LBB118_405
; %bb.400:
	s_cmp_gt_i32 s26, 27
	s_cbranch_scc0 .LBB118_402
; %bb.401:
	s_mov_b32 s27, 0
	global_store_b32 v[0:1], v2, off
.LBB118_402:
	s_and_not1_b32 vcc_lo, exec_lo, s27
	s_cbranch_vccnz .LBB118_404
; %bb.403:
	global_store_b16 v[0:1], v2, off
.LBB118_404:
	s_mov_b32 s27, 0
.LBB118_405:
	s_delay_alu instid0(SALU_CYCLE_1)
	s_and_not1_b32 vcc_lo, exec_lo, s27
	s_cbranch_vccnz .LBB118_413
; %bb.406:
	s_wait_xcnt 0x0
	v_cvt_f32_i32_e32 v3, v2
	v_mov_b32_e32 v5, 0x80
	s_mov_b32 s27, exec_lo
	s_delay_alu instid0(VALU_DEP_2) | instskip(NEXT) | instid1(VALU_DEP_1)
	v_and_b32_e32 v4, 0x7fffffff, v3
	v_cmpx_gt_u32_e32 0x43800000, v4
	s_cbranch_execz .LBB118_412
; %bb.407:
	v_cmp_lt_u32_e32 vcc_lo, 0x3bffffff, v4
	s_mov_b32 s28, 0
                                        ; implicit-def: $vgpr4
	s_and_saveexec_b32 s29, vcc_lo
	s_delay_alu instid0(SALU_CYCLE_1)
	s_xor_b32 s29, exec_lo, s29
	s_cbranch_execz .LBB118_642
; %bb.408:
	v_bfe_u32 v4, v3, 20, 1
	s_mov_b32 s28, exec_lo
	s_delay_alu instid0(VALU_DEP_1) | instskip(NEXT) | instid1(VALU_DEP_1)
	v_add3_u32 v4, v3, v4, 0x487ffff
	v_lshrrev_b32_e32 v4, 20, v4
	s_and_not1_saveexec_b32 s29, s29
	s_cbranch_execnz .LBB118_643
.LBB118_409:
	s_or_b32 exec_lo, exec_lo, s29
	v_mov_b32_e32 v5, 0
	s_and_saveexec_b32 s29, s28
.LBB118_410:
	v_lshrrev_b32_e32 v3, 24, v3
	s_delay_alu instid0(VALU_DEP_1)
	v_and_or_b32 v5, 0x80, v3, v4
.LBB118_411:
	s_or_b32 exec_lo, exec_lo, s29
.LBB118_412:
	s_delay_alu instid0(SALU_CYCLE_1)
	s_or_b32 exec_lo, exec_lo, s27
	global_store_b8 v[0:1], v5, off
.LBB118_413:
	s_mov_b32 s27, -1
.LBB118_414:
	s_mov_b32 s28, 0
.LBB118_415:
	s_delay_alu instid0(SALU_CYCLE_1)
	s_and_b32 vcc_lo, exec_lo, s28
	s_cbranch_vccz .LBB118_456
; %bb.416:
	s_cmp_gt_i32 s26, 22
	s_mov_b32 s28, -1
	s_cbranch_scc0 .LBB118_448
; %bb.417:
	s_cmp_lt_i32 s26, 24
	s_mov_b32 s27, -1
	s_cbranch_scc1 .LBB118_437
; %bb.418:
	s_cmp_gt_i32 s26, 24
	s_cbranch_scc0 .LBB118_426
; %bb.419:
	s_wait_xcnt 0x0
	v_cvt_f32_i32_e32 v3, v2
	v_mov_b32_e32 v5, 0x80
	s_mov_b32 s27, exec_lo
	s_delay_alu instid0(VALU_DEP_2) | instskip(NEXT) | instid1(VALU_DEP_1)
	v_and_b32_e32 v4, 0x7fffffff, v3
	v_cmpx_gt_u32_e32 0x47800000, v4
	s_cbranch_execz .LBB118_425
; %bb.420:
	v_cmp_lt_u32_e32 vcc_lo, 0x37ffffff, v4
	s_mov_b32 s28, 0
                                        ; implicit-def: $vgpr4
	s_and_saveexec_b32 s29, vcc_lo
	s_delay_alu instid0(SALU_CYCLE_1)
	s_xor_b32 s29, exec_lo, s29
	s_cbranch_execz .LBB118_770
; %bb.421:
	v_bfe_u32 v4, v3, 21, 1
	s_mov_b32 s28, exec_lo
	s_delay_alu instid0(VALU_DEP_1) | instskip(NEXT) | instid1(VALU_DEP_1)
	v_add3_u32 v4, v3, v4, 0x88fffff
	v_lshrrev_b32_e32 v4, 21, v4
	s_and_not1_saveexec_b32 s29, s29
	s_cbranch_execnz .LBB118_771
.LBB118_422:
	s_or_b32 exec_lo, exec_lo, s29
	v_mov_b32_e32 v5, 0
	s_and_saveexec_b32 s29, s28
.LBB118_423:
	v_lshrrev_b32_e32 v3, 24, v3
	s_delay_alu instid0(VALU_DEP_1)
	v_and_or_b32 v5, 0x80, v3, v4
.LBB118_424:
	s_or_b32 exec_lo, exec_lo, s29
.LBB118_425:
	s_delay_alu instid0(SALU_CYCLE_1)
	s_or_b32 exec_lo, exec_lo, s27
	s_mov_b32 s27, 0
	global_store_b8 v[0:1], v5, off
.LBB118_426:
	s_and_b32 vcc_lo, exec_lo, s27
	s_cbranch_vccz .LBB118_436
; %bb.427:
	s_wait_xcnt 0x0
	v_cvt_f32_i32_e32 v3, v2
	s_mov_b32 s27, exec_lo
                                        ; implicit-def: $vgpr4
	s_delay_alu instid0(VALU_DEP_1) | instskip(NEXT) | instid1(VALU_DEP_1)
	v_and_b32_e32 v5, 0x7fffffff, v3
	v_cmpx_gt_u32_e32 0x43f00000, v5
	s_xor_b32 s27, exec_lo, s27
	s_cbranch_execz .LBB118_433
; %bb.428:
	s_mov_b32 s28, exec_lo
                                        ; implicit-def: $vgpr4
	v_cmpx_lt_u32_e32 0x3c7fffff, v5
	s_xor_b32 s28, exec_lo, s28
; %bb.429:
	v_bfe_u32 v4, v3, 20, 1
	s_delay_alu instid0(VALU_DEP_1) | instskip(NEXT) | instid1(VALU_DEP_1)
	v_add3_u32 v4, v3, v4, 0x407ffff
	v_and_b32_e32 v5, 0xff00000, v4
	v_lshrrev_b32_e32 v4, 20, v4
	s_delay_alu instid0(VALU_DEP_2) | instskip(NEXT) | instid1(VALU_DEP_2)
	v_cmp_ne_u32_e32 vcc_lo, 0x7f00000, v5
	v_cndmask_b32_e32 v4, 0x7e, v4, vcc_lo
; %bb.430:
	s_and_not1_saveexec_b32 s28, s28
; %bb.431:
	v_add_f32_e64 v4, 0x46800000, |v3|
; %bb.432:
	s_or_b32 exec_lo, exec_lo, s28
                                        ; implicit-def: $vgpr5
.LBB118_433:
	s_and_not1_saveexec_b32 s27, s27
; %bb.434:
	v_mov_b32_e32 v4, 0x7f
	v_cmp_lt_u32_e32 vcc_lo, 0x7f800000, v5
	s_delay_alu instid0(VALU_DEP_2)
	v_cndmask_b32_e32 v4, 0x7e, v4, vcc_lo
; %bb.435:
	s_or_b32 exec_lo, exec_lo, s27
	v_lshrrev_b32_e32 v3, 24, v3
	s_delay_alu instid0(VALU_DEP_1)
	v_and_or_b32 v3, 0x80, v3, v4
	global_store_b8 v[0:1], v3, off
.LBB118_436:
	s_mov_b32 s27, 0
.LBB118_437:
	s_delay_alu instid0(SALU_CYCLE_1)
	s_and_not1_b32 vcc_lo, exec_lo, s27
	s_cbranch_vccnz .LBB118_447
; %bb.438:
	s_wait_xcnt 0x0
	v_cvt_f32_i32_e32 v3, v2
	s_mov_b32 s27, exec_lo
                                        ; implicit-def: $vgpr4
	s_delay_alu instid0(VALU_DEP_1) | instskip(NEXT) | instid1(VALU_DEP_1)
	v_and_b32_e32 v5, 0x7fffffff, v3
	v_cmpx_gt_u32_e32 0x47800000, v5
	s_xor_b32 s27, exec_lo, s27
	s_cbranch_execz .LBB118_444
; %bb.439:
	s_mov_b32 s28, exec_lo
                                        ; implicit-def: $vgpr4
	v_cmpx_lt_u32_e32 0x387fffff, v5
	s_xor_b32 s28, exec_lo, s28
; %bb.440:
	v_bfe_u32 v4, v3, 21, 1
	s_delay_alu instid0(VALU_DEP_1) | instskip(NEXT) | instid1(VALU_DEP_1)
	v_add3_u32 v4, v3, v4, 0x80fffff
	v_lshrrev_b32_e32 v4, 21, v4
; %bb.441:
	s_and_not1_saveexec_b32 s28, s28
; %bb.442:
	v_add_f32_e64 v4, 0x43000000, |v3|
; %bb.443:
	s_or_b32 exec_lo, exec_lo, s28
                                        ; implicit-def: $vgpr5
.LBB118_444:
	s_and_not1_saveexec_b32 s27, s27
; %bb.445:
	v_mov_b32_e32 v4, 0x7f
	v_cmp_lt_u32_e32 vcc_lo, 0x7f800000, v5
	s_delay_alu instid0(VALU_DEP_2)
	v_cndmask_b32_e32 v4, 0x7c, v4, vcc_lo
; %bb.446:
	s_or_b32 exec_lo, exec_lo, s27
	v_lshrrev_b32_e32 v3, 24, v3
	s_delay_alu instid0(VALU_DEP_1)
	v_and_or_b32 v3, 0x80, v3, v4
	global_store_b8 v[0:1], v3, off
.LBB118_447:
	s_mov_b32 s28, 0
	s_mov_b32 s27, -1
.LBB118_448:
	s_and_not1_b32 vcc_lo, exec_lo, s28
	s_cbranch_vccnz .LBB118_456
; %bb.449:
	s_cmp_gt_i32 s26, 14
	s_mov_b32 s28, -1
	s_cbranch_scc0 .LBB118_453
; %bb.450:
	s_cmp_eq_u32 s26, 15
	s_mov_b32 s0, -1
	s_cbranch_scc0 .LBB118_452
; %bb.451:
	s_wait_xcnt 0x0
	v_cvt_f32_i32_e32 v3, v2
	s_mov_b32 s27, -1
	s_mov_b32 s0, 0
	s_delay_alu instid0(VALU_DEP_1) | instskip(NEXT) | instid1(VALU_DEP_1)
	v_bfe_u32 v4, v3, 16, 1
	v_add3_u32 v3, v3, v4, 0x7fff
	global_store_d16_hi_b16 v[0:1], v3, off
.LBB118_452:
	s_mov_b32 s28, 0
.LBB118_453:
	s_delay_alu instid0(SALU_CYCLE_1)
	s_and_b32 vcc_lo, exec_lo, s28
	s_cbranch_vccz .LBB118_456
; %bb.454:
	s_cmp_eq_u32 s26, 11
	s_mov_b32 s0, -1
	s_cbranch_scc0 .LBB118_456
; %bb.455:
	v_cmp_ne_u32_e32 vcc_lo, 0, v2
	s_mov_b32 s0, 0
	s_mov_b32 s27, -1
	s_wait_xcnt 0x0
	v_cndmask_b32_e64 v3, 0, 1, vcc_lo
	global_store_b8 v[0:1], v3, off
.LBB118_456:
	s_mov_b32 s26, 0
.LBB118_457:
	s_delay_alu instid0(SALU_CYCLE_1)
	s_and_b32 vcc_lo, exec_lo, s26
	s_cbranch_vccz .LBB118_496
; %bb.458:
	s_and_b32 s19, 0xffff, s19
	s_mov_b32 s26, -1
	s_cmp_lt_i32 s19, 5
	s_cbranch_scc1 .LBB118_479
; %bb.459:
	s_cmp_lt_i32 s19, 8
	s_cbranch_scc1 .LBB118_469
; %bb.460:
	;; [unrolled: 3-line block ×3, first 2 shown]
	s_cmp_gt_i32 s19, 9
	s_cbranch_scc0 .LBB118_463
; %bb.462:
	s_wait_xcnt 0x0
	v_cvt_f64_i32_e32 v[4:5], v2
	v_mov_b32_e32 v6, 0
	s_mov_b32 s26, 0
	s_delay_alu instid0(VALU_DEP_1)
	v_mov_b32_e32 v7, v6
	global_store_b128 v[0:1], v[4:7], off
.LBB118_463:
	s_and_not1_b32 vcc_lo, exec_lo, s26
	s_cbranch_vccnz .LBB118_465
; %bb.464:
	s_wait_xcnt 0x0
	v_cvt_f32_i32_e32 v4, v2
	v_mov_b32_e32 v5, 0
	global_store_b64 v[0:1], v[4:5], off
.LBB118_465:
	s_mov_b32 s26, 0
.LBB118_466:
	s_delay_alu instid0(SALU_CYCLE_1)
	s_and_not1_b32 vcc_lo, exec_lo, s26
	s_cbranch_vccnz .LBB118_468
; %bb.467:
	s_wait_xcnt 0x0
	v_cvt_f32_i32_e32 v3, v2
	s_delay_alu instid0(VALU_DEP_1) | instskip(NEXT) | instid1(VALU_DEP_1)
	v_cvt_f16_f32_e32 v3, v3
	v_and_b32_e32 v3, 0xffff, v3
	global_store_b32 v[0:1], v3, off
.LBB118_468:
	s_mov_b32 s26, 0
.LBB118_469:
	s_delay_alu instid0(SALU_CYCLE_1)
	s_and_not1_b32 vcc_lo, exec_lo, s26
	s_cbranch_vccnz .LBB118_478
; %bb.470:
	s_cmp_lt_i32 s19, 6
	s_mov_b32 s26, -1
	s_cbranch_scc1 .LBB118_476
; %bb.471:
	s_cmp_gt_i32 s19, 6
	s_cbranch_scc0 .LBB118_473
; %bb.472:
	s_wait_xcnt 0x0
	v_cvt_f64_i32_e32 v[4:5], v2
	s_mov_b32 s26, 0
	global_store_b64 v[0:1], v[4:5], off
.LBB118_473:
	s_and_not1_b32 vcc_lo, exec_lo, s26
	s_cbranch_vccnz .LBB118_475
; %bb.474:
	s_wait_xcnt 0x0
	v_cvt_f32_i32_e32 v3, v2
	global_store_b32 v[0:1], v3, off
.LBB118_475:
	s_mov_b32 s26, 0
.LBB118_476:
	s_delay_alu instid0(SALU_CYCLE_1)
	s_and_not1_b32 vcc_lo, exec_lo, s26
	s_cbranch_vccnz .LBB118_478
; %bb.477:
	s_wait_xcnt 0x0
	v_cvt_f32_i32_e32 v3, v2
	s_delay_alu instid0(VALU_DEP_1)
	v_cvt_f16_f32_e32 v3, v3
	global_store_b16 v[0:1], v3, off
.LBB118_478:
	s_mov_b32 s26, 0
.LBB118_479:
	s_delay_alu instid0(SALU_CYCLE_1)
	s_and_not1_b32 vcc_lo, exec_lo, s26
	s_cbranch_vccnz .LBB118_495
; %bb.480:
	s_cmp_lt_i32 s19, 2
	s_mov_b32 s26, -1
	s_cbranch_scc1 .LBB118_490
; %bb.481:
	s_cmp_lt_i32 s19, 3
	s_cbranch_scc1 .LBB118_487
; %bb.482:
	s_cmp_gt_i32 s19, 3
	s_cbranch_scc0 .LBB118_484
; %bb.483:
	s_wait_xcnt 0x0
	v_ashrrev_i32_e32 v3, 31, v2
	s_mov_b32 s26, 0
	global_store_b64 v[0:1], v[2:3], off
.LBB118_484:
	s_and_not1_b32 vcc_lo, exec_lo, s26
	s_cbranch_vccnz .LBB118_486
; %bb.485:
	global_store_b32 v[0:1], v2, off
.LBB118_486:
	s_mov_b32 s26, 0
.LBB118_487:
	s_delay_alu instid0(SALU_CYCLE_1)
	s_and_not1_b32 vcc_lo, exec_lo, s26
	s_cbranch_vccnz .LBB118_489
; %bb.488:
	global_store_b16 v[0:1], v2, off
.LBB118_489:
	s_mov_b32 s26, 0
.LBB118_490:
	s_delay_alu instid0(SALU_CYCLE_1)
	s_and_not1_b32 vcc_lo, exec_lo, s26
	s_cbranch_vccnz .LBB118_495
; %bb.491:
	s_cmp_gt_i32 s19, 0
	s_mov_b32 s19, -1
	s_cbranch_scc0 .LBB118_493
; %bb.492:
	s_mov_b32 s19, 0
	global_store_b8 v[0:1], v2, off
.LBB118_493:
	s_and_not1_b32 vcc_lo, exec_lo, s19
	s_cbranch_vccnz .LBB118_495
; %bb.494:
	global_store_b8 v[0:1], v2, off
.LBB118_495:
	s_mov_b32 s27, -1
.LBB118_496:
	s_delay_alu instid0(SALU_CYCLE_1)
	s_and_not1_b32 vcc_lo, exec_lo, s27
	s_cbranch_vccnz .LBB118_498
; %bb.497:
	v_add_nc_u32_e32 v8, 0x80, v8
	s_mov_b32 s26, -1
	s_branch .LBB118_499
.LBB118_498:
	s_mov_b32 s26, 0
                                        ; implicit-def: $vgpr8
.LBB118_499:
	s_and_b32 s19, s0, exec_lo
	s_and_b32 s21, s21, exec_lo
	;; [unrolled: 1-line block ×4, first 2 shown]
	s_or_not1_b32 s28, s26, exec_lo
.LBB118_500:
	s_wait_xcnt 0x0
	s_or_b32 exec_lo, exec_lo, s24
	s_mov_b32 s27, 0
	s_mov_b32 s26, 0
                                        ; implicit-def: $sgpr0
                                        ; implicit-def: $vgpr0_vgpr1
                                        ; implicit-def: $vgpr3
	s_and_saveexec_b32 s24, s28
	s_cbranch_execz .LBB118_509
; %bb.501:
	s_mov_b32 s31, -1
	s_mov_b32 s25, s23
	s_mov_b32 s28, s22
	;; [unrolled: 1-line block ×4, first 2 shown]
	s_mov_b32 s29, exec_lo
	v_cmpx_gt_i32_e64 s20, v8
	s_cbranch_execz .LBB118_1011
; %bb.502:
	v_mul_lo_u32 v0, v8, s13
	s_and_b32 s0, s17, 0xff
	s_delay_alu instid0(SALU_CYCLE_1) | instskip(NEXT) | instid1(VALU_DEP_1)
	s_cmp_lt_i32 s0, 11
	v_ashrrev_i32_e32 v1, 31, v0
	s_delay_alu instid0(VALU_DEP_1)
	v_add_nc_u64_e32 v[0:1], s[6:7], v[0:1]
	s_cbranch_scc1 .LBB118_512
; %bb.503:
	s_and_b32 s26, 0xffff, s0
	s_delay_alu instid0(SALU_CYCLE_1)
	s_cmp_gt_i32 s26, 25
	s_cbranch_scc0 .LBB118_521
; %bb.504:
	s_cmp_gt_i32 s26, 28
	s_cbranch_scc0 .LBB118_523
; %bb.505:
	;; [unrolled: 3-line block ×4, first 2 shown]
	s_cmp_eq_u32 s26, 46
	s_mov_b32 s28, 0
	s_cbranch_scc0 .LBB118_529
; %bb.508:
	s_wait_loadcnt 0x0
	global_load_b32 v2, v[0:1], off
	s_mov_b32 s27, -1
	s_mov_b32 s25, 0
	s_wait_loadcnt 0x0
	v_lshlrev_b32_e32 v2, 16, v2
	s_delay_alu instid0(VALU_DEP_1)
	v_cvt_i32_f32_e32 v2, v2
	s_branch .LBB118_531
.LBB118_509:
	s_or_b32 exec_lo, exec_lo, s24
	s_mov_b32 s20, 0
	s_and_saveexec_b32 s24, s23
	s_cbranch_execnz .LBB118_1599
.LBB118_510:
	s_or_b32 exec_lo, exec_lo, s24
	s_and_saveexec_b32 s23, s25
	s_delay_alu instid0(SALU_CYCLE_1)
	s_xor_b32 s23, exec_lo, s23
	s_cbranch_execz .LBB118_1600
.LBB118_511:
	s_wait_loadcnt 0x0
	global_load_u8 v2, v[0:1], off
	s_or_b32 s26, s26, exec_lo
	s_wait_loadcnt 0x0
	v_cmp_ne_u16_e32 vcc_lo, 0, v2
	v_cndmask_b32_e64 v3, 0, 1, vcc_lo
	s_wait_xcnt 0x0
	s_or_b32 exec_lo, exec_lo, s23
	s_and_saveexec_b32 s23, s27
	s_cbranch_execz .LBB118_1646
	s_branch .LBB118_1601
.LBB118_512:
	s_mov_b32 s27, 0
	s_mov_b32 s25, s23
                                        ; implicit-def: $vgpr2
	s_cbranch_execnz .LBB118_593
.LBB118_513:
	s_and_not1_b32 vcc_lo, exec_lo, s27
	s_cbranch_vccnz .LBB118_641
.LBB118_514:
	s_wait_xcnt 0x0
	v_mul_lo_u32 v0, v8, s14
	s_and_b32 s0, s3, 0xff
	s_delay_alu instid0(SALU_CYCLE_1) | instskip(NEXT) | instid1(VALU_DEP_1)
	s_cmp_lt_i32 s0, 11
	v_ashrrev_i32_e32 v1, 31, v0
	s_delay_alu instid0(VALU_DEP_1)
	v_add_nc_u64_e32 v[0:1], s[8:9], v[0:1]
	s_cbranch_scc1 .LBB118_522
; %bb.515:
	s_and_b32 s26, 0xffff, s0
	s_delay_alu instid0(SALU_CYCLE_1)
	s_cmp_gt_i32 s26, 25
	s_cbranch_scc0 .LBB118_524
; %bb.516:
	s_cmp_gt_i32 s26, 28
	s_cbranch_scc0 .LBB118_526
; %bb.517:
	;; [unrolled: 3-line block ×4, first 2 shown]
	s_cmp_eq_u32 s26, 46
	s_mov_b32 s30, 0
	s_cbranch_scc0 .LBB118_644
; %bb.520:
	s_wait_loadcnt 0x0
	global_load_b32 v3, v[0:1], off
	s_mov_b32 s27, -1
	s_mov_b32 s28, 0
	s_wait_loadcnt 0x0
	v_lshlrev_b32_e32 v3, 16, v3
	s_delay_alu instid0(VALU_DEP_1)
	v_cvt_i32_f32_e32 v3, v3
	s_branch .LBB118_646
.LBB118_521:
	s_mov_b32 s28, -1
	s_mov_b32 s27, 0
	s_mov_b32 s25, s23
                                        ; implicit-def: $vgpr2
	s_branch .LBB118_559
.LBB118_522:
	s_mov_b32 s26, -1
	s_mov_b32 s27, 0
	s_mov_b32 s28, s22
                                        ; implicit-def: $vgpr3
	s_branch .LBB118_707
.LBB118_523:
	s_mov_b32 s28, -1
	s_mov_b32 s27, 0
	s_mov_b32 s25, s23
                                        ; implicit-def: $vgpr2
	s_branch .LBB118_542
.LBB118_524:
	s_mov_b32 s30, -1
	s_mov_b32 s27, 0
	s_mov_b32 s28, s22
                                        ; implicit-def: $vgpr3
	s_branch .LBB118_673
.LBB118_525:
	s_mov_b32 s28, -1
	s_mov_b32 s27, 0
	s_mov_b32 s25, s23
                                        ; implicit-def: $vgpr2
	s_branch .LBB118_537
.LBB118_526:
	s_mov_b32 s30, -1
	s_mov_b32 s27, 0
	s_mov_b32 s28, s22
                                        ; implicit-def: $vgpr3
	s_branch .LBB118_656
.LBB118_527:
	s_mov_b32 s28, -1
	s_mov_b32 s27, 0
	s_mov_b32 s25, s23
	s_branch .LBB118_530
.LBB118_528:
	s_mov_b32 s30, -1
	s_mov_b32 s27, 0
	s_mov_b32 s28, s22
                                        ; implicit-def: $vgpr3
	s_branch .LBB118_651
.LBB118_529:
	s_mov_b32 s25, -1
	s_mov_b32 s27, 0
.LBB118_530:
                                        ; implicit-def: $vgpr2
.LBB118_531:
	s_and_b32 vcc_lo, exec_lo, s28
	s_cbranch_vccz .LBB118_536
; %bb.532:
	s_cmp_eq_u32 s26, 44
	s_cbranch_scc0 .LBB118_535
; %bb.533:
	s_wait_loadcnt 0x0
	global_load_u8 v2, v[0:1], off
	s_mov_b32 s25, 0
	s_mov_b32 s27, -1
	s_wait_loadcnt 0x0
	v_lshlrev_b32_e32 v3, 23, v2
	v_cmp_ne_u32_e32 vcc_lo, 0, v2
	s_delay_alu instid0(VALU_DEP_2) | instskip(NEXT) | instid1(VALU_DEP_1)
	v_cvt_i32_f32_e32 v3, v3
	v_cndmask_b32_e32 v2, 0, v3, vcc_lo
	s_branch .LBB118_536
.LBB118_534:
	s_mov_b32 s30, -1
	s_mov_b32 s27, 0
	s_mov_b32 s28, s22
	s_branch .LBB118_645
.LBB118_535:
	s_mov_b32 s25, -1
                                        ; implicit-def: $vgpr2
.LBB118_536:
	s_mov_b32 s28, 0
.LBB118_537:
	s_delay_alu instid0(SALU_CYCLE_1)
	s_and_b32 vcc_lo, exec_lo, s28
	s_cbranch_vccz .LBB118_541
; %bb.538:
	s_cmp_eq_u32 s26, 29
	s_cbranch_scc0 .LBB118_540
; %bb.539:
	s_wait_loadcnt 0x0
	global_load_b32 v2, v[0:1], off
	s_mov_b32 s27, -1
	s_mov_b32 s25, 0
	s_branch .LBB118_541
.LBB118_540:
	s_mov_b32 s25, -1
                                        ; implicit-def: $vgpr2
.LBB118_541:
	s_mov_b32 s28, 0
.LBB118_542:
	s_delay_alu instid0(SALU_CYCLE_1)
	s_and_b32 vcc_lo, exec_lo, s28
	s_cbranch_vccz .LBB118_558
; %bb.543:
	s_cmp_lt_i32 s26, 27
	s_cbranch_scc1 .LBB118_546
; %bb.544:
	s_cmp_gt_i32 s26, 27
	s_cbranch_scc0 .LBB118_547
; %bb.545:
	s_wait_loadcnt 0x0
	global_load_b32 v2, v[0:1], off
	s_mov_b32 s27, 0
	s_branch .LBB118_548
.LBB118_546:
	s_mov_b32 s27, -1
                                        ; implicit-def: $vgpr2
	s_branch .LBB118_551
.LBB118_547:
	s_mov_b32 s27, -1
                                        ; implicit-def: $vgpr2
.LBB118_548:
	s_delay_alu instid0(SALU_CYCLE_1)
	s_and_not1_b32 vcc_lo, exec_lo, s27
	s_cbranch_vccnz .LBB118_550
; %bb.549:
	s_wait_loadcnt 0x0
	global_load_u16 v2, v[0:1], off
.LBB118_550:
	s_mov_b32 s27, 0
.LBB118_551:
	s_delay_alu instid0(SALU_CYCLE_1)
	s_and_not1_b32 vcc_lo, exec_lo, s27
	s_cbranch_vccnz .LBB118_557
; %bb.552:
	s_wait_loadcnt 0x0
	global_load_u8 v3, v[0:1], off
	s_mov_b32 s28, 0
	s_mov_b32 s27, exec_lo
	s_wait_loadcnt 0x0
	v_cmpx_lt_i16_e32 0x7f, v3
	s_xor_b32 s27, exec_lo, s27
	s_cbranch_execz .LBB118_569
; %bb.553:
	v_cmp_ne_u16_e32 vcc_lo, 0x80, v3
	s_and_b32 s28, vcc_lo, exec_lo
	s_and_not1_saveexec_b32 s27, s27
	s_cbranch_execnz .LBB118_570
.LBB118_554:
	s_or_b32 exec_lo, exec_lo, s27
	v_mov_b32_e32 v2, 0
	s_and_saveexec_b32 s27, s28
	s_cbranch_execz .LBB118_556
.LBB118_555:
	v_and_b32_e32 v2, 0xffff, v3
	s_delay_alu instid0(VALU_DEP_1) | instskip(SKIP_1) | instid1(VALU_DEP_2)
	v_and_b32_e32 v4, 7, v2
	v_bfe_u32 v7, v2, 3, 4
	v_clz_i32_u32_e32 v5, v4
	s_delay_alu instid0(VALU_DEP_2) | instskip(NEXT) | instid1(VALU_DEP_2)
	v_cmp_eq_u32_e32 vcc_lo, 0, v7
	v_min_u32_e32 v5, 32, v5
	s_delay_alu instid0(VALU_DEP_1) | instskip(NEXT) | instid1(VALU_DEP_1)
	v_subrev_nc_u32_e32 v6, 28, v5
	v_dual_lshlrev_b32 v2, v6, v2 :: v_dual_sub_nc_u32 v5, 29, v5
	s_delay_alu instid0(VALU_DEP_1) | instskip(NEXT) | instid1(VALU_DEP_1)
	v_dual_lshlrev_b32 v3, 24, v3 :: v_dual_bitop2_b32 v2, 7, v2 bitop3:0x40
	v_dual_cndmask_b32 v5, v7, v5 :: v_dual_cndmask_b32 v2, v4, v2
	s_delay_alu instid0(VALU_DEP_2) | instskip(NEXT) | instid1(VALU_DEP_2)
	v_and_b32_e32 v3, 0x80000000, v3
	v_lshl_add_u32 v4, v5, 23, 0x3b800000
	s_delay_alu instid0(VALU_DEP_3) | instskip(NEXT) | instid1(VALU_DEP_1)
	v_lshlrev_b32_e32 v2, 20, v2
	v_or3_b32 v2, v3, v4, v2
	s_delay_alu instid0(VALU_DEP_1)
	v_cvt_i32_f32_e32 v2, v2
.LBB118_556:
	s_or_b32 exec_lo, exec_lo, s27
.LBB118_557:
	s_mov_b32 s27, -1
.LBB118_558:
	s_mov_b32 s28, 0
.LBB118_559:
	s_delay_alu instid0(SALU_CYCLE_1)
	s_and_b32 vcc_lo, exec_lo, s28
	s_cbranch_vccz .LBB118_592
; %bb.560:
	s_cmp_gt_i32 s26, 22
	s_cbranch_scc0 .LBB118_568
; %bb.561:
	s_cmp_lt_i32 s26, 24
	s_cbranch_scc1 .LBB118_571
; %bb.562:
	s_cmp_gt_i32 s26, 24
	s_cbranch_scc0 .LBB118_572
; %bb.563:
	s_wait_loadcnt 0x0
	global_load_u8 v3, v[0:1], off
	s_mov_b32 s28, 0
	s_mov_b32 s27, exec_lo
	s_wait_loadcnt 0x0
	v_cmpx_lt_i16_e32 0x7f, v3
	s_xor_b32 s27, exec_lo, s27
	s_cbranch_execz .LBB118_584
; %bb.564:
	v_cmp_ne_u16_e32 vcc_lo, 0x80, v3
	s_and_b32 s28, vcc_lo, exec_lo
	s_and_not1_saveexec_b32 s27, s27
	s_cbranch_execnz .LBB118_585
.LBB118_565:
	s_or_b32 exec_lo, exec_lo, s27
	v_mov_b32_e32 v2, 0
	s_and_saveexec_b32 s27, s28
	s_cbranch_execz .LBB118_567
.LBB118_566:
	v_and_b32_e32 v2, 0xffff, v3
	s_delay_alu instid0(VALU_DEP_1) | instskip(SKIP_1) | instid1(VALU_DEP_2)
	v_and_b32_e32 v4, 3, v2
	v_bfe_u32 v7, v2, 2, 5
	v_clz_i32_u32_e32 v5, v4
	s_delay_alu instid0(VALU_DEP_2) | instskip(NEXT) | instid1(VALU_DEP_2)
	v_cmp_eq_u32_e32 vcc_lo, 0, v7
	v_min_u32_e32 v5, 32, v5
	s_delay_alu instid0(VALU_DEP_1) | instskip(NEXT) | instid1(VALU_DEP_1)
	v_subrev_nc_u32_e32 v6, 29, v5
	v_dual_lshlrev_b32 v2, v6, v2 :: v_dual_sub_nc_u32 v5, 30, v5
	s_delay_alu instid0(VALU_DEP_1) | instskip(NEXT) | instid1(VALU_DEP_1)
	v_dual_lshlrev_b32 v3, 24, v3 :: v_dual_bitop2_b32 v2, 3, v2 bitop3:0x40
	v_dual_cndmask_b32 v5, v7, v5 :: v_dual_cndmask_b32 v2, v4, v2
	s_delay_alu instid0(VALU_DEP_2) | instskip(NEXT) | instid1(VALU_DEP_2)
	v_and_b32_e32 v3, 0x80000000, v3
	v_lshl_add_u32 v4, v5, 23, 0x37800000
	s_delay_alu instid0(VALU_DEP_3) | instskip(NEXT) | instid1(VALU_DEP_1)
	v_lshlrev_b32_e32 v2, 21, v2
	v_or3_b32 v2, v3, v4, v2
	s_delay_alu instid0(VALU_DEP_1)
	v_cvt_i32_f32_e32 v2, v2
.LBB118_567:
	s_or_b32 exec_lo, exec_lo, s27
	s_mov_b32 s27, 0
	s_branch .LBB118_573
.LBB118_568:
	s_mov_b32 s28, -1
                                        ; implicit-def: $vgpr2
	s_branch .LBB118_579
.LBB118_569:
	s_and_not1_saveexec_b32 s27, s27
	s_cbranch_execz .LBB118_554
.LBB118_570:
	v_cmp_ne_u16_e32 vcc_lo, 0, v3
	s_and_not1_b32 s28, s28, exec_lo
	s_and_b32 s30, vcc_lo, exec_lo
	s_delay_alu instid0(SALU_CYCLE_1)
	s_or_b32 s28, s28, s30
	s_or_b32 exec_lo, exec_lo, s27
	v_mov_b32_e32 v2, 0
	s_and_saveexec_b32 s27, s28
	s_cbranch_execnz .LBB118_555
	s_branch .LBB118_556
.LBB118_571:
	s_mov_b32 s27, -1
                                        ; implicit-def: $vgpr2
	s_branch .LBB118_576
.LBB118_572:
	s_mov_b32 s27, -1
                                        ; implicit-def: $vgpr2
.LBB118_573:
	s_delay_alu instid0(SALU_CYCLE_1)
	s_and_b32 vcc_lo, exec_lo, s27
	s_cbranch_vccz .LBB118_575
; %bb.574:
	s_wait_loadcnt 0x0
	global_load_u8 v2, v[0:1], off
	s_wait_loadcnt 0x0
	v_lshlrev_b32_e32 v2, 24, v2
	s_delay_alu instid0(VALU_DEP_1) | instskip(NEXT) | instid1(VALU_DEP_1)
	v_and_b32_e32 v3, 0x7f000000, v2
	v_clz_i32_u32_e32 v4, v3
	v_cmp_ne_u32_e32 vcc_lo, 0, v3
	v_add_nc_u32_e32 v6, 0x1000000, v3
	s_delay_alu instid0(VALU_DEP_3) | instskip(NEXT) | instid1(VALU_DEP_1)
	v_min_u32_e32 v4, 32, v4
	v_sub_nc_u32_e64 v4, v4, 4 clamp
	s_delay_alu instid0(VALU_DEP_1) | instskip(NEXT) | instid1(VALU_DEP_1)
	v_dual_lshlrev_b32 v5, v4, v3 :: v_dual_lshlrev_b32 v4, 23, v4
	v_lshrrev_b32_e32 v5, 4, v5
	s_delay_alu instid0(VALU_DEP_1) | instskip(NEXT) | instid1(VALU_DEP_1)
	v_dual_sub_nc_u32 v4, v5, v4 :: v_dual_ashrrev_i32 v5, 8, v6
	v_add_nc_u32_e32 v4, 0x3c000000, v4
	s_delay_alu instid0(VALU_DEP_1) | instskip(NEXT) | instid1(VALU_DEP_1)
	v_and_or_b32 v4, 0x7f800000, v5, v4
	v_cndmask_b32_e32 v3, 0, v4, vcc_lo
	s_delay_alu instid0(VALU_DEP_1) | instskip(NEXT) | instid1(VALU_DEP_1)
	v_and_or_b32 v2, 0x80000000, v2, v3
	v_cvt_i32_f32_e32 v2, v2
.LBB118_575:
	s_mov_b32 s27, 0
.LBB118_576:
	s_delay_alu instid0(SALU_CYCLE_1)
	s_and_not1_b32 vcc_lo, exec_lo, s27
	s_cbranch_vccnz .LBB118_578
; %bb.577:
	s_wait_loadcnt 0x0
	global_load_u8 v2, v[0:1], off
	s_wait_loadcnt 0x0
	v_lshlrev_b32_e32 v3, 25, v2
	v_lshlrev_b16 v2, 8, v2
	s_delay_alu instid0(VALU_DEP_1) | instskip(SKIP_1) | instid1(VALU_DEP_2)
	v_and_or_b32 v5, 0x7f00, v2, 0.5
	v_bfe_i32 v2, v2, 0, 16
	v_dual_add_f32 v5, -0.5, v5 :: v_dual_lshrrev_b32 v4, 4, v3
	v_cmp_gt_u32_e32 vcc_lo, 0x8000000, v3
	s_delay_alu instid0(VALU_DEP_2) | instskip(NEXT) | instid1(VALU_DEP_1)
	v_or_b32_e32 v4, 0x70000000, v4
	v_mul_f32_e32 v4, 0x7800000, v4
	s_delay_alu instid0(VALU_DEP_1) | instskip(NEXT) | instid1(VALU_DEP_1)
	v_cndmask_b32_e32 v3, v4, v5, vcc_lo
	v_and_or_b32 v2, 0x80000000, v2, v3
	s_delay_alu instid0(VALU_DEP_1)
	v_cvt_i32_f32_e32 v2, v2
.LBB118_578:
	s_mov_b32 s28, 0
	s_mov_b32 s27, -1
.LBB118_579:
	s_and_not1_b32 vcc_lo, exec_lo, s28
	s_cbranch_vccnz .LBB118_592
; %bb.580:
	s_cmp_gt_i32 s26, 14
	s_cbranch_scc0 .LBB118_583
; %bb.581:
	s_cmp_eq_u32 s26, 15
	s_cbranch_scc0 .LBB118_586
; %bb.582:
	s_wait_loadcnt 0x0
	global_load_u16 v2, v[0:1], off
	s_mov_b32 s27, -1
	s_mov_b32 s25, 0
	s_wait_loadcnt 0x0
	v_lshlrev_b32_e32 v2, 16, v2
	s_delay_alu instid0(VALU_DEP_1)
	v_cvt_i32_f32_e32 v2, v2
	s_branch .LBB118_587
.LBB118_583:
	s_mov_b32 s28, -1
                                        ; implicit-def: $vgpr2
	s_branch .LBB118_588
.LBB118_584:
	s_and_not1_saveexec_b32 s27, s27
	s_cbranch_execz .LBB118_565
.LBB118_585:
	v_cmp_ne_u16_e32 vcc_lo, 0, v3
	s_and_not1_b32 s28, s28, exec_lo
	s_and_b32 s30, vcc_lo, exec_lo
	s_delay_alu instid0(SALU_CYCLE_1)
	s_or_b32 s28, s28, s30
	s_or_b32 exec_lo, exec_lo, s27
	v_mov_b32_e32 v2, 0
	s_and_saveexec_b32 s27, s28
	s_cbranch_execnz .LBB118_566
	s_branch .LBB118_567
.LBB118_586:
	s_mov_b32 s25, -1
                                        ; implicit-def: $vgpr2
.LBB118_587:
	s_mov_b32 s28, 0
.LBB118_588:
	s_delay_alu instid0(SALU_CYCLE_1)
	s_and_b32 vcc_lo, exec_lo, s28
	s_cbranch_vccz .LBB118_592
; %bb.589:
	s_cmp_eq_u32 s26, 11
	s_cbranch_scc0 .LBB118_591
; %bb.590:
	s_wait_loadcnt 0x0
	global_load_u8 v2, v[0:1], off
	s_mov_b32 s25, 0
	s_mov_b32 s27, -1
	s_wait_loadcnt 0x0
	v_cmp_ne_u16_e32 vcc_lo, 0, v2
	v_cndmask_b32_e64 v2, 0, 1, vcc_lo
	s_branch .LBB118_592
.LBB118_591:
	s_mov_b32 s25, -1
                                        ; implicit-def: $vgpr2
.LBB118_592:
	s_branch .LBB118_513
.LBB118_593:
	s_and_b32 s0, 0xffff, s0
	s_delay_alu instid0(SALU_CYCLE_1)
	s_cmp_lt_i32 s0, 5
	s_cbranch_scc1 .LBB118_598
; %bb.594:
	s_cmp_lt_i32 s0, 8
	s_cbranch_scc1 .LBB118_599
; %bb.595:
	s_cmp_lt_i32 s0, 9
	s_cbranch_scc1 .LBB118_600
; %bb.596:
	s_cmp_gt_i32 s0, 9
	s_cbranch_scc0 .LBB118_601
; %bb.597:
	s_wait_loadcnt 0x0
	global_load_b64 v[2:3], v[0:1], off
	s_mov_b32 s26, 0
	s_wait_loadcnt 0x0
	v_cvt_i32_f64_e32 v2, v[2:3]
	s_branch .LBB118_602
.LBB118_598:
	s_mov_b32 s26, -1
                                        ; implicit-def: $vgpr2
	s_branch .LBB118_620
.LBB118_599:
	s_mov_b32 s26, -1
                                        ; implicit-def: $vgpr2
	s_branch .LBB118_608
.LBB118_600:
	s_mov_b32 s26, -1
                                        ; implicit-def: $vgpr2
	s_branch .LBB118_605
.LBB118_601:
	s_mov_b32 s26, -1
                                        ; implicit-def: $vgpr2
.LBB118_602:
	s_delay_alu instid0(SALU_CYCLE_1)
	s_and_not1_b32 vcc_lo, exec_lo, s26
	s_cbranch_vccnz .LBB118_604
; %bb.603:
	s_wait_loadcnt 0x0
	global_load_b32 v2, v[0:1], off
	s_wait_loadcnt 0x0
	v_cvt_i32_f32_e32 v2, v2
.LBB118_604:
	s_mov_b32 s26, 0
.LBB118_605:
	s_delay_alu instid0(SALU_CYCLE_1)
	s_and_not1_b32 vcc_lo, exec_lo, s26
	s_cbranch_vccnz .LBB118_607
; %bb.606:
	s_wait_loadcnt 0x0
	global_load_b32 v2, v[0:1], off
	s_wait_loadcnt 0x0
	v_cvt_f32_f16_e32 v2, v2
	s_delay_alu instid0(VALU_DEP_1)
	v_cvt_i32_f32_e32 v2, v2
.LBB118_607:
	s_mov_b32 s26, 0
.LBB118_608:
	s_delay_alu instid0(SALU_CYCLE_1)
	s_and_not1_b32 vcc_lo, exec_lo, s26
	s_cbranch_vccnz .LBB118_619
; %bb.609:
	s_cmp_lt_i32 s0, 6
	s_cbranch_scc1 .LBB118_612
; %bb.610:
	s_cmp_gt_i32 s0, 6
	s_cbranch_scc0 .LBB118_613
; %bb.611:
	s_wait_loadcnt 0x0
	global_load_b64 v[2:3], v[0:1], off
	s_mov_b32 s26, 0
	s_wait_loadcnt 0x0
	v_cvt_i32_f64_e32 v2, v[2:3]
	s_branch .LBB118_614
.LBB118_612:
	s_mov_b32 s26, -1
                                        ; implicit-def: $vgpr2
	s_branch .LBB118_617
.LBB118_613:
	s_mov_b32 s26, -1
                                        ; implicit-def: $vgpr2
.LBB118_614:
	s_delay_alu instid0(SALU_CYCLE_1)
	s_and_not1_b32 vcc_lo, exec_lo, s26
	s_cbranch_vccnz .LBB118_616
; %bb.615:
	s_wait_loadcnt 0x0
	global_load_b32 v2, v[0:1], off
	s_wait_loadcnt 0x0
	v_cvt_i32_f32_e32 v2, v2
.LBB118_616:
	s_mov_b32 s26, 0
.LBB118_617:
	s_delay_alu instid0(SALU_CYCLE_1)
	s_and_not1_b32 vcc_lo, exec_lo, s26
	s_cbranch_vccnz .LBB118_619
; %bb.618:
	s_wait_loadcnt 0x0
	global_load_u16 v2, v[0:1], off
	s_wait_loadcnt 0x0
	v_cvt_f32_f16_e32 v2, v2
	s_delay_alu instid0(VALU_DEP_1)
	v_cvt_i32_f32_e32 v2, v2
.LBB118_619:
	s_mov_b32 s26, 0
.LBB118_620:
	s_delay_alu instid0(SALU_CYCLE_1)
	s_and_not1_b32 vcc_lo, exec_lo, s26
	s_cbranch_vccnz .LBB118_640
; %bb.621:
	s_cmp_lt_i32 s0, 2
	s_cbranch_scc1 .LBB118_625
; %bb.622:
	s_cmp_lt_i32 s0, 3
	s_cbranch_scc1 .LBB118_626
; %bb.623:
	s_cmp_gt_i32 s0, 3
	s_cbranch_scc0 .LBB118_627
; %bb.624:
	s_wait_loadcnt 0x0
	global_load_b32 v2, v[0:1], off
	s_mov_b32 s26, 0
	s_branch .LBB118_628
.LBB118_625:
	s_mov_b32 s26, -1
                                        ; implicit-def: $vgpr2
	s_branch .LBB118_634
.LBB118_626:
	s_mov_b32 s26, -1
                                        ; implicit-def: $vgpr2
	s_branch .LBB118_631
.LBB118_627:
	s_mov_b32 s26, -1
                                        ; implicit-def: $vgpr2
.LBB118_628:
	s_delay_alu instid0(SALU_CYCLE_1)
	s_and_not1_b32 vcc_lo, exec_lo, s26
	s_cbranch_vccnz .LBB118_630
; %bb.629:
	s_wait_loadcnt 0x0
	global_load_b32 v2, v[0:1], off
.LBB118_630:
	s_mov_b32 s26, 0
.LBB118_631:
	s_delay_alu instid0(SALU_CYCLE_1)
	s_and_not1_b32 vcc_lo, exec_lo, s26
	s_cbranch_vccnz .LBB118_633
; %bb.632:
	s_wait_loadcnt 0x0
	global_load_i16 v2, v[0:1], off
.LBB118_633:
	s_mov_b32 s26, 0
.LBB118_634:
	s_delay_alu instid0(SALU_CYCLE_1)
	s_and_not1_b32 vcc_lo, exec_lo, s26
	s_cbranch_vccnz .LBB118_640
; %bb.635:
	s_cmp_gt_i32 s0, 0
	s_mov_b32 s0, 0
	s_cbranch_scc0 .LBB118_637
; %bb.636:
	s_wait_loadcnt 0x0
	global_load_i8 v2, v[0:1], off
	s_branch .LBB118_638
.LBB118_637:
	s_mov_b32 s0, -1
                                        ; implicit-def: $vgpr2
.LBB118_638:
	s_delay_alu instid0(SALU_CYCLE_1)
	s_and_not1_b32 vcc_lo, exec_lo, s0
	s_cbranch_vccnz .LBB118_640
; %bb.639:
	s_wait_loadcnt 0x0
	global_load_u8 v2, v[0:1], off
.LBB118_640:
	s_branch .LBB118_514
.LBB118_641:
	s_mov_b32 s30, 0
	s_mov_b32 s0, s19
	;; [unrolled: 1-line block ×4, first 2 shown]
	s_branch .LBB118_1009
.LBB118_642:
	s_and_not1_saveexec_b32 s29, s29
	s_cbranch_execz .LBB118_409
.LBB118_643:
	v_add_f32_e64 v4, 0x46000000, |v3|
	s_and_not1_b32 s28, s28, exec_lo
	s_delay_alu instid0(VALU_DEP_1) | instskip(NEXT) | instid1(VALU_DEP_1)
	v_and_b32_e32 v4, 0xff, v4
	v_cmp_ne_u32_e32 vcc_lo, 0, v4
	s_and_b32 s30, vcc_lo, exec_lo
	s_delay_alu instid0(SALU_CYCLE_1)
	s_or_b32 s28, s28, s30
	s_or_b32 exec_lo, exec_lo, s29
	v_mov_b32_e32 v5, 0
	s_and_saveexec_b32 s29, s28
	s_cbranch_execnz .LBB118_410
	s_branch .LBB118_411
.LBB118_644:
	s_mov_b32 s28, -1
	s_mov_b32 s27, 0
.LBB118_645:
                                        ; implicit-def: $vgpr3
.LBB118_646:
	s_and_b32 vcc_lo, exec_lo, s30
	s_cbranch_vccz .LBB118_650
; %bb.647:
	s_cmp_eq_u32 s26, 44
	s_cbranch_scc0 .LBB118_649
; %bb.648:
	s_wait_loadcnt 0x0
	global_load_u8 v3, v[0:1], off
	s_mov_b32 s28, 0
	s_mov_b32 s27, -1
	s_wait_loadcnt 0x0
	v_lshlrev_b32_e32 v4, 23, v3
	v_cmp_ne_u32_e32 vcc_lo, 0, v3
	s_delay_alu instid0(VALU_DEP_2) | instskip(NEXT) | instid1(VALU_DEP_1)
	v_cvt_i32_f32_e32 v4, v4
	v_cndmask_b32_e32 v3, 0, v4, vcc_lo
	s_branch .LBB118_650
.LBB118_649:
	s_mov_b32 s28, -1
                                        ; implicit-def: $vgpr3
.LBB118_650:
	s_mov_b32 s30, 0
.LBB118_651:
	s_delay_alu instid0(SALU_CYCLE_1)
	s_and_b32 vcc_lo, exec_lo, s30
	s_cbranch_vccz .LBB118_655
; %bb.652:
	s_cmp_eq_u32 s26, 29
	s_cbranch_scc0 .LBB118_654
; %bb.653:
	s_wait_loadcnt 0x0
	global_load_b32 v3, v[0:1], off
	s_mov_b32 s27, -1
	s_mov_b32 s28, 0
	s_branch .LBB118_655
.LBB118_654:
	s_mov_b32 s28, -1
                                        ; implicit-def: $vgpr3
.LBB118_655:
	s_mov_b32 s30, 0
.LBB118_656:
	s_delay_alu instid0(SALU_CYCLE_1)
	s_and_b32 vcc_lo, exec_lo, s30
	s_cbranch_vccz .LBB118_672
; %bb.657:
	s_cmp_lt_i32 s26, 27
	s_cbranch_scc1 .LBB118_660
; %bb.658:
	s_cmp_gt_i32 s26, 27
	s_cbranch_scc0 .LBB118_661
; %bb.659:
	s_wait_loadcnt 0x0
	global_load_b32 v3, v[0:1], off
	s_mov_b32 s27, 0
	s_branch .LBB118_662
.LBB118_660:
	s_mov_b32 s27, -1
                                        ; implicit-def: $vgpr3
	s_branch .LBB118_665
.LBB118_661:
	s_mov_b32 s27, -1
                                        ; implicit-def: $vgpr3
.LBB118_662:
	s_delay_alu instid0(SALU_CYCLE_1)
	s_and_not1_b32 vcc_lo, exec_lo, s27
	s_cbranch_vccnz .LBB118_664
; %bb.663:
	s_wait_loadcnt 0x0
	global_load_u16 v3, v[0:1], off
.LBB118_664:
	s_mov_b32 s27, 0
.LBB118_665:
	s_delay_alu instid0(SALU_CYCLE_1)
	s_and_not1_b32 vcc_lo, exec_lo, s27
	s_cbranch_vccnz .LBB118_671
; %bb.666:
	s_wait_loadcnt 0x0
	global_load_u8 v4, v[0:1], off
	s_mov_b32 s30, 0
	s_mov_b32 s27, exec_lo
	s_wait_loadcnt 0x0
	v_cmpx_lt_i16_e32 0x7f, v4
	s_xor_b32 s27, exec_lo, s27
	s_cbranch_execz .LBB118_683
; %bb.667:
	v_cmp_ne_u16_e32 vcc_lo, 0x80, v4
	s_and_b32 s30, vcc_lo, exec_lo
	s_and_not1_saveexec_b32 s27, s27
	s_cbranch_execnz .LBB118_684
.LBB118_668:
	s_or_b32 exec_lo, exec_lo, s27
	v_mov_b32_e32 v3, 0
	s_and_saveexec_b32 s27, s30
	s_cbranch_execz .LBB118_670
.LBB118_669:
	v_and_b32_e32 v3, 0xffff, v4
	s_delay_alu instid0(VALU_DEP_1) | instskip(SKIP_1) | instid1(VALU_DEP_2)
	v_and_b32_e32 v5, 7, v3
	v_bfe_u32 v9, v3, 3, 4
	v_clz_i32_u32_e32 v6, v5
	s_delay_alu instid0(VALU_DEP_2) | instskip(NEXT) | instid1(VALU_DEP_2)
	v_cmp_eq_u32_e32 vcc_lo, 0, v9
	v_min_u32_e32 v6, 32, v6
	s_delay_alu instid0(VALU_DEP_1) | instskip(NEXT) | instid1(VALU_DEP_1)
	v_subrev_nc_u32_e32 v7, 28, v6
	v_dual_lshlrev_b32 v3, v7, v3 :: v_dual_sub_nc_u32 v6, 29, v6
	s_delay_alu instid0(VALU_DEP_1) | instskip(NEXT) | instid1(VALU_DEP_2)
	v_dual_lshlrev_b32 v4, 24, v4 :: v_dual_bitop2_b32 v3, 7, v3 bitop3:0x40
	v_cndmask_b32_e32 v6, v9, v6, vcc_lo
	s_delay_alu instid0(VALU_DEP_2) | instskip(NEXT) | instid1(VALU_DEP_3)
	v_cndmask_b32_e32 v3, v5, v3, vcc_lo
	v_and_b32_e32 v4, 0x80000000, v4
	s_delay_alu instid0(VALU_DEP_3) | instskip(NEXT) | instid1(VALU_DEP_3)
	v_lshl_add_u32 v5, v6, 23, 0x3b800000
	v_lshlrev_b32_e32 v3, 20, v3
	s_delay_alu instid0(VALU_DEP_1) | instskip(NEXT) | instid1(VALU_DEP_1)
	v_or3_b32 v3, v4, v5, v3
	v_cvt_i32_f32_e32 v3, v3
.LBB118_670:
	s_or_b32 exec_lo, exec_lo, s27
.LBB118_671:
	s_mov_b32 s27, -1
.LBB118_672:
	s_mov_b32 s30, 0
.LBB118_673:
	s_delay_alu instid0(SALU_CYCLE_1)
	s_and_b32 vcc_lo, exec_lo, s30
	s_cbranch_vccz .LBB118_706
; %bb.674:
	s_cmp_gt_i32 s26, 22
	s_cbranch_scc0 .LBB118_682
; %bb.675:
	s_cmp_lt_i32 s26, 24
	s_cbranch_scc1 .LBB118_685
; %bb.676:
	s_cmp_gt_i32 s26, 24
	s_cbranch_scc0 .LBB118_686
; %bb.677:
	s_wait_loadcnt 0x0
	global_load_u8 v4, v[0:1], off
	s_mov_b32 s30, 0
	s_mov_b32 s27, exec_lo
	s_wait_loadcnt 0x0
	v_cmpx_lt_i16_e32 0x7f, v4
	s_xor_b32 s27, exec_lo, s27
	s_cbranch_execz .LBB118_698
; %bb.678:
	v_cmp_ne_u16_e32 vcc_lo, 0x80, v4
	s_and_b32 s30, vcc_lo, exec_lo
	s_and_not1_saveexec_b32 s27, s27
	s_cbranch_execnz .LBB118_699
.LBB118_679:
	s_or_b32 exec_lo, exec_lo, s27
	v_mov_b32_e32 v3, 0
	s_and_saveexec_b32 s27, s30
	s_cbranch_execz .LBB118_681
.LBB118_680:
	v_and_b32_e32 v3, 0xffff, v4
	s_delay_alu instid0(VALU_DEP_1) | instskip(SKIP_1) | instid1(VALU_DEP_2)
	v_and_b32_e32 v5, 3, v3
	v_bfe_u32 v9, v3, 2, 5
	v_clz_i32_u32_e32 v6, v5
	s_delay_alu instid0(VALU_DEP_2) | instskip(NEXT) | instid1(VALU_DEP_2)
	v_cmp_eq_u32_e32 vcc_lo, 0, v9
	v_min_u32_e32 v6, 32, v6
	s_delay_alu instid0(VALU_DEP_1) | instskip(NEXT) | instid1(VALU_DEP_1)
	v_subrev_nc_u32_e32 v7, 29, v6
	v_dual_lshlrev_b32 v3, v7, v3 :: v_dual_sub_nc_u32 v6, 30, v6
	s_delay_alu instid0(VALU_DEP_1) | instskip(NEXT) | instid1(VALU_DEP_2)
	v_dual_lshlrev_b32 v4, 24, v4 :: v_dual_bitop2_b32 v3, 3, v3 bitop3:0x40
	v_cndmask_b32_e32 v6, v9, v6, vcc_lo
	s_delay_alu instid0(VALU_DEP_2) | instskip(NEXT) | instid1(VALU_DEP_3)
	v_cndmask_b32_e32 v3, v5, v3, vcc_lo
	v_and_b32_e32 v4, 0x80000000, v4
	s_delay_alu instid0(VALU_DEP_3) | instskip(NEXT) | instid1(VALU_DEP_3)
	v_lshl_add_u32 v5, v6, 23, 0x37800000
	v_lshlrev_b32_e32 v3, 21, v3
	s_delay_alu instid0(VALU_DEP_1) | instskip(NEXT) | instid1(VALU_DEP_1)
	v_or3_b32 v3, v4, v5, v3
	v_cvt_i32_f32_e32 v3, v3
.LBB118_681:
	s_or_b32 exec_lo, exec_lo, s27
	s_mov_b32 s27, 0
	s_branch .LBB118_687
.LBB118_682:
	s_mov_b32 s30, -1
                                        ; implicit-def: $vgpr3
	s_branch .LBB118_693
.LBB118_683:
	s_and_not1_saveexec_b32 s27, s27
	s_cbranch_execz .LBB118_668
.LBB118_684:
	v_cmp_ne_u16_e32 vcc_lo, 0, v4
	s_and_not1_b32 s30, s30, exec_lo
	s_and_b32 s31, vcc_lo, exec_lo
	s_delay_alu instid0(SALU_CYCLE_1)
	s_or_b32 s30, s30, s31
	s_or_b32 exec_lo, exec_lo, s27
	v_mov_b32_e32 v3, 0
	s_and_saveexec_b32 s27, s30
	s_cbranch_execnz .LBB118_669
	s_branch .LBB118_670
.LBB118_685:
	s_mov_b32 s27, -1
                                        ; implicit-def: $vgpr3
	s_branch .LBB118_690
.LBB118_686:
	s_mov_b32 s27, -1
                                        ; implicit-def: $vgpr3
.LBB118_687:
	s_delay_alu instid0(SALU_CYCLE_1)
	s_and_b32 vcc_lo, exec_lo, s27
	s_cbranch_vccz .LBB118_689
; %bb.688:
	s_wait_loadcnt 0x0
	global_load_u8 v3, v[0:1], off
	s_wait_loadcnt 0x0
	v_lshlrev_b32_e32 v3, 24, v3
	s_delay_alu instid0(VALU_DEP_1) | instskip(NEXT) | instid1(VALU_DEP_1)
	v_and_b32_e32 v4, 0x7f000000, v3
	v_clz_i32_u32_e32 v5, v4
	v_cmp_ne_u32_e32 vcc_lo, 0, v4
	v_add_nc_u32_e32 v7, 0x1000000, v4
	s_delay_alu instid0(VALU_DEP_3) | instskip(NEXT) | instid1(VALU_DEP_1)
	v_min_u32_e32 v5, 32, v5
	v_sub_nc_u32_e64 v5, v5, 4 clamp
	s_delay_alu instid0(VALU_DEP_1) | instskip(NEXT) | instid1(VALU_DEP_1)
	v_dual_lshlrev_b32 v6, v5, v4 :: v_dual_lshlrev_b32 v5, 23, v5
	v_lshrrev_b32_e32 v6, 4, v6
	s_delay_alu instid0(VALU_DEP_1) | instskip(NEXT) | instid1(VALU_DEP_1)
	v_dual_sub_nc_u32 v5, v6, v5 :: v_dual_ashrrev_i32 v6, 8, v7
	v_add_nc_u32_e32 v5, 0x3c000000, v5
	s_delay_alu instid0(VALU_DEP_1) | instskip(NEXT) | instid1(VALU_DEP_1)
	v_and_or_b32 v5, 0x7f800000, v6, v5
	v_cndmask_b32_e32 v4, 0, v5, vcc_lo
	s_delay_alu instid0(VALU_DEP_1) | instskip(NEXT) | instid1(VALU_DEP_1)
	v_and_or_b32 v3, 0x80000000, v3, v4
	v_cvt_i32_f32_e32 v3, v3
.LBB118_689:
	s_mov_b32 s27, 0
.LBB118_690:
	s_delay_alu instid0(SALU_CYCLE_1)
	s_and_not1_b32 vcc_lo, exec_lo, s27
	s_cbranch_vccnz .LBB118_692
; %bb.691:
	s_wait_loadcnt 0x0
	global_load_u8 v3, v[0:1], off
	s_wait_loadcnt 0x0
	v_lshlrev_b32_e32 v4, 25, v3
	v_lshlrev_b16 v3, 8, v3
	s_delay_alu instid0(VALU_DEP_1) | instskip(SKIP_1) | instid1(VALU_DEP_2)
	v_and_or_b32 v6, 0x7f00, v3, 0.5
	v_bfe_i32 v3, v3, 0, 16
	v_dual_add_f32 v6, -0.5, v6 :: v_dual_lshrrev_b32 v5, 4, v4
	v_cmp_gt_u32_e32 vcc_lo, 0x8000000, v4
	s_delay_alu instid0(VALU_DEP_2) | instskip(NEXT) | instid1(VALU_DEP_1)
	v_or_b32_e32 v5, 0x70000000, v5
	v_mul_f32_e32 v5, 0x7800000, v5
	s_delay_alu instid0(VALU_DEP_1) | instskip(NEXT) | instid1(VALU_DEP_1)
	v_cndmask_b32_e32 v4, v5, v6, vcc_lo
	v_and_or_b32 v3, 0x80000000, v3, v4
	s_delay_alu instid0(VALU_DEP_1)
	v_cvt_i32_f32_e32 v3, v3
.LBB118_692:
	s_mov_b32 s30, 0
	s_mov_b32 s27, -1
.LBB118_693:
	s_and_not1_b32 vcc_lo, exec_lo, s30
	s_cbranch_vccnz .LBB118_706
; %bb.694:
	s_cmp_gt_i32 s26, 14
	s_cbranch_scc0 .LBB118_697
; %bb.695:
	s_cmp_eq_u32 s26, 15
	s_cbranch_scc0 .LBB118_700
; %bb.696:
	s_wait_loadcnt 0x0
	global_load_u16 v3, v[0:1], off
	s_mov_b32 s27, -1
	s_mov_b32 s28, 0
	s_wait_loadcnt 0x0
	v_lshlrev_b32_e32 v3, 16, v3
	s_delay_alu instid0(VALU_DEP_1)
	v_cvt_i32_f32_e32 v3, v3
	s_branch .LBB118_701
.LBB118_697:
	s_mov_b32 s30, -1
                                        ; implicit-def: $vgpr3
	s_branch .LBB118_702
.LBB118_698:
	s_and_not1_saveexec_b32 s27, s27
	s_cbranch_execz .LBB118_679
.LBB118_699:
	v_cmp_ne_u16_e32 vcc_lo, 0, v4
	s_and_not1_b32 s30, s30, exec_lo
	s_and_b32 s31, vcc_lo, exec_lo
	s_delay_alu instid0(SALU_CYCLE_1)
	s_or_b32 s30, s30, s31
	s_or_b32 exec_lo, exec_lo, s27
	v_mov_b32_e32 v3, 0
	s_and_saveexec_b32 s27, s30
	s_cbranch_execnz .LBB118_680
	s_branch .LBB118_681
.LBB118_700:
	s_mov_b32 s28, -1
                                        ; implicit-def: $vgpr3
.LBB118_701:
	s_mov_b32 s30, 0
.LBB118_702:
	s_delay_alu instid0(SALU_CYCLE_1)
	s_and_b32 vcc_lo, exec_lo, s30
	s_cbranch_vccz .LBB118_706
; %bb.703:
	s_cmp_eq_u32 s26, 11
	s_cbranch_scc0 .LBB118_705
; %bb.704:
	s_wait_loadcnt 0x0
	global_load_u8 v3, v[0:1], off
	s_mov_b32 s28, 0
	s_mov_b32 s27, -1
	s_wait_loadcnt 0x0
	v_cmp_ne_u16_e32 vcc_lo, 0, v3
	v_cndmask_b32_e64 v3, 0, 1, vcc_lo
	s_branch .LBB118_706
.LBB118_705:
	s_mov_b32 s28, -1
                                        ; implicit-def: $vgpr3
.LBB118_706:
	s_mov_b32 s26, 0
.LBB118_707:
	s_delay_alu instid0(SALU_CYCLE_1)
	s_and_b32 vcc_lo, exec_lo, s26
	s_cbranch_vccz .LBB118_756
; %bb.708:
	s_and_b32 s0, 0xffff, s0
	s_delay_alu instid0(SALU_CYCLE_1)
	s_cmp_lt_i32 s0, 5
	s_cbranch_scc1 .LBB118_713
; %bb.709:
	s_cmp_lt_i32 s0, 8
	s_cbranch_scc1 .LBB118_714
; %bb.710:
	;; [unrolled: 3-line block ×3, first 2 shown]
	s_cmp_gt_i32 s0, 9
	s_cbranch_scc0 .LBB118_716
; %bb.712:
	s_wait_loadcnt 0x0
	global_load_b64 v[4:5], v[0:1], off
	s_mov_b32 s26, 0
	s_wait_loadcnt 0x0
	v_cvt_i32_f64_e32 v3, v[4:5]
	s_branch .LBB118_717
.LBB118_713:
	s_mov_b32 s26, -1
                                        ; implicit-def: $vgpr3
	s_branch .LBB118_735
.LBB118_714:
	s_mov_b32 s26, -1
                                        ; implicit-def: $vgpr3
	s_branch .LBB118_723
.LBB118_715:
	s_mov_b32 s26, -1
                                        ; implicit-def: $vgpr3
	s_branch .LBB118_720
.LBB118_716:
	s_mov_b32 s26, -1
                                        ; implicit-def: $vgpr3
.LBB118_717:
	s_delay_alu instid0(SALU_CYCLE_1)
	s_and_not1_b32 vcc_lo, exec_lo, s26
	s_cbranch_vccnz .LBB118_719
; %bb.718:
	s_wait_loadcnt 0x0
	global_load_b32 v3, v[0:1], off
	s_wait_loadcnt 0x0
	v_cvt_i32_f32_e32 v3, v3
.LBB118_719:
	s_mov_b32 s26, 0
.LBB118_720:
	s_delay_alu instid0(SALU_CYCLE_1)
	s_and_not1_b32 vcc_lo, exec_lo, s26
	s_cbranch_vccnz .LBB118_722
; %bb.721:
	s_wait_loadcnt 0x0
	global_load_b32 v3, v[0:1], off
	s_wait_loadcnt 0x0
	v_cvt_f32_f16_e32 v3, v3
	s_delay_alu instid0(VALU_DEP_1)
	v_cvt_i32_f32_e32 v3, v3
.LBB118_722:
	s_mov_b32 s26, 0
.LBB118_723:
	s_delay_alu instid0(SALU_CYCLE_1)
	s_and_not1_b32 vcc_lo, exec_lo, s26
	s_cbranch_vccnz .LBB118_734
; %bb.724:
	s_cmp_lt_i32 s0, 6
	s_cbranch_scc1 .LBB118_727
; %bb.725:
	s_cmp_gt_i32 s0, 6
	s_cbranch_scc0 .LBB118_728
; %bb.726:
	s_wait_loadcnt 0x0
	global_load_b64 v[4:5], v[0:1], off
	s_mov_b32 s26, 0
	s_wait_loadcnt 0x0
	v_cvt_i32_f64_e32 v3, v[4:5]
	s_branch .LBB118_729
.LBB118_727:
	s_mov_b32 s26, -1
                                        ; implicit-def: $vgpr3
	s_branch .LBB118_732
.LBB118_728:
	s_mov_b32 s26, -1
                                        ; implicit-def: $vgpr3
.LBB118_729:
	s_delay_alu instid0(SALU_CYCLE_1)
	s_and_not1_b32 vcc_lo, exec_lo, s26
	s_cbranch_vccnz .LBB118_731
; %bb.730:
	s_wait_loadcnt 0x0
	global_load_b32 v3, v[0:1], off
	s_wait_loadcnt 0x0
	v_cvt_i32_f32_e32 v3, v3
.LBB118_731:
	s_mov_b32 s26, 0
.LBB118_732:
	s_delay_alu instid0(SALU_CYCLE_1)
	s_and_not1_b32 vcc_lo, exec_lo, s26
	s_cbranch_vccnz .LBB118_734
; %bb.733:
	s_wait_loadcnt 0x0
	global_load_u16 v3, v[0:1], off
	s_wait_loadcnt 0x0
	v_cvt_f32_f16_e32 v3, v3
	s_delay_alu instid0(VALU_DEP_1)
	v_cvt_i32_f32_e32 v3, v3
.LBB118_734:
	s_mov_b32 s26, 0
.LBB118_735:
	s_delay_alu instid0(SALU_CYCLE_1)
	s_and_not1_b32 vcc_lo, exec_lo, s26
	s_cbranch_vccnz .LBB118_755
; %bb.736:
	s_cmp_lt_i32 s0, 2
	s_cbranch_scc1 .LBB118_740
; %bb.737:
	s_cmp_lt_i32 s0, 3
	s_cbranch_scc1 .LBB118_741
; %bb.738:
	s_cmp_gt_i32 s0, 3
	s_cbranch_scc0 .LBB118_742
; %bb.739:
	s_wait_loadcnt 0x0
	global_load_b32 v3, v[0:1], off
	s_mov_b32 s26, 0
	s_branch .LBB118_743
.LBB118_740:
	s_mov_b32 s26, -1
                                        ; implicit-def: $vgpr3
	s_branch .LBB118_749
.LBB118_741:
	s_mov_b32 s26, -1
                                        ; implicit-def: $vgpr3
	s_branch .LBB118_746
.LBB118_742:
	s_mov_b32 s26, -1
                                        ; implicit-def: $vgpr3
.LBB118_743:
	s_delay_alu instid0(SALU_CYCLE_1)
	s_and_not1_b32 vcc_lo, exec_lo, s26
	s_cbranch_vccnz .LBB118_745
; %bb.744:
	s_wait_loadcnt 0x0
	global_load_b32 v3, v[0:1], off
.LBB118_745:
	s_mov_b32 s26, 0
.LBB118_746:
	s_delay_alu instid0(SALU_CYCLE_1)
	s_and_not1_b32 vcc_lo, exec_lo, s26
	s_cbranch_vccnz .LBB118_748
; %bb.747:
	s_wait_loadcnt 0x0
	global_load_i16 v3, v[0:1], off
.LBB118_748:
	s_mov_b32 s26, 0
.LBB118_749:
	s_delay_alu instid0(SALU_CYCLE_1)
	s_and_not1_b32 vcc_lo, exec_lo, s26
	s_cbranch_vccnz .LBB118_755
; %bb.750:
	s_cmp_gt_i32 s0, 0
	s_mov_b32 s0, 0
	s_cbranch_scc0 .LBB118_752
; %bb.751:
	s_wait_loadcnt 0x0
	global_load_i8 v3, v[0:1], off
	s_branch .LBB118_753
.LBB118_752:
	s_mov_b32 s0, -1
                                        ; implicit-def: $vgpr3
.LBB118_753:
	s_delay_alu instid0(SALU_CYCLE_1)
	s_and_not1_b32 vcc_lo, exec_lo, s0
	s_cbranch_vccnz .LBB118_755
; %bb.754:
	s_wait_loadcnt 0x0
	global_load_u8 v3, v[0:1], off
.LBB118_755:
	s_mov_b32 s27, -1
.LBB118_756:
	s_delay_alu instid0(SALU_CYCLE_1)
	s_and_not1_b32 vcc_lo, exec_lo, s27
	s_cbranch_vccnz .LBB118_764
; %bb.757:
	s_wait_xcnt 0x0
	v_mul_lo_u32 v0, v8, s15
	s_and_b32 s0, 0xffff, s1
	s_delay_alu instid0(SALU_CYCLE_1) | instskip(NEXT) | instid1(VALU_DEP_1)
	s_cmp_lt_i32 s0, 11
	v_ashrrev_i32_e32 v1, 31, v0
	s_delay_alu instid0(VALU_DEP_1)
	v_add_nc_u64_e32 v[0:1], s[10:11], v[0:1]
	s_cbranch_scc1 .LBB118_765
; %bb.758:
	s_cmp_gt_i32 s0, 25
	s_cbranch_scc0 .LBB118_766
; %bb.759:
	s_cmp_gt_i32 s0, 28
	s_cbranch_scc0 .LBB118_767
	;; [unrolled: 3-line block ×4, first 2 shown]
; %bb.762:
	s_cmp_eq_u32 s0, 46
	s_mov_b32 s30, 0
	s_cbranch_scc0 .LBB118_772
; %bb.763:
	s_wait_loadcnt 0x0
	global_load_b32 v4, v[0:1], off
	s_mov_b32 s27, -1
	s_mov_b32 s26, 0
	s_wait_loadcnt 0x0
	v_lshlrev_b32_e32 v4, 16, v4
	s_delay_alu instid0(VALU_DEP_1)
	v_cvt_i32_f32_e32 v4, v4
	s_branch .LBB118_774
.LBB118_764:
	s_mov_b32 s30, 0
	s_mov_b32 s0, s19
	;; [unrolled: 1-line block ×3, first 2 shown]
	s_branch .LBB118_1009
.LBB118_765:
	s_mov_b32 s30, -1
	s_mov_b32 s27, 0
	s_mov_b32 s26, s21
                                        ; implicit-def: $vgpr4
	s_branch .LBB118_835
.LBB118_766:
	s_mov_b32 s30, -1
	s_mov_b32 s27, 0
	s_mov_b32 s26, s21
                                        ; implicit-def: $vgpr4
	s_branch .LBB118_801
.LBB118_767:
	s_mov_b32 s30, -1
	s_mov_b32 s27, 0
	s_mov_b32 s26, s21
                                        ; implicit-def: $vgpr4
	s_branch .LBB118_784
.LBB118_768:
	s_mov_b32 s30, -1
	s_mov_b32 s27, 0
	s_mov_b32 s26, s21
                                        ; implicit-def: $vgpr4
	s_branch .LBB118_779
.LBB118_769:
	s_mov_b32 s30, -1
	s_mov_b32 s27, 0
	s_mov_b32 s26, s21
	s_branch .LBB118_773
.LBB118_770:
	s_and_not1_saveexec_b32 s29, s29
	s_cbranch_execz .LBB118_422
.LBB118_771:
	v_add_f32_e64 v4, 0x42800000, |v3|
	s_and_not1_b32 s28, s28, exec_lo
	s_delay_alu instid0(VALU_DEP_1) | instskip(NEXT) | instid1(VALU_DEP_1)
	v_and_b32_e32 v4, 0xff, v4
	v_cmp_ne_u32_e32 vcc_lo, 0, v4
	s_and_b32 s30, vcc_lo, exec_lo
	s_delay_alu instid0(SALU_CYCLE_1)
	s_or_b32 s28, s28, s30
	s_or_b32 exec_lo, exec_lo, s29
	v_mov_b32_e32 v5, 0
	s_and_saveexec_b32 s29, s28
	s_cbranch_execnz .LBB118_423
	s_branch .LBB118_424
.LBB118_772:
	s_mov_b32 s26, -1
	s_mov_b32 s27, 0
.LBB118_773:
                                        ; implicit-def: $vgpr4
.LBB118_774:
	s_and_b32 vcc_lo, exec_lo, s30
	s_cbranch_vccz .LBB118_778
; %bb.775:
	s_cmp_eq_u32 s0, 44
	s_cbranch_scc0 .LBB118_777
; %bb.776:
	s_wait_loadcnt 0x0
	global_load_u8 v4, v[0:1], off
	s_mov_b32 s26, 0
	s_mov_b32 s27, -1
	s_wait_loadcnt 0x0
	v_lshlrev_b32_e32 v5, 23, v4
	v_cmp_ne_u32_e32 vcc_lo, 0, v4
	s_delay_alu instid0(VALU_DEP_2) | instskip(NEXT) | instid1(VALU_DEP_1)
	v_cvt_i32_f32_e32 v5, v5
	v_cndmask_b32_e32 v4, 0, v5, vcc_lo
	s_branch .LBB118_778
.LBB118_777:
	s_mov_b32 s26, -1
                                        ; implicit-def: $vgpr4
.LBB118_778:
	s_mov_b32 s30, 0
.LBB118_779:
	s_delay_alu instid0(SALU_CYCLE_1)
	s_and_b32 vcc_lo, exec_lo, s30
	s_cbranch_vccz .LBB118_783
; %bb.780:
	s_cmp_eq_u32 s0, 29
	s_cbranch_scc0 .LBB118_782
; %bb.781:
	s_wait_loadcnt 0x0
	global_load_b32 v4, v[0:1], off
	s_mov_b32 s27, -1
	s_mov_b32 s26, 0
	s_branch .LBB118_783
.LBB118_782:
	s_mov_b32 s26, -1
                                        ; implicit-def: $vgpr4
.LBB118_783:
	s_mov_b32 s30, 0
.LBB118_784:
	s_delay_alu instid0(SALU_CYCLE_1)
	s_and_b32 vcc_lo, exec_lo, s30
	s_cbranch_vccz .LBB118_800
; %bb.785:
	s_cmp_lt_i32 s0, 27
	s_cbranch_scc1 .LBB118_788
; %bb.786:
	s_cmp_gt_i32 s0, 27
	s_cbranch_scc0 .LBB118_789
; %bb.787:
	s_wait_loadcnt 0x0
	global_load_b32 v4, v[0:1], off
	s_mov_b32 s27, 0
	s_branch .LBB118_790
.LBB118_788:
	s_mov_b32 s27, -1
                                        ; implicit-def: $vgpr4
	s_branch .LBB118_793
.LBB118_789:
	s_mov_b32 s27, -1
                                        ; implicit-def: $vgpr4
.LBB118_790:
	s_delay_alu instid0(SALU_CYCLE_1)
	s_and_not1_b32 vcc_lo, exec_lo, s27
	s_cbranch_vccnz .LBB118_792
; %bb.791:
	s_wait_loadcnt 0x0
	global_load_u16 v4, v[0:1], off
.LBB118_792:
	s_mov_b32 s27, 0
.LBB118_793:
	s_delay_alu instid0(SALU_CYCLE_1)
	s_and_not1_b32 vcc_lo, exec_lo, s27
	s_cbranch_vccnz .LBB118_799
; %bb.794:
	global_load_u8 v5, v[0:1], off
	s_mov_b32 s30, 0
	s_mov_b32 s27, exec_lo
	s_wait_loadcnt 0x0
	v_cmpx_lt_i16_e32 0x7f, v5
	s_xor_b32 s27, exec_lo, s27
	s_cbranch_execz .LBB118_811
; %bb.795:
	v_cmp_ne_u16_e32 vcc_lo, 0x80, v5
	s_and_b32 s30, vcc_lo, exec_lo
	s_and_not1_saveexec_b32 s27, s27
	s_cbranch_execnz .LBB118_812
.LBB118_796:
	s_or_b32 exec_lo, exec_lo, s27
	v_mov_b32_e32 v4, 0
	s_and_saveexec_b32 s27, s30
	s_cbranch_execz .LBB118_798
.LBB118_797:
	v_and_b32_e32 v4, 0xffff, v5
	s_delay_alu instid0(VALU_DEP_1) | instskip(SKIP_1) | instid1(VALU_DEP_2)
	v_and_b32_e32 v6, 7, v4
	v_bfe_u32 v10, v4, 3, 4
	v_clz_i32_u32_e32 v7, v6
	s_delay_alu instid0(VALU_DEP_2) | instskip(NEXT) | instid1(VALU_DEP_2)
	v_cmp_eq_u32_e32 vcc_lo, 0, v10
	v_min_u32_e32 v7, 32, v7
	s_delay_alu instid0(VALU_DEP_1) | instskip(NEXT) | instid1(VALU_DEP_1)
	v_subrev_nc_u32_e32 v9, 28, v7
	v_dual_lshlrev_b32 v4, v9, v4 :: v_dual_sub_nc_u32 v7, 29, v7
	s_delay_alu instid0(VALU_DEP_1) | instskip(NEXT) | instid1(VALU_DEP_2)
	v_dual_lshlrev_b32 v5, 24, v5 :: v_dual_bitop2_b32 v4, 7, v4 bitop3:0x40
	v_cndmask_b32_e32 v7, v10, v7, vcc_lo
	s_delay_alu instid0(VALU_DEP_2) | instskip(NEXT) | instid1(VALU_DEP_3)
	v_cndmask_b32_e32 v4, v6, v4, vcc_lo
	v_and_b32_e32 v5, 0x80000000, v5
	s_delay_alu instid0(VALU_DEP_3) | instskip(NEXT) | instid1(VALU_DEP_3)
	v_lshl_add_u32 v6, v7, 23, 0x3b800000
	v_lshlrev_b32_e32 v4, 20, v4
	s_delay_alu instid0(VALU_DEP_1) | instskip(NEXT) | instid1(VALU_DEP_1)
	v_or3_b32 v4, v5, v6, v4
	v_cvt_i32_f32_e32 v4, v4
.LBB118_798:
	s_or_b32 exec_lo, exec_lo, s27
.LBB118_799:
	s_mov_b32 s27, -1
.LBB118_800:
	s_mov_b32 s30, 0
.LBB118_801:
	s_delay_alu instid0(SALU_CYCLE_1)
	s_and_b32 vcc_lo, exec_lo, s30
	s_cbranch_vccz .LBB118_834
; %bb.802:
	s_cmp_gt_i32 s0, 22
	s_cbranch_scc0 .LBB118_810
; %bb.803:
	s_cmp_lt_i32 s0, 24
	s_cbranch_scc1 .LBB118_813
; %bb.804:
	s_cmp_gt_i32 s0, 24
	s_cbranch_scc0 .LBB118_814
; %bb.805:
	global_load_u8 v5, v[0:1], off
	s_mov_b32 s30, 0
	s_mov_b32 s27, exec_lo
	s_wait_loadcnt 0x0
	v_cmpx_lt_i16_e32 0x7f, v5
	s_xor_b32 s27, exec_lo, s27
	s_cbranch_execz .LBB118_826
; %bb.806:
	v_cmp_ne_u16_e32 vcc_lo, 0x80, v5
	s_and_b32 s30, vcc_lo, exec_lo
	s_and_not1_saveexec_b32 s27, s27
	s_cbranch_execnz .LBB118_827
.LBB118_807:
	s_or_b32 exec_lo, exec_lo, s27
	v_mov_b32_e32 v4, 0
	s_and_saveexec_b32 s27, s30
	s_cbranch_execz .LBB118_809
.LBB118_808:
	v_and_b32_e32 v4, 0xffff, v5
	s_delay_alu instid0(VALU_DEP_1) | instskip(SKIP_1) | instid1(VALU_DEP_2)
	v_and_b32_e32 v6, 3, v4
	v_bfe_u32 v10, v4, 2, 5
	v_clz_i32_u32_e32 v7, v6
	s_delay_alu instid0(VALU_DEP_2) | instskip(NEXT) | instid1(VALU_DEP_2)
	v_cmp_eq_u32_e32 vcc_lo, 0, v10
	v_min_u32_e32 v7, 32, v7
	s_delay_alu instid0(VALU_DEP_1) | instskip(NEXT) | instid1(VALU_DEP_1)
	v_subrev_nc_u32_e32 v9, 29, v7
	v_dual_lshlrev_b32 v4, v9, v4 :: v_dual_sub_nc_u32 v7, 30, v7
	s_delay_alu instid0(VALU_DEP_1) | instskip(NEXT) | instid1(VALU_DEP_2)
	v_dual_lshlrev_b32 v5, 24, v5 :: v_dual_bitop2_b32 v4, 3, v4 bitop3:0x40
	v_cndmask_b32_e32 v7, v10, v7, vcc_lo
	s_delay_alu instid0(VALU_DEP_2) | instskip(NEXT) | instid1(VALU_DEP_3)
	v_cndmask_b32_e32 v4, v6, v4, vcc_lo
	v_and_b32_e32 v5, 0x80000000, v5
	s_delay_alu instid0(VALU_DEP_3) | instskip(NEXT) | instid1(VALU_DEP_3)
	v_lshl_add_u32 v6, v7, 23, 0x37800000
	v_lshlrev_b32_e32 v4, 21, v4
	s_delay_alu instid0(VALU_DEP_1) | instskip(NEXT) | instid1(VALU_DEP_1)
	v_or3_b32 v4, v5, v6, v4
	v_cvt_i32_f32_e32 v4, v4
.LBB118_809:
	s_or_b32 exec_lo, exec_lo, s27
	s_mov_b32 s27, 0
	s_branch .LBB118_815
.LBB118_810:
	s_mov_b32 s30, -1
                                        ; implicit-def: $vgpr4
	s_branch .LBB118_821
.LBB118_811:
	s_and_not1_saveexec_b32 s27, s27
	s_cbranch_execz .LBB118_796
.LBB118_812:
	v_cmp_ne_u16_e32 vcc_lo, 0, v5
	s_and_not1_b32 s30, s30, exec_lo
	s_and_b32 s31, vcc_lo, exec_lo
	s_delay_alu instid0(SALU_CYCLE_1)
	s_or_b32 s30, s30, s31
	s_or_b32 exec_lo, exec_lo, s27
	v_mov_b32_e32 v4, 0
	s_and_saveexec_b32 s27, s30
	s_cbranch_execnz .LBB118_797
	s_branch .LBB118_798
.LBB118_813:
	s_mov_b32 s27, -1
                                        ; implicit-def: $vgpr4
	s_branch .LBB118_818
.LBB118_814:
	s_mov_b32 s27, -1
                                        ; implicit-def: $vgpr4
.LBB118_815:
	s_delay_alu instid0(SALU_CYCLE_1)
	s_and_b32 vcc_lo, exec_lo, s27
	s_cbranch_vccz .LBB118_817
; %bb.816:
	s_wait_loadcnt 0x0
	global_load_u8 v4, v[0:1], off
	s_wait_loadcnt 0x0
	v_lshlrev_b32_e32 v4, 24, v4
	s_delay_alu instid0(VALU_DEP_1) | instskip(NEXT) | instid1(VALU_DEP_1)
	v_and_b32_e32 v5, 0x7f000000, v4
	v_clz_i32_u32_e32 v6, v5
	v_add_nc_u32_e32 v9, 0x1000000, v5
	v_cmp_ne_u32_e32 vcc_lo, 0, v5
	s_delay_alu instid0(VALU_DEP_3) | instskip(NEXT) | instid1(VALU_DEP_1)
	v_min_u32_e32 v6, 32, v6
	v_sub_nc_u32_e64 v6, v6, 4 clamp
	s_delay_alu instid0(VALU_DEP_1) | instskip(NEXT) | instid1(VALU_DEP_1)
	v_dual_lshlrev_b32 v7, v6, v5 :: v_dual_lshlrev_b32 v6, 23, v6
	v_lshrrev_b32_e32 v7, 4, v7
	s_delay_alu instid0(VALU_DEP_1) | instskip(NEXT) | instid1(VALU_DEP_1)
	v_dual_sub_nc_u32 v6, v7, v6 :: v_dual_ashrrev_i32 v7, 8, v9
	v_add_nc_u32_e32 v6, 0x3c000000, v6
	s_delay_alu instid0(VALU_DEP_1) | instskip(NEXT) | instid1(VALU_DEP_1)
	v_and_or_b32 v6, 0x7f800000, v7, v6
	v_cndmask_b32_e32 v5, 0, v6, vcc_lo
	s_delay_alu instid0(VALU_DEP_1) | instskip(NEXT) | instid1(VALU_DEP_1)
	v_and_or_b32 v4, 0x80000000, v4, v5
	v_cvt_i32_f32_e32 v4, v4
.LBB118_817:
	s_mov_b32 s27, 0
.LBB118_818:
	s_delay_alu instid0(SALU_CYCLE_1)
	s_and_not1_b32 vcc_lo, exec_lo, s27
	s_cbranch_vccnz .LBB118_820
; %bb.819:
	s_wait_loadcnt 0x0
	global_load_u8 v4, v[0:1], off
	s_wait_loadcnt 0x0
	v_lshlrev_b32_e32 v5, 25, v4
	v_lshlrev_b16 v4, 8, v4
	s_delay_alu instid0(VALU_DEP_1) | instskip(SKIP_1) | instid1(VALU_DEP_2)
	v_and_or_b32 v7, 0x7f00, v4, 0.5
	v_bfe_i32 v4, v4, 0, 16
	v_dual_add_f32 v7, -0.5, v7 :: v_dual_lshrrev_b32 v6, 4, v5
	v_cmp_gt_u32_e32 vcc_lo, 0x8000000, v5
	s_delay_alu instid0(VALU_DEP_2) | instskip(NEXT) | instid1(VALU_DEP_1)
	v_or_b32_e32 v6, 0x70000000, v6
	v_mul_f32_e32 v6, 0x7800000, v6
	s_delay_alu instid0(VALU_DEP_1) | instskip(NEXT) | instid1(VALU_DEP_1)
	v_cndmask_b32_e32 v5, v6, v7, vcc_lo
	v_and_or_b32 v4, 0x80000000, v4, v5
	s_delay_alu instid0(VALU_DEP_1)
	v_cvt_i32_f32_e32 v4, v4
.LBB118_820:
	s_mov_b32 s30, 0
	s_mov_b32 s27, -1
.LBB118_821:
	s_and_not1_b32 vcc_lo, exec_lo, s30
	s_cbranch_vccnz .LBB118_834
; %bb.822:
	s_cmp_gt_i32 s0, 14
	s_cbranch_scc0 .LBB118_825
; %bb.823:
	s_cmp_eq_u32 s0, 15
	s_cbranch_scc0 .LBB118_828
; %bb.824:
	s_wait_loadcnt 0x0
	global_load_u16 v4, v[0:1], off
	s_mov_b32 s27, -1
	s_mov_b32 s26, 0
	s_wait_loadcnt 0x0
	v_lshlrev_b32_e32 v4, 16, v4
	s_delay_alu instid0(VALU_DEP_1)
	v_cvt_i32_f32_e32 v4, v4
	s_branch .LBB118_829
.LBB118_825:
	s_mov_b32 s30, -1
                                        ; implicit-def: $vgpr4
	s_branch .LBB118_830
.LBB118_826:
	s_and_not1_saveexec_b32 s27, s27
	s_cbranch_execz .LBB118_807
.LBB118_827:
	v_cmp_ne_u16_e32 vcc_lo, 0, v5
	s_and_not1_b32 s30, s30, exec_lo
	s_and_b32 s31, vcc_lo, exec_lo
	s_delay_alu instid0(SALU_CYCLE_1)
	s_or_b32 s30, s30, s31
	s_or_b32 exec_lo, exec_lo, s27
	v_mov_b32_e32 v4, 0
	s_and_saveexec_b32 s27, s30
	s_cbranch_execnz .LBB118_808
	s_branch .LBB118_809
.LBB118_828:
	s_mov_b32 s26, -1
                                        ; implicit-def: $vgpr4
.LBB118_829:
	s_mov_b32 s30, 0
.LBB118_830:
	s_delay_alu instid0(SALU_CYCLE_1)
	s_and_b32 vcc_lo, exec_lo, s30
	s_cbranch_vccz .LBB118_834
; %bb.831:
	s_cmp_eq_u32 s0, 11
	s_cbranch_scc0 .LBB118_833
; %bb.832:
	s_wait_loadcnt 0x0
	global_load_u8 v4, v[0:1], off
	s_mov_b32 s26, 0
	s_mov_b32 s27, -1
	s_wait_loadcnt 0x0
	v_cmp_ne_u16_e32 vcc_lo, 0, v4
	v_cndmask_b32_e64 v4, 0, 1, vcc_lo
	s_branch .LBB118_834
.LBB118_833:
	s_mov_b32 s26, -1
                                        ; implicit-def: $vgpr4
.LBB118_834:
	s_mov_b32 s30, 0
.LBB118_835:
	s_delay_alu instid0(SALU_CYCLE_1)
	s_and_b32 vcc_lo, exec_lo, s30
	s_cbranch_vccz .LBB118_884
; %bb.836:
	s_cmp_lt_i32 s0, 5
	s_cbranch_scc1 .LBB118_841
; %bb.837:
	s_cmp_lt_i32 s0, 8
	s_cbranch_scc1 .LBB118_842
	;; [unrolled: 3-line block ×3, first 2 shown]
; %bb.839:
	s_cmp_gt_i32 s0, 9
	s_cbranch_scc0 .LBB118_844
; %bb.840:
	s_wait_loadcnt 0x0
	global_load_b64 v[4:5], v[0:1], off
	s_mov_b32 s27, 0
	s_wait_loadcnt 0x0
	v_cvt_i32_f64_e32 v4, v[4:5]
	s_branch .LBB118_845
.LBB118_841:
	s_mov_b32 s27, -1
                                        ; implicit-def: $vgpr4
	s_branch .LBB118_863
.LBB118_842:
	s_mov_b32 s27, -1
                                        ; implicit-def: $vgpr4
	s_branch .LBB118_851
.LBB118_843:
	s_mov_b32 s27, -1
                                        ; implicit-def: $vgpr4
	s_branch .LBB118_848
.LBB118_844:
	s_mov_b32 s27, -1
                                        ; implicit-def: $vgpr4
.LBB118_845:
	s_delay_alu instid0(SALU_CYCLE_1)
	s_and_not1_b32 vcc_lo, exec_lo, s27
	s_cbranch_vccnz .LBB118_847
; %bb.846:
	s_wait_loadcnt 0x0
	global_load_b32 v4, v[0:1], off
	s_wait_loadcnt 0x0
	v_cvt_i32_f32_e32 v4, v4
.LBB118_847:
	s_mov_b32 s27, 0
.LBB118_848:
	s_delay_alu instid0(SALU_CYCLE_1)
	s_and_not1_b32 vcc_lo, exec_lo, s27
	s_cbranch_vccnz .LBB118_850
; %bb.849:
	s_wait_loadcnt 0x0
	global_load_b32 v4, v[0:1], off
	s_wait_loadcnt 0x0
	v_cvt_f32_f16_e32 v4, v4
	s_delay_alu instid0(VALU_DEP_1)
	v_cvt_i32_f32_e32 v4, v4
.LBB118_850:
	s_mov_b32 s27, 0
.LBB118_851:
	s_delay_alu instid0(SALU_CYCLE_1)
	s_and_not1_b32 vcc_lo, exec_lo, s27
	s_cbranch_vccnz .LBB118_862
; %bb.852:
	s_cmp_lt_i32 s0, 6
	s_cbranch_scc1 .LBB118_855
; %bb.853:
	s_cmp_gt_i32 s0, 6
	s_cbranch_scc0 .LBB118_856
; %bb.854:
	s_wait_loadcnt 0x0
	global_load_b64 v[4:5], v[0:1], off
	s_mov_b32 s27, 0
	s_wait_loadcnt 0x0
	v_cvt_i32_f64_e32 v4, v[4:5]
	s_branch .LBB118_857
.LBB118_855:
	s_mov_b32 s27, -1
                                        ; implicit-def: $vgpr4
	s_branch .LBB118_860
.LBB118_856:
	s_mov_b32 s27, -1
                                        ; implicit-def: $vgpr4
.LBB118_857:
	s_delay_alu instid0(SALU_CYCLE_1)
	s_and_not1_b32 vcc_lo, exec_lo, s27
	s_cbranch_vccnz .LBB118_859
; %bb.858:
	s_wait_loadcnt 0x0
	global_load_b32 v4, v[0:1], off
	s_wait_loadcnt 0x0
	v_cvt_i32_f32_e32 v4, v4
.LBB118_859:
	s_mov_b32 s27, 0
.LBB118_860:
	s_delay_alu instid0(SALU_CYCLE_1)
	s_and_not1_b32 vcc_lo, exec_lo, s27
	s_cbranch_vccnz .LBB118_862
; %bb.861:
	s_wait_loadcnt 0x0
	global_load_u16 v4, v[0:1], off
	s_wait_loadcnt 0x0
	v_cvt_f32_f16_e32 v4, v4
	s_delay_alu instid0(VALU_DEP_1)
	v_cvt_i32_f32_e32 v4, v4
.LBB118_862:
	s_mov_b32 s27, 0
.LBB118_863:
	s_delay_alu instid0(SALU_CYCLE_1)
	s_and_not1_b32 vcc_lo, exec_lo, s27
	s_cbranch_vccnz .LBB118_883
; %bb.864:
	s_cmp_lt_i32 s0, 2
	s_cbranch_scc1 .LBB118_868
; %bb.865:
	s_cmp_lt_i32 s0, 3
	s_cbranch_scc1 .LBB118_869
; %bb.866:
	s_cmp_gt_i32 s0, 3
	s_cbranch_scc0 .LBB118_870
; %bb.867:
	s_wait_loadcnt 0x0
	global_load_b32 v4, v[0:1], off
	s_mov_b32 s27, 0
	s_branch .LBB118_871
.LBB118_868:
	s_mov_b32 s27, -1
                                        ; implicit-def: $vgpr4
	s_branch .LBB118_877
.LBB118_869:
	s_mov_b32 s27, -1
                                        ; implicit-def: $vgpr4
	s_branch .LBB118_874
.LBB118_870:
	s_mov_b32 s27, -1
                                        ; implicit-def: $vgpr4
.LBB118_871:
	s_delay_alu instid0(SALU_CYCLE_1)
	s_and_not1_b32 vcc_lo, exec_lo, s27
	s_cbranch_vccnz .LBB118_873
; %bb.872:
	s_wait_loadcnt 0x0
	global_load_b32 v4, v[0:1], off
.LBB118_873:
	s_mov_b32 s27, 0
.LBB118_874:
	s_delay_alu instid0(SALU_CYCLE_1)
	s_and_not1_b32 vcc_lo, exec_lo, s27
	s_cbranch_vccnz .LBB118_876
; %bb.875:
	s_wait_loadcnt 0x0
	global_load_i16 v4, v[0:1], off
.LBB118_876:
	s_mov_b32 s27, 0
.LBB118_877:
	s_delay_alu instid0(SALU_CYCLE_1)
	s_and_not1_b32 vcc_lo, exec_lo, s27
	s_cbranch_vccnz .LBB118_883
; %bb.878:
	s_cmp_gt_i32 s0, 0
	s_mov_b32 s0, 0
	s_cbranch_scc0 .LBB118_880
; %bb.879:
	s_wait_loadcnt 0x0
	global_load_i8 v4, v[0:1], off
	s_branch .LBB118_881
.LBB118_880:
	s_mov_b32 s0, -1
                                        ; implicit-def: $vgpr4
.LBB118_881:
	s_delay_alu instid0(SALU_CYCLE_1)
	s_and_not1_b32 vcc_lo, exec_lo, s0
	s_cbranch_vccnz .LBB118_883
; %bb.882:
	s_wait_loadcnt 0x0
	global_load_u8 v4, v[0:1], off
.LBB118_883:
	s_mov_b32 s27, -1
.LBB118_884:
	s_delay_alu instid0(SALU_CYCLE_1)
	s_and_not1_b32 vcc_lo, exec_lo, s27
	s_cbranch_vccnz .LBB118_892
; %bb.885:
	s_wait_xcnt 0x0
	v_mul_lo_u32 v0, v8, s12
	s_wait_loadcnt 0x0
	s_delay_alu instid0(VALU_DEP_2) | instskip(SKIP_1) | instid1(SALU_CYCLE_1)
	v_maxmin_i32 v2, v2, v3, v4
	s_and_b32 s27, s2, 0xff
	s_cmp_lt_i32 s27, 11
	s_delay_alu instid0(VALU_DEP_2) | instskip(NEXT) | instid1(VALU_DEP_1)
	v_ashrrev_i32_e32 v1, 31, v0
	v_add_nc_u64_e32 v[0:1], s[4:5], v[0:1]
	s_cbranch_scc1 .LBB118_893
; %bb.886:
	s_and_b32 s30, 0xffff, s27
	s_delay_alu instid0(SALU_CYCLE_1)
	s_cmp_gt_i32 s30, 25
	s_cbranch_scc0 .LBB118_894
; %bb.887:
	s_cmp_gt_i32 s30, 28
	s_cbranch_scc0 .LBB118_895
; %bb.888:
	s_cmp_gt_i32 s30, 43
	s_cbranch_scc0 .LBB118_896
; %bb.889:
	s_cmp_gt_i32 s30, 45
	s_cbranch_scc0 .LBB118_897
; %bb.890:
	s_mov_b32 s33, 0
	s_mov_b32 s0, -1
	s_cmp_eq_u32 s30, 46
	s_mov_b32 s31, 0
	s_cbranch_scc0 .LBB118_898
; %bb.891:
	v_cvt_f32_i32_e32 v3, v2
	s_mov_b32 s31, -1
	s_mov_b32 s0, 0
	s_delay_alu instid0(VALU_DEP_1) | instskip(NEXT) | instid1(VALU_DEP_1)
	v_bfe_u32 v4, v3, 16, 1
	v_add3_u32 v3, v3, v4, 0x7fff
	s_delay_alu instid0(VALU_DEP_1)
	v_lshrrev_b32_e32 v3, 16, v3
	global_store_b32 v[0:1], v3, off
	s_branch .LBB118_898
.LBB118_892:
	s_mov_b32 s30, 0
	s_mov_b32 s0, s19
	s_branch .LBB118_1009
.LBB118_893:
	s_mov_b32 s30, -1
	s_mov_b32 s31, 0
	s_mov_b32 s0, s19
	s_branch .LBB118_967
.LBB118_894:
	s_mov_b32 s33, -1
	s_mov_b32 s31, 0
	s_mov_b32 s0, s19
	s_branch .LBB118_925
.LBB118_895:
	s_mov_b32 s33, -1
	s_mov_b32 s31, 0
	s_mov_b32 s0, s19
	s_branch .LBB118_908
.LBB118_896:
	s_mov_b32 s33, -1
	s_mov_b32 s31, 0
	s_mov_b32 s0, s19
	s_branch .LBB118_904
.LBB118_897:
	s_mov_b32 s33, -1
	s_mov_b32 s31, 0
	s_mov_b32 s0, s19
.LBB118_898:
	s_and_b32 vcc_lo, exec_lo, s33
	s_cbranch_vccz .LBB118_903
; %bb.899:
	s_cmp_eq_u32 s30, 44
	s_mov_b32 s0, -1
	s_cbranch_scc0 .LBB118_903
; %bb.900:
	s_wait_xcnt 0x0
	v_cvt_f32_i32_e32 v3, v2
	v_mov_b32_e32 v4, 0xff
	s_mov_b32 s31, exec_lo
	s_delay_alu instid0(VALU_DEP_2) | instskip(NEXT) | instid1(VALU_DEP_1)
	v_bfe_u32 v5, v3, 23, 8
	v_cmpx_ne_u32_e32 0xff, v5
	s_cbranch_execz .LBB118_902
; %bb.901:
	v_and_b32_e32 v4, 0x400000, v3
	v_and_or_b32 v5, 0x3fffff, v3, v5
	v_lshrrev_b32_e32 v3, 23, v3
	s_delay_alu instid0(VALU_DEP_3) | instskip(NEXT) | instid1(VALU_DEP_3)
	v_cmp_ne_u32_e32 vcc_lo, 0, v4
	v_cmp_ne_u32_e64 s0, 0, v5
	s_and_b32 s0, vcc_lo, s0
	s_delay_alu instid0(SALU_CYCLE_1) | instskip(NEXT) | instid1(VALU_DEP_1)
	v_cndmask_b32_e64 v4, 0, 1, s0
	v_add_nc_u32_e32 v4, v3, v4
.LBB118_902:
	s_or_b32 exec_lo, exec_lo, s31
	s_mov_b32 s31, -1
	s_mov_b32 s0, 0
	global_store_b8 v[0:1], v4, off
.LBB118_903:
	s_mov_b32 s33, 0
.LBB118_904:
	s_delay_alu instid0(SALU_CYCLE_1)
	s_and_b32 vcc_lo, exec_lo, s33
	s_cbranch_vccz .LBB118_907
; %bb.905:
	s_cmp_eq_u32 s30, 29
	s_mov_b32 s0, -1
	s_cbranch_scc0 .LBB118_907
; %bb.906:
	s_wait_xcnt 0x0
	v_ashrrev_i32_e32 v3, 31, v2
	s_mov_b32 s31, -1
	s_mov_b32 s0, 0
	s_mov_b32 s33, 0
	global_store_b64 v[0:1], v[2:3], off
	s_branch .LBB118_908
.LBB118_907:
	s_mov_b32 s33, 0
.LBB118_908:
	s_delay_alu instid0(SALU_CYCLE_1)
	s_and_b32 vcc_lo, exec_lo, s33
	s_cbranch_vccz .LBB118_924
; %bb.909:
	s_cmp_lt_i32 s30, 27
	s_mov_b32 s31, -1
	s_cbranch_scc1 .LBB118_915
; %bb.910:
	s_cmp_gt_i32 s30, 27
	s_cbranch_scc0 .LBB118_912
; %bb.911:
	s_mov_b32 s31, 0
	global_store_b32 v[0:1], v2, off
.LBB118_912:
	s_and_not1_b32 vcc_lo, exec_lo, s31
	s_cbranch_vccnz .LBB118_914
; %bb.913:
	global_store_b16 v[0:1], v2, off
.LBB118_914:
	s_mov_b32 s31, 0
.LBB118_915:
	s_delay_alu instid0(SALU_CYCLE_1)
	s_and_not1_b32 vcc_lo, exec_lo, s31
	s_cbranch_vccnz .LBB118_923
; %bb.916:
	s_wait_xcnt 0x0
	v_cvt_f32_i32_e32 v3, v2
	v_mov_b32_e32 v5, 0x80
	s_mov_b32 s31, exec_lo
	s_delay_alu instid0(VALU_DEP_2) | instskip(NEXT) | instid1(VALU_DEP_1)
	v_and_b32_e32 v4, 0x7fffffff, v3
	v_cmpx_gt_u32_e32 0x43800000, v4
	s_cbranch_execz .LBB118_922
; %bb.917:
	v_cmp_lt_u32_e32 vcc_lo, 0x3bffffff, v4
	s_mov_b32 s33, 0
                                        ; implicit-def: $vgpr4
	s_and_saveexec_b32 s34, vcc_lo
	s_delay_alu instid0(SALU_CYCLE_1)
	s_xor_b32 s34, exec_lo, s34
	s_cbranch_execz .LBB118_1151
; %bb.918:
	v_bfe_u32 v4, v3, 20, 1
	s_mov_b32 s33, exec_lo
	s_delay_alu instid0(VALU_DEP_1) | instskip(NEXT) | instid1(VALU_DEP_1)
	v_add3_u32 v4, v3, v4, 0x487ffff
	v_lshrrev_b32_e32 v4, 20, v4
	s_and_not1_saveexec_b32 s34, s34
	s_cbranch_execnz .LBB118_1152
.LBB118_919:
	s_or_b32 exec_lo, exec_lo, s34
	v_mov_b32_e32 v5, 0
	s_and_saveexec_b32 s34, s33
.LBB118_920:
	v_lshrrev_b32_e32 v3, 24, v3
	s_delay_alu instid0(VALU_DEP_1)
	v_and_or_b32 v5, 0x80, v3, v4
.LBB118_921:
	s_or_b32 exec_lo, exec_lo, s34
.LBB118_922:
	s_delay_alu instid0(SALU_CYCLE_1)
	s_or_b32 exec_lo, exec_lo, s31
	global_store_b8 v[0:1], v5, off
.LBB118_923:
	s_mov_b32 s31, -1
.LBB118_924:
	s_mov_b32 s33, 0
.LBB118_925:
	s_delay_alu instid0(SALU_CYCLE_1)
	s_and_b32 vcc_lo, exec_lo, s33
	s_cbranch_vccz .LBB118_966
; %bb.926:
	s_cmp_gt_i32 s30, 22
	s_mov_b32 s33, -1
	s_cbranch_scc0 .LBB118_958
; %bb.927:
	s_cmp_lt_i32 s30, 24
	s_mov_b32 s31, -1
	s_cbranch_scc1 .LBB118_947
; %bb.928:
	s_cmp_gt_i32 s30, 24
	s_cbranch_scc0 .LBB118_936
; %bb.929:
	s_wait_xcnt 0x0
	v_cvt_f32_i32_e32 v3, v2
	v_mov_b32_e32 v5, 0x80
	s_mov_b32 s31, exec_lo
	s_delay_alu instid0(VALU_DEP_2) | instskip(NEXT) | instid1(VALU_DEP_1)
	v_and_b32_e32 v4, 0x7fffffff, v3
	v_cmpx_gt_u32_e32 0x47800000, v4
	s_cbranch_execz .LBB118_935
; %bb.930:
	v_cmp_lt_u32_e32 vcc_lo, 0x37ffffff, v4
	s_mov_b32 s33, 0
                                        ; implicit-def: $vgpr4
	s_and_saveexec_b32 s34, vcc_lo
	s_delay_alu instid0(SALU_CYCLE_1)
	s_xor_b32 s34, exec_lo, s34
	s_cbranch_execz .LBB118_1279
; %bb.931:
	v_bfe_u32 v4, v3, 21, 1
	s_mov_b32 s33, exec_lo
	s_delay_alu instid0(VALU_DEP_1) | instskip(NEXT) | instid1(VALU_DEP_1)
	v_add3_u32 v4, v3, v4, 0x88fffff
	v_lshrrev_b32_e32 v4, 21, v4
	s_and_not1_saveexec_b32 s34, s34
	s_cbranch_execnz .LBB118_1280
.LBB118_932:
	s_or_b32 exec_lo, exec_lo, s34
	v_mov_b32_e32 v5, 0
	s_and_saveexec_b32 s34, s33
.LBB118_933:
	v_lshrrev_b32_e32 v3, 24, v3
	s_delay_alu instid0(VALU_DEP_1)
	v_and_or_b32 v5, 0x80, v3, v4
.LBB118_934:
	s_or_b32 exec_lo, exec_lo, s34
.LBB118_935:
	s_delay_alu instid0(SALU_CYCLE_1)
	s_or_b32 exec_lo, exec_lo, s31
	s_mov_b32 s31, 0
	global_store_b8 v[0:1], v5, off
.LBB118_936:
	s_and_b32 vcc_lo, exec_lo, s31
	s_cbranch_vccz .LBB118_946
; %bb.937:
	s_wait_xcnt 0x0
	v_cvt_f32_i32_e32 v3, v2
	s_mov_b32 s31, exec_lo
                                        ; implicit-def: $vgpr4
	s_delay_alu instid0(VALU_DEP_1) | instskip(NEXT) | instid1(VALU_DEP_1)
	v_and_b32_e32 v5, 0x7fffffff, v3
	v_cmpx_gt_u32_e32 0x43f00000, v5
	s_xor_b32 s31, exec_lo, s31
	s_cbranch_execz .LBB118_943
; %bb.938:
	s_mov_b32 s33, exec_lo
                                        ; implicit-def: $vgpr4
	v_cmpx_lt_u32_e32 0x3c7fffff, v5
	s_xor_b32 s33, exec_lo, s33
; %bb.939:
	v_bfe_u32 v4, v3, 20, 1
	s_delay_alu instid0(VALU_DEP_1) | instskip(NEXT) | instid1(VALU_DEP_1)
	v_add3_u32 v4, v3, v4, 0x407ffff
	v_and_b32_e32 v5, 0xff00000, v4
	v_lshrrev_b32_e32 v4, 20, v4
	s_delay_alu instid0(VALU_DEP_2) | instskip(NEXT) | instid1(VALU_DEP_2)
	v_cmp_ne_u32_e32 vcc_lo, 0x7f00000, v5
	v_cndmask_b32_e32 v4, 0x7e, v4, vcc_lo
; %bb.940:
	s_and_not1_saveexec_b32 s33, s33
; %bb.941:
	v_add_f32_e64 v4, 0x46800000, |v3|
; %bb.942:
	s_or_b32 exec_lo, exec_lo, s33
                                        ; implicit-def: $vgpr5
.LBB118_943:
	s_and_not1_saveexec_b32 s31, s31
; %bb.944:
	v_mov_b32_e32 v4, 0x7f
	v_cmp_lt_u32_e32 vcc_lo, 0x7f800000, v5
	s_delay_alu instid0(VALU_DEP_2)
	v_cndmask_b32_e32 v4, 0x7e, v4, vcc_lo
; %bb.945:
	s_or_b32 exec_lo, exec_lo, s31
	v_lshrrev_b32_e32 v3, 24, v3
	s_delay_alu instid0(VALU_DEP_1)
	v_and_or_b32 v3, 0x80, v3, v4
	global_store_b8 v[0:1], v3, off
.LBB118_946:
	s_mov_b32 s31, 0
.LBB118_947:
	s_delay_alu instid0(SALU_CYCLE_1)
	s_and_not1_b32 vcc_lo, exec_lo, s31
	s_cbranch_vccnz .LBB118_957
; %bb.948:
	s_wait_xcnt 0x0
	v_cvt_f32_i32_e32 v3, v2
	s_mov_b32 s31, exec_lo
                                        ; implicit-def: $vgpr4
	s_delay_alu instid0(VALU_DEP_1) | instskip(NEXT) | instid1(VALU_DEP_1)
	v_and_b32_e32 v5, 0x7fffffff, v3
	v_cmpx_gt_u32_e32 0x47800000, v5
	s_xor_b32 s31, exec_lo, s31
	s_cbranch_execz .LBB118_954
; %bb.949:
	s_mov_b32 s33, exec_lo
                                        ; implicit-def: $vgpr4
	v_cmpx_lt_u32_e32 0x387fffff, v5
	s_xor_b32 s33, exec_lo, s33
; %bb.950:
	v_bfe_u32 v4, v3, 21, 1
	s_delay_alu instid0(VALU_DEP_1) | instskip(NEXT) | instid1(VALU_DEP_1)
	v_add3_u32 v4, v3, v4, 0x80fffff
	v_lshrrev_b32_e32 v4, 21, v4
; %bb.951:
	s_and_not1_saveexec_b32 s33, s33
; %bb.952:
	v_add_f32_e64 v4, 0x43000000, |v3|
; %bb.953:
	s_or_b32 exec_lo, exec_lo, s33
                                        ; implicit-def: $vgpr5
.LBB118_954:
	s_and_not1_saveexec_b32 s31, s31
; %bb.955:
	v_mov_b32_e32 v4, 0x7f
	v_cmp_lt_u32_e32 vcc_lo, 0x7f800000, v5
	s_delay_alu instid0(VALU_DEP_2)
	v_cndmask_b32_e32 v4, 0x7c, v4, vcc_lo
; %bb.956:
	s_or_b32 exec_lo, exec_lo, s31
	v_lshrrev_b32_e32 v3, 24, v3
	s_delay_alu instid0(VALU_DEP_1)
	v_and_or_b32 v3, 0x80, v3, v4
	global_store_b8 v[0:1], v3, off
.LBB118_957:
	s_mov_b32 s33, 0
	s_mov_b32 s31, -1
.LBB118_958:
	s_and_not1_b32 vcc_lo, exec_lo, s33
	s_cbranch_vccnz .LBB118_966
; %bb.959:
	s_cmp_gt_i32 s30, 14
	s_mov_b32 s33, -1
	s_cbranch_scc0 .LBB118_963
; %bb.960:
	s_cmp_eq_u32 s30, 15
	s_mov_b32 s0, -1
	s_cbranch_scc0 .LBB118_962
; %bb.961:
	s_wait_xcnt 0x0
	v_cvt_f32_i32_e32 v3, v2
	s_mov_b32 s31, -1
	s_mov_b32 s0, 0
	s_delay_alu instid0(VALU_DEP_1) | instskip(NEXT) | instid1(VALU_DEP_1)
	v_bfe_u32 v4, v3, 16, 1
	v_add3_u32 v3, v3, v4, 0x7fff
	global_store_d16_hi_b16 v[0:1], v3, off
.LBB118_962:
	s_mov_b32 s33, 0
.LBB118_963:
	s_delay_alu instid0(SALU_CYCLE_1)
	s_and_b32 vcc_lo, exec_lo, s33
	s_cbranch_vccz .LBB118_966
; %bb.964:
	s_cmp_eq_u32 s30, 11
	s_mov_b32 s0, -1
	s_cbranch_scc0 .LBB118_966
; %bb.965:
	v_cmp_ne_u32_e32 vcc_lo, 0, v2
	s_mov_b32 s0, 0
	s_mov_b32 s31, -1
	s_wait_xcnt 0x0
	v_cndmask_b32_e64 v3, 0, 1, vcc_lo
	global_store_b8 v[0:1], v3, off
.LBB118_966:
	s_mov_b32 s30, 0
.LBB118_967:
	s_delay_alu instid0(SALU_CYCLE_1)
	s_and_b32 vcc_lo, exec_lo, s30
	s_cbranch_vccz .LBB118_1006
; %bb.968:
	s_and_b32 s27, 0xffff, s27
	s_mov_b32 s30, -1
	s_cmp_lt_i32 s27, 5
	s_cbranch_scc1 .LBB118_989
; %bb.969:
	s_cmp_lt_i32 s27, 8
	s_cbranch_scc1 .LBB118_979
; %bb.970:
	s_cmp_lt_i32 s27, 9
	s_cbranch_scc1 .LBB118_976
; %bb.971:
	s_cmp_gt_i32 s27, 9
	s_cbranch_scc0 .LBB118_973
; %bb.972:
	s_wait_xcnt 0x0
	v_cvt_f64_i32_e32 v[4:5], v2
	v_mov_b32_e32 v6, 0
	s_mov_b32 s30, 0
	s_delay_alu instid0(VALU_DEP_1)
	v_mov_b32_e32 v7, v6
	global_store_b128 v[0:1], v[4:7], off
.LBB118_973:
	s_and_not1_b32 vcc_lo, exec_lo, s30
	s_cbranch_vccnz .LBB118_975
; %bb.974:
	s_wait_xcnt 0x0
	v_cvt_f32_i32_e32 v4, v2
	v_mov_b32_e32 v5, 0
	global_store_b64 v[0:1], v[4:5], off
.LBB118_975:
	s_mov_b32 s30, 0
.LBB118_976:
	s_delay_alu instid0(SALU_CYCLE_1)
	s_and_not1_b32 vcc_lo, exec_lo, s30
	s_cbranch_vccnz .LBB118_978
; %bb.977:
	s_wait_xcnt 0x0
	v_cvt_f32_i32_e32 v3, v2
	s_delay_alu instid0(VALU_DEP_1) | instskip(NEXT) | instid1(VALU_DEP_1)
	v_cvt_f16_f32_e32 v3, v3
	v_and_b32_e32 v3, 0xffff, v3
	global_store_b32 v[0:1], v3, off
.LBB118_978:
	s_mov_b32 s30, 0
.LBB118_979:
	s_delay_alu instid0(SALU_CYCLE_1)
	s_and_not1_b32 vcc_lo, exec_lo, s30
	s_cbranch_vccnz .LBB118_988
; %bb.980:
	s_cmp_lt_i32 s27, 6
	s_mov_b32 s30, -1
	s_cbranch_scc1 .LBB118_986
; %bb.981:
	s_cmp_gt_i32 s27, 6
	s_cbranch_scc0 .LBB118_983
; %bb.982:
	s_wait_xcnt 0x0
	v_cvt_f64_i32_e32 v[4:5], v2
	s_mov_b32 s30, 0
	global_store_b64 v[0:1], v[4:5], off
.LBB118_983:
	s_and_not1_b32 vcc_lo, exec_lo, s30
	s_cbranch_vccnz .LBB118_985
; %bb.984:
	s_wait_xcnt 0x0
	v_cvt_f32_i32_e32 v3, v2
	global_store_b32 v[0:1], v3, off
.LBB118_985:
	s_mov_b32 s30, 0
.LBB118_986:
	s_delay_alu instid0(SALU_CYCLE_1)
	s_and_not1_b32 vcc_lo, exec_lo, s30
	s_cbranch_vccnz .LBB118_988
; %bb.987:
	s_wait_xcnt 0x0
	v_cvt_f32_i32_e32 v3, v2
	s_delay_alu instid0(VALU_DEP_1)
	v_cvt_f16_f32_e32 v3, v3
	global_store_b16 v[0:1], v3, off
.LBB118_988:
	s_mov_b32 s30, 0
.LBB118_989:
	s_delay_alu instid0(SALU_CYCLE_1)
	s_and_not1_b32 vcc_lo, exec_lo, s30
	s_cbranch_vccnz .LBB118_1005
; %bb.990:
	s_cmp_lt_i32 s27, 2
	s_mov_b32 s30, -1
	s_cbranch_scc1 .LBB118_1000
; %bb.991:
	s_cmp_lt_i32 s27, 3
	s_cbranch_scc1 .LBB118_997
; %bb.992:
	s_cmp_gt_i32 s27, 3
	s_cbranch_scc0 .LBB118_994
; %bb.993:
	s_wait_xcnt 0x0
	v_ashrrev_i32_e32 v3, 31, v2
	s_mov_b32 s30, 0
	global_store_b64 v[0:1], v[2:3], off
.LBB118_994:
	s_and_not1_b32 vcc_lo, exec_lo, s30
	s_cbranch_vccnz .LBB118_996
; %bb.995:
	global_store_b32 v[0:1], v2, off
.LBB118_996:
	s_mov_b32 s30, 0
.LBB118_997:
	s_delay_alu instid0(SALU_CYCLE_1)
	s_and_not1_b32 vcc_lo, exec_lo, s30
	s_cbranch_vccnz .LBB118_999
; %bb.998:
	global_store_b16 v[0:1], v2, off
.LBB118_999:
	s_mov_b32 s30, 0
.LBB118_1000:
	s_delay_alu instid0(SALU_CYCLE_1)
	s_and_not1_b32 vcc_lo, exec_lo, s30
	s_cbranch_vccnz .LBB118_1005
; %bb.1001:
	s_cmp_gt_i32 s27, 0
	s_mov_b32 s27, -1
	s_cbranch_scc0 .LBB118_1003
; %bb.1002:
	s_mov_b32 s27, 0
	global_store_b8 v[0:1], v2, off
.LBB118_1003:
	s_and_not1_b32 vcc_lo, exec_lo, s27
	s_cbranch_vccnz .LBB118_1005
; %bb.1004:
	global_store_b8 v[0:1], v2, off
.LBB118_1005:
	s_mov_b32 s31, -1
.LBB118_1006:
	s_delay_alu instid0(SALU_CYCLE_1)
	s_and_not1_b32 vcc_lo, exec_lo, s31
	s_cbranch_vccnz .LBB118_1008
; %bb.1007:
	v_add_nc_u32_e32 v8, 0x80, v8
	s_mov_b32 s30, -1
	s_branch .LBB118_1010
.LBB118_1008:
	s_mov_b32 s30, 0
.LBB118_1009:
                                        ; implicit-def: $vgpr8
.LBB118_1010:
	s_and_not1_b32 s27, s19, exec_lo
	s_and_b32 s0, s0, exec_lo
	s_and_not1_b32 s31, s21, exec_lo
	s_and_b32 s33, s26, exec_lo
	s_or_b32 s26, s27, s0
	s_or_b32 s27, s31, s33
	s_and_not1_b32 s0, s22, exec_lo
	s_and_b32 s28, s28, exec_lo
	s_and_not1_b32 s31, s23, exec_lo
	s_and_b32 s25, s25, exec_lo
	s_or_b32 s28, s0, s28
	s_or_b32 s25, s31, s25
	s_or_not1_b32 s31, s30, exec_lo
.LBB118_1011:
	s_wait_xcnt 0x0
	s_or_b32 exec_lo, exec_lo, s29
	s_mov_b32 s30, 0
	s_mov_b32 s33, 0
	;; [unrolled: 1-line block ×3, first 2 shown]
                                        ; implicit-def: $sgpr0
                                        ; implicit-def: $vgpr0_vgpr1
                                        ; implicit-def: $vgpr3
	s_and_saveexec_b32 s29, s31
	s_cbranch_execz .LBB118_1598
; %bb.1012:
	s_mov_b32 s39, -1
	s_mov_b32 s31, s25
	s_mov_b32 s33, s28
	;; [unrolled: 1-line block ×4, first 2 shown]
	s_mov_b32 s30, exec_lo
	v_cmpx_gt_i32_e64 s20, v8
	s_cbranch_execz .LBB118_1520
; %bb.1013:
	v_mul_lo_u32 v0, v8, s13
	s_and_b32 s0, s17, 0xff
	s_delay_alu instid0(SALU_CYCLE_1) | instskip(NEXT) | instid1(VALU_DEP_1)
	s_cmp_lt_i32 s0, 11
	v_ashrrev_i32_e32 v1, 31, v0
	s_delay_alu instid0(VALU_DEP_1)
	v_add_nc_u64_e32 v[0:1], s[6:7], v[0:1]
	s_cbranch_scc1 .LBB118_1020
; %bb.1014:
	s_and_b32 s33, 0xffff, s0
	s_delay_alu instid0(SALU_CYCLE_1)
	s_cmp_gt_i32 s33, 25
	s_cbranch_scc0 .LBB118_1021
; %bb.1015:
	s_cmp_gt_i32 s33, 28
	s_cbranch_scc0 .LBB118_1022
; %bb.1016:
	;; [unrolled: 3-line block ×4, first 2 shown]
	s_cmp_eq_u32 s33, 46
	s_mov_b32 s35, 0
	s_cbranch_scc0 .LBB118_1025
; %bb.1019:
	s_wait_loadcnt 0x0
	global_load_b32 v2, v[0:1], off
	s_mov_b32 s34, -1
	s_mov_b32 s31, 0
	s_wait_loadcnt 0x0
	v_lshlrev_b32_e32 v2, 16, v2
	s_delay_alu instid0(VALU_DEP_1)
	v_cvt_i32_f32_e32 v2, v2
	s_branch .LBB118_1027
.LBB118_1020:
	s_mov_b32 s33, -1
	s_mov_b32 s34, 0
	s_mov_b32 s31, s25
                                        ; implicit-def: $vgpr2
	s_branch .LBB118_1088
.LBB118_1021:
	s_mov_b32 s35, -1
	s_mov_b32 s34, 0
	s_mov_b32 s31, s25
                                        ; implicit-def: $vgpr2
	s_branch .LBB118_1054
.LBB118_1022:
	s_mov_b32 s35, -1
	s_mov_b32 s34, 0
	s_mov_b32 s31, s25
                                        ; implicit-def: $vgpr2
	s_branch .LBB118_1037
.LBB118_1023:
	s_mov_b32 s35, -1
	s_mov_b32 s34, 0
	s_mov_b32 s31, s25
                                        ; implicit-def: $vgpr2
	s_branch .LBB118_1032
.LBB118_1024:
	s_mov_b32 s35, -1
	s_mov_b32 s34, 0
	s_mov_b32 s31, s25
	s_branch .LBB118_1026
.LBB118_1025:
	s_mov_b32 s31, -1
	s_mov_b32 s34, 0
.LBB118_1026:
                                        ; implicit-def: $vgpr2
.LBB118_1027:
	s_and_b32 vcc_lo, exec_lo, s35
	s_cbranch_vccz .LBB118_1031
; %bb.1028:
	s_cmp_eq_u32 s33, 44
	s_cbranch_scc0 .LBB118_1030
; %bb.1029:
	s_wait_loadcnt 0x0
	global_load_u8 v2, v[0:1], off
	s_mov_b32 s31, 0
	s_mov_b32 s34, -1
	s_wait_loadcnt 0x0
	v_lshlrev_b32_e32 v3, 23, v2
	v_cmp_ne_u32_e32 vcc_lo, 0, v2
	s_delay_alu instid0(VALU_DEP_2) | instskip(NEXT) | instid1(VALU_DEP_1)
	v_cvt_i32_f32_e32 v3, v3
	v_cndmask_b32_e32 v2, 0, v3, vcc_lo
	s_branch .LBB118_1031
.LBB118_1030:
	s_mov_b32 s31, -1
                                        ; implicit-def: $vgpr2
.LBB118_1031:
	s_mov_b32 s35, 0
.LBB118_1032:
	s_delay_alu instid0(SALU_CYCLE_1)
	s_and_b32 vcc_lo, exec_lo, s35
	s_cbranch_vccz .LBB118_1036
; %bb.1033:
	s_cmp_eq_u32 s33, 29
	s_cbranch_scc0 .LBB118_1035
; %bb.1034:
	s_wait_loadcnt 0x0
	global_load_b32 v2, v[0:1], off
	s_mov_b32 s34, -1
	s_mov_b32 s31, 0
	s_branch .LBB118_1036
.LBB118_1035:
	s_mov_b32 s31, -1
                                        ; implicit-def: $vgpr2
.LBB118_1036:
	s_mov_b32 s35, 0
.LBB118_1037:
	s_delay_alu instid0(SALU_CYCLE_1)
	s_and_b32 vcc_lo, exec_lo, s35
	s_cbranch_vccz .LBB118_1053
; %bb.1038:
	s_cmp_lt_i32 s33, 27
	s_cbranch_scc1 .LBB118_1041
; %bb.1039:
	s_cmp_gt_i32 s33, 27
	s_cbranch_scc0 .LBB118_1042
; %bb.1040:
	s_wait_loadcnt 0x0
	global_load_b32 v2, v[0:1], off
	s_mov_b32 s34, 0
	s_branch .LBB118_1043
.LBB118_1041:
	s_mov_b32 s34, -1
                                        ; implicit-def: $vgpr2
	s_branch .LBB118_1046
.LBB118_1042:
	s_mov_b32 s34, -1
                                        ; implicit-def: $vgpr2
.LBB118_1043:
	s_delay_alu instid0(SALU_CYCLE_1)
	s_and_not1_b32 vcc_lo, exec_lo, s34
	s_cbranch_vccnz .LBB118_1045
; %bb.1044:
	s_wait_loadcnt 0x0
	global_load_u16 v2, v[0:1], off
.LBB118_1045:
	s_mov_b32 s34, 0
.LBB118_1046:
	s_delay_alu instid0(SALU_CYCLE_1)
	s_and_not1_b32 vcc_lo, exec_lo, s34
	s_cbranch_vccnz .LBB118_1052
; %bb.1047:
	s_wait_loadcnt 0x0
	global_load_u8 v3, v[0:1], off
	s_mov_b32 s35, 0
	s_mov_b32 s34, exec_lo
	s_wait_loadcnt 0x0
	v_cmpx_lt_i16_e32 0x7f, v3
	s_xor_b32 s34, exec_lo, s34
	s_cbranch_execz .LBB118_1064
; %bb.1048:
	v_cmp_ne_u16_e32 vcc_lo, 0x80, v3
	s_and_b32 s35, vcc_lo, exec_lo
	s_and_not1_saveexec_b32 s34, s34
	s_cbranch_execnz .LBB118_1065
.LBB118_1049:
	s_or_b32 exec_lo, exec_lo, s34
	v_mov_b32_e32 v2, 0
	s_and_saveexec_b32 s34, s35
	s_cbranch_execz .LBB118_1051
.LBB118_1050:
	v_and_b32_e32 v2, 0xffff, v3
	s_delay_alu instid0(VALU_DEP_1) | instskip(SKIP_1) | instid1(VALU_DEP_2)
	v_and_b32_e32 v4, 7, v2
	v_bfe_u32 v7, v2, 3, 4
	v_clz_i32_u32_e32 v5, v4
	s_delay_alu instid0(VALU_DEP_2) | instskip(NEXT) | instid1(VALU_DEP_2)
	v_cmp_eq_u32_e32 vcc_lo, 0, v7
	v_min_u32_e32 v5, 32, v5
	s_delay_alu instid0(VALU_DEP_1) | instskip(NEXT) | instid1(VALU_DEP_1)
	v_subrev_nc_u32_e32 v6, 28, v5
	v_dual_lshlrev_b32 v2, v6, v2 :: v_dual_sub_nc_u32 v5, 29, v5
	s_delay_alu instid0(VALU_DEP_1) | instskip(NEXT) | instid1(VALU_DEP_1)
	v_dual_lshlrev_b32 v3, 24, v3 :: v_dual_bitop2_b32 v2, 7, v2 bitop3:0x40
	v_dual_cndmask_b32 v5, v7, v5 :: v_dual_cndmask_b32 v2, v4, v2
	s_delay_alu instid0(VALU_DEP_2) | instskip(NEXT) | instid1(VALU_DEP_2)
	v_and_b32_e32 v3, 0x80000000, v3
	v_lshl_add_u32 v4, v5, 23, 0x3b800000
	s_delay_alu instid0(VALU_DEP_3) | instskip(NEXT) | instid1(VALU_DEP_1)
	v_lshlrev_b32_e32 v2, 20, v2
	v_or3_b32 v2, v3, v4, v2
	s_delay_alu instid0(VALU_DEP_1)
	v_cvt_i32_f32_e32 v2, v2
.LBB118_1051:
	s_or_b32 exec_lo, exec_lo, s34
.LBB118_1052:
	s_mov_b32 s34, -1
.LBB118_1053:
	s_mov_b32 s35, 0
.LBB118_1054:
	s_delay_alu instid0(SALU_CYCLE_1)
	s_and_b32 vcc_lo, exec_lo, s35
	s_cbranch_vccz .LBB118_1087
; %bb.1055:
	s_cmp_gt_i32 s33, 22
	s_cbranch_scc0 .LBB118_1063
; %bb.1056:
	s_cmp_lt_i32 s33, 24
	s_cbranch_scc1 .LBB118_1066
; %bb.1057:
	s_cmp_gt_i32 s33, 24
	s_cbranch_scc0 .LBB118_1067
; %bb.1058:
	s_wait_loadcnt 0x0
	global_load_u8 v3, v[0:1], off
	s_mov_b32 s35, 0
	s_mov_b32 s34, exec_lo
	s_wait_loadcnt 0x0
	v_cmpx_lt_i16_e32 0x7f, v3
	s_xor_b32 s34, exec_lo, s34
	s_cbranch_execz .LBB118_1079
; %bb.1059:
	v_cmp_ne_u16_e32 vcc_lo, 0x80, v3
	s_and_b32 s35, vcc_lo, exec_lo
	s_and_not1_saveexec_b32 s34, s34
	s_cbranch_execnz .LBB118_1080
.LBB118_1060:
	s_or_b32 exec_lo, exec_lo, s34
	v_mov_b32_e32 v2, 0
	s_and_saveexec_b32 s34, s35
	s_cbranch_execz .LBB118_1062
.LBB118_1061:
	v_and_b32_e32 v2, 0xffff, v3
	s_delay_alu instid0(VALU_DEP_1) | instskip(SKIP_1) | instid1(VALU_DEP_2)
	v_and_b32_e32 v4, 3, v2
	v_bfe_u32 v7, v2, 2, 5
	v_clz_i32_u32_e32 v5, v4
	s_delay_alu instid0(VALU_DEP_2) | instskip(NEXT) | instid1(VALU_DEP_2)
	v_cmp_eq_u32_e32 vcc_lo, 0, v7
	v_min_u32_e32 v5, 32, v5
	s_delay_alu instid0(VALU_DEP_1) | instskip(NEXT) | instid1(VALU_DEP_1)
	v_subrev_nc_u32_e32 v6, 29, v5
	v_dual_lshlrev_b32 v2, v6, v2 :: v_dual_sub_nc_u32 v5, 30, v5
	s_delay_alu instid0(VALU_DEP_1) | instskip(NEXT) | instid1(VALU_DEP_1)
	v_dual_lshlrev_b32 v3, 24, v3 :: v_dual_bitop2_b32 v2, 3, v2 bitop3:0x40
	v_dual_cndmask_b32 v5, v7, v5 :: v_dual_cndmask_b32 v2, v4, v2
	s_delay_alu instid0(VALU_DEP_2) | instskip(NEXT) | instid1(VALU_DEP_2)
	v_and_b32_e32 v3, 0x80000000, v3
	v_lshl_add_u32 v4, v5, 23, 0x37800000
	s_delay_alu instid0(VALU_DEP_3) | instskip(NEXT) | instid1(VALU_DEP_1)
	v_lshlrev_b32_e32 v2, 21, v2
	v_or3_b32 v2, v3, v4, v2
	s_delay_alu instid0(VALU_DEP_1)
	v_cvt_i32_f32_e32 v2, v2
.LBB118_1062:
	s_or_b32 exec_lo, exec_lo, s34
	s_mov_b32 s34, 0
	s_branch .LBB118_1068
.LBB118_1063:
	s_mov_b32 s35, -1
                                        ; implicit-def: $vgpr2
	s_branch .LBB118_1074
.LBB118_1064:
	s_and_not1_saveexec_b32 s34, s34
	s_cbranch_execz .LBB118_1049
.LBB118_1065:
	v_cmp_ne_u16_e32 vcc_lo, 0, v3
	s_and_not1_b32 s35, s35, exec_lo
	s_and_b32 s36, vcc_lo, exec_lo
	s_delay_alu instid0(SALU_CYCLE_1)
	s_or_b32 s35, s35, s36
	s_or_b32 exec_lo, exec_lo, s34
	v_mov_b32_e32 v2, 0
	s_and_saveexec_b32 s34, s35
	s_cbranch_execnz .LBB118_1050
	s_branch .LBB118_1051
.LBB118_1066:
	s_mov_b32 s34, -1
                                        ; implicit-def: $vgpr2
	s_branch .LBB118_1071
.LBB118_1067:
	s_mov_b32 s34, -1
                                        ; implicit-def: $vgpr2
.LBB118_1068:
	s_delay_alu instid0(SALU_CYCLE_1)
	s_and_b32 vcc_lo, exec_lo, s34
	s_cbranch_vccz .LBB118_1070
; %bb.1069:
	s_wait_loadcnt 0x0
	global_load_u8 v2, v[0:1], off
	s_wait_loadcnt 0x0
	v_lshlrev_b32_e32 v2, 24, v2
	s_delay_alu instid0(VALU_DEP_1) | instskip(NEXT) | instid1(VALU_DEP_1)
	v_and_b32_e32 v3, 0x7f000000, v2
	v_clz_i32_u32_e32 v4, v3
	v_cmp_ne_u32_e32 vcc_lo, 0, v3
	v_add_nc_u32_e32 v6, 0x1000000, v3
	s_delay_alu instid0(VALU_DEP_3) | instskip(NEXT) | instid1(VALU_DEP_1)
	v_min_u32_e32 v4, 32, v4
	v_sub_nc_u32_e64 v4, v4, 4 clamp
	s_delay_alu instid0(VALU_DEP_1) | instskip(NEXT) | instid1(VALU_DEP_1)
	v_dual_lshlrev_b32 v5, v4, v3 :: v_dual_lshlrev_b32 v4, 23, v4
	v_lshrrev_b32_e32 v5, 4, v5
	s_delay_alu instid0(VALU_DEP_1) | instskip(NEXT) | instid1(VALU_DEP_1)
	v_dual_sub_nc_u32 v4, v5, v4 :: v_dual_ashrrev_i32 v5, 8, v6
	v_add_nc_u32_e32 v4, 0x3c000000, v4
	s_delay_alu instid0(VALU_DEP_1) | instskip(NEXT) | instid1(VALU_DEP_1)
	v_and_or_b32 v4, 0x7f800000, v5, v4
	v_cndmask_b32_e32 v3, 0, v4, vcc_lo
	s_delay_alu instid0(VALU_DEP_1) | instskip(NEXT) | instid1(VALU_DEP_1)
	v_and_or_b32 v2, 0x80000000, v2, v3
	v_cvt_i32_f32_e32 v2, v2
.LBB118_1070:
	s_mov_b32 s34, 0
.LBB118_1071:
	s_delay_alu instid0(SALU_CYCLE_1)
	s_and_not1_b32 vcc_lo, exec_lo, s34
	s_cbranch_vccnz .LBB118_1073
; %bb.1072:
	s_wait_loadcnt 0x0
	global_load_u8 v2, v[0:1], off
	s_wait_loadcnt 0x0
	v_lshlrev_b32_e32 v3, 25, v2
	v_lshlrev_b16 v2, 8, v2
	s_delay_alu instid0(VALU_DEP_1) | instskip(SKIP_1) | instid1(VALU_DEP_2)
	v_and_or_b32 v5, 0x7f00, v2, 0.5
	v_bfe_i32 v2, v2, 0, 16
	v_dual_add_f32 v5, -0.5, v5 :: v_dual_lshrrev_b32 v4, 4, v3
	v_cmp_gt_u32_e32 vcc_lo, 0x8000000, v3
	s_delay_alu instid0(VALU_DEP_2) | instskip(NEXT) | instid1(VALU_DEP_1)
	v_or_b32_e32 v4, 0x70000000, v4
	v_mul_f32_e32 v4, 0x7800000, v4
	s_delay_alu instid0(VALU_DEP_1) | instskip(NEXT) | instid1(VALU_DEP_1)
	v_cndmask_b32_e32 v3, v4, v5, vcc_lo
	v_and_or_b32 v2, 0x80000000, v2, v3
	s_delay_alu instid0(VALU_DEP_1)
	v_cvt_i32_f32_e32 v2, v2
.LBB118_1073:
	s_mov_b32 s35, 0
	s_mov_b32 s34, -1
.LBB118_1074:
	s_and_not1_b32 vcc_lo, exec_lo, s35
	s_cbranch_vccnz .LBB118_1087
; %bb.1075:
	s_cmp_gt_i32 s33, 14
	s_cbranch_scc0 .LBB118_1078
; %bb.1076:
	s_cmp_eq_u32 s33, 15
	s_cbranch_scc0 .LBB118_1081
; %bb.1077:
	s_wait_loadcnt 0x0
	global_load_u16 v2, v[0:1], off
	s_mov_b32 s34, -1
	s_mov_b32 s31, 0
	s_wait_loadcnt 0x0
	v_lshlrev_b32_e32 v2, 16, v2
	s_delay_alu instid0(VALU_DEP_1)
	v_cvt_i32_f32_e32 v2, v2
	s_branch .LBB118_1082
.LBB118_1078:
	s_mov_b32 s35, -1
                                        ; implicit-def: $vgpr2
	s_branch .LBB118_1083
.LBB118_1079:
	s_and_not1_saveexec_b32 s34, s34
	s_cbranch_execz .LBB118_1060
.LBB118_1080:
	v_cmp_ne_u16_e32 vcc_lo, 0, v3
	s_and_not1_b32 s35, s35, exec_lo
	s_and_b32 s36, vcc_lo, exec_lo
	s_delay_alu instid0(SALU_CYCLE_1)
	s_or_b32 s35, s35, s36
	s_or_b32 exec_lo, exec_lo, s34
	v_mov_b32_e32 v2, 0
	s_and_saveexec_b32 s34, s35
	s_cbranch_execnz .LBB118_1061
	s_branch .LBB118_1062
.LBB118_1081:
	s_mov_b32 s31, -1
                                        ; implicit-def: $vgpr2
.LBB118_1082:
	s_mov_b32 s35, 0
.LBB118_1083:
	s_delay_alu instid0(SALU_CYCLE_1)
	s_and_b32 vcc_lo, exec_lo, s35
	s_cbranch_vccz .LBB118_1087
; %bb.1084:
	s_cmp_eq_u32 s33, 11
	s_cbranch_scc0 .LBB118_1086
; %bb.1085:
	s_wait_loadcnt 0x0
	global_load_u8 v2, v[0:1], off
	s_mov_b32 s31, 0
	s_mov_b32 s34, -1
	s_wait_loadcnt 0x0
	v_cmp_ne_u16_e32 vcc_lo, 0, v2
	v_cndmask_b32_e64 v2, 0, 1, vcc_lo
	s_branch .LBB118_1087
.LBB118_1086:
	s_mov_b32 s31, -1
                                        ; implicit-def: $vgpr2
.LBB118_1087:
	s_mov_b32 s33, 0
.LBB118_1088:
	s_delay_alu instid0(SALU_CYCLE_1)
	s_and_b32 vcc_lo, exec_lo, s33
	s_cbranch_vccz .LBB118_1137
; %bb.1089:
	s_and_b32 s0, 0xffff, s0
	s_delay_alu instid0(SALU_CYCLE_1)
	s_cmp_lt_i32 s0, 5
	s_cbranch_scc1 .LBB118_1094
; %bb.1090:
	s_cmp_lt_i32 s0, 8
	s_cbranch_scc1 .LBB118_1095
; %bb.1091:
	;; [unrolled: 3-line block ×3, first 2 shown]
	s_cmp_gt_i32 s0, 9
	s_cbranch_scc0 .LBB118_1097
; %bb.1093:
	s_wait_loadcnt 0x0
	global_load_b64 v[2:3], v[0:1], off
	s_mov_b32 s33, 0
	s_wait_loadcnt 0x0
	v_cvt_i32_f64_e32 v2, v[2:3]
	s_branch .LBB118_1098
.LBB118_1094:
	s_mov_b32 s33, -1
                                        ; implicit-def: $vgpr2
	s_branch .LBB118_1116
.LBB118_1095:
	s_mov_b32 s33, -1
                                        ; implicit-def: $vgpr2
	s_branch .LBB118_1104
.LBB118_1096:
	s_mov_b32 s33, -1
                                        ; implicit-def: $vgpr2
	s_branch .LBB118_1101
.LBB118_1097:
	s_mov_b32 s33, -1
                                        ; implicit-def: $vgpr2
.LBB118_1098:
	s_delay_alu instid0(SALU_CYCLE_1)
	s_and_not1_b32 vcc_lo, exec_lo, s33
	s_cbranch_vccnz .LBB118_1100
; %bb.1099:
	s_wait_loadcnt 0x0
	global_load_b32 v2, v[0:1], off
	s_wait_loadcnt 0x0
	v_cvt_i32_f32_e32 v2, v2
.LBB118_1100:
	s_mov_b32 s33, 0
.LBB118_1101:
	s_delay_alu instid0(SALU_CYCLE_1)
	s_and_not1_b32 vcc_lo, exec_lo, s33
	s_cbranch_vccnz .LBB118_1103
; %bb.1102:
	s_wait_loadcnt 0x0
	global_load_b32 v2, v[0:1], off
	s_wait_loadcnt 0x0
	v_cvt_f32_f16_e32 v2, v2
	s_delay_alu instid0(VALU_DEP_1)
	v_cvt_i32_f32_e32 v2, v2
.LBB118_1103:
	s_mov_b32 s33, 0
.LBB118_1104:
	s_delay_alu instid0(SALU_CYCLE_1)
	s_and_not1_b32 vcc_lo, exec_lo, s33
	s_cbranch_vccnz .LBB118_1115
; %bb.1105:
	s_cmp_lt_i32 s0, 6
	s_cbranch_scc1 .LBB118_1108
; %bb.1106:
	s_cmp_gt_i32 s0, 6
	s_cbranch_scc0 .LBB118_1109
; %bb.1107:
	s_wait_loadcnt 0x0
	global_load_b64 v[2:3], v[0:1], off
	s_mov_b32 s33, 0
	s_wait_loadcnt 0x0
	v_cvt_i32_f64_e32 v2, v[2:3]
	s_branch .LBB118_1110
.LBB118_1108:
	s_mov_b32 s33, -1
                                        ; implicit-def: $vgpr2
	s_branch .LBB118_1113
.LBB118_1109:
	s_mov_b32 s33, -1
                                        ; implicit-def: $vgpr2
.LBB118_1110:
	s_delay_alu instid0(SALU_CYCLE_1)
	s_and_not1_b32 vcc_lo, exec_lo, s33
	s_cbranch_vccnz .LBB118_1112
; %bb.1111:
	s_wait_loadcnt 0x0
	global_load_b32 v2, v[0:1], off
	s_wait_loadcnt 0x0
	v_cvt_i32_f32_e32 v2, v2
.LBB118_1112:
	s_mov_b32 s33, 0
.LBB118_1113:
	s_delay_alu instid0(SALU_CYCLE_1)
	s_and_not1_b32 vcc_lo, exec_lo, s33
	s_cbranch_vccnz .LBB118_1115
; %bb.1114:
	s_wait_loadcnt 0x0
	global_load_u16 v2, v[0:1], off
	s_wait_loadcnt 0x0
	v_cvt_f32_f16_e32 v2, v2
	s_delay_alu instid0(VALU_DEP_1)
	v_cvt_i32_f32_e32 v2, v2
.LBB118_1115:
	s_mov_b32 s33, 0
.LBB118_1116:
	s_delay_alu instid0(SALU_CYCLE_1)
	s_and_not1_b32 vcc_lo, exec_lo, s33
	s_cbranch_vccnz .LBB118_1136
; %bb.1117:
	s_cmp_lt_i32 s0, 2
	s_cbranch_scc1 .LBB118_1121
; %bb.1118:
	s_cmp_lt_i32 s0, 3
	s_cbranch_scc1 .LBB118_1122
; %bb.1119:
	s_cmp_gt_i32 s0, 3
	s_cbranch_scc0 .LBB118_1123
; %bb.1120:
	s_wait_loadcnt 0x0
	global_load_b32 v2, v[0:1], off
	s_mov_b32 s33, 0
	s_branch .LBB118_1124
.LBB118_1121:
	s_mov_b32 s33, -1
                                        ; implicit-def: $vgpr2
	s_branch .LBB118_1130
.LBB118_1122:
	s_mov_b32 s33, -1
                                        ; implicit-def: $vgpr2
	s_branch .LBB118_1127
.LBB118_1123:
	s_mov_b32 s33, -1
                                        ; implicit-def: $vgpr2
.LBB118_1124:
	s_delay_alu instid0(SALU_CYCLE_1)
	s_and_not1_b32 vcc_lo, exec_lo, s33
	s_cbranch_vccnz .LBB118_1126
; %bb.1125:
	s_wait_loadcnt 0x0
	global_load_b32 v2, v[0:1], off
.LBB118_1126:
	s_mov_b32 s33, 0
.LBB118_1127:
	s_delay_alu instid0(SALU_CYCLE_1)
	s_and_not1_b32 vcc_lo, exec_lo, s33
	s_cbranch_vccnz .LBB118_1129
; %bb.1128:
	s_wait_loadcnt 0x0
	global_load_i16 v2, v[0:1], off
.LBB118_1129:
	s_mov_b32 s33, 0
.LBB118_1130:
	s_delay_alu instid0(SALU_CYCLE_1)
	s_and_not1_b32 vcc_lo, exec_lo, s33
	s_cbranch_vccnz .LBB118_1136
; %bb.1131:
	s_cmp_gt_i32 s0, 0
	s_mov_b32 s0, 0
	s_cbranch_scc0 .LBB118_1133
; %bb.1132:
	s_wait_loadcnt 0x0
	global_load_i8 v2, v[0:1], off
	s_branch .LBB118_1134
.LBB118_1133:
	s_mov_b32 s0, -1
                                        ; implicit-def: $vgpr2
.LBB118_1134:
	s_delay_alu instid0(SALU_CYCLE_1)
	s_and_not1_b32 vcc_lo, exec_lo, s0
	s_cbranch_vccnz .LBB118_1136
; %bb.1135:
	s_wait_loadcnt 0x0
	global_load_u8 v2, v[0:1], off
.LBB118_1136:
	s_mov_b32 s34, -1
.LBB118_1137:
	s_delay_alu instid0(SALU_CYCLE_1)
	s_and_not1_b32 vcc_lo, exec_lo, s34
	s_cbranch_vccnz .LBB118_1145
; %bb.1138:
	s_wait_xcnt 0x0
	v_mul_lo_u32 v0, v8, s14
	s_and_b32 s0, s3, 0xff
	s_delay_alu instid0(SALU_CYCLE_1) | instskip(NEXT) | instid1(VALU_DEP_1)
	s_cmp_lt_i32 s0, 11
	v_ashrrev_i32_e32 v1, 31, v0
	s_delay_alu instid0(VALU_DEP_1)
	v_add_nc_u64_e32 v[0:1], s[8:9], v[0:1]
	s_cbranch_scc1 .LBB118_1146
; %bb.1139:
	s_and_b32 s34, 0xffff, s0
	s_delay_alu instid0(SALU_CYCLE_1)
	s_cmp_gt_i32 s34, 25
	s_cbranch_scc0 .LBB118_1147
; %bb.1140:
	s_cmp_gt_i32 s34, 28
	s_cbranch_scc0 .LBB118_1148
; %bb.1141:
	;; [unrolled: 3-line block ×4, first 2 shown]
	s_cmp_eq_u32 s34, 46
	s_mov_b32 s36, 0
	s_cbranch_scc0 .LBB118_1153
; %bb.1144:
	s_wait_loadcnt 0x0
	global_load_b32 v3, v[0:1], off
	s_mov_b32 s35, -1
	s_mov_b32 s33, 0
	s_wait_loadcnt 0x0
	v_lshlrev_b32_e32 v3, 16, v3
	s_delay_alu instid0(VALU_DEP_1)
	v_cvt_i32_f32_e32 v3, v3
	s_branch .LBB118_1155
.LBB118_1145:
	s_mov_b32 s36, 0
	s_mov_b32 s0, s26
	;; [unrolled: 1-line block ×4, first 2 shown]
	s_branch .LBB118_1518
.LBB118_1146:
	s_mov_b32 s34, -1
	s_mov_b32 s35, 0
	s_mov_b32 s33, s28
                                        ; implicit-def: $vgpr3
	s_branch .LBB118_1216
.LBB118_1147:
	s_mov_b32 s36, -1
	s_mov_b32 s35, 0
	s_mov_b32 s33, s28
                                        ; implicit-def: $vgpr3
	s_branch .LBB118_1182
.LBB118_1148:
	s_mov_b32 s36, -1
	s_mov_b32 s35, 0
	s_mov_b32 s33, s28
                                        ; implicit-def: $vgpr3
	s_branch .LBB118_1165
.LBB118_1149:
	s_mov_b32 s36, -1
	s_mov_b32 s35, 0
	s_mov_b32 s33, s28
                                        ; implicit-def: $vgpr3
	s_branch .LBB118_1160
.LBB118_1150:
	s_mov_b32 s36, -1
	s_mov_b32 s35, 0
	s_mov_b32 s33, s28
	s_branch .LBB118_1154
.LBB118_1151:
	s_and_not1_saveexec_b32 s34, s34
	s_cbranch_execz .LBB118_919
.LBB118_1152:
	v_add_f32_e64 v4, 0x46000000, |v3|
	s_and_not1_b32 s33, s33, exec_lo
	s_delay_alu instid0(VALU_DEP_1) | instskip(NEXT) | instid1(VALU_DEP_1)
	v_and_b32_e32 v4, 0xff, v4
	v_cmp_ne_u32_e32 vcc_lo, 0, v4
	s_and_b32 s35, vcc_lo, exec_lo
	s_delay_alu instid0(SALU_CYCLE_1)
	s_or_b32 s33, s33, s35
	s_or_b32 exec_lo, exec_lo, s34
	v_mov_b32_e32 v5, 0
	s_and_saveexec_b32 s34, s33
	s_cbranch_execnz .LBB118_920
	s_branch .LBB118_921
.LBB118_1153:
	s_mov_b32 s33, -1
	s_mov_b32 s35, 0
.LBB118_1154:
                                        ; implicit-def: $vgpr3
.LBB118_1155:
	s_and_b32 vcc_lo, exec_lo, s36
	s_cbranch_vccz .LBB118_1159
; %bb.1156:
	s_cmp_eq_u32 s34, 44
	s_cbranch_scc0 .LBB118_1158
; %bb.1157:
	s_wait_loadcnt 0x0
	global_load_u8 v3, v[0:1], off
	s_mov_b32 s33, 0
	s_mov_b32 s35, -1
	s_wait_loadcnt 0x0
	v_lshlrev_b32_e32 v4, 23, v3
	v_cmp_ne_u32_e32 vcc_lo, 0, v3
	s_delay_alu instid0(VALU_DEP_2) | instskip(NEXT) | instid1(VALU_DEP_1)
	v_cvt_i32_f32_e32 v4, v4
	v_cndmask_b32_e32 v3, 0, v4, vcc_lo
	s_branch .LBB118_1159
.LBB118_1158:
	s_mov_b32 s33, -1
                                        ; implicit-def: $vgpr3
.LBB118_1159:
	s_mov_b32 s36, 0
.LBB118_1160:
	s_delay_alu instid0(SALU_CYCLE_1)
	s_and_b32 vcc_lo, exec_lo, s36
	s_cbranch_vccz .LBB118_1164
; %bb.1161:
	s_cmp_eq_u32 s34, 29
	s_cbranch_scc0 .LBB118_1163
; %bb.1162:
	s_wait_loadcnt 0x0
	global_load_b32 v3, v[0:1], off
	s_mov_b32 s35, -1
	s_mov_b32 s33, 0
	s_branch .LBB118_1164
.LBB118_1163:
	s_mov_b32 s33, -1
                                        ; implicit-def: $vgpr3
.LBB118_1164:
	s_mov_b32 s36, 0
.LBB118_1165:
	s_delay_alu instid0(SALU_CYCLE_1)
	s_and_b32 vcc_lo, exec_lo, s36
	s_cbranch_vccz .LBB118_1181
; %bb.1166:
	s_cmp_lt_i32 s34, 27
	s_cbranch_scc1 .LBB118_1169
; %bb.1167:
	s_cmp_gt_i32 s34, 27
	s_cbranch_scc0 .LBB118_1170
; %bb.1168:
	s_wait_loadcnt 0x0
	global_load_b32 v3, v[0:1], off
	s_mov_b32 s35, 0
	s_branch .LBB118_1171
.LBB118_1169:
	s_mov_b32 s35, -1
                                        ; implicit-def: $vgpr3
	s_branch .LBB118_1174
.LBB118_1170:
	s_mov_b32 s35, -1
                                        ; implicit-def: $vgpr3
.LBB118_1171:
	s_delay_alu instid0(SALU_CYCLE_1)
	s_and_not1_b32 vcc_lo, exec_lo, s35
	s_cbranch_vccnz .LBB118_1173
; %bb.1172:
	s_wait_loadcnt 0x0
	global_load_u16 v3, v[0:1], off
.LBB118_1173:
	s_mov_b32 s35, 0
.LBB118_1174:
	s_delay_alu instid0(SALU_CYCLE_1)
	s_and_not1_b32 vcc_lo, exec_lo, s35
	s_cbranch_vccnz .LBB118_1180
; %bb.1175:
	s_wait_loadcnt 0x0
	global_load_u8 v4, v[0:1], off
	s_mov_b32 s36, 0
	s_mov_b32 s35, exec_lo
	s_wait_loadcnt 0x0
	v_cmpx_lt_i16_e32 0x7f, v4
	s_xor_b32 s35, exec_lo, s35
	s_cbranch_execz .LBB118_1192
; %bb.1176:
	v_cmp_ne_u16_e32 vcc_lo, 0x80, v4
	s_and_b32 s36, vcc_lo, exec_lo
	s_and_not1_saveexec_b32 s35, s35
	s_cbranch_execnz .LBB118_1193
.LBB118_1177:
	s_or_b32 exec_lo, exec_lo, s35
	v_mov_b32_e32 v3, 0
	s_and_saveexec_b32 s35, s36
	s_cbranch_execz .LBB118_1179
.LBB118_1178:
	v_and_b32_e32 v3, 0xffff, v4
	s_delay_alu instid0(VALU_DEP_1) | instskip(SKIP_1) | instid1(VALU_DEP_2)
	v_and_b32_e32 v5, 7, v3
	v_bfe_u32 v9, v3, 3, 4
	v_clz_i32_u32_e32 v6, v5
	s_delay_alu instid0(VALU_DEP_2) | instskip(NEXT) | instid1(VALU_DEP_2)
	v_cmp_eq_u32_e32 vcc_lo, 0, v9
	v_min_u32_e32 v6, 32, v6
	s_delay_alu instid0(VALU_DEP_1) | instskip(NEXT) | instid1(VALU_DEP_1)
	v_subrev_nc_u32_e32 v7, 28, v6
	v_dual_lshlrev_b32 v3, v7, v3 :: v_dual_sub_nc_u32 v6, 29, v6
	s_delay_alu instid0(VALU_DEP_1) | instskip(NEXT) | instid1(VALU_DEP_2)
	v_dual_lshlrev_b32 v4, 24, v4 :: v_dual_bitop2_b32 v3, 7, v3 bitop3:0x40
	v_cndmask_b32_e32 v6, v9, v6, vcc_lo
	s_delay_alu instid0(VALU_DEP_2) | instskip(NEXT) | instid1(VALU_DEP_3)
	v_cndmask_b32_e32 v3, v5, v3, vcc_lo
	v_and_b32_e32 v4, 0x80000000, v4
	s_delay_alu instid0(VALU_DEP_3) | instskip(NEXT) | instid1(VALU_DEP_3)
	v_lshl_add_u32 v5, v6, 23, 0x3b800000
	v_lshlrev_b32_e32 v3, 20, v3
	s_delay_alu instid0(VALU_DEP_1) | instskip(NEXT) | instid1(VALU_DEP_1)
	v_or3_b32 v3, v4, v5, v3
	v_cvt_i32_f32_e32 v3, v3
.LBB118_1179:
	s_or_b32 exec_lo, exec_lo, s35
.LBB118_1180:
	s_mov_b32 s35, -1
.LBB118_1181:
	s_mov_b32 s36, 0
.LBB118_1182:
	s_delay_alu instid0(SALU_CYCLE_1)
	s_and_b32 vcc_lo, exec_lo, s36
	s_cbranch_vccz .LBB118_1215
; %bb.1183:
	s_cmp_gt_i32 s34, 22
	s_cbranch_scc0 .LBB118_1191
; %bb.1184:
	s_cmp_lt_i32 s34, 24
	s_cbranch_scc1 .LBB118_1194
; %bb.1185:
	s_cmp_gt_i32 s34, 24
	s_cbranch_scc0 .LBB118_1195
; %bb.1186:
	s_wait_loadcnt 0x0
	global_load_u8 v4, v[0:1], off
	s_mov_b32 s36, 0
	s_mov_b32 s35, exec_lo
	s_wait_loadcnt 0x0
	v_cmpx_lt_i16_e32 0x7f, v4
	s_xor_b32 s35, exec_lo, s35
	s_cbranch_execz .LBB118_1207
; %bb.1187:
	v_cmp_ne_u16_e32 vcc_lo, 0x80, v4
	s_and_b32 s36, vcc_lo, exec_lo
	s_and_not1_saveexec_b32 s35, s35
	s_cbranch_execnz .LBB118_1208
.LBB118_1188:
	s_or_b32 exec_lo, exec_lo, s35
	v_mov_b32_e32 v3, 0
	s_and_saveexec_b32 s35, s36
	s_cbranch_execz .LBB118_1190
.LBB118_1189:
	v_and_b32_e32 v3, 0xffff, v4
	s_delay_alu instid0(VALU_DEP_1) | instskip(SKIP_1) | instid1(VALU_DEP_2)
	v_and_b32_e32 v5, 3, v3
	v_bfe_u32 v9, v3, 2, 5
	v_clz_i32_u32_e32 v6, v5
	s_delay_alu instid0(VALU_DEP_2) | instskip(NEXT) | instid1(VALU_DEP_2)
	v_cmp_eq_u32_e32 vcc_lo, 0, v9
	v_min_u32_e32 v6, 32, v6
	s_delay_alu instid0(VALU_DEP_1) | instskip(NEXT) | instid1(VALU_DEP_1)
	v_subrev_nc_u32_e32 v7, 29, v6
	v_dual_lshlrev_b32 v3, v7, v3 :: v_dual_sub_nc_u32 v6, 30, v6
	s_delay_alu instid0(VALU_DEP_1) | instskip(NEXT) | instid1(VALU_DEP_2)
	v_dual_lshlrev_b32 v4, 24, v4 :: v_dual_bitop2_b32 v3, 3, v3 bitop3:0x40
	v_cndmask_b32_e32 v6, v9, v6, vcc_lo
	s_delay_alu instid0(VALU_DEP_2) | instskip(NEXT) | instid1(VALU_DEP_3)
	v_cndmask_b32_e32 v3, v5, v3, vcc_lo
	v_and_b32_e32 v4, 0x80000000, v4
	s_delay_alu instid0(VALU_DEP_3) | instskip(NEXT) | instid1(VALU_DEP_3)
	v_lshl_add_u32 v5, v6, 23, 0x37800000
	v_lshlrev_b32_e32 v3, 21, v3
	s_delay_alu instid0(VALU_DEP_1) | instskip(NEXT) | instid1(VALU_DEP_1)
	v_or3_b32 v3, v4, v5, v3
	v_cvt_i32_f32_e32 v3, v3
.LBB118_1190:
	s_or_b32 exec_lo, exec_lo, s35
	s_mov_b32 s35, 0
	s_branch .LBB118_1196
.LBB118_1191:
	s_mov_b32 s36, -1
                                        ; implicit-def: $vgpr3
	s_branch .LBB118_1202
.LBB118_1192:
	s_and_not1_saveexec_b32 s35, s35
	s_cbranch_execz .LBB118_1177
.LBB118_1193:
	v_cmp_ne_u16_e32 vcc_lo, 0, v4
	s_and_not1_b32 s36, s36, exec_lo
	s_and_b32 s37, vcc_lo, exec_lo
	s_delay_alu instid0(SALU_CYCLE_1)
	s_or_b32 s36, s36, s37
	s_or_b32 exec_lo, exec_lo, s35
	v_mov_b32_e32 v3, 0
	s_and_saveexec_b32 s35, s36
	s_cbranch_execnz .LBB118_1178
	s_branch .LBB118_1179
.LBB118_1194:
	s_mov_b32 s35, -1
                                        ; implicit-def: $vgpr3
	s_branch .LBB118_1199
.LBB118_1195:
	s_mov_b32 s35, -1
                                        ; implicit-def: $vgpr3
.LBB118_1196:
	s_delay_alu instid0(SALU_CYCLE_1)
	s_and_b32 vcc_lo, exec_lo, s35
	s_cbranch_vccz .LBB118_1198
; %bb.1197:
	s_wait_loadcnt 0x0
	global_load_u8 v3, v[0:1], off
	s_wait_loadcnt 0x0
	v_lshlrev_b32_e32 v3, 24, v3
	s_delay_alu instid0(VALU_DEP_1) | instskip(NEXT) | instid1(VALU_DEP_1)
	v_and_b32_e32 v4, 0x7f000000, v3
	v_clz_i32_u32_e32 v5, v4
	v_cmp_ne_u32_e32 vcc_lo, 0, v4
	v_add_nc_u32_e32 v7, 0x1000000, v4
	s_delay_alu instid0(VALU_DEP_3) | instskip(NEXT) | instid1(VALU_DEP_1)
	v_min_u32_e32 v5, 32, v5
	v_sub_nc_u32_e64 v5, v5, 4 clamp
	s_delay_alu instid0(VALU_DEP_1) | instskip(NEXT) | instid1(VALU_DEP_1)
	v_dual_lshlrev_b32 v6, v5, v4 :: v_dual_lshlrev_b32 v5, 23, v5
	v_lshrrev_b32_e32 v6, 4, v6
	s_delay_alu instid0(VALU_DEP_1) | instskip(NEXT) | instid1(VALU_DEP_1)
	v_dual_sub_nc_u32 v5, v6, v5 :: v_dual_ashrrev_i32 v6, 8, v7
	v_add_nc_u32_e32 v5, 0x3c000000, v5
	s_delay_alu instid0(VALU_DEP_1) | instskip(NEXT) | instid1(VALU_DEP_1)
	v_and_or_b32 v5, 0x7f800000, v6, v5
	v_cndmask_b32_e32 v4, 0, v5, vcc_lo
	s_delay_alu instid0(VALU_DEP_1) | instskip(NEXT) | instid1(VALU_DEP_1)
	v_and_or_b32 v3, 0x80000000, v3, v4
	v_cvt_i32_f32_e32 v3, v3
.LBB118_1198:
	s_mov_b32 s35, 0
.LBB118_1199:
	s_delay_alu instid0(SALU_CYCLE_1)
	s_and_not1_b32 vcc_lo, exec_lo, s35
	s_cbranch_vccnz .LBB118_1201
; %bb.1200:
	s_wait_loadcnt 0x0
	global_load_u8 v3, v[0:1], off
	s_wait_loadcnt 0x0
	v_lshlrev_b32_e32 v4, 25, v3
	v_lshlrev_b16 v3, 8, v3
	s_delay_alu instid0(VALU_DEP_1) | instskip(SKIP_1) | instid1(VALU_DEP_2)
	v_and_or_b32 v6, 0x7f00, v3, 0.5
	v_bfe_i32 v3, v3, 0, 16
	v_dual_add_f32 v6, -0.5, v6 :: v_dual_lshrrev_b32 v5, 4, v4
	v_cmp_gt_u32_e32 vcc_lo, 0x8000000, v4
	s_delay_alu instid0(VALU_DEP_2) | instskip(NEXT) | instid1(VALU_DEP_1)
	v_or_b32_e32 v5, 0x70000000, v5
	v_mul_f32_e32 v5, 0x7800000, v5
	s_delay_alu instid0(VALU_DEP_1) | instskip(NEXT) | instid1(VALU_DEP_1)
	v_cndmask_b32_e32 v4, v5, v6, vcc_lo
	v_and_or_b32 v3, 0x80000000, v3, v4
	s_delay_alu instid0(VALU_DEP_1)
	v_cvt_i32_f32_e32 v3, v3
.LBB118_1201:
	s_mov_b32 s36, 0
	s_mov_b32 s35, -1
.LBB118_1202:
	s_and_not1_b32 vcc_lo, exec_lo, s36
	s_cbranch_vccnz .LBB118_1215
; %bb.1203:
	s_cmp_gt_i32 s34, 14
	s_cbranch_scc0 .LBB118_1206
; %bb.1204:
	s_cmp_eq_u32 s34, 15
	s_cbranch_scc0 .LBB118_1209
; %bb.1205:
	s_wait_loadcnt 0x0
	global_load_u16 v3, v[0:1], off
	s_mov_b32 s35, -1
	s_mov_b32 s33, 0
	s_wait_loadcnt 0x0
	v_lshlrev_b32_e32 v3, 16, v3
	s_delay_alu instid0(VALU_DEP_1)
	v_cvt_i32_f32_e32 v3, v3
	s_branch .LBB118_1210
.LBB118_1206:
	s_mov_b32 s36, -1
                                        ; implicit-def: $vgpr3
	s_branch .LBB118_1211
.LBB118_1207:
	s_and_not1_saveexec_b32 s35, s35
	s_cbranch_execz .LBB118_1188
.LBB118_1208:
	v_cmp_ne_u16_e32 vcc_lo, 0, v4
	s_and_not1_b32 s36, s36, exec_lo
	s_and_b32 s37, vcc_lo, exec_lo
	s_delay_alu instid0(SALU_CYCLE_1)
	s_or_b32 s36, s36, s37
	s_or_b32 exec_lo, exec_lo, s35
	v_mov_b32_e32 v3, 0
	s_and_saveexec_b32 s35, s36
	s_cbranch_execnz .LBB118_1189
	s_branch .LBB118_1190
.LBB118_1209:
	s_mov_b32 s33, -1
                                        ; implicit-def: $vgpr3
.LBB118_1210:
	s_mov_b32 s36, 0
.LBB118_1211:
	s_delay_alu instid0(SALU_CYCLE_1)
	s_and_b32 vcc_lo, exec_lo, s36
	s_cbranch_vccz .LBB118_1215
; %bb.1212:
	s_cmp_eq_u32 s34, 11
	s_cbranch_scc0 .LBB118_1214
; %bb.1213:
	s_wait_loadcnt 0x0
	global_load_u8 v3, v[0:1], off
	s_mov_b32 s33, 0
	s_mov_b32 s35, -1
	s_wait_loadcnt 0x0
	v_cmp_ne_u16_e32 vcc_lo, 0, v3
	v_cndmask_b32_e64 v3, 0, 1, vcc_lo
	s_branch .LBB118_1215
.LBB118_1214:
	s_mov_b32 s33, -1
                                        ; implicit-def: $vgpr3
.LBB118_1215:
	s_mov_b32 s34, 0
.LBB118_1216:
	s_delay_alu instid0(SALU_CYCLE_1)
	s_and_b32 vcc_lo, exec_lo, s34
	s_cbranch_vccz .LBB118_1265
; %bb.1217:
	s_and_b32 s0, 0xffff, s0
	s_delay_alu instid0(SALU_CYCLE_1)
	s_cmp_lt_i32 s0, 5
	s_cbranch_scc1 .LBB118_1222
; %bb.1218:
	s_cmp_lt_i32 s0, 8
	s_cbranch_scc1 .LBB118_1223
; %bb.1219:
	;; [unrolled: 3-line block ×3, first 2 shown]
	s_cmp_gt_i32 s0, 9
	s_cbranch_scc0 .LBB118_1225
; %bb.1221:
	s_wait_loadcnt 0x0
	global_load_b64 v[4:5], v[0:1], off
	s_mov_b32 s34, 0
	s_wait_loadcnt 0x0
	v_cvt_i32_f64_e32 v3, v[4:5]
	s_branch .LBB118_1226
.LBB118_1222:
	s_mov_b32 s34, -1
                                        ; implicit-def: $vgpr3
	s_branch .LBB118_1244
.LBB118_1223:
	s_mov_b32 s34, -1
                                        ; implicit-def: $vgpr3
	s_branch .LBB118_1232
.LBB118_1224:
	s_mov_b32 s34, -1
                                        ; implicit-def: $vgpr3
	s_branch .LBB118_1229
.LBB118_1225:
	s_mov_b32 s34, -1
                                        ; implicit-def: $vgpr3
.LBB118_1226:
	s_delay_alu instid0(SALU_CYCLE_1)
	s_and_not1_b32 vcc_lo, exec_lo, s34
	s_cbranch_vccnz .LBB118_1228
; %bb.1227:
	s_wait_loadcnt 0x0
	global_load_b32 v3, v[0:1], off
	s_wait_loadcnt 0x0
	v_cvt_i32_f32_e32 v3, v3
.LBB118_1228:
	s_mov_b32 s34, 0
.LBB118_1229:
	s_delay_alu instid0(SALU_CYCLE_1)
	s_and_not1_b32 vcc_lo, exec_lo, s34
	s_cbranch_vccnz .LBB118_1231
; %bb.1230:
	s_wait_loadcnt 0x0
	global_load_b32 v3, v[0:1], off
	s_wait_loadcnt 0x0
	v_cvt_f32_f16_e32 v3, v3
	s_delay_alu instid0(VALU_DEP_1)
	v_cvt_i32_f32_e32 v3, v3
.LBB118_1231:
	s_mov_b32 s34, 0
.LBB118_1232:
	s_delay_alu instid0(SALU_CYCLE_1)
	s_and_not1_b32 vcc_lo, exec_lo, s34
	s_cbranch_vccnz .LBB118_1243
; %bb.1233:
	s_cmp_lt_i32 s0, 6
	s_cbranch_scc1 .LBB118_1236
; %bb.1234:
	s_cmp_gt_i32 s0, 6
	s_cbranch_scc0 .LBB118_1237
; %bb.1235:
	s_wait_loadcnt 0x0
	global_load_b64 v[4:5], v[0:1], off
	s_mov_b32 s34, 0
	s_wait_loadcnt 0x0
	v_cvt_i32_f64_e32 v3, v[4:5]
	s_branch .LBB118_1238
.LBB118_1236:
	s_mov_b32 s34, -1
                                        ; implicit-def: $vgpr3
	s_branch .LBB118_1241
.LBB118_1237:
	s_mov_b32 s34, -1
                                        ; implicit-def: $vgpr3
.LBB118_1238:
	s_delay_alu instid0(SALU_CYCLE_1)
	s_and_not1_b32 vcc_lo, exec_lo, s34
	s_cbranch_vccnz .LBB118_1240
; %bb.1239:
	s_wait_loadcnt 0x0
	global_load_b32 v3, v[0:1], off
	s_wait_loadcnt 0x0
	v_cvt_i32_f32_e32 v3, v3
.LBB118_1240:
	s_mov_b32 s34, 0
.LBB118_1241:
	s_delay_alu instid0(SALU_CYCLE_1)
	s_and_not1_b32 vcc_lo, exec_lo, s34
	s_cbranch_vccnz .LBB118_1243
; %bb.1242:
	s_wait_loadcnt 0x0
	global_load_u16 v3, v[0:1], off
	s_wait_loadcnt 0x0
	v_cvt_f32_f16_e32 v3, v3
	s_delay_alu instid0(VALU_DEP_1)
	v_cvt_i32_f32_e32 v3, v3
.LBB118_1243:
	s_mov_b32 s34, 0
.LBB118_1244:
	s_delay_alu instid0(SALU_CYCLE_1)
	s_and_not1_b32 vcc_lo, exec_lo, s34
	s_cbranch_vccnz .LBB118_1264
; %bb.1245:
	s_cmp_lt_i32 s0, 2
	s_cbranch_scc1 .LBB118_1249
; %bb.1246:
	s_cmp_lt_i32 s0, 3
	s_cbranch_scc1 .LBB118_1250
; %bb.1247:
	s_cmp_gt_i32 s0, 3
	s_cbranch_scc0 .LBB118_1251
; %bb.1248:
	s_wait_loadcnt 0x0
	global_load_b32 v3, v[0:1], off
	s_mov_b32 s34, 0
	s_branch .LBB118_1252
.LBB118_1249:
	s_mov_b32 s34, -1
                                        ; implicit-def: $vgpr3
	s_branch .LBB118_1258
.LBB118_1250:
	s_mov_b32 s34, -1
                                        ; implicit-def: $vgpr3
	s_branch .LBB118_1255
.LBB118_1251:
	s_mov_b32 s34, -1
                                        ; implicit-def: $vgpr3
.LBB118_1252:
	s_delay_alu instid0(SALU_CYCLE_1)
	s_and_not1_b32 vcc_lo, exec_lo, s34
	s_cbranch_vccnz .LBB118_1254
; %bb.1253:
	s_wait_loadcnt 0x0
	global_load_b32 v3, v[0:1], off
.LBB118_1254:
	s_mov_b32 s34, 0
.LBB118_1255:
	s_delay_alu instid0(SALU_CYCLE_1)
	s_and_not1_b32 vcc_lo, exec_lo, s34
	s_cbranch_vccnz .LBB118_1257
; %bb.1256:
	s_wait_loadcnt 0x0
	global_load_i16 v3, v[0:1], off
.LBB118_1257:
	s_mov_b32 s34, 0
.LBB118_1258:
	s_delay_alu instid0(SALU_CYCLE_1)
	s_and_not1_b32 vcc_lo, exec_lo, s34
	s_cbranch_vccnz .LBB118_1264
; %bb.1259:
	s_cmp_gt_i32 s0, 0
	s_mov_b32 s0, 0
	s_cbranch_scc0 .LBB118_1261
; %bb.1260:
	s_wait_loadcnt 0x0
	global_load_i8 v3, v[0:1], off
	s_branch .LBB118_1262
.LBB118_1261:
	s_mov_b32 s0, -1
                                        ; implicit-def: $vgpr3
.LBB118_1262:
	s_delay_alu instid0(SALU_CYCLE_1)
	s_and_not1_b32 vcc_lo, exec_lo, s0
	s_cbranch_vccnz .LBB118_1264
; %bb.1263:
	s_wait_loadcnt 0x0
	global_load_u8 v3, v[0:1], off
.LBB118_1264:
	s_mov_b32 s35, -1
.LBB118_1265:
	s_delay_alu instid0(SALU_CYCLE_1)
	s_and_not1_b32 vcc_lo, exec_lo, s35
	s_cbranch_vccnz .LBB118_1273
; %bb.1266:
	s_wait_xcnt 0x0
	v_mul_lo_u32 v0, v8, s15
	s_and_b32 s0, 0xffff, s1
	s_delay_alu instid0(SALU_CYCLE_1) | instskip(NEXT) | instid1(VALU_DEP_1)
	s_cmp_lt_i32 s0, 11
	v_ashrrev_i32_e32 v1, 31, v0
	s_delay_alu instid0(VALU_DEP_1)
	v_add_nc_u64_e32 v[0:1], s[10:11], v[0:1]
	s_cbranch_scc1 .LBB118_1274
; %bb.1267:
	s_cmp_gt_i32 s0, 25
	s_cbranch_scc0 .LBB118_1275
; %bb.1268:
	s_cmp_gt_i32 s0, 28
	s_cbranch_scc0 .LBB118_1276
; %bb.1269:
	s_cmp_gt_i32 s0, 43
	s_cbranch_scc0 .LBB118_1277
; %bb.1270:
	s_cmp_gt_i32 s0, 45
	s_cbranch_scc0 .LBB118_1278
; %bb.1271:
	s_cmp_eq_u32 s0, 46
	s_mov_b32 s36, 0
	s_cbranch_scc0 .LBB118_1281
; %bb.1272:
	s_wait_loadcnt 0x0
	global_load_b32 v4, v[0:1], off
	s_mov_b32 s35, -1
	s_mov_b32 s34, 0
	s_wait_loadcnt 0x0
	v_lshlrev_b32_e32 v4, 16, v4
	s_delay_alu instid0(VALU_DEP_1)
	v_cvt_i32_f32_e32 v4, v4
	s_branch .LBB118_1283
.LBB118_1273:
	s_mov_b32 s36, 0
	s_mov_b32 s0, s26
	;; [unrolled: 1-line block ×3, first 2 shown]
	s_branch .LBB118_1518
.LBB118_1274:
	s_mov_b32 s36, -1
	s_mov_b32 s35, 0
	s_mov_b32 s34, s27
                                        ; implicit-def: $vgpr4
	s_branch .LBB118_1344
.LBB118_1275:
	s_mov_b32 s36, -1
	s_mov_b32 s35, 0
	s_mov_b32 s34, s27
                                        ; implicit-def: $vgpr4
	s_branch .LBB118_1310
.LBB118_1276:
	s_mov_b32 s36, -1
	s_mov_b32 s35, 0
	s_mov_b32 s34, s27
                                        ; implicit-def: $vgpr4
	s_branch .LBB118_1293
.LBB118_1277:
	s_mov_b32 s36, -1
	s_mov_b32 s35, 0
	s_mov_b32 s34, s27
                                        ; implicit-def: $vgpr4
	s_branch .LBB118_1288
.LBB118_1278:
	s_mov_b32 s36, -1
	s_mov_b32 s35, 0
	s_mov_b32 s34, s27
	s_branch .LBB118_1282
.LBB118_1279:
	s_and_not1_saveexec_b32 s34, s34
	s_cbranch_execz .LBB118_932
.LBB118_1280:
	v_add_f32_e64 v4, 0x42800000, |v3|
	s_and_not1_b32 s33, s33, exec_lo
	s_delay_alu instid0(VALU_DEP_1) | instskip(NEXT) | instid1(VALU_DEP_1)
	v_and_b32_e32 v4, 0xff, v4
	v_cmp_ne_u32_e32 vcc_lo, 0, v4
	s_and_b32 s35, vcc_lo, exec_lo
	s_delay_alu instid0(SALU_CYCLE_1)
	s_or_b32 s33, s33, s35
	s_or_b32 exec_lo, exec_lo, s34
	v_mov_b32_e32 v5, 0
	s_and_saveexec_b32 s34, s33
	s_cbranch_execnz .LBB118_933
	s_branch .LBB118_934
.LBB118_1281:
	s_mov_b32 s34, -1
	s_mov_b32 s35, 0
.LBB118_1282:
                                        ; implicit-def: $vgpr4
.LBB118_1283:
	s_and_b32 vcc_lo, exec_lo, s36
	s_cbranch_vccz .LBB118_1287
; %bb.1284:
	s_cmp_eq_u32 s0, 44
	s_cbranch_scc0 .LBB118_1286
; %bb.1285:
	s_wait_loadcnt 0x0
	global_load_u8 v4, v[0:1], off
	s_mov_b32 s34, 0
	s_mov_b32 s35, -1
	s_wait_loadcnt 0x0
	v_lshlrev_b32_e32 v5, 23, v4
	v_cmp_ne_u32_e32 vcc_lo, 0, v4
	s_delay_alu instid0(VALU_DEP_2) | instskip(NEXT) | instid1(VALU_DEP_1)
	v_cvt_i32_f32_e32 v5, v5
	v_cndmask_b32_e32 v4, 0, v5, vcc_lo
	s_branch .LBB118_1287
.LBB118_1286:
	s_mov_b32 s34, -1
                                        ; implicit-def: $vgpr4
.LBB118_1287:
	s_mov_b32 s36, 0
.LBB118_1288:
	s_delay_alu instid0(SALU_CYCLE_1)
	s_and_b32 vcc_lo, exec_lo, s36
	s_cbranch_vccz .LBB118_1292
; %bb.1289:
	s_cmp_eq_u32 s0, 29
	s_cbranch_scc0 .LBB118_1291
; %bb.1290:
	s_wait_loadcnt 0x0
	global_load_b32 v4, v[0:1], off
	s_mov_b32 s35, -1
	s_mov_b32 s34, 0
	s_branch .LBB118_1292
.LBB118_1291:
	s_mov_b32 s34, -1
                                        ; implicit-def: $vgpr4
.LBB118_1292:
	s_mov_b32 s36, 0
.LBB118_1293:
	s_delay_alu instid0(SALU_CYCLE_1)
	s_and_b32 vcc_lo, exec_lo, s36
	s_cbranch_vccz .LBB118_1309
; %bb.1294:
	s_cmp_lt_i32 s0, 27
	s_cbranch_scc1 .LBB118_1297
; %bb.1295:
	s_cmp_gt_i32 s0, 27
	s_cbranch_scc0 .LBB118_1298
; %bb.1296:
	s_wait_loadcnt 0x0
	global_load_b32 v4, v[0:1], off
	s_mov_b32 s35, 0
	s_branch .LBB118_1299
.LBB118_1297:
	s_mov_b32 s35, -1
                                        ; implicit-def: $vgpr4
	s_branch .LBB118_1302
.LBB118_1298:
	s_mov_b32 s35, -1
                                        ; implicit-def: $vgpr4
.LBB118_1299:
	s_delay_alu instid0(SALU_CYCLE_1)
	s_and_not1_b32 vcc_lo, exec_lo, s35
	s_cbranch_vccnz .LBB118_1301
; %bb.1300:
	s_wait_loadcnt 0x0
	global_load_u16 v4, v[0:1], off
.LBB118_1301:
	s_mov_b32 s35, 0
.LBB118_1302:
	s_delay_alu instid0(SALU_CYCLE_1)
	s_and_not1_b32 vcc_lo, exec_lo, s35
	s_cbranch_vccnz .LBB118_1308
; %bb.1303:
	global_load_u8 v5, v[0:1], off
	s_mov_b32 s36, 0
	s_mov_b32 s35, exec_lo
	s_wait_loadcnt 0x0
	v_cmpx_lt_i16_e32 0x7f, v5
	s_xor_b32 s35, exec_lo, s35
	s_cbranch_execz .LBB118_1320
; %bb.1304:
	v_cmp_ne_u16_e32 vcc_lo, 0x80, v5
	s_and_b32 s36, vcc_lo, exec_lo
	s_and_not1_saveexec_b32 s35, s35
	s_cbranch_execnz .LBB118_1321
.LBB118_1305:
	s_or_b32 exec_lo, exec_lo, s35
	v_mov_b32_e32 v4, 0
	s_and_saveexec_b32 s35, s36
	s_cbranch_execz .LBB118_1307
.LBB118_1306:
	v_and_b32_e32 v4, 0xffff, v5
	s_delay_alu instid0(VALU_DEP_1) | instskip(SKIP_1) | instid1(VALU_DEP_2)
	v_and_b32_e32 v6, 7, v4
	v_bfe_u32 v10, v4, 3, 4
	v_clz_i32_u32_e32 v7, v6
	s_delay_alu instid0(VALU_DEP_2) | instskip(NEXT) | instid1(VALU_DEP_2)
	v_cmp_eq_u32_e32 vcc_lo, 0, v10
	v_min_u32_e32 v7, 32, v7
	s_delay_alu instid0(VALU_DEP_1) | instskip(NEXT) | instid1(VALU_DEP_1)
	v_subrev_nc_u32_e32 v9, 28, v7
	v_dual_lshlrev_b32 v4, v9, v4 :: v_dual_sub_nc_u32 v7, 29, v7
	s_delay_alu instid0(VALU_DEP_1) | instskip(NEXT) | instid1(VALU_DEP_2)
	v_dual_lshlrev_b32 v5, 24, v5 :: v_dual_bitop2_b32 v4, 7, v4 bitop3:0x40
	v_cndmask_b32_e32 v7, v10, v7, vcc_lo
	s_delay_alu instid0(VALU_DEP_2) | instskip(NEXT) | instid1(VALU_DEP_3)
	v_cndmask_b32_e32 v4, v6, v4, vcc_lo
	v_and_b32_e32 v5, 0x80000000, v5
	s_delay_alu instid0(VALU_DEP_3) | instskip(NEXT) | instid1(VALU_DEP_3)
	v_lshl_add_u32 v6, v7, 23, 0x3b800000
	v_lshlrev_b32_e32 v4, 20, v4
	s_delay_alu instid0(VALU_DEP_1) | instskip(NEXT) | instid1(VALU_DEP_1)
	v_or3_b32 v4, v5, v6, v4
	v_cvt_i32_f32_e32 v4, v4
.LBB118_1307:
	s_or_b32 exec_lo, exec_lo, s35
.LBB118_1308:
	s_mov_b32 s35, -1
.LBB118_1309:
	s_mov_b32 s36, 0
.LBB118_1310:
	s_delay_alu instid0(SALU_CYCLE_1)
	s_and_b32 vcc_lo, exec_lo, s36
	s_cbranch_vccz .LBB118_1343
; %bb.1311:
	s_cmp_gt_i32 s0, 22
	s_cbranch_scc0 .LBB118_1319
; %bb.1312:
	s_cmp_lt_i32 s0, 24
	s_cbranch_scc1 .LBB118_1322
; %bb.1313:
	s_cmp_gt_i32 s0, 24
	s_cbranch_scc0 .LBB118_1323
; %bb.1314:
	global_load_u8 v5, v[0:1], off
	s_mov_b32 s36, 0
	s_mov_b32 s35, exec_lo
	s_wait_loadcnt 0x0
	v_cmpx_lt_i16_e32 0x7f, v5
	s_xor_b32 s35, exec_lo, s35
	s_cbranch_execz .LBB118_1335
; %bb.1315:
	v_cmp_ne_u16_e32 vcc_lo, 0x80, v5
	s_and_b32 s36, vcc_lo, exec_lo
	s_and_not1_saveexec_b32 s35, s35
	s_cbranch_execnz .LBB118_1336
.LBB118_1316:
	s_or_b32 exec_lo, exec_lo, s35
	v_mov_b32_e32 v4, 0
	s_and_saveexec_b32 s35, s36
	s_cbranch_execz .LBB118_1318
.LBB118_1317:
	v_and_b32_e32 v4, 0xffff, v5
	s_delay_alu instid0(VALU_DEP_1) | instskip(SKIP_1) | instid1(VALU_DEP_2)
	v_and_b32_e32 v6, 3, v4
	v_bfe_u32 v10, v4, 2, 5
	v_clz_i32_u32_e32 v7, v6
	s_delay_alu instid0(VALU_DEP_2) | instskip(NEXT) | instid1(VALU_DEP_2)
	v_cmp_eq_u32_e32 vcc_lo, 0, v10
	v_min_u32_e32 v7, 32, v7
	s_delay_alu instid0(VALU_DEP_1) | instskip(NEXT) | instid1(VALU_DEP_1)
	v_subrev_nc_u32_e32 v9, 29, v7
	v_dual_lshlrev_b32 v4, v9, v4 :: v_dual_sub_nc_u32 v7, 30, v7
	s_delay_alu instid0(VALU_DEP_1) | instskip(NEXT) | instid1(VALU_DEP_2)
	v_dual_lshlrev_b32 v5, 24, v5 :: v_dual_bitop2_b32 v4, 3, v4 bitop3:0x40
	v_cndmask_b32_e32 v7, v10, v7, vcc_lo
	s_delay_alu instid0(VALU_DEP_2) | instskip(NEXT) | instid1(VALU_DEP_3)
	v_cndmask_b32_e32 v4, v6, v4, vcc_lo
	v_and_b32_e32 v5, 0x80000000, v5
	s_delay_alu instid0(VALU_DEP_3) | instskip(NEXT) | instid1(VALU_DEP_3)
	v_lshl_add_u32 v6, v7, 23, 0x37800000
	v_lshlrev_b32_e32 v4, 21, v4
	s_delay_alu instid0(VALU_DEP_1) | instskip(NEXT) | instid1(VALU_DEP_1)
	v_or3_b32 v4, v5, v6, v4
	v_cvt_i32_f32_e32 v4, v4
.LBB118_1318:
	s_or_b32 exec_lo, exec_lo, s35
	s_mov_b32 s35, 0
	s_branch .LBB118_1324
.LBB118_1319:
	s_mov_b32 s36, -1
                                        ; implicit-def: $vgpr4
	s_branch .LBB118_1330
.LBB118_1320:
	s_and_not1_saveexec_b32 s35, s35
	s_cbranch_execz .LBB118_1305
.LBB118_1321:
	v_cmp_ne_u16_e32 vcc_lo, 0, v5
	s_and_not1_b32 s36, s36, exec_lo
	s_and_b32 s37, vcc_lo, exec_lo
	s_delay_alu instid0(SALU_CYCLE_1)
	s_or_b32 s36, s36, s37
	s_or_b32 exec_lo, exec_lo, s35
	v_mov_b32_e32 v4, 0
	s_and_saveexec_b32 s35, s36
	s_cbranch_execnz .LBB118_1306
	s_branch .LBB118_1307
.LBB118_1322:
	s_mov_b32 s35, -1
                                        ; implicit-def: $vgpr4
	s_branch .LBB118_1327
.LBB118_1323:
	s_mov_b32 s35, -1
                                        ; implicit-def: $vgpr4
.LBB118_1324:
	s_delay_alu instid0(SALU_CYCLE_1)
	s_and_b32 vcc_lo, exec_lo, s35
	s_cbranch_vccz .LBB118_1326
; %bb.1325:
	s_wait_loadcnt 0x0
	global_load_u8 v4, v[0:1], off
	s_wait_loadcnt 0x0
	v_lshlrev_b32_e32 v4, 24, v4
	s_delay_alu instid0(VALU_DEP_1) | instskip(NEXT) | instid1(VALU_DEP_1)
	v_and_b32_e32 v5, 0x7f000000, v4
	v_clz_i32_u32_e32 v6, v5
	v_add_nc_u32_e32 v9, 0x1000000, v5
	v_cmp_ne_u32_e32 vcc_lo, 0, v5
	s_delay_alu instid0(VALU_DEP_3) | instskip(NEXT) | instid1(VALU_DEP_1)
	v_min_u32_e32 v6, 32, v6
	v_sub_nc_u32_e64 v6, v6, 4 clamp
	s_delay_alu instid0(VALU_DEP_1) | instskip(NEXT) | instid1(VALU_DEP_1)
	v_dual_lshlrev_b32 v7, v6, v5 :: v_dual_lshlrev_b32 v6, 23, v6
	v_lshrrev_b32_e32 v7, 4, v7
	s_delay_alu instid0(VALU_DEP_1) | instskip(NEXT) | instid1(VALU_DEP_1)
	v_dual_sub_nc_u32 v6, v7, v6 :: v_dual_ashrrev_i32 v7, 8, v9
	v_add_nc_u32_e32 v6, 0x3c000000, v6
	s_delay_alu instid0(VALU_DEP_1) | instskip(NEXT) | instid1(VALU_DEP_1)
	v_and_or_b32 v6, 0x7f800000, v7, v6
	v_cndmask_b32_e32 v5, 0, v6, vcc_lo
	s_delay_alu instid0(VALU_DEP_1) | instskip(NEXT) | instid1(VALU_DEP_1)
	v_and_or_b32 v4, 0x80000000, v4, v5
	v_cvt_i32_f32_e32 v4, v4
.LBB118_1326:
	s_mov_b32 s35, 0
.LBB118_1327:
	s_delay_alu instid0(SALU_CYCLE_1)
	s_and_not1_b32 vcc_lo, exec_lo, s35
	s_cbranch_vccnz .LBB118_1329
; %bb.1328:
	s_wait_loadcnt 0x0
	global_load_u8 v4, v[0:1], off
	s_wait_loadcnt 0x0
	v_lshlrev_b32_e32 v5, 25, v4
	v_lshlrev_b16 v4, 8, v4
	s_delay_alu instid0(VALU_DEP_1) | instskip(SKIP_1) | instid1(VALU_DEP_2)
	v_and_or_b32 v7, 0x7f00, v4, 0.5
	v_bfe_i32 v4, v4, 0, 16
	v_dual_add_f32 v7, -0.5, v7 :: v_dual_lshrrev_b32 v6, 4, v5
	v_cmp_gt_u32_e32 vcc_lo, 0x8000000, v5
	s_delay_alu instid0(VALU_DEP_2) | instskip(NEXT) | instid1(VALU_DEP_1)
	v_or_b32_e32 v6, 0x70000000, v6
	v_mul_f32_e32 v6, 0x7800000, v6
	s_delay_alu instid0(VALU_DEP_1) | instskip(NEXT) | instid1(VALU_DEP_1)
	v_cndmask_b32_e32 v5, v6, v7, vcc_lo
	v_and_or_b32 v4, 0x80000000, v4, v5
	s_delay_alu instid0(VALU_DEP_1)
	v_cvt_i32_f32_e32 v4, v4
.LBB118_1329:
	s_mov_b32 s36, 0
	s_mov_b32 s35, -1
.LBB118_1330:
	s_and_not1_b32 vcc_lo, exec_lo, s36
	s_cbranch_vccnz .LBB118_1343
; %bb.1331:
	s_cmp_gt_i32 s0, 14
	s_cbranch_scc0 .LBB118_1334
; %bb.1332:
	s_cmp_eq_u32 s0, 15
	s_cbranch_scc0 .LBB118_1337
; %bb.1333:
	s_wait_loadcnt 0x0
	global_load_u16 v4, v[0:1], off
	s_mov_b32 s35, -1
	s_mov_b32 s34, 0
	s_wait_loadcnt 0x0
	v_lshlrev_b32_e32 v4, 16, v4
	s_delay_alu instid0(VALU_DEP_1)
	v_cvt_i32_f32_e32 v4, v4
	s_branch .LBB118_1338
.LBB118_1334:
	s_mov_b32 s36, -1
                                        ; implicit-def: $vgpr4
	s_branch .LBB118_1339
.LBB118_1335:
	s_and_not1_saveexec_b32 s35, s35
	s_cbranch_execz .LBB118_1316
.LBB118_1336:
	v_cmp_ne_u16_e32 vcc_lo, 0, v5
	s_and_not1_b32 s36, s36, exec_lo
	s_and_b32 s37, vcc_lo, exec_lo
	s_delay_alu instid0(SALU_CYCLE_1)
	s_or_b32 s36, s36, s37
	s_or_b32 exec_lo, exec_lo, s35
	v_mov_b32_e32 v4, 0
	s_and_saveexec_b32 s35, s36
	s_cbranch_execnz .LBB118_1317
	s_branch .LBB118_1318
.LBB118_1337:
	s_mov_b32 s34, -1
                                        ; implicit-def: $vgpr4
.LBB118_1338:
	s_mov_b32 s36, 0
.LBB118_1339:
	s_delay_alu instid0(SALU_CYCLE_1)
	s_and_b32 vcc_lo, exec_lo, s36
	s_cbranch_vccz .LBB118_1343
; %bb.1340:
	s_cmp_eq_u32 s0, 11
	s_cbranch_scc0 .LBB118_1342
; %bb.1341:
	s_wait_loadcnt 0x0
	global_load_u8 v4, v[0:1], off
	s_mov_b32 s34, 0
	s_mov_b32 s35, -1
	s_wait_loadcnt 0x0
	v_cmp_ne_u16_e32 vcc_lo, 0, v4
	v_cndmask_b32_e64 v4, 0, 1, vcc_lo
	s_branch .LBB118_1343
.LBB118_1342:
	s_mov_b32 s34, -1
                                        ; implicit-def: $vgpr4
.LBB118_1343:
	s_mov_b32 s36, 0
.LBB118_1344:
	s_delay_alu instid0(SALU_CYCLE_1)
	s_and_b32 vcc_lo, exec_lo, s36
	s_cbranch_vccz .LBB118_1393
; %bb.1345:
	s_cmp_lt_i32 s0, 5
	s_cbranch_scc1 .LBB118_1350
; %bb.1346:
	s_cmp_lt_i32 s0, 8
	s_cbranch_scc1 .LBB118_1351
; %bb.1347:
	s_cmp_lt_i32 s0, 9
	s_cbranch_scc1 .LBB118_1352
; %bb.1348:
	s_cmp_gt_i32 s0, 9
	s_cbranch_scc0 .LBB118_1353
; %bb.1349:
	s_wait_loadcnt 0x0
	global_load_b64 v[4:5], v[0:1], off
	s_mov_b32 s35, 0
	s_wait_loadcnt 0x0
	v_cvt_i32_f64_e32 v4, v[4:5]
	s_branch .LBB118_1354
.LBB118_1350:
	s_mov_b32 s35, -1
                                        ; implicit-def: $vgpr4
	s_branch .LBB118_1372
.LBB118_1351:
	s_mov_b32 s35, -1
                                        ; implicit-def: $vgpr4
	s_branch .LBB118_1360
.LBB118_1352:
	s_mov_b32 s35, -1
                                        ; implicit-def: $vgpr4
	s_branch .LBB118_1357
.LBB118_1353:
	s_mov_b32 s35, -1
                                        ; implicit-def: $vgpr4
.LBB118_1354:
	s_delay_alu instid0(SALU_CYCLE_1)
	s_and_not1_b32 vcc_lo, exec_lo, s35
	s_cbranch_vccnz .LBB118_1356
; %bb.1355:
	s_wait_loadcnt 0x0
	global_load_b32 v4, v[0:1], off
	s_wait_loadcnt 0x0
	v_cvt_i32_f32_e32 v4, v4
.LBB118_1356:
	s_mov_b32 s35, 0
.LBB118_1357:
	s_delay_alu instid0(SALU_CYCLE_1)
	s_and_not1_b32 vcc_lo, exec_lo, s35
	s_cbranch_vccnz .LBB118_1359
; %bb.1358:
	s_wait_loadcnt 0x0
	global_load_b32 v4, v[0:1], off
	s_wait_loadcnt 0x0
	v_cvt_f32_f16_e32 v4, v4
	s_delay_alu instid0(VALU_DEP_1)
	v_cvt_i32_f32_e32 v4, v4
.LBB118_1359:
	s_mov_b32 s35, 0
.LBB118_1360:
	s_delay_alu instid0(SALU_CYCLE_1)
	s_and_not1_b32 vcc_lo, exec_lo, s35
	s_cbranch_vccnz .LBB118_1371
; %bb.1361:
	s_cmp_lt_i32 s0, 6
	s_cbranch_scc1 .LBB118_1364
; %bb.1362:
	s_cmp_gt_i32 s0, 6
	s_cbranch_scc0 .LBB118_1365
; %bb.1363:
	s_wait_loadcnt 0x0
	global_load_b64 v[4:5], v[0:1], off
	s_mov_b32 s35, 0
	s_wait_loadcnt 0x0
	v_cvt_i32_f64_e32 v4, v[4:5]
	s_branch .LBB118_1366
.LBB118_1364:
	s_mov_b32 s35, -1
                                        ; implicit-def: $vgpr4
	s_branch .LBB118_1369
.LBB118_1365:
	s_mov_b32 s35, -1
                                        ; implicit-def: $vgpr4
.LBB118_1366:
	s_delay_alu instid0(SALU_CYCLE_1)
	s_and_not1_b32 vcc_lo, exec_lo, s35
	s_cbranch_vccnz .LBB118_1368
; %bb.1367:
	s_wait_loadcnt 0x0
	global_load_b32 v4, v[0:1], off
	s_wait_loadcnt 0x0
	v_cvt_i32_f32_e32 v4, v4
.LBB118_1368:
	s_mov_b32 s35, 0
.LBB118_1369:
	s_delay_alu instid0(SALU_CYCLE_1)
	s_and_not1_b32 vcc_lo, exec_lo, s35
	s_cbranch_vccnz .LBB118_1371
; %bb.1370:
	s_wait_loadcnt 0x0
	global_load_u16 v4, v[0:1], off
	s_wait_loadcnt 0x0
	v_cvt_f32_f16_e32 v4, v4
	s_delay_alu instid0(VALU_DEP_1)
	v_cvt_i32_f32_e32 v4, v4
.LBB118_1371:
	s_mov_b32 s35, 0
.LBB118_1372:
	s_delay_alu instid0(SALU_CYCLE_1)
	s_and_not1_b32 vcc_lo, exec_lo, s35
	s_cbranch_vccnz .LBB118_1392
; %bb.1373:
	s_cmp_lt_i32 s0, 2
	s_cbranch_scc1 .LBB118_1377
; %bb.1374:
	s_cmp_lt_i32 s0, 3
	s_cbranch_scc1 .LBB118_1378
; %bb.1375:
	s_cmp_gt_i32 s0, 3
	s_cbranch_scc0 .LBB118_1379
; %bb.1376:
	s_wait_loadcnt 0x0
	global_load_b32 v4, v[0:1], off
	s_mov_b32 s35, 0
	s_branch .LBB118_1380
.LBB118_1377:
	s_mov_b32 s35, -1
                                        ; implicit-def: $vgpr4
	s_branch .LBB118_1386
.LBB118_1378:
	s_mov_b32 s35, -1
                                        ; implicit-def: $vgpr4
	s_branch .LBB118_1383
.LBB118_1379:
	s_mov_b32 s35, -1
                                        ; implicit-def: $vgpr4
.LBB118_1380:
	s_delay_alu instid0(SALU_CYCLE_1)
	s_and_not1_b32 vcc_lo, exec_lo, s35
	s_cbranch_vccnz .LBB118_1382
; %bb.1381:
	s_wait_loadcnt 0x0
	global_load_b32 v4, v[0:1], off
.LBB118_1382:
	s_mov_b32 s35, 0
.LBB118_1383:
	s_delay_alu instid0(SALU_CYCLE_1)
	s_and_not1_b32 vcc_lo, exec_lo, s35
	s_cbranch_vccnz .LBB118_1385
; %bb.1384:
	s_wait_loadcnt 0x0
	global_load_i16 v4, v[0:1], off
.LBB118_1385:
	s_mov_b32 s35, 0
.LBB118_1386:
	s_delay_alu instid0(SALU_CYCLE_1)
	s_and_not1_b32 vcc_lo, exec_lo, s35
	s_cbranch_vccnz .LBB118_1392
; %bb.1387:
	s_cmp_gt_i32 s0, 0
	s_mov_b32 s0, 0
	s_cbranch_scc0 .LBB118_1389
; %bb.1388:
	s_wait_loadcnt 0x0
	global_load_i8 v4, v[0:1], off
	s_branch .LBB118_1390
.LBB118_1389:
	s_mov_b32 s0, -1
                                        ; implicit-def: $vgpr4
.LBB118_1390:
	s_delay_alu instid0(SALU_CYCLE_1)
	s_and_not1_b32 vcc_lo, exec_lo, s0
	s_cbranch_vccnz .LBB118_1392
; %bb.1391:
	s_wait_loadcnt 0x0
	global_load_u8 v4, v[0:1], off
.LBB118_1392:
	s_mov_b32 s35, -1
.LBB118_1393:
	s_delay_alu instid0(SALU_CYCLE_1)
	s_and_not1_b32 vcc_lo, exec_lo, s35
	s_cbranch_vccnz .LBB118_1401
; %bb.1394:
	s_wait_xcnt 0x0
	v_mul_lo_u32 v0, v8, s12
	s_wait_loadcnt 0x0
	s_delay_alu instid0(VALU_DEP_2) | instskip(SKIP_1) | instid1(SALU_CYCLE_1)
	v_maxmin_i32 v2, v2, v3, v4
	s_and_b32 s35, s2, 0xff
	s_cmp_lt_i32 s35, 11
	s_delay_alu instid0(VALU_DEP_2) | instskip(NEXT) | instid1(VALU_DEP_1)
	v_ashrrev_i32_e32 v1, 31, v0
	v_add_nc_u64_e32 v[0:1], s[4:5], v[0:1]
	s_cbranch_scc1 .LBB118_1402
; %bb.1395:
	s_and_b32 s36, 0xffff, s35
	s_delay_alu instid0(SALU_CYCLE_1)
	s_cmp_gt_i32 s36, 25
	s_cbranch_scc0 .LBB118_1403
; %bb.1396:
	s_cmp_gt_i32 s36, 28
	s_cbranch_scc0 .LBB118_1404
; %bb.1397:
	;; [unrolled: 3-line block ×4, first 2 shown]
	s_mov_b32 s38, 0
	s_mov_b32 s0, -1
	s_cmp_eq_u32 s36, 46
	s_mov_b32 s37, 0
	s_cbranch_scc0 .LBB118_1407
; %bb.1400:
	v_cvt_f32_i32_e32 v3, v2
	s_mov_b32 s37, -1
	s_mov_b32 s0, 0
	s_delay_alu instid0(VALU_DEP_1) | instskip(NEXT) | instid1(VALU_DEP_1)
	v_bfe_u32 v4, v3, 16, 1
	v_add3_u32 v3, v3, v4, 0x7fff
	s_delay_alu instid0(VALU_DEP_1)
	v_lshrrev_b32_e32 v3, 16, v3
	global_store_b32 v[0:1], v3, off
	s_branch .LBB118_1407
.LBB118_1401:
	s_mov_b32 s36, 0
	s_mov_b32 s0, s26
	s_branch .LBB118_1518
.LBB118_1402:
	s_mov_b32 s36, -1
	s_mov_b32 s37, 0
	s_mov_b32 s0, s26
	s_branch .LBB118_1476
.LBB118_1403:
	s_mov_b32 s38, -1
	s_mov_b32 s37, 0
	s_mov_b32 s0, s26
	s_branch .LBB118_1434
.LBB118_1404:
	s_mov_b32 s38, -1
	s_mov_b32 s37, 0
	s_mov_b32 s0, s26
	s_branch .LBB118_1417
.LBB118_1405:
	s_mov_b32 s38, -1
	s_mov_b32 s37, 0
	s_mov_b32 s0, s26
	s_branch .LBB118_1413
.LBB118_1406:
	s_mov_b32 s38, -1
	s_mov_b32 s37, 0
	s_mov_b32 s0, s26
.LBB118_1407:
	s_and_b32 vcc_lo, exec_lo, s38
	s_cbranch_vccz .LBB118_1412
; %bb.1408:
	s_cmp_eq_u32 s36, 44
	s_mov_b32 s0, -1
	s_cbranch_scc0 .LBB118_1412
; %bb.1409:
	s_wait_xcnt 0x0
	v_cvt_f32_i32_e32 v3, v2
	v_mov_b32_e32 v4, 0xff
	s_mov_b32 s37, exec_lo
	s_delay_alu instid0(VALU_DEP_2) | instskip(NEXT) | instid1(VALU_DEP_1)
	v_bfe_u32 v5, v3, 23, 8
	v_cmpx_ne_u32_e32 0xff, v5
	s_cbranch_execz .LBB118_1411
; %bb.1410:
	v_and_b32_e32 v4, 0x400000, v3
	v_and_or_b32 v5, 0x3fffff, v3, v5
	v_lshrrev_b32_e32 v3, 23, v3
	s_delay_alu instid0(VALU_DEP_3) | instskip(NEXT) | instid1(VALU_DEP_3)
	v_cmp_ne_u32_e32 vcc_lo, 0, v4
	v_cmp_ne_u32_e64 s0, 0, v5
	s_and_b32 s0, vcc_lo, s0
	s_delay_alu instid0(SALU_CYCLE_1) | instskip(NEXT) | instid1(VALU_DEP_1)
	v_cndmask_b32_e64 v4, 0, 1, s0
	v_add_nc_u32_e32 v4, v3, v4
.LBB118_1411:
	s_or_b32 exec_lo, exec_lo, s37
	s_mov_b32 s37, -1
	s_mov_b32 s0, 0
	global_store_b8 v[0:1], v4, off
.LBB118_1412:
	s_mov_b32 s38, 0
.LBB118_1413:
	s_delay_alu instid0(SALU_CYCLE_1)
	s_and_b32 vcc_lo, exec_lo, s38
	s_cbranch_vccz .LBB118_1416
; %bb.1414:
	s_cmp_eq_u32 s36, 29
	s_mov_b32 s0, -1
	s_cbranch_scc0 .LBB118_1416
; %bb.1415:
	s_wait_xcnt 0x0
	v_ashrrev_i32_e32 v3, 31, v2
	s_mov_b32 s37, -1
	s_mov_b32 s0, 0
	s_mov_b32 s38, 0
	global_store_b64 v[0:1], v[2:3], off
	s_branch .LBB118_1417
.LBB118_1416:
	s_mov_b32 s38, 0
.LBB118_1417:
	s_delay_alu instid0(SALU_CYCLE_1)
	s_and_b32 vcc_lo, exec_lo, s38
	s_cbranch_vccz .LBB118_1433
; %bb.1418:
	s_cmp_lt_i32 s36, 27
	s_mov_b32 s37, -1
	s_cbranch_scc1 .LBB118_1424
; %bb.1419:
	s_cmp_gt_i32 s36, 27
	s_cbranch_scc0 .LBB118_1421
; %bb.1420:
	s_mov_b32 s37, 0
	global_store_b32 v[0:1], v2, off
.LBB118_1421:
	s_and_not1_b32 vcc_lo, exec_lo, s37
	s_cbranch_vccnz .LBB118_1423
; %bb.1422:
	global_store_b16 v[0:1], v2, off
.LBB118_1423:
	s_mov_b32 s37, 0
.LBB118_1424:
	s_delay_alu instid0(SALU_CYCLE_1)
	s_and_not1_b32 vcc_lo, exec_lo, s37
	s_cbranch_vccnz .LBB118_1432
; %bb.1425:
	s_wait_xcnt 0x0
	v_cvt_f32_i32_e32 v3, v2
	v_mov_b32_e32 v5, 0x80
	s_mov_b32 s37, exec_lo
	s_delay_alu instid0(VALU_DEP_2) | instskip(NEXT) | instid1(VALU_DEP_1)
	v_and_b32_e32 v4, 0x7fffffff, v3
	v_cmpx_gt_u32_e32 0x43800000, v4
	s_cbranch_execz .LBB118_1431
; %bb.1426:
	v_cmp_lt_u32_e32 vcc_lo, 0x3bffffff, v4
	s_mov_b32 s38, 0
                                        ; implicit-def: $vgpr4
	s_and_saveexec_b32 s39, vcc_lo
	s_delay_alu instid0(SALU_CYCLE_1)
	s_xor_b32 s39, exec_lo, s39
	s_cbranch_execz .LBB118_2655
; %bb.1427:
	v_bfe_u32 v4, v3, 20, 1
	s_mov_b32 s38, exec_lo
	s_delay_alu instid0(VALU_DEP_1) | instskip(NEXT) | instid1(VALU_DEP_1)
	v_add3_u32 v4, v3, v4, 0x487ffff
	v_lshrrev_b32_e32 v4, 20, v4
	s_and_not1_saveexec_b32 s39, s39
	s_cbranch_execnz .LBB118_2656
.LBB118_1428:
	s_or_b32 exec_lo, exec_lo, s39
	v_mov_b32_e32 v5, 0
	s_and_saveexec_b32 s39, s38
.LBB118_1429:
	v_lshrrev_b32_e32 v3, 24, v3
	s_delay_alu instid0(VALU_DEP_1)
	v_and_or_b32 v5, 0x80, v3, v4
.LBB118_1430:
	s_or_b32 exec_lo, exec_lo, s39
.LBB118_1431:
	s_delay_alu instid0(SALU_CYCLE_1)
	s_or_b32 exec_lo, exec_lo, s37
	global_store_b8 v[0:1], v5, off
.LBB118_1432:
	s_mov_b32 s37, -1
.LBB118_1433:
	s_mov_b32 s38, 0
.LBB118_1434:
	s_delay_alu instid0(SALU_CYCLE_1)
	s_and_b32 vcc_lo, exec_lo, s38
	s_cbranch_vccz .LBB118_1475
; %bb.1435:
	s_cmp_gt_i32 s36, 22
	s_mov_b32 s38, -1
	s_cbranch_scc0 .LBB118_1467
; %bb.1436:
	s_cmp_lt_i32 s36, 24
	s_mov_b32 s37, -1
	s_cbranch_scc1 .LBB118_1456
; %bb.1437:
	s_cmp_gt_i32 s36, 24
	s_cbranch_scc0 .LBB118_1445
; %bb.1438:
	s_wait_xcnt 0x0
	v_cvt_f32_i32_e32 v3, v2
	v_mov_b32_e32 v5, 0x80
	s_mov_b32 s37, exec_lo
	s_delay_alu instid0(VALU_DEP_2) | instskip(NEXT) | instid1(VALU_DEP_1)
	v_and_b32_e32 v4, 0x7fffffff, v3
	v_cmpx_gt_u32_e32 0x47800000, v4
	s_cbranch_execz .LBB118_1444
; %bb.1439:
	v_cmp_lt_u32_e32 vcc_lo, 0x37ffffff, v4
	s_mov_b32 s38, 0
                                        ; implicit-def: $vgpr4
	s_and_saveexec_b32 s39, vcc_lo
	s_delay_alu instid0(SALU_CYCLE_1)
	s_xor_b32 s39, exec_lo, s39
	s_cbranch_execz .LBB118_2784
; %bb.1440:
	v_bfe_u32 v4, v3, 21, 1
	s_mov_b32 s38, exec_lo
	s_delay_alu instid0(VALU_DEP_1) | instskip(NEXT) | instid1(VALU_DEP_1)
	v_add3_u32 v4, v3, v4, 0x88fffff
	v_lshrrev_b32_e32 v4, 21, v4
	s_and_not1_saveexec_b32 s39, s39
	s_cbranch_execnz .LBB118_2785
.LBB118_1441:
	s_or_b32 exec_lo, exec_lo, s39
	v_mov_b32_e32 v5, 0
	s_and_saveexec_b32 s39, s38
.LBB118_1442:
	v_lshrrev_b32_e32 v3, 24, v3
	s_delay_alu instid0(VALU_DEP_1)
	v_and_or_b32 v5, 0x80, v3, v4
.LBB118_1443:
	s_or_b32 exec_lo, exec_lo, s39
.LBB118_1444:
	s_delay_alu instid0(SALU_CYCLE_1)
	s_or_b32 exec_lo, exec_lo, s37
	s_mov_b32 s37, 0
	global_store_b8 v[0:1], v5, off
.LBB118_1445:
	s_and_b32 vcc_lo, exec_lo, s37
	s_cbranch_vccz .LBB118_1455
; %bb.1446:
	s_wait_xcnt 0x0
	v_cvt_f32_i32_e32 v3, v2
	s_mov_b32 s37, exec_lo
                                        ; implicit-def: $vgpr4
	s_delay_alu instid0(VALU_DEP_1) | instskip(NEXT) | instid1(VALU_DEP_1)
	v_and_b32_e32 v5, 0x7fffffff, v3
	v_cmpx_gt_u32_e32 0x43f00000, v5
	s_xor_b32 s37, exec_lo, s37
	s_cbranch_execz .LBB118_1452
; %bb.1447:
	s_mov_b32 s38, exec_lo
                                        ; implicit-def: $vgpr4
	v_cmpx_lt_u32_e32 0x3c7fffff, v5
	s_xor_b32 s38, exec_lo, s38
; %bb.1448:
	v_bfe_u32 v4, v3, 20, 1
	s_delay_alu instid0(VALU_DEP_1) | instskip(NEXT) | instid1(VALU_DEP_1)
	v_add3_u32 v4, v3, v4, 0x407ffff
	v_and_b32_e32 v5, 0xff00000, v4
	v_lshrrev_b32_e32 v4, 20, v4
	s_delay_alu instid0(VALU_DEP_2) | instskip(NEXT) | instid1(VALU_DEP_2)
	v_cmp_ne_u32_e32 vcc_lo, 0x7f00000, v5
	v_cndmask_b32_e32 v4, 0x7e, v4, vcc_lo
; %bb.1449:
	s_and_not1_saveexec_b32 s38, s38
; %bb.1450:
	v_add_f32_e64 v4, 0x46800000, |v3|
; %bb.1451:
	s_or_b32 exec_lo, exec_lo, s38
                                        ; implicit-def: $vgpr5
.LBB118_1452:
	s_and_not1_saveexec_b32 s37, s37
; %bb.1453:
	v_mov_b32_e32 v4, 0x7f
	v_cmp_lt_u32_e32 vcc_lo, 0x7f800000, v5
	s_delay_alu instid0(VALU_DEP_2)
	v_cndmask_b32_e32 v4, 0x7e, v4, vcc_lo
; %bb.1454:
	s_or_b32 exec_lo, exec_lo, s37
	v_lshrrev_b32_e32 v3, 24, v3
	s_delay_alu instid0(VALU_DEP_1)
	v_and_or_b32 v3, 0x80, v3, v4
	global_store_b8 v[0:1], v3, off
.LBB118_1455:
	s_mov_b32 s37, 0
.LBB118_1456:
	s_delay_alu instid0(SALU_CYCLE_1)
	s_and_not1_b32 vcc_lo, exec_lo, s37
	s_cbranch_vccnz .LBB118_1466
; %bb.1457:
	s_wait_xcnt 0x0
	v_cvt_f32_i32_e32 v3, v2
	s_mov_b32 s37, exec_lo
                                        ; implicit-def: $vgpr4
	s_delay_alu instid0(VALU_DEP_1) | instskip(NEXT) | instid1(VALU_DEP_1)
	v_and_b32_e32 v5, 0x7fffffff, v3
	v_cmpx_gt_u32_e32 0x47800000, v5
	s_xor_b32 s37, exec_lo, s37
	s_cbranch_execz .LBB118_1463
; %bb.1458:
	s_mov_b32 s38, exec_lo
                                        ; implicit-def: $vgpr4
	v_cmpx_lt_u32_e32 0x387fffff, v5
	s_xor_b32 s38, exec_lo, s38
; %bb.1459:
	v_bfe_u32 v4, v3, 21, 1
	s_delay_alu instid0(VALU_DEP_1) | instskip(NEXT) | instid1(VALU_DEP_1)
	v_add3_u32 v4, v3, v4, 0x80fffff
	v_lshrrev_b32_e32 v4, 21, v4
; %bb.1460:
	s_and_not1_saveexec_b32 s38, s38
; %bb.1461:
	v_add_f32_e64 v4, 0x43000000, |v3|
; %bb.1462:
	s_or_b32 exec_lo, exec_lo, s38
                                        ; implicit-def: $vgpr5
.LBB118_1463:
	s_and_not1_saveexec_b32 s37, s37
; %bb.1464:
	v_mov_b32_e32 v4, 0x7f
	v_cmp_lt_u32_e32 vcc_lo, 0x7f800000, v5
	s_delay_alu instid0(VALU_DEP_2)
	v_cndmask_b32_e32 v4, 0x7c, v4, vcc_lo
; %bb.1465:
	s_or_b32 exec_lo, exec_lo, s37
	v_lshrrev_b32_e32 v3, 24, v3
	s_delay_alu instid0(VALU_DEP_1)
	v_and_or_b32 v3, 0x80, v3, v4
	global_store_b8 v[0:1], v3, off
.LBB118_1466:
	s_mov_b32 s38, 0
	s_mov_b32 s37, -1
.LBB118_1467:
	s_and_not1_b32 vcc_lo, exec_lo, s38
	s_cbranch_vccnz .LBB118_1475
; %bb.1468:
	s_cmp_gt_i32 s36, 14
	s_mov_b32 s38, -1
	s_cbranch_scc0 .LBB118_1472
; %bb.1469:
	s_cmp_eq_u32 s36, 15
	s_mov_b32 s0, -1
	s_cbranch_scc0 .LBB118_1471
; %bb.1470:
	s_wait_xcnt 0x0
	v_cvt_f32_i32_e32 v3, v2
	s_mov_b32 s37, -1
	s_mov_b32 s0, 0
	s_delay_alu instid0(VALU_DEP_1) | instskip(NEXT) | instid1(VALU_DEP_1)
	v_bfe_u32 v4, v3, 16, 1
	v_add3_u32 v3, v3, v4, 0x7fff
	global_store_d16_hi_b16 v[0:1], v3, off
.LBB118_1471:
	s_mov_b32 s38, 0
.LBB118_1472:
	s_delay_alu instid0(SALU_CYCLE_1)
	s_and_b32 vcc_lo, exec_lo, s38
	s_cbranch_vccz .LBB118_1475
; %bb.1473:
	s_cmp_eq_u32 s36, 11
	s_mov_b32 s0, -1
	s_cbranch_scc0 .LBB118_1475
; %bb.1474:
	v_cmp_ne_u32_e32 vcc_lo, 0, v2
	s_mov_b32 s0, 0
	s_mov_b32 s37, -1
	s_wait_xcnt 0x0
	v_cndmask_b32_e64 v3, 0, 1, vcc_lo
	global_store_b8 v[0:1], v3, off
.LBB118_1475:
	s_mov_b32 s36, 0
.LBB118_1476:
	s_delay_alu instid0(SALU_CYCLE_1)
	s_and_b32 vcc_lo, exec_lo, s36
	s_cbranch_vccz .LBB118_1515
; %bb.1477:
	s_and_b32 s35, 0xffff, s35
	s_mov_b32 s36, -1
	s_cmp_lt_i32 s35, 5
	s_cbranch_scc1 .LBB118_1498
; %bb.1478:
	s_cmp_lt_i32 s35, 8
	s_cbranch_scc1 .LBB118_1488
; %bb.1479:
	;; [unrolled: 3-line block ×3, first 2 shown]
	s_cmp_gt_i32 s35, 9
	s_cbranch_scc0 .LBB118_1482
; %bb.1481:
	s_wait_xcnt 0x0
	v_cvt_f64_i32_e32 v[4:5], v2
	v_mov_b32_e32 v6, 0
	s_mov_b32 s36, 0
	s_delay_alu instid0(VALU_DEP_1)
	v_mov_b32_e32 v7, v6
	global_store_b128 v[0:1], v[4:7], off
.LBB118_1482:
	s_and_not1_b32 vcc_lo, exec_lo, s36
	s_cbranch_vccnz .LBB118_1484
; %bb.1483:
	s_wait_xcnt 0x0
	v_cvt_f32_i32_e32 v4, v2
	v_mov_b32_e32 v5, 0
	global_store_b64 v[0:1], v[4:5], off
.LBB118_1484:
	s_mov_b32 s36, 0
.LBB118_1485:
	s_delay_alu instid0(SALU_CYCLE_1)
	s_and_not1_b32 vcc_lo, exec_lo, s36
	s_cbranch_vccnz .LBB118_1487
; %bb.1486:
	s_wait_xcnt 0x0
	v_cvt_f32_i32_e32 v3, v2
	s_delay_alu instid0(VALU_DEP_1) | instskip(NEXT) | instid1(VALU_DEP_1)
	v_cvt_f16_f32_e32 v3, v3
	v_and_b32_e32 v3, 0xffff, v3
	global_store_b32 v[0:1], v3, off
.LBB118_1487:
	s_mov_b32 s36, 0
.LBB118_1488:
	s_delay_alu instid0(SALU_CYCLE_1)
	s_and_not1_b32 vcc_lo, exec_lo, s36
	s_cbranch_vccnz .LBB118_1497
; %bb.1489:
	s_cmp_lt_i32 s35, 6
	s_mov_b32 s36, -1
	s_cbranch_scc1 .LBB118_1495
; %bb.1490:
	s_cmp_gt_i32 s35, 6
	s_cbranch_scc0 .LBB118_1492
; %bb.1491:
	s_wait_xcnt 0x0
	v_cvt_f64_i32_e32 v[4:5], v2
	s_mov_b32 s36, 0
	global_store_b64 v[0:1], v[4:5], off
.LBB118_1492:
	s_and_not1_b32 vcc_lo, exec_lo, s36
	s_cbranch_vccnz .LBB118_1494
; %bb.1493:
	s_wait_xcnt 0x0
	v_cvt_f32_i32_e32 v3, v2
	global_store_b32 v[0:1], v3, off
.LBB118_1494:
	s_mov_b32 s36, 0
.LBB118_1495:
	s_delay_alu instid0(SALU_CYCLE_1)
	s_and_not1_b32 vcc_lo, exec_lo, s36
	s_cbranch_vccnz .LBB118_1497
; %bb.1496:
	s_wait_xcnt 0x0
	v_cvt_f32_i32_e32 v3, v2
	s_delay_alu instid0(VALU_DEP_1)
	v_cvt_f16_f32_e32 v3, v3
	global_store_b16 v[0:1], v3, off
.LBB118_1497:
	s_mov_b32 s36, 0
.LBB118_1498:
	s_delay_alu instid0(SALU_CYCLE_1)
	s_and_not1_b32 vcc_lo, exec_lo, s36
	s_cbranch_vccnz .LBB118_1514
; %bb.1499:
	s_cmp_lt_i32 s35, 2
	s_mov_b32 s36, -1
	s_cbranch_scc1 .LBB118_1509
; %bb.1500:
	s_cmp_lt_i32 s35, 3
	s_cbranch_scc1 .LBB118_1506
; %bb.1501:
	s_cmp_gt_i32 s35, 3
	s_cbranch_scc0 .LBB118_1503
; %bb.1502:
	s_wait_xcnt 0x0
	v_ashrrev_i32_e32 v3, 31, v2
	s_mov_b32 s36, 0
	global_store_b64 v[0:1], v[2:3], off
.LBB118_1503:
	s_and_not1_b32 vcc_lo, exec_lo, s36
	s_cbranch_vccnz .LBB118_1505
; %bb.1504:
	global_store_b32 v[0:1], v2, off
.LBB118_1505:
	s_mov_b32 s36, 0
.LBB118_1506:
	s_delay_alu instid0(SALU_CYCLE_1)
	s_and_not1_b32 vcc_lo, exec_lo, s36
	s_cbranch_vccnz .LBB118_1508
; %bb.1507:
	global_store_b16 v[0:1], v2, off
.LBB118_1508:
	s_mov_b32 s36, 0
.LBB118_1509:
	s_delay_alu instid0(SALU_CYCLE_1)
	s_and_not1_b32 vcc_lo, exec_lo, s36
	s_cbranch_vccnz .LBB118_1514
; %bb.1510:
	s_cmp_gt_i32 s35, 0
	s_mov_b32 s35, -1
	s_cbranch_scc0 .LBB118_1512
; %bb.1511:
	s_mov_b32 s35, 0
	global_store_b8 v[0:1], v2, off
.LBB118_1512:
	s_and_not1_b32 vcc_lo, exec_lo, s35
	s_cbranch_vccnz .LBB118_1514
; %bb.1513:
	global_store_b8 v[0:1], v2, off
.LBB118_1514:
	s_mov_b32 s37, -1
.LBB118_1515:
	s_delay_alu instid0(SALU_CYCLE_1)
	s_and_not1_b32 vcc_lo, exec_lo, s37
	s_cbranch_vccnz .LBB118_1517
; %bb.1516:
	v_add_nc_u32_e32 v8, 0x80, v8
	s_mov_b32 s36, -1
	s_branch .LBB118_1519
.LBB118_1517:
	s_mov_b32 s36, 0
.LBB118_1518:
                                        ; implicit-def: $vgpr8
.LBB118_1519:
	s_and_not1_b32 s35, s26, exec_lo
	s_and_b32 s0, s0, exec_lo
	s_and_not1_b32 s37, s27, exec_lo
	s_and_b32 s34, s34, exec_lo
	s_or_b32 s35, s35, s0
	s_or_b32 s34, s37, s34
	s_and_not1_b32 s0, s28, exec_lo
	s_and_b32 s33, s33, exec_lo
	s_and_not1_b32 s37, s25, exec_lo
	s_and_b32 s31, s31, exec_lo
	s_or_b32 s33, s0, s33
	s_or_b32 s31, s37, s31
	s_or_not1_b32 s39, s36, exec_lo
.LBB118_1520:
	s_wait_xcnt 0x0
	s_or_b32 exec_lo, exec_lo, s30
	s_mov_b32 s36, 0
	s_mov_b32 s37, 0
	;; [unrolled: 1-line block ×3, first 2 shown]
                                        ; implicit-def: $sgpr0
                                        ; implicit-def: $vgpr0_vgpr1
                                        ; implicit-def: $vgpr3
	s_and_saveexec_b32 s30, s39
	s_cbranch_execz .LBB118_1597
; %bb.1521:
	v_cmp_gt_i32_e32 vcc_lo, s20, v8
	s_mov_b32 s39, s31
	s_mov_b32 s40, 0
                                        ; implicit-def: $sgpr0
                                        ; implicit-def: $vgpr0_vgpr1
                                        ; implicit-def: $vgpr3
	s_and_saveexec_b32 s20, vcc_lo
	s_cbranch_execz .LBB118_1596
; %bb.1522:
	v_mul_lo_u32 v0, v8, s13
	s_and_b32 s0, s17, 0xff
	s_delay_alu instid0(SALU_CYCLE_1) | instskip(NEXT) | instid1(VALU_DEP_1)
	s_cmp_lt_i32 s0, 11
	v_ashrrev_i32_e32 v1, 31, v0
	s_delay_alu instid0(VALU_DEP_1)
	v_add_nc_u64_e32 v[0:1], s[6:7], v[0:1]
	s_cbranch_scc1 .LBB118_1529
; %bb.1523:
	s_and_b32 s37, 0xffff, s0
	s_delay_alu instid0(SALU_CYCLE_1)
	s_cmp_gt_i32 s37, 25
	s_cbranch_scc0 .LBB118_1530
; %bb.1524:
	s_cmp_gt_i32 s37, 28
	s_cbranch_scc0 .LBB118_1531
; %bb.1525:
	;; [unrolled: 3-line block ×4, first 2 shown]
	s_cmp_eq_u32 s37, 46
	s_cbranch_scc0 .LBB118_1534
; %bb.1528:
	s_wait_loadcnt 0x0
	global_load_b32 v2, v[0:1], off
	s_mov_b32 s39, -1
	s_wait_loadcnt 0x0
	v_lshlrev_b32_e32 v2, 16, v2
	s_delay_alu instid0(VALU_DEP_1)
	v_cvt_i32_f32_e32 v3, v2
	s_branch .LBB118_1536
.LBB118_1529:
	s_mov_b32 s37, -1
	s_mov_b32 s39, 0
	s_mov_b32 s36, s31
                                        ; implicit-def: $vgpr3
	s_branch .LBB118_1595
.LBB118_1530:
	s_mov_b32 s40, -1
	s_mov_b32 s39, 0
	s_mov_b32 s36, s31
                                        ; implicit-def: $vgpr3
	s_branch .LBB118_1563
.LBB118_1531:
	s_mov_b32 s40, -1
	s_mov_b32 s39, 0
	s_mov_b32 s36, s31
                                        ; implicit-def: $vgpr3
	s_branch .LBB118_1546
.LBB118_1532:
	s_mov_b32 s40, -1
	s_mov_b32 s39, 0
	s_mov_b32 s36, s31
                                        ; implicit-def: $vgpr3
	s_branch .LBB118_1541
.LBB118_1533:
	s_mov_b32 s40, -1
	s_mov_b32 s39, 0
	s_mov_b32 s36, s31
	s_branch .LBB118_1535
.LBB118_1534:
	s_mov_b32 s36, -1
	s_mov_b32 s39, 0
.LBB118_1535:
                                        ; implicit-def: $vgpr3
.LBB118_1536:
	s_and_b32 vcc_lo, exec_lo, s40
	s_cbranch_vccz .LBB118_1540
; %bb.1537:
	s_cmp_eq_u32 s37, 44
	s_cbranch_scc0 .LBB118_1539
; %bb.1538:
	s_wait_loadcnt 0x0
	global_load_u8 v2, v[0:1], off
	s_mov_b32 s36, 0
	s_mov_b32 s39, -1
	s_wait_loadcnt 0x0
	v_lshlrev_b32_e32 v3, 23, v2
	v_cmp_ne_u32_e32 vcc_lo, 0, v2
	s_delay_alu instid0(VALU_DEP_2) | instskip(NEXT) | instid1(VALU_DEP_1)
	v_cvt_i32_f32_e32 v3, v3
	v_cndmask_b32_e32 v3, 0, v3, vcc_lo
	s_branch .LBB118_1540
.LBB118_1539:
	s_mov_b32 s36, -1
                                        ; implicit-def: $vgpr3
.LBB118_1540:
	s_mov_b32 s40, 0
.LBB118_1541:
	s_delay_alu instid0(SALU_CYCLE_1)
	s_and_b32 vcc_lo, exec_lo, s40
	s_cbranch_vccz .LBB118_1545
; %bb.1542:
	s_cmp_eq_u32 s37, 29
	s_cbranch_scc0 .LBB118_1544
; %bb.1543:
	s_wait_loadcnt 0x0
	global_load_b32 v3, v[0:1], off
	s_mov_b32 s36, 0
	s_mov_b32 s39, -1
	s_branch .LBB118_1545
.LBB118_1544:
	s_mov_b32 s36, -1
                                        ; implicit-def: $vgpr3
.LBB118_1545:
	s_mov_b32 s40, 0
.LBB118_1546:
	s_delay_alu instid0(SALU_CYCLE_1)
	s_and_b32 vcc_lo, exec_lo, s40
	s_cbranch_vccz .LBB118_1562
; %bb.1547:
	s_cmp_lt_i32 s37, 27
	s_cbranch_scc1 .LBB118_1550
; %bb.1548:
	s_cmp_gt_i32 s37, 27
	s_cbranch_scc0 .LBB118_1551
; %bb.1549:
	s_wait_loadcnt 0x0
	global_load_b32 v3, v[0:1], off
	s_mov_b32 s39, 0
	s_branch .LBB118_1552
.LBB118_1550:
	s_mov_b32 s39, -1
                                        ; implicit-def: $vgpr3
	s_branch .LBB118_1555
.LBB118_1551:
	s_mov_b32 s39, -1
                                        ; implicit-def: $vgpr3
.LBB118_1552:
	s_delay_alu instid0(SALU_CYCLE_1)
	s_and_not1_b32 vcc_lo, exec_lo, s39
	s_cbranch_vccnz .LBB118_1554
; %bb.1553:
	s_wait_loadcnt 0x0
	global_load_u16 v3, v[0:1], off
.LBB118_1554:
	s_mov_b32 s39, 0
.LBB118_1555:
	s_delay_alu instid0(SALU_CYCLE_1)
	s_and_not1_b32 vcc_lo, exec_lo, s39
	s_cbranch_vccnz .LBB118_1561
; %bb.1556:
	s_wait_loadcnt 0x0
	global_load_u8 v2, v[0:1], off
	s_mov_b32 s40, 0
	s_mov_b32 s39, exec_lo
	s_wait_loadcnt 0x0
	v_cmpx_lt_i16_e32 0x7f, v2
	s_xor_b32 s39, exec_lo, s39
	s_cbranch_execz .LBB118_1573
; %bb.1557:
	v_cmp_ne_u16_e32 vcc_lo, 0x80, v2
	s_and_b32 s40, vcc_lo, exec_lo
	s_and_not1_saveexec_b32 s39, s39
	s_cbranch_execnz .LBB118_1574
.LBB118_1558:
	s_or_b32 exec_lo, exec_lo, s39
	v_mov_b32_e32 v3, 0
	s_and_saveexec_b32 s39, s40
	s_cbranch_execz .LBB118_1560
.LBB118_1559:
	v_and_b32_e32 v3, 0xffff, v2
	s_delay_alu instid0(VALU_DEP_1) | instskip(SKIP_1) | instid1(VALU_DEP_2)
	v_and_b32_e32 v4, 7, v3
	v_bfe_u32 v7, v3, 3, 4
	v_clz_i32_u32_e32 v5, v4
	s_delay_alu instid0(VALU_DEP_2) | instskip(NEXT) | instid1(VALU_DEP_2)
	v_cmp_eq_u32_e32 vcc_lo, 0, v7
	v_min_u32_e32 v5, 32, v5
	s_delay_alu instid0(VALU_DEP_1) | instskip(NEXT) | instid1(VALU_DEP_1)
	v_subrev_nc_u32_e32 v6, 28, v5
	v_dual_lshlrev_b32 v3, v6, v3 :: v_dual_sub_nc_u32 v5, 29, v5
	s_delay_alu instid0(VALU_DEP_1) | instskip(NEXT) | instid1(VALU_DEP_1)
	v_dual_lshlrev_b32 v2, 24, v2 :: v_dual_bitop2_b32 v3, 7, v3 bitop3:0x40
	v_dual_cndmask_b32 v5, v7, v5, vcc_lo :: v_dual_cndmask_b32 v3, v4, v3, vcc_lo
	s_delay_alu instid0(VALU_DEP_2) | instskip(NEXT) | instid1(VALU_DEP_2)
	v_and_b32_e32 v2, 0x80000000, v2
	v_lshl_add_u32 v4, v5, 23, 0x3b800000
	s_delay_alu instid0(VALU_DEP_3) | instskip(NEXT) | instid1(VALU_DEP_1)
	v_lshlrev_b32_e32 v3, 20, v3
	v_or3_b32 v2, v2, v4, v3
	s_delay_alu instid0(VALU_DEP_1)
	v_cvt_i32_f32_e32 v3, v2
.LBB118_1560:
	s_or_b32 exec_lo, exec_lo, s39
.LBB118_1561:
	s_mov_b32 s39, -1
.LBB118_1562:
	s_mov_b32 s40, 0
.LBB118_1563:
	s_delay_alu instid0(SALU_CYCLE_1)
	s_and_b32 vcc_lo, exec_lo, s40
	s_cbranch_vccz .LBB118_1594
; %bb.1564:
	s_cmp_gt_i32 s37, 22
	s_cbranch_scc0 .LBB118_1572
; %bb.1565:
	s_cmp_lt_i32 s37, 24
	s_cbranch_scc1 .LBB118_1575
; %bb.1566:
	s_cmp_gt_i32 s37, 24
	s_cbranch_scc0 .LBB118_1576
; %bb.1567:
	s_wait_loadcnt 0x0
	global_load_u8 v2, v[0:1], off
	s_mov_b32 s39, 0
	s_mov_b32 s38, exec_lo
	s_wait_loadcnt 0x0
	v_cmpx_lt_i16_e32 0x7f, v2
	s_xor_b32 s38, exec_lo, s38
	s_cbranch_execz .LBB118_1588
; %bb.1568:
	v_cmp_ne_u16_e32 vcc_lo, 0x80, v2
	s_and_b32 s39, vcc_lo, exec_lo
	s_and_not1_saveexec_b32 s38, s38
	s_cbranch_execnz .LBB118_1589
.LBB118_1569:
	s_or_b32 exec_lo, exec_lo, s38
	v_mov_b32_e32 v3, 0
	s_and_saveexec_b32 s38, s39
	s_cbranch_execz .LBB118_1571
.LBB118_1570:
	v_and_b32_e32 v3, 0xffff, v2
	s_delay_alu instid0(VALU_DEP_1) | instskip(SKIP_1) | instid1(VALU_DEP_2)
	v_and_b32_e32 v4, 3, v3
	v_bfe_u32 v7, v3, 2, 5
	v_clz_i32_u32_e32 v5, v4
	s_delay_alu instid0(VALU_DEP_2) | instskip(NEXT) | instid1(VALU_DEP_2)
	v_cmp_eq_u32_e32 vcc_lo, 0, v7
	v_min_u32_e32 v5, 32, v5
	s_delay_alu instid0(VALU_DEP_1) | instskip(NEXT) | instid1(VALU_DEP_1)
	v_subrev_nc_u32_e32 v6, 29, v5
	v_dual_lshlrev_b32 v3, v6, v3 :: v_dual_sub_nc_u32 v5, 30, v5
	s_delay_alu instid0(VALU_DEP_1) | instskip(NEXT) | instid1(VALU_DEP_1)
	v_dual_lshlrev_b32 v2, 24, v2 :: v_dual_bitop2_b32 v3, 3, v3 bitop3:0x40
	v_dual_cndmask_b32 v5, v7, v5, vcc_lo :: v_dual_cndmask_b32 v3, v4, v3, vcc_lo
	s_delay_alu instid0(VALU_DEP_2) | instskip(NEXT) | instid1(VALU_DEP_2)
	v_and_b32_e32 v2, 0x80000000, v2
	v_lshl_add_u32 v4, v5, 23, 0x37800000
	s_delay_alu instid0(VALU_DEP_3) | instskip(NEXT) | instid1(VALU_DEP_1)
	v_lshlrev_b32_e32 v3, 21, v3
	v_or3_b32 v2, v2, v4, v3
	s_delay_alu instid0(VALU_DEP_1)
	v_cvt_i32_f32_e32 v3, v2
.LBB118_1571:
	s_or_b32 exec_lo, exec_lo, s38
	s_mov_b32 s38, 0
	s_branch .LBB118_1577
.LBB118_1572:
	s_mov_b32 s38, -1
                                        ; implicit-def: $vgpr3
	s_branch .LBB118_1583
.LBB118_1573:
	s_and_not1_saveexec_b32 s39, s39
	s_cbranch_execz .LBB118_1558
.LBB118_1574:
	v_cmp_ne_u16_e32 vcc_lo, 0, v2
	s_and_not1_b32 s40, s40, exec_lo
	s_and_b32 s41, vcc_lo, exec_lo
	s_delay_alu instid0(SALU_CYCLE_1)
	s_or_b32 s40, s40, s41
	s_or_b32 exec_lo, exec_lo, s39
	v_mov_b32_e32 v3, 0
	s_and_saveexec_b32 s39, s40
	s_cbranch_execnz .LBB118_1559
	s_branch .LBB118_1560
.LBB118_1575:
	s_mov_b32 s38, -1
                                        ; implicit-def: $vgpr3
	s_branch .LBB118_1580
.LBB118_1576:
	s_mov_b32 s38, -1
                                        ; implicit-def: $vgpr3
.LBB118_1577:
	s_delay_alu instid0(SALU_CYCLE_1)
	s_and_b32 vcc_lo, exec_lo, s38
	s_cbranch_vccz .LBB118_1579
; %bb.1578:
	s_wait_loadcnt 0x0
	global_load_u8 v2, v[0:1], off
	s_wait_loadcnt 0x0
	v_lshlrev_b32_e32 v2, 24, v2
	s_delay_alu instid0(VALU_DEP_1) | instskip(NEXT) | instid1(VALU_DEP_1)
	v_and_b32_e32 v3, 0x7f000000, v2
	v_clz_i32_u32_e32 v4, v3
	v_cmp_ne_u32_e32 vcc_lo, 0, v3
	v_add_nc_u32_e32 v6, 0x1000000, v3
	s_delay_alu instid0(VALU_DEP_3) | instskip(NEXT) | instid1(VALU_DEP_1)
	v_min_u32_e32 v4, 32, v4
	v_sub_nc_u32_e64 v4, v4, 4 clamp
	s_delay_alu instid0(VALU_DEP_1) | instskip(NEXT) | instid1(VALU_DEP_1)
	v_dual_lshlrev_b32 v5, v4, v3 :: v_dual_lshlrev_b32 v4, 23, v4
	v_lshrrev_b32_e32 v5, 4, v5
	s_delay_alu instid0(VALU_DEP_1) | instskip(NEXT) | instid1(VALU_DEP_1)
	v_dual_sub_nc_u32 v4, v5, v4 :: v_dual_ashrrev_i32 v5, 8, v6
	v_add_nc_u32_e32 v4, 0x3c000000, v4
	s_delay_alu instid0(VALU_DEP_1) | instskip(NEXT) | instid1(VALU_DEP_1)
	v_and_or_b32 v4, 0x7f800000, v5, v4
	v_cndmask_b32_e32 v3, 0, v4, vcc_lo
	s_delay_alu instid0(VALU_DEP_1) | instskip(NEXT) | instid1(VALU_DEP_1)
	v_and_or_b32 v2, 0x80000000, v2, v3
	v_cvt_i32_f32_e32 v3, v2
.LBB118_1579:
	s_mov_b32 s38, 0
.LBB118_1580:
	s_delay_alu instid0(SALU_CYCLE_1)
	s_and_not1_b32 vcc_lo, exec_lo, s38
	s_cbranch_vccnz .LBB118_1582
; %bb.1581:
	s_wait_loadcnt 0x0
	global_load_u8 v2, v[0:1], off
	s_wait_loadcnt 0x0
	v_lshlrev_b32_e32 v3, 25, v2
	v_lshlrev_b16 v2, 8, v2
	s_delay_alu instid0(VALU_DEP_1) | instskip(SKIP_1) | instid1(VALU_DEP_2)
	v_and_or_b32 v5, 0x7f00, v2, 0.5
	v_bfe_i32 v2, v2, 0, 16
	v_dual_add_f32 v5, -0.5, v5 :: v_dual_lshrrev_b32 v4, 4, v3
	v_cmp_gt_u32_e32 vcc_lo, 0x8000000, v3
	s_delay_alu instid0(VALU_DEP_2) | instskip(NEXT) | instid1(VALU_DEP_1)
	v_or_b32_e32 v4, 0x70000000, v4
	v_mul_f32_e32 v4, 0x7800000, v4
	s_delay_alu instid0(VALU_DEP_1) | instskip(NEXT) | instid1(VALU_DEP_1)
	v_cndmask_b32_e32 v3, v4, v5, vcc_lo
	v_and_or_b32 v2, 0x80000000, v2, v3
	s_delay_alu instid0(VALU_DEP_1)
	v_cvt_i32_f32_e32 v3, v2
.LBB118_1582:
	s_mov_b32 s38, 0
	s_mov_b32 s39, -1
.LBB118_1583:
	s_and_not1_b32 vcc_lo, exec_lo, s38
	s_mov_b32 s38, 0
	s_cbranch_vccnz .LBB118_1594
; %bb.1584:
	s_cmp_gt_i32 s37, 14
	s_cbranch_scc0 .LBB118_1587
; %bb.1585:
	s_cmp_eq_u32 s37, 15
	s_cbranch_scc0 .LBB118_1590
; %bb.1586:
	s_wait_loadcnt 0x0
	global_load_u16 v2, v[0:1], off
	s_mov_b32 s36, 0
	s_mov_b32 s39, -1
	s_wait_loadcnt 0x0
	v_lshlrev_b32_e32 v2, 16, v2
	s_delay_alu instid0(VALU_DEP_1)
	v_cvt_i32_f32_e32 v3, v2
	s_branch .LBB118_1592
.LBB118_1587:
	s_mov_b32 s38, -1
	s_branch .LBB118_1591
.LBB118_1588:
	s_and_not1_saveexec_b32 s38, s38
	s_cbranch_execz .LBB118_1569
.LBB118_1589:
	v_cmp_ne_u16_e32 vcc_lo, 0, v2
	s_and_not1_b32 s39, s39, exec_lo
	s_and_b32 s40, vcc_lo, exec_lo
	s_delay_alu instid0(SALU_CYCLE_1)
	s_or_b32 s39, s39, s40
	s_or_b32 exec_lo, exec_lo, s38
	v_mov_b32_e32 v3, 0
	s_and_saveexec_b32 s38, s39
	s_cbranch_execnz .LBB118_1570
	s_branch .LBB118_1571
.LBB118_1590:
	s_mov_b32 s36, -1
.LBB118_1591:
                                        ; implicit-def: $vgpr3
.LBB118_1592:
	s_and_b32 vcc_lo, exec_lo, s38
	s_mov_b32 s38, 0
	s_cbranch_vccz .LBB118_1594
; %bb.1593:
	s_cmp_lg_u32 s37, 11
	s_mov_b32 s38, -1
	s_cselect_b32 s37, -1, 0
	s_and_not1_b32 s36, s36, exec_lo
	s_and_b32 s37, s37, exec_lo
	s_delay_alu instid0(SALU_CYCLE_1)
	s_or_b32 s36, s36, s37
.LBB118_1594:
	s_mov_b32 s37, 0
.LBB118_1595:
	s_and_b32 s40, s39, exec_lo
	s_and_not1_b32 s39, s31, exec_lo
	s_and_b32 s41, s36, exec_lo
	s_and_b32 s37, s37, exec_lo
	;; [unrolled: 1-line block ×3, first 2 shown]
	s_or_b32 s39, s39, s41
.LBB118_1596:
	s_wait_xcnt 0x0
	s_or_b32 exec_lo, exec_lo, s20
	s_delay_alu instid0(SALU_CYCLE_1)
	s_and_not1_b32 s20, s31, exec_lo
	s_and_b32 s31, s39, exec_lo
	s_and_b32 s38, s40, exec_lo
	;; [unrolled: 1-line block ×4, first 2 shown]
	s_or_b32 s31, s20, s31
.LBB118_1597:
	s_or_b32 exec_lo, exec_lo, s30
	s_delay_alu instid0(SALU_CYCLE_1)
	s_and_not1_b32 s20, s26, exec_lo
	s_and_b32 s26, s35, exec_lo
	s_and_not1_b32 s28, s28, exec_lo
	s_or_b32 s26, s20, s26
	s_and_not1_b32 s20, s27, exec_lo
	s_and_b32 s27, s34, exec_lo
	s_and_b32 s30, s33, exec_lo
	s_or_b32 s27, s20, s27
	s_and_not1_b32 s20, s25, exec_lo
	s_and_b32 s25, s31, exec_lo
	s_or_b32 s28, s28, s30
	s_and_b32 s34, s38, exec_lo
	s_and_b32 s33, s37, exec_lo
	;; [unrolled: 1-line block ×3, first 2 shown]
	s_or_b32 s25, s20, s25
.LBB118_1598:
	s_or_b32 exec_lo, exec_lo, s29
	s_delay_alu instid0(SALU_CYCLE_1)
	s_and_not1_b32 s19, s19, exec_lo
	s_and_b32 s20, s26, exec_lo
	s_and_not1_b32 s22, s22, exec_lo
	s_or_b32 s19, s19, s20
	s_and_not1_b32 s20, s21, exec_lo
	s_and_b32 s21, s27, exec_lo
	s_and_b32 s26, s28, exec_lo
	s_or_b32 s21, s20, s21
	s_and_not1_b32 s20, s23, exec_lo
	s_and_b32 s23, s25, exec_lo
	s_or_b32 s22, s22, s26
	s_and_b32 s26, s34, exec_lo
	s_and_b32 s27, s33, exec_lo
	;; [unrolled: 1-line block ×3, first 2 shown]
	s_or_b32 s23, s20, s23
	s_or_b32 exec_lo, exec_lo, s24
	s_mov_b32 s20, 0
	s_and_saveexec_b32 s24, s23
	s_cbranch_execz .LBB118_510
.LBB118_1599:
	s_mov_b32 s20, exec_lo
	s_and_not1_b32 s25, s25, exec_lo
	s_trap 2
	s_or_b32 exec_lo, exec_lo, s24
	s_and_saveexec_b32 s23, s25
	s_delay_alu instid0(SALU_CYCLE_1)
	s_xor_b32 s23, exec_lo, s23
	s_cbranch_execnz .LBB118_511
.LBB118_1600:
	s_or_b32 exec_lo, exec_lo, s23
	s_and_saveexec_b32 s23, s27
	s_cbranch_execz .LBB118_1646
.LBB118_1601:
	s_sext_i32_i16 s24, s0
	s_delay_alu instid0(SALU_CYCLE_1)
	s_cmp_lt_i32 s24, 5
	s_cbranch_scc1 .LBB118_1606
; %bb.1602:
	s_cmp_lt_i32 s24, 8
	s_cbranch_scc1 .LBB118_1607
; %bb.1603:
	;; [unrolled: 3-line block ×3, first 2 shown]
	s_cmp_gt_i32 s24, 9
	s_cbranch_scc0 .LBB118_1609
; %bb.1605:
	s_wait_loadcnt 0x0
	global_load_b64 v[2:3], v[0:1], off
	s_mov_b32 s24, 0
	s_wait_loadcnt 0x0
	v_cvt_i32_f64_e32 v3, v[2:3]
	s_branch .LBB118_1610
.LBB118_1606:
                                        ; implicit-def: $vgpr3
	s_branch .LBB118_1627
.LBB118_1607:
                                        ; implicit-def: $vgpr3
	s_branch .LBB118_1616
.LBB118_1608:
	s_mov_b32 s24, -1
                                        ; implicit-def: $vgpr3
	s_branch .LBB118_1613
.LBB118_1609:
	s_mov_b32 s24, -1
                                        ; implicit-def: $vgpr3
.LBB118_1610:
	s_delay_alu instid0(SALU_CYCLE_1)
	s_and_not1_b32 vcc_lo, exec_lo, s24
	s_cbranch_vccnz .LBB118_1612
; %bb.1611:
	s_wait_loadcnt 0x0
	global_load_b32 v2, v[0:1], off
	s_wait_loadcnt 0x0
	v_cvt_i32_f32_e32 v3, v2
.LBB118_1612:
	s_mov_b32 s24, 0
.LBB118_1613:
	s_delay_alu instid0(SALU_CYCLE_1)
	s_and_not1_b32 vcc_lo, exec_lo, s24
	s_cbranch_vccnz .LBB118_1615
; %bb.1614:
	s_wait_loadcnt 0x0
	global_load_b32 v2, v[0:1], off
	s_wait_loadcnt 0x0
	v_cvt_f32_f16_e32 v2, v2
	s_delay_alu instid0(VALU_DEP_1)
	v_cvt_i32_f32_e32 v3, v2
.LBB118_1615:
	s_cbranch_execnz .LBB118_1626
.LBB118_1616:
	s_sext_i32_i16 s24, s0
	s_delay_alu instid0(SALU_CYCLE_1)
	s_cmp_lt_i32 s24, 6
	s_cbranch_scc1 .LBB118_1619
; %bb.1617:
	s_cmp_gt_i32 s24, 6
	s_cbranch_scc0 .LBB118_1620
; %bb.1618:
	s_wait_loadcnt 0x0
	global_load_b64 v[2:3], v[0:1], off
	s_mov_b32 s24, 0
	s_wait_loadcnt 0x0
	v_cvt_i32_f64_e32 v3, v[2:3]
	s_branch .LBB118_1621
.LBB118_1619:
	s_mov_b32 s24, -1
                                        ; implicit-def: $vgpr3
	s_branch .LBB118_1624
.LBB118_1620:
	s_mov_b32 s24, -1
                                        ; implicit-def: $vgpr3
.LBB118_1621:
	s_delay_alu instid0(SALU_CYCLE_1)
	s_and_not1_b32 vcc_lo, exec_lo, s24
	s_cbranch_vccnz .LBB118_1623
; %bb.1622:
	s_wait_loadcnt 0x0
	global_load_b32 v2, v[0:1], off
	s_wait_loadcnt 0x0
	v_cvt_i32_f32_e32 v3, v2
.LBB118_1623:
	s_mov_b32 s24, 0
.LBB118_1624:
	s_delay_alu instid0(SALU_CYCLE_1)
	s_and_not1_b32 vcc_lo, exec_lo, s24
	s_cbranch_vccnz .LBB118_1626
; %bb.1625:
	s_wait_loadcnt 0x0
	global_load_u16 v2, v[0:1], off
	s_wait_loadcnt 0x0
	v_cvt_f32_f16_e32 v2, v2
	s_delay_alu instid0(VALU_DEP_1)
	v_cvt_i32_f32_e32 v3, v2
.LBB118_1626:
	s_cbranch_execnz .LBB118_1645
.LBB118_1627:
	s_sext_i32_i16 s24, s0
	s_delay_alu instid0(SALU_CYCLE_1)
	s_cmp_lt_i32 s24, 2
	s_cbranch_scc1 .LBB118_1631
; %bb.1628:
	s_cmp_lt_i32 s24, 3
	s_cbranch_scc1 .LBB118_1632
; %bb.1629:
	s_cmp_gt_i32 s24, 3
	s_cbranch_scc0 .LBB118_1633
; %bb.1630:
	s_wait_loadcnt 0x0
	global_load_b32 v3, v[0:1], off
	s_mov_b32 s24, 0
	s_branch .LBB118_1634
.LBB118_1631:
                                        ; implicit-def: $vgpr3
	s_branch .LBB118_1640
.LBB118_1632:
	s_mov_b32 s24, -1
                                        ; implicit-def: $vgpr3
	s_branch .LBB118_1637
.LBB118_1633:
	s_mov_b32 s24, -1
                                        ; implicit-def: $vgpr3
.LBB118_1634:
	s_delay_alu instid0(SALU_CYCLE_1)
	s_and_not1_b32 vcc_lo, exec_lo, s24
	s_cbranch_vccnz .LBB118_1636
; %bb.1635:
	s_wait_loadcnt 0x0
	global_load_b32 v3, v[0:1], off
.LBB118_1636:
	s_mov_b32 s24, 0
.LBB118_1637:
	s_delay_alu instid0(SALU_CYCLE_1)
	s_and_not1_b32 vcc_lo, exec_lo, s24
	s_cbranch_vccnz .LBB118_1639
; %bb.1638:
	s_wait_loadcnt 0x0
	global_load_i16 v3, v[0:1], off
.LBB118_1639:
	s_cbranch_execnz .LBB118_1645
.LBB118_1640:
	s_sext_i32_i16 s0, s0
	s_delay_alu instid0(SALU_CYCLE_1)
	s_cmp_gt_i32 s0, 0
	s_mov_b32 s0, 0
	s_cbranch_scc0 .LBB118_1642
; %bb.1641:
	s_wait_loadcnt 0x0
	global_load_i8 v3, v[0:1], off
	s_branch .LBB118_1643
.LBB118_1642:
	s_mov_b32 s0, -1
                                        ; implicit-def: $vgpr3
.LBB118_1643:
	s_delay_alu instid0(SALU_CYCLE_1)
	s_and_not1_b32 vcc_lo, exec_lo, s0
	s_cbranch_vccnz .LBB118_1645
; %bb.1644:
	s_wait_loadcnt 0x0
	global_load_u8 v3, v[0:1], off
.LBB118_1645:
	s_or_b32 s26, s26, exec_lo
.LBB118_1646:
	s_wait_xcnt 0x0
	s_or_b32 exec_lo, exec_lo, s23
	s_mov_b32 s24, 0
	s_mov_b32 s27, 0
	;; [unrolled: 1-line block ×3, first 2 shown]
                                        ; implicit-def: $sgpr0
                                        ; implicit-def: $vgpr0_vgpr1
                                        ; implicit-def: $vgpr4
	s_and_saveexec_b32 s23, s26
	s_cbranch_execz .LBB118_1654
; %bb.1647:
	v_mul_lo_u32 v0, v8, s14
	s_and_b32 s0, s3, 0xff
	s_delay_alu instid0(SALU_CYCLE_1) | instskip(NEXT) | instid1(VALU_DEP_1)
	s_cmp_lt_i32 s0, 11
	v_ashrrev_i32_e32 v1, 31, v0
	s_delay_alu instid0(VALU_DEP_1)
	v_add_nc_u64_e32 v[0:1], s[8:9], v[0:1]
	s_cbranch_scc1 .LBB118_1657
; %bb.1648:
	s_and_b32 s25, 0xffff, s0
	s_mov_b32 s26, 0
	s_cmp_gt_i32 s25, 25
	s_cbranch_scc0 .LBB118_1658
; %bb.1649:
	s_cmp_gt_i32 s25, 28
	s_cbranch_scc0 .LBB118_1659
; %bb.1650:
	;; [unrolled: 3-line block ×4, first 2 shown]
	s_cmp_eq_u32 s25, 46
	s_mov_b32 s28, 0
	s_cbranch_scc0 .LBB118_1662
; %bb.1653:
	s_wait_loadcnt 0x0
	global_load_b32 v2, v[0:1], off
	s_mov_b32 s27, -1
	s_wait_loadcnt 0x0
	v_lshlrev_b32_e32 v2, 16, v2
	s_delay_alu instid0(VALU_DEP_1)
	v_cvt_i32_f32_e32 v4, v2
	s_branch .LBB118_1664
.LBB118_1654:
	s_or_b32 exec_lo, exec_lo, s23
	s_and_saveexec_b32 s23, s22
	s_cbranch_execnz .LBB118_1723
.LBB118_1655:
	s_or_b32 exec_lo, exec_lo, s23
	s_and_saveexec_b32 s22, s24
	s_delay_alu instid0(SALU_CYCLE_1)
	s_xor_b32 s22, exec_lo, s22
	s_cbranch_execz .LBB118_1724
.LBB118_1656:
	s_wait_loadcnt 0x0
	global_load_u8 v2, v[0:1], off
	s_or_b32 s25, s25, exec_lo
	s_wait_loadcnt 0x0
	v_cmp_ne_u16_e32 vcc_lo, 0, v2
	v_cndmask_b32_e64 v4, 0, 1, vcc_lo
	s_wait_xcnt 0x0
	s_or_b32 exec_lo, exec_lo, s22
	s_and_saveexec_b32 s22, s27
	s_cbranch_execz .LBB118_1770
	s_branch .LBB118_1725
.LBB118_1657:
	s_mov_b32 s28, -1
	s_mov_b32 s26, 0
	s_mov_b32 s24, s22
                                        ; implicit-def: $vgpr4
	s_branch .LBB118_1722
.LBB118_1658:
	s_mov_b32 s24, s22
                                        ; implicit-def: $vgpr4
	s_cbranch_execnz .LBB118_1691
	s_branch .LBB118_1721
.LBB118_1659:
	s_mov_b32 s28, -1
	s_mov_b32 s24, s22
                                        ; implicit-def: $vgpr4
	s_branch .LBB118_1674
.LBB118_1660:
	s_mov_b32 s28, -1
	s_mov_b32 s24, s22
                                        ; implicit-def: $vgpr4
	s_branch .LBB118_1669
.LBB118_1661:
	s_mov_b32 s28, -1
	s_mov_b32 s24, s22
	s_branch .LBB118_1663
.LBB118_1662:
	s_mov_b32 s24, -1
.LBB118_1663:
                                        ; implicit-def: $vgpr4
.LBB118_1664:
	s_and_b32 vcc_lo, exec_lo, s28
	s_cbranch_vccz .LBB118_1668
; %bb.1665:
	s_cmp_eq_u32 s25, 44
	s_cbranch_scc0 .LBB118_1667
; %bb.1666:
	s_wait_loadcnt 0x0
	global_load_u8 v2, v[0:1], off
	s_mov_b32 s24, 0
	s_mov_b32 s27, -1
	s_wait_loadcnt 0x0
	v_lshlrev_b32_e32 v4, 23, v2
	v_cmp_ne_u32_e32 vcc_lo, 0, v2
	s_delay_alu instid0(VALU_DEP_2) | instskip(NEXT) | instid1(VALU_DEP_1)
	v_cvt_i32_f32_e32 v4, v4
	v_cndmask_b32_e32 v4, 0, v4, vcc_lo
	s_branch .LBB118_1668
.LBB118_1667:
	s_mov_b32 s24, -1
                                        ; implicit-def: $vgpr4
.LBB118_1668:
	s_mov_b32 s28, 0
.LBB118_1669:
	s_delay_alu instid0(SALU_CYCLE_1)
	s_and_b32 vcc_lo, exec_lo, s28
	s_cbranch_vccz .LBB118_1673
; %bb.1670:
	s_cmp_eq_u32 s25, 29
	s_cbranch_scc0 .LBB118_1672
; %bb.1671:
	s_wait_loadcnt 0x0
	global_load_b32 v4, v[0:1], off
	s_mov_b32 s24, 0
	s_mov_b32 s27, -1
	s_branch .LBB118_1673
.LBB118_1672:
	s_mov_b32 s24, -1
                                        ; implicit-def: $vgpr4
.LBB118_1673:
	s_mov_b32 s28, 0
.LBB118_1674:
	s_delay_alu instid0(SALU_CYCLE_1)
	s_and_b32 vcc_lo, exec_lo, s28
	s_cbranch_vccz .LBB118_1690
; %bb.1675:
	s_cmp_lt_i32 s25, 27
	s_cbranch_scc1 .LBB118_1678
; %bb.1676:
	s_cmp_gt_i32 s25, 27
	s_cbranch_scc0 .LBB118_1679
; %bb.1677:
	s_wait_loadcnt 0x0
	global_load_b32 v4, v[0:1], off
	s_mov_b32 s27, 0
	s_branch .LBB118_1680
.LBB118_1678:
	s_mov_b32 s27, -1
                                        ; implicit-def: $vgpr4
	s_branch .LBB118_1683
.LBB118_1679:
	s_mov_b32 s27, -1
                                        ; implicit-def: $vgpr4
.LBB118_1680:
	s_delay_alu instid0(SALU_CYCLE_1)
	s_and_not1_b32 vcc_lo, exec_lo, s27
	s_cbranch_vccnz .LBB118_1682
; %bb.1681:
	s_wait_loadcnt 0x0
	global_load_u16 v4, v[0:1], off
.LBB118_1682:
	s_mov_b32 s27, 0
.LBB118_1683:
	s_delay_alu instid0(SALU_CYCLE_1)
	s_and_not1_b32 vcc_lo, exec_lo, s27
	s_cbranch_vccnz .LBB118_1689
; %bb.1684:
	s_wait_loadcnt 0x0
	global_load_u8 v2, v[0:1], off
	s_mov_b32 s28, 0
	s_mov_b32 s27, exec_lo
	s_wait_loadcnt 0x0
	v_cmpx_lt_i16_e32 0x7f, v2
	s_xor_b32 s27, exec_lo, s27
	s_cbranch_execz .LBB118_1700
; %bb.1685:
	v_cmp_ne_u16_e32 vcc_lo, 0x80, v2
	s_and_b32 s28, vcc_lo, exec_lo
	s_and_not1_saveexec_b32 s27, s27
	s_cbranch_execnz .LBB118_1701
.LBB118_1686:
	s_or_b32 exec_lo, exec_lo, s27
	v_mov_b32_e32 v4, 0
	s_and_saveexec_b32 s27, s28
	s_cbranch_execz .LBB118_1688
.LBB118_1687:
	v_and_b32_e32 v4, 0xffff, v2
	s_delay_alu instid0(VALU_DEP_1) | instskip(SKIP_1) | instid1(VALU_DEP_2)
	v_and_b32_e32 v5, 7, v4
	v_bfe_u32 v9, v4, 3, 4
	v_clz_i32_u32_e32 v6, v5
	s_delay_alu instid0(VALU_DEP_2) | instskip(NEXT) | instid1(VALU_DEP_2)
	v_cmp_eq_u32_e32 vcc_lo, 0, v9
	v_min_u32_e32 v6, 32, v6
	s_delay_alu instid0(VALU_DEP_1) | instskip(NEXT) | instid1(VALU_DEP_1)
	v_subrev_nc_u32_e32 v7, 28, v6
	v_dual_lshlrev_b32 v4, v7, v4 :: v_dual_sub_nc_u32 v6, 29, v6
	s_delay_alu instid0(VALU_DEP_1) | instskip(NEXT) | instid1(VALU_DEP_1)
	v_dual_lshlrev_b32 v2, 24, v2 :: v_dual_bitop2_b32 v4, 7, v4 bitop3:0x40
	v_cndmask_b32_e32 v4, v5, v4, vcc_lo
	s_delay_alu instid0(VALU_DEP_3) | instskip(NEXT) | instid1(VALU_DEP_3)
	v_cndmask_b32_e32 v6, v9, v6, vcc_lo
	v_and_b32_e32 v2, 0x80000000, v2
	s_delay_alu instid0(VALU_DEP_3) | instskip(NEXT) | instid1(VALU_DEP_3)
	v_lshlrev_b32_e32 v4, 20, v4
	v_lshl_add_u32 v5, v6, 23, 0x3b800000
	s_delay_alu instid0(VALU_DEP_1) | instskip(NEXT) | instid1(VALU_DEP_1)
	v_or3_b32 v2, v2, v5, v4
	v_cvt_i32_f32_e32 v4, v2
.LBB118_1688:
	s_or_b32 exec_lo, exec_lo, s27
.LBB118_1689:
	s_mov_b32 s27, -1
.LBB118_1690:
	s_branch .LBB118_1721
.LBB118_1691:
	s_cmp_gt_i32 s25, 22
	s_cbranch_scc0 .LBB118_1699
; %bb.1692:
	s_cmp_lt_i32 s25, 24
	s_cbranch_scc1 .LBB118_1702
; %bb.1693:
	s_cmp_gt_i32 s25, 24
	s_cbranch_scc0 .LBB118_1703
; %bb.1694:
	s_wait_loadcnt 0x0
	global_load_u8 v2, v[0:1], off
	s_mov_b32 s27, 0
	s_mov_b32 s26, exec_lo
	s_wait_loadcnt 0x0
	v_cmpx_lt_i16_e32 0x7f, v2
	s_xor_b32 s26, exec_lo, s26
	s_cbranch_execz .LBB118_1715
; %bb.1695:
	v_cmp_ne_u16_e32 vcc_lo, 0x80, v2
	s_and_b32 s27, vcc_lo, exec_lo
	s_and_not1_saveexec_b32 s26, s26
	s_cbranch_execnz .LBB118_1716
.LBB118_1696:
	s_or_b32 exec_lo, exec_lo, s26
	v_mov_b32_e32 v4, 0
	s_and_saveexec_b32 s26, s27
	s_cbranch_execz .LBB118_1698
.LBB118_1697:
	v_and_b32_e32 v4, 0xffff, v2
	s_delay_alu instid0(VALU_DEP_1) | instskip(SKIP_1) | instid1(VALU_DEP_2)
	v_and_b32_e32 v5, 3, v4
	v_bfe_u32 v9, v4, 2, 5
	v_clz_i32_u32_e32 v6, v5
	s_delay_alu instid0(VALU_DEP_2) | instskip(NEXT) | instid1(VALU_DEP_2)
	v_cmp_eq_u32_e32 vcc_lo, 0, v9
	v_min_u32_e32 v6, 32, v6
	s_delay_alu instid0(VALU_DEP_1) | instskip(NEXT) | instid1(VALU_DEP_1)
	v_subrev_nc_u32_e32 v7, 29, v6
	v_dual_lshlrev_b32 v4, v7, v4 :: v_dual_sub_nc_u32 v6, 30, v6
	s_delay_alu instid0(VALU_DEP_1) | instskip(NEXT) | instid1(VALU_DEP_1)
	v_dual_lshlrev_b32 v2, 24, v2 :: v_dual_bitop2_b32 v4, 3, v4 bitop3:0x40
	v_cndmask_b32_e32 v4, v5, v4, vcc_lo
	s_delay_alu instid0(VALU_DEP_3) | instskip(NEXT) | instid1(VALU_DEP_3)
	v_cndmask_b32_e32 v6, v9, v6, vcc_lo
	v_and_b32_e32 v2, 0x80000000, v2
	s_delay_alu instid0(VALU_DEP_3) | instskip(NEXT) | instid1(VALU_DEP_3)
	v_lshlrev_b32_e32 v4, 21, v4
	v_lshl_add_u32 v5, v6, 23, 0x37800000
	s_delay_alu instid0(VALU_DEP_1) | instskip(NEXT) | instid1(VALU_DEP_1)
	v_or3_b32 v2, v2, v5, v4
	v_cvt_i32_f32_e32 v4, v2
.LBB118_1698:
	s_or_b32 exec_lo, exec_lo, s26
	s_mov_b32 s26, 0
	s_branch .LBB118_1704
.LBB118_1699:
	s_mov_b32 s26, -1
                                        ; implicit-def: $vgpr4
	s_branch .LBB118_1710
.LBB118_1700:
	s_and_not1_saveexec_b32 s27, s27
	s_cbranch_execz .LBB118_1686
.LBB118_1701:
	v_cmp_ne_u16_e32 vcc_lo, 0, v2
	s_and_not1_b32 s28, s28, exec_lo
	s_and_b32 s29, vcc_lo, exec_lo
	s_delay_alu instid0(SALU_CYCLE_1)
	s_or_b32 s28, s28, s29
	s_or_b32 exec_lo, exec_lo, s27
	v_mov_b32_e32 v4, 0
	s_and_saveexec_b32 s27, s28
	s_cbranch_execnz .LBB118_1687
	s_branch .LBB118_1688
.LBB118_1702:
	s_mov_b32 s26, -1
                                        ; implicit-def: $vgpr4
	s_branch .LBB118_1707
.LBB118_1703:
	s_mov_b32 s26, -1
                                        ; implicit-def: $vgpr4
.LBB118_1704:
	s_delay_alu instid0(SALU_CYCLE_1)
	s_and_b32 vcc_lo, exec_lo, s26
	s_cbranch_vccz .LBB118_1706
; %bb.1705:
	s_wait_loadcnt 0x0
	global_load_u8 v2, v[0:1], off
	s_wait_loadcnt 0x0
	v_lshlrev_b32_e32 v2, 24, v2
	s_delay_alu instid0(VALU_DEP_1) | instskip(NEXT) | instid1(VALU_DEP_1)
	v_and_b32_e32 v4, 0x7f000000, v2
	v_clz_i32_u32_e32 v5, v4
	v_cmp_ne_u32_e32 vcc_lo, 0, v4
	v_add_nc_u32_e32 v7, 0x1000000, v4
	s_delay_alu instid0(VALU_DEP_3) | instskip(NEXT) | instid1(VALU_DEP_1)
	v_min_u32_e32 v5, 32, v5
	v_sub_nc_u32_e64 v5, v5, 4 clamp
	s_delay_alu instid0(VALU_DEP_1) | instskip(NEXT) | instid1(VALU_DEP_1)
	v_dual_lshlrev_b32 v6, v5, v4 :: v_dual_lshlrev_b32 v5, 23, v5
	v_lshrrev_b32_e32 v6, 4, v6
	s_delay_alu instid0(VALU_DEP_1) | instskip(NEXT) | instid1(VALU_DEP_1)
	v_dual_sub_nc_u32 v5, v6, v5 :: v_dual_ashrrev_i32 v6, 8, v7
	v_add_nc_u32_e32 v5, 0x3c000000, v5
	s_delay_alu instid0(VALU_DEP_1) | instskip(NEXT) | instid1(VALU_DEP_1)
	v_and_or_b32 v5, 0x7f800000, v6, v5
	v_cndmask_b32_e32 v4, 0, v5, vcc_lo
	s_delay_alu instid0(VALU_DEP_1) | instskip(NEXT) | instid1(VALU_DEP_1)
	v_and_or_b32 v2, 0x80000000, v2, v4
	v_cvt_i32_f32_e32 v4, v2
.LBB118_1706:
	s_mov_b32 s26, 0
.LBB118_1707:
	s_delay_alu instid0(SALU_CYCLE_1)
	s_and_not1_b32 vcc_lo, exec_lo, s26
	s_cbranch_vccnz .LBB118_1709
; %bb.1708:
	s_wait_loadcnt 0x0
	global_load_u8 v2, v[0:1], off
	s_wait_loadcnt 0x0
	v_lshlrev_b32_e32 v4, 25, v2
	v_lshlrev_b16 v2, 8, v2
	s_delay_alu instid0(VALU_DEP_1) | instskip(NEXT) | instid1(VALU_DEP_3)
	v_and_or_b32 v6, 0x7f00, v2, 0.5
	v_lshrrev_b32_e32 v5, 4, v4
	v_bfe_i32 v2, v2, 0, 16
	s_delay_alu instid0(VALU_DEP_3) | instskip(NEXT) | instid1(VALU_DEP_3)
	v_add_f32_e32 v6, -0.5, v6
	v_or_b32_e32 v5, 0x70000000, v5
	s_delay_alu instid0(VALU_DEP_1) | instskip(SKIP_1) | instid1(VALU_DEP_2)
	v_mul_f32_e32 v5, 0x7800000, v5
	v_cmp_gt_u32_e32 vcc_lo, 0x8000000, v4
	v_cndmask_b32_e32 v4, v5, v6, vcc_lo
	s_delay_alu instid0(VALU_DEP_1) | instskip(NEXT) | instid1(VALU_DEP_1)
	v_and_or_b32 v2, 0x80000000, v2, v4
	v_cvt_i32_f32_e32 v4, v2
.LBB118_1709:
	s_mov_b32 s26, 0
	s_mov_b32 s27, -1
.LBB118_1710:
	s_and_not1_b32 vcc_lo, exec_lo, s26
	s_mov_b32 s26, 0
	s_cbranch_vccnz .LBB118_1721
; %bb.1711:
	s_cmp_gt_i32 s25, 14
	s_cbranch_scc0 .LBB118_1714
; %bb.1712:
	s_cmp_eq_u32 s25, 15
	s_cbranch_scc0 .LBB118_1717
; %bb.1713:
	s_wait_loadcnt 0x0
	global_load_u16 v2, v[0:1], off
	s_mov_b32 s24, 0
	s_mov_b32 s27, -1
	s_wait_loadcnt 0x0
	v_lshlrev_b32_e32 v2, 16, v2
	s_delay_alu instid0(VALU_DEP_1)
	v_cvt_i32_f32_e32 v4, v2
	s_branch .LBB118_1719
.LBB118_1714:
	s_mov_b32 s26, -1
	s_branch .LBB118_1718
.LBB118_1715:
	s_and_not1_saveexec_b32 s26, s26
	s_cbranch_execz .LBB118_1696
.LBB118_1716:
	v_cmp_ne_u16_e32 vcc_lo, 0, v2
	s_and_not1_b32 s27, s27, exec_lo
	s_and_b32 s28, vcc_lo, exec_lo
	s_delay_alu instid0(SALU_CYCLE_1)
	s_or_b32 s27, s27, s28
	s_or_b32 exec_lo, exec_lo, s26
	v_mov_b32_e32 v4, 0
	s_and_saveexec_b32 s26, s27
	s_cbranch_execnz .LBB118_1697
	s_branch .LBB118_1698
.LBB118_1717:
	s_mov_b32 s24, -1
.LBB118_1718:
                                        ; implicit-def: $vgpr4
.LBB118_1719:
	s_and_b32 vcc_lo, exec_lo, s26
	s_mov_b32 s26, 0
	s_cbranch_vccz .LBB118_1721
; %bb.1720:
	s_cmp_lg_u32 s25, 11
	s_mov_b32 s26, -1
	s_cselect_b32 s25, -1, 0
	s_and_not1_b32 s24, s24, exec_lo
	s_and_b32 s25, s25, exec_lo
	s_delay_alu instid0(SALU_CYCLE_1)
	s_or_b32 s24, s24, s25
.LBB118_1721:
	s_mov_b32 s28, 0
.LBB118_1722:
	s_and_b32 s25, s27, exec_lo
	s_and_b32 s27, s28, exec_lo
	s_and_not1_b32 s22, s22, exec_lo
	s_and_b32 s28, s24, exec_lo
	s_and_b32 s24, s26, exec_lo
	s_or_b32 s22, s22, s28
	s_wait_xcnt 0x0
	s_or_b32 exec_lo, exec_lo, s23
	s_and_saveexec_b32 s23, s22
	s_cbranch_execz .LBB118_1655
.LBB118_1723:
	s_or_b32 s20, s20, exec_lo
	s_and_not1_b32 s24, s24, exec_lo
	s_trap 2
	s_or_b32 exec_lo, exec_lo, s23
	s_and_saveexec_b32 s22, s24
	s_delay_alu instid0(SALU_CYCLE_1)
	s_xor_b32 s22, exec_lo, s22
	s_cbranch_execnz .LBB118_1656
.LBB118_1724:
	s_or_b32 exec_lo, exec_lo, s22
	s_and_saveexec_b32 s22, s27
	s_cbranch_execz .LBB118_1770
.LBB118_1725:
	s_sext_i32_i16 s23, s0
	s_delay_alu instid0(SALU_CYCLE_1)
	s_cmp_lt_i32 s23, 5
	s_cbranch_scc1 .LBB118_1730
; %bb.1726:
	s_cmp_lt_i32 s23, 8
	s_cbranch_scc1 .LBB118_1731
; %bb.1727:
	;; [unrolled: 3-line block ×3, first 2 shown]
	s_cmp_gt_i32 s23, 9
	s_cbranch_scc0 .LBB118_1733
; %bb.1729:
	s_wait_loadcnt 0x0
	global_load_b64 v[4:5], v[0:1], off
	s_mov_b32 s23, 0
	s_wait_loadcnt 0x0
	v_cvt_i32_f64_e32 v4, v[4:5]
	s_branch .LBB118_1734
.LBB118_1730:
                                        ; implicit-def: $vgpr4
	s_branch .LBB118_1751
.LBB118_1731:
                                        ; implicit-def: $vgpr4
	s_branch .LBB118_1740
.LBB118_1732:
	s_mov_b32 s23, -1
                                        ; implicit-def: $vgpr4
	s_branch .LBB118_1737
.LBB118_1733:
	s_mov_b32 s23, -1
                                        ; implicit-def: $vgpr4
.LBB118_1734:
	s_delay_alu instid0(SALU_CYCLE_1)
	s_and_not1_b32 vcc_lo, exec_lo, s23
	s_cbranch_vccnz .LBB118_1736
; %bb.1735:
	s_wait_loadcnt 0x0
	global_load_b32 v2, v[0:1], off
	s_wait_loadcnt 0x0
	v_cvt_i32_f32_e32 v4, v2
.LBB118_1736:
	s_mov_b32 s23, 0
.LBB118_1737:
	s_delay_alu instid0(SALU_CYCLE_1)
	s_and_not1_b32 vcc_lo, exec_lo, s23
	s_cbranch_vccnz .LBB118_1739
; %bb.1738:
	s_wait_loadcnt 0x0
	global_load_b32 v2, v[0:1], off
	s_wait_loadcnt 0x0
	v_cvt_f32_f16_e32 v2, v2
	s_delay_alu instid0(VALU_DEP_1)
	v_cvt_i32_f32_e32 v4, v2
.LBB118_1739:
	s_cbranch_execnz .LBB118_1750
.LBB118_1740:
	s_sext_i32_i16 s23, s0
	s_delay_alu instid0(SALU_CYCLE_1)
	s_cmp_lt_i32 s23, 6
	s_cbranch_scc1 .LBB118_1743
; %bb.1741:
	s_cmp_gt_i32 s23, 6
	s_cbranch_scc0 .LBB118_1744
; %bb.1742:
	s_wait_loadcnt 0x0
	global_load_b64 v[4:5], v[0:1], off
	s_mov_b32 s23, 0
	s_wait_loadcnt 0x0
	v_cvt_i32_f64_e32 v4, v[4:5]
	s_branch .LBB118_1745
.LBB118_1743:
	s_mov_b32 s23, -1
                                        ; implicit-def: $vgpr4
	s_branch .LBB118_1748
.LBB118_1744:
	s_mov_b32 s23, -1
                                        ; implicit-def: $vgpr4
.LBB118_1745:
	s_delay_alu instid0(SALU_CYCLE_1)
	s_and_not1_b32 vcc_lo, exec_lo, s23
	s_cbranch_vccnz .LBB118_1747
; %bb.1746:
	s_wait_loadcnt 0x0
	global_load_b32 v2, v[0:1], off
	s_wait_loadcnt 0x0
	v_cvt_i32_f32_e32 v4, v2
.LBB118_1747:
	s_mov_b32 s23, 0
.LBB118_1748:
	s_delay_alu instid0(SALU_CYCLE_1)
	s_and_not1_b32 vcc_lo, exec_lo, s23
	s_cbranch_vccnz .LBB118_1750
; %bb.1749:
	s_wait_loadcnt 0x0
	global_load_u16 v2, v[0:1], off
	s_wait_loadcnt 0x0
	v_cvt_f32_f16_e32 v2, v2
	s_delay_alu instid0(VALU_DEP_1)
	v_cvt_i32_f32_e32 v4, v2
.LBB118_1750:
	s_cbranch_execnz .LBB118_1769
.LBB118_1751:
	s_sext_i32_i16 s23, s0
	s_delay_alu instid0(SALU_CYCLE_1)
	s_cmp_lt_i32 s23, 2
	s_cbranch_scc1 .LBB118_1755
; %bb.1752:
	s_cmp_lt_i32 s23, 3
	s_cbranch_scc1 .LBB118_1756
; %bb.1753:
	s_cmp_gt_i32 s23, 3
	s_cbranch_scc0 .LBB118_1757
; %bb.1754:
	s_wait_loadcnt 0x0
	global_load_b32 v4, v[0:1], off
	s_mov_b32 s23, 0
	s_branch .LBB118_1758
.LBB118_1755:
                                        ; implicit-def: $vgpr4
	s_branch .LBB118_1764
.LBB118_1756:
	s_mov_b32 s23, -1
                                        ; implicit-def: $vgpr4
	s_branch .LBB118_1761
.LBB118_1757:
	s_mov_b32 s23, -1
                                        ; implicit-def: $vgpr4
.LBB118_1758:
	s_delay_alu instid0(SALU_CYCLE_1)
	s_and_not1_b32 vcc_lo, exec_lo, s23
	s_cbranch_vccnz .LBB118_1760
; %bb.1759:
	s_wait_loadcnt 0x0
	global_load_b32 v4, v[0:1], off
.LBB118_1760:
	s_mov_b32 s23, 0
.LBB118_1761:
	s_delay_alu instid0(SALU_CYCLE_1)
	s_and_not1_b32 vcc_lo, exec_lo, s23
	s_cbranch_vccnz .LBB118_1763
; %bb.1762:
	s_wait_loadcnt 0x0
	global_load_i16 v4, v[0:1], off
.LBB118_1763:
	s_cbranch_execnz .LBB118_1769
.LBB118_1764:
	s_sext_i32_i16 s0, s0
	s_delay_alu instid0(SALU_CYCLE_1)
	s_cmp_gt_i32 s0, 0
	s_mov_b32 s0, 0
	s_cbranch_scc0 .LBB118_1766
; %bb.1765:
	s_wait_loadcnt 0x0
	global_load_i8 v4, v[0:1], off
	s_branch .LBB118_1767
.LBB118_1766:
	s_mov_b32 s0, -1
                                        ; implicit-def: $vgpr4
.LBB118_1767:
	s_delay_alu instid0(SALU_CYCLE_1)
	s_and_not1_b32 vcc_lo, exec_lo, s0
	s_cbranch_vccnz .LBB118_1769
; %bb.1768:
	s_wait_loadcnt 0x0
	global_load_u8 v4, v[0:1], off
.LBB118_1769:
	s_or_b32 s25, s25, exec_lo
.LBB118_1770:
	s_wait_xcnt 0x0
	s_or_b32 exec_lo, exec_lo, s22
	s_mov_b32 s23, 0
	s_mov_b32 s22, 0
	;; [unrolled: 1-line block ×3, first 2 shown]
                                        ; implicit-def: $vgpr0_vgpr1
                                        ; implicit-def: $vgpr5
	s_and_saveexec_b32 s0, s25
	s_cbranch_execz .LBB118_1778
; %bb.1771:
	v_mul_lo_u32 v0, v8, s15
	s_and_b32 s22, 0xffff, s1
	s_delay_alu instid0(SALU_CYCLE_1) | instskip(NEXT) | instid1(VALU_DEP_1)
	s_cmp_lt_i32 s22, 11
	v_ashrrev_i32_e32 v1, 31, v0
	s_delay_alu instid0(VALU_DEP_1)
	v_add_nc_u64_e32 v[0:1], s[10:11], v[0:1]
	s_cbranch_scc1 .LBB118_1781
; %bb.1772:
	s_cmp_gt_i32 s22, 25
	s_mov_b32 s25, 0
	s_cbranch_scc0 .LBB118_1782
; %bb.1773:
	s_cmp_gt_i32 s22, 28
	s_cbranch_scc0 .LBB118_1783
; %bb.1774:
	s_cmp_gt_i32 s22, 43
	;; [unrolled: 3-line block ×3, first 2 shown]
	s_cbranch_scc0 .LBB118_1785
; %bb.1776:
	s_cmp_eq_u32 s22, 46
	s_mov_b32 s26, 0
	s_cbranch_scc0 .LBB118_1786
; %bb.1777:
	s_wait_loadcnt 0x0
	global_load_b32 v2, v[0:1], off
	s_mov_b32 s24, -1
	s_wait_loadcnt 0x0
	v_lshlrev_b32_e32 v2, 16, v2
	s_delay_alu instid0(VALU_DEP_1)
	v_cvt_i32_f32_e32 v5, v2
	s_branch .LBB118_1788
.LBB118_1778:
	s_or_b32 exec_lo, exec_lo, s0
	s_and_saveexec_b32 s0, s21
	s_cbranch_execnz .LBB118_1847
.LBB118_1779:
	s_or_b32 exec_lo, exec_lo, s0
	s_and_saveexec_b32 s0, s23
	s_delay_alu instid0(SALU_CYCLE_1)
	s_xor_b32 s0, exec_lo, s0
	s_cbranch_execz .LBB118_1848
.LBB118_1780:
	s_wait_loadcnt 0x0
	global_load_u8 v2, v[0:1], off
	s_or_b32 s24, s24, exec_lo
	s_wait_loadcnt 0x0
	v_cmp_ne_u16_e32 vcc_lo, 0, v2
	v_cndmask_b32_e64 v5, 0, 1, vcc_lo
	s_wait_xcnt 0x0
	s_or_b32 exec_lo, exec_lo, s0
	s_and_saveexec_b32 s0, s22
	s_cbranch_execz .LBB118_1894
	s_branch .LBB118_1849
.LBB118_1781:
	s_mov_b32 s22, -1
	s_mov_b32 s25, 0
	s_mov_b32 s23, s21
                                        ; implicit-def: $vgpr5
	s_branch .LBB118_1846
.LBB118_1782:
	s_mov_b32 s23, s21
                                        ; implicit-def: $vgpr5
	s_cbranch_execnz .LBB118_1815
	s_branch .LBB118_1845
.LBB118_1783:
	s_mov_b32 s26, -1
	s_mov_b32 s23, s21
                                        ; implicit-def: $vgpr5
	s_branch .LBB118_1798
.LBB118_1784:
	s_mov_b32 s26, -1
	s_mov_b32 s23, s21
                                        ; implicit-def: $vgpr5
	s_branch .LBB118_1793
.LBB118_1785:
	s_mov_b32 s26, -1
	s_mov_b32 s23, s21
	s_branch .LBB118_1787
.LBB118_1786:
	s_mov_b32 s23, -1
.LBB118_1787:
                                        ; implicit-def: $vgpr5
.LBB118_1788:
	s_and_b32 vcc_lo, exec_lo, s26
	s_cbranch_vccz .LBB118_1792
; %bb.1789:
	s_cmp_eq_u32 s22, 44
	s_cbranch_scc0 .LBB118_1791
; %bb.1790:
	s_wait_loadcnt 0x0
	global_load_u8 v2, v[0:1], off
	s_mov_b32 s23, 0
	s_mov_b32 s24, -1
	s_wait_loadcnt 0x0
	v_lshlrev_b32_e32 v5, 23, v2
	v_cmp_ne_u32_e32 vcc_lo, 0, v2
	s_delay_alu instid0(VALU_DEP_2) | instskip(NEXT) | instid1(VALU_DEP_1)
	v_cvt_i32_f32_e32 v5, v5
	v_cndmask_b32_e32 v5, 0, v5, vcc_lo
	s_branch .LBB118_1792
.LBB118_1791:
	s_mov_b32 s23, -1
                                        ; implicit-def: $vgpr5
.LBB118_1792:
	s_mov_b32 s26, 0
.LBB118_1793:
	s_delay_alu instid0(SALU_CYCLE_1)
	s_and_b32 vcc_lo, exec_lo, s26
	s_cbranch_vccz .LBB118_1797
; %bb.1794:
	s_cmp_eq_u32 s22, 29
	s_cbranch_scc0 .LBB118_1796
; %bb.1795:
	global_load_b32 v5, v[0:1], off
	s_mov_b32 s23, 0
	s_mov_b32 s24, -1
	s_branch .LBB118_1797
.LBB118_1796:
	s_mov_b32 s23, -1
                                        ; implicit-def: $vgpr5
.LBB118_1797:
	s_mov_b32 s26, 0
.LBB118_1798:
	s_delay_alu instid0(SALU_CYCLE_1)
	s_and_b32 vcc_lo, exec_lo, s26
	s_cbranch_vccz .LBB118_1814
; %bb.1799:
	s_cmp_lt_i32 s22, 27
	s_cbranch_scc1 .LBB118_1802
; %bb.1800:
	s_cmp_gt_i32 s22, 27
	s_cbranch_scc0 .LBB118_1803
; %bb.1801:
	s_wait_loadcnt 0x0
	global_load_b32 v5, v[0:1], off
	s_mov_b32 s24, 0
	s_branch .LBB118_1804
.LBB118_1802:
	s_mov_b32 s24, -1
                                        ; implicit-def: $vgpr5
	s_branch .LBB118_1807
.LBB118_1803:
	s_mov_b32 s24, -1
                                        ; implicit-def: $vgpr5
.LBB118_1804:
	s_delay_alu instid0(SALU_CYCLE_1)
	s_and_not1_b32 vcc_lo, exec_lo, s24
	s_cbranch_vccnz .LBB118_1806
; %bb.1805:
	s_wait_loadcnt 0x0
	global_load_u16 v5, v[0:1], off
.LBB118_1806:
	s_mov_b32 s24, 0
.LBB118_1807:
	s_delay_alu instid0(SALU_CYCLE_1)
	s_and_not1_b32 vcc_lo, exec_lo, s24
	s_cbranch_vccnz .LBB118_1813
; %bb.1808:
	s_wait_loadcnt 0x0
	global_load_u8 v2, v[0:1], off
	s_mov_b32 s26, 0
	s_mov_b32 s24, exec_lo
	s_wait_loadcnt 0x0
	v_cmpx_lt_i16_e32 0x7f, v2
	s_xor_b32 s24, exec_lo, s24
	s_cbranch_execz .LBB118_1824
; %bb.1809:
	v_cmp_ne_u16_e32 vcc_lo, 0x80, v2
	s_and_b32 s26, vcc_lo, exec_lo
	s_and_not1_saveexec_b32 s24, s24
	s_cbranch_execnz .LBB118_1825
.LBB118_1810:
	s_or_b32 exec_lo, exec_lo, s24
	v_mov_b32_e32 v5, 0
	s_and_saveexec_b32 s24, s26
	s_cbranch_execz .LBB118_1812
.LBB118_1811:
	v_and_b32_e32 v5, 0xffff, v2
	s_delay_alu instid0(VALU_DEP_1) | instskip(SKIP_1) | instid1(VALU_DEP_2)
	v_and_b32_e32 v6, 7, v5
	v_bfe_u32 v10, v5, 3, 4
	v_clz_i32_u32_e32 v7, v6
	s_delay_alu instid0(VALU_DEP_2) | instskip(NEXT) | instid1(VALU_DEP_2)
	v_cmp_eq_u32_e32 vcc_lo, 0, v10
	v_min_u32_e32 v7, 32, v7
	s_delay_alu instid0(VALU_DEP_1) | instskip(NEXT) | instid1(VALU_DEP_1)
	v_subrev_nc_u32_e32 v9, 28, v7
	v_dual_lshlrev_b32 v5, v9, v5 :: v_dual_sub_nc_u32 v7, 29, v7
	s_delay_alu instid0(VALU_DEP_1) | instskip(NEXT) | instid1(VALU_DEP_2)
	v_dual_lshlrev_b32 v2, 24, v2 :: v_dual_bitop2_b32 v5, 7, v5 bitop3:0x40
	v_cndmask_b32_e32 v7, v10, v7, vcc_lo
	s_delay_alu instid0(VALU_DEP_2) | instskip(NEXT) | instid1(VALU_DEP_3)
	v_cndmask_b32_e32 v5, v6, v5, vcc_lo
	v_and_b32_e32 v2, 0x80000000, v2
	s_delay_alu instid0(VALU_DEP_3) | instskip(NEXT) | instid1(VALU_DEP_3)
	v_lshl_add_u32 v6, v7, 23, 0x3b800000
	v_lshlrev_b32_e32 v5, 20, v5
	s_delay_alu instid0(VALU_DEP_1) | instskip(NEXT) | instid1(VALU_DEP_1)
	v_or3_b32 v2, v2, v6, v5
	v_cvt_i32_f32_e32 v5, v2
.LBB118_1812:
	s_or_b32 exec_lo, exec_lo, s24
.LBB118_1813:
	s_mov_b32 s24, -1
.LBB118_1814:
	s_branch .LBB118_1845
.LBB118_1815:
	s_cmp_gt_i32 s22, 22
	s_cbranch_scc0 .LBB118_1823
; %bb.1816:
	s_cmp_lt_i32 s22, 24
	s_cbranch_scc1 .LBB118_1826
; %bb.1817:
	s_cmp_gt_i32 s22, 24
	s_cbranch_scc0 .LBB118_1827
; %bb.1818:
	s_wait_loadcnt 0x0
	global_load_u8 v2, v[0:1], off
	s_mov_b32 s24, exec_lo
	s_wait_loadcnt 0x0
	v_cmpx_lt_i16_e32 0x7f, v2
	s_xor_b32 s24, exec_lo, s24
	s_cbranch_execz .LBB118_1839
; %bb.1819:
	v_cmp_ne_u16_e32 vcc_lo, 0x80, v2
	s_and_b32 s25, vcc_lo, exec_lo
	s_and_not1_saveexec_b32 s24, s24
	s_cbranch_execnz .LBB118_1840
.LBB118_1820:
	s_or_b32 exec_lo, exec_lo, s24
	v_mov_b32_e32 v5, 0
	s_and_saveexec_b32 s24, s25
	s_cbranch_execz .LBB118_1822
.LBB118_1821:
	v_and_b32_e32 v5, 0xffff, v2
	s_delay_alu instid0(VALU_DEP_1) | instskip(SKIP_1) | instid1(VALU_DEP_2)
	v_and_b32_e32 v6, 3, v5
	v_bfe_u32 v10, v5, 2, 5
	v_clz_i32_u32_e32 v7, v6
	s_delay_alu instid0(VALU_DEP_2) | instskip(NEXT) | instid1(VALU_DEP_2)
	v_cmp_eq_u32_e32 vcc_lo, 0, v10
	v_min_u32_e32 v7, 32, v7
	s_delay_alu instid0(VALU_DEP_1) | instskip(NEXT) | instid1(VALU_DEP_1)
	v_subrev_nc_u32_e32 v9, 29, v7
	v_dual_lshlrev_b32 v5, v9, v5 :: v_dual_sub_nc_u32 v7, 30, v7
	s_delay_alu instid0(VALU_DEP_1) | instskip(NEXT) | instid1(VALU_DEP_2)
	v_dual_lshlrev_b32 v2, 24, v2 :: v_dual_bitop2_b32 v5, 3, v5 bitop3:0x40
	v_cndmask_b32_e32 v7, v10, v7, vcc_lo
	s_delay_alu instid0(VALU_DEP_2) | instskip(NEXT) | instid1(VALU_DEP_3)
	v_cndmask_b32_e32 v5, v6, v5, vcc_lo
	v_and_b32_e32 v2, 0x80000000, v2
	s_delay_alu instid0(VALU_DEP_3) | instskip(NEXT) | instid1(VALU_DEP_3)
	v_lshl_add_u32 v6, v7, 23, 0x37800000
	v_lshlrev_b32_e32 v5, 21, v5
	s_delay_alu instid0(VALU_DEP_1) | instskip(NEXT) | instid1(VALU_DEP_1)
	v_or3_b32 v2, v2, v6, v5
	v_cvt_i32_f32_e32 v5, v2
.LBB118_1822:
	s_or_b32 exec_lo, exec_lo, s24
	s_mov_b32 s24, 0
	s_branch .LBB118_1828
.LBB118_1823:
	s_mov_b32 s25, -1
                                        ; implicit-def: $vgpr5
	s_branch .LBB118_1834
.LBB118_1824:
	s_and_not1_saveexec_b32 s24, s24
	s_cbranch_execz .LBB118_1810
.LBB118_1825:
	v_cmp_ne_u16_e32 vcc_lo, 0, v2
	s_and_not1_b32 s26, s26, exec_lo
	s_and_b32 s27, vcc_lo, exec_lo
	s_delay_alu instid0(SALU_CYCLE_1)
	s_or_b32 s26, s26, s27
	s_or_b32 exec_lo, exec_lo, s24
	v_mov_b32_e32 v5, 0
	s_and_saveexec_b32 s24, s26
	s_cbranch_execnz .LBB118_1811
	s_branch .LBB118_1812
.LBB118_1826:
	s_mov_b32 s24, -1
                                        ; implicit-def: $vgpr5
	s_branch .LBB118_1831
.LBB118_1827:
	s_mov_b32 s24, -1
                                        ; implicit-def: $vgpr5
.LBB118_1828:
	s_delay_alu instid0(SALU_CYCLE_1)
	s_and_b32 vcc_lo, exec_lo, s24
	s_cbranch_vccz .LBB118_1830
; %bb.1829:
	s_wait_loadcnt 0x0
	global_load_u8 v2, v[0:1], off
	s_wait_loadcnt 0x0
	v_lshlrev_b32_e32 v2, 24, v2
	s_delay_alu instid0(VALU_DEP_1) | instskip(NEXT) | instid1(VALU_DEP_1)
	v_and_b32_e32 v5, 0x7f000000, v2
	v_clz_i32_u32_e32 v6, v5
	v_add_nc_u32_e32 v9, 0x1000000, v5
	v_cmp_ne_u32_e32 vcc_lo, 0, v5
	s_delay_alu instid0(VALU_DEP_3) | instskip(NEXT) | instid1(VALU_DEP_1)
	v_min_u32_e32 v6, 32, v6
	v_sub_nc_u32_e64 v6, v6, 4 clamp
	s_delay_alu instid0(VALU_DEP_1) | instskip(NEXT) | instid1(VALU_DEP_1)
	v_dual_lshlrev_b32 v7, v6, v5 :: v_dual_lshlrev_b32 v6, 23, v6
	v_lshrrev_b32_e32 v7, 4, v7
	s_delay_alu instid0(VALU_DEP_1) | instskip(NEXT) | instid1(VALU_DEP_1)
	v_dual_sub_nc_u32 v6, v7, v6 :: v_dual_ashrrev_i32 v7, 8, v9
	v_add_nc_u32_e32 v6, 0x3c000000, v6
	s_delay_alu instid0(VALU_DEP_1) | instskip(NEXT) | instid1(VALU_DEP_1)
	v_and_or_b32 v6, 0x7f800000, v7, v6
	v_cndmask_b32_e32 v5, 0, v6, vcc_lo
	s_delay_alu instid0(VALU_DEP_1) | instskip(NEXT) | instid1(VALU_DEP_1)
	v_and_or_b32 v2, 0x80000000, v2, v5
	v_cvt_i32_f32_e32 v5, v2
.LBB118_1830:
	s_mov_b32 s24, 0
.LBB118_1831:
	s_delay_alu instid0(SALU_CYCLE_1)
	s_and_not1_b32 vcc_lo, exec_lo, s24
	s_cbranch_vccnz .LBB118_1833
; %bb.1832:
	s_wait_loadcnt 0x0
	global_load_u8 v2, v[0:1], off
	s_wait_loadcnt 0x0
	v_lshlrev_b32_e32 v5, 25, v2
	v_lshlrev_b16 v2, 8, v2
	s_delay_alu instid0(VALU_DEP_1) | instskip(SKIP_1) | instid1(VALU_DEP_2)
	v_and_or_b32 v7, 0x7f00, v2, 0.5
	v_bfe_i32 v2, v2, 0, 16
	v_dual_add_f32 v7, -0.5, v7 :: v_dual_lshrrev_b32 v6, 4, v5
	v_cmp_gt_u32_e32 vcc_lo, 0x8000000, v5
	s_delay_alu instid0(VALU_DEP_2) | instskip(NEXT) | instid1(VALU_DEP_1)
	v_or_b32_e32 v6, 0x70000000, v6
	v_mul_f32_e32 v6, 0x7800000, v6
	s_delay_alu instid0(VALU_DEP_1) | instskip(NEXT) | instid1(VALU_DEP_1)
	v_cndmask_b32_e32 v5, v6, v7, vcc_lo
	v_and_or_b32 v2, 0x80000000, v2, v5
	s_delay_alu instid0(VALU_DEP_1)
	v_cvt_i32_f32_e32 v5, v2
.LBB118_1833:
	s_mov_b32 s25, 0
	s_mov_b32 s24, -1
.LBB118_1834:
	s_and_not1_b32 vcc_lo, exec_lo, s25
	s_mov_b32 s25, 0
	s_cbranch_vccnz .LBB118_1845
; %bb.1835:
	s_cmp_gt_i32 s22, 14
	s_cbranch_scc0 .LBB118_1838
; %bb.1836:
	s_cmp_eq_u32 s22, 15
	s_cbranch_scc0 .LBB118_1841
; %bb.1837:
	s_wait_loadcnt 0x0
	global_load_u16 v2, v[0:1], off
	s_mov_b32 s23, 0
	s_mov_b32 s24, -1
	s_wait_loadcnt 0x0
	v_lshlrev_b32_e32 v2, 16, v2
	s_delay_alu instid0(VALU_DEP_1)
	v_cvt_i32_f32_e32 v5, v2
	s_branch .LBB118_1843
.LBB118_1838:
	s_mov_b32 s25, -1
	s_branch .LBB118_1842
.LBB118_1839:
	s_and_not1_saveexec_b32 s24, s24
	s_cbranch_execz .LBB118_1820
.LBB118_1840:
	v_cmp_ne_u16_e32 vcc_lo, 0, v2
	s_and_not1_b32 s25, s25, exec_lo
	s_and_b32 s26, vcc_lo, exec_lo
	s_delay_alu instid0(SALU_CYCLE_1)
	s_or_b32 s25, s25, s26
	s_or_b32 exec_lo, exec_lo, s24
	v_mov_b32_e32 v5, 0
	s_and_saveexec_b32 s24, s25
	s_cbranch_execnz .LBB118_1821
	s_branch .LBB118_1822
.LBB118_1841:
	s_mov_b32 s23, -1
.LBB118_1842:
                                        ; implicit-def: $vgpr5
.LBB118_1843:
	s_and_b32 vcc_lo, exec_lo, s25
	s_mov_b32 s25, 0
	s_cbranch_vccz .LBB118_1845
; %bb.1844:
	s_cmp_lg_u32 s22, 11
	s_mov_b32 s25, -1
	s_cselect_b32 s22, -1, 0
	s_and_not1_b32 s23, s23, exec_lo
	s_and_b32 s22, s22, exec_lo
	s_delay_alu instid0(SALU_CYCLE_1)
	s_or_b32 s23, s23, s22
.LBB118_1845:
	s_mov_b32 s22, 0
.LBB118_1846:
	s_and_not1_b32 s21, s21, exec_lo
	s_and_b32 s26, s23, exec_lo
	s_and_b32 s24, s24, exec_lo
	;; [unrolled: 1-line block ×4, first 2 shown]
	s_or_b32 s21, s21, s26
	s_wait_xcnt 0x0
	s_or_b32 exec_lo, exec_lo, s0
	s_and_saveexec_b32 s0, s21
	s_cbranch_execz .LBB118_1779
.LBB118_1847:
	s_or_b32 s20, s20, exec_lo
	s_and_not1_b32 s23, s23, exec_lo
	s_trap 2
	s_or_b32 exec_lo, exec_lo, s0
	s_and_saveexec_b32 s0, s23
	s_delay_alu instid0(SALU_CYCLE_1)
	s_xor_b32 s0, exec_lo, s0
	s_cbranch_execnz .LBB118_1780
.LBB118_1848:
	s_or_b32 exec_lo, exec_lo, s0
	s_and_saveexec_b32 s0, s22
	s_cbranch_execz .LBB118_1894
.LBB118_1849:
	s_sext_i32_i16 s21, s1
	s_delay_alu instid0(SALU_CYCLE_1)
	s_cmp_lt_i32 s21, 5
	s_cbranch_scc1 .LBB118_1854
; %bb.1850:
	s_cmp_lt_i32 s21, 8
	s_cbranch_scc1 .LBB118_1855
; %bb.1851:
	;; [unrolled: 3-line block ×3, first 2 shown]
	s_cmp_gt_i32 s21, 9
	s_cbranch_scc0 .LBB118_1857
; %bb.1853:
	global_load_b64 v[6:7], v[0:1], off
	s_mov_b32 s21, 0
	s_wait_loadcnt 0x0
	v_cvt_i32_f64_e32 v5, v[6:7]
	s_branch .LBB118_1858
.LBB118_1854:
                                        ; implicit-def: $vgpr5
	s_branch .LBB118_1875
.LBB118_1855:
                                        ; implicit-def: $vgpr5
	s_branch .LBB118_1864
.LBB118_1856:
	s_mov_b32 s21, -1
                                        ; implicit-def: $vgpr5
	s_branch .LBB118_1861
.LBB118_1857:
	s_mov_b32 s21, -1
                                        ; implicit-def: $vgpr5
.LBB118_1858:
	s_delay_alu instid0(SALU_CYCLE_1)
	s_and_not1_b32 vcc_lo, exec_lo, s21
	s_cbranch_vccnz .LBB118_1860
; %bb.1859:
	s_wait_loadcnt 0x0
	global_load_b32 v2, v[0:1], off
	s_wait_loadcnt 0x0
	v_cvt_i32_f32_e32 v5, v2
.LBB118_1860:
	s_mov_b32 s21, 0
.LBB118_1861:
	s_delay_alu instid0(SALU_CYCLE_1)
	s_and_not1_b32 vcc_lo, exec_lo, s21
	s_cbranch_vccnz .LBB118_1863
; %bb.1862:
	s_wait_loadcnt 0x0
	global_load_b32 v2, v[0:1], off
	s_wait_loadcnt 0x0
	v_cvt_f32_f16_e32 v2, v2
	s_delay_alu instid0(VALU_DEP_1)
	v_cvt_i32_f32_e32 v5, v2
.LBB118_1863:
	s_cbranch_execnz .LBB118_1874
.LBB118_1864:
	s_sext_i32_i16 s21, s1
	s_delay_alu instid0(SALU_CYCLE_1)
	s_cmp_lt_i32 s21, 6
	s_cbranch_scc1 .LBB118_1867
; %bb.1865:
	s_cmp_gt_i32 s21, 6
	s_cbranch_scc0 .LBB118_1868
; %bb.1866:
	global_load_b64 v[6:7], v[0:1], off
	s_mov_b32 s21, 0
	s_wait_loadcnt 0x0
	v_cvt_i32_f64_e32 v5, v[6:7]
	s_branch .LBB118_1869
.LBB118_1867:
	s_mov_b32 s21, -1
                                        ; implicit-def: $vgpr5
	s_branch .LBB118_1872
.LBB118_1868:
	s_mov_b32 s21, -1
                                        ; implicit-def: $vgpr5
.LBB118_1869:
	s_delay_alu instid0(SALU_CYCLE_1)
	s_and_not1_b32 vcc_lo, exec_lo, s21
	s_cbranch_vccnz .LBB118_1871
; %bb.1870:
	s_wait_loadcnt 0x0
	global_load_b32 v2, v[0:1], off
	s_wait_loadcnt 0x0
	v_cvt_i32_f32_e32 v5, v2
.LBB118_1871:
	s_mov_b32 s21, 0
.LBB118_1872:
	s_delay_alu instid0(SALU_CYCLE_1)
	s_and_not1_b32 vcc_lo, exec_lo, s21
	s_cbranch_vccnz .LBB118_1874
; %bb.1873:
	s_wait_loadcnt 0x0
	global_load_u16 v2, v[0:1], off
	s_wait_loadcnt 0x0
	v_cvt_f32_f16_e32 v2, v2
	s_delay_alu instid0(VALU_DEP_1)
	v_cvt_i32_f32_e32 v5, v2
.LBB118_1874:
	s_cbranch_execnz .LBB118_1893
.LBB118_1875:
	s_sext_i32_i16 s21, s1
	s_delay_alu instid0(SALU_CYCLE_1)
	s_cmp_lt_i32 s21, 2
	s_cbranch_scc1 .LBB118_1879
; %bb.1876:
	s_cmp_lt_i32 s21, 3
	s_cbranch_scc1 .LBB118_1880
; %bb.1877:
	s_cmp_gt_i32 s21, 3
	s_cbranch_scc0 .LBB118_1881
; %bb.1878:
	s_wait_loadcnt 0x0
	global_load_b32 v5, v[0:1], off
	s_mov_b32 s21, 0
	s_branch .LBB118_1882
.LBB118_1879:
                                        ; implicit-def: $vgpr5
	s_branch .LBB118_1888
.LBB118_1880:
	s_mov_b32 s21, -1
                                        ; implicit-def: $vgpr5
	s_branch .LBB118_1885
.LBB118_1881:
	s_mov_b32 s21, -1
                                        ; implicit-def: $vgpr5
.LBB118_1882:
	s_delay_alu instid0(SALU_CYCLE_1)
	s_and_not1_b32 vcc_lo, exec_lo, s21
	s_cbranch_vccnz .LBB118_1884
; %bb.1883:
	s_wait_loadcnt 0x0
	global_load_b32 v5, v[0:1], off
.LBB118_1884:
	s_mov_b32 s21, 0
.LBB118_1885:
	s_delay_alu instid0(SALU_CYCLE_1)
	s_and_not1_b32 vcc_lo, exec_lo, s21
	s_cbranch_vccnz .LBB118_1887
; %bb.1886:
	s_wait_loadcnt 0x0
	global_load_i16 v5, v[0:1], off
.LBB118_1887:
	s_cbranch_execnz .LBB118_1893
.LBB118_1888:
	s_sext_i32_i16 s21, s1
	s_delay_alu instid0(SALU_CYCLE_1)
	s_cmp_gt_i32 s21, 0
	s_mov_b32 s21, 0
	s_cbranch_scc0 .LBB118_1890
; %bb.1889:
	s_wait_loadcnt 0x0
	global_load_i8 v5, v[0:1], off
	s_branch .LBB118_1891
.LBB118_1890:
	s_mov_b32 s21, -1
                                        ; implicit-def: $vgpr5
.LBB118_1891:
	s_delay_alu instid0(SALU_CYCLE_1)
	s_and_not1_b32 vcc_lo, exec_lo, s21
	s_cbranch_vccnz .LBB118_1893
; %bb.1892:
	s_wait_loadcnt 0x0
	global_load_u8 v5, v[0:1], off
.LBB118_1893:
	s_or_b32 s24, s24, exec_lo
.LBB118_1894:
	s_wait_xcnt 0x0
	s_or_b32 exec_lo, exec_lo, s0
	s_mov_b32 s0, 0
	s_mov_b32 s23, 0
                                        ; implicit-def: $sgpr21
                                        ; implicit-def: $vgpr0_vgpr1
                                        ; implicit-def: $vgpr2
	s_and_saveexec_b32 s22, s24
	s_cbranch_execz .LBB118_1902
; %bb.1895:
	v_mul_lo_u32 v0, v8, s12
	s_wait_loadcnt 0x0
	s_delay_alu instid0(VALU_DEP_2) | instskip(SKIP_1) | instid1(SALU_CYCLE_1)
	v_maxmin_i32 v2, v3, v4, v5
	s_and_b32 s21, s2, 0xff
	s_cmp_lt_i32 s21, 11
	s_delay_alu instid0(VALU_DEP_2) | instskip(NEXT) | instid1(VALU_DEP_1)
	v_ashrrev_i32_e32 v1, 31, v0
	v_add_nc_u64_e32 v[0:1], s[4:5], v[0:1]
	s_cbranch_scc1 .LBB118_1905
; %bb.1896:
	s_and_b32 s23, 0xffff, s21
	s_mov_b32 s24, -1
	s_cmp_gt_i32 s23, 25
	s_mov_b32 s0, s19
	s_cbranch_scc0 .LBB118_1933
; %bb.1897:
	s_cmp_gt_i32 s23, 28
	s_mov_b32 s0, s19
	s_cbranch_scc0 .LBB118_1917
; %bb.1898:
	;; [unrolled: 4-line block ×4, first 2 shown]
	s_cmp_eq_u32 s23, 46
	s_mov_b32 s0, -1
	s_cbranch_scc0 .LBB118_1906
; %bb.1901:
	v_cvt_f32_i32_e32 v3, v2
	s_mov_b32 s0, 0
	s_mov_b32 s24, 0
	s_delay_alu instid0(VALU_DEP_1) | instskip(NEXT) | instid1(VALU_DEP_1)
	v_bfe_u32 v4, v3, 16, 1
	v_add3_u32 v3, v3, v4, 0x7fff
	s_delay_alu instid0(VALU_DEP_1)
	v_lshrrev_b32_e32 v3, 16, v3
	global_store_b32 v[0:1], v3, off
	s_branch .LBB118_1907
.LBB118_1902:
	s_or_b32 exec_lo, exec_lo, s22
	s_and_saveexec_b32 s22, s19
	s_cbranch_execnz .LBB118_1975
.LBB118_1903:
	s_or_b32 exec_lo, exec_lo, s22
	s_and_saveexec_b32 s19, s0
	s_delay_alu instid0(SALU_CYCLE_1)
	s_xor_b32 s0, exec_lo, s19
	s_cbranch_execz .LBB118_1976
.LBB118_1904:
	s_wait_loadcnt 0x0
	v_cmp_ne_u32_e32 vcc_lo, 0, v2
	v_cndmask_b32_e64 v3, 0, 1, vcc_lo
	global_store_b8 v[0:1], v3, off
	s_wait_xcnt 0x0
	s_or_b32 exec_lo, exec_lo, s0
	s_and_saveexec_b32 s0, s23
	s_delay_alu instid0(SALU_CYCLE_1)
	s_xor_b32 s0, exec_lo, s0
	s_cbranch_execz .LBB118_2014
	s_branch .LBB118_1977
.LBB118_1905:
	s_mov_b32 s25, 0
	s_mov_b32 s24, -1
	s_mov_b32 s0, s19
	s_branch .LBB118_1974
.LBB118_1906:
	s_mov_b32 s24, 0
.LBB118_1907:
	s_delay_alu instid0(SALU_CYCLE_1)
	s_and_b32 vcc_lo, exec_lo, s24
	s_cbranch_vccz .LBB118_1912
; %bb.1908:
	s_cmp_eq_u32 s23, 44
	s_mov_b32 s0, -1
	s_cbranch_scc0 .LBB118_1912
; %bb.1909:
	s_wait_xcnt 0x0
	v_cvt_f32_i32_e32 v3, v2
	v_mov_b32_e32 v4, 0xff
	s_mov_b32 s24, exec_lo
	s_delay_alu instid0(VALU_DEP_2) | instskip(NEXT) | instid1(VALU_DEP_1)
	v_bfe_u32 v5, v3, 23, 8
	v_cmpx_ne_u32_e32 0xff, v5
	s_cbranch_execz .LBB118_1911
; %bb.1910:
	v_and_b32_e32 v4, 0x400000, v3
	v_and_or_b32 v5, 0x3fffff, v3, v5
	v_lshrrev_b32_e32 v3, 23, v3
	s_delay_alu instid0(VALU_DEP_3) | instskip(NEXT) | instid1(VALU_DEP_3)
	v_cmp_ne_u32_e32 vcc_lo, 0, v4
	v_cmp_ne_u32_e64 s0, 0, v5
	s_and_b32 s0, vcc_lo, s0
	s_delay_alu instid0(SALU_CYCLE_1) | instskip(NEXT) | instid1(VALU_DEP_1)
	v_cndmask_b32_e64 v4, 0, 1, s0
	v_add_nc_u32_e32 v4, v3, v4
.LBB118_1911:
	s_or_b32 exec_lo, exec_lo, s24
	s_mov_b32 s0, 0
	global_store_b8 v[0:1], v4, off
.LBB118_1912:
	s_mov_b32 s24, 0
.LBB118_1913:
	s_delay_alu instid0(SALU_CYCLE_1)
	s_and_b32 vcc_lo, exec_lo, s24
	s_cbranch_vccz .LBB118_1916
; %bb.1914:
	s_cmp_eq_u32 s23, 29
	s_mov_b32 s0, -1
	s_cbranch_scc0 .LBB118_1916
; %bb.1915:
	s_wait_xcnt 0x0
	v_ashrrev_i32_e32 v3, 31, v2
	s_mov_b32 s0, 0
	s_mov_b32 s24, 0
	global_store_b64 v[0:1], v[2:3], off
	s_branch .LBB118_1917
.LBB118_1916:
	s_mov_b32 s24, 0
.LBB118_1917:
	s_delay_alu instid0(SALU_CYCLE_1)
	s_and_b32 vcc_lo, exec_lo, s24
	s_cbranch_vccz .LBB118_1932
; %bb.1918:
	s_cmp_lt_i32 s23, 27
	s_mov_b32 s24, -1
	s_cbranch_scc1 .LBB118_1924
; %bb.1919:
	s_cmp_gt_i32 s23, 27
	s_cbranch_scc0 .LBB118_1921
; %bb.1920:
	s_mov_b32 s24, 0
	global_store_b32 v[0:1], v2, off
.LBB118_1921:
	s_and_not1_b32 vcc_lo, exec_lo, s24
	s_cbranch_vccnz .LBB118_1923
; %bb.1922:
	global_store_b16 v[0:1], v2, off
.LBB118_1923:
	s_mov_b32 s24, 0
.LBB118_1924:
	s_delay_alu instid0(SALU_CYCLE_1)
	s_and_not1_b32 vcc_lo, exec_lo, s24
	s_cbranch_vccnz .LBB118_1932
; %bb.1925:
	s_wait_xcnt 0x0
	v_cvt_f32_i32_e32 v3, v2
	v_mov_b32_e32 v5, 0x80
	s_mov_b32 s24, exec_lo
	s_delay_alu instid0(VALU_DEP_2) | instskip(NEXT) | instid1(VALU_DEP_1)
	v_and_b32_e32 v4, 0x7fffffff, v3
	v_cmpx_gt_u32_e32 0x43800000, v4
	s_cbranch_execz .LBB118_1931
; %bb.1926:
	v_cmp_lt_u32_e32 vcc_lo, 0x3bffffff, v4
	s_mov_b32 s25, 0
                                        ; implicit-def: $vgpr4
	s_and_saveexec_b32 s26, vcc_lo
	s_delay_alu instid0(SALU_CYCLE_1)
	s_xor_b32 s26, exec_lo, s26
	s_cbranch_execz .LBB118_2029
; %bb.1927:
	v_bfe_u32 v4, v3, 20, 1
	s_mov_b32 s25, exec_lo
	s_delay_alu instid0(VALU_DEP_1) | instskip(NEXT) | instid1(VALU_DEP_1)
	v_add3_u32 v4, v3, v4, 0x487ffff
	v_lshrrev_b32_e32 v4, 20, v4
	s_and_not1_saveexec_b32 s26, s26
	s_cbranch_execnz .LBB118_2030
.LBB118_1928:
	s_or_b32 exec_lo, exec_lo, s26
	v_mov_b32_e32 v5, 0
	s_and_saveexec_b32 s26, s25
.LBB118_1929:
	v_lshrrev_b32_e32 v3, 24, v3
	s_delay_alu instid0(VALU_DEP_1)
	v_and_or_b32 v5, 0x80, v3, v4
.LBB118_1930:
	s_or_b32 exec_lo, exec_lo, s26
.LBB118_1931:
	s_delay_alu instid0(SALU_CYCLE_1)
	s_or_b32 exec_lo, exec_lo, s24
	global_store_b8 v[0:1], v5, off
.LBB118_1932:
	s_mov_b32 s24, 0
.LBB118_1933:
	s_delay_alu instid0(SALU_CYCLE_1)
	s_and_b32 vcc_lo, exec_lo, s24
	s_mov_b32 s24, 0
	s_cbranch_vccz .LBB118_1973
; %bb.1934:
	s_cmp_gt_i32 s23, 22
	s_mov_b32 s25, -1
	s_cbranch_scc0 .LBB118_1966
; %bb.1935:
	s_cmp_lt_i32 s23, 24
	s_cbranch_scc1 .LBB118_1955
; %bb.1936:
	s_cmp_gt_i32 s23, 24
	s_cbranch_scc0 .LBB118_1944
; %bb.1937:
	s_wait_xcnt 0x0
	v_cvt_f32_i32_e32 v3, v2
	v_mov_b32_e32 v5, 0x80
	s_mov_b32 s25, exec_lo
	s_delay_alu instid0(VALU_DEP_2) | instskip(NEXT) | instid1(VALU_DEP_1)
	v_and_b32_e32 v4, 0x7fffffff, v3
	v_cmpx_gt_u32_e32 0x47800000, v4
	s_cbranch_execz .LBB118_1943
; %bb.1938:
	v_cmp_lt_u32_e32 vcc_lo, 0x37ffffff, v4
	s_mov_b32 s26, 0
                                        ; implicit-def: $vgpr4
	s_and_saveexec_b32 s27, vcc_lo
	s_delay_alu instid0(SALU_CYCLE_1)
	s_xor_b32 s27, exec_lo, s27
	s_cbranch_execz .LBB118_2150
; %bb.1939:
	v_bfe_u32 v4, v3, 21, 1
	s_mov_b32 s26, exec_lo
	s_delay_alu instid0(VALU_DEP_1) | instskip(NEXT) | instid1(VALU_DEP_1)
	v_add3_u32 v4, v3, v4, 0x88fffff
	v_lshrrev_b32_e32 v4, 21, v4
	s_and_not1_saveexec_b32 s27, s27
	s_cbranch_execnz .LBB118_2151
.LBB118_1940:
	s_or_b32 exec_lo, exec_lo, s27
	v_mov_b32_e32 v5, 0
	s_and_saveexec_b32 s27, s26
.LBB118_1941:
	v_lshrrev_b32_e32 v3, 24, v3
	s_delay_alu instid0(VALU_DEP_1)
	v_and_or_b32 v5, 0x80, v3, v4
.LBB118_1942:
	s_or_b32 exec_lo, exec_lo, s27
.LBB118_1943:
	s_delay_alu instid0(SALU_CYCLE_1)
	s_or_b32 exec_lo, exec_lo, s25
	s_mov_b32 s25, 0
	global_store_b8 v[0:1], v5, off
.LBB118_1944:
	s_and_b32 vcc_lo, exec_lo, s25
	s_cbranch_vccz .LBB118_1954
; %bb.1945:
	s_wait_xcnt 0x0
	v_cvt_f32_i32_e32 v3, v2
	s_mov_b32 s25, exec_lo
                                        ; implicit-def: $vgpr4
	s_delay_alu instid0(VALU_DEP_1) | instskip(NEXT) | instid1(VALU_DEP_1)
	v_and_b32_e32 v5, 0x7fffffff, v3
	v_cmpx_gt_u32_e32 0x43f00000, v5
	s_xor_b32 s25, exec_lo, s25
	s_cbranch_execz .LBB118_1951
; %bb.1946:
	s_mov_b32 s26, exec_lo
                                        ; implicit-def: $vgpr4
	v_cmpx_lt_u32_e32 0x3c7fffff, v5
	s_xor_b32 s26, exec_lo, s26
; %bb.1947:
	v_bfe_u32 v4, v3, 20, 1
	s_delay_alu instid0(VALU_DEP_1) | instskip(NEXT) | instid1(VALU_DEP_1)
	v_add3_u32 v4, v3, v4, 0x407ffff
	v_and_b32_e32 v5, 0xff00000, v4
	v_lshrrev_b32_e32 v4, 20, v4
	s_delay_alu instid0(VALU_DEP_2) | instskip(NEXT) | instid1(VALU_DEP_2)
	v_cmp_ne_u32_e32 vcc_lo, 0x7f00000, v5
	v_cndmask_b32_e32 v4, 0x7e, v4, vcc_lo
; %bb.1948:
	s_and_not1_saveexec_b32 s26, s26
; %bb.1949:
	v_add_f32_e64 v4, 0x46800000, |v3|
; %bb.1950:
	s_or_b32 exec_lo, exec_lo, s26
                                        ; implicit-def: $vgpr5
.LBB118_1951:
	s_and_not1_saveexec_b32 s25, s25
; %bb.1952:
	v_mov_b32_e32 v4, 0x7f
	v_cmp_lt_u32_e32 vcc_lo, 0x7f800000, v5
	s_delay_alu instid0(VALU_DEP_2)
	v_cndmask_b32_e32 v4, 0x7e, v4, vcc_lo
; %bb.1953:
	s_or_b32 exec_lo, exec_lo, s25
	v_lshrrev_b32_e32 v3, 24, v3
	s_delay_alu instid0(VALU_DEP_1)
	v_and_or_b32 v3, 0x80, v3, v4
	global_store_b8 v[0:1], v3, off
.LBB118_1954:
	s_mov_b32 s25, 0
.LBB118_1955:
	s_delay_alu instid0(SALU_CYCLE_1)
	s_and_not1_b32 vcc_lo, exec_lo, s25
	s_cbranch_vccnz .LBB118_1965
; %bb.1956:
	s_wait_xcnt 0x0
	v_cvt_f32_i32_e32 v3, v2
	s_mov_b32 s25, exec_lo
                                        ; implicit-def: $vgpr4
	s_delay_alu instid0(VALU_DEP_1) | instskip(NEXT) | instid1(VALU_DEP_1)
	v_and_b32_e32 v5, 0x7fffffff, v3
	v_cmpx_gt_u32_e32 0x47800000, v5
	s_xor_b32 s25, exec_lo, s25
	s_cbranch_execz .LBB118_1962
; %bb.1957:
	s_mov_b32 s26, exec_lo
                                        ; implicit-def: $vgpr4
	v_cmpx_lt_u32_e32 0x387fffff, v5
	s_xor_b32 s26, exec_lo, s26
; %bb.1958:
	v_bfe_u32 v4, v3, 21, 1
	s_delay_alu instid0(VALU_DEP_1) | instskip(NEXT) | instid1(VALU_DEP_1)
	v_add3_u32 v4, v3, v4, 0x80fffff
	v_lshrrev_b32_e32 v4, 21, v4
; %bb.1959:
	s_and_not1_saveexec_b32 s26, s26
; %bb.1960:
	v_add_f32_e64 v4, 0x43000000, |v3|
; %bb.1961:
	s_or_b32 exec_lo, exec_lo, s26
                                        ; implicit-def: $vgpr5
.LBB118_1962:
	s_and_not1_saveexec_b32 s25, s25
; %bb.1963:
	v_mov_b32_e32 v4, 0x7f
	v_cmp_lt_u32_e32 vcc_lo, 0x7f800000, v5
	s_delay_alu instid0(VALU_DEP_2)
	v_cndmask_b32_e32 v4, 0x7c, v4, vcc_lo
; %bb.1964:
	s_or_b32 exec_lo, exec_lo, s25
	v_lshrrev_b32_e32 v3, 24, v3
	s_delay_alu instid0(VALU_DEP_1)
	v_and_or_b32 v3, 0x80, v3, v4
	global_store_b8 v[0:1], v3, off
.LBB118_1965:
	s_mov_b32 s25, 0
.LBB118_1966:
	s_delay_alu instid0(SALU_CYCLE_1)
	s_and_not1_b32 vcc_lo, exec_lo, s25
	s_mov_b32 s25, 0
	s_cbranch_vccnz .LBB118_1974
; %bb.1967:
	s_cmp_gt_i32 s23, 14
	s_mov_b32 s25, -1
	s_cbranch_scc0 .LBB118_1971
; %bb.1968:
	s_cmp_eq_u32 s23, 15
	s_mov_b32 s0, -1
	s_cbranch_scc0 .LBB118_1970
; %bb.1969:
	s_wait_xcnt 0x0
	v_cvt_f32_i32_e32 v3, v2
	s_mov_b32 s0, 0
	s_delay_alu instid0(VALU_DEP_1) | instskip(NEXT) | instid1(VALU_DEP_1)
	v_bfe_u32 v4, v3, 16, 1
	v_add3_u32 v3, v3, v4, 0x7fff
	global_store_d16_hi_b16 v[0:1], v3, off
.LBB118_1970:
	s_mov_b32 s25, 0
.LBB118_1971:
	s_delay_alu instid0(SALU_CYCLE_1)
	s_and_b32 vcc_lo, exec_lo, s25
	s_mov_b32 s25, 0
	s_cbranch_vccz .LBB118_1974
; %bb.1972:
	s_cmp_lg_u32 s23, 11
	s_mov_b32 s25, -1
	s_cselect_b32 s23, -1, 0
	s_and_not1_b32 s0, s0, exec_lo
	s_and_b32 s23, s23, exec_lo
	s_delay_alu instid0(SALU_CYCLE_1)
	s_or_b32 s0, s0, s23
	s_branch .LBB118_1974
.LBB118_1973:
	s_mov_b32 s25, 0
.LBB118_1974:
	s_and_b32 s23, s24, exec_lo
	s_and_not1_b32 s19, s19, exec_lo
	s_and_b32 s24, s0, exec_lo
	s_and_b32 s0, s25, exec_lo
	s_or_b32 s19, s19, s24
	s_wait_xcnt 0x0
	s_or_b32 exec_lo, exec_lo, s22
	s_and_saveexec_b32 s22, s19
	s_cbranch_execz .LBB118_1903
.LBB118_1975:
	s_or_b32 s20, s20, exec_lo
	s_and_not1_b32 s0, s0, exec_lo
	s_trap 2
	s_or_b32 exec_lo, exec_lo, s22
	s_and_saveexec_b32 s19, s0
	s_delay_alu instid0(SALU_CYCLE_1)
	s_xor_b32 s0, exec_lo, s19
	s_cbranch_execnz .LBB118_1904
.LBB118_1976:
	s_or_b32 exec_lo, exec_lo, s0
	s_and_saveexec_b32 s0, s23
	s_delay_alu instid0(SALU_CYCLE_1)
	s_xor_b32 s0, exec_lo, s0
	s_cbranch_execz .LBB118_2014
.LBB118_1977:
	s_sext_i32_i16 s22, s21
	s_mov_b32 s19, -1
	s_cmp_lt_i32 s22, 5
	s_cbranch_scc1 .LBB118_1998
; %bb.1978:
	s_cmp_lt_i32 s22, 8
	s_cbranch_scc1 .LBB118_1988
; %bb.1979:
	;; [unrolled: 3-line block ×3, first 2 shown]
	s_cmp_gt_i32 s22, 9
	s_cbranch_scc0 .LBB118_1982
; %bb.1981:
	s_wait_loadcnt 0x0
	v_cvt_f64_i32_e32 v[4:5], v2
	v_mov_b32_e32 v6, 0
	s_mov_b32 s19, 0
	s_delay_alu instid0(VALU_DEP_1)
	v_mov_b32_e32 v7, v6
	global_store_b128 v[0:1], v[4:7], off
.LBB118_1982:
	s_and_not1_b32 vcc_lo, exec_lo, s19
	s_cbranch_vccnz .LBB118_1984
; %bb.1983:
	s_wait_loadcnt 0x0
	v_cvt_f32_i32_e32 v4, v2
	v_mov_b32_e32 v5, 0
	global_store_b64 v[0:1], v[4:5], off
.LBB118_1984:
	s_mov_b32 s19, 0
.LBB118_1985:
	s_delay_alu instid0(SALU_CYCLE_1)
	s_and_not1_b32 vcc_lo, exec_lo, s19
	s_cbranch_vccnz .LBB118_1987
; %bb.1986:
	s_wait_loadcnt 0x0
	v_cvt_f32_i32_e32 v3, v2
	s_delay_alu instid0(VALU_DEP_1) | instskip(NEXT) | instid1(VALU_DEP_1)
	v_cvt_f16_f32_e32 v3, v3
	v_and_b32_e32 v3, 0xffff, v3
	global_store_b32 v[0:1], v3, off
.LBB118_1987:
	s_mov_b32 s19, 0
.LBB118_1988:
	s_delay_alu instid0(SALU_CYCLE_1)
	s_and_not1_b32 vcc_lo, exec_lo, s19
	s_cbranch_vccnz .LBB118_1997
; %bb.1989:
	s_sext_i32_i16 s22, s21
	s_mov_b32 s19, -1
	s_cmp_lt_i32 s22, 6
	s_cbranch_scc1 .LBB118_1995
; %bb.1990:
	s_cmp_gt_i32 s22, 6
	s_cbranch_scc0 .LBB118_1992
; %bb.1991:
	s_wait_loadcnt 0x0
	v_cvt_f64_i32_e32 v[4:5], v2
	s_mov_b32 s19, 0
	global_store_b64 v[0:1], v[4:5], off
.LBB118_1992:
	s_and_not1_b32 vcc_lo, exec_lo, s19
	s_cbranch_vccnz .LBB118_1994
; %bb.1993:
	s_wait_loadcnt 0x0
	v_cvt_f32_i32_e32 v3, v2
	global_store_b32 v[0:1], v3, off
.LBB118_1994:
	s_mov_b32 s19, 0
.LBB118_1995:
	s_delay_alu instid0(SALU_CYCLE_1)
	s_and_not1_b32 vcc_lo, exec_lo, s19
	s_cbranch_vccnz .LBB118_1997
; %bb.1996:
	s_wait_loadcnt 0x0
	v_cvt_f32_i32_e32 v3, v2
	s_delay_alu instid0(VALU_DEP_1)
	v_cvt_f16_f32_e32 v3, v3
	global_store_b16 v[0:1], v3, off
.LBB118_1997:
	s_mov_b32 s19, 0
.LBB118_1998:
	s_delay_alu instid0(SALU_CYCLE_1)
	s_and_not1_b32 vcc_lo, exec_lo, s19
	s_cbranch_vccnz .LBB118_2014
; %bb.1999:
	s_sext_i32_i16 s22, s21
	s_mov_b32 s19, -1
	s_cmp_lt_i32 s22, 2
	s_cbranch_scc1 .LBB118_2009
; %bb.2000:
	s_cmp_lt_i32 s22, 3
	s_cbranch_scc1 .LBB118_2006
; %bb.2001:
	s_cmp_gt_i32 s22, 3
	s_cbranch_scc0 .LBB118_2003
; %bb.2002:
	s_wait_loadcnt 0x0
	v_ashrrev_i32_e32 v3, 31, v2
	s_mov_b32 s19, 0
	global_store_b64 v[0:1], v[2:3], off
.LBB118_2003:
	s_and_not1_b32 vcc_lo, exec_lo, s19
	s_cbranch_vccnz .LBB118_2005
; %bb.2004:
	s_wait_loadcnt 0x0
	global_store_b32 v[0:1], v2, off
.LBB118_2005:
	s_mov_b32 s19, 0
.LBB118_2006:
	s_delay_alu instid0(SALU_CYCLE_1)
	s_and_not1_b32 vcc_lo, exec_lo, s19
	s_cbranch_vccnz .LBB118_2008
; %bb.2007:
	s_wait_loadcnt 0x0
	global_store_b16 v[0:1], v2, off
.LBB118_2008:
	s_mov_b32 s19, 0
.LBB118_2009:
	s_delay_alu instid0(SALU_CYCLE_1)
	s_and_not1_b32 vcc_lo, exec_lo, s19
	s_cbranch_vccnz .LBB118_2014
; %bb.2010:
	s_sext_i32_i16 s19, s21
	s_delay_alu instid0(SALU_CYCLE_1)
	s_cmp_gt_i32 s19, 0
	s_mov_b32 s19, -1
	s_cbranch_scc0 .LBB118_2012
; %bb.2011:
	s_mov_b32 s19, 0
	s_wait_loadcnt 0x0
	global_store_b8 v[0:1], v2, off
.LBB118_2012:
	s_and_not1_b32 vcc_lo, exec_lo, s19
	s_cbranch_vccnz .LBB118_2014
; %bb.2013:
	s_wait_loadcnt 0x0
	global_store_b8 v[0:1], v2, off
.LBB118_2014:
	s_wait_xcnt 0x0
	s_or_b32 exec_lo, exec_lo, s0
	s_delay_alu instid0(SALU_CYCLE_1)
	s_and_b32 s19, s20, exec_lo
                                        ; implicit-def: $vgpr8
.LBB118_2015:
	s_or_saveexec_b32 s18, s18
	s_mov_b32 s0, 0
                                        ; implicit-def: $sgpr20
                                        ; implicit-def: $vgpr0_vgpr1
                                        ; implicit-def: $vgpr2
	s_xor_b32 exec_lo, exec_lo, s18
	s_cbranch_execz .LBB118_3970
; %bb.2016:
	v_mul_lo_u32 v0, s13, v8
	s_and_b32 s17, s17, 0xff
	s_delay_alu instid0(SALU_CYCLE_1) | instskip(NEXT) | instid1(VALU_DEP_1)
	s_cmp_lt_i32 s17, 11
	v_ashrrev_i32_e32 v1, 31, v0
	s_wait_loadcnt 0x0
	s_delay_alu instid0(VALU_DEP_1)
	v_add_nc_u64_e32 v[2:3], s[6:7], v[0:1]
	s_cbranch_scc1 .LBB118_2023
; %bb.2017:
	s_and_b32 s0, 0xffff, s17
	s_mov_b32 s20, 0
	s_cmp_gt_i32 s0, 25
	s_cbranch_scc0 .LBB118_2025
; %bb.2018:
	s_cmp_gt_i32 s0, 28
	s_cbranch_scc0 .LBB118_2026
; %bb.2019:
	;; [unrolled: 3-line block ×4, first 2 shown]
	s_cmp_eq_u32 s0, 46
	s_mov_b32 s22, 0
	s_cbranch_scc0 .LBB118_2031
; %bb.2022:
	global_load_b32 v1, v[2:3], off
	s_mov_b32 s21, -1
	s_wait_loadcnt 0x0
	v_lshlrev_b32_e32 v1, 16, v1
	s_delay_alu instid0(VALU_DEP_1)
	v_cvt_i32_f32_e32 v9, v1
	s_branch .LBB118_2033
.LBB118_2023:
	s_mov_b32 s21, 0
	s_mov_b32 s16, s19
                                        ; implicit-def: $vgpr9
	s_cbranch_execnz .LBB118_2091
.LBB118_2024:
	s_and_not1_b32 vcc_lo, exec_lo, s21
	s_cbranch_vccz .LBB118_2136
	s_branch .LBB118_3968
.LBB118_2025:
	s_mov_b32 s21, 0
                                        ; implicit-def: $vgpr9
	s_cbranch_execnz .LBB118_2058
	s_branch .LBB118_2087
.LBB118_2026:
	s_mov_b32 s21, 0
                                        ; implicit-def: $vgpr9
	s_cbranch_execz .LBB118_2057
	s_branch .LBB118_2042
.LBB118_2027:
	s_mov_b32 s21, 0
                                        ; implicit-def: $vgpr9
	s_cbranch_execnz .LBB118_2038
	s_branch .LBB118_2041
.LBB118_2028:
	s_mov_b32 s22, -1
	s_branch .LBB118_2032
.LBB118_2029:
	s_and_not1_saveexec_b32 s26, s26
	s_cbranch_execz .LBB118_1928
.LBB118_2030:
	v_add_f32_e64 v4, 0x46000000, |v3|
	s_and_not1_b32 s25, s25, exec_lo
	s_delay_alu instid0(VALU_DEP_1) | instskip(NEXT) | instid1(VALU_DEP_1)
	v_and_b32_e32 v4, 0xff, v4
	v_cmp_ne_u32_e32 vcc_lo, 0, v4
	s_and_b32 s27, vcc_lo, exec_lo
	s_delay_alu instid0(SALU_CYCLE_1)
	s_or_b32 s25, s25, s27
	s_or_b32 exec_lo, exec_lo, s26
	v_mov_b32_e32 v5, 0
	s_and_saveexec_b32 s26, s25
	s_cbranch_execnz .LBB118_1929
	s_branch .LBB118_1930
.LBB118_2031:
	s_mov_b32 s16, -1
.LBB118_2032:
	s_mov_b32 s21, 0
                                        ; implicit-def: $vgpr9
.LBB118_2033:
	s_and_b32 vcc_lo, exec_lo, s22
	s_cbranch_vccz .LBB118_2036
; %bb.2034:
	s_cmp_eq_u32 s0, 44
	s_cbranch_scc0 .LBB118_2037
; %bb.2035:
	global_load_u8 v1, v[2:3], off
	s_mov_b32 s16, 0
	s_mov_b32 s21, -1
	s_wait_loadcnt 0x0
	v_lshlrev_b32_e32 v4, 23, v1
	v_cmp_ne_u32_e32 vcc_lo, 0, v1
	s_delay_alu instid0(VALU_DEP_2) | instskip(NEXT) | instid1(VALU_DEP_1)
	v_cvt_i32_f32_e32 v4, v4
	v_cndmask_b32_e32 v9, 0, v4, vcc_lo
.LBB118_2036:
	s_branch .LBB118_2041
.LBB118_2037:
	s_mov_b32 s16, -1
                                        ; implicit-def: $vgpr9
	s_branch .LBB118_2041
.LBB118_2038:
	s_cmp_eq_u32 s0, 29
	s_cbranch_scc0 .LBB118_2040
; %bb.2039:
	global_load_b32 v9, v[2:3], off
	s_mov_b32 s16, 0
	s_mov_b32 s21, -1
	s_branch .LBB118_2041
.LBB118_2040:
	s_mov_b32 s16, -1
                                        ; implicit-def: $vgpr9
.LBB118_2041:
	s_branch .LBB118_2057
.LBB118_2042:
	s_cmp_lt_i32 s0, 27
	s_cbranch_scc1 .LBB118_2045
; %bb.2043:
	s_cmp_gt_i32 s0, 27
	s_cbranch_scc0 .LBB118_2046
; %bb.2044:
	s_wait_loadcnt 0x0
	global_load_b32 v9, v[2:3], off
	s_mov_b32 s21, 0
	s_branch .LBB118_2047
.LBB118_2045:
	s_mov_b32 s21, -1
                                        ; implicit-def: $vgpr9
	s_branch .LBB118_2050
.LBB118_2046:
	s_mov_b32 s21, -1
                                        ; implicit-def: $vgpr9
.LBB118_2047:
	s_delay_alu instid0(SALU_CYCLE_1)
	s_and_not1_b32 vcc_lo, exec_lo, s21
	s_cbranch_vccnz .LBB118_2049
; %bb.2048:
	s_wait_loadcnt 0x0
	global_load_u16 v9, v[2:3], off
.LBB118_2049:
	s_mov_b32 s21, 0
.LBB118_2050:
	s_delay_alu instid0(SALU_CYCLE_1)
	s_and_not1_b32 vcc_lo, exec_lo, s21
	s_cbranch_vccnz .LBB118_2056
; %bb.2051:
	global_load_u8 v1, v[2:3], off
	s_mov_b32 s22, 0
	s_mov_b32 s21, exec_lo
	s_wait_loadcnt 0x0
	v_cmpx_lt_i16_e32 0x7f, v1
	s_xor_b32 s21, exec_lo, s21
	s_cbranch_execz .LBB118_2067
; %bb.2052:
	v_cmp_ne_u16_e32 vcc_lo, 0x80, v1
	s_and_b32 s22, vcc_lo, exec_lo
	s_and_not1_saveexec_b32 s21, s21
	s_cbranch_execnz .LBB118_2068
.LBB118_2053:
	s_or_b32 exec_lo, exec_lo, s21
	v_mov_b32_e32 v9, 0
	s_and_saveexec_b32 s21, s22
	s_cbranch_execz .LBB118_2055
.LBB118_2054:
	v_and_b32_e32 v4, 0xffff, v1
	s_delay_alu instid0(VALU_DEP_1) | instskip(SKIP_1) | instid1(VALU_DEP_2)
	v_and_b32_e32 v5, 7, v4
	v_bfe_u32 v9, v4, 3, 4
	v_clz_i32_u32_e32 v6, v5
	s_delay_alu instid0(VALU_DEP_2) | instskip(NEXT) | instid1(VALU_DEP_2)
	v_cmp_eq_u32_e32 vcc_lo, 0, v9
	v_min_u32_e32 v6, 32, v6
	s_delay_alu instid0(VALU_DEP_1) | instskip(NEXT) | instid1(VALU_DEP_1)
	v_subrev_nc_u32_e32 v7, 28, v6
	v_dual_lshlrev_b32 v4, v7, v4 :: v_dual_sub_nc_u32 v6, 29, v6
	s_delay_alu instid0(VALU_DEP_1) | instskip(NEXT) | instid1(VALU_DEP_2)
	v_dual_lshlrev_b32 v1, 24, v1 :: v_dual_bitop2_b32 v4, 7, v4 bitop3:0x40
	v_cndmask_b32_e32 v6, v9, v6, vcc_lo
	s_delay_alu instid0(VALU_DEP_2) | instskip(NEXT) | instid1(VALU_DEP_3)
	v_cndmask_b32_e32 v4, v5, v4, vcc_lo
	v_and_b32_e32 v1, 0x80000000, v1
	s_delay_alu instid0(VALU_DEP_3) | instskip(NEXT) | instid1(VALU_DEP_3)
	v_lshl_add_u32 v5, v6, 23, 0x3b800000
	v_lshlrev_b32_e32 v4, 20, v4
	s_delay_alu instid0(VALU_DEP_1) | instskip(NEXT) | instid1(VALU_DEP_1)
	v_or3_b32 v1, v1, v5, v4
	v_cvt_i32_f32_e32 v9, v1
.LBB118_2055:
	s_or_b32 exec_lo, exec_lo, s21
.LBB118_2056:
	s_mov_b32 s21, -1
.LBB118_2057:
	s_branch .LBB118_2087
.LBB118_2058:
	s_cmp_gt_i32 s0, 22
	s_cbranch_scc0 .LBB118_2066
; %bb.2059:
	s_cmp_lt_i32 s0, 24
	s_cbranch_scc1 .LBB118_2069
; %bb.2060:
	s_cmp_gt_i32 s0, 24
	s_cbranch_scc0 .LBB118_2070
; %bb.2061:
	global_load_u8 v1, v[2:3], off
	s_mov_b32 s21, 0
	s_mov_b32 s20, exec_lo
	s_wait_loadcnt 0x0
	v_cmpx_lt_i16_e32 0x7f, v1
	s_xor_b32 s20, exec_lo, s20
	s_cbranch_execz .LBB118_2081
; %bb.2062:
	v_cmp_ne_u16_e32 vcc_lo, 0x80, v1
	s_and_b32 s21, vcc_lo, exec_lo
	s_and_not1_saveexec_b32 s20, s20
	s_cbranch_execnz .LBB118_2082
.LBB118_2063:
	s_or_b32 exec_lo, exec_lo, s20
	v_mov_b32_e32 v9, 0
	s_and_saveexec_b32 s20, s21
	s_cbranch_execz .LBB118_2065
.LBB118_2064:
	v_and_b32_e32 v4, 0xffff, v1
	s_delay_alu instid0(VALU_DEP_1) | instskip(SKIP_1) | instid1(VALU_DEP_2)
	v_and_b32_e32 v5, 3, v4
	v_bfe_u32 v9, v4, 2, 5
	v_clz_i32_u32_e32 v6, v5
	s_delay_alu instid0(VALU_DEP_2) | instskip(NEXT) | instid1(VALU_DEP_2)
	v_cmp_eq_u32_e32 vcc_lo, 0, v9
	v_min_u32_e32 v6, 32, v6
	s_delay_alu instid0(VALU_DEP_1) | instskip(NEXT) | instid1(VALU_DEP_1)
	v_subrev_nc_u32_e32 v7, 29, v6
	v_dual_lshlrev_b32 v4, v7, v4 :: v_dual_sub_nc_u32 v6, 30, v6
	s_delay_alu instid0(VALU_DEP_1) | instskip(NEXT) | instid1(VALU_DEP_2)
	v_dual_lshlrev_b32 v1, 24, v1 :: v_dual_bitop2_b32 v4, 3, v4 bitop3:0x40
	v_cndmask_b32_e32 v6, v9, v6, vcc_lo
	s_delay_alu instid0(VALU_DEP_2) | instskip(NEXT) | instid1(VALU_DEP_3)
	v_cndmask_b32_e32 v4, v5, v4, vcc_lo
	v_and_b32_e32 v1, 0x80000000, v1
	s_delay_alu instid0(VALU_DEP_3) | instskip(NEXT) | instid1(VALU_DEP_3)
	v_lshl_add_u32 v5, v6, 23, 0x37800000
	v_lshlrev_b32_e32 v4, 21, v4
	s_delay_alu instid0(VALU_DEP_1) | instskip(NEXT) | instid1(VALU_DEP_1)
	v_or3_b32 v1, v1, v5, v4
	v_cvt_i32_f32_e32 v9, v1
.LBB118_2065:
	s_or_b32 exec_lo, exec_lo, s20
	s_mov_b32 s20, 0
	s_branch .LBB118_2071
.LBB118_2066:
                                        ; implicit-def: $vgpr9
	s_mov_b32 s20, 0
	s_branch .LBB118_2077
.LBB118_2067:
	s_and_not1_saveexec_b32 s21, s21
	s_cbranch_execz .LBB118_2053
.LBB118_2068:
	v_cmp_ne_u16_e32 vcc_lo, 0, v1
	s_and_not1_b32 s22, s22, exec_lo
	s_and_b32 s23, vcc_lo, exec_lo
	s_delay_alu instid0(SALU_CYCLE_1)
	s_or_b32 s22, s22, s23
	s_or_b32 exec_lo, exec_lo, s21
	v_mov_b32_e32 v9, 0
	s_and_saveexec_b32 s21, s22
	s_cbranch_execnz .LBB118_2054
	s_branch .LBB118_2055
.LBB118_2069:
	s_mov_b32 s20, -1
                                        ; implicit-def: $vgpr9
	s_branch .LBB118_2074
.LBB118_2070:
	s_mov_b32 s20, -1
                                        ; implicit-def: $vgpr9
.LBB118_2071:
	s_delay_alu instid0(SALU_CYCLE_1)
	s_and_b32 vcc_lo, exec_lo, s20
	s_cbranch_vccz .LBB118_2073
; %bb.2072:
	global_load_u8 v1, v[2:3], off
	s_wait_loadcnt 0x0
	v_lshlrev_b32_e32 v1, 24, v1
	s_delay_alu instid0(VALU_DEP_1) | instskip(NEXT) | instid1(VALU_DEP_1)
	v_and_b32_e32 v4, 0x7f000000, v1
	v_clz_i32_u32_e32 v5, v4
	v_cmp_ne_u32_e32 vcc_lo, 0, v4
	v_add_nc_u32_e32 v7, 0x1000000, v4
	s_delay_alu instid0(VALU_DEP_3) | instskip(NEXT) | instid1(VALU_DEP_1)
	v_min_u32_e32 v5, 32, v5
	v_sub_nc_u32_e64 v5, v5, 4 clamp
	s_delay_alu instid0(VALU_DEP_1) | instskip(NEXT) | instid1(VALU_DEP_1)
	v_dual_lshlrev_b32 v6, v5, v4 :: v_dual_lshlrev_b32 v5, 23, v5
	v_lshrrev_b32_e32 v6, 4, v6
	s_delay_alu instid0(VALU_DEP_1) | instskip(NEXT) | instid1(VALU_DEP_1)
	v_dual_sub_nc_u32 v5, v6, v5 :: v_dual_ashrrev_i32 v6, 8, v7
	v_add_nc_u32_e32 v5, 0x3c000000, v5
	s_delay_alu instid0(VALU_DEP_1) | instskip(NEXT) | instid1(VALU_DEP_1)
	v_and_or_b32 v5, 0x7f800000, v6, v5
	v_cndmask_b32_e32 v4, 0, v5, vcc_lo
	s_delay_alu instid0(VALU_DEP_1) | instskip(NEXT) | instid1(VALU_DEP_1)
	v_and_or_b32 v1, 0x80000000, v1, v4
	v_cvt_i32_f32_e32 v9, v1
.LBB118_2073:
	s_mov_b32 s20, 0
.LBB118_2074:
	s_delay_alu instid0(SALU_CYCLE_1)
	s_and_not1_b32 vcc_lo, exec_lo, s20
	s_cbranch_vccnz .LBB118_2076
; %bb.2075:
	global_load_u8 v1, v[2:3], off
	s_wait_loadcnt 0x0
	v_lshlrev_b32_e32 v4, 25, v1
	v_lshlrev_b16 v1, 8, v1
	s_delay_alu instid0(VALU_DEP_1) | instskip(SKIP_1) | instid1(VALU_DEP_2)
	v_and_or_b32 v6, 0x7f00, v1, 0.5
	v_bfe_i32 v1, v1, 0, 16
	v_dual_add_f32 v6, -0.5, v6 :: v_dual_lshrrev_b32 v5, 4, v4
	v_cmp_gt_u32_e32 vcc_lo, 0x8000000, v4
	s_delay_alu instid0(VALU_DEP_2) | instskip(NEXT) | instid1(VALU_DEP_1)
	v_or_b32_e32 v5, 0x70000000, v5
	v_mul_f32_e32 v5, 0x7800000, v5
	s_delay_alu instid0(VALU_DEP_1) | instskip(NEXT) | instid1(VALU_DEP_1)
	v_cndmask_b32_e32 v4, v5, v6, vcc_lo
	v_and_or_b32 v1, 0x80000000, v1, v4
	s_delay_alu instid0(VALU_DEP_1)
	v_cvt_i32_f32_e32 v9, v1
.LBB118_2076:
	s_mov_b32 s21, -1
	s_mov_b32 s20, 0
	s_cbranch_execnz .LBB118_2087
.LBB118_2077:
	s_cmp_gt_i32 s0, 14
	s_cbranch_scc0 .LBB118_2080
; %bb.2078:
	s_cmp_eq_u32 s0, 15
	s_cbranch_scc0 .LBB118_2083
; %bb.2079:
	global_load_u16 v1, v[2:3], off
	s_mov_b32 s16, 0
	s_mov_b32 s21, -1
	s_wait_loadcnt 0x0
	v_lshlrev_b32_e32 v1, 16, v1
	s_delay_alu instid0(VALU_DEP_1)
	v_cvt_i32_f32_e32 v9, v1
	s_branch .LBB118_2085
.LBB118_2080:
	s_mov_b32 s20, -1
	s_branch .LBB118_2084
.LBB118_2081:
	s_and_not1_saveexec_b32 s20, s20
	s_cbranch_execz .LBB118_2063
.LBB118_2082:
	v_cmp_ne_u16_e32 vcc_lo, 0, v1
	s_and_not1_b32 s21, s21, exec_lo
	s_and_b32 s22, vcc_lo, exec_lo
	s_delay_alu instid0(SALU_CYCLE_1)
	s_or_b32 s21, s21, s22
	s_or_b32 exec_lo, exec_lo, s20
	v_mov_b32_e32 v9, 0
	s_and_saveexec_b32 s20, s21
	s_cbranch_execnz .LBB118_2064
	s_branch .LBB118_2065
.LBB118_2083:
	s_mov_b32 s16, -1
.LBB118_2084:
                                        ; implicit-def: $vgpr9
.LBB118_2085:
	s_and_b32 vcc_lo, exec_lo, s20
	s_mov_b32 s20, 0
	s_cbranch_vccz .LBB118_2087
; %bb.2086:
	s_cmp_lg_u32 s0, 11
	s_mov_b32 s20, -1
	s_cselect_b32 s16, -1, 0
.LBB118_2087:
	s_delay_alu instid0(SALU_CYCLE_1)
	s_and_b32 vcc_lo, exec_lo, s16
	s_mov_b32 s16, s19
	s_cbranch_vccnz .LBB118_2148
; %bb.2088:
	s_and_not1_b32 vcc_lo, exec_lo, s20
	s_cbranch_vccnz .LBB118_2090
.LBB118_2089:
	global_load_u8 v1, v[2:3], off
	s_mov_b32 s21, -1
	s_wait_loadcnt 0x0
	v_cmp_ne_u16_e32 vcc_lo, 0, v1
	v_cndmask_b32_e64 v9, 0, 1, vcc_lo
.LBB118_2090:
	s_branch .LBB118_2024
.LBB118_2091:
	s_and_b32 s0, 0xffff, s17
	s_delay_alu instid0(SALU_CYCLE_1)
	s_cmp_lt_i32 s0, 5
	s_cbranch_scc1 .LBB118_2096
; %bb.2092:
	s_cmp_lt_i32 s0, 8
	s_cbranch_scc1 .LBB118_2097
; %bb.2093:
	;; [unrolled: 3-line block ×3, first 2 shown]
	s_cmp_gt_i32 s0, 9
	s_cbranch_scc0 .LBB118_2099
; %bb.2095:
	global_load_b64 v[4:5], v[2:3], off
	s_mov_b32 s20, 0
	s_wait_loadcnt 0x0
	v_cvt_i32_f64_e32 v9, v[4:5]
	s_branch .LBB118_2100
.LBB118_2096:
                                        ; implicit-def: $vgpr9
	s_branch .LBB118_2117
.LBB118_2097:
                                        ; implicit-def: $vgpr9
	s_branch .LBB118_2106
.LBB118_2098:
	s_mov_b32 s20, -1
                                        ; implicit-def: $vgpr9
	s_branch .LBB118_2103
.LBB118_2099:
	s_mov_b32 s20, -1
                                        ; implicit-def: $vgpr9
.LBB118_2100:
	s_delay_alu instid0(SALU_CYCLE_1)
	s_and_not1_b32 vcc_lo, exec_lo, s20
	s_cbranch_vccnz .LBB118_2102
; %bb.2101:
	global_load_b32 v1, v[2:3], off
	s_wait_loadcnt 0x0
	v_cvt_i32_f32_e32 v9, v1
.LBB118_2102:
	s_mov_b32 s20, 0
.LBB118_2103:
	s_delay_alu instid0(SALU_CYCLE_1)
	s_and_not1_b32 vcc_lo, exec_lo, s20
	s_cbranch_vccnz .LBB118_2105
; %bb.2104:
	global_load_b32 v1, v[2:3], off
	s_wait_loadcnt 0x0
	v_cvt_f32_f16_e32 v1, v1
	s_delay_alu instid0(VALU_DEP_1)
	v_cvt_i32_f32_e32 v9, v1
.LBB118_2105:
	s_cbranch_execnz .LBB118_2116
.LBB118_2106:
	s_cmp_lt_i32 s0, 6
	s_cbranch_scc1 .LBB118_2109
; %bb.2107:
	s_cmp_gt_i32 s0, 6
	s_cbranch_scc0 .LBB118_2110
; %bb.2108:
	global_load_b64 v[4:5], v[2:3], off
	s_mov_b32 s20, 0
	s_wait_loadcnt 0x0
	v_cvt_i32_f64_e32 v9, v[4:5]
	s_branch .LBB118_2111
.LBB118_2109:
	s_mov_b32 s20, -1
                                        ; implicit-def: $vgpr9
	s_branch .LBB118_2114
.LBB118_2110:
	s_mov_b32 s20, -1
                                        ; implicit-def: $vgpr9
.LBB118_2111:
	s_delay_alu instid0(SALU_CYCLE_1)
	s_and_not1_b32 vcc_lo, exec_lo, s20
	s_cbranch_vccnz .LBB118_2113
; %bb.2112:
	global_load_b32 v1, v[2:3], off
	s_wait_loadcnt 0x0
	v_cvt_i32_f32_e32 v9, v1
.LBB118_2113:
	s_mov_b32 s20, 0
.LBB118_2114:
	s_delay_alu instid0(SALU_CYCLE_1)
	s_and_not1_b32 vcc_lo, exec_lo, s20
	s_cbranch_vccnz .LBB118_2116
; %bb.2115:
	global_load_u16 v1, v[2:3], off
	s_wait_loadcnt 0x0
	v_cvt_f32_f16_e32 v1, v1
	s_delay_alu instid0(VALU_DEP_1)
	v_cvt_i32_f32_e32 v9, v1
.LBB118_2116:
	s_cbranch_execnz .LBB118_2135
.LBB118_2117:
	s_cmp_lt_i32 s0, 2
	s_cbranch_scc1 .LBB118_2121
; %bb.2118:
	s_cmp_lt_i32 s0, 3
	s_cbranch_scc1 .LBB118_2122
; %bb.2119:
	s_cmp_gt_i32 s0, 3
	s_cbranch_scc0 .LBB118_2123
; %bb.2120:
	s_wait_loadcnt 0x0
	global_load_b32 v9, v[2:3], off
	s_mov_b32 s20, 0
	s_branch .LBB118_2124
.LBB118_2121:
                                        ; implicit-def: $vgpr9
	s_branch .LBB118_2130
.LBB118_2122:
	s_mov_b32 s20, -1
                                        ; implicit-def: $vgpr9
	s_branch .LBB118_2127
.LBB118_2123:
	s_mov_b32 s20, -1
                                        ; implicit-def: $vgpr9
.LBB118_2124:
	s_delay_alu instid0(SALU_CYCLE_1)
	s_and_not1_b32 vcc_lo, exec_lo, s20
	s_cbranch_vccnz .LBB118_2126
; %bb.2125:
	s_wait_loadcnt 0x0
	global_load_b32 v9, v[2:3], off
.LBB118_2126:
	s_mov_b32 s20, 0
.LBB118_2127:
	s_delay_alu instid0(SALU_CYCLE_1)
	s_and_not1_b32 vcc_lo, exec_lo, s20
	s_cbranch_vccnz .LBB118_2129
; %bb.2128:
	s_wait_loadcnt 0x0
	global_load_i16 v9, v[2:3], off
.LBB118_2129:
	s_cbranch_execnz .LBB118_2135
.LBB118_2130:
	s_cmp_gt_i32 s0, 0
	s_mov_b32 s0, 0
	s_cbranch_scc0 .LBB118_2132
; %bb.2131:
	s_wait_loadcnt 0x0
	global_load_i8 v9, v[2:3], off
	s_branch .LBB118_2133
.LBB118_2132:
	s_mov_b32 s0, -1
                                        ; implicit-def: $vgpr9
.LBB118_2133:
	s_delay_alu instid0(SALU_CYCLE_1)
	s_and_not1_b32 vcc_lo, exec_lo, s0
	s_cbranch_vccnz .LBB118_2135
; %bb.2134:
	s_wait_loadcnt 0x0
	global_load_u8 v9, v[2:3], off
.LBB118_2135:
.LBB118_2136:
	s_wait_xcnt 0x0
	v_mul_lo_u32 v2, s14, v8
	s_and_b32 s3, s3, 0xff
	s_delay_alu instid0(SALU_CYCLE_1) | instskip(NEXT) | instid1(VALU_DEP_1)
	s_cmp_lt_i32 s3, 11
	v_ashrrev_i32_e32 v3, 31, v2
	s_delay_alu instid0(VALU_DEP_1)
	v_add_nc_u64_e32 v[4:5], s[8:9], v[2:3]
	s_cbranch_scc1 .LBB118_2143
; %bb.2137:
	s_and_b32 s0, 0xffff, s3
	s_mov_b32 s21, 0
	s_cmp_gt_i32 s0, 25
	s_cbranch_scc0 .LBB118_2145
; %bb.2138:
	s_cmp_gt_i32 s0, 28
	s_cbranch_scc0 .LBB118_2146
; %bb.2139:
	;; [unrolled: 3-line block ×4, first 2 shown]
	s_cmp_eq_u32 s0, 46
	s_mov_b32 s23, 0
	s_cbranch_scc0 .LBB118_2152
; %bb.2142:
	global_load_b32 v1, v[4:5], off
	s_mov_b32 s20, 0
	s_mov_b32 s22, -1
	s_wait_loadcnt 0x0
	v_lshlrev_b32_e32 v1, 16, v1
	s_delay_alu instid0(VALU_DEP_1)
	v_cvt_i32_f32_e32 v10, v1
	s_branch .LBB118_2154
.LBB118_2143:
	s_mov_b32 s22, 0
                                        ; implicit-def: $vgpr10
	s_cbranch_execnz .LBB118_2215
.LBB118_2144:
	s_and_not1_b32 vcc_lo, exec_lo, s22
	s_cbranch_vccnz .LBB118_3968
	s_branch .LBB118_2262
.LBB118_2145:
	s_mov_b32 s22, 0
	s_mov_b32 s20, 0
                                        ; implicit-def: $vgpr10
	s_cbranch_execnz .LBB118_2181
	s_branch .LBB118_2211
.LBB118_2146:
	s_mov_b32 s23, -1
	s_mov_b32 s22, 0
	s_mov_b32 s20, 0
                                        ; implicit-def: $vgpr10
	s_branch .LBB118_2164
.LBB118_2147:
	s_mov_b32 s23, -1
	s_mov_b32 s22, 0
	s_mov_b32 s20, 0
                                        ; implicit-def: $vgpr10
	s_branch .LBB118_2159
.LBB118_2148:
	s_or_b32 s16, s19, exec_lo
	s_trap 2
	s_cbranch_execz .LBB118_2089
	s_branch .LBB118_2090
.LBB118_2149:
	s_mov_b32 s23, -1
	s_mov_b32 s22, 0
	s_mov_b32 s20, 0
	s_branch .LBB118_2153
.LBB118_2150:
	s_and_not1_saveexec_b32 s27, s27
	s_cbranch_execz .LBB118_1940
.LBB118_2151:
	v_add_f32_e64 v4, 0x42800000, |v3|
	s_and_not1_b32 s26, s26, exec_lo
	s_delay_alu instid0(VALU_DEP_1) | instskip(NEXT) | instid1(VALU_DEP_1)
	v_and_b32_e32 v4, 0xff, v4
	v_cmp_ne_u32_e32 vcc_lo, 0, v4
	s_and_b32 s28, vcc_lo, exec_lo
	s_delay_alu instid0(SALU_CYCLE_1)
	s_or_b32 s26, s26, s28
	s_or_b32 exec_lo, exec_lo, s27
	v_mov_b32_e32 v5, 0
	s_and_saveexec_b32 s27, s26
	s_cbranch_execnz .LBB118_1941
	s_branch .LBB118_1942
.LBB118_2152:
	s_mov_b32 s20, -1
	s_mov_b32 s22, 0
.LBB118_2153:
                                        ; implicit-def: $vgpr10
.LBB118_2154:
	s_and_b32 vcc_lo, exec_lo, s23
	s_cbranch_vccz .LBB118_2158
; %bb.2155:
	s_cmp_eq_u32 s0, 44
	s_cbranch_scc0 .LBB118_2157
; %bb.2156:
	global_load_u8 v1, v[4:5], off
	s_mov_b32 s20, 0
	s_mov_b32 s22, -1
	s_wait_loadcnt 0x0
	v_lshlrev_b32_e32 v3, 23, v1
	v_cmp_ne_u32_e32 vcc_lo, 0, v1
	s_delay_alu instid0(VALU_DEP_2) | instskip(NEXT) | instid1(VALU_DEP_1)
	v_cvt_i32_f32_e32 v3, v3
	v_cndmask_b32_e32 v10, 0, v3, vcc_lo
	s_branch .LBB118_2158
.LBB118_2157:
	s_mov_b32 s20, -1
                                        ; implicit-def: $vgpr10
.LBB118_2158:
	s_mov_b32 s23, 0
.LBB118_2159:
	s_delay_alu instid0(SALU_CYCLE_1)
	s_and_b32 vcc_lo, exec_lo, s23
	s_cbranch_vccz .LBB118_2163
; %bb.2160:
	s_cmp_eq_u32 s0, 29
	s_cbranch_scc0 .LBB118_2162
; %bb.2161:
	global_load_b32 v10, v[4:5], off
	s_mov_b32 s20, 0
	s_mov_b32 s22, -1
	s_branch .LBB118_2163
.LBB118_2162:
	s_mov_b32 s20, -1
                                        ; implicit-def: $vgpr10
.LBB118_2163:
	s_mov_b32 s23, 0
.LBB118_2164:
	s_delay_alu instid0(SALU_CYCLE_1)
	s_and_b32 vcc_lo, exec_lo, s23
	s_cbranch_vccz .LBB118_2180
; %bb.2165:
	s_cmp_lt_i32 s0, 27
	s_cbranch_scc1 .LBB118_2168
; %bb.2166:
	s_cmp_gt_i32 s0, 27
	s_cbranch_scc0 .LBB118_2169
; %bb.2167:
	s_wait_loadcnt 0x0
	global_load_b32 v10, v[4:5], off
	s_mov_b32 s22, 0
	s_branch .LBB118_2170
.LBB118_2168:
	s_mov_b32 s22, -1
                                        ; implicit-def: $vgpr10
	s_branch .LBB118_2173
.LBB118_2169:
	s_mov_b32 s22, -1
                                        ; implicit-def: $vgpr10
.LBB118_2170:
	s_delay_alu instid0(SALU_CYCLE_1)
	s_and_not1_b32 vcc_lo, exec_lo, s22
	s_cbranch_vccnz .LBB118_2172
; %bb.2171:
	s_wait_loadcnt 0x0
	global_load_u16 v10, v[4:5], off
.LBB118_2172:
	s_mov_b32 s22, 0
.LBB118_2173:
	s_delay_alu instid0(SALU_CYCLE_1)
	s_and_not1_b32 vcc_lo, exec_lo, s22
	s_cbranch_vccnz .LBB118_2179
; %bb.2174:
	global_load_u8 v1, v[4:5], off
	s_mov_b32 s23, 0
	s_mov_b32 s22, exec_lo
	s_wait_loadcnt 0x0
	v_cmpx_lt_i16_e32 0x7f, v1
	s_xor_b32 s22, exec_lo, s22
	s_cbranch_execz .LBB118_2190
; %bb.2175:
	v_cmp_ne_u16_e32 vcc_lo, 0x80, v1
	s_and_b32 s23, vcc_lo, exec_lo
	s_and_not1_saveexec_b32 s22, s22
	s_cbranch_execnz .LBB118_2191
.LBB118_2176:
	s_or_b32 exec_lo, exec_lo, s22
	v_mov_b32_e32 v10, 0
	s_and_saveexec_b32 s22, s23
	s_cbranch_execz .LBB118_2178
.LBB118_2177:
	v_and_b32_e32 v3, 0xffff, v1
	s_delay_alu instid0(VALU_DEP_1) | instskip(SKIP_1) | instid1(VALU_DEP_2)
	v_dual_lshlrev_b32 v1, 24, v1 :: v_dual_bitop2_b32 v6, 7, v3 bitop3:0x40
	v_bfe_u32 v11, v3, 3, 4
	v_and_b32_e32 v1, 0x80000000, v1
	s_delay_alu instid0(VALU_DEP_3) | instskip(NEXT) | instid1(VALU_DEP_3)
	v_clz_i32_u32_e32 v7, v6
	v_cmp_eq_u32_e32 vcc_lo, 0, v11
	s_delay_alu instid0(VALU_DEP_2) | instskip(NEXT) | instid1(VALU_DEP_1)
	v_min_u32_e32 v7, 32, v7
	v_subrev_nc_u32_e32 v10, 28, v7
	v_sub_nc_u32_e32 v7, 29, v7
	s_delay_alu instid0(VALU_DEP_2) | instskip(NEXT) | instid1(VALU_DEP_2)
	v_lshlrev_b32_e32 v3, v10, v3
	v_cndmask_b32_e32 v7, v11, v7, vcc_lo
	s_delay_alu instid0(VALU_DEP_2) | instskip(NEXT) | instid1(VALU_DEP_1)
	v_and_b32_e32 v3, 7, v3
	v_cndmask_b32_e32 v3, v6, v3, vcc_lo
	s_delay_alu instid0(VALU_DEP_3) | instskip(NEXT) | instid1(VALU_DEP_2)
	v_lshl_add_u32 v6, v7, 23, 0x3b800000
	v_lshlrev_b32_e32 v3, 20, v3
	s_delay_alu instid0(VALU_DEP_1) | instskip(NEXT) | instid1(VALU_DEP_1)
	v_or3_b32 v1, v1, v6, v3
	v_cvt_i32_f32_e32 v10, v1
.LBB118_2178:
	s_or_b32 exec_lo, exec_lo, s22
.LBB118_2179:
	s_mov_b32 s22, -1
.LBB118_2180:
	s_branch .LBB118_2211
.LBB118_2181:
	s_cmp_gt_i32 s0, 22
	s_cbranch_scc0 .LBB118_2189
; %bb.2182:
	s_cmp_lt_i32 s0, 24
	s_cbranch_scc1 .LBB118_2192
; %bb.2183:
	s_cmp_gt_i32 s0, 24
	s_cbranch_scc0 .LBB118_2193
; %bb.2184:
	global_load_u8 v1, v[4:5], off
	s_mov_b32 s22, 0
	s_mov_b32 s21, exec_lo
	s_wait_loadcnt 0x0
	v_cmpx_lt_i16_e32 0x7f, v1
	s_xor_b32 s21, exec_lo, s21
	s_cbranch_execz .LBB118_2205
; %bb.2185:
	v_cmp_ne_u16_e32 vcc_lo, 0x80, v1
	s_and_b32 s22, vcc_lo, exec_lo
	s_and_not1_saveexec_b32 s21, s21
	s_cbranch_execnz .LBB118_2206
.LBB118_2186:
	s_or_b32 exec_lo, exec_lo, s21
	v_mov_b32_e32 v10, 0
	s_and_saveexec_b32 s21, s22
	s_cbranch_execz .LBB118_2188
.LBB118_2187:
	v_and_b32_e32 v3, 0xffff, v1
	s_delay_alu instid0(VALU_DEP_1) | instskip(SKIP_1) | instid1(VALU_DEP_2)
	v_dual_lshlrev_b32 v1, 24, v1 :: v_dual_bitop2_b32 v6, 3, v3 bitop3:0x40
	v_bfe_u32 v11, v3, 2, 5
	v_and_b32_e32 v1, 0x80000000, v1
	s_delay_alu instid0(VALU_DEP_3) | instskip(NEXT) | instid1(VALU_DEP_3)
	v_clz_i32_u32_e32 v7, v6
	v_cmp_eq_u32_e32 vcc_lo, 0, v11
	s_delay_alu instid0(VALU_DEP_2) | instskip(NEXT) | instid1(VALU_DEP_1)
	v_min_u32_e32 v7, 32, v7
	v_subrev_nc_u32_e32 v10, 29, v7
	v_sub_nc_u32_e32 v7, 30, v7
	s_delay_alu instid0(VALU_DEP_2) | instskip(NEXT) | instid1(VALU_DEP_2)
	v_lshlrev_b32_e32 v3, v10, v3
	v_cndmask_b32_e32 v7, v11, v7, vcc_lo
	s_delay_alu instid0(VALU_DEP_2) | instskip(NEXT) | instid1(VALU_DEP_1)
	v_and_b32_e32 v3, 3, v3
	v_cndmask_b32_e32 v3, v6, v3, vcc_lo
	s_delay_alu instid0(VALU_DEP_3) | instskip(NEXT) | instid1(VALU_DEP_2)
	v_lshl_add_u32 v6, v7, 23, 0x37800000
	v_lshlrev_b32_e32 v3, 21, v3
	s_delay_alu instid0(VALU_DEP_1) | instskip(NEXT) | instid1(VALU_DEP_1)
	v_or3_b32 v1, v1, v6, v3
	v_cvt_i32_f32_e32 v10, v1
.LBB118_2188:
	s_or_b32 exec_lo, exec_lo, s21
	s_mov_b32 s21, 0
	s_branch .LBB118_2194
.LBB118_2189:
	s_mov_b32 s21, -1
                                        ; implicit-def: $vgpr10
	s_branch .LBB118_2200
.LBB118_2190:
	s_and_not1_saveexec_b32 s22, s22
	s_cbranch_execz .LBB118_2176
.LBB118_2191:
	v_cmp_ne_u16_e32 vcc_lo, 0, v1
	s_and_not1_b32 s23, s23, exec_lo
	s_and_b32 s24, vcc_lo, exec_lo
	s_delay_alu instid0(SALU_CYCLE_1)
	s_or_b32 s23, s23, s24
	s_or_b32 exec_lo, exec_lo, s22
	v_mov_b32_e32 v10, 0
	s_and_saveexec_b32 s22, s23
	s_cbranch_execnz .LBB118_2177
	s_branch .LBB118_2178
.LBB118_2192:
	s_mov_b32 s21, -1
                                        ; implicit-def: $vgpr10
	s_branch .LBB118_2197
.LBB118_2193:
	s_mov_b32 s21, -1
                                        ; implicit-def: $vgpr10
.LBB118_2194:
	s_delay_alu instid0(SALU_CYCLE_1)
	s_and_b32 vcc_lo, exec_lo, s21
	s_cbranch_vccz .LBB118_2196
; %bb.2195:
	global_load_u8 v1, v[4:5], off
	s_wait_loadcnt 0x0
	v_lshlrev_b32_e32 v1, 24, v1
	s_delay_alu instid0(VALU_DEP_1) | instskip(NEXT) | instid1(VALU_DEP_1)
	v_and_b32_e32 v3, 0x7f000000, v1
	v_clz_i32_u32_e32 v6, v3
	v_cmp_ne_u32_e32 vcc_lo, 0, v3
	v_add_nc_u32_e32 v10, 0x1000000, v3
	s_delay_alu instid0(VALU_DEP_3) | instskip(NEXT) | instid1(VALU_DEP_1)
	v_min_u32_e32 v6, 32, v6
	v_sub_nc_u32_e64 v6, v6, 4 clamp
	s_delay_alu instid0(VALU_DEP_1) | instskip(NEXT) | instid1(VALU_DEP_1)
	v_dual_lshlrev_b32 v7, v6, v3 :: v_dual_lshlrev_b32 v6, 23, v6
	v_lshrrev_b32_e32 v7, 4, v7
	s_delay_alu instid0(VALU_DEP_1) | instskip(SKIP_1) | instid1(VALU_DEP_2)
	v_sub_nc_u32_e32 v6, v7, v6
	v_ashrrev_i32_e32 v7, 8, v10
	v_add_nc_u32_e32 v6, 0x3c000000, v6
	s_delay_alu instid0(VALU_DEP_1) | instskip(NEXT) | instid1(VALU_DEP_1)
	v_and_or_b32 v6, 0x7f800000, v7, v6
	v_cndmask_b32_e32 v3, 0, v6, vcc_lo
	s_delay_alu instid0(VALU_DEP_1) | instskip(NEXT) | instid1(VALU_DEP_1)
	v_and_or_b32 v1, 0x80000000, v1, v3
	v_cvt_i32_f32_e32 v10, v1
.LBB118_2196:
	s_mov_b32 s21, 0
.LBB118_2197:
	s_delay_alu instid0(SALU_CYCLE_1)
	s_and_not1_b32 vcc_lo, exec_lo, s21
	s_cbranch_vccnz .LBB118_2199
; %bb.2198:
	global_load_u8 v1, v[4:5], off
	s_wait_loadcnt 0x0
	v_lshlrev_b32_e32 v3, 25, v1
	v_lshlrev_b16 v1, 8, v1
	s_delay_alu instid0(VALU_DEP_1) | instskip(SKIP_1) | instid1(VALU_DEP_2)
	v_and_or_b32 v7, 0x7f00, v1, 0.5
	v_bfe_i32 v1, v1, 0, 16
	v_add_f32_e32 v7, -0.5, v7
	v_lshrrev_b32_e32 v6, 4, v3
	v_cmp_gt_u32_e32 vcc_lo, 0x8000000, v3
	s_delay_alu instid0(VALU_DEP_2) | instskip(NEXT) | instid1(VALU_DEP_1)
	v_or_b32_e32 v6, 0x70000000, v6
	v_mul_f32_e32 v6, 0x7800000, v6
	s_delay_alu instid0(VALU_DEP_1) | instskip(NEXT) | instid1(VALU_DEP_1)
	v_cndmask_b32_e32 v3, v6, v7, vcc_lo
	v_and_or_b32 v1, 0x80000000, v1, v3
	s_delay_alu instid0(VALU_DEP_1)
	v_cvt_i32_f32_e32 v10, v1
.LBB118_2199:
	s_mov_b32 s21, 0
	s_mov_b32 s22, -1
.LBB118_2200:
	s_and_not1_b32 vcc_lo, exec_lo, s21
	s_mov_b32 s21, 0
	s_cbranch_vccnz .LBB118_2211
; %bb.2201:
	s_cmp_gt_i32 s0, 14
	s_cbranch_scc0 .LBB118_2204
; %bb.2202:
	s_cmp_eq_u32 s0, 15
	s_cbranch_scc0 .LBB118_2207
; %bb.2203:
	global_load_u16 v1, v[4:5], off
	s_mov_b32 s20, 0
	s_mov_b32 s22, -1
	s_wait_loadcnt 0x0
	v_lshlrev_b32_e32 v1, 16, v1
	s_delay_alu instid0(VALU_DEP_1)
	v_cvt_i32_f32_e32 v10, v1
	s_branch .LBB118_2209
.LBB118_2204:
	s_mov_b32 s21, -1
	s_branch .LBB118_2208
.LBB118_2205:
	s_and_not1_saveexec_b32 s21, s21
	s_cbranch_execz .LBB118_2186
.LBB118_2206:
	v_cmp_ne_u16_e32 vcc_lo, 0, v1
	s_and_not1_b32 s22, s22, exec_lo
	s_and_b32 s23, vcc_lo, exec_lo
	s_delay_alu instid0(SALU_CYCLE_1)
	s_or_b32 s22, s22, s23
	s_or_b32 exec_lo, exec_lo, s21
	v_mov_b32_e32 v10, 0
	s_and_saveexec_b32 s21, s22
	s_cbranch_execnz .LBB118_2187
	s_branch .LBB118_2188
.LBB118_2207:
	s_mov_b32 s20, -1
.LBB118_2208:
                                        ; implicit-def: $vgpr10
.LBB118_2209:
	s_and_b32 vcc_lo, exec_lo, s21
	s_mov_b32 s21, 0
	s_cbranch_vccz .LBB118_2211
; %bb.2210:
	s_cmp_lg_u32 s0, 11
	s_mov_b32 s21, -1
	s_cselect_b32 s20, -1, 0
.LBB118_2211:
	s_delay_alu instid0(SALU_CYCLE_1)
	s_and_b32 vcc_lo, exec_lo, s20
	s_cbranch_vccnz .LBB118_2274
; %bb.2212:
	s_and_not1_b32 vcc_lo, exec_lo, s21
	s_cbranch_vccnz .LBB118_2214
.LBB118_2213:
	global_load_u8 v1, v[4:5], off
	s_mov_b32 s22, -1
	s_wait_loadcnt 0x0
	v_cmp_ne_u16_e32 vcc_lo, 0, v1
	v_cndmask_b32_e64 v10, 0, 1, vcc_lo
.LBB118_2214:
	s_branch .LBB118_2144
.LBB118_2215:
	s_and_b32 s0, 0xffff, s3
	s_delay_alu instid0(SALU_CYCLE_1)
	s_cmp_lt_i32 s0, 5
	s_cbranch_scc1 .LBB118_2220
; %bb.2216:
	s_cmp_lt_i32 s0, 8
	s_cbranch_scc1 .LBB118_2221
; %bb.2217:
	s_cmp_lt_i32 s0, 9
	s_cbranch_scc1 .LBB118_2222
; %bb.2218:
	s_cmp_gt_i32 s0, 9
	s_cbranch_scc0 .LBB118_2223
; %bb.2219:
	global_load_b64 v[6:7], v[4:5], off
	s_mov_b32 s20, 0
	s_wait_loadcnt 0x0
	v_cvt_i32_f64_e32 v10, v[6:7]
	s_branch .LBB118_2224
.LBB118_2220:
                                        ; implicit-def: $vgpr10
	s_branch .LBB118_2242
.LBB118_2221:
	s_mov_b32 s20, -1
                                        ; implicit-def: $vgpr10
	s_branch .LBB118_2230
.LBB118_2222:
	s_mov_b32 s20, -1
                                        ; implicit-def: $vgpr10
	s_branch .LBB118_2227
.LBB118_2223:
	s_mov_b32 s20, -1
                                        ; implicit-def: $vgpr10
.LBB118_2224:
	s_delay_alu instid0(SALU_CYCLE_1)
	s_and_not1_b32 vcc_lo, exec_lo, s20
	s_cbranch_vccnz .LBB118_2226
; %bb.2225:
	global_load_b32 v1, v[4:5], off
	s_wait_loadcnt 0x0
	v_cvt_i32_f32_e32 v10, v1
.LBB118_2226:
	s_mov_b32 s20, 0
.LBB118_2227:
	s_delay_alu instid0(SALU_CYCLE_1)
	s_and_not1_b32 vcc_lo, exec_lo, s20
	s_cbranch_vccnz .LBB118_2229
; %bb.2228:
	global_load_b32 v1, v[4:5], off
	s_wait_loadcnt 0x0
	v_cvt_f32_f16_e32 v1, v1
	s_delay_alu instid0(VALU_DEP_1)
	v_cvt_i32_f32_e32 v10, v1
.LBB118_2229:
	s_mov_b32 s20, 0
.LBB118_2230:
	s_delay_alu instid0(SALU_CYCLE_1)
	s_and_not1_b32 vcc_lo, exec_lo, s20
	s_cbranch_vccnz .LBB118_2241
; %bb.2231:
	s_cmp_lt_i32 s0, 6
	s_cbranch_scc1 .LBB118_2234
; %bb.2232:
	s_cmp_gt_i32 s0, 6
	s_cbranch_scc0 .LBB118_2235
; %bb.2233:
	global_load_b64 v[6:7], v[4:5], off
	s_mov_b32 s20, 0
	s_wait_loadcnt 0x0
	v_cvt_i32_f64_e32 v10, v[6:7]
	s_branch .LBB118_2236
.LBB118_2234:
	s_mov_b32 s20, -1
                                        ; implicit-def: $vgpr10
	s_branch .LBB118_2239
.LBB118_2235:
	s_mov_b32 s20, -1
                                        ; implicit-def: $vgpr10
.LBB118_2236:
	s_delay_alu instid0(SALU_CYCLE_1)
	s_and_not1_b32 vcc_lo, exec_lo, s20
	s_cbranch_vccnz .LBB118_2238
; %bb.2237:
	global_load_b32 v1, v[4:5], off
	s_wait_loadcnt 0x0
	v_cvt_i32_f32_e32 v10, v1
.LBB118_2238:
	s_mov_b32 s20, 0
.LBB118_2239:
	s_delay_alu instid0(SALU_CYCLE_1)
	s_and_not1_b32 vcc_lo, exec_lo, s20
	s_cbranch_vccnz .LBB118_2241
; %bb.2240:
	global_load_u16 v1, v[4:5], off
	s_wait_loadcnt 0x0
	v_cvt_f32_f16_e32 v1, v1
	s_delay_alu instid0(VALU_DEP_1)
	v_cvt_i32_f32_e32 v10, v1
.LBB118_2241:
	s_cbranch_execnz .LBB118_2261
.LBB118_2242:
	s_cmp_lt_i32 s0, 2
	s_cbranch_scc1 .LBB118_2246
; %bb.2243:
	s_cmp_lt_i32 s0, 3
	s_cbranch_scc1 .LBB118_2247
; %bb.2244:
	s_cmp_gt_i32 s0, 3
	s_cbranch_scc0 .LBB118_2248
; %bb.2245:
	s_wait_loadcnt 0x0
	global_load_b32 v10, v[4:5], off
	s_mov_b32 s20, 0
	s_branch .LBB118_2249
.LBB118_2246:
	s_mov_b32 s20, -1
                                        ; implicit-def: $vgpr10
	s_branch .LBB118_2255
.LBB118_2247:
	s_mov_b32 s20, -1
                                        ; implicit-def: $vgpr10
	s_branch .LBB118_2252
.LBB118_2248:
	s_mov_b32 s20, -1
                                        ; implicit-def: $vgpr10
.LBB118_2249:
	s_delay_alu instid0(SALU_CYCLE_1)
	s_and_not1_b32 vcc_lo, exec_lo, s20
	s_cbranch_vccnz .LBB118_2251
; %bb.2250:
	s_wait_loadcnt 0x0
	global_load_b32 v10, v[4:5], off
.LBB118_2251:
	s_mov_b32 s20, 0
.LBB118_2252:
	s_delay_alu instid0(SALU_CYCLE_1)
	s_and_not1_b32 vcc_lo, exec_lo, s20
	s_cbranch_vccnz .LBB118_2254
; %bb.2253:
	s_wait_loadcnt 0x0
	global_load_i16 v10, v[4:5], off
.LBB118_2254:
	s_mov_b32 s20, 0
.LBB118_2255:
	s_delay_alu instid0(SALU_CYCLE_1)
	s_and_not1_b32 vcc_lo, exec_lo, s20
	s_cbranch_vccnz .LBB118_2261
; %bb.2256:
	s_cmp_gt_i32 s0, 0
	s_mov_b32 s0, 0
	s_cbranch_scc0 .LBB118_2258
; %bb.2257:
	s_wait_loadcnt 0x0
	global_load_i8 v10, v[4:5], off
	s_branch .LBB118_2259
.LBB118_2258:
	s_mov_b32 s0, -1
                                        ; implicit-def: $vgpr10
.LBB118_2259:
	s_delay_alu instid0(SALU_CYCLE_1)
	s_and_not1_b32 vcc_lo, exec_lo, s0
	s_cbranch_vccnz .LBB118_2261
; %bb.2260:
	s_wait_loadcnt 0x0
	global_load_u8 v10, v[4:5], off
.LBB118_2261:
.LBB118_2262:
	s_wait_xcnt 0x0
	v_mul_lo_u32 v4, s15, v8
	s_and_b32 s0, 0xffff, s1
	s_delay_alu instid0(SALU_CYCLE_1) | instskip(NEXT) | instid1(VALU_DEP_1)
	s_cmp_lt_i32 s0, 11
	v_ashrrev_i32_e32 v5, 31, v4
	s_delay_alu instid0(VALU_DEP_1)
	v_add_nc_u64_e32 v[6:7], s[10:11], v[4:5]
	s_cbranch_scc1 .LBB118_2269
; %bb.2263:
	s_cmp_gt_i32 s0, 25
	s_mov_b32 s20, 0
	s_cbranch_scc0 .LBB118_2271
; %bb.2264:
	s_cmp_gt_i32 s0, 28
	s_cbranch_scc0 .LBB118_2272
; %bb.2265:
	s_cmp_gt_i32 s0, 43
	;; [unrolled: 3-line block ×3, first 2 shown]
	s_cbranch_scc0 .LBB118_2275
; %bb.2267:
	s_cmp_eq_u32 s0, 46
	s_mov_b32 s22, 0
	s_cbranch_scc0 .LBB118_2276
; %bb.2268:
	global_load_b32 v1, v[6:7], off
	s_mov_b32 s1, 0
	s_mov_b32 s21, -1
	s_wait_loadcnt 0x0
	v_lshlrev_b32_e32 v1, 16, v1
	s_delay_alu instid0(VALU_DEP_1)
	v_cvt_i32_f32_e32 v12, v1
	s_branch .LBB118_2278
.LBB118_2269:
	s_mov_b32 s21, 0
                                        ; implicit-def: $vgpr12
	s_cbranch_execnz .LBB118_2340
.LBB118_2270:
	s_and_not1_b32 vcc_lo, exec_lo, s21
	s_cbranch_vccnz .LBB118_3968
	s_branch .LBB118_2388
.LBB118_2271:
	s_mov_b32 s22, -1
	s_mov_b32 s21, 0
	s_mov_b32 s1, 0
                                        ; implicit-def: $vgpr12
	s_branch .LBB118_2305
.LBB118_2272:
	s_mov_b32 s22, -1
	s_mov_b32 s21, 0
	s_mov_b32 s1, 0
                                        ; implicit-def: $vgpr12
	s_branch .LBB118_2288
.LBB118_2273:
	s_mov_b32 s22, -1
	s_mov_b32 s21, 0
	s_mov_b32 s1, 0
                                        ; implicit-def: $vgpr12
	s_branch .LBB118_2283
.LBB118_2274:
	s_or_b32 s16, s16, exec_lo
	s_trap 2
	s_cbranch_execz .LBB118_2213
	s_branch .LBB118_2214
.LBB118_2275:
	s_mov_b32 s22, -1
	s_mov_b32 s21, 0
	s_mov_b32 s1, 0
	s_branch .LBB118_2277
.LBB118_2276:
	s_mov_b32 s1, -1
	s_mov_b32 s21, 0
.LBB118_2277:
                                        ; implicit-def: $vgpr12
.LBB118_2278:
	s_and_b32 vcc_lo, exec_lo, s22
	s_cbranch_vccz .LBB118_2282
; %bb.2279:
	s_cmp_eq_u32 s0, 44
	s_cbranch_scc0 .LBB118_2281
; %bb.2280:
	global_load_u8 v1, v[6:7], off
	s_mov_b32 s1, 0
	s_mov_b32 s21, -1
	s_wait_loadcnt 0x0
	v_lshlrev_b32_e32 v3, 23, v1
	v_cmp_ne_u32_e32 vcc_lo, 0, v1
	s_delay_alu instid0(VALU_DEP_2) | instskip(NEXT) | instid1(VALU_DEP_1)
	v_cvt_i32_f32_e32 v3, v3
	v_cndmask_b32_e32 v12, 0, v3, vcc_lo
	s_branch .LBB118_2282
.LBB118_2281:
	s_mov_b32 s1, -1
                                        ; implicit-def: $vgpr12
.LBB118_2282:
	s_mov_b32 s22, 0
.LBB118_2283:
	s_delay_alu instid0(SALU_CYCLE_1)
	s_and_b32 vcc_lo, exec_lo, s22
	s_cbranch_vccz .LBB118_2287
; %bb.2284:
	s_cmp_eq_u32 s0, 29
	s_cbranch_scc0 .LBB118_2286
; %bb.2285:
	global_load_b32 v12, v[6:7], off
	s_mov_b32 s1, 0
	s_mov_b32 s21, -1
	s_branch .LBB118_2287
.LBB118_2286:
	s_mov_b32 s1, -1
                                        ; implicit-def: $vgpr12
.LBB118_2287:
	s_mov_b32 s22, 0
.LBB118_2288:
	s_delay_alu instid0(SALU_CYCLE_1)
	s_and_b32 vcc_lo, exec_lo, s22
	s_cbranch_vccz .LBB118_2304
; %bb.2289:
	s_cmp_lt_i32 s0, 27
	s_cbranch_scc1 .LBB118_2292
; %bb.2290:
	s_cmp_gt_i32 s0, 27
	s_cbranch_scc0 .LBB118_2293
; %bb.2291:
	s_wait_loadcnt 0x0
	global_load_b32 v12, v[6:7], off
	s_mov_b32 s21, 0
	s_branch .LBB118_2294
.LBB118_2292:
	s_mov_b32 s21, -1
                                        ; implicit-def: $vgpr12
	s_branch .LBB118_2297
.LBB118_2293:
	s_mov_b32 s21, -1
                                        ; implicit-def: $vgpr12
.LBB118_2294:
	s_delay_alu instid0(SALU_CYCLE_1)
	s_and_not1_b32 vcc_lo, exec_lo, s21
	s_cbranch_vccnz .LBB118_2296
; %bb.2295:
	s_wait_loadcnt 0x0
	global_load_u16 v12, v[6:7], off
.LBB118_2296:
	s_mov_b32 s21, 0
.LBB118_2297:
	s_delay_alu instid0(SALU_CYCLE_1)
	s_and_not1_b32 vcc_lo, exec_lo, s21
	s_cbranch_vccnz .LBB118_2303
; %bb.2298:
	global_load_u8 v1, v[6:7], off
	s_mov_b32 s22, 0
	s_mov_b32 s21, exec_lo
	s_wait_loadcnt 0x0
	v_cmpx_lt_i16_e32 0x7f, v1
	s_xor_b32 s21, exec_lo, s21
	s_cbranch_execz .LBB118_2315
; %bb.2299:
	v_cmp_ne_u16_e32 vcc_lo, 0x80, v1
	s_and_b32 s22, vcc_lo, exec_lo
	s_and_not1_saveexec_b32 s21, s21
	s_cbranch_execnz .LBB118_2316
.LBB118_2300:
	s_or_b32 exec_lo, exec_lo, s21
	v_mov_b32_e32 v12, 0
	s_and_saveexec_b32 s21, s22
	s_cbranch_execz .LBB118_2302
.LBB118_2301:
	v_and_b32_e32 v3, 0xffff, v1
	s_delay_alu instid0(VALU_DEP_1) | instskip(SKIP_1) | instid1(VALU_DEP_2)
	v_dual_lshlrev_b32 v1, 24, v1 :: v_dual_bitop2_b32 v5, 7, v3 bitop3:0x40
	v_bfe_u32 v13, v3, 3, 4
	v_and_b32_e32 v1, 0x80000000, v1
	s_delay_alu instid0(VALU_DEP_3) | instskip(NEXT) | instid1(VALU_DEP_3)
	v_clz_i32_u32_e32 v11, v5
	v_cmp_eq_u32_e32 vcc_lo, 0, v13
	s_delay_alu instid0(VALU_DEP_2) | instskip(NEXT) | instid1(VALU_DEP_1)
	v_min_u32_e32 v11, 32, v11
	v_subrev_nc_u32_e32 v12, 28, v11
	v_sub_nc_u32_e32 v11, 29, v11
	s_delay_alu instid0(VALU_DEP_2) | instskip(NEXT) | instid1(VALU_DEP_2)
	v_lshlrev_b32_e32 v3, v12, v3
	v_cndmask_b32_e32 v11, v13, v11, vcc_lo
	s_delay_alu instid0(VALU_DEP_2) | instskip(NEXT) | instid1(VALU_DEP_1)
	v_and_b32_e32 v3, 7, v3
	v_cndmask_b32_e32 v3, v5, v3, vcc_lo
	s_delay_alu instid0(VALU_DEP_3) | instskip(NEXT) | instid1(VALU_DEP_2)
	v_lshl_add_u32 v5, v11, 23, 0x3b800000
	v_lshlrev_b32_e32 v3, 20, v3
	s_delay_alu instid0(VALU_DEP_1) | instskip(NEXT) | instid1(VALU_DEP_1)
	v_or3_b32 v1, v1, v5, v3
	v_cvt_i32_f32_e32 v12, v1
.LBB118_2302:
	s_or_b32 exec_lo, exec_lo, s21
.LBB118_2303:
	s_mov_b32 s21, -1
.LBB118_2304:
	s_mov_b32 s22, 0
.LBB118_2305:
	s_delay_alu instid0(SALU_CYCLE_1)
	s_and_b32 vcc_lo, exec_lo, s22
	s_cbranch_vccz .LBB118_2336
; %bb.2306:
	s_cmp_gt_i32 s0, 22
	s_cbranch_scc0 .LBB118_2314
; %bb.2307:
	s_cmp_lt_i32 s0, 24
	s_cbranch_scc1 .LBB118_2317
; %bb.2308:
	s_cmp_gt_i32 s0, 24
	s_cbranch_scc0 .LBB118_2318
; %bb.2309:
	global_load_u8 v1, v[6:7], off
	s_mov_b32 s21, 0
	s_mov_b32 s20, exec_lo
	s_wait_loadcnt 0x0
	v_cmpx_lt_i16_e32 0x7f, v1
	s_xor_b32 s20, exec_lo, s20
	s_cbranch_execz .LBB118_2330
; %bb.2310:
	v_cmp_ne_u16_e32 vcc_lo, 0x80, v1
	s_and_b32 s21, vcc_lo, exec_lo
	s_and_not1_saveexec_b32 s20, s20
	s_cbranch_execnz .LBB118_2331
.LBB118_2311:
	s_or_b32 exec_lo, exec_lo, s20
	v_mov_b32_e32 v12, 0
	s_and_saveexec_b32 s20, s21
	s_cbranch_execz .LBB118_2313
.LBB118_2312:
	v_and_b32_e32 v3, 0xffff, v1
	s_delay_alu instid0(VALU_DEP_1) | instskip(SKIP_1) | instid1(VALU_DEP_2)
	v_dual_lshlrev_b32 v1, 24, v1 :: v_dual_bitop2_b32 v5, 3, v3 bitop3:0x40
	v_bfe_u32 v13, v3, 2, 5
	v_and_b32_e32 v1, 0x80000000, v1
	s_delay_alu instid0(VALU_DEP_3) | instskip(NEXT) | instid1(VALU_DEP_3)
	v_clz_i32_u32_e32 v11, v5
	v_cmp_eq_u32_e32 vcc_lo, 0, v13
	s_delay_alu instid0(VALU_DEP_2) | instskip(NEXT) | instid1(VALU_DEP_1)
	v_min_u32_e32 v11, 32, v11
	v_subrev_nc_u32_e32 v12, 29, v11
	v_sub_nc_u32_e32 v11, 30, v11
	s_delay_alu instid0(VALU_DEP_2) | instskip(NEXT) | instid1(VALU_DEP_2)
	v_lshlrev_b32_e32 v3, v12, v3
	v_cndmask_b32_e32 v11, v13, v11, vcc_lo
	s_delay_alu instid0(VALU_DEP_2) | instskip(NEXT) | instid1(VALU_DEP_1)
	v_and_b32_e32 v3, 3, v3
	v_cndmask_b32_e32 v3, v5, v3, vcc_lo
	s_delay_alu instid0(VALU_DEP_3) | instskip(NEXT) | instid1(VALU_DEP_2)
	v_lshl_add_u32 v5, v11, 23, 0x37800000
	v_lshlrev_b32_e32 v3, 21, v3
	s_delay_alu instid0(VALU_DEP_1) | instskip(NEXT) | instid1(VALU_DEP_1)
	v_or3_b32 v1, v1, v5, v3
	v_cvt_i32_f32_e32 v12, v1
.LBB118_2313:
	s_or_b32 exec_lo, exec_lo, s20
	s_mov_b32 s20, 0
	s_branch .LBB118_2319
.LBB118_2314:
	s_mov_b32 s20, -1
                                        ; implicit-def: $vgpr12
	s_branch .LBB118_2325
.LBB118_2315:
	s_and_not1_saveexec_b32 s21, s21
	s_cbranch_execz .LBB118_2300
.LBB118_2316:
	v_cmp_ne_u16_e32 vcc_lo, 0, v1
	s_and_not1_b32 s22, s22, exec_lo
	s_and_b32 s23, vcc_lo, exec_lo
	s_delay_alu instid0(SALU_CYCLE_1)
	s_or_b32 s22, s22, s23
	s_or_b32 exec_lo, exec_lo, s21
	v_mov_b32_e32 v12, 0
	s_and_saveexec_b32 s21, s22
	s_cbranch_execnz .LBB118_2301
	s_branch .LBB118_2302
.LBB118_2317:
	s_mov_b32 s20, -1
                                        ; implicit-def: $vgpr12
	s_branch .LBB118_2322
.LBB118_2318:
	s_mov_b32 s20, -1
                                        ; implicit-def: $vgpr12
.LBB118_2319:
	s_delay_alu instid0(SALU_CYCLE_1)
	s_and_b32 vcc_lo, exec_lo, s20
	s_cbranch_vccz .LBB118_2321
; %bb.2320:
	global_load_u8 v1, v[6:7], off
	s_wait_loadcnt 0x0
	v_lshlrev_b32_e32 v1, 24, v1
	s_delay_alu instid0(VALU_DEP_1) | instskip(NEXT) | instid1(VALU_DEP_1)
	v_and_b32_e32 v3, 0x7f000000, v1
	v_clz_i32_u32_e32 v5, v3
	v_cmp_ne_u32_e32 vcc_lo, 0, v3
	v_add_nc_u32_e32 v12, 0x1000000, v3
	s_delay_alu instid0(VALU_DEP_3) | instskip(NEXT) | instid1(VALU_DEP_1)
	v_min_u32_e32 v5, 32, v5
	v_sub_nc_u32_e64 v5, v5, 4 clamp
	s_delay_alu instid0(VALU_DEP_1) | instskip(NEXT) | instid1(VALU_DEP_1)
	v_dual_lshlrev_b32 v11, v5, v3 :: v_dual_lshlrev_b32 v5, 23, v5
	v_lshrrev_b32_e32 v11, 4, v11
	s_delay_alu instid0(VALU_DEP_1) | instskip(NEXT) | instid1(VALU_DEP_1)
	v_dual_sub_nc_u32 v5, v11, v5 :: v_dual_ashrrev_i32 v11, 8, v12
	v_add_nc_u32_e32 v5, 0x3c000000, v5
	s_delay_alu instid0(VALU_DEP_1) | instskip(NEXT) | instid1(VALU_DEP_1)
	v_and_or_b32 v5, 0x7f800000, v11, v5
	v_cndmask_b32_e32 v3, 0, v5, vcc_lo
	s_delay_alu instid0(VALU_DEP_1) | instskip(NEXT) | instid1(VALU_DEP_1)
	v_and_or_b32 v1, 0x80000000, v1, v3
	v_cvt_i32_f32_e32 v12, v1
.LBB118_2321:
	s_mov_b32 s20, 0
.LBB118_2322:
	s_delay_alu instid0(SALU_CYCLE_1)
	s_and_not1_b32 vcc_lo, exec_lo, s20
	s_cbranch_vccnz .LBB118_2324
; %bb.2323:
	global_load_u8 v1, v[6:7], off
	s_wait_loadcnt 0x0
	v_lshlrev_b32_e32 v3, 25, v1
	v_lshlrev_b16 v1, 8, v1
	s_delay_alu instid0(VALU_DEP_1) | instskip(SKIP_1) | instid1(VALU_DEP_2)
	v_and_or_b32 v11, 0x7f00, v1, 0.5
	v_bfe_i32 v1, v1, 0, 16
	v_add_f32_e32 v11, -0.5, v11
	v_lshrrev_b32_e32 v5, 4, v3
	v_cmp_gt_u32_e32 vcc_lo, 0x8000000, v3
	s_delay_alu instid0(VALU_DEP_2) | instskip(NEXT) | instid1(VALU_DEP_1)
	v_or_b32_e32 v5, 0x70000000, v5
	v_mul_f32_e32 v5, 0x7800000, v5
	s_delay_alu instid0(VALU_DEP_1) | instskip(NEXT) | instid1(VALU_DEP_1)
	v_cndmask_b32_e32 v3, v5, v11, vcc_lo
	v_and_or_b32 v1, 0x80000000, v1, v3
	s_delay_alu instid0(VALU_DEP_1)
	v_cvt_i32_f32_e32 v12, v1
.LBB118_2324:
	s_mov_b32 s20, 0
	s_mov_b32 s21, -1
.LBB118_2325:
	s_and_not1_b32 vcc_lo, exec_lo, s20
	s_mov_b32 s20, 0
	s_cbranch_vccnz .LBB118_2336
; %bb.2326:
	s_cmp_gt_i32 s0, 14
	s_cbranch_scc0 .LBB118_2329
; %bb.2327:
	s_cmp_eq_u32 s0, 15
	s_cbranch_scc0 .LBB118_2332
; %bb.2328:
	global_load_u16 v1, v[6:7], off
	s_mov_b32 s1, 0
	s_mov_b32 s21, -1
	s_wait_loadcnt 0x0
	v_lshlrev_b32_e32 v1, 16, v1
	s_delay_alu instid0(VALU_DEP_1)
	v_cvt_i32_f32_e32 v12, v1
	s_branch .LBB118_2334
.LBB118_2329:
	s_mov_b32 s20, -1
	s_branch .LBB118_2333
.LBB118_2330:
	s_and_not1_saveexec_b32 s20, s20
	s_cbranch_execz .LBB118_2311
.LBB118_2331:
	v_cmp_ne_u16_e32 vcc_lo, 0, v1
	s_and_not1_b32 s21, s21, exec_lo
	s_and_b32 s22, vcc_lo, exec_lo
	s_delay_alu instid0(SALU_CYCLE_1)
	s_or_b32 s21, s21, s22
	s_or_b32 exec_lo, exec_lo, s20
	v_mov_b32_e32 v12, 0
	s_and_saveexec_b32 s20, s21
	s_cbranch_execnz .LBB118_2312
	s_branch .LBB118_2313
.LBB118_2332:
	s_mov_b32 s1, -1
.LBB118_2333:
                                        ; implicit-def: $vgpr12
.LBB118_2334:
	s_and_b32 vcc_lo, exec_lo, s20
	s_mov_b32 s20, 0
	s_cbranch_vccz .LBB118_2336
; %bb.2335:
	s_cmp_lg_u32 s0, 11
	s_mov_b32 s20, -1
	s_cselect_b32 s1, -1, 0
.LBB118_2336:
	s_delay_alu instid0(SALU_CYCLE_1)
	s_and_b32 vcc_lo, exec_lo, s1
	s_cbranch_vccnz .LBB118_2399
; %bb.2337:
	s_and_not1_b32 vcc_lo, exec_lo, s20
	s_cbranch_vccnz .LBB118_2339
.LBB118_2338:
	global_load_u8 v1, v[6:7], off
	s_mov_b32 s21, -1
	s_wait_loadcnt 0x0
	v_cmp_ne_u16_e32 vcc_lo, 0, v1
	v_cndmask_b32_e64 v12, 0, 1, vcc_lo
.LBB118_2339:
	s_branch .LBB118_2270
.LBB118_2340:
	s_cmp_lt_i32 s0, 5
	s_cbranch_scc1 .LBB118_2345
; %bb.2341:
	s_cmp_lt_i32 s0, 8
	s_cbranch_scc1 .LBB118_2346
; %bb.2342:
	;; [unrolled: 3-line block ×3, first 2 shown]
	s_cmp_gt_i32 s0, 9
	s_cbranch_scc0 .LBB118_2348
; %bb.2344:
	s_wait_loadcnt 0x0
	global_load_b64 v[12:13], v[6:7], off
	s_mov_b32 s1, 0
	s_wait_loadcnt 0x0
	v_cvt_i32_f64_e32 v12, v[12:13]
	s_branch .LBB118_2349
.LBB118_2345:
	s_mov_b32 s1, -1
                                        ; implicit-def: $vgpr12
	s_branch .LBB118_2367
.LBB118_2346:
	s_mov_b32 s1, -1
                                        ; implicit-def: $vgpr12
	s_branch .LBB118_2355
.LBB118_2347:
	s_mov_b32 s1, -1
                                        ; implicit-def: $vgpr12
	s_branch .LBB118_2352
.LBB118_2348:
	s_mov_b32 s1, -1
                                        ; implicit-def: $vgpr12
.LBB118_2349:
	s_delay_alu instid0(SALU_CYCLE_1)
	s_and_not1_b32 vcc_lo, exec_lo, s1
	s_cbranch_vccnz .LBB118_2351
; %bb.2350:
	global_load_b32 v1, v[6:7], off
	s_wait_loadcnt 0x0
	v_cvt_i32_f32_e32 v12, v1
.LBB118_2351:
	s_mov_b32 s1, 0
.LBB118_2352:
	s_delay_alu instid0(SALU_CYCLE_1)
	s_and_not1_b32 vcc_lo, exec_lo, s1
	s_cbranch_vccnz .LBB118_2354
; %bb.2353:
	global_load_b32 v1, v[6:7], off
	s_wait_loadcnt 0x0
	v_cvt_f32_f16_e32 v1, v1
	s_delay_alu instid0(VALU_DEP_1)
	v_cvt_i32_f32_e32 v12, v1
.LBB118_2354:
	s_mov_b32 s1, 0
.LBB118_2355:
	s_delay_alu instid0(SALU_CYCLE_1)
	s_and_not1_b32 vcc_lo, exec_lo, s1
	s_cbranch_vccnz .LBB118_2366
; %bb.2356:
	s_cmp_lt_i32 s0, 6
	s_cbranch_scc1 .LBB118_2359
; %bb.2357:
	s_cmp_gt_i32 s0, 6
	s_cbranch_scc0 .LBB118_2360
; %bb.2358:
	s_wait_loadcnt 0x0
	global_load_b64 v[12:13], v[6:7], off
	s_mov_b32 s1, 0
	s_wait_loadcnt 0x0
	v_cvt_i32_f64_e32 v12, v[12:13]
	s_branch .LBB118_2361
.LBB118_2359:
	s_mov_b32 s1, -1
                                        ; implicit-def: $vgpr12
	s_branch .LBB118_2364
.LBB118_2360:
	s_mov_b32 s1, -1
                                        ; implicit-def: $vgpr12
.LBB118_2361:
	s_delay_alu instid0(SALU_CYCLE_1)
	s_and_not1_b32 vcc_lo, exec_lo, s1
	s_cbranch_vccnz .LBB118_2363
; %bb.2362:
	global_load_b32 v1, v[6:7], off
	s_wait_loadcnt 0x0
	v_cvt_i32_f32_e32 v12, v1
.LBB118_2363:
	s_mov_b32 s1, 0
.LBB118_2364:
	s_delay_alu instid0(SALU_CYCLE_1)
	s_and_not1_b32 vcc_lo, exec_lo, s1
	s_cbranch_vccnz .LBB118_2366
; %bb.2365:
	global_load_u16 v1, v[6:7], off
	s_wait_loadcnt 0x0
	v_cvt_f32_f16_e32 v1, v1
	s_delay_alu instid0(VALU_DEP_1)
	v_cvt_i32_f32_e32 v12, v1
.LBB118_2366:
	s_mov_b32 s1, 0
.LBB118_2367:
	s_delay_alu instid0(SALU_CYCLE_1)
	s_and_not1_b32 vcc_lo, exec_lo, s1
	s_cbranch_vccnz .LBB118_2387
; %bb.2368:
	s_cmp_lt_i32 s0, 2
	s_cbranch_scc1 .LBB118_2372
; %bb.2369:
	s_cmp_lt_i32 s0, 3
	s_cbranch_scc1 .LBB118_2373
; %bb.2370:
	s_cmp_gt_i32 s0, 3
	s_cbranch_scc0 .LBB118_2374
; %bb.2371:
	s_wait_loadcnt 0x0
	global_load_b32 v12, v[6:7], off
	s_mov_b32 s1, 0
	s_branch .LBB118_2375
.LBB118_2372:
	s_mov_b32 s1, -1
                                        ; implicit-def: $vgpr12
	s_branch .LBB118_2381
.LBB118_2373:
	s_mov_b32 s1, -1
                                        ; implicit-def: $vgpr12
	s_branch .LBB118_2378
.LBB118_2374:
	s_mov_b32 s1, -1
                                        ; implicit-def: $vgpr12
.LBB118_2375:
	s_delay_alu instid0(SALU_CYCLE_1)
	s_and_not1_b32 vcc_lo, exec_lo, s1
	s_cbranch_vccnz .LBB118_2377
; %bb.2376:
	s_wait_loadcnt 0x0
	global_load_b32 v12, v[6:7], off
.LBB118_2377:
	s_mov_b32 s1, 0
.LBB118_2378:
	s_delay_alu instid0(SALU_CYCLE_1)
	s_and_not1_b32 vcc_lo, exec_lo, s1
	s_cbranch_vccnz .LBB118_2380
; %bb.2379:
	s_wait_loadcnt 0x0
	global_load_i16 v12, v[6:7], off
.LBB118_2380:
	s_mov_b32 s1, 0
.LBB118_2381:
	s_delay_alu instid0(SALU_CYCLE_1)
	s_and_not1_b32 vcc_lo, exec_lo, s1
	s_cbranch_vccnz .LBB118_2387
; %bb.2382:
	s_cmp_gt_i32 s0, 0
	s_mov_b32 s1, 0
	s_cbranch_scc0 .LBB118_2384
; %bb.2383:
	s_wait_loadcnt 0x0
	global_load_i8 v12, v[6:7], off
	s_branch .LBB118_2385
.LBB118_2384:
	s_mov_b32 s1, -1
                                        ; implicit-def: $vgpr12
.LBB118_2385:
	s_delay_alu instid0(SALU_CYCLE_1)
	s_and_not1_b32 vcc_lo, exec_lo, s1
	s_cbranch_vccnz .LBB118_2387
; %bb.2386:
	s_wait_loadcnt 0x0
	global_load_u8 v12, v[6:7], off
.LBB118_2387:
.LBB118_2388:
	s_lshl_b32 s1, s13, 7
	s_cmp_lt_i32 s17, 11
	v_add_nc_u32_e32 v0, s1, v0
	s_delay_alu instid0(VALU_DEP_1) | instskip(SKIP_1) | instid1(VALU_DEP_1)
	v_ashrrev_i32_e32 v1, 31, v0
	s_wait_xcnt 0x0
	v_add_nc_u64_e32 v[6:7], s[6:7], v[0:1]
	s_cbranch_scc1 .LBB118_2395
; %bb.2389:
	s_and_b32 s13, 0xffff, s17
	s_mov_b32 s21, 0
	s_cmp_gt_i32 s13, 25
	s_cbranch_scc0 .LBB118_2396
; %bb.2390:
	s_cmp_gt_i32 s13, 28
	s_cbranch_scc0 .LBB118_2397
; %bb.2391:
	;; [unrolled: 3-line block ×4, first 2 shown]
	s_cmp_eq_u32 s13, 46
	s_mov_b32 s23, 0
	s_cbranch_scc0 .LBB118_2401
; %bb.2394:
	global_load_b32 v1, v[6:7], off
	s_mov_b32 s20, 0
	s_mov_b32 s22, -1
	s_wait_loadcnt 0x0
	v_lshlrev_b32_e32 v1, 16, v1
	s_delay_alu instid0(VALU_DEP_1)
	v_cvt_i32_f32_e32 v11, v1
	s_branch .LBB118_2403
.LBB118_2395:
	s_mov_b32 s13, -1
	s_mov_b32 s22, 0
                                        ; implicit-def: $vgpr11
	s_branch .LBB118_2465
.LBB118_2396:
	s_mov_b32 s23, -1
	s_mov_b32 s22, 0
	s_mov_b32 s20, 0
                                        ; implicit-def: $vgpr11
	s_branch .LBB118_2430
.LBB118_2397:
	s_mov_b32 s23, -1
	s_mov_b32 s22, 0
	s_mov_b32 s20, 0
                                        ; implicit-def: $vgpr11
	s_branch .LBB118_2413
.LBB118_2398:
	s_mov_b32 s23, -1
	s_mov_b32 s22, 0
	s_mov_b32 s20, 0
                                        ; implicit-def: $vgpr11
	s_branch .LBB118_2408
.LBB118_2399:
	s_or_b32 s16, s16, exec_lo
	s_trap 2
	s_cbranch_execz .LBB118_2338
	s_branch .LBB118_2339
.LBB118_2400:
	s_mov_b32 s23, -1
	s_mov_b32 s22, 0
	s_mov_b32 s20, 0
	s_branch .LBB118_2402
.LBB118_2401:
	s_mov_b32 s20, -1
	s_mov_b32 s22, 0
.LBB118_2402:
                                        ; implicit-def: $vgpr11
.LBB118_2403:
	s_and_b32 vcc_lo, exec_lo, s23
	s_cbranch_vccz .LBB118_2407
; %bb.2404:
	s_cmp_eq_u32 s13, 44
	s_cbranch_scc0 .LBB118_2406
; %bb.2405:
	global_load_u8 v1, v[6:7], off
	s_mov_b32 s20, 0
	s_mov_b32 s22, -1
	s_wait_loadcnt 0x0
	v_lshlrev_b32_e32 v3, 23, v1
	v_cmp_ne_u32_e32 vcc_lo, 0, v1
	s_delay_alu instid0(VALU_DEP_2) | instskip(NEXT) | instid1(VALU_DEP_1)
	v_cvt_i32_f32_e32 v3, v3
	v_cndmask_b32_e32 v11, 0, v3, vcc_lo
	s_branch .LBB118_2407
.LBB118_2406:
	s_mov_b32 s20, -1
                                        ; implicit-def: $vgpr11
.LBB118_2407:
	s_mov_b32 s23, 0
.LBB118_2408:
	s_delay_alu instid0(SALU_CYCLE_1)
	s_and_b32 vcc_lo, exec_lo, s23
	s_cbranch_vccz .LBB118_2412
; %bb.2409:
	s_cmp_eq_u32 s13, 29
	s_cbranch_scc0 .LBB118_2411
; %bb.2410:
	global_load_b32 v11, v[6:7], off
	s_mov_b32 s20, 0
	s_mov_b32 s22, -1
	s_branch .LBB118_2412
.LBB118_2411:
	s_mov_b32 s20, -1
                                        ; implicit-def: $vgpr11
.LBB118_2412:
	s_mov_b32 s23, 0
.LBB118_2413:
	s_delay_alu instid0(SALU_CYCLE_1)
	s_and_b32 vcc_lo, exec_lo, s23
	s_cbranch_vccz .LBB118_2429
; %bb.2414:
	s_cmp_lt_i32 s13, 27
	s_cbranch_scc1 .LBB118_2417
; %bb.2415:
	s_cmp_gt_i32 s13, 27
	s_cbranch_scc0 .LBB118_2418
; %bb.2416:
	s_wait_loadcnt 0x0
	global_load_b32 v11, v[6:7], off
	s_mov_b32 s22, 0
	s_branch .LBB118_2419
.LBB118_2417:
	s_mov_b32 s22, -1
                                        ; implicit-def: $vgpr11
	s_branch .LBB118_2422
.LBB118_2418:
	s_mov_b32 s22, -1
                                        ; implicit-def: $vgpr11
.LBB118_2419:
	s_delay_alu instid0(SALU_CYCLE_1)
	s_and_not1_b32 vcc_lo, exec_lo, s22
	s_cbranch_vccnz .LBB118_2421
; %bb.2420:
	s_wait_loadcnt 0x0
	global_load_u16 v11, v[6:7], off
.LBB118_2421:
	s_mov_b32 s22, 0
.LBB118_2422:
	s_delay_alu instid0(SALU_CYCLE_1)
	s_and_not1_b32 vcc_lo, exec_lo, s22
	s_cbranch_vccnz .LBB118_2428
; %bb.2423:
	global_load_u8 v1, v[6:7], off
	s_mov_b32 s23, 0
	s_mov_b32 s22, exec_lo
	s_wait_loadcnt 0x0
	v_cmpx_lt_i16_e32 0x7f, v1
	s_xor_b32 s22, exec_lo, s22
	s_cbranch_execz .LBB118_2440
; %bb.2424:
	v_cmp_ne_u16_e32 vcc_lo, 0x80, v1
	s_and_b32 s23, vcc_lo, exec_lo
	s_and_not1_saveexec_b32 s22, s22
	s_cbranch_execnz .LBB118_2441
.LBB118_2425:
	s_or_b32 exec_lo, exec_lo, s22
	v_mov_b32_e32 v11, 0
	s_and_saveexec_b32 s22, s23
	s_cbranch_execz .LBB118_2427
.LBB118_2426:
	v_and_b32_e32 v3, 0xffff, v1
	s_delay_alu instid0(VALU_DEP_1) | instskip(SKIP_1) | instid1(VALU_DEP_2)
	v_dual_lshlrev_b32 v1, 24, v1 :: v_dual_bitop2_b32 v5, 7, v3 bitop3:0x40
	v_bfe_u32 v14, v3, 3, 4
	v_and_b32_e32 v1, 0x80000000, v1
	s_delay_alu instid0(VALU_DEP_3) | instskip(NEXT) | instid1(VALU_DEP_3)
	v_clz_i32_u32_e32 v11, v5
	v_cmp_eq_u32_e32 vcc_lo, 0, v14
	s_delay_alu instid0(VALU_DEP_2) | instskip(NEXT) | instid1(VALU_DEP_1)
	v_min_u32_e32 v11, 32, v11
	v_subrev_nc_u32_e32 v13, 28, v11
	v_sub_nc_u32_e32 v11, 29, v11
	s_delay_alu instid0(VALU_DEP_2) | instskip(NEXT) | instid1(VALU_DEP_2)
	v_lshlrev_b32_e32 v3, v13, v3
	v_cndmask_b32_e32 v11, v14, v11, vcc_lo
	s_delay_alu instid0(VALU_DEP_2) | instskip(NEXT) | instid1(VALU_DEP_1)
	v_and_b32_e32 v3, 7, v3
	v_cndmask_b32_e32 v3, v5, v3, vcc_lo
	s_delay_alu instid0(VALU_DEP_3) | instskip(NEXT) | instid1(VALU_DEP_2)
	v_lshl_add_u32 v5, v11, 23, 0x3b800000
	v_lshlrev_b32_e32 v3, 20, v3
	s_delay_alu instid0(VALU_DEP_1) | instskip(NEXT) | instid1(VALU_DEP_1)
	v_or3_b32 v1, v1, v5, v3
	v_cvt_i32_f32_e32 v11, v1
.LBB118_2427:
	s_or_b32 exec_lo, exec_lo, s22
.LBB118_2428:
	s_mov_b32 s22, -1
.LBB118_2429:
	s_mov_b32 s23, 0
.LBB118_2430:
	s_delay_alu instid0(SALU_CYCLE_1)
	s_and_b32 vcc_lo, exec_lo, s23
	s_cbranch_vccz .LBB118_2461
; %bb.2431:
	s_cmp_gt_i32 s13, 22
	s_cbranch_scc0 .LBB118_2439
; %bb.2432:
	s_cmp_lt_i32 s13, 24
	s_cbranch_scc1 .LBB118_2442
; %bb.2433:
	s_cmp_gt_i32 s13, 24
	s_cbranch_scc0 .LBB118_2443
; %bb.2434:
	global_load_u8 v1, v[6:7], off
	s_mov_b32 s22, 0
	s_mov_b32 s21, exec_lo
	s_wait_loadcnt 0x0
	v_cmpx_lt_i16_e32 0x7f, v1
	s_xor_b32 s21, exec_lo, s21
	s_cbranch_execz .LBB118_2455
; %bb.2435:
	v_cmp_ne_u16_e32 vcc_lo, 0x80, v1
	s_and_b32 s22, vcc_lo, exec_lo
	s_and_not1_saveexec_b32 s21, s21
	s_cbranch_execnz .LBB118_2456
.LBB118_2436:
	s_or_b32 exec_lo, exec_lo, s21
	v_mov_b32_e32 v11, 0
	s_and_saveexec_b32 s21, s22
	s_cbranch_execz .LBB118_2438
.LBB118_2437:
	v_and_b32_e32 v3, 0xffff, v1
	s_delay_alu instid0(VALU_DEP_1) | instskip(SKIP_1) | instid1(VALU_DEP_2)
	v_dual_lshlrev_b32 v1, 24, v1 :: v_dual_bitop2_b32 v5, 3, v3 bitop3:0x40
	v_bfe_u32 v14, v3, 2, 5
	v_and_b32_e32 v1, 0x80000000, v1
	s_delay_alu instid0(VALU_DEP_3) | instskip(NEXT) | instid1(VALU_DEP_3)
	v_clz_i32_u32_e32 v11, v5
	v_cmp_eq_u32_e32 vcc_lo, 0, v14
	s_delay_alu instid0(VALU_DEP_2) | instskip(NEXT) | instid1(VALU_DEP_1)
	v_min_u32_e32 v11, 32, v11
	v_subrev_nc_u32_e32 v13, 29, v11
	v_sub_nc_u32_e32 v11, 30, v11
	s_delay_alu instid0(VALU_DEP_2) | instskip(NEXT) | instid1(VALU_DEP_2)
	v_lshlrev_b32_e32 v3, v13, v3
	v_cndmask_b32_e32 v11, v14, v11, vcc_lo
	s_delay_alu instid0(VALU_DEP_2) | instskip(NEXT) | instid1(VALU_DEP_1)
	v_and_b32_e32 v3, 3, v3
	v_cndmask_b32_e32 v3, v5, v3, vcc_lo
	s_delay_alu instid0(VALU_DEP_3) | instskip(NEXT) | instid1(VALU_DEP_2)
	v_lshl_add_u32 v5, v11, 23, 0x37800000
	v_lshlrev_b32_e32 v3, 21, v3
	s_delay_alu instid0(VALU_DEP_1) | instskip(NEXT) | instid1(VALU_DEP_1)
	v_or3_b32 v1, v1, v5, v3
	v_cvt_i32_f32_e32 v11, v1
.LBB118_2438:
	s_or_b32 exec_lo, exec_lo, s21
	s_mov_b32 s21, 0
	s_branch .LBB118_2444
.LBB118_2439:
	s_mov_b32 s21, -1
                                        ; implicit-def: $vgpr11
	s_branch .LBB118_2450
.LBB118_2440:
	s_and_not1_saveexec_b32 s22, s22
	s_cbranch_execz .LBB118_2425
.LBB118_2441:
	v_cmp_ne_u16_e32 vcc_lo, 0, v1
	s_and_not1_b32 s23, s23, exec_lo
	s_and_b32 s24, vcc_lo, exec_lo
	s_delay_alu instid0(SALU_CYCLE_1)
	s_or_b32 s23, s23, s24
	s_or_b32 exec_lo, exec_lo, s22
	v_mov_b32_e32 v11, 0
	s_and_saveexec_b32 s22, s23
	s_cbranch_execnz .LBB118_2426
	s_branch .LBB118_2427
.LBB118_2442:
	s_mov_b32 s21, -1
                                        ; implicit-def: $vgpr11
	s_branch .LBB118_2447
.LBB118_2443:
	s_mov_b32 s21, -1
                                        ; implicit-def: $vgpr11
.LBB118_2444:
	s_delay_alu instid0(SALU_CYCLE_1)
	s_and_b32 vcc_lo, exec_lo, s21
	s_cbranch_vccz .LBB118_2446
; %bb.2445:
	global_load_u8 v1, v[6:7], off
	s_wait_loadcnt 0x0
	v_lshlrev_b32_e32 v1, 24, v1
	s_delay_alu instid0(VALU_DEP_1) | instskip(NEXT) | instid1(VALU_DEP_1)
	v_and_b32_e32 v3, 0x7f000000, v1
	v_clz_i32_u32_e32 v5, v3
	v_add_nc_u32_e32 v13, 0x1000000, v3
	v_cmp_ne_u32_e32 vcc_lo, 0, v3
	s_delay_alu instid0(VALU_DEP_3) | instskip(NEXT) | instid1(VALU_DEP_1)
	v_min_u32_e32 v5, 32, v5
	v_sub_nc_u32_e64 v5, v5, 4 clamp
	s_delay_alu instid0(VALU_DEP_1) | instskip(NEXT) | instid1(VALU_DEP_1)
	v_dual_lshlrev_b32 v11, v5, v3 :: v_dual_lshlrev_b32 v5, 23, v5
	v_lshrrev_b32_e32 v11, 4, v11
	s_delay_alu instid0(VALU_DEP_1) | instskip(SKIP_1) | instid1(VALU_DEP_2)
	v_sub_nc_u32_e32 v5, v11, v5
	v_ashrrev_i32_e32 v11, 8, v13
	v_add_nc_u32_e32 v5, 0x3c000000, v5
	s_delay_alu instid0(VALU_DEP_1) | instskip(NEXT) | instid1(VALU_DEP_1)
	v_and_or_b32 v5, 0x7f800000, v11, v5
	v_cndmask_b32_e32 v3, 0, v5, vcc_lo
	s_delay_alu instid0(VALU_DEP_1) | instskip(NEXT) | instid1(VALU_DEP_1)
	v_and_or_b32 v1, 0x80000000, v1, v3
	v_cvt_i32_f32_e32 v11, v1
.LBB118_2446:
	s_mov_b32 s21, 0
.LBB118_2447:
	s_delay_alu instid0(SALU_CYCLE_1)
	s_and_not1_b32 vcc_lo, exec_lo, s21
	s_cbranch_vccnz .LBB118_2449
; %bb.2448:
	global_load_u8 v1, v[6:7], off
	s_wait_loadcnt 0x0
	v_lshlrev_b32_e32 v3, 25, v1
	v_lshlrev_b16 v1, 8, v1
	s_delay_alu instid0(VALU_DEP_1) | instskip(SKIP_1) | instid1(VALU_DEP_2)
	v_and_or_b32 v11, 0x7f00, v1, 0.5
	v_bfe_i32 v1, v1, 0, 16
	v_add_f32_e32 v11, -0.5, v11
	v_lshrrev_b32_e32 v5, 4, v3
	v_cmp_gt_u32_e32 vcc_lo, 0x8000000, v3
	s_delay_alu instid0(VALU_DEP_2) | instskip(NEXT) | instid1(VALU_DEP_1)
	v_or_b32_e32 v5, 0x70000000, v5
	v_mul_f32_e32 v5, 0x7800000, v5
	s_delay_alu instid0(VALU_DEP_1) | instskip(NEXT) | instid1(VALU_DEP_1)
	v_cndmask_b32_e32 v3, v5, v11, vcc_lo
	v_and_or_b32 v1, 0x80000000, v1, v3
	s_delay_alu instid0(VALU_DEP_1)
	v_cvt_i32_f32_e32 v11, v1
.LBB118_2449:
	s_mov_b32 s21, 0
	s_mov_b32 s22, -1
.LBB118_2450:
	s_and_not1_b32 vcc_lo, exec_lo, s21
	s_mov_b32 s21, 0
	s_cbranch_vccnz .LBB118_2461
; %bb.2451:
	s_cmp_gt_i32 s13, 14
	s_cbranch_scc0 .LBB118_2454
; %bb.2452:
	s_cmp_eq_u32 s13, 15
	s_cbranch_scc0 .LBB118_2457
; %bb.2453:
	global_load_u16 v1, v[6:7], off
	s_mov_b32 s20, 0
	s_mov_b32 s22, -1
	s_wait_loadcnt 0x0
	v_lshlrev_b32_e32 v1, 16, v1
	s_delay_alu instid0(VALU_DEP_1)
	v_cvt_i32_f32_e32 v11, v1
	s_branch .LBB118_2459
.LBB118_2454:
	s_mov_b32 s21, -1
	s_branch .LBB118_2458
.LBB118_2455:
	s_and_not1_saveexec_b32 s21, s21
	s_cbranch_execz .LBB118_2436
.LBB118_2456:
	v_cmp_ne_u16_e32 vcc_lo, 0, v1
	s_and_not1_b32 s22, s22, exec_lo
	s_and_b32 s23, vcc_lo, exec_lo
	s_delay_alu instid0(SALU_CYCLE_1)
	s_or_b32 s22, s22, s23
	s_or_b32 exec_lo, exec_lo, s21
	v_mov_b32_e32 v11, 0
	s_and_saveexec_b32 s21, s22
	s_cbranch_execnz .LBB118_2437
	s_branch .LBB118_2438
.LBB118_2457:
	s_mov_b32 s20, -1
.LBB118_2458:
                                        ; implicit-def: $vgpr11
.LBB118_2459:
	s_and_b32 vcc_lo, exec_lo, s21
	s_mov_b32 s21, 0
	s_cbranch_vccz .LBB118_2461
; %bb.2460:
	s_cmp_lg_u32 s13, 11
	s_mov_b32 s21, -1
	s_cselect_b32 s20, -1, 0
.LBB118_2461:
	s_delay_alu instid0(SALU_CYCLE_1)
	s_and_b32 vcc_lo, exec_lo, s20
	s_cbranch_vccnz .LBB118_2526
; %bb.2462:
	s_and_not1_b32 vcc_lo, exec_lo, s21
	s_cbranch_vccnz .LBB118_2464
.LBB118_2463:
	global_load_u8 v1, v[6:7], off
	s_mov_b32 s22, -1
	s_wait_loadcnt 0x0
	v_cmp_ne_u16_e32 vcc_lo, 0, v1
	v_cndmask_b32_e64 v11, 0, 1, vcc_lo
.LBB118_2464:
	s_mov_b32 s13, 0
.LBB118_2465:
	s_delay_alu instid0(SALU_CYCLE_1)
	s_and_b32 vcc_lo, exec_lo, s13
	s_cbranch_vccz .LBB118_2514
; %bb.2466:
	s_and_b32 s13, 0xffff, s17
	s_delay_alu instid0(SALU_CYCLE_1)
	s_cmp_lt_i32 s13, 5
	s_cbranch_scc1 .LBB118_2471
; %bb.2467:
	s_cmp_lt_i32 s13, 8
	s_cbranch_scc1 .LBB118_2472
; %bb.2468:
	s_cmp_lt_i32 s13, 9
	s_cbranch_scc1 .LBB118_2473
; %bb.2469:
	s_cmp_gt_i32 s13, 9
	s_cbranch_scc0 .LBB118_2474
; %bb.2470:
	global_load_b64 v[14:15], v[6:7], off
	s_mov_b32 s20, 0
	s_wait_loadcnt 0x0
	v_cvt_i32_f64_e32 v11, v[14:15]
	s_branch .LBB118_2475
.LBB118_2471:
	s_mov_b32 s20, -1
                                        ; implicit-def: $vgpr11
	s_branch .LBB118_2493
.LBB118_2472:
	s_mov_b32 s20, -1
                                        ; implicit-def: $vgpr11
	s_branch .LBB118_2481
.LBB118_2473:
	s_mov_b32 s20, -1
                                        ; implicit-def: $vgpr11
	s_branch .LBB118_2478
.LBB118_2474:
	s_mov_b32 s20, -1
                                        ; implicit-def: $vgpr11
.LBB118_2475:
	s_delay_alu instid0(SALU_CYCLE_1)
	s_and_not1_b32 vcc_lo, exec_lo, s20
	s_cbranch_vccnz .LBB118_2477
; %bb.2476:
	global_load_b32 v1, v[6:7], off
	s_wait_loadcnt 0x0
	v_cvt_i32_f32_e32 v11, v1
.LBB118_2477:
	s_mov_b32 s20, 0
.LBB118_2478:
	s_delay_alu instid0(SALU_CYCLE_1)
	s_and_not1_b32 vcc_lo, exec_lo, s20
	s_cbranch_vccnz .LBB118_2480
; %bb.2479:
	global_load_b32 v1, v[6:7], off
	s_wait_loadcnt 0x0
	v_cvt_f32_f16_e32 v1, v1
	s_delay_alu instid0(VALU_DEP_1)
	v_cvt_i32_f32_e32 v11, v1
.LBB118_2480:
	s_mov_b32 s20, 0
.LBB118_2481:
	s_delay_alu instid0(SALU_CYCLE_1)
	s_and_not1_b32 vcc_lo, exec_lo, s20
	s_cbranch_vccnz .LBB118_2492
; %bb.2482:
	s_cmp_lt_i32 s13, 6
	s_cbranch_scc1 .LBB118_2485
; %bb.2483:
	s_cmp_gt_i32 s13, 6
	s_cbranch_scc0 .LBB118_2486
; %bb.2484:
	global_load_b64 v[14:15], v[6:7], off
	s_mov_b32 s20, 0
	s_wait_loadcnt 0x0
	v_cvt_i32_f64_e32 v11, v[14:15]
	s_branch .LBB118_2487
.LBB118_2485:
	s_mov_b32 s20, -1
                                        ; implicit-def: $vgpr11
	s_branch .LBB118_2490
.LBB118_2486:
	s_mov_b32 s20, -1
                                        ; implicit-def: $vgpr11
.LBB118_2487:
	s_delay_alu instid0(SALU_CYCLE_1)
	s_and_not1_b32 vcc_lo, exec_lo, s20
	s_cbranch_vccnz .LBB118_2489
; %bb.2488:
	global_load_b32 v1, v[6:7], off
	s_wait_loadcnt 0x0
	v_cvt_i32_f32_e32 v11, v1
.LBB118_2489:
	s_mov_b32 s20, 0
.LBB118_2490:
	s_delay_alu instid0(SALU_CYCLE_1)
	s_and_not1_b32 vcc_lo, exec_lo, s20
	s_cbranch_vccnz .LBB118_2492
; %bb.2491:
	global_load_u16 v1, v[6:7], off
	s_wait_loadcnt 0x0
	v_cvt_f32_f16_e32 v1, v1
	s_delay_alu instid0(VALU_DEP_1)
	v_cvt_i32_f32_e32 v11, v1
.LBB118_2492:
	s_mov_b32 s20, 0
.LBB118_2493:
	s_delay_alu instid0(SALU_CYCLE_1)
	s_and_not1_b32 vcc_lo, exec_lo, s20
	s_cbranch_vccnz .LBB118_2513
; %bb.2494:
	s_cmp_lt_i32 s13, 2
	s_cbranch_scc1 .LBB118_2498
; %bb.2495:
	s_cmp_lt_i32 s13, 3
	s_cbranch_scc1 .LBB118_2499
; %bb.2496:
	s_cmp_gt_i32 s13, 3
	s_cbranch_scc0 .LBB118_2500
; %bb.2497:
	s_wait_loadcnt 0x0
	global_load_b32 v11, v[6:7], off
	s_mov_b32 s20, 0
	s_branch .LBB118_2501
.LBB118_2498:
	s_mov_b32 s20, -1
                                        ; implicit-def: $vgpr11
	s_branch .LBB118_2507
.LBB118_2499:
	s_mov_b32 s20, -1
                                        ; implicit-def: $vgpr11
	s_branch .LBB118_2504
.LBB118_2500:
	s_mov_b32 s20, -1
                                        ; implicit-def: $vgpr11
.LBB118_2501:
	s_delay_alu instid0(SALU_CYCLE_1)
	s_and_not1_b32 vcc_lo, exec_lo, s20
	s_cbranch_vccnz .LBB118_2503
; %bb.2502:
	s_wait_loadcnt 0x0
	global_load_b32 v11, v[6:7], off
.LBB118_2503:
	s_mov_b32 s20, 0
.LBB118_2504:
	s_delay_alu instid0(SALU_CYCLE_1)
	s_and_not1_b32 vcc_lo, exec_lo, s20
	s_cbranch_vccnz .LBB118_2506
; %bb.2505:
	s_wait_loadcnt 0x0
	global_load_i16 v11, v[6:7], off
.LBB118_2506:
	s_mov_b32 s20, 0
.LBB118_2507:
	s_delay_alu instid0(SALU_CYCLE_1)
	s_and_not1_b32 vcc_lo, exec_lo, s20
	s_cbranch_vccnz .LBB118_2513
; %bb.2508:
	s_cmp_gt_i32 s13, 0
	s_mov_b32 s13, 0
	s_cbranch_scc0 .LBB118_2510
; %bb.2509:
	s_wait_loadcnt 0x0
	global_load_i8 v11, v[6:7], off
	s_branch .LBB118_2511
.LBB118_2510:
	s_mov_b32 s13, -1
                                        ; implicit-def: $vgpr11
.LBB118_2511:
	s_delay_alu instid0(SALU_CYCLE_1)
	s_and_not1_b32 vcc_lo, exec_lo, s13
	s_cbranch_vccnz .LBB118_2513
; %bb.2512:
	s_wait_loadcnt 0x0
	global_load_u8 v11, v[6:7], off
.LBB118_2513:
	s_mov_b32 s22, -1
.LBB118_2514:
	s_delay_alu instid0(SALU_CYCLE_1)
	s_and_not1_b32 vcc_lo, exec_lo, s22
	s_cbranch_vccnz .LBB118_3968
; %bb.2515:
	s_lshl_b32 s13, s14, 7
	s_cmp_lt_i32 s3, 11
	v_add_nc_u32_e32 v2, s13, v2
	s_delay_alu instid0(VALU_DEP_1) | instskip(SKIP_1) | instid1(VALU_DEP_1)
	v_ashrrev_i32_e32 v3, 31, v2
	s_wait_xcnt 0x0
	v_add_nc_u64_e32 v[6:7], s[8:9], v[2:3]
	s_cbranch_scc1 .LBB118_2522
; %bb.2516:
	s_and_b32 s14, 0xffff, s3
	s_mov_b32 s21, 0
	s_cmp_gt_i32 s14, 25
	s_cbranch_scc0 .LBB118_2523
; %bb.2517:
	s_cmp_gt_i32 s14, 28
	s_cbranch_scc0 .LBB118_2524
; %bb.2518:
	;; [unrolled: 3-line block ×4, first 2 shown]
	s_cmp_eq_u32 s14, 46
	s_mov_b32 s23, 0
	s_cbranch_scc0 .LBB118_2528
; %bb.2521:
	global_load_b32 v1, v[6:7], off
	s_mov_b32 s20, 0
	s_mov_b32 s22, -1
	s_wait_loadcnt 0x0
	v_lshlrev_b32_e32 v1, 16, v1
	s_delay_alu instid0(VALU_DEP_1)
	v_cvt_i32_f32_e32 v13, v1
	s_branch .LBB118_2530
.LBB118_2522:
	s_mov_b32 s14, -1
	s_mov_b32 s22, 0
                                        ; implicit-def: $vgpr13
	s_branch .LBB118_2592
.LBB118_2523:
	s_mov_b32 s23, -1
	s_mov_b32 s22, 0
	s_mov_b32 s20, 0
                                        ; implicit-def: $vgpr13
	s_branch .LBB118_2557
.LBB118_2524:
	s_mov_b32 s23, -1
	s_mov_b32 s22, 0
	s_mov_b32 s20, 0
                                        ; implicit-def: $vgpr13
	s_branch .LBB118_2540
.LBB118_2525:
	s_mov_b32 s23, -1
	s_mov_b32 s22, 0
	s_mov_b32 s20, 0
                                        ; implicit-def: $vgpr13
	s_branch .LBB118_2535
.LBB118_2526:
	s_or_b32 s16, s16, exec_lo
	s_trap 2
	s_cbranch_execz .LBB118_2463
	s_branch .LBB118_2464
.LBB118_2527:
	s_mov_b32 s23, -1
	s_mov_b32 s22, 0
	s_mov_b32 s20, 0
	s_branch .LBB118_2529
.LBB118_2528:
	s_mov_b32 s20, -1
	s_mov_b32 s22, 0
.LBB118_2529:
                                        ; implicit-def: $vgpr13
.LBB118_2530:
	s_and_b32 vcc_lo, exec_lo, s23
	s_cbranch_vccz .LBB118_2534
; %bb.2531:
	s_cmp_eq_u32 s14, 44
	s_cbranch_scc0 .LBB118_2533
; %bb.2532:
	global_load_u8 v1, v[6:7], off
	s_mov_b32 s20, 0
	s_mov_b32 s22, -1
	s_wait_loadcnt 0x0
	v_lshlrev_b32_e32 v3, 23, v1
	v_cmp_ne_u32_e32 vcc_lo, 0, v1
	s_delay_alu instid0(VALU_DEP_2) | instskip(NEXT) | instid1(VALU_DEP_1)
	v_cvt_i32_f32_e32 v3, v3
	v_cndmask_b32_e32 v13, 0, v3, vcc_lo
	s_branch .LBB118_2534
.LBB118_2533:
	s_mov_b32 s20, -1
                                        ; implicit-def: $vgpr13
.LBB118_2534:
	s_mov_b32 s23, 0
.LBB118_2535:
	s_delay_alu instid0(SALU_CYCLE_1)
	s_and_b32 vcc_lo, exec_lo, s23
	s_cbranch_vccz .LBB118_2539
; %bb.2536:
	s_cmp_eq_u32 s14, 29
	s_cbranch_scc0 .LBB118_2538
; %bb.2537:
	global_load_b32 v13, v[6:7], off
	s_mov_b32 s20, 0
	s_mov_b32 s22, -1
	s_branch .LBB118_2539
.LBB118_2538:
	s_mov_b32 s20, -1
                                        ; implicit-def: $vgpr13
.LBB118_2539:
	s_mov_b32 s23, 0
.LBB118_2540:
	s_delay_alu instid0(SALU_CYCLE_1)
	s_and_b32 vcc_lo, exec_lo, s23
	s_cbranch_vccz .LBB118_2556
; %bb.2541:
	s_cmp_lt_i32 s14, 27
	s_cbranch_scc1 .LBB118_2544
; %bb.2542:
	s_cmp_gt_i32 s14, 27
	s_cbranch_scc0 .LBB118_2545
; %bb.2543:
	s_wait_loadcnt 0x0
	global_load_b32 v13, v[6:7], off
	s_mov_b32 s22, 0
	s_branch .LBB118_2546
.LBB118_2544:
	s_mov_b32 s22, -1
                                        ; implicit-def: $vgpr13
	s_branch .LBB118_2549
.LBB118_2545:
	s_mov_b32 s22, -1
                                        ; implicit-def: $vgpr13
.LBB118_2546:
	s_delay_alu instid0(SALU_CYCLE_1)
	s_and_not1_b32 vcc_lo, exec_lo, s22
	s_cbranch_vccnz .LBB118_2548
; %bb.2547:
	s_wait_loadcnt 0x0
	global_load_u16 v13, v[6:7], off
.LBB118_2548:
	s_mov_b32 s22, 0
.LBB118_2549:
	s_delay_alu instid0(SALU_CYCLE_1)
	s_and_not1_b32 vcc_lo, exec_lo, s22
	s_cbranch_vccnz .LBB118_2555
; %bb.2550:
	global_load_u8 v1, v[6:7], off
	s_mov_b32 s23, 0
	s_mov_b32 s22, exec_lo
	s_wait_loadcnt 0x0
	v_cmpx_lt_i16_e32 0x7f, v1
	s_xor_b32 s22, exec_lo, s22
	s_cbranch_execz .LBB118_2567
; %bb.2551:
	v_cmp_ne_u16_e32 vcc_lo, 0x80, v1
	s_and_b32 s23, vcc_lo, exec_lo
	s_and_not1_saveexec_b32 s22, s22
	s_cbranch_execnz .LBB118_2568
.LBB118_2552:
	s_or_b32 exec_lo, exec_lo, s22
	v_mov_b32_e32 v13, 0
	s_and_saveexec_b32 s22, s23
	s_cbranch_execz .LBB118_2554
.LBB118_2553:
	v_and_b32_e32 v3, 0xffff, v1
	s_delay_alu instid0(VALU_DEP_1) | instskip(SKIP_1) | instid1(VALU_DEP_2)
	v_and_b32_e32 v5, 7, v3
	v_bfe_u32 v15, v3, 3, 4
	v_clz_i32_u32_e32 v13, v5
	s_delay_alu instid0(VALU_DEP_2) | instskip(NEXT) | instid1(VALU_DEP_2)
	v_cmp_eq_u32_e32 vcc_lo, 0, v15
	v_min_u32_e32 v13, 32, v13
	s_delay_alu instid0(VALU_DEP_1) | instskip(NEXT) | instid1(VALU_DEP_1)
	v_subrev_nc_u32_e32 v14, 28, v13
	v_dual_lshlrev_b32 v3, v14, v3 :: v_dual_sub_nc_u32 v13, 29, v13
	s_delay_alu instid0(VALU_DEP_1) | instskip(NEXT) | instid1(VALU_DEP_1)
	v_dual_lshlrev_b32 v1, 24, v1 :: v_dual_bitop2_b32 v3, 7, v3 bitop3:0x40
	v_dual_cndmask_b32 v3, v5, v3, vcc_lo :: v_dual_cndmask_b32 v13, v15, v13, vcc_lo
	s_delay_alu instid0(VALU_DEP_2) | instskip(NEXT) | instid1(VALU_DEP_2)
	v_and_b32_e32 v1, 0x80000000, v1
	v_lshlrev_b32_e32 v3, 20, v3
	s_delay_alu instid0(VALU_DEP_3) | instskip(NEXT) | instid1(VALU_DEP_1)
	v_lshl_add_u32 v5, v13, 23, 0x3b800000
	v_or3_b32 v1, v1, v5, v3
	s_delay_alu instid0(VALU_DEP_1)
	v_cvt_i32_f32_e32 v13, v1
.LBB118_2554:
	s_or_b32 exec_lo, exec_lo, s22
.LBB118_2555:
	s_mov_b32 s22, -1
.LBB118_2556:
	s_mov_b32 s23, 0
.LBB118_2557:
	s_delay_alu instid0(SALU_CYCLE_1)
	s_and_b32 vcc_lo, exec_lo, s23
	s_cbranch_vccz .LBB118_2588
; %bb.2558:
	s_cmp_gt_i32 s14, 22
	s_cbranch_scc0 .LBB118_2566
; %bb.2559:
	s_cmp_lt_i32 s14, 24
	s_cbranch_scc1 .LBB118_2569
; %bb.2560:
	s_cmp_gt_i32 s14, 24
	s_cbranch_scc0 .LBB118_2570
; %bb.2561:
	global_load_u8 v1, v[6:7], off
	s_mov_b32 s22, 0
	s_mov_b32 s21, exec_lo
	s_wait_loadcnt 0x0
	v_cmpx_lt_i16_e32 0x7f, v1
	s_xor_b32 s21, exec_lo, s21
	s_cbranch_execz .LBB118_2582
; %bb.2562:
	v_cmp_ne_u16_e32 vcc_lo, 0x80, v1
	s_and_b32 s22, vcc_lo, exec_lo
	s_and_not1_saveexec_b32 s21, s21
	s_cbranch_execnz .LBB118_2583
.LBB118_2563:
	s_or_b32 exec_lo, exec_lo, s21
	v_mov_b32_e32 v13, 0
	s_and_saveexec_b32 s21, s22
	s_cbranch_execz .LBB118_2565
.LBB118_2564:
	v_and_b32_e32 v3, 0xffff, v1
	s_delay_alu instid0(VALU_DEP_1) | instskip(SKIP_1) | instid1(VALU_DEP_2)
	v_and_b32_e32 v5, 3, v3
	v_bfe_u32 v15, v3, 2, 5
	v_clz_i32_u32_e32 v13, v5
	s_delay_alu instid0(VALU_DEP_2) | instskip(NEXT) | instid1(VALU_DEP_2)
	v_cmp_eq_u32_e32 vcc_lo, 0, v15
	v_min_u32_e32 v13, 32, v13
	s_delay_alu instid0(VALU_DEP_1) | instskip(NEXT) | instid1(VALU_DEP_1)
	v_subrev_nc_u32_e32 v14, 29, v13
	v_dual_lshlrev_b32 v3, v14, v3 :: v_dual_sub_nc_u32 v13, 30, v13
	s_delay_alu instid0(VALU_DEP_1) | instskip(NEXT) | instid1(VALU_DEP_1)
	v_dual_lshlrev_b32 v1, 24, v1 :: v_dual_bitop2_b32 v3, 3, v3 bitop3:0x40
	v_dual_cndmask_b32 v3, v5, v3, vcc_lo :: v_dual_cndmask_b32 v13, v15, v13, vcc_lo
	s_delay_alu instid0(VALU_DEP_2) | instskip(NEXT) | instid1(VALU_DEP_2)
	v_and_b32_e32 v1, 0x80000000, v1
	v_lshlrev_b32_e32 v3, 21, v3
	s_delay_alu instid0(VALU_DEP_3) | instskip(NEXT) | instid1(VALU_DEP_1)
	v_lshl_add_u32 v5, v13, 23, 0x37800000
	v_or3_b32 v1, v1, v5, v3
	s_delay_alu instid0(VALU_DEP_1)
	v_cvt_i32_f32_e32 v13, v1
.LBB118_2565:
	s_or_b32 exec_lo, exec_lo, s21
	s_mov_b32 s21, 0
	s_branch .LBB118_2571
.LBB118_2566:
	s_mov_b32 s21, -1
                                        ; implicit-def: $vgpr13
	s_branch .LBB118_2577
.LBB118_2567:
	s_and_not1_saveexec_b32 s22, s22
	s_cbranch_execz .LBB118_2552
.LBB118_2568:
	v_cmp_ne_u16_e32 vcc_lo, 0, v1
	s_and_not1_b32 s23, s23, exec_lo
	s_and_b32 s24, vcc_lo, exec_lo
	s_delay_alu instid0(SALU_CYCLE_1)
	s_or_b32 s23, s23, s24
	s_or_b32 exec_lo, exec_lo, s22
	v_mov_b32_e32 v13, 0
	s_and_saveexec_b32 s22, s23
	s_cbranch_execnz .LBB118_2553
	s_branch .LBB118_2554
.LBB118_2569:
	s_mov_b32 s21, -1
                                        ; implicit-def: $vgpr13
	s_branch .LBB118_2574
.LBB118_2570:
	s_mov_b32 s21, -1
                                        ; implicit-def: $vgpr13
.LBB118_2571:
	s_delay_alu instid0(SALU_CYCLE_1)
	s_and_b32 vcc_lo, exec_lo, s21
	s_cbranch_vccz .LBB118_2573
; %bb.2572:
	global_load_u8 v1, v[6:7], off
	s_wait_loadcnt 0x0
	v_lshlrev_b32_e32 v1, 24, v1
	s_delay_alu instid0(VALU_DEP_1) | instskip(NEXT) | instid1(VALU_DEP_1)
	v_and_b32_e32 v3, 0x7f000000, v1
	v_clz_i32_u32_e32 v5, v3
	v_cmp_ne_u32_e32 vcc_lo, 0, v3
	v_add_nc_u32_e32 v14, 0x1000000, v3
	s_delay_alu instid0(VALU_DEP_3) | instskip(NEXT) | instid1(VALU_DEP_1)
	v_min_u32_e32 v5, 32, v5
	v_sub_nc_u32_e64 v5, v5, 4 clamp
	s_delay_alu instid0(VALU_DEP_1) | instskip(NEXT) | instid1(VALU_DEP_1)
	v_dual_lshlrev_b32 v13, v5, v3 :: v_dual_lshlrev_b32 v5, 23, v5
	v_lshrrev_b32_e32 v13, 4, v13
	s_delay_alu instid0(VALU_DEP_1) | instskip(NEXT) | instid1(VALU_DEP_1)
	v_dual_sub_nc_u32 v5, v13, v5 :: v_dual_ashrrev_i32 v13, 8, v14
	v_add_nc_u32_e32 v5, 0x3c000000, v5
	s_delay_alu instid0(VALU_DEP_1) | instskip(NEXT) | instid1(VALU_DEP_1)
	v_and_or_b32 v5, 0x7f800000, v13, v5
	v_cndmask_b32_e32 v3, 0, v5, vcc_lo
	s_delay_alu instid0(VALU_DEP_1) | instskip(NEXT) | instid1(VALU_DEP_1)
	v_and_or_b32 v1, 0x80000000, v1, v3
	v_cvt_i32_f32_e32 v13, v1
.LBB118_2573:
	s_mov_b32 s21, 0
.LBB118_2574:
	s_delay_alu instid0(SALU_CYCLE_1)
	s_and_not1_b32 vcc_lo, exec_lo, s21
	s_cbranch_vccnz .LBB118_2576
; %bb.2575:
	global_load_u8 v1, v[6:7], off
	s_wait_loadcnt 0x0
	v_lshlrev_b32_e32 v3, 25, v1
	v_lshlrev_b16 v1, 8, v1
	s_delay_alu instid0(VALU_DEP_2) | instskip(NEXT) | instid1(VALU_DEP_2)
	v_cmp_gt_u32_e32 vcc_lo, 0x8000000, v3
	v_and_or_b32 v13, 0x7f00, v1, 0.5
	v_lshrrev_b32_e32 v5, 4, v3
	v_bfe_i32 v1, v1, 0, 16
	s_delay_alu instid0(VALU_DEP_3) | instskip(NEXT) | instid1(VALU_DEP_3)
	v_add_f32_e32 v13, -0.5, v13
	v_or_b32_e32 v5, 0x70000000, v5
	s_delay_alu instid0(VALU_DEP_1) | instskip(NEXT) | instid1(VALU_DEP_1)
	v_mul_f32_e32 v5, 0x7800000, v5
	v_cndmask_b32_e32 v3, v5, v13, vcc_lo
	s_delay_alu instid0(VALU_DEP_1) | instskip(NEXT) | instid1(VALU_DEP_1)
	v_and_or_b32 v1, 0x80000000, v1, v3
	v_cvt_i32_f32_e32 v13, v1
.LBB118_2576:
	s_mov_b32 s21, 0
	s_mov_b32 s22, -1
.LBB118_2577:
	s_and_not1_b32 vcc_lo, exec_lo, s21
	s_mov_b32 s21, 0
	s_cbranch_vccnz .LBB118_2588
; %bb.2578:
	s_cmp_gt_i32 s14, 14
	s_cbranch_scc0 .LBB118_2581
; %bb.2579:
	s_cmp_eq_u32 s14, 15
	s_cbranch_scc0 .LBB118_2584
; %bb.2580:
	global_load_u16 v1, v[6:7], off
	s_mov_b32 s20, 0
	s_mov_b32 s22, -1
	s_wait_loadcnt 0x0
	v_lshlrev_b32_e32 v1, 16, v1
	s_delay_alu instid0(VALU_DEP_1)
	v_cvt_i32_f32_e32 v13, v1
	s_branch .LBB118_2586
.LBB118_2581:
	s_mov_b32 s21, -1
	s_branch .LBB118_2585
.LBB118_2582:
	s_and_not1_saveexec_b32 s21, s21
	s_cbranch_execz .LBB118_2563
.LBB118_2583:
	v_cmp_ne_u16_e32 vcc_lo, 0, v1
	s_and_not1_b32 s22, s22, exec_lo
	s_and_b32 s23, vcc_lo, exec_lo
	s_delay_alu instid0(SALU_CYCLE_1)
	s_or_b32 s22, s22, s23
	s_or_b32 exec_lo, exec_lo, s21
	v_mov_b32_e32 v13, 0
	s_and_saveexec_b32 s21, s22
	s_cbranch_execnz .LBB118_2564
	s_branch .LBB118_2565
.LBB118_2584:
	s_mov_b32 s20, -1
.LBB118_2585:
                                        ; implicit-def: $vgpr13
.LBB118_2586:
	s_and_b32 vcc_lo, exec_lo, s21
	s_mov_b32 s21, 0
	s_cbranch_vccz .LBB118_2588
; %bb.2587:
	s_cmp_lg_u32 s14, 11
	s_mov_b32 s21, -1
	s_cselect_b32 s20, -1, 0
.LBB118_2588:
	s_delay_alu instid0(SALU_CYCLE_1)
	s_and_b32 vcc_lo, exec_lo, s20
	s_cbranch_vccnz .LBB118_2653
; %bb.2589:
	s_and_not1_b32 vcc_lo, exec_lo, s21
	s_cbranch_vccnz .LBB118_2591
.LBB118_2590:
	global_load_u8 v1, v[6:7], off
	s_mov_b32 s22, -1
	s_wait_loadcnt 0x0
	v_cmp_ne_u16_e32 vcc_lo, 0, v1
	v_cndmask_b32_e64 v13, 0, 1, vcc_lo
.LBB118_2591:
	s_mov_b32 s14, 0
.LBB118_2592:
	s_delay_alu instid0(SALU_CYCLE_1)
	s_and_b32 vcc_lo, exec_lo, s14
	s_cbranch_vccz .LBB118_2641
; %bb.2593:
	s_and_b32 s14, 0xffff, s3
	s_delay_alu instid0(SALU_CYCLE_1)
	s_cmp_lt_i32 s14, 5
	s_cbranch_scc1 .LBB118_2598
; %bb.2594:
	s_cmp_lt_i32 s14, 8
	s_cbranch_scc1 .LBB118_2599
; %bb.2595:
	s_cmp_lt_i32 s14, 9
	s_cbranch_scc1 .LBB118_2600
; %bb.2596:
	s_cmp_gt_i32 s14, 9
	s_cbranch_scc0 .LBB118_2601
; %bb.2597:
	global_load_b64 v[14:15], v[6:7], off
	s_mov_b32 s20, 0
	s_wait_loadcnt 0x0
	v_cvt_i32_f64_e32 v13, v[14:15]
	s_branch .LBB118_2602
.LBB118_2598:
	s_mov_b32 s20, -1
                                        ; implicit-def: $vgpr13
	s_branch .LBB118_2620
.LBB118_2599:
	s_mov_b32 s20, -1
                                        ; implicit-def: $vgpr13
	s_branch .LBB118_2608
.LBB118_2600:
	s_mov_b32 s20, -1
                                        ; implicit-def: $vgpr13
	s_branch .LBB118_2605
.LBB118_2601:
	s_mov_b32 s20, -1
                                        ; implicit-def: $vgpr13
.LBB118_2602:
	s_delay_alu instid0(SALU_CYCLE_1)
	s_and_not1_b32 vcc_lo, exec_lo, s20
	s_cbranch_vccnz .LBB118_2604
; %bb.2603:
	global_load_b32 v1, v[6:7], off
	s_wait_loadcnt 0x0
	v_cvt_i32_f32_e32 v13, v1
.LBB118_2604:
	s_mov_b32 s20, 0
.LBB118_2605:
	s_delay_alu instid0(SALU_CYCLE_1)
	s_and_not1_b32 vcc_lo, exec_lo, s20
	s_cbranch_vccnz .LBB118_2607
; %bb.2606:
	global_load_b32 v1, v[6:7], off
	s_wait_loadcnt 0x0
	v_cvt_f32_f16_e32 v1, v1
	s_delay_alu instid0(VALU_DEP_1)
	v_cvt_i32_f32_e32 v13, v1
.LBB118_2607:
	s_mov_b32 s20, 0
.LBB118_2608:
	s_delay_alu instid0(SALU_CYCLE_1)
	s_and_not1_b32 vcc_lo, exec_lo, s20
	s_cbranch_vccnz .LBB118_2619
; %bb.2609:
	s_cmp_lt_i32 s14, 6
	s_cbranch_scc1 .LBB118_2612
; %bb.2610:
	s_cmp_gt_i32 s14, 6
	s_cbranch_scc0 .LBB118_2613
; %bb.2611:
	global_load_b64 v[14:15], v[6:7], off
	s_mov_b32 s20, 0
	s_wait_loadcnt 0x0
	v_cvt_i32_f64_e32 v13, v[14:15]
	s_branch .LBB118_2614
.LBB118_2612:
	s_mov_b32 s20, -1
                                        ; implicit-def: $vgpr13
	s_branch .LBB118_2617
.LBB118_2613:
	s_mov_b32 s20, -1
                                        ; implicit-def: $vgpr13
.LBB118_2614:
	s_delay_alu instid0(SALU_CYCLE_1)
	s_and_not1_b32 vcc_lo, exec_lo, s20
	s_cbranch_vccnz .LBB118_2616
; %bb.2615:
	global_load_b32 v1, v[6:7], off
	s_wait_loadcnt 0x0
	v_cvt_i32_f32_e32 v13, v1
.LBB118_2616:
	s_mov_b32 s20, 0
.LBB118_2617:
	s_delay_alu instid0(SALU_CYCLE_1)
	s_and_not1_b32 vcc_lo, exec_lo, s20
	s_cbranch_vccnz .LBB118_2619
; %bb.2618:
	global_load_u16 v1, v[6:7], off
	s_wait_loadcnt 0x0
	v_cvt_f32_f16_e32 v1, v1
	s_delay_alu instid0(VALU_DEP_1)
	v_cvt_i32_f32_e32 v13, v1
.LBB118_2619:
	s_mov_b32 s20, 0
.LBB118_2620:
	s_delay_alu instid0(SALU_CYCLE_1)
	s_and_not1_b32 vcc_lo, exec_lo, s20
	s_cbranch_vccnz .LBB118_2640
; %bb.2621:
	s_cmp_lt_i32 s14, 2
	s_cbranch_scc1 .LBB118_2625
; %bb.2622:
	s_cmp_lt_i32 s14, 3
	s_cbranch_scc1 .LBB118_2626
; %bb.2623:
	s_cmp_gt_i32 s14, 3
	s_cbranch_scc0 .LBB118_2627
; %bb.2624:
	s_wait_loadcnt 0x0
	global_load_b32 v13, v[6:7], off
	s_mov_b32 s20, 0
	s_branch .LBB118_2628
.LBB118_2625:
	s_mov_b32 s20, -1
                                        ; implicit-def: $vgpr13
	s_branch .LBB118_2634
.LBB118_2626:
	s_mov_b32 s20, -1
                                        ; implicit-def: $vgpr13
	s_branch .LBB118_2631
.LBB118_2627:
	s_mov_b32 s20, -1
                                        ; implicit-def: $vgpr13
.LBB118_2628:
	s_delay_alu instid0(SALU_CYCLE_1)
	s_and_not1_b32 vcc_lo, exec_lo, s20
	s_cbranch_vccnz .LBB118_2630
; %bb.2629:
	s_wait_loadcnt 0x0
	global_load_b32 v13, v[6:7], off
.LBB118_2630:
	s_mov_b32 s20, 0
.LBB118_2631:
	s_delay_alu instid0(SALU_CYCLE_1)
	s_and_not1_b32 vcc_lo, exec_lo, s20
	s_cbranch_vccnz .LBB118_2633
; %bb.2632:
	s_wait_loadcnt 0x0
	global_load_i16 v13, v[6:7], off
.LBB118_2633:
	s_mov_b32 s20, 0
.LBB118_2634:
	s_delay_alu instid0(SALU_CYCLE_1)
	s_and_not1_b32 vcc_lo, exec_lo, s20
	s_cbranch_vccnz .LBB118_2640
; %bb.2635:
	s_cmp_gt_i32 s14, 0
	s_mov_b32 s14, 0
	s_cbranch_scc0 .LBB118_2637
; %bb.2636:
	s_wait_loadcnt 0x0
	global_load_i8 v13, v[6:7], off
	s_branch .LBB118_2638
.LBB118_2637:
	s_mov_b32 s14, -1
                                        ; implicit-def: $vgpr13
.LBB118_2638:
	s_delay_alu instid0(SALU_CYCLE_1)
	s_and_not1_b32 vcc_lo, exec_lo, s14
	s_cbranch_vccnz .LBB118_2640
; %bb.2639:
	s_wait_loadcnt 0x0
	global_load_u8 v13, v[6:7], off
.LBB118_2640:
	s_mov_b32 s22, -1
.LBB118_2641:
	s_delay_alu instid0(SALU_CYCLE_1)
	s_and_not1_b32 vcc_lo, exec_lo, s22
	s_cbranch_vccnz .LBB118_3968
; %bb.2642:
	s_lshl_b32 s14, s15, 7
	s_cmp_lt_i32 s0, 11
	v_add_nc_u32_e32 v4, s14, v4
	s_delay_alu instid0(VALU_DEP_1) | instskip(SKIP_1) | instid1(VALU_DEP_1)
	v_ashrrev_i32_e32 v5, 31, v4
	s_wait_xcnt 0x0
	v_add_nc_u64_e32 v[6:7], s[10:11], v[4:5]
	s_cbranch_scc1 .LBB118_2649
; %bb.2643:
	s_cmp_gt_i32 s0, 25
	s_mov_b32 s20, 0
	s_cbranch_scc0 .LBB118_2650
; %bb.2644:
	s_cmp_gt_i32 s0, 28
	s_cbranch_scc0 .LBB118_2651
; %bb.2645:
	s_cmp_gt_i32 s0, 43
	;; [unrolled: 3-line block ×3, first 2 shown]
	s_cbranch_scc0 .LBB118_2654
; %bb.2647:
	s_cmp_eq_u32 s0, 46
	s_mov_b32 s22, 0
	s_cbranch_scc0 .LBB118_2657
; %bb.2648:
	global_load_b32 v1, v[6:7], off
	s_mov_b32 s15, 0
	s_mov_b32 s21, -1
	s_wait_loadcnt 0x0
	v_lshlrev_b32_e32 v1, 16, v1
	s_delay_alu instid0(VALU_DEP_1)
	v_cvt_i32_f32_e32 v15, v1
	s_branch .LBB118_2659
.LBB118_2649:
	s_mov_b32 s15, -1
	s_mov_b32 s21, 0
                                        ; implicit-def: $vgpr15
	s_branch .LBB118_2721
.LBB118_2650:
	s_mov_b32 s22, -1
	s_mov_b32 s21, 0
	s_mov_b32 s15, 0
                                        ; implicit-def: $vgpr15
	s_branch .LBB118_2686
.LBB118_2651:
	s_mov_b32 s22, -1
	s_mov_b32 s21, 0
	s_mov_b32 s15, 0
                                        ; implicit-def: $vgpr15
	s_branch .LBB118_2669
.LBB118_2652:
	s_mov_b32 s22, -1
	s_mov_b32 s21, 0
	s_mov_b32 s15, 0
                                        ; implicit-def: $vgpr15
	s_branch .LBB118_2664
.LBB118_2653:
	s_or_b32 s16, s16, exec_lo
	s_trap 2
	s_cbranch_execz .LBB118_2590
	s_branch .LBB118_2591
.LBB118_2654:
	s_mov_b32 s22, -1
	s_mov_b32 s21, 0
	s_mov_b32 s15, 0
	s_branch .LBB118_2658
.LBB118_2655:
	s_and_not1_saveexec_b32 s39, s39
	s_cbranch_execz .LBB118_1428
.LBB118_2656:
	v_add_f32_e64 v4, 0x46000000, |v3|
	s_and_not1_b32 s38, s38, exec_lo
	s_delay_alu instid0(VALU_DEP_1) | instskip(NEXT) | instid1(VALU_DEP_1)
	v_and_b32_e32 v4, 0xff, v4
	v_cmp_ne_u32_e32 vcc_lo, 0, v4
	s_and_b32 s40, vcc_lo, exec_lo
	s_delay_alu instid0(SALU_CYCLE_1)
	s_or_b32 s38, s38, s40
	s_or_b32 exec_lo, exec_lo, s39
	v_mov_b32_e32 v5, 0
	s_and_saveexec_b32 s39, s38
	s_cbranch_execnz .LBB118_1429
	s_branch .LBB118_1430
.LBB118_2657:
	s_mov_b32 s15, -1
	s_mov_b32 s21, 0
.LBB118_2658:
                                        ; implicit-def: $vgpr15
.LBB118_2659:
	s_and_b32 vcc_lo, exec_lo, s22
	s_cbranch_vccz .LBB118_2663
; %bb.2660:
	s_cmp_eq_u32 s0, 44
	s_cbranch_scc0 .LBB118_2662
; %bb.2661:
	global_load_u8 v1, v[6:7], off
	s_mov_b32 s15, 0
	s_mov_b32 s21, -1
	s_wait_loadcnt 0x0
	v_lshlrev_b32_e32 v3, 23, v1
	v_cmp_ne_u32_e32 vcc_lo, 0, v1
	s_delay_alu instid0(VALU_DEP_2) | instskip(NEXT) | instid1(VALU_DEP_1)
	v_cvt_i32_f32_e32 v3, v3
	v_cndmask_b32_e32 v15, 0, v3, vcc_lo
	s_branch .LBB118_2663
.LBB118_2662:
	s_mov_b32 s15, -1
                                        ; implicit-def: $vgpr15
.LBB118_2663:
	s_mov_b32 s22, 0
.LBB118_2664:
	s_delay_alu instid0(SALU_CYCLE_1)
	s_and_b32 vcc_lo, exec_lo, s22
	s_cbranch_vccz .LBB118_2668
; %bb.2665:
	s_cmp_eq_u32 s0, 29
	s_cbranch_scc0 .LBB118_2667
; %bb.2666:
	global_load_b32 v15, v[6:7], off
	s_mov_b32 s15, 0
	s_mov_b32 s21, -1
	s_branch .LBB118_2668
.LBB118_2667:
	s_mov_b32 s15, -1
                                        ; implicit-def: $vgpr15
.LBB118_2668:
	s_mov_b32 s22, 0
.LBB118_2669:
	s_delay_alu instid0(SALU_CYCLE_1)
	s_and_b32 vcc_lo, exec_lo, s22
	s_cbranch_vccz .LBB118_2685
; %bb.2670:
	s_cmp_lt_i32 s0, 27
	s_cbranch_scc1 .LBB118_2673
; %bb.2671:
	s_cmp_gt_i32 s0, 27
	s_cbranch_scc0 .LBB118_2674
; %bb.2672:
	s_wait_loadcnt 0x0
	global_load_b32 v15, v[6:7], off
	s_mov_b32 s21, 0
	s_branch .LBB118_2675
.LBB118_2673:
	s_mov_b32 s21, -1
                                        ; implicit-def: $vgpr15
	s_branch .LBB118_2678
.LBB118_2674:
	s_mov_b32 s21, -1
                                        ; implicit-def: $vgpr15
.LBB118_2675:
	s_delay_alu instid0(SALU_CYCLE_1)
	s_and_not1_b32 vcc_lo, exec_lo, s21
	s_cbranch_vccnz .LBB118_2677
; %bb.2676:
	s_wait_loadcnt 0x0
	global_load_u16 v15, v[6:7], off
.LBB118_2677:
	s_mov_b32 s21, 0
.LBB118_2678:
	s_delay_alu instid0(SALU_CYCLE_1)
	s_and_not1_b32 vcc_lo, exec_lo, s21
	s_cbranch_vccnz .LBB118_2684
; %bb.2679:
	global_load_u8 v1, v[6:7], off
	s_mov_b32 s22, 0
	s_mov_b32 s21, exec_lo
	s_wait_loadcnt 0x0
	v_cmpx_lt_i16_e32 0x7f, v1
	s_xor_b32 s21, exec_lo, s21
	s_cbranch_execz .LBB118_2696
; %bb.2680:
	v_cmp_ne_u16_e32 vcc_lo, 0x80, v1
	s_and_b32 s22, vcc_lo, exec_lo
	s_and_not1_saveexec_b32 s21, s21
	s_cbranch_execnz .LBB118_2697
.LBB118_2681:
	s_or_b32 exec_lo, exec_lo, s21
	v_mov_b32_e32 v15, 0
	s_and_saveexec_b32 s21, s22
	s_cbranch_execz .LBB118_2683
.LBB118_2682:
	v_and_b32_e32 v3, 0xffff, v1
	s_delay_alu instid0(VALU_DEP_1) | instskip(SKIP_1) | instid1(VALU_DEP_2)
	v_and_b32_e32 v5, 7, v3
	v_bfe_u32 v16, v3, 3, 4
	v_clz_i32_u32_e32 v14, v5
	s_delay_alu instid0(VALU_DEP_2) | instskip(NEXT) | instid1(VALU_DEP_2)
	v_cmp_eq_u32_e32 vcc_lo, 0, v16
	v_min_u32_e32 v14, 32, v14
	s_delay_alu instid0(VALU_DEP_1) | instskip(NEXT) | instid1(VALU_DEP_1)
	v_subrev_nc_u32_e32 v15, 28, v14
	v_dual_lshlrev_b32 v3, v15, v3 :: v_dual_sub_nc_u32 v14, 29, v14
	s_delay_alu instid0(VALU_DEP_1) | instskip(NEXT) | instid1(VALU_DEP_1)
	v_dual_lshlrev_b32 v1, 24, v1 :: v_dual_bitop2_b32 v3, 7, v3 bitop3:0x40
	v_dual_cndmask_b32 v14, v16, v14 :: v_dual_cndmask_b32 v3, v5, v3
	s_delay_alu instid0(VALU_DEP_2) | instskip(NEXT) | instid1(VALU_DEP_2)
	v_and_b32_e32 v1, 0x80000000, v1
	v_lshl_add_u32 v5, v14, 23, 0x3b800000
	s_delay_alu instid0(VALU_DEP_3) | instskip(NEXT) | instid1(VALU_DEP_1)
	v_lshlrev_b32_e32 v3, 20, v3
	v_or3_b32 v1, v1, v5, v3
	s_delay_alu instid0(VALU_DEP_1)
	v_cvt_i32_f32_e32 v15, v1
.LBB118_2683:
	s_or_b32 exec_lo, exec_lo, s21
.LBB118_2684:
	s_mov_b32 s21, -1
.LBB118_2685:
	s_mov_b32 s22, 0
.LBB118_2686:
	s_delay_alu instid0(SALU_CYCLE_1)
	s_and_b32 vcc_lo, exec_lo, s22
	s_cbranch_vccz .LBB118_2717
; %bb.2687:
	s_cmp_gt_i32 s0, 22
	s_cbranch_scc0 .LBB118_2695
; %bb.2688:
	s_cmp_lt_i32 s0, 24
	s_cbranch_scc1 .LBB118_2698
; %bb.2689:
	s_cmp_gt_i32 s0, 24
	s_cbranch_scc0 .LBB118_2699
; %bb.2690:
	global_load_u8 v1, v[6:7], off
	s_mov_b32 s21, 0
	s_mov_b32 s20, exec_lo
	s_wait_loadcnt 0x0
	v_cmpx_lt_i16_e32 0x7f, v1
	s_xor_b32 s20, exec_lo, s20
	s_cbranch_execz .LBB118_2711
; %bb.2691:
	v_cmp_ne_u16_e32 vcc_lo, 0x80, v1
	s_and_b32 s21, vcc_lo, exec_lo
	s_and_not1_saveexec_b32 s20, s20
	s_cbranch_execnz .LBB118_2712
.LBB118_2692:
	s_or_b32 exec_lo, exec_lo, s20
	v_mov_b32_e32 v15, 0
	s_and_saveexec_b32 s20, s21
	s_cbranch_execz .LBB118_2694
.LBB118_2693:
	v_and_b32_e32 v3, 0xffff, v1
	s_delay_alu instid0(VALU_DEP_1) | instskip(SKIP_1) | instid1(VALU_DEP_2)
	v_and_b32_e32 v5, 3, v3
	v_bfe_u32 v16, v3, 2, 5
	v_clz_i32_u32_e32 v14, v5
	s_delay_alu instid0(VALU_DEP_2) | instskip(NEXT) | instid1(VALU_DEP_2)
	v_cmp_eq_u32_e32 vcc_lo, 0, v16
	v_min_u32_e32 v14, 32, v14
	s_delay_alu instid0(VALU_DEP_1) | instskip(NEXT) | instid1(VALU_DEP_1)
	v_subrev_nc_u32_e32 v15, 29, v14
	v_dual_lshlrev_b32 v3, v15, v3 :: v_dual_sub_nc_u32 v14, 30, v14
	s_delay_alu instid0(VALU_DEP_1) | instskip(NEXT) | instid1(VALU_DEP_1)
	v_dual_lshlrev_b32 v1, 24, v1 :: v_dual_bitop2_b32 v3, 3, v3 bitop3:0x40
	v_dual_cndmask_b32 v14, v16, v14 :: v_dual_cndmask_b32 v3, v5, v3
	s_delay_alu instid0(VALU_DEP_2) | instskip(NEXT) | instid1(VALU_DEP_2)
	v_and_b32_e32 v1, 0x80000000, v1
	v_lshl_add_u32 v5, v14, 23, 0x37800000
	s_delay_alu instid0(VALU_DEP_3) | instskip(NEXT) | instid1(VALU_DEP_1)
	v_lshlrev_b32_e32 v3, 21, v3
	v_or3_b32 v1, v1, v5, v3
	s_delay_alu instid0(VALU_DEP_1)
	v_cvt_i32_f32_e32 v15, v1
.LBB118_2694:
	s_or_b32 exec_lo, exec_lo, s20
	s_mov_b32 s20, 0
	s_branch .LBB118_2700
.LBB118_2695:
	s_mov_b32 s20, -1
                                        ; implicit-def: $vgpr15
	s_branch .LBB118_2706
.LBB118_2696:
	s_and_not1_saveexec_b32 s21, s21
	s_cbranch_execz .LBB118_2681
.LBB118_2697:
	v_cmp_ne_u16_e32 vcc_lo, 0, v1
	s_and_not1_b32 s22, s22, exec_lo
	s_and_b32 s23, vcc_lo, exec_lo
	s_delay_alu instid0(SALU_CYCLE_1)
	s_or_b32 s22, s22, s23
	s_or_b32 exec_lo, exec_lo, s21
	v_mov_b32_e32 v15, 0
	s_and_saveexec_b32 s21, s22
	s_cbranch_execnz .LBB118_2682
	s_branch .LBB118_2683
.LBB118_2698:
	s_mov_b32 s20, -1
                                        ; implicit-def: $vgpr15
	s_branch .LBB118_2703
.LBB118_2699:
	s_mov_b32 s20, -1
                                        ; implicit-def: $vgpr15
.LBB118_2700:
	s_delay_alu instid0(SALU_CYCLE_1)
	s_and_b32 vcc_lo, exec_lo, s20
	s_cbranch_vccz .LBB118_2702
; %bb.2701:
	global_load_u8 v1, v[6:7], off
	s_wait_loadcnt 0x0
	v_lshlrev_b32_e32 v1, 24, v1
	s_delay_alu instid0(VALU_DEP_1) | instskip(NEXT) | instid1(VALU_DEP_1)
	v_and_b32_e32 v3, 0x7f000000, v1
	v_clz_i32_u32_e32 v5, v3
	v_add_nc_u32_e32 v15, 0x1000000, v3
	v_cmp_ne_u32_e32 vcc_lo, 0, v3
	s_delay_alu instid0(VALU_DEP_3) | instskip(NEXT) | instid1(VALU_DEP_1)
	v_min_u32_e32 v5, 32, v5
	v_sub_nc_u32_e64 v5, v5, 4 clamp
	s_delay_alu instid0(VALU_DEP_1) | instskip(NEXT) | instid1(VALU_DEP_1)
	v_dual_lshlrev_b32 v14, v5, v3 :: v_dual_lshlrev_b32 v5, 23, v5
	v_lshrrev_b32_e32 v14, 4, v14
	s_delay_alu instid0(VALU_DEP_1) | instskip(NEXT) | instid1(VALU_DEP_1)
	v_dual_sub_nc_u32 v5, v14, v5 :: v_dual_ashrrev_i32 v14, 8, v15
	v_add_nc_u32_e32 v5, 0x3c000000, v5
	s_delay_alu instid0(VALU_DEP_1) | instskip(NEXT) | instid1(VALU_DEP_1)
	v_and_or_b32 v5, 0x7f800000, v14, v5
	v_cndmask_b32_e32 v3, 0, v5, vcc_lo
	s_delay_alu instid0(VALU_DEP_1) | instskip(NEXT) | instid1(VALU_DEP_1)
	v_and_or_b32 v1, 0x80000000, v1, v3
	v_cvt_i32_f32_e32 v15, v1
.LBB118_2702:
	s_mov_b32 s20, 0
.LBB118_2703:
	s_delay_alu instid0(SALU_CYCLE_1)
	s_and_not1_b32 vcc_lo, exec_lo, s20
	s_cbranch_vccnz .LBB118_2705
; %bb.2704:
	global_load_u8 v1, v[6:7], off
	s_wait_loadcnt 0x0
	v_lshlrev_b32_e32 v3, 25, v1
	v_lshlrev_b16 v1, 8, v1
	s_delay_alu instid0(VALU_DEP_1) | instskip(SKIP_1) | instid1(VALU_DEP_2)
	v_and_or_b32 v14, 0x7f00, v1, 0.5
	v_bfe_i32 v1, v1, 0, 16
	v_dual_add_f32 v14, -0.5, v14 :: v_dual_lshrrev_b32 v5, 4, v3
	v_cmp_gt_u32_e32 vcc_lo, 0x8000000, v3
	s_delay_alu instid0(VALU_DEP_2) | instskip(NEXT) | instid1(VALU_DEP_1)
	v_or_b32_e32 v5, 0x70000000, v5
	v_mul_f32_e32 v5, 0x7800000, v5
	s_delay_alu instid0(VALU_DEP_1) | instskip(NEXT) | instid1(VALU_DEP_1)
	v_cndmask_b32_e32 v3, v5, v14, vcc_lo
	v_and_or_b32 v1, 0x80000000, v1, v3
	s_delay_alu instid0(VALU_DEP_1)
	v_cvt_i32_f32_e32 v15, v1
.LBB118_2705:
	s_mov_b32 s20, 0
	s_mov_b32 s21, -1
.LBB118_2706:
	s_and_not1_b32 vcc_lo, exec_lo, s20
	s_mov_b32 s20, 0
	s_cbranch_vccnz .LBB118_2717
; %bb.2707:
	s_cmp_gt_i32 s0, 14
	s_cbranch_scc0 .LBB118_2710
; %bb.2708:
	s_cmp_eq_u32 s0, 15
	s_cbranch_scc0 .LBB118_2713
; %bb.2709:
	global_load_u16 v1, v[6:7], off
	s_mov_b32 s15, 0
	s_mov_b32 s21, -1
	s_wait_loadcnt 0x0
	v_lshlrev_b32_e32 v1, 16, v1
	s_delay_alu instid0(VALU_DEP_1)
	v_cvt_i32_f32_e32 v15, v1
	s_branch .LBB118_2715
.LBB118_2710:
	s_mov_b32 s20, -1
	s_branch .LBB118_2714
.LBB118_2711:
	s_and_not1_saveexec_b32 s20, s20
	s_cbranch_execz .LBB118_2692
.LBB118_2712:
	v_cmp_ne_u16_e32 vcc_lo, 0, v1
	s_and_not1_b32 s21, s21, exec_lo
	s_and_b32 s22, vcc_lo, exec_lo
	s_delay_alu instid0(SALU_CYCLE_1)
	s_or_b32 s21, s21, s22
	s_or_b32 exec_lo, exec_lo, s20
	v_mov_b32_e32 v15, 0
	s_and_saveexec_b32 s20, s21
	s_cbranch_execnz .LBB118_2693
	s_branch .LBB118_2694
.LBB118_2713:
	s_mov_b32 s15, -1
.LBB118_2714:
                                        ; implicit-def: $vgpr15
.LBB118_2715:
	s_and_b32 vcc_lo, exec_lo, s20
	s_mov_b32 s20, 0
	s_cbranch_vccz .LBB118_2717
; %bb.2716:
	s_cmp_lg_u32 s0, 11
	s_mov_b32 s20, -1
	s_cselect_b32 s15, -1, 0
.LBB118_2717:
	s_delay_alu instid0(SALU_CYCLE_1)
	s_and_b32 vcc_lo, exec_lo, s15
	s_cbranch_vccnz .LBB118_2782
; %bb.2718:
	s_and_not1_b32 vcc_lo, exec_lo, s20
	s_cbranch_vccnz .LBB118_2720
.LBB118_2719:
	global_load_u8 v1, v[6:7], off
	s_mov_b32 s21, -1
	s_wait_loadcnt 0x0
	v_cmp_ne_u16_e32 vcc_lo, 0, v1
	v_cndmask_b32_e64 v15, 0, 1, vcc_lo
.LBB118_2720:
	s_mov_b32 s15, 0
.LBB118_2721:
	s_delay_alu instid0(SALU_CYCLE_1)
	s_and_b32 vcc_lo, exec_lo, s15
	s_cbranch_vccz .LBB118_2770
; %bb.2722:
	s_cmp_lt_i32 s0, 5
	s_cbranch_scc1 .LBB118_2727
; %bb.2723:
	s_cmp_lt_i32 s0, 8
	s_cbranch_scc1 .LBB118_2728
	;; [unrolled: 3-line block ×3, first 2 shown]
; %bb.2725:
	s_cmp_gt_i32 s0, 9
	s_cbranch_scc0 .LBB118_2730
; %bb.2726:
	s_wait_loadcnt 0x0
	global_load_b64 v[14:15], v[6:7], off
	s_mov_b32 s15, 0
	s_wait_loadcnt 0x0
	v_cvt_i32_f64_e32 v15, v[14:15]
	s_branch .LBB118_2731
.LBB118_2727:
	s_mov_b32 s15, -1
                                        ; implicit-def: $vgpr15
	s_branch .LBB118_2749
.LBB118_2728:
	s_mov_b32 s15, -1
                                        ; implicit-def: $vgpr15
	s_branch .LBB118_2737
.LBB118_2729:
	s_mov_b32 s15, -1
                                        ; implicit-def: $vgpr15
	s_branch .LBB118_2734
.LBB118_2730:
	s_mov_b32 s15, -1
                                        ; implicit-def: $vgpr15
.LBB118_2731:
	s_delay_alu instid0(SALU_CYCLE_1)
	s_and_not1_b32 vcc_lo, exec_lo, s15
	s_cbranch_vccnz .LBB118_2733
; %bb.2732:
	global_load_b32 v1, v[6:7], off
	s_wait_loadcnt 0x0
	v_cvt_i32_f32_e32 v15, v1
.LBB118_2733:
	s_mov_b32 s15, 0
.LBB118_2734:
	s_delay_alu instid0(SALU_CYCLE_1)
	s_and_not1_b32 vcc_lo, exec_lo, s15
	s_cbranch_vccnz .LBB118_2736
; %bb.2735:
	global_load_b32 v1, v[6:7], off
	s_wait_loadcnt 0x0
	v_cvt_f32_f16_e32 v1, v1
	s_delay_alu instid0(VALU_DEP_1)
	v_cvt_i32_f32_e32 v15, v1
.LBB118_2736:
	s_mov_b32 s15, 0
.LBB118_2737:
	s_delay_alu instid0(SALU_CYCLE_1)
	s_and_not1_b32 vcc_lo, exec_lo, s15
	s_cbranch_vccnz .LBB118_2748
; %bb.2738:
	s_cmp_lt_i32 s0, 6
	s_cbranch_scc1 .LBB118_2741
; %bb.2739:
	s_cmp_gt_i32 s0, 6
	s_cbranch_scc0 .LBB118_2742
; %bb.2740:
	s_wait_loadcnt 0x0
	global_load_b64 v[14:15], v[6:7], off
	s_mov_b32 s15, 0
	s_wait_loadcnt 0x0
	v_cvt_i32_f64_e32 v15, v[14:15]
	s_branch .LBB118_2743
.LBB118_2741:
	s_mov_b32 s15, -1
                                        ; implicit-def: $vgpr15
	s_branch .LBB118_2746
.LBB118_2742:
	s_mov_b32 s15, -1
                                        ; implicit-def: $vgpr15
.LBB118_2743:
	s_delay_alu instid0(SALU_CYCLE_1)
	s_and_not1_b32 vcc_lo, exec_lo, s15
	s_cbranch_vccnz .LBB118_2745
; %bb.2744:
	global_load_b32 v1, v[6:7], off
	s_wait_loadcnt 0x0
	v_cvt_i32_f32_e32 v15, v1
.LBB118_2745:
	s_mov_b32 s15, 0
.LBB118_2746:
	s_delay_alu instid0(SALU_CYCLE_1)
	s_and_not1_b32 vcc_lo, exec_lo, s15
	s_cbranch_vccnz .LBB118_2748
; %bb.2747:
	global_load_u16 v1, v[6:7], off
	s_wait_loadcnt 0x0
	v_cvt_f32_f16_e32 v1, v1
	s_delay_alu instid0(VALU_DEP_1)
	v_cvt_i32_f32_e32 v15, v1
.LBB118_2748:
	s_mov_b32 s15, 0
.LBB118_2749:
	s_delay_alu instid0(SALU_CYCLE_1)
	s_and_not1_b32 vcc_lo, exec_lo, s15
	s_cbranch_vccnz .LBB118_2769
; %bb.2750:
	s_cmp_lt_i32 s0, 2
	s_cbranch_scc1 .LBB118_2754
; %bb.2751:
	s_cmp_lt_i32 s0, 3
	s_cbranch_scc1 .LBB118_2755
; %bb.2752:
	s_cmp_gt_i32 s0, 3
	s_cbranch_scc0 .LBB118_2756
; %bb.2753:
	s_wait_loadcnt 0x0
	global_load_b32 v15, v[6:7], off
	s_mov_b32 s15, 0
	s_branch .LBB118_2757
.LBB118_2754:
	s_mov_b32 s15, -1
                                        ; implicit-def: $vgpr15
	s_branch .LBB118_2763
.LBB118_2755:
	s_mov_b32 s15, -1
                                        ; implicit-def: $vgpr15
	s_branch .LBB118_2760
.LBB118_2756:
	s_mov_b32 s15, -1
                                        ; implicit-def: $vgpr15
.LBB118_2757:
	s_delay_alu instid0(SALU_CYCLE_1)
	s_and_not1_b32 vcc_lo, exec_lo, s15
	s_cbranch_vccnz .LBB118_2759
; %bb.2758:
	s_wait_loadcnt 0x0
	global_load_b32 v15, v[6:7], off
.LBB118_2759:
	s_mov_b32 s15, 0
.LBB118_2760:
	s_delay_alu instid0(SALU_CYCLE_1)
	s_and_not1_b32 vcc_lo, exec_lo, s15
	s_cbranch_vccnz .LBB118_2762
; %bb.2761:
	s_wait_loadcnt 0x0
	global_load_i16 v15, v[6:7], off
.LBB118_2762:
	s_mov_b32 s15, 0
.LBB118_2763:
	s_delay_alu instid0(SALU_CYCLE_1)
	s_and_not1_b32 vcc_lo, exec_lo, s15
	s_cbranch_vccnz .LBB118_2769
; %bb.2764:
	s_cmp_gt_i32 s0, 0
	s_mov_b32 s15, 0
	s_cbranch_scc0 .LBB118_2766
; %bb.2765:
	s_wait_loadcnt 0x0
	global_load_i8 v15, v[6:7], off
	s_branch .LBB118_2767
.LBB118_2766:
	s_mov_b32 s15, -1
                                        ; implicit-def: $vgpr15
.LBB118_2767:
	s_delay_alu instid0(SALU_CYCLE_1)
	s_and_not1_b32 vcc_lo, exec_lo, s15
	s_cbranch_vccnz .LBB118_2769
; %bb.2768:
	s_wait_loadcnt 0x0
	global_load_u8 v15, v[6:7], off
.LBB118_2769:
	s_mov_b32 s21, -1
.LBB118_2770:
	s_delay_alu instid0(SALU_CYCLE_1)
	s_and_not1_b32 vcc_lo, exec_lo, s21
	s_cbranch_vccnz .LBB118_3968
; %bb.2771:
	v_add_nc_u32_e32 v0, s1, v0
	s_cmp_lt_i32 s17, 11
	s_delay_alu instid0(VALU_DEP_1) | instskip(SKIP_1) | instid1(VALU_DEP_1)
	v_ashrrev_i32_e32 v1, 31, v0
	s_wait_xcnt 0x0
	v_add_nc_u64_e32 v[6:7], s[6:7], v[0:1]
	s_cbranch_scc1 .LBB118_2778
; %bb.2772:
	s_and_b32 s15, 0xffff, s17
	s_mov_b32 s21, 0
	s_cmp_gt_i32 s15, 25
	s_cbranch_scc0 .LBB118_2779
; %bb.2773:
	s_cmp_gt_i32 s15, 28
	s_cbranch_scc0 .LBB118_2780
; %bb.2774:
	;; [unrolled: 3-line block ×4, first 2 shown]
	s_cmp_eq_u32 s15, 46
	s_mov_b32 s23, 0
	s_cbranch_scc0 .LBB118_2786
; %bb.2777:
	global_load_b32 v1, v[6:7], off
	s_mov_b32 s20, 0
	s_mov_b32 s22, -1
	s_wait_loadcnt 0x0
	v_lshlrev_b32_e32 v1, 16, v1
	s_delay_alu instid0(VALU_DEP_1)
	v_cvt_i32_f32_e32 v14, v1
	s_branch .LBB118_2788
.LBB118_2778:
	s_mov_b32 s15, -1
	s_mov_b32 s22, 0
                                        ; implicit-def: $vgpr14
	s_branch .LBB118_2850
.LBB118_2779:
	s_mov_b32 s23, -1
	s_mov_b32 s22, 0
	s_mov_b32 s20, 0
                                        ; implicit-def: $vgpr14
	s_branch .LBB118_2815
.LBB118_2780:
	s_mov_b32 s23, -1
	s_mov_b32 s22, 0
	s_mov_b32 s20, 0
                                        ; implicit-def: $vgpr14
	s_branch .LBB118_2798
.LBB118_2781:
	s_mov_b32 s23, -1
	s_mov_b32 s22, 0
	s_mov_b32 s20, 0
                                        ; implicit-def: $vgpr14
	s_branch .LBB118_2793
.LBB118_2782:
	s_or_b32 s16, s16, exec_lo
	s_trap 2
	s_cbranch_execz .LBB118_2719
	s_branch .LBB118_2720
.LBB118_2783:
	s_mov_b32 s23, -1
	s_mov_b32 s22, 0
	s_mov_b32 s20, 0
	s_branch .LBB118_2787
.LBB118_2784:
	s_and_not1_saveexec_b32 s39, s39
	s_cbranch_execz .LBB118_1441
.LBB118_2785:
	v_add_f32_e64 v4, 0x42800000, |v3|
	s_and_not1_b32 s38, s38, exec_lo
	s_delay_alu instid0(VALU_DEP_1) | instskip(NEXT) | instid1(VALU_DEP_1)
	v_and_b32_e32 v4, 0xff, v4
	v_cmp_ne_u32_e32 vcc_lo, 0, v4
	s_and_b32 s40, vcc_lo, exec_lo
	s_delay_alu instid0(SALU_CYCLE_1)
	s_or_b32 s38, s38, s40
	s_or_b32 exec_lo, exec_lo, s39
	v_mov_b32_e32 v5, 0
	s_and_saveexec_b32 s39, s38
	s_cbranch_execnz .LBB118_1442
	s_branch .LBB118_1443
.LBB118_2786:
	s_mov_b32 s20, -1
	s_mov_b32 s22, 0
.LBB118_2787:
                                        ; implicit-def: $vgpr14
.LBB118_2788:
	s_and_b32 vcc_lo, exec_lo, s23
	s_cbranch_vccz .LBB118_2792
; %bb.2789:
	s_cmp_eq_u32 s15, 44
	s_cbranch_scc0 .LBB118_2791
; %bb.2790:
	global_load_u8 v1, v[6:7], off
	s_mov_b32 s20, 0
	s_mov_b32 s22, -1
	s_wait_loadcnt 0x0
	v_lshlrev_b32_e32 v3, 23, v1
	v_cmp_ne_u32_e32 vcc_lo, 0, v1
	s_delay_alu instid0(VALU_DEP_2) | instskip(NEXT) | instid1(VALU_DEP_1)
	v_cvt_i32_f32_e32 v3, v3
	v_cndmask_b32_e32 v14, 0, v3, vcc_lo
	s_branch .LBB118_2792
.LBB118_2791:
	s_mov_b32 s20, -1
                                        ; implicit-def: $vgpr14
.LBB118_2792:
	s_mov_b32 s23, 0
.LBB118_2793:
	s_delay_alu instid0(SALU_CYCLE_1)
	s_and_b32 vcc_lo, exec_lo, s23
	s_cbranch_vccz .LBB118_2797
; %bb.2794:
	s_cmp_eq_u32 s15, 29
	s_cbranch_scc0 .LBB118_2796
; %bb.2795:
	global_load_b32 v14, v[6:7], off
	s_mov_b32 s20, 0
	s_mov_b32 s22, -1
	s_branch .LBB118_2797
.LBB118_2796:
	s_mov_b32 s20, -1
                                        ; implicit-def: $vgpr14
.LBB118_2797:
	s_mov_b32 s23, 0
.LBB118_2798:
	s_delay_alu instid0(SALU_CYCLE_1)
	s_and_b32 vcc_lo, exec_lo, s23
	s_cbranch_vccz .LBB118_2814
; %bb.2799:
	s_cmp_lt_i32 s15, 27
	s_cbranch_scc1 .LBB118_2802
; %bb.2800:
	s_cmp_gt_i32 s15, 27
	s_cbranch_scc0 .LBB118_2803
; %bb.2801:
	s_wait_loadcnt 0x0
	global_load_b32 v14, v[6:7], off
	s_mov_b32 s22, 0
	s_branch .LBB118_2804
.LBB118_2802:
	s_mov_b32 s22, -1
                                        ; implicit-def: $vgpr14
	s_branch .LBB118_2807
.LBB118_2803:
	s_mov_b32 s22, -1
                                        ; implicit-def: $vgpr14
.LBB118_2804:
	s_delay_alu instid0(SALU_CYCLE_1)
	s_and_not1_b32 vcc_lo, exec_lo, s22
	s_cbranch_vccnz .LBB118_2806
; %bb.2805:
	s_wait_loadcnt 0x0
	global_load_u16 v14, v[6:7], off
.LBB118_2806:
	s_mov_b32 s22, 0
.LBB118_2807:
	s_delay_alu instid0(SALU_CYCLE_1)
	s_and_not1_b32 vcc_lo, exec_lo, s22
	s_cbranch_vccnz .LBB118_2813
; %bb.2808:
	global_load_u8 v1, v[6:7], off
	s_mov_b32 s23, 0
	s_mov_b32 s22, exec_lo
	s_wait_loadcnt 0x0
	v_cmpx_lt_i16_e32 0x7f, v1
	s_xor_b32 s22, exec_lo, s22
	s_cbranch_execz .LBB118_2825
; %bb.2809:
	v_cmp_ne_u16_e32 vcc_lo, 0x80, v1
	s_and_b32 s23, vcc_lo, exec_lo
	s_and_not1_saveexec_b32 s22, s22
	s_cbranch_execnz .LBB118_2826
.LBB118_2810:
	s_or_b32 exec_lo, exec_lo, s22
	v_mov_b32_e32 v14, 0
	s_and_saveexec_b32 s22, s23
	s_cbranch_execz .LBB118_2812
.LBB118_2811:
	v_and_b32_e32 v3, 0xffff, v1
	s_delay_alu instid0(VALU_DEP_1) | instskip(SKIP_1) | instid1(VALU_DEP_2)
	v_and_b32_e32 v5, 7, v3
	v_bfe_u32 v17, v3, 3, 4
	v_clz_i32_u32_e32 v14, v5
	s_delay_alu instid0(VALU_DEP_2) | instskip(NEXT) | instid1(VALU_DEP_2)
	v_cmp_eq_u32_e32 vcc_lo, 0, v17
	v_min_u32_e32 v14, 32, v14
	s_delay_alu instid0(VALU_DEP_1) | instskip(NEXT) | instid1(VALU_DEP_1)
	v_subrev_nc_u32_e32 v16, 28, v14
	v_dual_lshlrev_b32 v3, v16, v3 :: v_dual_sub_nc_u32 v14, 29, v14
	s_delay_alu instid0(VALU_DEP_1) | instskip(NEXT) | instid1(VALU_DEP_2)
	v_dual_lshlrev_b32 v1, 24, v1 :: v_dual_bitop2_b32 v3, 7, v3 bitop3:0x40
	v_cndmask_b32_e32 v14, v17, v14, vcc_lo
	s_delay_alu instid0(VALU_DEP_2) | instskip(NEXT) | instid1(VALU_DEP_3)
	v_cndmask_b32_e32 v3, v5, v3, vcc_lo
	v_and_b32_e32 v1, 0x80000000, v1
	s_delay_alu instid0(VALU_DEP_3) | instskip(NEXT) | instid1(VALU_DEP_3)
	v_lshl_add_u32 v5, v14, 23, 0x3b800000
	v_lshlrev_b32_e32 v3, 20, v3
	s_delay_alu instid0(VALU_DEP_1) | instskip(NEXT) | instid1(VALU_DEP_1)
	v_or3_b32 v1, v1, v5, v3
	v_cvt_i32_f32_e32 v14, v1
.LBB118_2812:
	s_or_b32 exec_lo, exec_lo, s22
.LBB118_2813:
	s_mov_b32 s22, -1
.LBB118_2814:
	s_mov_b32 s23, 0
.LBB118_2815:
	s_delay_alu instid0(SALU_CYCLE_1)
	s_and_b32 vcc_lo, exec_lo, s23
	s_cbranch_vccz .LBB118_2846
; %bb.2816:
	s_cmp_gt_i32 s15, 22
	s_cbranch_scc0 .LBB118_2824
; %bb.2817:
	s_cmp_lt_i32 s15, 24
	s_cbranch_scc1 .LBB118_2827
; %bb.2818:
	s_cmp_gt_i32 s15, 24
	s_cbranch_scc0 .LBB118_2828
; %bb.2819:
	global_load_u8 v1, v[6:7], off
	s_mov_b32 s22, 0
	s_mov_b32 s21, exec_lo
	s_wait_loadcnt 0x0
	v_cmpx_lt_i16_e32 0x7f, v1
	s_xor_b32 s21, exec_lo, s21
	s_cbranch_execz .LBB118_2840
; %bb.2820:
	v_cmp_ne_u16_e32 vcc_lo, 0x80, v1
	s_and_b32 s22, vcc_lo, exec_lo
	s_and_not1_saveexec_b32 s21, s21
	s_cbranch_execnz .LBB118_2841
.LBB118_2821:
	s_or_b32 exec_lo, exec_lo, s21
	v_mov_b32_e32 v14, 0
	s_and_saveexec_b32 s21, s22
	s_cbranch_execz .LBB118_2823
.LBB118_2822:
	v_and_b32_e32 v3, 0xffff, v1
	s_delay_alu instid0(VALU_DEP_1) | instskip(SKIP_1) | instid1(VALU_DEP_2)
	v_and_b32_e32 v5, 3, v3
	v_bfe_u32 v17, v3, 2, 5
	v_clz_i32_u32_e32 v14, v5
	s_delay_alu instid0(VALU_DEP_2) | instskip(NEXT) | instid1(VALU_DEP_2)
	v_cmp_eq_u32_e32 vcc_lo, 0, v17
	v_min_u32_e32 v14, 32, v14
	s_delay_alu instid0(VALU_DEP_1) | instskip(NEXT) | instid1(VALU_DEP_1)
	v_subrev_nc_u32_e32 v16, 29, v14
	v_dual_lshlrev_b32 v3, v16, v3 :: v_dual_sub_nc_u32 v14, 30, v14
	s_delay_alu instid0(VALU_DEP_1) | instskip(NEXT) | instid1(VALU_DEP_2)
	v_dual_lshlrev_b32 v1, 24, v1 :: v_dual_bitop2_b32 v3, 3, v3 bitop3:0x40
	v_cndmask_b32_e32 v14, v17, v14, vcc_lo
	s_delay_alu instid0(VALU_DEP_2) | instskip(NEXT) | instid1(VALU_DEP_3)
	v_cndmask_b32_e32 v3, v5, v3, vcc_lo
	v_and_b32_e32 v1, 0x80000000, v1
	s_delay_alu instid0(VALU_DEP_3) | instskip(NEXT) | instid1(VALU_DEP_3)
	v_lshl_add_u32 v5, v14, 23, 0x37800000
	v_lshlrev_b32_e32 v3, 21, v3
	s_delay_alu instid0(VALU_DEP_1) | instskip(NEXT) | instid1(VALU_DEP_1)
	v_or3_b32 v1, v1, v5, v3
	v_cvt_i32_f32_e32 v14, v1
.LBB118_2823:
	s_or_b32 exec_lo, exec_lo, s21
	s_mov_b32 s21, 0
	s_branch .LBB118_2829
.LBB118_2824:
	s_mov_b32 s21, -1
                                        ; implicit-def: $vgpr14
	s_branch .LBB118_2835
.LBB118_2825:
	s_and_not1_saveexec_b32 s22, s22
	s_cbranch_execz .LBB118_2810
.LBB118_2826:
	v_cmp_ne_u16_e32 vcc_lo, 0, v1
	s_and_not1_b32 s23, s23, exec_lo
	s_and_b32 s24, vcc_lo, exec_lo
	s_delay_alu instid0(SALU_CYCLE_1)
	s_or_b32 s23, s23, s24
	s_or_b32 exec_lo, exec_lo, s22
	v_mov_b32_e32 v14, 0
	s_and_saveexec_b32 s22, s23
	s_cbranch_execnz .LBB118_2811
	s_branch .LBB118_2812
.LBB118_2827:
	s_mov_b32 s21, -1
                                        ; implicit-def: $vgpr14
	s_branch .LBB118_2832
.LBB118_2828:
	s_mov_b32 s21, -1
                                        ; implicit-def: $vgpr14
.LBB118_2829:
	s_delay_alu instid0(SALU_CYCLE_1)
	s_and_b32 vcc_lo, exec_lo, s21
	s_cbranch_vccz .LBB118_2831
; %bb.2830:
	global_load_u8 v1, v[6:7], off
	s_wait_loadcnt 0x0
	v_lshlrev_b32_e32 v1, 24, v1
	s_delay_alu instid0(VALU_DEP_1) | instskip(NEXT) | instid1(VALU_DEP_1)
	v_and_b32_e32 v3, 0x7f000000, v1
	v_clz_i32_u32_e32 v5, v3
	v_cmp_ne_u32_e32 vcc_lo, 0, v3
	v_add_nc_u32_e32 v16, 0x1000000, v3
	s_delay_alu instid0(VALU_DEP_3) | instskip(NEXT) | instid1(VALU_DEP_1)
	v_min_u32_e32 v5, 32, v5
	v_sub_nc_u32_e64 v5, v5, 4 clamp
	s_delay_alu instid0(VALU_DEP_1) | instskip(NEXT) | instid1(VALU_DEP_1)
	v_dual_lshlrev_b32 v14, v5, v3 :: v_dual_lshlrev_b32 v5, 23, v5
	v_lshrrev_b32_e32 v14, 4, v14
	s_delay_alu instid0(VALU_DEP_1) | instskip(NEXT) | instid1(VALU_DEP_1)
	v_dual_sub_nc_u32 v5, v14, v5 :: v_dual_ashrrev_i32 v14, 8, v16
	v_add_nc_u32_e32 v5, 0x3c000000, v5
	s_delay_alu instid0(VALU_DEP_1) | instskip(NEXT) | instid1(VALU_DEP_1)
	v_and_or_b32 v5, 0x7f800000, v14, v5
	v_cndmask_b32_e32 v3, 0, v5, vcc_lo
	s_delay_alu instid0(VALU_DEP_1) | instskip(NEXT) | instid1(VALU_DEP_1)
	v_and_or_b32 v1, 0x80000000, v1, v3
	v_cvt_i32_f32_e32 v14, v1
.LBB118_2831:
	s_mov_b32 s21, 0
.LBB118_2832:
	s_delay_alu instid0(SALU_CYCLE_1)
	s_and_not1_b32 vcc_lo, exec_lo, s21
	s_cbranch_vccnz .LBB118_2834
; %bb.2833:
	global_load_u8 v1, v[6:7], off
	s_wait_loadcnt 0x0
	v_lshlrev_b32_e32 v3, 25, v1
	v_lshlrev_b16 v1, 8, v1
	s_delay_alu instid0(VALU_DEP_1) | instskip(SKIP_1) | instid1(VALU_DEP_2)
	v_and_or_b32 v14, 0x7f00, v1, 0.5
	v_bfe_i32 v1, v1, 0, 16
	v_dual_add_f32 v14, -0.5, v14 :: v_dual_lshrrev_b32 v5, 4, v3
	v_cmp_gt_u32_e32 vcc_lo, 0x8000000, v3
	s_delay_alu instid0(VALU_DEP_2) | instskip(NEXT) | instid1(VALU_DEP_1)
	v_or_b32_e32 v5, 0x70000000, v5
	v_mul_f32_e32 v5, 0x7800000, v5
	s_delay_alu instid0(VALU_DEP_1) | instskip(NEXT) | instid1(VALU_DEP_1)
	v_cndmask_b32_e32 v3, v5, v14, vcc_lo
	v_and_or_b32 v1, 0x80000000, v1, v3
	s_delay_alu instid0(VALU_DEP_1)
	v_cvt_i32_f32_e32 v14, v1
.LBB118_2834:
	s_mov_b32 s21, 0
	s_mov_b32 s22, -1
.LBB118_2835:
	s_and_not1_b32 vcc_lo, exec_lo, s21
	s_mov_b32 s21, 0
	s_cbranch_vccnz .LBB118_2846
; %bb.2836:
	s_cmp_gt_i32 s15, 14
	s_cbranch_scc0 .LBB118_2839
; %bb.2837:
	s_cmp_eq_u32 s15, 15
	s_cbranch_scc0 .LBB118_2842
; %bb.2838:
	global_load_u16 v1, v[6:7], off
	s_mov_b32 s20, 0
	s_mov_b32 s22, -1
	s_wait_loadcnt 0x0
	v_lshlrev_b32_e32 v1, 16, v1
	s_delay_alu instid0(VALU_DEP_1)
	v_cvt_i32_f32_e32 v14, v1
	s_branch .LBB118_2844
.LBB118_2839:
	s_mov_b32 s21, -1
	s_branch .LBB118_2843
.LBB118_2840:
	s_and_not1_saveexec_b32 s21, s21
	s_cbranch_execz .LBB118_2821
.LBB118_2841:
	v_cmp_ne_u16_e32 vcc_lo, 0, v1
	s_and_not1_b32 s22, s22, exec_lo
	s_and_b32 s23, vcc_lo, exec_lo
	s_delay_alu instid0(SALU_CYCLE_1)
	s_or_b32 s22, s22, s23
	s_or_b32 exec_lo, exec_lo, s21
	v_mov_b32_e32 v14, 0
	s_and_saveexec_b32 s21, s22
	s_cbranch_execnz .LBB118_2822
	s_branch .LBB118_2823
.LBB118_2842:
	s_mov_b32 s20, -1
.LBB118_2843:
                                        ; implicit-def: $vgpr14
.LBB118_2844:
	s_and_b32 vcc_lo, exec_lo, s21
	s_mov_b32 s21, 0
	s_cbranch_vccz .LBB118_2846
; %bb.2845:
	s_cmp_lg_u32 s15, 11
	s_mov_b32 s21, -1
	s_cselect_b32 s20, -1, 0
.LBB118_2846:
	s_delay_alu instid0(SALU_CYCLE_1)
	s_and_b32 vcc_lo, exec_lo, s20
	s_cbranch_vccnz .LBB118_2911
; %bb.2847:
	s_and_not1_b32 vcc_lo, exec_lo, s21
	s_cbranch_vccnz .LBB118_2849
.LBB118_2848:
	global_load_u8 v1, v[6:7], off
	s_mov_b32 s22, -1
	s_wait_loadcnt 0x0
	v_cmp_ne_u16_e32 vcc_lo, 0, v1
	v_cndmask_b32_e64 v14, 0, 1, vcc_lo
.LBB118_2849:
	s_mov_b32 s15, 0
.LBB118_2850:
	s_delay_alu instid0(SALU_CYCLE_1)
	s_and_b32 vcc_lo, exec_lo, s15
	s_cbranch_vccz .LBB118_2899
; %bb.2851:
	s_and_b32 s15, 0xffff, s17
	s_delay_alu instid0(SALU_CYCLE_1)
	s_cmp_lt_i32 s15, 5
	s_cbranch_scc1 .LBB118_2856
; %bb.2852:
	s_cmp_lt_i32 s15, 8
	s_cbranch_scc1 .LBB118_2857
; %bb.2853:
	;; [unrolled: 3-line block ×3, first 2 shown]
	s_cmp_gt_i32 s15, 9
	s_cbranch_scc0 .LBB118_2859
; %bb.2855:
	global_load_b64 v[16:17], v[6:7], off
	s_mov_b32 s20, 0
	s_wait_loadcnt 0x0
	v_cvt_i32_f64_e32 v14, v[16:17]
	s_branch .LBB118_2860
.LBB118_2856:
	s_mov_b32 s20, -1
                                        ; implicit-def: $vgpr14
	s_branch .LBB118_2878
.LBB118_2857:
	s_mov_b32 s20, -1
                                        ; implicit-def: $vgpr14
	s_branch .LBB118_2866
.LBB118_2858:
	s_mov_b32 s20, -1
                                        ; implicit-def: $vgpr14
	s_branch .LBB118_2863
.LBB118_2859:
	s_mov_b32 s20, -1
                                        ; implicit-def: $vgpr14
.LBB118_2860:
	s_delay_alu instid0(SALU_CYCLE_1)
	s_and_not1_b32 vcc_lo, exec_lo, s20
	s_cbranch_vccnz .LBB118_2862
; %bb.2861:
	global_load_b32 v1, v[6:7], off
	s_wait_loadcnt 0x0
	v_cvt_i32_f32_e32 v14, v1
.LBB118_2862:
	s_mov_b32 s20, 0
.LBB118_2863:
	s_delay_alu instid0(SALU_CYCLE_1)
	s_and_not1_b32 vcc_lo, exec_lo, s20
	s_cbranch_vccnz .LBB118_2865
; %bb.2864:
	global_load_b32 v1, v[6:7], off
	s_wait_loadcnt 0x0
	v_cvt_f32_f16_e32 v1, v1
	s_delay_alu instid0(VALU_DEP_1)
	v_cvt_i32_f32_e32 v14, v1
.LBB118_2865:
	s_mov_b32 s20, 0
.LBB118_2866:
	s_delay_alu instid0(SALU_CYCLE_1)
	s_and_not1_b32 vcc_lo, exec_lo, s20
	s_cbranch_vccnz .LBB118_2877
; %bb.2867:
	s_cmp_lt_i32 s15, 6
	s_cbranch_scc1 .LBB118_2870
; %bb.2868:
	s_cmp_gt_i32 s15, 6
	s_cbranch_scc0 .LBB118_2871
; %bb.2869:
	global_load_b64 v[16:17], v[6:7], off
	s_mov_b32 s20, 0
	s_wait_loadcnt 0x0
	v_cvt_i32_f64_e32 v14, v[16:17]
	s_branch .LBB118_2872
.LBB118_2870:
	s_mov_b32 s20, -1
                                        ; implicit-def: $vgpr14
	s_branch .LBB118_2875
.LBB118_2871:
	s_mov_b32 s20, -1
                                        ; implicit-def: $vgpr14
.LBB118_2872:
	s_delay_alu instid0(SALU_CYCLE_1)
	s_and_not1_b32 vcc_lo, exec_lo, s20
	s_cbranch_vccnz .LBB118_2874
; %bb.2873:
	global_load_b32 v1, v[6:7], off
	s_wait_loadcnt 0x0
	v_cvt_i32_f32_e32 v14, v1
.LBB118_2874:
	s_mov_b32 s20, 0
.LBB118_2875:
	s_delay_alu instid0(SALU_CYCLE_1)
	s_and_not1_b32 vcc_lo, exec_lo, s20
	s_cbranch_vccnz .LBB118_2877
; %bb.2876:
	global_load_u16 v1, v[6:7], off
	s_wait_loadcnt 0x0
	v_cvt_f32_f16_e32 v1, v1
	s_delay_alu instid0(VALU_DEP_1)
	v_cvt_i32_f32_e32 v14, v1
.LBB118_2877:
	s_mov_b32 s20, 0
.LBB118_2878:
	s_delay_alu instid0(SALU_CYCLE_1)
	s_and_not1_b32 vcc_lo, exec_lo, s20
	s_cbranch_vccnz .LBB118_2898
; %bb.2879:
	s_cmp_lt_i32 s15, 2
	s_cbranch_scc1 .LBB118_2883
; %bb.2880:
	s_cmp_lt_i32 s15, 3
	s_cbranch_scc1 .LBB118_2884
; %bb.2881:
	s_cmp_gt_i32 s15, 3
	s_cbranch_scc0 .LBB118_2885
; %bb.2882:
	s_wait_loadcnt 0x0
	global_load_b32 v14, v[6:7], off
	s_mov_b32 s20, 0
	s_branch .LBB118_2886
.LBB118_2883:
	s_mov_b32 s20, -1
                                        ; implicit-def: $vgpr14
	s_branch .LBB118_2892
.LBB118_2884:
	s_mov_b32 s20, -1
                                        ; implicit-def: $vgpr14
	s_branch .LBB118_2889
.LBB118_2885:
	s_mov_b32 s20, -1
                                        ; implicit-def: $vgpr14
.LBB118_2886:
	s_delay_alu instid0(SALU_CYCLE_1)
	s_and_not1_b32 vcc_lo, exec_lo, s20
	s_cbranch_vccnz .LBB118_2888
; %bb.2887:
	s_wait_loadcnt 0x0
	global_load_b32 v14, v[6:7], off
.LBB118_2888:
	s_mov_b32 s20, 0
.LBB118_2889:
	s_delay_alu instid0(SALU_CYCLE_1)
	s_and_not1_b32 vcc_lo, exec_lo, s20
	s_cbranch_vccnz .LBB118_2891
; %bb.2890:
	s_wait_loadcnt 0x0
	global_load_i16 v14, v[6:7], off
.LBB118_2891:
	s_mov_b32 s20, 0
.LBB118_2892:
	s_delay_alu instid0(SALU_CYCLE_1)
	s_and_not1_b32 vcc_lo, exec_lo, s20
	s_cbranch_vccnz .LBB118_2898
; %bb.2893:
	s_cmp_gt_i32 s15, 0
	s_mov_b32 s15, 0
	s_cbranch_scc0 .LBB118_2895
; %bb.2894:
	s_wait_loadcnt 0x0
	global_load_i8 v14, v[6:7], off
	s_branch .LBB118_2896
.LBB118_2895:
	s_mov_b32 s15, -1
                                        ; implicit-def: $vgpr14
.LBB118_2896:
	s_delay_alu instid0(SALU_CYCLE_1)
	s_and_not1_b32 vcc_lo, exec_lo, s15
	s_cbranch_vccnz .LBB118_2898
; %bb.2897:
	s_wait_loadcnt 0x0
	global_load_u8 v14, v[6:7], off
.LBB118_2898:
	s_mov_b32 s22, -1
.LBB118_2899:
	s_delay_alu instid0(SALU_CYCLE_1)
	s_and_not1_b32 vcc_lo, exec_lo, s22
	s_cbranch_vccnz .LBB118_3968
; %bb.2900:
	v_add_nc_u32_e32 v2, s13, v2
	s_cmp_lt_i32 s3, 11
	s_delay_alu instid0(VALU_DEP_1) | instskip(SKIP_1) | instid1(VALU_DEP_1)
	v_ashrrev_i32_e32 v3, 31, v2
	s_wait_xcnt 0x0
	v_add_nc_u64_e32 v[6:7], s[8:9], v[2:3]
	s_cbranch_scc1 .LBB118_2907
; %bb.2901:
	s_and_b32 s15, 0xffff, s3
	s_mov_b32 s21, 0
	s_cmp_gt_i32 s15, 25
	s_cbranch_scc0 .LBB118_2908
; %bb.2902:
	s_cmp_gt_i32 s15, 28
	s_cbranch_scc0 .LBB118_2909
; %bb.2903:
	;; [unrolled: 3-line block ×4, first 2 shown]
	s_cmp_eq_u32 s15, 46
	s_mov_b32 s23, 0
	s_cbranch_scc0 .LBB118_2913
; %bb.2906:
	global_load_b32 v1, v[6:7], off
	s_mov_b32 s20, 0
	s_mov_b32 s22, -1
	s_wait_loadcnt 0x0
	v_lshlrev_b32_e32 v1, 16, v1
	s_delay_alu instid0(VALU_DEP_1)
	v_cvt_i32_f32_e32 v16, v1
	s_branch .LBB118_2915
.LBB118_2907:
	s_mov_b32 s15, -1
	s_mov_b32 s22, 0
                                        ; implicit-def: $vgpr16
	s_branch .LBB118_2977
.LBB118_2908:
	s_mov_b32 s23, -1
	s_mov_b32 s22, 0
	s_mov_b32 s20, 0
                                        ; implicit-def: $vgpr16
	s_branch .LBB118_2942
.LBB118_2909:
	s_mov_b32 s23, -1
	s_mov_b32 s22, 0
	s_mov_b32 s20, 0
                                        ; implicit-def: $vgpr16
	s_branch .LBB118_2925
.LBB118_2910:
	s_mov_b32 s23, -1
	s_mov_b32 s22, 0
	s_mov_b32 s20, 0
                                        ; implicit-def: $vgpr16
	s_branch .LBB118_2920
.LBB118_2911:
	s_or_b32 s16, s16, exec_lo
	s_trap 2
	s_cbranch_execz .LBB118_2848
	s_branch .LBB118_2849
.LBB118_2912:
	s_mov_b32 s23, -1
	s_mov_b32 s22, 0
	s_mov_b32 s20, 0
	s_branch .LBB118_2914
.LBB118_2913:
	s_mov_b32 s20, -1
	s_mov_b32 s22, 0
.LBB118_2914:
                                        ; implicit-def: $vgpr16
.LBB118_2915:
	s_and_b32 vcc_lo, exec_lo, s23
	s_cbranch_vccz .LBB118_2919
; %bb.2916:
	s_cmp_eq_u32 s15, 44
	s_cbranch_scc0 .LBB118_2918
; %bb.2917:
	global_load_u8 v1, v[6:7], off
	s_mov_b32 s20, 0
	s_mov_b32 s22, -1
	s_wait_loadcnt 0x0
	v_lshlrev_b32_e32 v3, 23, v1
	v_cmp_ne_u32_e32 vcc_lo, 0, v1
	s_delay_alu instid0(VALU_DEP_2) | instskip(NEXT) | instid1(VALU_DEP_1)
	v_cvt_i32_f32_e32 v3, v3
	v_cndmask_b32_e32 v16, 0, v3, vcc_lo
	s_branch .LBB118_2919
.LBB118_2918:
	s_mov_b32 s20, -1
                                        ; implicit-def: $vgpr16
.LBB118_2919:
	s_mov_b32 s23, 0
.LBB118_2920:
	s_delay_alu instid0(SALU_CYCLE_1)
	s_and_b32 vcc_lo, exec_lo, s23
	s_cbranch_vccz .LBB118_2924
; %bb.2921:
	s_cmp_eq_u32 s15, 29
	s_cbranch_scc0 .LBB118_2923
; %bb.2922:
	global_load_b32 v16, v[6:7], off
	s_mov_b32 s20, 0
	s_mov_b32 s22, -1
	s_branch .LBB118_2924
.LBB118_2923:
	s_mov_b32 s20, -1
                                        ; implicit-def: $vgpr16
.LBB118_2924:
	s_mov_b32 s23, 0
.LBB118_2925:
	s_delay_alu instid0(SALU_CYCLE_1)
	s_and_b32 vcc_lo, exec_lo, s23
	s_cbranch_vccz .LBB118_2941
; %bb.2926:
	s_cmp_lt_i32 s15, 27
	s_cbranch_scc1 .LBB118_2929
; %bb.2927:
	s_cmp_gt_i32 s15, 27
	s_cbranch_scc0 .LBB118_2930
; %bb.2928:
	s_wait_loadcnt 0x0
	global_load_b32 v16, v[6:7], off
	s_mov_b32 s22, 0
	s_branch .LBB118_2931
.LBB118_2929:
	s_mov_b32 s22, -1
                                        ; implicit-def: $vgpr16
	s_branch .LBB118_2934
.LBB118_2930:
	s_mov_b32 s22, -1
                                        ; implicit-def: $vgpr16
.LBB118_2931:
	s_delay_alu instid0(SALU_CYCLE_1)
	s_and_not1_b32 vcc_lo, exec_lo, s22
	s_cbranch_vccnz .LBB118_2933
; %bb.2932:
	s_wait_loadcnt 0x0
	global_load_u16 v16, v[6:7], off
.LBB118_2933:
	s_mov_b32 s22, 0
.LBB118_2934:
	s_delay_alu instid0(SALU_CYCLE_1)
	s_and_not1_b32 vcc_lo, exec_lo, s22
	s_cbranch_vccnz .LBB118_2940
; %bb.2935:
	global_load_u8 v1, v[6:7], off
	s_mov_b32 s23, 0
	s_mov_b32 s22, exec_lo
	s_wait_loadcnt 0x0
	v_cmpx_lt_i16_e32 0x7f, v1
	s_xor_b32 s22, exec_lo, s22
	s_cbranch_execz .LBB118_2952
; %bb.2936:
	v_cmp_ne_u16_e32 vcc_lo, 0x80, v1
	s_and_b32 s23, vcc_lo, exec_lo
	s_and_not1_saveexec_b32 s22, s22
	s_cbranch_execnz .LBB118_2953
.LBB118_2937:
	s_or_b32 exec_lo, exec_lo, s22
	v_mov_b32_e32 v16, 0
	s_and_saveexec_b32 s22, s23
	s_cbranch_execz .LBB118_2939
.LBB118_2938:
	v_and_b32_e32 v3, 0xffff, v1
	s_delay_alu instid0(VALU_DEP_1) | instskip(SKIP_1) | instid1(VALU_DEP_2)
	v_and_b32_e32 v5, 7, v3
	v_bfe_u32 v18, v3, 3, 4
	v_clz_i32_u32_e32 v16, v5
	s_delay_alu instid0(VALU_DEP_2) | instskip(NEXT) | instid1(VALU_DEP_2)
	v_cmp_eq_u32_e32 vcc_lo, 0, v18
	v_min_u32_e32 v16, 32, v16
	s_delay_alu instid0(VALU_DEP_1) | instskip(NEXT) | instid1(VALU_DEP_1)
	v_subrev_nc_u32_e32 v17, 28, v16
	v_dual_lshlrev_b32 v3, v17, v3 :: v_dual_sub_nc_u32 v16, 29, v16
	s_delay_alu instid0(VALU_DEP_1) | instskip(NEXT) | instid1(VALU_DEP_1)
	v_dual_lshlrev_b32 v1, 24, v1 :: v_dual_bitop2_b32 v3, 7, v3 bitop3:0x40
	v_dual_cndmask_b32 v16, v18, v16 :: v_dual_cndmask_b32 v3, v5, v3
	s_delay_alu instid0(VALU_DEP_2) | instskip(NEXT) | instid1(VALU_DEP_2)
	v_and_b32_e32 v1, 0x80000000, v1
	v_lshl_add_u32 v5, v16, 23, 0x3b800000
	s_delay_alu instid0(VALU_DEP_3) | instskip(NEXT) | instid1(VALU_DEP_1)
	v_lshlrev_b32_e32 v3, 20, v3
	v_or3_b32 v1, v1, v5, v3
	s_delay_alu instid0(VALU_DEP_1)
	v_cvt_i32_f32_e32 v16, v1
.LBB118_2939:
	s_or_b32 exec_lo, exec_lo, s22
.LBB118_2940:
	s_mov_b32 s22, -1
.LBB118_2941:
	s_mov_b32 s23, 0
.LBB118_2942:
	s_delay_alu instid0(SALU_CYCLE_1)
	s_and_b32 vcc_lo, exec_lo, s23
	s_cbranch_vccz .LBB118_2973
; %bb.2943:
	s_cmp_gt_i32 s15, 22
	s_cbranch_scc0 .LBB118_2951
; %bb.2944:
	s_cmp_lt_i32 s15, 24
	s_cbranch_scc1 .LBB118_2954
; %bb.2945:
	s_cmp_gt_i32 s15, 24
	s_cbranch_scc0 .LBB118_2955
; %bb.2946:
	global_load_u8 v1, v[6:7], off
	s_mov_b32 s22, 0
	s_mov_b32 s21, exec_lo
	s_wait_loadcnt 0x0
	v_cmpx_lt_i16_e32 0x7f, v1
	s_xor_b32 s21, exec_lo, s21
	s_cbranch_execz .LBB118_2967
; %bb.2947:
	v_cmp_ne_u16_e32 vcc_lo, 0x80, v1
	s_and_b32 s22, vcc_lo, exec_lo
	s_and_not1_saveexec_b32 s21, s21
	s_cbranch_execnz .LBB118_2968
.LBB118_2948:
	s_or_b32 exec_lo, exec_lo, s21
	v_mov_b32_e32 v16, 0
	s_and_saveexec_b32 s21, s22
	s_cbranch_execz .LBB118_2950
.LBB118_2949:
	v_and_b32_e32 v3, 0xffff, v1
	s_delay_alu instid0(VALU_DEP_1) | instskip(SKIP_1) | instid1(VALU_DEP_2)
	v_and_b32_e32 v5, 3, v3
	v_bfe_u32 v18, v3, 2, 5
	v_clz_i32_u32_e32 v16, v5
	s_delay_alu instid0(VALU_DEP_2) | instskip(NEXT) | instid1(VALU_DEP_2)
	v_cmp_eq_u32_e32 vcc_lo, 0, v18
	v_min_u32_e32 v16, 32, v16
	s_delay_alu instid0(VALU_DEP_1) | instskip(NEXT) | instid1(VALU_DEP_1)
	v_subrev_nc_u32_e32 v17, 29, v16
	v_dual_lshlrev_b32 v3, v17, v3 :: v_dual_sub_nc_u32 v16, 30, v16
	s_delay_alu instid0(VALU_DEP_1) | instskip(NEXT) | instid1(VALU_DEP_1)
	v_dual_lshlrev_b32 v1, 24, v1 :: v_dual_bitop2_b32 v3, 3, v3 bitop3:0x40
	v_dual_cndmask_b32 v16, v18, v16 :: v_dual_cndmask_b32 v3, v5, v3
	s_delay_alu instid0(VALU_DEP_2) | instskip(NEXT) | instid1(VALU_DEP_2)
	v_and_b32_e32 v1, 0x80000000, v1
	v_lshl_add_u32 v5, v16, 23, 0x37800000
	s_delay_alu instid0(VALU_DEP_3) | instskip(NEXT) | instid1(VALU_DEP_1)
	v_lshlrev_b32_e32 v3, 21, v3
	v_or3_b32 v1, v1, v5, v3
	s_delay_alu instid0(VALU_DEP_1)
	v_cvt_i32_f32_e32 v16, v1
.LBB118_2950:
	s_or_b32 exec_lo, exec_lo, s21
	s_mov_b32 s21, 0
	s_branch .LBB118_2956
.LBB118_2951:
	s_mov_b32 s21, -1
                                        ; implicit-def: $vgpr16
	s_branch .LBB118_2962
.LBB118_2952:
	s_and_not1_saveexec_b32 s22, s22
	s_cbranch_execz .LBB118_2937
.LBB118_2953:
	v_cmp_ne_u16_e32 vcc_lo, 0, v1
	s_and_not1_b32 s23, s23, exec_lo
	s_and_b32 s24, vcc_lo, exec_lo
	s_delay_alu instid0(SALU_CYCLE_1)
	s_or_b32 s23, s23, s24
	s_or_b32 exec_lo, exec_lo, s22
	v_mov_b32_e32 v16, 0
	s_and_saveexec_b32 s22, s23
	s_cbranch_execnz .LBB118_2938
	s_branch .LBB118_2939
.LBB118_2954:
	s_mov_b32 s21, -1
                                        ; implicit-def: $vgpr16
	s_branch .LBB118_2959
.LBB118_2955:
	s_mov_b32 s21, -1
                                        ; implicit-def: $vgpr16
.LBB118_2956:
	s_delay_alu instid0(SALU_CYCLE_1)
	s_and_b32 vcc_lo, exec_lo, s21
	s_cbranch_vccz .LBB118_2958
; %bb.2957:
	global_load_u8 v1, v[6:7], off
	s_wait_loadcnt 0x0
	v_lshlrev_b32_e32 v1, 24, v1
	s_delay_alu instid0(VALU_DEP_1) | instskip(NEXT) | instid1(VALU_DEP_1)
	v_and_b32_e32 v3, 0x7f000000, v1
	v_clz_i32_u32_e32 v5, v3
	v_add_nc_u32_e32 v17, 0x1000000, v3
	v_cmp_ne_u32_e32 vcc_lo, 0, v3
	s_delay_alu instid0(VALU_DEP_3) | instskip(NEXT) | instid1(VALU_DEP_1)
	v_min_u32_e32 v5, 32, v5
	v_sub_nc_u32_e64 v5, v5, 4 clamp
	s_delay_alu instid0(VALU_DEP_1) | instskip(NEXT) | instid1(VALU_DEP_1)
	v_dual_lshlrev_b32 v16, v5, v3 :: v_dual_lshlrev_b32 v5, 23, v5
	v_lshrrev_b32_e32 v16, 4, v16
	s_delay_alu instid0(VALU_DEP_1) | instskip(SKIP_1) | instid1(VALU_DEP_2)
	v_sub_nc_u32_e32 v5, v16, v5
	v_ashrrev_i32_e32 v16, 8, v17
	v_add_nc_u32_e32 v5, 0x3c000000, v5
	s_delay_alu instid0(VALU_DEP_1) | instskip(NEXT) | instid1(VALU_DEP_1)
	v_and_or_b32 v5, 0x7f800000, v16, v5
	v_cndmask_b32_e32 v3, 0, v5, vcc_lo
	s_delay_alu instid0(VALU_DEP_1) | instskip(NEXT) | instid1(VALU_DEP_1)
	v_and_or_b32 v1, 0x80000000, v1, v3
	v_cvt_i32_f32_e32 v16, v1
.LBB118_2958:
	s_mov_b32 s21, 0
.LBB118_2959:
	s_delay_alu instid0(SALU_CYCLE_1)
	s_and_not1_b32 vcc_lo, exec_lo, s21
	s_cbranch_vccnz .LBB118_2961
; %bb.2960:
	global_load_u8 v1, v[6:7], off
	s_wait_loadcnt 0x0
	v_lshlrev_b32_e32 v3, 25, v1
	v_lshlrev_b16 v1, 8, v1
	s_delay_alu instid0(VALU_DEP_1) | instskip(SKIP_1) | instid1(VALU_DEP_2)
	v_and_or_b32 v16, 0x7f00, v1, 0.5
	v_bfe_i32 v1, v1, 0, 16
	v_dual_add_f32 v16, -0.5, v16 :: v_dual_lshrrev_b32 v5, 4, v3
	v_cmp_gt_u32_e32 vcc_lo, 0x8000000, v3
	s_delay_alu instid0(VALU_DEP_2) | instskip(NEXT) | instid1(VALU_DEP_1)
	v_or_b32_e32 v5, 0x70000000, v5
	v_mul_f32_e32 v5, 0x7800000, v5
	s_delay_alu instid0(VALU_DEP_1) | instskip(NEXT) | instid1(VALU_DEP_1)
	v_cndmask_b32_e32 v3, v5, v16, vcc_lo
	v_and_or_b32 v1, 0x80000000, v1, v3
	s_delay_alu instid0(VALU_DEP_1)
	v_cvt_i32_f32_e32 v16, v1
.LBB118_2961:
	s_mov_b32 s21, 0
	s_mov_b32 s22, -1
.LBB118_2962:
	s_and_not1_b32 vcc_lo, exec_lo, s21
	s_mov_b32 s21, 0
	s_cbranch_vccnz .LBB118_2973
; %bb.2963:
	s_cmp_gt_i32 s15, 14
	s_cbranch_scc0 .LBB118_2966
; %bb.2964:
	s_cmp_eq_u32 s15, 15
	s_cbranch_scc0 .LBB118_2969
; %bb.2965:
	global_load_u16 v1, v[6:7], off
	s_mov_b32 s20, 0
	s_mov_b32 s22, -1
	s_wait_loadcnt 0x0
	v_lshlrev_b32_e32 v1, 16, v1
	s_delay_alu instid0(VALU_DEP_1)
	v_cvt_i32_f32_e32 v16, v1
	s_branch .LBB118_2971
.LBB118_2966:
	s_mov_b32 s21, -1
	s_branch .LBB118_2970
.LBB118_2967:
	s_and_not1_saveexec_b32 s21, s21
	s_cbranch_execz .LBB118_2948
.LBB118_2968:
	v_cmp_ne_u16_e32 vcc_lo, 0, v1
	s_and_not1_b32 s22, s22, exec_lo
	s_and_b32 s23, vcc_lo, exec_lo
	s_delay_alu instid0(SALU_CYCLE_1)
	s_or_b32 s22, s22, s23
	s_or_b32 exec_lo, exec_lo, s21
	v_mov_b32_e32 v16, 0
	s_and_saveexec_b32 s21, s22
	s_cbranch_execnz .LBB118_2949
	s_branch .LBB118_2950
.LBB118_2969:
	s_mov_b32 s20, -1
.LBB118_2970:
                                        ; implicit-def: $vgpr16
.LBB118_2971:
	s_and_b32 vcc_lo, exec_lo, s21
	s_mov_b32 s21, 0
	s_cbranch_vccz .LBB118_2973
; %bb.2972:
	s_cmp_lg_u32 s15, 11
	s_mov_b32 s21, -1
	s_cselect_b32 s20, -1, 0
.LBB118_2973:
	s_delay_alu instid0(SALU_CYCLE_1)
	s_and_b32 vcc_lo, exec_lo, s20
	s_cbranch_vccnz .LBB118_3038
; %bb.2974:
	s_and_not1_b32 vcc_lo, exec_lo, s21
	s_cbranch_vccnz .LBB118_2976
.LBB118_2975:
	global_load_u8 v1, v[6:7], off
	s_mov_b32 s22, -1
	s_wait_loadcnt 0x0
	v_cmp_ne_u16_e32 vcc_lo, 0, v1
	v_cndmask_b32_e64 v16, 0, 1, vcc_lo
.LBB118_2976:
	s_mov_b32 s15, 0
.LBB118_2977:
	s_delay_alu instid0(SALU_CYCLE_1)
	s_and_b32 vcc_lo, exec_lo, s15
	s_cbranch_vccz .LBB118_3026
; %bb.2978:
	s_and_b32 s15, 0xffff, s3
	s_delay_alu instid0(SALU_CYCLE_1)
	s_cmp_lt_i32 s15, 5
	s_cbranch_scc1 .LBB118_2983
; %bb.2979:
	s_cmp_lt_i32 s15, 8
	s_cbranch_scc1 .LBB118_2984
; %bb.2980:
	;; [unrolled: 3-line block ×3, first 2 shown]
	s_cmp_gt_i32 s15, 9
	s_cbranch_scc0 .LBB118_2986
; %bb.2982:
	s_wait_loadcnt 0x0
	global_load_b64 v[16:17], v[6:7], off
	s_mov_b32 s20, 0
	s_wait_loadcnt 0x0
	v_cvt_i32_f64_e32 v16, v[16:17]
	s_branch .LBB118_2987
.LBB118_2983:
	s_mov_b32 s20, -1
                                        ; implicit-def: $vgpr16
	s_branch .LBB118_3005
.LBB118_2984:
	s_mov_b32 s20, -1
                                        ; implicit-def: $vgpr16
	s_branch .LBB118_2993
.LBB118_2985:
	s_mov_b32 s20, -1
                                        ; implicit-def: $vgpr16
	s_branch .LBB118_2990
.LBB118_2986:
	s_mov_b32 s20, -1
                                        ; implicit-def: $vgpr16
.LBB118_2987:
	s_delay_alu instid0(SALU_CYCLE_1)
	s_and_not1_b32 vcc_lo, exec_lo, s20
	s_cbranch_vccnz .LBB118_2989
; %bb.2988:
	global_load_b32 v1, v[6:7], off
	s_wait_loadcnt 0x0
	v_cvt_i32_f32_e32 v16, v1
.LBB118_2989:
	s_mov_b32 s20, 0
.LBB118_2990:
	s_delay_alu instid0(SALU_CYCLE_1)
	s_and_not1_b32 vcc_lo, exec_lo, s20
	s_cbranch_vccnz .LBB118_2992
; %bb.2991:
	global_load_b32 v1, v[6:7], off
	s_wait_loadcnt 0x0
	v_cvt_f32_f16_e32 v1, v1
	s_delay_alu instid0(VALU_DEP_1)
	v_cvt_i32_f32_e32 v16, v1
.LBB118_2992:
	s_mov_b32 s20, 0
.LBB118_2993:
	s_delay_alu instid0(SALU_CYCLE_1)
	s_and_not1_b32 vcc_lo, exec_lo, s20
	s_cbranch_vccnz .LBB118_3004
; %bb.2994:
	s_cmp_lt_i32 s15, 6
	s_cbranch_scc1 .LBB118_2997
; %bb.2995:
	s_cmp_gt_i32 s15, 6
	s_cbranch_scc0 .LBB118_2998
; %bb.2996:
	s_wait_loadcnt 0x0
	global_load_b64 v[16:17], v[6:7], off
	s_mov_b32 s20, 0
	s_wait_loadcnt 0x0
	v_cvt_i32_f64_e32 v16, v[16:17]
	s_branch .LBB118_2999
.LBB118_2997:
	s_mov_b32 s20, -1
                                        ; implicit-def: $vgpr16
	s_branch .LBB118_3002
.LBB118_2998:
	s_mov_b32 s20, -1
                                        ; implicit-def: $vgpr16
.LBB118_2999:
	s_delay_alu instid0(SALU_CYCLE_1)
	s_and_not1_b32 vcc_lo, exec_lo, s20
	s_cbranch_vccnz .LBB118_3001
; %bb.3000:
	global_load_b32 v1, v[6:7], off
	s_wait_loadcnt 0x0
	v_cvt_i32_f32_e32 v16, v1
.LBB118_3001:
	s_mov_b32 s20, 0
.LBB118_3002:
	s_delay_alu instid0(SALU_CYCLE_1)
	s_and_not1_b32 vcc_lo, exec_lo, s20
	s_cbranch_vccnz .LBB118_3004
; %bb.3003:
	global_load_u16 v1, v[6:7], off
	s_wait_loadcnt 0x0
	v_cvt_f32_f16_e32 v1, v1
	s_delay_alu instid0(VALU_DEP_1)
	v_cvt_i32_f32_e32 v16, v1
.LBB118_3004:
	s_mov_b32 s20, 0
.LBB118_3005:
	s_delay_alu instid0(SALU_CYCLE_1)
	s_and_not1_b32 vcc_lo, exec_lo, s20
	s_cbranch_vccnz .LBB118_3025
; %bb.3006:
	s_cmp_lt_i32 s15, 2
	s_cbranch_scc1 .LBB118_3010
; %bb.3007:
	s_cmp_lt_i32 s15, 3
	s_cbranch_scc1 .LBB118_3011
; %bb.3008:
	s_cmp_gt_i32 s15, 3
	s_cbranch_scc0 .LBB118_3012
; %bb.3009:
	s_wait_loadcnt 0x0
	global_load_b32 v16, v[6:7], off
	s_mov_b32 s20, 0
	s_branch .LBB118_3013
.LBB118_3010:
	s_mov_b32 s20, -1
                                        ; implicit-def: $vgpr16
	s_branch .LBB118_3019
.LBB118_3011:
	s_mov_b32 s20, -1
                                        ; implicit-def: $vgpr16
	s_branch .LBB118_3016
.LBB118_3012:
	s_mov_b32 s20, -1
                                        ; implicit-def: $vgpr16
.LBB118_3013:
	s_delay_alu instid0(SALU_CYCLE_1)
	s_and_not1_b32 vcc_lo, exec_lo, s20
	s_cbranch_vccnz .LBB118_3015
; %bb.3014:
	s_wait_loadcnt 0x0
	global_load_b32 v16, v[6:7], off
.LBB118_3015:
	s_mov_b32 s20, 0
.LBB118_3016:
	s_delay_alu instid0(SALU_CYCLE_1)
	s_and_not1_b32 vcc_lo, exec_lo, s20
	s_cbranch_vccnz .LBB118_3018
; %bb.3017:
	s_wait_loadcnt 0x0
	global_load_i16 v16, v[6:7], off
.LBB118_3018:
	s_mov_b32 s20, 0
.LBB118_3019:
	s_delay_alu instid0(SALU_CYCLE_1)
	s_and_not1_b32 vcc_lo, exec_lo, s20
	s_cbranch_vccnz .LBB118_3025
; %bb.3020:
	s_cmp_gt_i32 s15, 0
	s_mov_b32 s15, 0
	s_cbranch_scc0 .LBB118_3022
; %bb.3021:
	s_wait_loadcnt 0x0
	global_load_i8 v16, v[6:7], off
	s_branch .LBB118_3023
.LBB118_3022:
	s_mov_b32 s15, -1
                                        ; implicit-def: $vgpr16
.LBB118_3023:
	s_delay_alu instid0(SALU_CYCLE_1)
	s_and_not1_b32 vcc_lo, exec_lo, s15
	s_cbranch_vccnz .LBB118_3025
; %bb.3024:
	s_wait_loadcnt 0x0
	global_load_u8 v16, v[6:7], off
.LBB118_3025:
	s_mov_b32 s22, -1
.LBB118_3026:
	s_delay_alu instid0(SALU_CYCLE_1)
	s_and_not1_b32 vcc_lo, exec_lo, s22
	s_cbranch_vccnz .LBB118_3968
; %bb.3027:
	v_add_nc_u32_e32 v4, s14, v4
	s_cmp_lt_i32 s0, 11
	s_delay_alu instid0(VALU_DEP_1) | instskip(SKIP_1) | instid1(VALU_DEP_1)
	v_ashrrev_i32_e32 v5, 31, v4
	s_wait_xcnt 0x0
	v_add_nc_u64_e32 v[6:7], s[10:11], v[4:5]
	s_cbranch_scc1 .LBB118_3034
; %bb.3028:
	s_cmp_gt_i32 s0, 25
	s_mov_b32 s20, 0
	s_cbranch_scc0 .LBB118_3035
; %bb.3029:
	s_cmp_gt_i32 s0, 28
	s_cbranch_scc0 .LBB118_3036
; %bb.3030:
	s_cmp_gt_i32 s0, 43
	;; [unrolled: 3-line block ×3, first 2 shown]
	s_cbranch_scc0 .LBB118_3039
; %bb.3032:
	s_cmp_eq_u32 s0, 46
	s_mov_b32 s22, 0
	s_cbranch_scc0 .LBB118_3040
; %bb.3033:
	global_load_b32 v1, v[6:7], off
	s_mov_b32 s15, 0
	s_mov_b32 s21, -1
	s_wait_loadcnt 0x0
	v_lshlrev_b32_e32 v1, 16, v1
	s_delay_alu instid0(VALU_DEP_1)
	v_cvt_i32_f32_e32 v17, v1
	s_branch .LBB118_3042
.LBB118_3034:
	s_mov_b32 s15, -1
	s_mov_b32 s21, 0
                                        ; implicit-def: $vgpr17
	s_branch .LBB118_3104
.LBB118_3035:
	s_mov_b32 s22, -1
	s_mov_b32 s21, 0
	s_mov_b32 s15, 0
                                        ; implicit-def: $vgpr17
	s_branch .LBB118_3069
.LBB118_3036:
	s_mov_b32 s22, -1
	s_mov_b32 s21, 0
	s_mov_b32 s15, 0
                                        ; implicit-def: $vgpr17
	s_branch .LBB118_3052
.LBB118_3037:
	s_mov_b32 s22, -1
	s_mov_b32 s21, 0
	s_mov_b32 s15, 0
                                        ; implicit-def: $vgpr17
	s_branch .LBB118_3047
.LBB118_3038:
	s_or_b32 s16, s16, exec_lo
	s_trap 2
	s_cbranch_execz .LBB118_2975
	s_branch .LBB118_2976
.LBB118_3039:
	s_mov_b32 s22, -1
	s_mov_b32 s21, 0
	s_mov_b32 s15, 0
	s_branch .LBB118_3041
.LBB118_3040:
	s_mov_b32 s15, -1
	s_mov_b32 s21, 0
.LBB118_3041:
                                        ; implicit-def: $vgpr17
.LBB118_3042:
	s_and_b32 vcc_lo, exec_lo, s22
	s_cbranch_vccz .LBB118_3046
; %bb.3043:
	s_cmp_eq_u32 s0, 44
	s_cbranch_scc0 .LBB118_3045
; %bb.3044:
	global_load_u8 v1, v[6:7], off
	s_mov_b32 s15, 0
	s_mov_b32 s21, -1
	s_wait_loadcnt 0x0
	v_lshlrev_b32_e32 v3, 23, v1
	v_cmp_ne_u32_e32 vcc_lo, 0, v1
	s_delay_alu instid0(VALU_DEP_2) | instskip(NEXT) | instid1(VALU_DEP_1)
	v_cvt_i32_f32_e32 v3, v3
	v_cndmask_b32_e32 v17, 0, v3, vcc_lo
	s_branch .LBB118_3046
.LBB118_3045:
	s_mov_b32 s15, -1
                                        ; implicit-def: $vgpr17
.LBB118_3046:
	s_mov_b32 s22, 0
.LBB118_3047:
	s_delay_alu instid0(SALU_CYCLE_1)
	s_and_b32 vcc_lo, exec_lo, s22
	s_cbranch_vccz .LBB118_3051
; %bb.3048:
	s_cmp_eq_u32 s0, 29
	s_cbranch_scc0 .LBB118_3050
; %bb.3049:
	global_load_b32 v17, v[6:7], off
	s_mov_b32 s15, 0
	s_mov_b32 s21, -1
	s_branch .LBB118_3051
.LBB118_3050:
	s_mov_b32 s15, -1
                                        ; implicit-def: $vgpr17
.LBB118_3051:
	s_mov_b32 s22, 0
.LBB118_3052:
	s_delay_alu instid0(SALU_CYCLE_1)
	s_and_b32 vcc_lo, exec_lo, s22
	s_cbranch_vccz .LBB118_3068
; %bb.3053:
	s_cmp_lt_i32 s0, 27
	s_cbranch_scc1 .LBB118_3056
; %bb.3054:
	s_cmp_gt_i32 s0, 27
	s_cbranch_scc0 .LBB118_3057
; %bb.3055:
	s_wait_loadcnt 0x0
	global_load_b32 v17, v[6:7], off
	s_mov_b32 s21, 0
	s_branch .LBB118_3058
.LBB118_3056:
	s_mov_b32 s21, -1
                                        ; implicit-def: $vgpr17
	s_branch .LBB118_3061
.LBB118_3057:
	s_mov_b32 s21, -1
                                        ; implicit-def: $vgpr17
.LBB118_3058:
	s_delay_alu instid0(SALU_CYCLE_1)
	s_and_not1_b32 vcc_lo, exec_lo, s21
	s_cbranch_vccnz .LBB118_3060
; %bb.3059:
	s_wait_loadcnt 0x0
	global_load_u16 v17, v[6:7], off
.LBB118_3060:
	s_mov_b32 s21, 0
.LBB118_3061:
	s_delay_alu instid0(SALU_CYCLE_1)
	s_and_not1_b32 vcc_lo, exec_lo, s21
	s_cbranch_vccnz .LBB118_3067
; %bb.3062:
	global_load_u8 v1, v[6:7], off
	s_mov_b32 s22, 0
	s_mov_b32 s21, exec_lo
	s_wait_loadcnt 0x0
	v_cmpx_lt_i16_e32 0x7f, v1
	s_xor_b32 s21, exec_lo, s21
	s_cbranch_execz .LBB118_3079
; %bb.3063:
	v_cmp_ne_u16_e32 vcc_lo, 0x80, v1
	s_and_b32 s22, vcc_lo, exec_lo
	s_and_not1_saveexec_b32 s21, s21
	s_cbranch_execnz .LBB118_3080
.LBB118_3064:
	s_or_b32 exec_lo, exec_lo, s21
	v_mov_b32_e32 v17, 0
	s_and_saveexec_b32 s21, s22
	s_cbranch_execz .LBB118_3066
.LBB118_3065:
	v_and_b32_e32 v3, 0xffff, v1
	s_delay_alu instid0(VALU_DEP_1) | instskip(SKIP_1) | instid1(VALU_DEP_2)
	v_and_b32_e32 v5, 7, v3
	v_bfe_u32 v19, v3, 3, 4
	v_clz_i32_u32_e32 v17, v5
	s_delay_alu instid0(VALU_DEP_2) | instskip(NEXT) | instid1(VALU_DEP_2)
	v_cmp_eq_u32_e32 vcc_lo, 0, v19
	v_min_u32_e32 v17, 32, v17
	s_delay_alu instid0(VALU_DEP_1) | instskip(NEXT) | instid1(VALU_DEP_1)
	v_subrev_nc_u32_e32 v18, 28, v17
	v_dual_lshlrev_b32 v3, v18, v3 :: v_dual_sub_nc_u32 v17, 29, v17
	s_delay_alu instid0(VALU_DEP_1) | instskip(NEXT) | instid1(VALU_DEP_1)
	v_dual_lshlrev_b32 v1, 24, v1 :: v_dual_bitop2_b32 v3, 7, v3 bitop3:0x40
	v_dual_cndmask_b32 v3, v5, v3, vcc_lo :: v_dual_cndmask_b32 v17, v19, v17, vcc_lo
	s_delay_alu instid0(VALU_DEP_2) | instskip(NEXT) | instid1(VALU_DEP_2)
	v_and_b32_e32 v1, 0x80000000, v1
	v_lshlrev_b32_e32 v3, 20, v3
	s_delay_alu instid0(VALU_DEP_3) | instskip(NEXT) | instid1(VALU_DEP_1)
	v_lshl_add_u32 v5, v17, 23, 0x3b800000
	v_or3_b32 v1, v1, v5, v3
	s_delay_alu instid0(VALU_DEP_1)
	v_cvt_i32_f32_e32 v17, v1
.LBB118_3066:
	s_or_b32 exec_lo, exec_lo, s21
.LBB118_3067:
	s_mov_b32 s21, -1
.LBB118_3068:
	s_mov_b32 s22, 0
.LBB118_3069:
	s_delay_alu instid0(SALU_CYCLE_1)
	s_and_b32 vcc_lo, exec_lo, s22
	s_cbranch_vccz .LBB118_3100
; %bb.3070:
	s_cmp_gt_i32 s0, 22
	s_cbranch_scc0 .LBB118_3078
; %bb.3071:
	s_cmp_lt_i32 s0, 24
	s_cbranch_scc1 .LBB118_3081
; %bb.3072:
	s_cmp_gt_i32 s0, 24
	s_cbranch_scc0 .LBB118_3082
; %bb.3073:
	global_load_u8 v1, v[6:7], off
	s_mov_b32 s21, 0
	s_mov_b32 s20, exec_lo
	s_wait_loadcnt 0x0
	v_cmpx_lt_i16_e32 0x7f, v1
	s_xor_b32 s20, exec_lo, s20
	s_cbranch_execz .LBB118_3094
; %bb.3074:
	v_cmp_ne_u16_e32 vcc_lo, 0x80, v1
	s_and_b32 s21, vcc_lo, exec_lo
	s_and_not1_saveexec_b32 s20, s20
	s_cbranch_execnz .LBB118_3095
.LBB118_3075:
	s_or_b32 exec_lo, exec_lo, s20
	v_mov_b32_e32 v17, 0
	s_and_saveexec_b32 s20, s21
	s_cbranch_execz .LBB118_3077
.LBB118_3076:
	v_and_b32_e32 v3, 0xffff, v1
	s_delay_alu instid0(VALU_DEP_1) | instskip(SKIP_1) | instid1(VALU_DEP_2)
	v_and_b32_e32 v5, 3, v3
	v_bfe_u32 v19, v3, 2, 5
	v_clz_i32_u32_e32 v17, v5
	s_delay_alu instid0(VALU_DEP_2) | instskip(NEXT) | instid1(VALU_DEP_2)
	v_cmp_eq_u32_e32 vcc_lo, 0, v19
	v_min_u32_e32 v17, 32, v17
	s_delay_alu instid0(VALU_DEP_1) | instskip(NEXT) | instid1(VALU_DEP_1)
	v_subrev_nc_u32_e32 v18, 29, v17
	v_dual_lshlrev_b32 v3, v18, v3 :: v_dual_sub_nc_u32 v17, 30, v17
	s_delay_alu instid0(VALU_DEP_1) | instskip(NEXT) | instid1(VALU_DEP_1)
	v_dual_lshlrev_b32 v1, 24, v1 :: v_dual_bitop2_b32 v3, 3, v3 bitop3:0x40
	v_dual_cndmask_b32 v3, v5, v3, vcc_lo :: v_dual_cndmask_b32 v17, v19, v17, vcc_lo
	s_delay_alu instid0(VALU_DEP_2) | instskip(NEXT) | instid1(VALU_DEP_2)
	v_and_b32_e32 v1, 0x80000000, v1
	v_lshlrev_b32_e32 v3, 21, v3
	s_delay_alu instid0(VALU_DEP_3) | instskip(NEXT) | instid1(VALU_DEP_1)
	v_lshl_add_u32 v5, v17, 23, 0x37800000
	v_or3_b32 v1, v1, v5, v3
	s_delay_alu instid0(VALU_DEP_1)
	v_cvt_i32_f32_e32 v17, v1
.LBB118_3077:
	s_or_b32 exec_lo, exec_lo, s20
	s_mov_b32 s20, 0
	s_branch .LBB118_3083
.LBB118_3078:
	s_mov_b32 s20, -1
                                        ; implicit-def: $vgpr17
	s_branch .LBB118_3089
.LBB118_3079:
	s_and_not1_saveexec_b32 s21, s21
	s_cbranch_execz .LBB118_3064
.LBB118_3080:
	v_cmp_ne_u16_e32 vcc_lo, 0, v1
	s_and_not1_b32 s22, s22, exec_lo
	s_and_b32 s23, vcc_lo, exec_lo
	s_delay_alu instid0(SALU_CYCLE_1)
	s_or_b32 s22, s22, s23
	s_or_b32 exec_lo, exec_lo, s21
	v_mov_b32_e32 v17, 0
	s_and_saveexec_b32 s21, s22
	s_cbranch_execnz .LBB118_3065
	s_branch .LBB118_3066
.LBB118_3081:
	s_mov_b32 s20, -1
                                        ; implicit-def: $vgpr17
	s_branch .LBB118_3086
.LBB118_3082:
	s_mov_b32 s20, -1
                                        ; implicit-def: $vgpr17
.LBB118_3083:
	s_delay_alu instid0(SALU_CYCLE_1)
	s_and_b32 vcc_lo, exec_lo, s20
	s_cbranch_vccz .LBB118_3085
; %bb.3084:
	global_load_u8 v1, v[6:7], off
	s_wait_loadcnt 0x0
	v_lshlrev_b32_e32 v1, 24, v1
	s_delay_alu instid0(VALU_DEP_1) | instskip(NEXT) | instid1(VALU_DEP_1)
	v_and_b32_e32 v3, 0x7f000000, v1
	v_clz_i32_u32_e32 v5, v3
	v_cmp_ne_u32_e32 vcc_lo, 0, v3
	v_add_nc_u32_e32 v18, 0x1000000, v3
	s_delay_alu instid0(VALU_DEP_3) | instskip(NEXT) | instid1(VALU_DEP_1)
	v_min_u32_e32 v5, 32, v5
	v_sub_nc_u32_e64 v5, v5, 4 clamp
	s_delay_alu instid0(VALU_DEP_1) | instskip(NEXT) | instid1(VALU_DEP_1)
	v_dual_lshlrev_b32 v17, v5, v3 :: v_dual_lshlrev_b32 v5, 23, v5
	v_lshrrev_b32_e32 v17, 4, v17
	s_delay_alu instid0(VALU_DEP_1) | instskip(NEXT) | instid1(VALU_DEP_1)
	v_dual_sub_nc_u32 v5, v17, v5 :: v_dual_ashrrev_i32 v17, 8, v18
	v_add_nc_u32_e32 v5, 0x3c000000, v5
	s_delay_alu instid0(VALU_DEP_1) | instskip(NEXT) | instid1(VALU_DEP_1)
	v_and_or_b32 v5, 0x7f800000, v17, v5
	v_cndmask_b32_e32 v3, 0, v5, vcc_lo
	s_delay_alu instid0(VALU_DEP_1) | instskip(NEXT) | instid1(VALU_DEP_1)
	v_and_or_b32 v1, 0x80000000, v1, v3
	v_cvt_i32_f32_e32 v17, v1
.LBB118_3085:
	s_mov_b32 s20, 0
.LBB118_3086:
	s_delay_alu instid0(SALU_CYCLE_1)
	s_and_not1_b32 vcc_lo, exec_lo, s20
	s_cbranch_vccnz .LBB118_3088
; %bb.3087:
	global_load_u8 v1, v[6:7], off
	s_wait_loadcnt 0x0
	v_lshlrev_b32_e32 v3, 25, v1
	v_lshlrev_b16 v1, 8, v1
	s_delay_alu instid0(VALU_DEP_2) | instskip(NEXT) | instid1(VALU_DEP_2)
	v_cmp_gt_u32_e32 vcc_lo, 0x8000000, v3
	v_and_or_b32 v17, 0x7f00, v1, 0.5
	v_lshrrev_b32_e32 v5, 4, v3
	v_bfe_i32 v1, v1, 0, 16
	s_delay_alu instid0(VALU_DEP_3) | instskip(NEXT) | instid1(VALU_DEP_3)
	v_add_f32_e32 v17, -0.5, v17
	v_or_b32_e32 v5, 0x70000000, v5
	s_delay_alu instid0(VALU_DEP_1) | instskip(NEXT) | instid1(VALU_DEP_1)
	v_mul_f32_e32 v5, 0x7800000, v5
	v_cndmask_b32_e32 v3, v5, v17, vcc_lo
	s_delay_alu instid0(VALU_DEP_1) | instskip(NEXT) | instid1(VALU_DEP_1)
	v_and_or_b32 v1, 0x80000000, v1, v3
	v_cvt_i32_f32_e32 v17, v1
.LBB118_3088:
	s_mov_b32 s20, 0
	s_mov_b32 s21, -1
.LBB118_3089:
	s_and_not1_b32 vcc_lo, exec_lo, s20
	s_mov_b32 s20, 0
	s_cbranch_vccnz .LBB118_3100
; %bb.3090:
	s_cmp_gt_i32 s0, 14
	s_cbranch_scc0 .LBB118_3093
; %bb.3091:
	s_cmp_eq_u32 s0, 15
	s_cbranch_scc0 .LBB118_3096
; %bb.3092:
	global_load_u16 v1, v[6:7], off
	s_mov_b32 s15, 0
	s_mov_b32 s21, -1
	s_wait_loadcnt 0x0
	v_lshlrev_b32_e32 v1, 16, v1
	s_delay_alu instid0(VALU_DEP_1)
	v_cvt_i32_f32_e32 v17, v1
	s_branch .LBB118_3098
.LBB118_3093:
	s_mov_b32 s20, -1
	s_branch .LBB118_3097
.LBB118_3094:
	s_and_not1_saveexec_b32 s20, s20
	s_cbranch_execz .LBB118_3075
.LBB118_3095:
	v_cmp_ne_u16_e32 vcc_lo, 0, v1
	s_and_not1_b32 s21, s21, exec_lo
	s_and_b32 s22, vcc_lo, exec_lo
	s_delay_alu instid0(SALU_CYCLE_1)
	s_or_b32 s21, s21, s22
	s_or_b32 exec_lo, exec_lo, s20
	v_mov_b32_e32 v17, 0
	s_and_saveexec_b32 s20, s21
	s_cbranch_execnz .LBB118_3076
	s_branch .LBB118_3077
.LBB118_3096:
	s_mov_b32 s15, -1
.LBB118_3097:
                                        ; implicit-def: $vgpr17
.LBB118_3098:
	s_and_b32 vcc_lo, exec_lo, s20
	s_mov_b32 s20, 0
	s_cbranch_vccz .LBB118_3100
; %bb.3099:
	s_cmp_lg_u32 s0, 11
	s_mov_b32 s20, -1
	s_cselect_b32 s15, -1, 0
.LBB118_3100:
	s_delay_alu instid0(SALU_CYCLE_1)
	s_and_b32 vcc_lo, exec_lo, s15
	s_cbranch_vccnz .LBB118_3165
; %bb.3101:
	s_and_not1_b32 vcc_lo, exec_lo, s20
	s_cbranch_vccnz .LBB118_3103
.LBB118_3102:
	global_load_u8 v1, v[6:7], off
	s_mov_b32 s21, -1
	s_wait_loadcnt 0x0
	v_cmp_ne_u16_e32 vcc_lo, 0, v1
	v_cndmask_b32_e64 v17, 0, 1, vcc_lo
.LBB118_3103:
	s_mov_b32 s15, 0
.LBB118_3104:
	s_delay_alu instid0(SALU_CYCLE_1)
	s_and_b32 vcc_lo, exec_lo, s15
	s_cbranch_vccz .LBB118_3153
; %bb.3105:
	s_cmp_lt_i32 s0, 5
	s_cbranch_scc1 .LBB118_3110
; %bb.3106:
	s_cmp_lt_i32 s0, 8
	s_cbranch_scc1 .LBB118_3111
	;; [unrolled: 3-line block ×3, first 2 shown]
; %bb.3108:
	s_cmp_gt_i32 s0, 9
	s_cbranch_scc0 .LBB118_3113
; %bb.3109:
	global_load_b64 v[18:19], v[6:7], off
	s_mov_b32 s15, 0
	s_wait_loadcnt 0x0
	v_cvt_i32_f64_e32 v17, v[18:19]
	s_branch .LBB118_3114
.LBB118_3110:
	s_mov_b32 s15, -1
                                        ; implicit-def: $vgpr17
	s_branch .LBB118_3132
.LBB118_3111:
	s_mov_b32 s15, -1
                                        ; implicit-def: $vgpr17
	s_branch .LBB118_3120
.LBB118_3112:
	s_mov_b32 s15, -1
                                        ; implicit-def: $vgpr17
	s_branch .LBB118_3117
.LBB118_3113:
	s_mov_b32 s15, -1
                                        ; implicit-def: $vgpr17
.LBB118_3114:
	s_delay_alu instid0(SALU_CYCLE_1)
	s_and_not1_b32 vcc_lo, exec_lo, s15
	s_cbranch_vccnz .LBB118_3116
; %bb.3115:
	global_load_b32 v1, v[6:7], off
	s_wait_loadcnt 0x0
	v_cvt_i32_f32_e32 v17, v1
.LBB118_3116:
	s_mov_b32 s15, 0
.LBB118_3117:
	s_delay_alu instid0(SALU_CYCLE_1)
	s_and_not1_b32 vcc_lo, exec_lo, s15
	s_cbranch_vccnz .LBB118_3119
; %bb.3118:
	global_load_b32 v1, v[6:7], off
	s_wait_loadcnt 0x0
	v_cvt_f32_f16_e32 v1, v1
	s_delay_alu instid0(VALU_DEP_1)
	v_cvt_i32_f32_e32 v17, v1
.LBB118_3119:
	s_mov_b32 s15, 0
.LBB118_3120:
	s_delay_alu instid0(SALU_CYCLE_1)
	s_and_not1_b32 vcc_lo, exec_lo, s15
	s_cbranch_vccnz .LBB118_3131
; %bb.3121:
	s_cmp_lt_i32 s0, 6
	s_cbranch_scc1 .LBB118_3124
; %bb.3122:
	s_cmp_gt_i32 s0, 6
	s_cbranch_scc0 .LBB118_3125
; %bb.3123:
	global_load_b64 v[18:19], v[6:7], off
	s_mov_b32 s15, 0
	s_wait_loadcnt 0x0
	v_cvt_i32_f64_e32 v17, v[18:19]
	s_branch .LBB118_3126
.LBB118_3124:
	s_mov_b32 s15, -1
                                        ; implicit-def: $vgpr17
	s_branch .LBB118_3129
.LBB118_3125:
	s_mov_b32 s15, -1
                                        ; implicit-def: $vgpr17
.LBB118_3126:
	s_delay_alu instid0(SALU_CYCLE_1)
	s_and_not1_b32 vcc_lo, exec_lo, s15
	s_cbranch_vccnz .LBB118_3128
; %bb.3127:
	global_load_b32 v1, v[6:7], off
	s_wait_loadcnt 0x0
	v_cvt_i32_f32_e32 v17, v1
.LBB118_3128:
	s_mov_b32 s15, 0
.LBB118_3129:
	s_delay_alu instid0(SALU_CYCLE_1)
	s_and_not1_b32 vcc_lo, exec_lo, s15
	s_cbranch_vccnz .LBB118_3131
; %bb.3130:
	global_load_u16 v1, v[6:7], off
	s_wait_loadcnt 0x0
	v_cvt_f32_f16_e32 v1, v1
	s_delay_alu instid0(VALU_DEP_1)
	v_cvt_i32_f32_e32 v17, v1
.LBB118_3131:
	s_mov_b32 s15, 0
.LBB118_3132:
	s_delay_alu instid0(SALU_CYCLE_1)
	s_and_not1_b32 vcc_lo, exec_lo, s15
	s_cbranch_vccnz .LBB118_3152
; %bb.3133:
	s_cmp_lt_i32 s0, 2
	s_cbranch_scc1 .LBB118_3137
; %bb.3134:
	s_cmp_lt_i32 s0, 3
	s_cbranch_scc1 .LBB118_3138
; %bb.3135:
	s_cmp_gt_i32 s0, 3
	s_cbranch_scc0 .LBB118_3139
; %bb.3136:
	s_wait_loadcnt 0x0
	global_load_b32 v17, v[6:7], off
	s_mov_b32 s15, 0
	s_branch .LBB118_3140
.LBB118_3137:
	s_mov_b32 s15, -1
                                        ; implicit-def: $vgpr17
	s_branch .LBB118_3146
.LBB118_3138:
	s_mov_b32 s15, -1
                                        ; implicit-def: $vgpr17
	s_branch .LBB118_3143
.LBB118_3139:
	s_mov_b32 s15, -1
                                        ; implicit-def: $vgpr17
.LBB118_3140:
	s_delay_alu instid0(SALU_CYCLE_1)
	s_and_not1_b32 vcc_lo, exec_lo, s15
	s_cbranch_vccnz .LBB118_3142
; %bb.3141:
	s_wait_loadcnt 0x0
	global_load_b32 v17, v[6:7], off
.LBB118_3142:
	s_mov_b32 s15, 0
.LBB118_3143:
	s_delay_alu instid0(SALU_CYCLE_1)
	s_and_not1_b32 vcc_lo, exec_lo, s15
	s_cbranch_vccnz .LBB118_3145
; %bb.3144:
	s_wait_loadcnt 0x0
	global_load_i16 v17, v[6:7], off
.LBB118_3145:
	s_mov_b32 s15, 0
.LBB118_3146:
	s_delay_alu instid0(SALU_CYCLE_1)
	s_and_not1_b32 vcc_lo, exec_lo, s15
	s_cbranch_vccnz .LBB118_3152
; %bb.3147:
	s_cmp_gt_i32 s0, 0
	s_mov_b32 s15, 0
	s_cbranch_scc0 .LBB118_3149
; %bb.3148:
	s_wait_loadcnt 0x0
	global_load_i8 v17, v[6:7], off
	s_branch .LBB118_3150
.LBB118_3149:
	s_mov_b32 s15, -1
                                        ; implicit-def: $vgpr17
.LBB118_3150:
	s_delay_alu instid0(SALU_CYCLE_1)
	s_and_not1_b32 vcc_lo, exec_lo, s15
	s_cbranch_vccnz .LBB118_3152
; %bb.3151:
	s_wait_loadcnt 0x0
	global_load_u8 v17, v[6:7], off
.LBB118_3152:
	s_mov_b32 s21, -1
.LBB118_3153:
	s_delay_alu instid0(SALU_CYCLE_1)
	s_and_not1_b32 vcc_lo, exec_lo, s21
	s_cbranch_vccnz .LBB118_3968
; %bb.3154:
	v_add_nc_u32_e32 v0, s1, v0
	s_cmp_lt_i32 s17, 11
	s_delay_alu instid0(VALU_DEP_1) | instskip(NEXT) | instid1(VALU_DEP_1)
	v_ashrrev_i32_e32 v1, 31, v0
	v_add_nc_u64_e32 v[0:1], s[6:7], v[0:1]
	s_cbranch_scc1 .LBB118_3161
; %bb.3155:
	s_and_b32 s1, 0xffff, s17
	s_mov_b32 s7, 0
	s_cmp_gt_i32 s1, 25
	s_cbranch_scc0 .LBB118_3162
; %bb.3156:
	s_cmp_gt_i32 s1, 28
	s_cbranch_scc0 .LBB118_3163
; %bb.3157:
	s_cmp_gt_i32 s1, 43
	s_cbranch_scc0 .LBB118_3164
; %bb.3158:
	s_cmp_gt_i32 s1, 45
	s_cbranch_scc0 .LBB118_3166
; %bb.3159:
	s_cmp_eq_u32 s1, 46
	s_mov_b32 s20, 0
	s_cbranch_scc0 .LBB118_3167
; %bb.3160:
	global_load_b32 v3, v[0:1], off
	s_mov_b32 s6, 0
	s_mov_b32 s15, -1
	s_wait_loadcnt 0x0
	v_lshlrev_b32_e32 v3, 16, v3
	s_wait_xcnt 0x1
	s_delay_alu instid0(VALU_DEP_1)
	v_cvt_i32_f32_e32 v6, v3
	s_branch .LBB118_3169
.LBB118_3161:
	s_mov_b32 s1, -1
	s_mov_b32 s15, 0
                                        ; implicit-def: $vgpr6
	s_branch .LBB118_3231
.LBB118_3162:
	s_mov_b32 s20, -1
	s_mov_b32 s15, 0
	s_mov_b32 s6, 0
                                        ; implicit-def: $vgpr6
	s_branch .LBB118_3196
.LBB118_3163:
	s_mov_b32 s20, -1
	s_mov_b32 s15, 0
	s_mov_b32 s6, 0
                                        ; implicit-def: $vgpr6
	s_branch .LBB118_3179
.LBB118_3164:
	s_mov_b32 s20, -1
	s_mov_b32 s15, 0
	s_mov_b32 s6, 0
                                        ; implicit-def: $vgpr6
	s_branch .LBB118_3174
.LBB118_3165:
	s_or_b32 s16, s16, exec_lo
	s_trap 2
	s_cbranch_execz .LBB118_3102
	s_branch .LBB118_3103
.LBB118_3166:
	s_mov_b32 s20, -1
	s_mov_b32 s15, 0
	s_mov_b32 s6, 0
	s_branch .LBB118_3168
.LBB118_3167:
	s_mov_b32 s6, -1
	s_mov_b32 s15, 0
.LBB118_3168:
                                        ; implicit-def: $vgpr6
.LBB118_3169:
	s_and_b32 vcc_lo, exec_lo, s20
	s_cbranch_vccz .LBB118_3173
; %bb.3170:
	s_cmp_eq_u32 s1, 44
	s_cbranch_scc0 .LBB118_3172
; %bb.3171:
	global_load_u8 v3, v[0:1], off
	s_mov_b32 s6, 0
	s_mov_b32 s15, -1
	s_wait_loadcnt 0x0
	v_lshlrev_b32_e32 v5, 23, v3
	v_cmp_ne_u32_e32 vcc_lo, 0, v3
	s_delay_alu instid0(VALU_DEP_2) | instskip(SKIP_1) | instid1(VALU_DEP_1)
	v_cvt_i32_f32_e32 v5, v5
	s_wait_xcnt 0x1
	v_cndmask_b32_e32 v6, 0, v5, vcc_lo
	s_branch .LBB118_3173
.LBB118_3172:
	s_mov_b32 s6, -1
                                        ; implicit-def: $vgpr6
.LBB118_3173:
	s_mov_b32 s20, 0
.LBB118_3174:
	s_delay_alu instid0(SALU_CYCLE_1)
	s_and_b32 vcc_lo, exec_lo, s20
	s_cbranch_vccz .LBB118_3178
; %bb.3175:
	s_cmp_eq_u32 s1, 29
	s_cbranch_scc0 .LBB118_3177
; %bb.3176:
	global_load_b32 v6, v[0:1], off
	s_mov_b32 s6, 0
	s_mov_b32 s15, -1
	s_branch .LBB118_3178
.LBB118_3177:
	s_mov_b32 s6, -1
                                        ; implicit-def: $vgpr6
.LBB118_3178:
	s_mov_b32 s20, 0
.LBB118_3179:
	s_delay_alu instid0(SALU_CYCLE_1)
	s_and_b32 vcc_lo, exec_lo, s20
	s_cbranch_vccz .LBB118_3195
; %bb.3180:
	s_cmp_lt_i32 s1, 27
	s_cbranch_scc1 .LBB118_3183
; %bb.3181:
	s_cmp_gt_i32 s1, 27
	s_cbranch_scc0 .LBB118_3184
; %bb.3182:
	s_wait_loadcnt 0x0
	global_load_b32 v6, v[0:1], off
	s_mov_b32 s15, 0
	s_branch .LBB118_3185
.LBB118_3183:
	s_mov_b32 s15, -1
                                        ; implicit-def: $vgpr6
	s_branch .LBB118_3188
.LBB118_3184:
	s_mov_b32 s15, -1
                                        ; implicit-def: $vgpr6
.LBB118_3185:
	s_delay_alu instid0(SALU_CYCLE_1)
	s_and_not1_b32 vcc_lo, exec_lo, s15
	s_cbranch_vccnz .LBB118_3187
; %bb.3186:
	s_wait_loadcnt 0x0
	global_load_u16 v6, v[0:1], off
.LBB118_3187:
	s_mov_b32 s15, 0
.LBB118_3188:
	s_delay_alu instid0(SALU_CYCLE_1)
	s_and_not1_b32 vcc_lo, exec_lo, s15
	s_cbranch_vccnz .LBB118_3194
; %bb.3189:
	global_load_u8 v3, v[0:1], off
	s_mov_b32 s20, 0
	s_mov_b32 s15, exec_lo
	s_wait_loadcnt 0x0
	v_cmpx_lt_i16_e32 0x7f, v3
	s_xor_b32 s15, exec_lo, s15
	s_cbranch_execz .LBB118_3206
; %bb.3190:
	v_cmp_ne_u16_e32 vcc_lo, 0x80, v3
	s_and_b32 s20, vcc_lo, exec_lo
	s_and_not1_saveexec_b32 s15, s15
	s_cbranch_execnz .LBB118_3207
.LBB118_3191:
	s_or_b32 exec_lo, exec_lo, s15
	v_mov_b32_e32 v6, 0
	s_and_saveexec_b32 s15, s20
	s_cbranch_execz .LBB118_3193
.LBB118_3192:
	v_and_b32_e32 v5, 0xffff, v3
	s_delay_alu instid0(VALU_DEP_1) | instskip(SKIP_1) | instid1(VALU_DEP_2)
	v_and_b32_e32 v6, 7, v5
	v_bfe_u32 v19, v5, 3, 4
	v_clz_i32_u32_e32 v7, v6
	s_delay_alu instid0(VALU_DEP_2) | instskip(NEXT) | instid1(VALU_DEP_2)
	v_cmp_eq_u32_e32 vcc_lo, 0, v19
	v_min_u32_e32 v7, 32, v7
	s_delay_alu instid0(VALU_DEP_1) | instskip(NEXT) | instid1(VALU_DEP_1)
	v_subrev_nc_u32_e32 v18, 28, v7
	v_dual_lshlrev_b32 v5, v18, v5 :: v_dual_sub_nc_u32 v7, 29, v7
	s_delay_alu instid0(VALU_DEP_1) | instskip(NEXT) | instid1(VALU_DEP_1)
	v_dual_lshlrev_b32 v3, 24, v3 :: v_dual_bitop2_b32 v5, 7, v5 bitop3:0x40
	v_dual_cndmask_b32 v5, v6, v5, vcc_lo :: v_dual_cndmask_b32 v7, v19, v7, vcc_lo
	s_delay_alu instid0(VALU_DEP_2) | instskip(NEXT) | instid1(VALU_DEP_2)
	v_and_b32_e32 v3, 0x80000000, v3
	v_lshlrev_b32_e32 v5, 20, v5
	s_delay_alu instid0(VALU_DEP_3) | instskip(NEXT) | instid1(VALU_DEP_1)
	v_lshl_add_u32 v6, v7, 23, 0x3b800000
	v_or3_b32 v3, v3, v6, v5
	s_delay_alu instid0(VALU_DEP_1)
	v_cvt_i32_f32_e32 v6, v3
.LBB118_3193:
	s_or_b32 exec_lo, exec_lo, s15
.LBB118_3194:
	s_mov_b32 s15, -1
.LBB118_3195:
	s_mov_b32 s20, 0
.LBB118_3196:
	s_delay_alu instid0(SALU_CYCLE_1)
	s_and_b32 vcc_lo, exec_lo, s20
	s_cbranch_vccz .LBB118_3227
; %bb.3197:
	s_cmp_gt_i32 s1, 22
	s_cbranch_scc0 .LBB118_3205
; %bb.3198:
	s_cmp_lt_i32 s1, 24
	s_cbranch_scc1 .LBB118_3208
; %bb.3199:
	s_cmp_gt_i32 s1, 24
	s_cbranch_scc0 .LBB118_3209
; %bb.3200:
	global_load_u8 v3, v[0:1], off
	s_mov_b32 s15, 0
	s_mov_b32 s7, exec_lo
	s_wait_loadcnt 0x0
	v_cmpx_lt_i16_e32 0x7f, v3
	s_xor_b32 s7, exec_lo, s7
	s_cbranch_execz .LBB118_3221
; %bb.3201:
	v_cmp_ne_u16_e32 vcc_lo, 0x80, v3
	s_and_b32 s15, vcc_lo, exec_lo
	s_and_not1_saveexec_b32 s7, s7
	s_cbranch_execnz .LBB118_3222
.LBB118_3202:
	s_or_b32 exec_lo, exec_lo, s7
	v_mov_b32_e32 v6, 0
	s_and_saveexec_b32 s7, s15
	s_cbranch_execz .LBB118_3204
.LBB118_3203:
	v_and_b32_e32 v5, 0xffff, v3
	s_delay_alu instid0(VALU_DEP_1) | instskip(SKIP_1) | instid1(VALU_DEP_2)
	v_and_b32_e32 v6, 3, v5
	v_bfe_u32 v19, v5, 2, 5
	v_clz_i32_u32_e32 v7, v6
	s_delay_alu instid0(VALU_DEP_2) | instskip(NEXT) | instid1(VALU_DEP_2)
	v_cmp_eq_u32_e32 vcc_lo, 0, v19
	v_min_u32_e32 v7, 32, v7
	s_delay_alu instid0(VALU_DEP_1) | instskip(NEXT) | instid1(VALU_DEP_1)
	v_subrev_nc_u32_e32 v18, 29, v7
	v_dual_lshlrev_b32 v5, v18, v5 :: v_dual_sub_nc_u32 v7, 30, v7
	s_delay_alu instid0(VALU_DEP_1) | instskip(NEXT) | instid1(VALU_DEP_1)
	v_dual_lshlrev_b32 v3, 24, v3 :: v_dual_bitop2_b32 v5, 3, v5 bitop3:0x40
	v_dual_cndmask_b32 v5, v6, v5, vcc_lo :: v_dual_cndmask_b32 v7, v19, v7, vcc_lo
	s_delay_alu instid0(VALU_DEP_2) | instskip(NEXT) | instid1(VALU_DEP_2)
	v_and_b32_e32 v3, 0x80000000, v3
	v_lshlrev_b32_e32 v5, 21, v5
	s_delay_alu instid0(VALU_DEP_3) | instskip(NEXT) | instid1(VALU_DEP_1)
	v_lshl_add_u32 v6, v7, 23, 0x37800000
	v_or3_b32 v3, v3, v6, v5
	s_delay_alu instid0(VALU_DEP_1)
	v_cvt_i32_f32_e32 v6, v3
.LBB118_3204:
	s_or_b32 exec_lo, exec_lo, s7
	s_mov_b32 s7, 0
	s_branch .LBB118_3210
.LBB118_3205:
	s_mov_b32 s7, -1
                                        ; implicit-def: $vgpr6
	s_branch .LBB118_3216
.LBB118_3206:
	s_and_not1_saveexec_b32 s15, s15
	s_cbranch_execz .LBB118_3191
.LBB118_3207:
	v_cmp_ne_u16_e32 vcc_lo, 0, v3
	s_and_not1_b32 s20, s20, exec_lo
	s_and_b32 s21, vcc_lo, exec_lo
	s_delay_alu instid0(SALU_CYCLE_1)
	s_or_b32 s20, s20, s21
	s_or_b32 exec_lo, exec_lo, s15
	v_mov_b32_e32 v6, 0
	s_and_saveexec_b32 s15, s20
	s_cbranch_execnz .LBB118_3192
	s_branch .LBB118_3193
.LBB118_3208:
	s_mov_b32 s7, -1
                                        ; implicit-def: $vgpr6
	s_branch .LBB118_3213
.LBB118_3209:
	s_mov_b32 s7, -1
                                        ; implicit-def: $vgpr6
.LBB118_3210:
	s_delay_alu instid0(SALU_CYCLE_1)
	s_and_b32 vcc_lo, exec_lo, s7
	s_cbranch_vccz .LBB118_3212
; %bb.3211:
	global_load_u8 v3, v[0:1], off
	s_wait_loadcnt 0x0
	v_lshlrev_b32_e32 v3, 24, v3
	s_delay_alu instid0(VALU_DEP_1) | instskip(SKIP_1) | instid1(VALU_DEP_1)
	v_and_b32_e32 v5, 0x7f000000, v3
	s_wait_xcnt 0x1
	v_clz_i32_u32_e32 v6, v5
	v_cmp_ne_u32_e32 vcc_lo, 0, v5
	v_add_nc_u32_e32 v18, 0x1000000, v5
	s_delay_alu instid0(VALU_DEP_3) | instskip(NEXT) | instid1(VALU_DEP_1)
	v_min_u32_e32 v6, 32, v6
	v_sub_nc_u32_e64 v6, v6, 4 clamp
	s_delay_alu instid0(VALU_DEP_1) | instskip(NEXT) | instid1(VALU_DEP_1)
	v_dual_lshlrev_b32 v7, v6, v5 :: v_dual_lshlrev_b32 v6, 23, v6
	v_lshrrev_b32_e32 v7, 4, v7
	s_delay_alu instid0(VALU_DEP_1) | instskip(SKIP_1) | instid1(VALU_DEP_2)
	v_sub_nc_u32_e32 v6, v7, v6
	v_ashrrev_i32_e32 v7, 8, v18
	v_add_nc_u32_e32 v6, 0x3c000000, v6
	s_delay_alu instid0(VALU_DEP_1) | instskip(NEXT) | instid1(VALU_DEP_1)
	v_and_or_b32 v6, 0x7f800000, v7, v6
	v_cndmask_b32_e32 v5, 0, v6, vcc_lo
	s_delay_alu instid0(VALU_DEP_1) | instskip(NEXT) | instid1(VALU_DEP_1)
	v_and_or_b32 v3, 0x80000000, v3, v5
	v_cvt_i32_f32_e32 v6, v3
.LBB118_3212:
	s_mov_b32 s7, 0
.LBB118_3213:
	s_delay_alu instid0(SALU_CYCLE_1)
	s_and_not1_b32 vcc_lo, exec_lo, s7
	s_cbranch_vccnz .LBB118_3215
; %bb.3214:
	global_load_u8 v3, v[0:1], off
	s_wait_loadcnt 0x0
	v_lshlrev_b32_e32 v5, 25, v3
	v_lshlrev_b16 v3, 8, v3
	s_wait_xcnt 0x1
	s_delay_alu instid0(VALU_DEP_1) | instskip(NEXT) | instid1(VALU_DEP_3)
	v_and_or_b32 v7, 0x7f00, v3, 0.5
	v_lshrrev_b32_e32 v6, 4, v5
	v_bfe_i32 v3, v3, 0, 16
	s_delay_alu instid0(VALU_DEP_3) | instskip(NEXT) | instid1(VALU_DEP_3)
	v_add_f32_e32 v7, -0.5, v7
	v_or_b32_e32 v6, 0x70000000, v6
	s_delay_alu instid0(VALU_DEP_1) | instskip(SKIP_1) | instid1(VALU_DEP_2)
	v_mul_f32_e32 v6, 0x7800000, v6
	v_cmp_gt_u32_e32 vcc_lo, 0x8000000, v5
	v_cndmask_b32_e32 v5, v6, v7, vcc_lo
	s_delay_alu instid0(VALU_DEP_1) | instskip(NEXT) | instid1(VALU_DEP_1)
	v_and_or_b32 v3, 0x80000000, v3, v5
	v_cvt_i32_f32_e32 v6, v3
.LBB118_3215:
	s_mov_b32 s7, 0
	s_mov_b32 s15, -1
.LBB118_3216:
	s_and_not1_b32 vcc_lo, exec_lo, s7
	s_mov_b32 s7, 0
	s_cbranch_vccnz .LBB118_3227
; %bb.3217:
	s_cmp_gt_i32 s1, 14
	s_cbranch_scc0 .LBB118_3220
; %bb.3218:
	s_cmp_eq_u32 s1, 15
	s_cbranch_scc0 .LBB118_3223
; %bb.3219:
	global_load_u16 v3, v[0:1], off
	s_mov_b32 s6, 0
	s_mov_b32 s15, -1
	s_wait_loadcnt 0x0
	v_lshlrev_b32_e32 v3, 16, v3
	s_wait_xcnt 0x1
	s_delay_alu instid0(VALU_DEP_1)
	v_cvt_i32_f32_e32 v6, v3
	s_branch .LBB118_3225
.LBB118_3220:
	s_mov_b32 s7, -1
	s_branch .LBB118_3224
.LBB118_3221:
	s_and_not1_saveexec_b32 s7, s7
	s_cbranch_execz .LBB118_3202
.LBB118_3222:
	v_cmp_ne_u16_e32 vcc_lo, 0, v3
	s_and_not1_b32 s15, s15, exec_lo
	s_and_b32 s20, vcc_lo, exec_lo
	s_delay_alu instid0(SALU_CYCLE_1)
	s_or_b32 s15, s15, s20
	s_or_b32 exec_lo, exec_lo, s7
	v_mov_b32_e32 v6, 0
	s_and_saveexec_b32 s7, s15
	s_cbranch_execnz .LBB118_3203
	s_branch .LBB118_3204
.LBB118_3223:
	s_mov_b32 s6, -1
.LBB118_3224:
                                        ; implicit-def: $vgpr6
.LBB118_3225:
	s_and_b32 vcc_lo, exec_lo, s7
	s_mov_b32 s7, 0
	s_cbranch_vccz .LBB118_3227
; %bb.3226:
	s_cmp_lg_u32 s1, 11
	s_mov_b32 s7, -1
	s_cselect_b32 s6, -1, 0
.LBB118_3227:
	s_delay_alu instid0(SALU_CYCLE_1)
	s_and_b32 vcc_lo, exec_lo, s6
	s_cbranch_vccnz .LBB118_3292
; %bb.3228:
	s_and_not1_b32 vcc_lo, exec_lo, s7
	s_cbranch_vccnz .LBB118_3230
.LBB118_3229:
	global_load_u8 v3, v[0:1], off
	s_mov_b32 s15, -1
	s_wait_loadcnt 0x0
	v_cmp_ne_u16_e32 vcc_lo, 0, v3
	s_wait_xcnt 0x1
	v_cndmask_b32_e64 v6, 0, 1, vcc_lo
.LBB118_3230:
	s_mov_b32 s1, 0
.LBB118_3231:
	s_delay_alu instid0(SALU_CYCLE_1)
	s_and_b32 vcc_lo, exec_lo, s1
	s_cbranch_vccz .LBB118_3280
; %bb.3232:
	s_and_b32 s1, 0xffff, s17
	s_delay_alu instid0(SALU_CYCLE_1)
	s_cmp_lt_i32 s1, 5
	s_cbranch_scc1 .LBB118_3237
; %bb.3233:
	s_cmp_lt_i32 s1, 8
	s_cbranch_scc1 .LBB118_3238
; %bb.3234:
	;; [unrolled: 3-line block ×3, first 2 shown]
	s_cmp_gt_i32 s1, 9
	s_cbranch_scc0 .LBB118_3240
; %bb.3236:
	s_wait_loadcnt 0x0
	global_load_b64 v[6:7], v[0:1], off
	s_mov_b32 s6, 0
	s_wait_loadcnt 0x0
	v_cvt_i32_f64_e32 v6, v[6:7]
	s_branch .LBB118_3241
.LBB118_3237:
	s_mov_b32 s6, -1
                                        ; implicit-def: $vgpr6
	s_branch .LBB118_3259
.LBB118_3238:
	s_mov_b32 s6, -1
                                        ; implicit-def: $vgpr6
	s_branch .LBB118_3247
.LBB118_3239:
	s_mov_b32 s6, -1
                                        ; implicit-def: $vgpr6
	s_branch .LBB118_3244
.LBB118_3240:
	s_mov_b32 s6, -1
                                        ; implicit-def: $vgpr6
.LBB118_3241:
	s_delay_alu instid0(SALU_CYCLE_1)
	s_and_not1_b32 vcc_lo, exec_lo, s6
	s_cbranch_vccnz .LBB118_3243
; %bb.3242:
	global_load_b32 v3, v[0:1], off
	s_wait_loadcnt 0x0
	s_wait_xcnt 0x1
	v_cvt_i32_f32_e32 v6, v3
.LBB118_3243:
	s_mov_b32 s6, 0
.LBB118_3244:
	s_delay_alu instid0(SALU_CYCLE_1)
	s_and_not1_b32 vcc_lo, exec_lo, s6
	s_cbranch_vccnz .LBB118_3246
; %bb.3245:
	global_load_b32 v3, v[0:1], off
	s_wait_loadcnt 0x0
	v_cvt_f32_f16_e32 v3, v3
	s_wait_xcnt 0x1
	s_delay_alu instid0(VALU_DEP_1)
	v_cvt_i32_f32_e32 v6, v3
.LBB118_3246:
	s_mov_b32 s6, 0
.LBB118_3247:
	s_delay_alu instid0(SALU_CYCLE_1)
	s_and_not1_b32 vcc_lo, exec_lo, s6
	s_cbranch_vccnz .LBB118_3258
; %bb.3248:
	s_cmp_lt_i32 s1, 6
	s_cbranch_scc1 .LBB118_3251
; %bb.3249:
	s_cmp_gt_i32 s1, 6
	s_cbranch_scc0 .LBB118_3252
; %bb.3250:
	s_wait_loadcnt 0x0
	global_load_b64 v[6:7], v[0:1], off
	s_mov_b32 s6, 0
	s_wait_loadcnt 0x0
	v_cvt_i32_f64_e32 v6, v[6:7]
	s_branch .LBB118_3253
.LBB118_3251:
	s_mov_b32 s6, -1
                                        ; implicit-def: $vgpr6
	s_branch .LBB118_3256
.LBB118_3252:
	s_mov_b32 s6, -1
                                        ; implicit-def: $vgpr6
.LBB118_3253:
	s_delay_alu instid0(SALU_CYCLE_1)
	s_and_not1_b32 vcc_lo, exec_lo, s6
	s_cbranch_vccnz .LBB118_3255
; %bb.3254:
	global_load_b32 v3, v[0:1], off
	s_wait_loadcnt 0x0
	s_wait_xcnt 0x1
	v_cvt_i32_f32_e32 v6, v3
.LBB118_3255:
	s_mov_b32 s6, 0
.LBB118_3256:
	s_delay_alu instid0(SALU_CYCLE_1)
	s_and_not1_b32 vcc_lo, exec_lo, s6
	s_cbranch_vccnz .LBB118_3258
; %bb.3257:
	global_load_u16 v3, v[0:1], off
	s_wait_loadcnt 0x0
	v_cvt_f32_f16_e32 v3, v3
	s_wait_xcnt 0x1
	s_delay_alu instid0(VALU_DEP_1)
	v_cvt_i32_f32_e32 v6, v3
.LBB118_3258:
	s_mov_b32 s6, 0
.LBB118_3259:
	s_delay_alu instid0(SALU_CYCLE_1)
	s_and_not1_b32 vcc_lo, exec_lo, s6
	s_cbranch_vccnz .LBB118_3279
; %bb.3260:
	s_cmp_lt_i32 s1, 2
	s_cbranch_scc1 .LBB118_3264
; %bb.3261:
	s_cmp_lt_i32 s1, 3
	s_cbranch_scc1 .LBB118_3265
; %bb.3262:
	s_cmp_gt_i32 s1, 3
	s_cbranch_scc0 .LBB118_3266
; %bb.3263:
	s_wait_loadcnt 0x0
	global_load_b32 v6, v[0:1], off
	s_mov_b32 s6, 0
	s_branch .LBB118_3267
.LBB118_3264:
	s_mov_b32 s6, -1
                                        ; implicit-def: $vgpr6
	s_branch .LBB118_3273
.LBB118_3265:
	s_mov_b32 s6, -1
                                        ; implicit-def: $vgpr6
	s_branch .LBB118_3270
.LBB118_3266:
	s_mov_b32 s6, -1
                                        ; implicit-def: $vgpr6
.LBB118_3267:
	s_delay_alu instid0(SALU_CYCLE_1)
	s_and_not1_b32 vcc_lo, exec_lo, s6
	s_cbranch_vccnz .LBB118_3269
; %bb.3268:
	s_wait_loadcnt 0x0
	global_load_b32 v6, v[0:1], off
.LBB118_3269:
	s_mov_b32 s6, 0
.LBB118_3270:
	s_delay_alu instid0(SALU_CYCLE_1)
	s_and_not1_b32 vcc_lo, exec_lo, s6
	s_cbranch_vccnz .LBB118_3272
; %bb.3271:
	s_wait_loadcnt 0x0
	global_load_i16 v6, v[0:1], off
.LBB118_3272:
	s_mov_b32 s6, 0
.LBB118_3273:
	s_delay_alu instid0(SALU_CYCLE_1)
	s_and_not1_b32 vcc_lo, exec_lo, s6
	s_cbranch_vccnz .LBB118_3279
; %bb.3274:
	s_cmp_gt_i32 s1, 0
	s_mov_b32 s1, 0
	s_cbranch_scc0 .LBB118_3276
; %bb.3275:
	s_wait_loadcnt 0x0
	global_load_i8 v6, v[0:1], off
	s_branch .LBB118_3277
.LBB118_3276:
	s_mov_b32 s1, -1
                                        ; implicit-def: $vgpr6
.LBB118_3277:
	s_delay_alu instid0(SALU_CYCLE_1)
	s_and_not1_b32 vcc_lo, exec_lo, s1
	s_cbranch_vccnz .LBB118_3279
; %bb.3278:
	s_wait_loadcnt 0x0
	global_load_u8 v6, v[0:1], off
.LBB118_3279:
	s_mov_b32 s15, -1
.LBB118_3280:
	s_delay_alu instid0(SALU_CYCLE_1)
	s_and_not1_b32 vcc_lo, exec_lo, s15
	s_cbranch_vccnz .LBB118_3968
; %bb.3281:
	s_wait_xcnt 0x0
	v_add_nc_u32_e32 v0, s13, v2
	s_cmp_lt_i32 s3, 11
	s_delay_alu instid0(VALU_DEP_1) | instskip(NEXT) | instid1(VALU_DEP_1)
	v_ashrrev_i32_e32 v1, 31, v0
	v_add_nc_u64_e32 v[0:1], s[8:9], v[0:1]
	s_cbranch_scc1 .LBB118_3288
; %bb.3282:
	s_and_b32 s1, 0xffff, s3
	s_mov_b32 s7, 0
	s_cmp_gt_i32 s1, 25
	s_cbranch_scc0 .LBB118_3289
; %bb.3283:
	s_cmp_gt_i32 s1, 28
	s_cbranch_scc0 .LBB118_3290
; %bb.3284:
	;; [unrolled: 3-line block ×4, first 2 shown]
	s_cmp_eq_u32 s1, 46
	s_mov_b32 s9, 0
	s_cbranch_scc0 .LBB118_3294
; %bb.3287:
	global_load_b32 v2, v[0:1], off
	s_mov_b32 s6, 0
	s_mov_b32 s8, -1
	s_wait_loadcnt 0x0
	v_lshlrev_b32_e32 v2, 16, v2
	s_delay_alu instid0(VALU_DEP_1)
	v_cvt_i32_f32_e32 v7, v2
	s_branch .LBB118_3296
.LBB118_3288:
	s_mov_b32 s1, -1
	s_mov_b32 s8, 0
                                        ; implicit-def: $vgpr7
	s_branch .LBB118_3358
.LBB118_3289:
	s_mov_b32 s9, -1
	s_mov_b32 s8, 0
	s_mov_b32 s6, 0
                                        ; implicit-def: $vgpr7
	s_branch .LBB118_3323
.LBB118_3290:
	s_mov_b32 s9, -1
	s_mov_b32 s8, 0
	s_mov_b32 s6, 0
                                        ; implicit-def: $vgpr7
	s_branch .LBB118_3306
.LBB118_3291:
	s_mov_b32 s9, -1
	s_mov_b32 s8, 0
	s_mov_b32 s6, 0
                                        ; implicit-def: $vgpr7
	s_branch .LBB118_3301
.LBB118_3292:
	s_or_b32 s16, s16, exec_lo
	s_trap 2
	s_cbranch_execz .LBB118_3229
	s_branch .LBB118_3230
.LBB118_3293:
	s_mov_b32 s9, -1
	s_mov_b32 s8, 0
	s_mov_b32 s6, 0
	s_branch .LBB118_3295
.LBB118_3294:
	s_mov_b32 s6, -1
	s_mov_b32 s8, 0
.LBB118_3295:
                                        ; implicit-def: $vgpr7
.LBB118_3296:
	s_and_b32 vcc_lo, exec_lo, s9
	s_cbranch_vccz .LBB118_3300
; %bb.3297:
	s_cmp_eq_u32 s1, 44
	s_cbranch_scc0 .LBB118_3299
; %bb.3298:
	global_load_u8 v2, v[0:1], off
	s_mov_b32 s6, 0
	s_mov_b32 s8, -1
	s_wait_loadcnt 0x0
	v_lshlrev_b32_e32 v3, 23, v2
	v_cmp_ne_u32_e32 vcc_lo, 0, v2
	s_delay_alu instid0(VALU_DEP_2) | instskip(NEXT) | instid1(VALU_DEP_1)
	v_cvt_i32_f32_e32 v3, v3
	v_cndmask_b32_e32 v7, 0, v3, vcc_lo
	s_branch .LBB118_3300
.LBB118_3299:
	s_mov_b32 s6, -1
                                        ; implicit-def: $vgpr7
.LBB118_3300:
	s_mov_b32 s9, 0
.LBB118_3301:
	s_delay_alu instid0(SALU_CYCLE_1)
	s_and_b32 vcc_lo, exec_lo, s9
	s_cbranch_vccz .LBB118_3305
; %bb.3302:
	s_cmp_eq_u32 s1, 29
	s_cbranch_scc0 .LBB118_3304
; %bb.3303:
	global_load_b32 v7, v[0:1], off
	s_mov_b32 s6, 0
	s_mov_b32 s8, -1
	s_branch .LBB118_3305
.LBB118_3304:
	s_mov_b32 s6, -1
                                        ; implicit-def: $vgpr7
.LBB118_3305:
	s_mov_b32 s9, 0
.LBB118_3306:
	s_delay_alu instid0(SALU_CYCLE_1)
	s_and_b32 vcc_lo, exec_lo, s9
	s_cbranch_vccz .LBB118_3322
; %bb.3307:
	s_cmp_lt_i32 s1, 27
	s_cbranch_scc1 .LBB118_3310
; %bb.3308:
	s_cmp_gt_i32 s1, 27
	s_cbranch_scc0 .LBB118_3311
; %bb.3309:
	s_wait_loadcnt 0x0
	global_load_b32 v7, v[0:1], off
	s_mov_b32 s8, 0
	s_branch .LBB118_3312
.LBB118_3310:
	s_mov_b32 s8, -1
                                        ; implicit-def: $vgpr7
	s_branch .LBB118_3315
.LBB118_3311:
	s_mov_b32 s8, -1
                                        ; implicit-def: $vgpr7
.LBB118_3312:
	s_delay_alu instid0(SALU_CYCLE_1)
	s_and_not1_b32 vcc_lo, exec_lo, s8
	s_cbranch_vccnz .LBB118_3314
; %bb.3313:
	s_wait_loadcnt 0x0
	global_load_u16 v7, v[0:1], off
.LBB118_3314:
	s_mov_b32 s8, 0
.LBB118_3315:
	s_delay_alu instid0(SALU_CYCLE_1)
	s_and_not1_b32 vcc_lo, exec_lo, s8
	s_cbranch_vccnz .LBB118_3321
; %bb.3316:
	global_load_u8 v2, v[0:1], off
	s_mov_b32 s9, 0
	s_mov_b32 s8, exec_lo
	s_wait_loadcnt 0x0
	v_cmpx_lt_i16_e32 0x7f, v2
	s_xor_b32 s8, exec_lo, s8
	s_cbranch_execz .LBB118_3333
; %bb.3317:
	v_cmp_ne_u16_e32 vcc_lo, 0x80, v2
	s_and_b32 s9, vcc_lo, exec_lo
	s_and_not1_saveexec_b32 s8, s8
	s_cbranch_execnz .LBB118_3334
.LBB118_3318:
	s_or_b32 exec_lo, exec_lo, s8
	v_mov_b32_e32 v7, 0
	s_and_saveexec_b32 s8, s9
	s_cbranch_execz .LBB118_3320
.LBB118_3319:
	v_and_b32_e32 v3, 0xffff, v2
	s_delay_alu instid0(VALU_DEP_1) | instskip(SKIP_1) | instid1(VALU_DEP_2)
	v_dual_lshlrev_b32 v2, 24, v2 :: v_dual_bitop2_b32 v5, 7, v3 bitop3:0x40
	v_bfe_u32 v19, v3, 3, 4
	v_and_b32_e32 v2, 0x80000000, v2
	s_delay_alu instid0(VALU_DEP_3) | instskip(NEXT) | instid1(VALU_DEP_3)
	v_clz_i32_u32_e32 v7, v5
	v_cmp_eq_u32_e32 vcc_lo, 0, v19
	s_delay_alu instid0(VALU_DEP_2) | instskip(NEXT) | instid1(VALU_DEP_1)
	v_min_u32_e32 v7, 32, v7
	v_subrev_nc_u32_e32 v18, 28, v7
	v_sub_nc_u32_e32 v7, 29, v7
	s_delay_alu instid0(VALU_DEP_2) | instskip(NEXT) | instid1(VALU_DEP_2)
	v_lshlrev_b32_e32 v3, v18, v3
	v_cndmask_b32_e32 v7, v19, v7, vcc_lo
	s_delay_alu instid0(VALU_DEP_2) | instskip(NEXT) | instid1(VALU_DEP_1)
	v_and_b32_e32 v3, 7, v3
	v_cndmask_b32_e32 v3, v5, v3, vcc_lo
	s_delay_alu instid0(VALU_DEP_3) | instskip(NEXT) | instid1(VALU_DEP_2)
	v_lshl_add_u32 v5, v7, 23, 0x3b800000
	v_lshlrev_b32_e32 v3, 20, v3
	s_delay_alu instid0(VALU_DEP_1) | instskip(NEXT) | instid1(VALU_DEP_1)
	v_or3_b32 v2, v2, v5, v3
	v_cvt_i32_f32_e32 v7, v2
.LBB118_3320:
	s_or_b32 exec_lo, exec_lo, s8
.LBB118_3321:
	s_mov_b32 s8, -1
.LBB118_3322:
	s_mov_b32 s9, 0
.LBB118_3323:
	s_delay_alu instid0(SALU_CYCLE_1)
	s_and_b32 vcc_lo, exec_lo, s9
	s_cbranch_vccz .LBB118_3354
; %bb.3324:
	s_cmp_gt_i32 s1, 22
	s_cbranch_scc0 .LBB118_3332
; %bb.3325:
	s_cmp_lt_i32 s1, 24
	s_cbranch_scc1 .LBB118_3335
; %bb.3326:
	s_cmp_gt_i32 s1, 24
	s_cbranch_scc0 .LBB118_3336
; %bb.3327:
	global_load_u8 v2, v[0:1], off
	s_mov_b32 s8, 0
	s_mov_b32 s7, exec_lo
	s_wait_loadcnt 0x0
	v_cmpx_lt_i16_e32 0x7f, v2
	s_xor_b32 s7, exec_lo, s7
	s_cbranch_execz .LBB118_3348
; %bb.3328:
	v_cmp_ne_u16_e32 vcc_lo, 0x80, v2
	s_and_b32 s8, vcc_lo, exec_lo
	s_and_not1_saveexec_b32 s7, s7
	s_cbranch_execnz .LBB118_3349
.LBB118_3329:
	s_or_b32 exec_lo, exec_lo, s7
	v_mov_b32_e32 v7, 0
	s_and_saveexec_b32 s7, s8
	s_cbranch_execz .LBB118_3331
.LBB118_3330:
	v_and_b32_e32 v3, 0xffff, v2
	s_delay_alu instid0(VALU_DEP_1) | instskip(SKIP_1) | instid1(VALU_DEP_2)
	v_dual_lshlrev_b32 v2, 24, v2 :: v_dual_bitop2_b32 v5, 3, v3 bitop3:0x40
	v_bfe_u32 v19, v3, 2, 5
	v_and_b32_e32 v2, 0x80000000, v2
	s_delay_alu instid0(VALU_DEP_3) | instskip(NEXT) | instid1(VALU_DEP_3)
	v_clz_i32_u32_e32 v7, v5
	v_cmp_eq_u32_e32 vcc_lo, 0, v19
	s_delay_alu instid0(VALU_DEP_2) | instskip(NEXT) | instid1(VALU_DEP_1)
	v_min_u32_e32 v7, 32, v7
	v_subrev_nc_u32_e32 v18, 29, v7
	v_sub_nc_u32_e32 v7, 30, v7
	s_delay_alu instid0(VALU_DEP_2) | instskip(NEXT) | instid1(VALU_DEP_2)
	v_lshlrev_b32_e32 v3, v18, v3
	v_cndmask_b32_e32 v7, v19, v7, vcc_lo
	s_delay_alu instid0(VALU_DEP_2) | instskip(NEXT) | instid1(VALU_DEP_1)
	v_and_b32_e32 v3, 3, v3
	v_cndmask_b32_e32 v3, v5, v3, vcc_lo
	s_delay_alu instid0(VALU_DEP_3) | instskip(NEXT) | instid1(VALU_DEP_2)
	v_lshl_add_u32 v5, v7, 23, 0x37800000
	v_lshlrev_b32_e32 v3, 21, v3
	s_delay_alu instid0(VALU_DEP_1) | instskip(NEXT) | instid1(VALU_DEP_1)
	v_or3_b32 v2, v2, v5, v3
	v_cvt_i32_f32_e32 v7, v2
.LBB118_3331:
	s_or_b32 exec_lo, exec_lo, s7
	s_mov_b32 s7, 0
	s_branch .LBB118_3337
.LBB118_3332:
	s_mov_b32 s7, -1
                                        ; implicit-def: $vgpr7
	s_branch .LBB118_3343
.LBB118_3333:
	s_and_not1_saveexec_b32 s8, s8
	s_cbranch_execz .LBB118_3318
.LBB118_3334:
	v_cmp_ne_u16_e32 vcc_lo, 0, v2
	s_and_not1_b32 s9, s9, exec_lo
	s_and_b32 s13, vcc_lo, exec_lo
	s_delay_alu instid0(SALU_CYCLE_1)
	s_or_b32 s9, s9, s13
	s_or_b32 exec_lo, exec_lo, s8
	v_mov_b32_e32 v7, 0
	s_and_saveexec_b32 s8, s9
	s_cbranch_execnz .LBB118_3319
	s_branch .LBB118_3320
.LBB118_3335:
	s_mov_b32 s7, -1
                                        ; implicit-def: $vgpr7
	s_branch .LBB118_3340
.LBB118_3336:
	s_mov_b32 s7, -1
                                        ; implicit-def: $vgpr7
.LBB118_3337:
	s_delay_alu instid0(SALU_CYCLE_1)
	s_and_b32 vcc_lo, exec_lo, s7
	s_cbranch_vccz .LBB118_3339
; %bb.3338:
	global_load_u8 v2, v[0:1], off
	s_wait_loadcnt 0x0
	v_lshlrev_b32_e32 v2, 24, v2
	s_delay_alu instid0(VALU_DEP_1) | instskip(NEXT) | instid1(VALU_DEP_1)
	v_and_b32_e32 v3, 0x7f000000, v2
	v_clz_i32_u32_e32 v5, v3
	v_cmp_ne_u32_e32 vcc_lo, 0, v3
	v_add_nc_u32_e32 v18, 0x1000000, v3
	s_delay_alu instid0(VALU_DEP_3) | instskip(NEXT) | instid1(VALU_DEP_1)
	v_min_u32_e32 v5, 32, v5
	v_sub_nc_u32_e64 v5, v5, 4 clamp
	s_delay_alu instid0(VALU_DEP_1) | instskip(NEXT) | instid1(VALU_DEP_1)
	v_dual_lshlrev_b32 v7, v5, v3 :: v_dual_lshlrev_b32 v5, 23, v5
	v_lshrrev_b32_e32 v7, 4, v7
	s_delay_alu instid0(VALU_DEP_1) | instskip(NEXT) | instid1(VALU_DEP_1)
	v_dual_sub_nc_u32 v5, v7, v5 :: v_dual_ashrrev_i32 v7, 8, v18
	v_add_nc_u32_e32 v5, 0x3c000000, v5
	s_delay_alu instid0(VALU_DEP_1) | instskip(NEXT) | instid1(VALU_DEP_1)
	v_and_or_b32 v5, 0x7f800000, v7, v5
	v_cndmask_b32_e32 v3, 0, v5, vcc_lo
	s_delay_alu instid0(VALU_DEP_1) | instskip(NEXT) | instid1(VALU_DEP_1)
	v_and_or_b32 v2, 0x80000000, v2, v3
	v_cvt_i32_f32_e32 v7, v2
.LBB118_3339:
	s_mov_b32 s7, 0
.LBB118_3340:
	s_delay_alu instid0(SALU_CYCLE_1)
	s_and_not1_b32 vcc_lo, exec_lo, s7
	s_cbranch_vccnz .LBB118_3342
; %bb.3341:
	global_load_u8 v2, v[0:1], off
	s_wait_loadcnt 0x0
	v_lshlrev_b32_e32 v3, 25, v2
	v_lshlrev_b16 v2, 8, v2
	s_delay_alu instid0(VALU_DEP_1) | instskip(SKIP_1) | instid1(VALU_DEP_2)
	v_and_or_b32 v7, 0x7f00, v2, 0.5
	v_bfe_i32 v2, v2, 0, 16
	v_add_f32_e32 v7, -0.5, v7
	v_lshrrev_b32_e32 v5, 4, v3
	v_cmp_gt_u32_e32 vcc_lo, 0x8000000, v3
	s_delay_alu instid0(VALU_DEP_2) | instskip(NEXT) | instid1(VALU_DEP_1)
	v_or_b32_e32 v5, 0x70000000, v5
	v_mul_f32_e32 v5, 0x7800000, v5
	s_delay_alu instid0(VALU_DEP_1) | instskip(NEXT) | instid1(VALU_DEP_1)
	v_cndmask_b32_e32 v3, v5, v7, vcc_lo
	v_and_or_b32 v2, 0x80000000, v2, v3
	s_delay_alu instid0(VALU_DEP_1)
	v_cvt_i32_f32_e32 v7, v2
.LBB118_3342:
	s_mov_b32 s7, 0
	s_mov_b32 s8, -1
.LBB118_3343:
	s_and_not1_b32 vcc_lo, exec_lo, s7
	s_mov_b32 s7, 0
	s_cbranch_vccnz .LBB118_3354
; %bb.3344:
	s_cmp_gt_i32 s1, 14
	s_cbranch_scc0 .LBB118_3347
; %bb.3345:
	s_cmp_eq_u32 s1, 15
	s_cbranch_scc0 .LBB118_3350
; %bb.3346:
	global_load_u16 v2, v[0:1], off
	s_mov_b32 s6, 0
	s_mov_b32 s8, -1
	s_wait_loadcnt 0x0
	v_lshlrev_b32_e32 v2, 16, v2
	s_delay_alu instid0(VALU_DEP_1)
	v_cvt_i32_f32_e32 v7, v2
	s_branch .LBB118_3352
.LBB118_3347:
	s_mov_b32 s7, -1
	s_branch .LBB118_3351
.LBB118_3348:
	s_and_not1_saveexec_b32 s7, s7
	s_cbranch_execz .LBB118_3329
.LBB118_3349:
	v_cmp_ne_u16_e32 vcc_lo, 0, v2
	s_and_not1_b32 s8, s8, exec_lo
	s_and_b32 s9, vcc_lo, exec_lo
	s_delay_alu instid0(SALU_CYCLE_1)
	s_or_b32 s8, s8, s9
	s_or_b32 exec_lo, exec_lo, s7
	v_mov_b32_e32 v7, 0
	s_and_saveexec_b32 s7, s8
	s_cbranch_execnz .LBB118_3330
	s_branch .LBB118_3331
.LBB118_3350:
	s_mov_b32 s6, -1
.LBB118_3351:
                                        ; implicit-def: $vgpr7
.LBB118_3352:
	s_and_b32 vcc_lo, exec_lo, s7
	s_mov_b32 s7, 0
	s_cbranch_vccz .LBB118_3354
; %bb.3353:
	s_cmp_lg_u32 s1, 11
	s_mov_b32 s7, -1
	s_cselect_b32 s6, -1, 0
.LBB118_3354:
	s_delay_alu instid0(SALU_CYCLE_1)
	s_and_b32 vcc_lo, exec_lo, s6
	s_cbranch_vccnz .LBB118_3419
; %bb.3355:
	s_and_not1_b32 vcc_lo, exec_lo, s7
	s_cbranch_vccnz .LBB118_3357
.LBB118_3356:
	global_load_u8 v2, v[0:1], off
	s_mov_b32 s8, -1
	s_wait_loadcnt 0x0
	v_cmp_ne_u16_e32 vcc_lo, 0, v2
	v_cndmask_b32_e64 v7, 0, 1, vcc_lo
.LBB118_3357:
	s_mov_b32 s1, 0
.LBB118_3358:
	s_delay_alu instid0(SALU_CYCLE_1)
	s_and_b32 vcc_lo, exec_lo, s1
	s_cbranch_vccz .LBB118_3407
; %bb.3359:
	s_and_b32 s1, 0xffff, s3
	s_delay_alu instid0(SALU_CYCLE_1)
	s_cmp_lt_i32 s1, 5
	s_cbranch_scc1 .LBB118_3364
; %bb.3360:
	s_cmp_lt_i32 s1, 8
	s_cbranch_scc1 .LBB118_3365
; %bb.3361:
	;; [unrolled: 3-line block ×3, first 2 shown]
	s_cmp_gt_i32 s1, 9
	s_cbranch_scc0 .LBB118_3367
; %bb.3363:
	global_load_b64 v[2:3], v[0:1], off
	s_mov_b32 s3, 0
	s_wait_loadcnt 0x0
	v_cvt_i32_f64_e32 v7, v[2:3]
	s_branch .LBB118_3368
.LBB118_3364:
	s_mov_b32 s3, -1
                                        ; implicit-def: $vgpr7
	s_branch .LBB118_3386
.LBB118_3365:
	s_mov_b32 s3, -1
                                        ; implicit-def: $vgpr7
	s_branch .LBB118_3374
.LBB118_3366:
	s_mov_b32 s3, -1
                                        ; implicit-def: $vgpr7
	s_branch .LBB118_3371
.LBB118_3367:
	s_mov_b32 s3, -1
                                        ; implicit-def: $vgpr7
.LBB118_3368:
	s_delay_alu instid0(SALU_CYCLE_1)
	s_and_not1_b32 vcc_lo, exec_lo, s3
	s_cbranch_vccnz .LBB118_3370
; %bb.3369:
	global_load_b32 v2, v[0:1], off
	s_wait_loadcnt 0x0
	v_cvt_i32_f32_e32 v7, v2
.LBB118_3370:
	s_mov_b32 s3, 0
.LBB118_3371:
	s_delay_alu instid0(SALU_CYCLE_1)
	s_and_not1_b32 vcc_lo, exec_lo, s3
	s_cbranch_vccnz .LBB118_3373
; %bb.3372:
	global_load_b32 v2, v[0:1], off
	s_wait_loadcnt 0x0
	v_cvt_f32_f16_e32 v2, v2
	s_delay_alu instid0(VALU_DEP_1)
	v_cvt_i32_f32_e32 v7, v2
.LBB118_3373:
	s_mov_b32 s3, 0
.LBB118_3374:
	s_delay_alu instid0(SALU_CYCLE_1)
	s_and_not1_b32 vcc_lo, exec_lo, s3
	s_cbranch_vccnz .LBB118_3385
; %bb.3375:
	s_cmp_lt_i32 s1, 6
	s_cbranch_scc1 .LBB118_3378
; %bb.3376:
	s_cmp_gt_i32 s1, 6
	s_cbranch_scc0 .LBB118_3379
; %bb.3377:
	global_load_b64 v[2:3], v[0:1], off
	s_mov_b32 s3, 0
	s_wait_loadcnt 0x0
	v_cvt_i32_f64_e32 v7, v[2:3]
	s_branch .LBB118_3380
.LBB118_3378:
	s_mov_b32 s3, -1
                                        ; implicit-def: $vgpr7
	s_branch .LBB118_3383
.LBB118_3379:
	s_mov_b32 s3, -1
                                        ; implicit-def: $vgpr7
.LBB118_3380:
	s_delay_alu instid0(SALU_CYCLE_1)
	s_and_not1_b32 vcc_lo, exec_lo, s3
	s_cbranch_vccnz .LBB118_3382
; %bb.3381:
	global_load_b32 v2, v[0:1], off
	s_wait_loadcnt 0x0
	v_cvt_i32_f32_e32 v7, v2
.LBB118_3382:
	s_mov_b32 s3, 0
.LBB118_3383:
	s_delay_alu instid0(SALU_CYCLE_1)
	s_and_not1_b32 vcc_lo, exec_lo, s3
	s_cbranch_vccnz .LBB118_3385
; %bb.3384:
	global_load_u16 v2, v[0:1], off
	s_wait_loadcnt 0x0
	v_cvt_f32_f16_e32 v2, v2
	s_delay_alu instid0(VALU_DEP_1)
	v_cvt_i32_f32_e32 v7, v2
.LBB118_3385:
	s_mov_b32 s3, 0
.LBB118_3386:
	s_delay_alu instid0(SALU_CYCLE_1)
	s_and_not1_b32 vcc_lo, exec_lo, s3
	s_cbranch_vccnz .LBB118_3406
; %bb.3387:
	s_cmp_lt_i32 s1, 2
	s_cbranch_scc1 .LBB118_3391
; %bb.3388:
	s_cmp_lt_i32 s1, 3
	s_cbranch_scc1 .LBB118_3392
; %bb.3389:
	s_cmp_gt_i32 s1, 3
	s_cbranch_scc0 .LBB118_3393
; %bb.3390:
	s_wait_loadcnt 0x0
	global_load_b32 v7, v[0:1], off
	s_mov_b32 s3, 0
	s_branch .LBB118_3394
.LBB118_3391:
	s_mov_b32 s3, -1
                                        ; implicit-def: $vgpr7
	s_branch .LBB118_3400
.LBB118_3392:
	s_mov_b32 s3, -1
                                        ; implicit-def: $vgpr7
	s_branch .LBB118_3397
.LBB118_3393:
	s_mov_b32 s3, -1
                                        ; implicit-def: $vgpr7
.LBB118_3394:
	s_delay_alu instid0(SALU_CYCLE_1)
	s_and_not1_b32 vcc_lo, exec_lo, s3
	s_cbranch_vccnz .LBB118_3396
; %bb.3395:
	s_wait_loadcnt 0x0
	global_load_b32 v7, v[0:1], off
.LBB118_3396:
	s_mov_b32 s3, 0
.LBB118_3397:
	s_delay_alu instid0(SALU_CYCLE_1)
	s_and_not1_b32 vcc_lo, exec_lo, s3
	s_cbranch_vccnz .LBB118_3399
; %bb.3398:
	s_wait_loadcnt 0x0
	global_load_i16 v7, v[0:1], off
.LBB118_3399:
	s_mov_b32 s3, 0
.LBB118_3400:
	s_delay_alu instid0(SALU_CYCLE_1)
	s_and_not1_b32 vcc_lo, exec_lo, s3
	s_cbranch_vccnz .LBB118_3406
; %bb.3401:
	s_cmp_gt_i32 s1, 0
	s_mov_b32 s1, 0
	s_cbranch_scc0 .LBB118_3403
; %bb.3402:
	s_wait_loadcnt 0x0
	global_load_i8 v7, v[0:1], off
	s_branch .LBB118_3404
.LBB118_3403:
	s_mov_b32 s1, -1
                                        ; implicit-def: $vgpr7
.LBB118_3404:
	s_delay_alu instid0(SALU_CYCLE_1)
	s_and_not1_b32 vcc_lo, exec_lo, s1
	s_cbranch_vccnz .LBB118_3406
; %bb.3405:
	s_wait_loadcnt 0x0
	global_load_u8 v7, v[0:1], off
.LBB118_3406:
	s_mov_b32 s8, -1
.LBB118_3407:
	s_delay_alu instid0(SALU_CYCLE_1)
	s_and_not1_b32 vcc_lo, exec_lo, s8
	s_cbranch_vccnz .LBB118_3968
; %bb.3408:
	s_wait_xcnt 0x0
	v_add_nc_u32_e32 v0, s14, v4
	s_cmp_lt_i32 s0, 11
	s_delay_alu instid0(VALU_DEP_1) | instskip(NEXT) | instid1(VALU_DEP_1)
	v_ashrrev_i32_e32 v1, 31, v0
	v_add_nc_u64_e32 v[0:1], s[10:11], v[0:1]
	s_cbranch_scc1 .LBB118_3415
; %bb.3409:
	s_cmp_gt_i32 s0, 25
	s_mov_b32 s3, 0
	s_cbranch_scc0 .LBB118_3416
; %bb.3410:
	s_cmp_gt_i32 s0, 28
	s_cbranch_scc0 .LBB118_3417
; %bb.3411:
	s_cmp_gt_i32 s0, 43
	;; [unrolled: 3-line block ×3, first 2 shown]
	s_cbranch_scc0 .LBB118_3420
; %bb.3413:
	s_cmp_eq_u32 s0, 46
	s_mov_b32 s7, 0
	s_cbranch_scc0 .LBB118_3421
; %bb.3414:
	global_load_b32 v2, v[0:1], off
	s_mov_b32 s1, 0
	s_mov_b32 s6, -1
	s_wait_loadcnt 0x0
	v_lshlrev_b32_e32 v2, 16, v2
	s_delay_alu instid0(VALU_DEP_1)
	v_cvt_i32_f32_e32 v18, v2
	s_branch .LBB118_3423
.LBB118_3415:
	s_mov_b32 s1, -1
	s_mov_b32 s6, 0
                                        ; implicit-def: $vgpr18
	s_branch .LBB118_3485
.LBB118_3416:
	s_mov_b32 s7, -1
	s_mov_b32 s6, 0
	s_mov_b32 s1, 0
                                        ; implicit-def: $vgpr18
	s_branch .LBB118_3450
.LBB118_3417:
	s_mov_b32 s7, -1
	s_mov_b32 s6, 0
	s_mov_b32 s1, 0
                                        ; implicit-def: $vgpr18
	s_branch .LBB118_3433
.LBB118_3418:
	s_mov_b32 s7, -1
	s_mov_b32 s6, 0
	s_mov_b32 s1, 0
                                        ; implicit-def: $vgpr18
	s_branch .LBB118_3428
.LBB118_3419:
	s_or_b32 s16, s16, exec_lo
	s_trap 2
	s_cbranch_execz .LBB118_3356
	s_branch .LBB118_3357
.LBB118_3420:
	s_mov_b32 s7, -1
	s_mov_b32 s6, 0
	s_mov_b32 s1, 0
	s_branch .LBB118_3422
.LBB118_3421:
	s_mov_b32 s1, -1
	s_mov_b32 s6, 0
.LBB118_3422:
                                        ; implicit-def: $vgpr18
.LBB118_3423:
	s_and_b32 vcc_lo, exec_lo, s7
	s_cbranch_vccz .LBB118_3427
; %bb.3424:
	s_cmp_eq_u32 s0, 44
	s_cbranch_scc0 .LBB118_3426
; %bb.3425:
	global_load_u8 v2, v[0:1], off
	s_mov_b32 s1, 0
	s_mov_b32 s6, -1
	s_wait_loadcnt 0x0
	v_lshlrev_b32_e32 v3, 23, v2
	v_cmp_ne_u32_e32 vcc_lo, 0, v2
	s_delay_alu instid0(VALU_DEP_2) | instskip(NEXT) | instid1(VALU_DEP_1)
	v_cvt_i32_f32_e32 v3, v3
	v_cndmask_b32_e32 v18, 0, v3, vcc_lo
	s_branch .LBB118_3427
.LBB118_3426:
	s_mov_b32 s1, -1
                                        ; implicit-def: $vgpr18
.LBB118_3427:
	s_mov_b32 s7, 0
.LBB118_3428:
	s_delay_alu instid0(SALU_CYCLE_1)
	s_and_b32 vcc_lo, exec_lo, s7
	s_cbranch_vccz .LBB118_3432
; %bb.3429:
	s_cmp_eq_u32 s0, 29
	s_cbranch_scc0 .LBB118_3431
; %bb.3430:
	global_load_b32 v18, v[0:1], off
	s_mov_b32 s1, 0
	s_mov_b32 s6, -1
	s_branch .LBB118_3432
.LBB118_3431:
	s_mov_b32 s1, -1
                                        ; implicit-def: $vgpr18
.LBB118_3432:
	s_mov_b32 s7, 0
.LBB118_3433:
	s_delay_alu instid0(SALU_CYCLE_1)
	s_and_b32 vcc_lo, exec_lo, s7
	s_cbranch_vccz .LBB118_3449
; %bb.3434:
	s_cmp_lt_i32 s0, 27
	s_cbranch_scc1 .LBB118_3437
; %bb.3435:
	s_cmp_gt_i32 s0, 27
	s_cbranch_scc0 .LBB118_3438
; %bb.3436:
	s_wait_loadcnt 0x0
	global_load_b32 v18, v[0:1], off
	s_mov_b32 s6, 0
	s_branch .LBB118_3439
.LBB118_3437:
	s_mov_b32 s6, -1
                                        ; implicit-def: $vgpr18
	s_branch .LBB118_3442
.LBB118_3438:
	s_mov_b32 s6, -1
                                        ; implicit-def: $vgpr18
.LBB118_3439:
	s_delay_alu instid0(SALU_CYCLE_1)
	s_and_not1_b32 vcc_lo, exec_lo, s6
	s_cbranch_vccnz .LBB118_3441
; %bb.3440:
	s_wait_loadcnt 0x0
	global_load_u16 v18, v[0:1], off
.LBB118_3441:
	s_mov_b32 s6, 0
.LBB118_3442:
	s_delay_alu instid0(SALU_CYCLE_1)
	s_and_not1_b32 vcc_lo, exec_lo, s6
	s_cbranch_vccnz .LBB118_3448
; %bb.3443:
	global_load_u8 v2, v[0:1], off
	s_mov_b32 s7, 0
	s_mov_b32 s6, exec_lo
	s_wait_loadcnt 0x0
	v_cmpx_lt_i16_e32 0x7f, v2
	s_xor_b32 s6, exec_lo, s6
	s_cbranch_execz .LBB118_3460
; %bb.3444:
	v_cmp_ne_u16_e32 vcc_lo, 0x80, v2
	s_and_b32 s7, vcc_lo, exec_lo
	s_and_not1_saveexec_b32 s6, s6
	s_cbranch_execnz .LBB118_3461
.LBB118_3445:
	s_or_b32 exec_lo, exec_lo, s6
	v_mov_b32_e32 v18, 0
	s_and_saveexec_b32 s6, s7
	s_cbranch_execz .LBB118_3447
.LBB118_3446:
	v_and_b32_e32 v3, 0xffff, v2
	s_delay_alu instid0(VALU_DEP_1) | instskip(SKIP_1) | instid1(VALU_DEP_2)
	v_and_b32_e32 v4, 7, v3
	v_bfe_u32 v19, v3, 3, 4
	v_clz_i32_u32_e32 v5, v4
	s_delay_alu instid0(VALU_DEP_2) | instskip(NEXT) | instid1(VALU_DEP_2)
	v_cmp_eq_u32_e32 vcc_lo, 0, v19
	v_min_u32_e32 v5, 32, v5
	s_delay_alu instid0(VALU_DEP_1) | instskip(NEXT) | instid1(VALU_DEP_1)
	v_subrev_nc_u32_e32 v18, 28, v5
	v_dual_lshlrev_b32 v3, v18, v3 :: v_dual_sub_nc_u32 v5, 29, v5
	s_delay_alu instid0(VALU_DEP_1) | instskip(NEXT) | instid1(VALU_DEP_1)
	v_dual_lshlrev_b32 v2, 24, v2 :: v_dual_bitop2_b32 v3, 7, v3 bitop3:0x40
	v_dual_cndmask_b32 v5, v19, v5, vcc_lo :: v_dual_cndmask_b32 v3, v4, v3, vcc_lo
	s_delay_alu instid0(VALU_DEP_2) | instskip(NEXT) | instid1(VALU_DEP_2)
	v_and_b32_e32 v2, 0x80000000, v2
	v_lshl_add_u32 v4, v5, 23, 0x3b800000
	s_delay_alu instid0(VALU_DEP_3) | instskip(NEXT) | instid1(VALU_DEP_1)
	v_lshlrev_b32_e32 v3, 20, v3
	v_or3_b32 v2, v2, v4, v3
	s_delay_alu instid0(VALU_DEP_1)
	v_cvt_i32_f32_e32 v18, v2
.LBB118_3447:
	s_or_b32 exec_lo, exec_lo, s6
.LBB118_3448:
	s_mov_b32 s6, -1
.LBB118_3449:
	s_mov_b32 s7, 0
.LBB118_3450:
	s_delay_alu instid0(SALU_CYCLE_1)
	s_and_b32 vcc_lo, exec_lo, s7
	s_cbranch_vccz .LBB118_3481
; %bb.3451:
	s_cmp_gt_i32 s0, 22
	s_cbranch_scc0 .LBB118_3459
; %bb.3452:
	s_cmp_lt_i32 s0, 24
	s_cbranch_scc1 .LBB118_3462
; %bb.3453:
	s_cmp_gt_i32 s0, 24
	s_cbranch_scc0 .LBB118_3463
; %bb.3454:
	global_load_u8 v2, v[0:1], off
	s_mov_b32 s6, 0
	s_mov_b32 s3, exec_lo
	s_wait_loadcnt 0x0
	v_cmpx_lt_i16_e32 0x7f, v2
	s_xor_b32 s3, exec_lo, s3
	s_cbranch_execz .LBB118_3475
; %bb.3455:
	v_cmp_ne_u16_e32 vcc_lo, 0x80, v2
	s_and_b32 s6, vcc_lo, exec_lo
	s_and_not1_saveexec_b32 s3, s3
	s_cbranch_execnz .LBB118_3476
.LBB118_3456:
	s_or_b32 exec_lo, exec_lo, s3
	v_mov_b32_e32 v18, 0
	s_and_saveexec_b32 s3, s6
	s_cbranch_execz .LBB118_3458
.LBB118_3457:
	v_and_b32_e32 v3, 0xffff, v2
	s_delay_alu instid0(VALU_DEP_1) | instskip(SKIP_1) | instid1(VALU_DEP_2)
	v_and_b32_e32 v4, 3, v3
	v_bfe_u32 v19, v3, 2, 5
	v_clz_i32_u32_e32 v5, v4
	s_delay_alu instid0(VALU_DEP_2) | instskip(NEXT) | instid1(VALU_DEP_2)
	v_cmp_eq_u32_e32 vcc_lo, 0, v19
	v_min_u32_e32 v5, 32, v5
	s_delay_alu instid0(VALU_DEP_1) | instskip(NEXT) | instid1(VALU_DEP_1)
	v_subrev_nc_u32_e32 v18, 29, v5
	v_dual_lshlrev_b32 v3, v18, v3 :: v_dual_sub_nc_u32 v5, 30, v5
	s_delay_alu instid0(VALU_DEP_1) | instskip(NEXT) | instid1(VALU_DEP_1)
	v_dual_lshlrev_b32 v2, 24, v2 :: v_dual_bitop2_b32 v3, 3, v3 bitop3:0x40
	v_dual_cndmask_b32 v5, v19, v5, vcc_lo :: v_dual_cndmask_b32 v3, v4, v3, vcc_lo
	s_delay_alu instid0(VALU_DEP_2) | instskip(NEXT) | instid1(VALU_DEP_2)
	v_and_b32_e32 v2, 0x80000000, v2
	v_lshl_add_u32 v4, v5, 23, 0x37800000
	s_delay_alu instid0(VALU_DEP_3) | instskip(NEXT) | instid1(VALU_DEP_1)
	v_lshlrev_b32_e32 v3, 21, v3
	v_or3_b32 v2, v2, v4, v3
	s_delay_alu instid0(VALU_DEP_1)
	v_cvt_i32_f32_e32 v18, v2
.LBB118_3458:
	s_or_b32 exec_lo, exec_lo, s3
	s_mov_b32 s3, 0
	s_branch .LBB118_3464
.LBB118_3459:
	s_mov_b32 s3, -1
                                        ; implicit-def: $vgpr18
	s_branch .LBB118_3470
.LBB118_3460:
	s_and_not1_saveexec_b32 s6, s6
	s_cbranch_execz .LBB118_3445
.LBB118_3461:
	v_cmp_ne_u16_e32 vcc_lo, 0, v2
	s_and_not1_b32 s7, s7, exec_lo
	s_and_b32 s8, vcc_lo, exec_lo
	s_delay_alu instid0(SALU_CYCLE_1)
	s_or_b32 s7, s7, s8
	s_or_b32 exec_lo, exec_lo, s6
	v_mov_b32_e32 v18, 0
	s_and_saveexec_b32 s6, s7
	s_cbranch_execnz .LBB118_3446
	s_branch .LBB118_3447
.LBB118_3462:
	s_mov_b32 s3, -1
                                        ; implicit-def: $vgpr18
	s_branch .LBB118_3467
.LBB118_3463:
	s_mov_b32 s3, -1
                                        ; implicit-def: $vgpr18
.LBB118_3464:
	s_delay_alu instid0(SALU_CYCLE_1)
	s_and_b32 vcc_lo, exec_lo, s3
	s_cbranch_vccz .LBB118_3466
; %bb.3465:
	global_load_u8 v2, v[0:1], off
	s_wait_loadcnt 0x0
	v_lshlrev_b32_e32 v2, 24, v2
	s_delay_alu instid0(VALU_DEP_1) | instskip(NEXT) | instid1(VALU_DEP_1)
	v_and_b32_e32 v3, 0x7f000000, v2
	v_clz_i32_u32_e32 v4, v3
	v_cmp_ne_u32_e32 vcc_lo, 0, v3
	v_add_nc_u32_e32 v18, 0x1000000, v3
	s_delay_alu instid0(VALU_DEP_3) | instskip(NEXT) | instid1(VALU_DEP_1)
	v_min_u32_e32 v4, 32, v4
	v_sub_nc_u32_e64 v4, v4, 4 clamp
	s_delay_alu instid0(VALU_DEP_1) | instskip(NEXT) | instid1(VALU_DEP_1)
	v_dual_lshlrev_b32 v5, v4, v3 :: v_dual_lshlrev_b32 v4, 23, v4
	v_lshrrev_b32_e32 v5, 4, v5
	s_delay_alu instid0(VALU_DEP_1) | instskip(NEXT) | instid1(VALU_DEP_1)
	v_dual_sub_nc_u32 v4, v5, v4 :: v_dual_ashrrev_i32 v5, 8, v18
	v_add_nc_u32_e32 v4, 0x3c000000, v4
	s_delay_alu instid0(VALU_DEP_1) | instskip(NEXT) | instid1(VALU_DEP_1)
	v_and_or_b32 v4, 0x7f800000, v5, v4
	v_cndmask_b32_e32 v3, 0, v4, vcc_lo
	s_delay_alu instid0(VALU_DEP_1) | instskip(NEXT) | instid1(VALU_DEP_1)
	v_and_or_b32 v2, 0x80000000, v2, v3
	v_cvt_i32_f32_e32 v18, v2
.LBB118_3466:
	s_mov_b32 s3, 0
.LBB118_3467:
	s_delay_alu instid0(SALU_CYCLE_1)
	s_and_not1_b32 vcc_lo, exec_lo, s3
	s_cbranch_vccnz .LBB118_3469
; %bb.3468:
	global_load_u8 v2, v[0:1], off
	s_wait_loadcnt 0x0
	v_lshlrev_b32_e32 v3, 25, v2
	v_lshlrev_b16 v2, 8, v2
	s_delay_alu instid0(VALU_DEP_1) | instskip(SKIP_1) | instid1(VALU_DEP_2)
	v_and_or_b32 v5, 0x7f00, v2, 0.5
	v_bfe_i32 v2, v2, 0, 16
	v_dual_add_f32 v5, -0.5, v5 :: v_dual_lshrrev_b32 v4, 4, v3
	v_cmp_gt_u32_e32 vcc_lo, 0x8000000, v3
	s_delay_alu instid0(VALU_DEP_2) | instskip(NEXT) | instid1(VALU_DEP_1)
	v_or_b32_e32 v4, 0x70000000, v4
	v_mul_f32_e32 v4, 0x7800000, v4
	s_delay_alu instid0(VALU_DEP_1) | instskip(NEXT) | instid1(VALU_DEP_1)
	v_cndmask_b32_e32 v3, v4, v5, vcc_lo
	v_and_or_b32 v2, 0x80000000, v2, v3
	s_delay_alu instid0(VALU_DEP_1)
	v_cvt_i32_f32_e32 v18, v2
.LBB118_3469:
	s_mov_b32 s3, 0
	s_mov_b32 s6, -1
.LBB118_3470:
	s_and_not1_b32 vcc_lo, exec_lo, s3
	s_mov_b32 s3, 0
	s_cbranch_vccnz .LBB118_3481
; %bb.3471:
	s_cmp_gt_i32 s0, 14
	s_cbranch_scc0 .LBB118_3474
; %bb.3472:
	s_cmp_eq_u32 s0, 15
	s_cbranch_scc0 .LBB118_3477
; %bb.3473:
	global_load_u16 v2, v[0:1], off
	s_mov_b32 s1, 0
	s_mov_b32 s6, -1
	s_wait_loadcnt 0x0
	v_lshlrev_b32_e32 v2, 16, v2
	s_delay_alu instid0(VALU_DEP_1)
	v_cvt_i32_f32_e32 v18, v2
	s_branch .LBB118_3479
.LBB118_3474:
	s_mov_b32 s3, -1
	s_branch .LBB118_3478
.LBB118_3475:
	s_and_not1_saveexec_b32 s3, s3
	s_cbranch_execz .LBB118_3456
.LBB118_3476:
	v_cmp_ne_u16_e32 vcc_lo, 0, v2
	s_and_not1_b32 s6, s6, exec_lo
	s_and_b32 s7, vcc_lo, exec_lo
	s_delay_alu instid0(SALU_CYCLE_1)
	s_or_b32 s6, s6, s7
	s_or_b32 exec_lo, exec_lo, s3
	v_mov_b32_e32 v18, 0
	s_and_saveexec_b32 s3, s6
	s_cbranch_execnz .LBB118_3457
	s_branch .LBB118_3458
.LBB118_3477:
	s_mov_b32 s1, -1
.LBB118_3478:
                                        ; implicit-def: $vgpr18
.LBB118_3479:
	s_and_b32 vcc_lo, exec_lo, s3
	s_mov_b32 s3, 0
	s_cbranch_vccz .LBB118_3481
; %bb.3480:
	s_cmp_lg_u32 s0, 11
	s_mov_b32 s3, -1
	s_cselect_b32 s1, -1, 0
.LBB118_3481:
	s_delay_alu instid0(SALU_CYCLE_1)
	s_and_b32 vcc_lo, exec_lo, s1
	s_cbranch_vccnz .LBB118_4014
; %bb.3482:
	s_and_not1_b32 vcc_lo, exec_lo, s3
	s_cbranch_vccnz .LBB118_3484
.LBB118_3483:
	global_load_u8 v2, v[0:1], off
	s_mov_b32 s6, -1
	s_wait_loadcnt 0x0
	v_cmp_ne_u16_e32 vcc_lo, 0, v2
	v_cndmask_b32_e64 v18, 0, 1, vcc_lo
.LBB118_3484:
	s_mov_b32 s1, 0
.LBB118_3485:
	s_delay_alu instid0(SALU_CYCLE_1)
	s_and_b32 vcc_lo, exec_lo, s1
	s_cbranch_vccz .LBB118_3534
; %bb.3486:
	s_cmp_lt_i32 s0, 5
	s_cbranch_scc1 .LBB118_3491
; %bb.3487:
	s_cmp_lt_i32 s0, 8
	s_cbranch_scc1 .LBB118_3492
	;; [unrolled: 3-line block ×3, first 2 shown]
; %bb.3489:
	s_cmp_gt_i32 s0, 9
	s_cbranch_scc0 .LBB118_3494
; %bb.3490:
	global_load_b64 v[2:3], v[0:1], off
	s_mov_b32 s1, 0
	s_wait_loadcnt 0x0
	v_cvt_i32_f64_e32 v18, v[2:3]
	s_branch .LBB118_3495
.LBB118_3491:
	s_mov_b32 s1, -1
                                        ; implicit-def: $vgpr18
	s_branch .LBB118_3513
.LBB118_3492:
	s_mov_b32 s1, -1
                                        ; implicit-def: $vgpr18
	s_branch .LBB118_3501
.LBB118_3493:
	s_mov_b32 s1, -1
                                        ; implicit-def: $vgpr18
	s_branch .LBB118_3498
.LBB118_3494:
	s_mov_b32 s1, -1
                                        ; implicit-def: $vgpr18
.LBB118_3495:
	s_delay_alu instid0(SALU_CYCLE_1)
	s_and_not1_b32 vcc_lo, exec_lo, s1
	s_cbranch_vccnz .LBB118_3497
; %bb.3496:
	global_load_b32 v2, v[0:1], off
	s_wait_loadcnt 0x0
	v_cvt_i32_f32_e32 v18, v2
.LBB118_3497:
	s_mov_b32 s1, 0
.LBB118_3498:
	s_delay_alu instid0(SALU_CYCLE_1)
	s_and_not1_b32 vcc_lo, exec_lo, s1
	s_cbranch_vccnz .LBB118_3500
; %bb.3499:
	global_load_b32 v2, v[0:1], off
	s_wait_loadcnt 0x0
	v_cvt_f32_f16_e32 v2, v2
	s_delay_alu instid0(VALU_DEP_1)
	v_cvt_i32_f32_e32 v18, v2
.LBB118_3500:
	s_mov_b32 s1, 0
.LBB118_3501:
	s_delay_alu instid0(SALU_CYCLE_1)
	s_and_not1_b32 vcc_lo, exec_lo, s1
	s_cbranch_vccnz .LBB118_3512
; %bb.3502:
	s_cmp_lt_i32 s0, 6
	s_cbranch_scc1 .LBB118_3505
; %bb.3503:
	s_cmp_gt_i32 s0, 6
	s_cbranch_scc0 .LBB118_3506
; %bb.3504:
	global_load_b64 v[2:3], v[0:1], off
	s_mov_b32 s1, 0
	s_wait_loadcnt 0x0
	v_cvt_i32_f64_e32 v18, v[2:3]
	s_branch .LBB118_3507
.LBB118_3505:
	s_mov_b32 s1, -1
                                        ; implicit-def: $vgpr18
	s_branch .LBB118_3510
.LBB118_3506:
	s_mov_b32 s1, -1
                                        ; implicit-def: $vgpr18
.LBB118_3507:
	s_delay_alu instid0(SALU_CYCLE_1)
	s_and_not1_b32 vcc_lo, exec_lo, s1
	s_cbranch_vccnz .LBB118_3509
; %bb.3508:
	global_load_b32 v2, v[0:1], off
	s_wait_loadcnt 0x0
	v_cvt_i32_f32_e32 v18, v2
.LBB118_3509:
	s_mov_b32 s1, 0
.LBB118_3510:
	s_delay_alu instid0(SALU_CYCLE_1)
	s_and_not1_b32 vcc_lo, exec_lo, s1
	s_cbranch_vccnz .LBB118_3512
; %bb.3511:
	global_load_u16 v2, v[0:1], off
	s_wait_loadcnt 0x0
	v_cvt_f32_f16_e32 v2, v2
	s_delay_alu instid0(VALU_DEP_1)
	v_cvt_i32_f32_e32 v18, v2
.LBB118_3512:
	s_mov_b32 s1, 0
.LBB118_3513:
	s_delay_alu instid0(SALU_CYCLE_1)
	s_and_not1_b32 vcc_lo, exec_lo, s1
	s_cbranch_vccnz .LBB118_3533
; %bb.3514:
	s_cmp_lt_i32 s0, 2
	s_cbranch_scc1 .LBB118_3518
; %bb.3515:
	s_cmp_lt_i32 s0, 3
	s_cbranch_scc1 .LBB118_3519
; %bb.3516:
	s_cmp_gt_i32 s0, 3
	s_cbranch_scc0 .LBB118_3520
; %bb.3517:
	s_wait_loadcnt 0x0
	global_load_b32 v18, v[0:1], off
	s_mov_b32 s1, 0
	s_branch .LBB118_3521
.LBB118_3518:
	s_mov_b32 s1, -1
                                        ; implicit-def: $vgpr18
	s_branch .LBB118_3527
.LBB118_3519:
	s_mov_b32 s1, -1
                                        ; implicit-def: $vgpr18
	s_branch .LBB118_3524
.LBB118_3520:
	s_mov_b32 s1, -1
                                        ; implicit-def: $vgpr18
.LBB118_3521:
	s_delay_alu instid0(SALU_CYCLE_1)
	s_and_not1_b32 vcc_lo, exec_lo, s1
	s_cbranch_vccnz .LBB118_3523
; %bb.3522:
	s_wait_loadcnt 0x0
	global_load_b32 v18, v[0:1], off
.LBB118_3523:
	s_mov_b32 s1, 0
.LBB118_3524:
	s_delay_alu instid0(SALU_CYCLE_1)
	s_and_not1_b32 vcc_lo, exec_lo, s1
	s_cbranch_vccnz .LBB118_3526
; %bb.3525:
	s_wait_loadcnt 0x0
	global_load_i16 v18, v[0:1], off
.LBB118_3526:
	s_mov_b32 s1, 0
.LBB118_3527:
	s_delay_alu instid0(SALU_CYCLE_1)
	s_and_not1_b32 vcc_lo, exec_lo, s1
	s_cbranch_vccnz .LBB118_3533
; %bb.3528:
	s_cmp_gt_i32 s0, 0
	s_mov_b32 s0, 0
	s_cbranch_scc0 .LBB118_3530
; %bb.3529:
	s_wait_loadcnt 0x0
	global_load_i8 v18, v[0:1], off
	s_branch .LBB118_3531
.LBB118_3530:
	s_mov_b32 s0, -1
                                        ; implicit-def: $vgpr18
.LBB118_3531:
	s_delay_alu instid0(SALU_CYCLE_1)
	s_and_not1_b32 vcc_lo, exec_lo, s0
	s_cbranch_vccnz .LBB118_3533
; %bb.3532:
	s_wait_loadcnt 0x0
	global_load_u8 v18, v[0:1], off
.LBB118_3533:
	s_mov_b32 s6, -1
.LBB118_3534:
	s_delay_alu instid0(SALU_CYCLE_1)
	s_and_not1_b32 vcc_lo, exec_lo, s6
	s_cbranch_vccnz .LBB118_3968
; %bb.3535:
	s_wait_xcnt 0x0
	v_mul_lo_u32 v0, s12, v8
	s_wait_loadcnt 0x0
	v_maxmin_i32 v4, v9, v10, v12
	s_and_b32 s20, s2, 0xff
	s_delay_alu instid0(SALU_CYCLE_1) | instskip(NEXT) | instid1(VALU_DEP_2)
	s_cmp_lt_i32 s20, 11
	v_ashrrev_i32_e32 v1, 31, v0
	s_delay_alu instid0(VALU_DEP_1)
	v_add_nc_u64_e32 v[2:3], s[4:5], v[0:1]
	s_cbranch_scc1 .LBB118_3613
; %bb.3536:
	s_and_b32 s1, 0xffff, s20
	s_mov_b32 s6, -1
	s_mov_b32 s2, 0
	s_cmp_gt_i32 s1, 25
	s_mov_b32 s3, 0
	s_mov_b32 s0, 0
	s_cbranch_scc0 .LBB118_3569
; %bb.3537:
	s_cmp_gt_i32 s1, 28
	s_cbranch_scc0 .LBB118_3552
; %bb.3538:
	s_cmp_gt_i32 s1, 43
	;; [unrolled: 3-line block ×3, first 2 shown]
	s_cbranch_scc0 .LBB118_3542
; %bb.3540:
	s_mov_b32 s0, -1
	s_mov_b32 s6, 0
	s_cmp_eq_u32 s1, 46
	s_cbranch_scc0 .LBB118_3542
; %bb.3541:
	v_cvt_f32_i32_e32 v1, v4
	s_mov_b32 s0, 0
	s_mov_b32 s3, -1
	s_delay_alu instid0(VALU_DEP_1) | instskip(NEXT) | instid1(VALU_DEP_1)
	v_bfe_u32 v5, v1, 16, 1
	v_add3_u32 v1, v1, v5, 0x7fff
	s_delay_alu instid0(VALU_DEP_1)
	v_lshrrev_b32_e32 v1, 16, v1
	global_store_b32 v[2:3], v1, off
.LBB118_3542:
	s_and_b32 vcc_lo, exec_lo, s6
	s_cbranch_vccz .LBB118_3547
; %bb.3543:
	s_cmp_eq_u32 s1, 44
	s_mov_b32 s0, -1
	s_cbranch_scc0 .LBB118_3547
; %bb.3544:
	s_wait_xcnt 0x0
	v_cvt_f32_i32_e32 v1, v4
	v_mov_b32_e32 v5, 0xff
	s_mov_b32 s3, exec_lo
	s_delay_alu instid0(VALU_DEP_2) | instskip(NEXT) | instid1(VALU_DEP_1)
	v_bfe_u32 v8, v1, 23, 8
	v_cmpx_ne_u32_e32 0xff, v8
	s_cbranch_execz .LBB118_3546
; %bb.3545:
	v_and_b32_e32 v5, 0x400000, v1
	v_and_or_b32 v8, 0x3fffff, v1, v8
	v_lshrrev_b32_e32 v1, 23, v1
	s_delay_alu instid0(VALU_DEP_3) | instskip(NEXT) | instid1(VALU_DEP_3)
	v_cmp_ne_u32_e32 vcc_lo, 0, v5
	v_cmp_ne_u32_e64 s0, 0, v8
	s_and_b32 s0, vcc_lo, s0
	s_delay_alu instid0(SALU_CYCLE_1) | instskip(NEXT) | instid1(VALU_DEP_1)
	v_cndmask_b32_e64 v5, 0, 1, s0
	v_add_nc_u32_e32 v5, v1, v5
.LBB118_3546:
	s_or_b32 exec_lo, exec_lo, s3
	s_mov_b32 s0, 0
	s_mov_b32 s3, -1
	global_store_b8 v[2:3], v5, off
.LBB118_3547:
	s_mov_b32 s6, 0
.LBB118_3548:
	s_delay_alu instid0(SALU_CYCLE_1)
	s_and_b32 vcc_lo, exec_lo, s6
	s_cbranch_vccz .LBB118_3551
; %bb.3549:
	s_cmp_eq_u32 s1, 29
	s_mov_b32 s0, -1
	s_cbranch_scc0 .LBB118_3551
; %bb.3550:
	s_wait_xcnt 0x0
	v_ashrrev_i32_e32 v5, 31, v4
	s_mov_b32 s0, 0
	s_mov_b32 s3, -1
	global_store_b64 v[2:3], v[4:5], off
.LBB118_3551:
	s_mov_b32 s6, 0
.LBB118_3552:
	s_delay_alu instid0(SALU_CYCLE_1)
	s_and_b32 vcc_lo, exec_lo, s6
	s_cbranch_vccz .LBB118_3568
; %bb.3553:
	s_cmp_lt_i32 s1, 27
	s_mov_b32 s3, -1
	s_cbranch_scc1 .LBB118_3559
; %bb.3554:
	s_cmp_gt_i32 s1, 27
	s_cbranch_scc0 .LBB118_3556
; %bb.3555:
	s_mov_b32 s3, 0
	global_store_b32 v[2:3], v4, off
.LBB118_3556:
	s_and_not1_b32 vcc_lo, exec_lo, s3
	s_cbranch_vccnz .LBB118_3558
; %bb.3557:
	global_store_b16 v[2:3], v4, off
.LBB118_3558:
	s_mov_b32 s3, 0
.LBB118_3559:
	s_delay_alu instid0(SALU_CYCLE_1)
	s_and_not1_b32 vcc_lo, exec_lo, s3
	s_cbranch_vccnz .LBB118_3567
; %bb.3560:
	s_wait_xcnt 0x0
	v_cvt_f32_i32_e32 v1, v4
	v_mov_b32_e32 v8, 0x80
	s_mov_b32 s3, exec_lo
	s_delay_alu instid0(VALU_DEP_2) | instskip(NEXT) | instid1(VALU_DEP_1)
	v_and_b32_e32 v5, 0x7fffffff, v1
	v_cmpx_gt_u32_e32 0x43800000, v5
	s_cbranch_execz .LBB118_3566
; %bb.3561:
	v_cmp_lt_u32_e32 vcc_lo, 0x3bffffff, v5
	s_mov_b32 s6, 0
                                        ; implicit-def: $vgpr5
	s_and_saveexec_b32 s7, vcc_lo
	s_delay_alu instid0(SALU_CYCLE_1)
	s_xor_b32 s7, exec_lo, s7
	s_cbranch_execz .LBB118_4015
; %bb.3562:
	v_bfe_u32 v5, v1, 20, 1
	s_mov_b32 s6, exec_lo
	s_delay_alu instid0(VALU_DEP_1) | instskip(NEXT) | instid1(VALU_DEP_1)
	v_add3_u32 v5, v1, v5, 0x487ffff
	v_lshrrev_b32_e32 v5, 20, v5
	s_and_not1_saveexec_b32 s7, s7
	s_cbranch_execnz .LBB118_4016
.LBB118_3563:
	s_or_b32 exec_lo, exec_lo, s7
	v_mov_b32_e32 v8, 0
	s_and_saveexec_b32 s7, s6
.LBB118_3564:
	v_lshrrev_b32_e32 v1, 24, v1
	s_delay_alu instid0(VALU_DEP_1)
	v_and_or_b32 v8, 0x80, v1, v5
.LBB118_3565:
	s_or_b32 exec_lo, exec_lo, s7
.LBB118_3566:
	s_delay_alu instid0(SALU_CYCLE_1)
	s_or_b32 exec_lo, exec_lo, s3
	global_store_b8 v[2:3], v8, off
.LBB118_3567:
	s_mov_b32 s3, -1
.LBB118_3568:
	s_mov_b32 s6, 0
.LBB118_3569:
	s_delay_alu instid0(SALU_CYCLE_1)
	s_and_b32 vcc_lo, exec_lo, s6
	s_cbranch_vccz .LBB118_3609
; %bb.3570:
	s_cmp_gt_i32 s1, 22
	s_mov_b32 s2, -1
	s_cbranch_scc0 .LBB118_3602
; %bb.3571:
	s_cmp_lt_i32 s1, 24
	s_cbranch_scc1 .LBB118_3591
; %bb.3572:
	s_cmp_gt_i32 s1, 24
	s_cbranch_scc0 .LBB118_3580
; %bb.3573:
	s_wait_xcnt 0x0
	v_cvt_f32_i32_e32 v1, v4
	v_mov_b32_e32 v8, 0x80
	s_mov_b32 s2, exec_lo
	s_delay_alu instid0(VALU_DEP_2) | instskip(NEXT) | instid1(VALU_DEP_1)
	v_and_b32_e32 v5, 0x7fffffff, v1
	v_cmpx_gt_u32_e32 0x47800000, v5
	s_cbranch_execz .LBB118_3579
; %bb.3574:
	v_cmp_lt_u32_e32 vcc_lo, 0x37ffffff, v5
	s_mov_b32 s3, 0
                                        ; implicit-def: $vgpr5
	s_and_saveexec_b32 s6, vcc_lo
	s_delay_alu instid0(SALU_CYCLE_1)
	s_xor_b32 s6, exec_lo, s6
	s_cbranch_execz .LBB118_4018
; %bb.3575:
	v_bfe_u32 v5, v1, 21, 1
	s_mov_b32 s3, exec_lo
	s_delay_alu instid0(VALU_DEP_1) | instskip(NEXT) | instid1(VALU_DEP_1)
	v_add3_u32 v5, v1, v5, 0x88fffff
	v_lshrrev_b32_e32 v5, 21, v5
	s_and_not1_saveexec_b32 s6, s6
	s_cbranch_execnz .LBB118_4019
.LBB118_3576:
	s_or_b32 exec_lo, exec_lo, s6
	v_mov_b32_e32 v8, 0
	s_and_saveexec_b32 s6, s3
.LBB118_3577:
	v_lshrrev_b32_e32 v1, 24, v1
	s_delay_alu instid0(VALU_DEP_1)
	v_and_or_b32 v8, 0x80, v1, v5
.LBB118_3578:
	s_or_b32 exec_lo, exec_lo, s6
.LBB118_3579:
	s_delay_alu instid0(SALU_CYCLE_1)
	s_or_b32 exec_lo, exec_lo, s2
	s_mov_b32 s2, 0
	global_store_b8 v[2:3], v8, off
.LBB118_3580:
	s_and_b32 vcc_lo, exec_lo, s2
	s_cbranch_vccz .LBB118_3590
; %bb.3581:
	s_wait_xcnt 0x0
	v_cvt_f32_i32_e32 v1, v4
	s_mov_b32 s2, exec_lo
                                        ; implicit-def: $vgpr5
	s_delay_alu instid0(VALU_DEP_1) | instskip(NEXT) | instid1(VALU_DEP_1)
	v_and_b32_e32 v8, 0x7fffffff, v1
	v_cmpx_gt_u32_e32 0x43f00000, v8
	s_xor_b32 s2, exec_lo, s2
	s_cbranch_execz .LBB118_3587
; %bb.3582:
	s_mov_b32 s3, exec_lo
                                        ; implicit-def: $vgpr5
	v_cmpx_lt_u32_e32 0x3c7fffff, v8
	s_xor_b32 s3, exec_lo, s3
; %bb.3583:
	v_bfe_u32 v5, v1, 20, 1
	s_delay_alu instid0(VALU_DEP_1) | instskip(NEXT) | instid1(VALU_DEP_1)
	v_add3_u32 v5, v1, v5, 0x407ffff
	v_and_b32_e32 v8, 0xff00000, v5
	v_lshrrev_b32_e32 v5, 20, v5
	s_delay_alu instid0(VALU_DEP_2) | instskip(NEXT) | instid1(VALU_DEP_2)
	v_cmp_ne_u32_e32 vcc_lo, 0x7f00000, v8
	v_cndmask_b32_e32 v5, 0x7e, v5, vcc_lo
; %bb.3584:
	s_and_not1_saveexec_b32 s3, s3
; %bb.3585:
	v_add_f32_e64 v5, 0x46800000, |v1|
; %bb.3586:
	s_or_b32 exec_lo, exec_lo, s3
                                        ; implicit-def: $vgpr8
.LBB118_3587:
	s_and_not1_saveexec_b32 s2, s2
; %bb.3588:
	v_mov_b32_e32 v5, 0x7f
	v_cmp_lt_u32_e32 vcc_lo, 0x7f800000, v8
	s_delay_alu instid0(VALU_DEP_2)
	v_cndmask_b32_e32 v5, 0x7e, v5, vcc_lo
; %bb.3589:
	s_or_b32 exec_lo, exec_lo, s2
	v_lshrrev_b32_e32 v1, 24, v1
	s_delay_alu instid0(VALU_DEP_1)
	v_and_or_b32 v1, 0x80, v1, v5
	global_store_b8 v[2:3], v1, off
.LBB118_3590:
	s_mov_b32 s2, 0
.LBB118_3591:
	s_delay_alu instid0(SALU_CYCLE_1)
	s_and_not1_b32 vcc_lo, exec_lo, s2
	s_cbranch_vccnz .LBB118_3601
; %bb.3592:
	s_wait_xcnt 0x0
	v_cvt_f32_i32_e32 v1, v4
	s_mov_b32 s2, exec_lo
                                        ; implicit-def: $vgpr5
	s_delay_alu instid0(VALU_DEP_1) | instskip(NEXT) | instid1(VALU_DEP_1)
	v_and_b32_e32 v8, 0x7fffffff, v1
	v_cmpx_gt_u32_e32 0x47800000, v8
	s_xor_b32 s2, exec_lo, s2
	s_cbranch_execz .LBB118_3598
; %bb.3593:
	s_mov_b32 s3, exec_lo
                                        ; implicit-def: $vgpr5
	v_cmpx_lt_u32_e32 0x387fffff, v8
	s_xor_b32 s3, exec_lo, s3
; %bb.3594:
	v_bfe_u32 v5, v1, 21, 1
	s_delay_alu instid0(VALU_DEP_1) | instskip(NEXT) | instid1(VALU_DEP_1)
	v_add3_u32 v5, v1, v5, 0x80fffff
	v_lshrrev_b32_e32 v5, 21, v5
; %bb.3595:
	s_and_not1_saveexec_b32 s3, s3
; %bb.3596:
	v_add_f32_e64 v5, 0x43000000, |v1|
; %bb.3597:
	s_or_b32 exec_lo, exec_lo, s3
                                        ; implicit-def: $vgpr8
.LBB118_3598:
	s_and_not1_saveexec_b32 s2, s2
; %bb.3599:
	v_mov_b32_e32 v5, 0x7f
	v_cmp_lt_u32_e32 vcc_lo, 0x7f800000, v8
	s_delay_alu instid0(VALU_DEP_2)
	v_cndmask_b32_e32 v5, 0x7c, v5, vcc_lo
; %bb.3600:
	s_or_b32 exec_lo, exec_lo, s2
	v_lshrrev_b32_e32 v1, 24, v1
	s_delay_alu instid0(VALU_DEP_1)
	v_and_or_b32 v1, 0x80, v1, v5
	global_store_b8 v[2:3], v1, off
.LBB118_3601:
	s_mov_b32 s2, 0
	s_mov_b32 s3, -1
.LBB118_3602:
	s_and_not1_b32 vcc_lo, exec_lo, s2
	s_mov_b32 s2, 0
	s_cbranch_vccnz .LBB118_3609
; %bb.3603:
	s_cmp_gt_i32 s1, 14
	s_mov_b32 s2, -1
	s_cbranch_scc0 .LBB118_3607
; %bb.3604:
	s_cmp_eq_u32 s1, 15
	s_mov_b32 s0, -1
	s_cbranch_scc0 .LBB118_3606
; %bb.3605:
	s_wait_xcnt 0x0
	v_cvt_f32_i32_e32 v1, v4
	s_mov_b32 s0, 0
	s_mov_b32 s3, -1
	s_delay_alu instid0(VALU_DEP_1) | instskip(NEXT) | instid1(VALU_DEP_1)
	v_bfe_u32 v5, v1, 16, 1
	v_add3_u32 v1, v1, v5, 0x7fff
	global_store_d16_hi_b16 v[2:3], v1, off
.LBB118_3606:
	s_mov_b32 s2, 0
.LBB118_3607:
	s_delay_alu instid0(SALU_CYCLE_1)
	s_and_b32 vcc_lo, exec_lo, s2
	s_mov_b32 s2, 0
	s_cbranch_vccz .LBB118_3609
; %bb.3608:
	s_cmp_lg_u32 s1, 11
	s_mov_b32 s2, -1
	s_cselect_b32 s0, -1, 0
.LBB118_3609:
	s_delay_alu instid0(SALU_CYCLE_1)
	s_and_b32 vcc_lo, exec_lo, s0
	s_cbranch_vccnz .LBB118_4017
; %bb.3610:
	s_and_not1_b32 vcc_lo, exec_lo, s2
	s_cbranch_vccnz .LBB118_3612
.LBB118_3611:
	v_cmp_ne_u32_e32 vcc_lo, 0, v4
	s_mov_b32 s3, -1
	s_wait_xcnt 0x0
	v_cndmask_b32_e64 v1, 0, 1, vcc_lo
	global_store_b8 v[2:3], v1, off
.LBB118_3612:
	s_mov_b32 s0, 0
	s_branch .LBB118_3614
.LBB118_3613:
	s_mov_b32 s0, -1
	s_mov_b32 s3, 0
.LBB118_3614:
	s_and_b32 vcc_lo, exec_lo, s0
	s_cbranch_vccz .LBB118_3653
; %bb.3615:
	s_and_b32 s0, 0xffff, s20
	s_mov_b32 s1, -1
	s_cmp_lt_i32 s0, 5
	s_cbranch_scc1 .LBB118_3636
; %bb.3616:
	s_cmp_lt_i32 s0, 8
	s_cbranch_scc1 .LBB118_3626
; %bb.3617:
	s_cmp_lt_i32 s0, 9
	s_cbranch_scc1 .LBB118_3623
; %bb.3618:
	s_cmp_gt_i32 s0, 9
	s_cbranch_scc0 .LBB118_3620
; %bb.3619:
	v_cvt_f64_i32_e32 v[20:21], v4
	v_mov_b32_e32 v22, 0
	s_mov_b32 s1, 0
	s_delay_alu instid0(VALU_DEP_1)
	v_mov_b32_e32 v23, v22
	global_store_b128 v[2:3], v[20:23], off
.LBB118_3620:
	s_and_not1_b32 vcc_lo, exec_lo, s1
	s_cbranch_vccnz .LBB118_3622
; %bb.3621:
	s_wait_xcnt 0x0
	v_cvt_f32_i32_e32 v8, v4
	v_mov_b32_e32 v9, 0
	global_store_b64 v[2:3], v[8:9], off
.LBB118_3622:
	s_mov_b32 s1, 0
.LBB118_3623:
	s_delay_alu instid0(SALU_CYCLE_1)
	s_and_not1_b32 vcc_lo, exec_lo, s1
	s_cbranch_vccnz .LBB118_3625
; %bb.3624:
	s_wait_xcnt 0x0
	v_cvt_f32_i32_e32 v1, v4
	s_delay_alu instid0(VALU_DEP_1) | instskip(NEXT) | instid1(VALU_DEP_1)
	v_cvt_f16_f32_e32 v1, v1
	v_and_b32_e32 v1, 0xffff, v1
	global_store_b32 v[2:3], v1, off
.LBB118_3625:
	s_mov_b32 s1, 0
.LBB118_3626:
	s_delay_alu instid0(SALU_CYCLE_1)
	s_and_not1_b32 vcc_lo, exec_lo, s1
	s_cbranch_vccnz .LBB118_3635
; %bb.3627:
	s_cmp_lt_i32 s0, 6
	s_mov_b32 s1, -1
	s_cbranch_scc1 .LBB118_3633
; %bb.3628:
	s_cmp_gt_i32 s0, 6
	s_cbranch_scc0 .LBB118_3630
; %bb.3629:
	s_wait_xcnt 0x0
	v_cvt_f64_i32_e32 v[8:9], v4
	s_mov_b32 s1, 0
	global_store_b64 v[2:3], v[8:9], off
.LBB118_3630:
	s_and_not1_b32 vcc_lo, exec_lo, s1
	s_cbranch_vccnz .LBB118_3632
; %bb.3631:
	s_wait_xcnt 0x0
	v_cvt_f32_i32_e32 v1, v4
	global_store_b32 v[2:3], v1, off
.LBB118_3632:
	s_mov_b32 s1, 0
.LBB118_3633:
	s_delay_alu instid0(SALU_CYCLE_1)
	s_and_not1_b32 vcc_lo, exec_lo, s1
	s_cbranch_vccnz .LBB118_3635
; %bb.3634:
	s_wait_xcnt 0x0
	v_cvt_f32_i32_e32 v1, v4
	s_delay_alu instid0(VALU_DEP_1)
	v_cvt_f16_f32_e32 v1, v1
	global_store_b16 v[2:3], v1, off
.LBB118_3635:
	s_mov_b32 s1, 0
.LBB118_3636:
	s_delay_alu instid0(SALU_CYCLE_1)
	s_and_not1_b32 vcc_lo, exec_lo, s1
	s_cbranch_vccnz .LBB118_3652
; %bb.3637:
	s_cmp_lt_i32 s0, 2
	s_mov_b32 s1, -1
	s_cbranch_scc1 .LBB118_3647
; %bb.3638:
	s_cmp_lt_i32 s0, 3
	s_cbranch_scc1 .LBB118_3644
; %bb.3639:
	s_cmp_gt_i32 s0, 3
	s_cbranch_scc0 .LBB118_3641
; %bb.3640:
	s_wait_xcnt 0x0
	v_ashrrev_i32_e32 v5, 31, v4
	s_mov_b32 s1, 0
	global_store_b64 v[2:3], v[4:5], off
.LBB118_3641:
	s_and_not1_b32 vcc_lo, exec_lo, s1
	s_cbranch_vccnz .LBB118_3643
; %bb.3642:
	global_store_b32 v[2:3], v4, off
.LBB118_3643:
	s_mov_b32 s1, 0
.LBB118_3644:
	s_delay_alu instid0(SALU_CYCLE_1)
	s_and_not1_b32 vcc_lo, exec_lo, s1
	s_cbranch_vccnz .LBB118_3646
; %bb.3645:
	global_store_b16 v[2:3], v4, off
.LBB118_3646:
	s_mov_b32 s1, 0
.LBB118_3647:
	s_delay_alu instid0(SALU_CYCLE_1)
	s_and_not1_b32 vcc_lo, exec_lo, s1
	s_cbranch_vccnz .LBB118_3652
; %bb.3648:
	s_cmp_gt_i32 s0, 0
	s_mov_b32 s0, -1
	s_cbranch_scc0 .LBB118_3650
; %bb.3649:
	s_mov_b32 s0, 0
	global_store_b8 v[2:3], v4, off
.LBB118_3650:
	s_and_not1_b32 vcc_lo, exec_lo, s0
	s_cbranch_vccnz .LBB118_3652
; %bb.3651:
	global_store_b8 v[2:3], v4, off
.LBB118_3652:
	s_mov_b32 s3, -1
.LBB118_3653:
	s_delay_alu instid0(SALU_CYCLE_1)
	s_and_not1_b32 vcc_lo, exec_lo, s3
	s_cbranch_vccnz .LBB118_3968
; %bb.3654:
	s_lshl_b32 s1, s12, 7
	s_wait_xcnt 0x0
	v_maxmin_i32 v4, v11, v13, v15
	v_add_nc_u32_e32 v0, s1, v0
	s_cmp_lt_i32 s20, 11
	s_delay_alu instid0(VALU_DEP_1) | instskip(NEXT) | instid1(VALU_DEP_1)
	v_ashrrev_i32_e32 v1, 31, v0
	v_add_nc_u64_e32 v[2:3], s[4:5], v[0:1]
	s_cbranch_scc1 .LBB118_3732
; %bb.3655:
	s_and_b32 s2, 0xffff, s20
	s_mov_b32 s7, -1
	s_mov_b32 s3, 0
	s_cmp_gt_i32 s2, 25
	s_mov_b32 s6, 0
	s_mov_b32 s0, 0
	s_cbranch_scc0 .LBB118_3688
; %bb.3656:
	s_cmp_gt_i32 s2, 28
	s_cbranch_scc0 .LBB118_3671
; %bb.3657:
	s_cmp_gt_i32 s2, 43
	;; [unrolled: 3-line block ×3, first 2 shown]
	s_cbranch_scc0 .LBB118_3661
; %bb.3659:
	s_mov_b32 s0, -1
	s_mov_b32 s7, 0
	s_cmp_eq_u32 s2, 46
	s_cbranch_scc0 .LBB118_3661
; %bb.3660:
	v_cvt_f32_i32_e32 v1, v4
	s_mov_b32 s0, 0
	s_mov_b32 s6, -1
	s_delay_alu instid0(VALU_DEP_1) | instskip(NEXT) | instid1(VALU_DEP_1)
	v_bfe_u32 v5, v1, 16, 1
	v_add3_u32 v1, v1, v5, 0x7fff
	s_delay_alu instid0(VALU_DEP_1)
	v_lshrrev_b32_e32 v1, 16, v1
	global_store_b32 v[2:3], v1, off
.LBB118_3661:
	s_and_b32 vcc_lo, exec_lo, s7
	s_cbranch_vccz .LBB118_3666
; %bb.3662:
	s_cmp_eq_u32 s2, 44
	s_mov_b32 s0, -1
	s_cbranch_scc0 .LBB118_3666
; %bb.3663:
	s_wait_xcnt 0x0
	v_cvt_f32_i32_e32 v1, v4
	v_mov_b32_e32 v5, 0xff
	s_mov_b32 s6, exec_lo
	s_delay_alu instid0(VALU_DEP_2) | instskip(NEXT) | instid1(VALU_DEP_1)
	v_bfe_u32 v8, v1, 23, 8
	v_cmpx_ne_u32_e32 0xff, v8
	s_cbranch_execz .LBB118_3665
; %bb.3664:
	v_and_b32_e32 v5, 0x400000, v1
	v_and_or_b32 v8, 0x3fffff, v1, v8
	v_lshrrev_b32_e32 v1, 23, v1
	s_delay_alu instid0(VALU_DEP_3) | instskip(NEXT) | instid1(VALU_DEP_3)
	v_cmp_ne_u32_e32 vcc_lo, 0, v5
	v_cmp_ne_u32_e64 s0, 0, v8
	s_and_b32 s0, vcc_lo, s0
	s_delay_alu instid0(SALU_CYCLE_1) | instskip(NEXT) | instid1(VALU_DEP_1)
	v_cndmask_b32_e64 v5, 0, 1, s0
	v_add_nc_u32_e32 v5, v1, v5
.LBB118_3665:
	s_or_b32 exec_lo, exec_lo, s6
	s_mov_b32 s0, 0
	s_mov_b32 s6, -1
	global_store_b8 v[2:3], v5, off
.LBB118_3666:
	s_mov_b32 s7, 0
.LBB118_3667:
	s_delay_alu instid0(SALU_CYCLE_1)
	s_and_b32 vcc_lo, exec_lo, s7
	s_cbranch_vccz .LBB118_3670
; %bb.3668:
	s_cmp_eq_u32 s2, 29
	s_mov_b32 s0, -1
	s_cbranch_scc0 .LBB118_3670
; %bb.3669:
	s_wait_xcnt 0x0
	v_ashrrev_i32_e32 v5, 31, v4
	s_mov_b32 s0, 0
	s_mov_b32 s6, -1
	global_store_b64 v[2:3], v[4:5], off
.LBB118_3670:
	s_mov_b32 s7, 0
.LBB118_3671:
	s_delay_alu instid0(SALU_CYCLE_1)
	s_and_b32 vcc_lo, exec_lo, s7
	s_cbranch_vccz .LBB118_3687
; %bb.3672:
	s_cmp_lt_i32 s2, 27
	s_mov_b32 s6, -1
	s_cbranch_scc1 .LBB118_3678
; %bb.3673:
	s_cmp_gt_i32 s2, 27
	s_cbranch_scc0 .LBB118_3675
; %bb.3674:
	s_mov_b32 s6, 0
	global_store_b32 v[2:3], v4, off
.LBB118_3675:
	s_and_not1_b32 vcc_lo, exec_lo, s6
	s_cbranch_vccnz .LBB118_3677
; %bb.3676:
	global_store_b16 v[2:3], v4, off
.LBB118_3677:
	s_mov_b32 s6, 0
.LBB118_3678:
	s_delay_alu instid0(SALU_CYCLE_1)
	s_and_not1_b32 vcc_lo, exec_lo, s6
	s_cbranch_vccnz .LBB118_3686
; %bb.3679:
	s_wait_xcnt 0x0
	v_cvt_f32_i32_e32 v1, v4
	v_mov_b32_e32 v8, 0x80
	s_mov_b32 s6, exec_lo
	s_delay_alu instid0(VALU_DEP_2) | instskip(NEXT) | instid1(VALU_DEP_1)
	v_and_b32_e32 v5, 0x7fffffff, v1
	v_cmpx_gt_u32_e32 0x43800000, v5
	s_cbranch_execz .LBB118_3685
; %bb.3680:
	v_cmp_lt_u32_e32 vcc_lo, 0x3bffffff, v5
	s_mov_b32 s7, 0
                                        ; implicit-def: $vgpr5
	s_and_saveexec_b32 s8, vcc_lo
	s_delay_alu instid0(SALU_CYCLE_1)
	s_xor_b32 s8, exec_lo, s8
	s_cbranch_execz .LBB118_4020
; %bb.3681:
	v_bfe_u32 v5, v1, 20, 1
	s_mov_b32 s7, exec_lo
	s_delay_alu instid0(VALU_DEP_1) | instskip(NEXT) | instid1(VALU_DEP_1)
	v_add3_u32 v5, v1, v5, 0x487ffff
	v_lshrrev_b32_e32 v5, 20, v5
	s_and_not1_saveexec_b32 s8, s8
	s_cbranch_execnz .LBB118_4021
.LBB118_3682:
	s_or_b32 exec_lo, exec_lo, s8
	v_mov_b32_e32 v8, 0
	s_and_saveexec_b32 s8, s7
.LBB118_3683:
	v_lshrrev_b32_e32 v1, 24, v1
	s_delay_alu instid0(VALU_DEP_1)
	v_and_or_b32 v8, 0x80, v1, v5
.LBB118_3684:
	s_or_b32 exec_lo, exec_lo, s8
.LBB118_3685:
	s_delay_alu instid0(SALU_CYCLE_1)
	s_or_b32 exec_lo, exec_lo, s6
	global_store_b8 v[2:3], v8, off
.LBB118_3686:
	s_mov_b32 s6, -1
.LBB118_3687:
	s_mov_b32 s7, 0
.LBB118_3688:
	s_delay_alu instid0(SALU_CYCLE_1)
	s_and_b32 vcc_lo, exec_lo, s7
	s_cbranch_vccz .LBB118_3728
; %bb.3689:
	s_cmp_gt_i32 s2, 22
	s_mov_b32 s3, -1
	s_cbranch_scc0 .LBB118_3721
; %bb.3690:
	s_cmp_lt_i32 s2, 24
	s_cbranch_scc1 .LBB118_3710
; %bb.3691:
	s_cmp_gt_i32 s2, 24
	s_cbranch_scc0 .LBB118_3699
; %bb.3692:
	s_wait_xcnt 0x0
	v_cvt_f32_i32_e32 v1, v4
	v_mov_b32_e32 v8, 0x80
	s_mov_b32 s3, exec_lo
	s_delay_alu instid0(VALU_DEP_2) | instskip(NEXT) | instid1(VALU_DEP_1)
	v_and_b32_e32 v5, 0x7fffffff, v1
	v_cmpx_gt_u32_e32 0x47800000, v5
	s_cbranch_execz .LBB118_3698
; %bb.3693:
	v_cmp_lt_u32_e32 vcc_lo, 0x37ffffff, v5
	s_mov_b32 s6, 0
                                        ; implicit-def: $vgpr5
	s_and_saveexec_b32 s7, vcc_lo
	s_delay_alu instid0(SALU_CYCLE_1)
	s_xor_b32 s7, exec_lo, s7
	s_cbranch_execz .LBB118_4023
; %bb.3694:
	v_bfe_u32 v5, v1, 21, 1
	s_mov_b32 s6, exec_lo
	s_delay_alu instid0(VALU_DEP_1) | instskip(NEXT) | instid1(VALU_DEP_1)
	v_add3_u32 v5, v1, v5, 0x88fffff
	v_lshrrev_b32_e32 v5, 21, v5
	s_and_not1_saveexec_b32 s7, s7
	s_cbranch_execnz .LBB118_4024
.LBB118_3695:
	s_or_b32 exec_lo, exec_lo, s7
	v_mov_b32_e32 v8, 0
	s_and_saveexec_b32 s7, s6
.LBB118_3696:
	v_lshrrev_b32_e32 v1, 24, v1
	s_delay_alu instid0(VALU_DEP_1)
	v_and_or_b32 v8, 0x80, v1, v5
.LBB118_3697:
	s_or_b32 exec_lo, exec_lo, s7
.LBB118_3698:
	s_delay_alu instid0(SALU_CYCLE_1)
	s_or_b32 exec_lo, exec_lo, s3
	s_mov_b32 s3, 0
	global_store_b8 v[2:3], v8, off
.LBB118_3699:
	s_and_b32 vcc_lo, exec_lo, s3
	s_cbranch_vccz .LBB118_3709
; %bb.3700:
	s_wait_xcnt 0x0
	v_cvt_f32_i32_e32 v1, v4
	s_mov_b32 s3, exec_lo
                                        ; implicit-def: $vgpr5
	s_delay_alu instid0(VALU_DEP_1) | instskip(NEXT) | instid1(VALU_DEP_1)
	v_and_b32_e32 v8, 0x7fffffff, v1
	v_cmpx_gt_u32_e32 0x43f00000, v8
	s_xor_b32 s3, exec_lo, s3
	s_cbranch_execz .LBB118_3706
; %bb.3701:
	s_mov_b32 s6, exec_lo
                                        ; implicit-def: $vgpr5
	v_cmpx_lt_u32_e32 0x3c7fffff, v8
	s_xor_b32 s6, exec_lo, s6
; %bb.3702:
	v_bfe_u32 v5, v1, 20, 1
	s_delay_alu instid0(VALU_DEP_1) | instskip(NEXT) | instid1(VALU_DEP_1)
	v_add3_u32 v5, v1, v5, 0x407ffff
	v_and_b32_e32 v8, 0xff00000, v5
	v_lshrrev_b32_e32 v5, 20, v5
	s_delay_alu instid0(VALU_DEP_2) | instskip(NEXT) | instid1(VALU_DEP_2)
	v_cmp_ne_u32_e32 vcc_lo, 0x7f00000, v8
	v_cndmask_b32_e32 v5, 0x7e, v5, vcc_lo
; %bb.3703:
	s_and_not1_saveexec_b32 s6, s6
; %bb.3704:
	v_add_f32_e64 v5, 0x46800000, |v1|
; %bb.3705:
	s_or_b32 exec_lo, exec_lo, s6
                                        ; implicit-def: $vgpr8
.LBB118_3706:
	s_and_not1_saveexec_b32 s3, s3
; %bb.3707:
	v_mov_b32_e32 v5, 0x7f
	v_cmp_lt_u32_e32 vcc_lo, 0x7f800000, v8
	s_delay_alu instid0(VALU_DEP_2)
	v_cndmask_b32_e32 v5, 0x7e, v5, vcc_lo
; %bb.3708:
	s_or_b32 exec_lo, exec_lo, s3
	v_lshrrev_b32_e32 v1, 24, v1
	s_delay_alu instid0(VALU_DEP_1)
	v_and_or_b32 v1, 0x80, v1, v5
	global_store_b8 v[2:3], v1, off
.LBB118_3709:
	s_mov_b32 s3, 0
.LBB118_3710:
	s_delay_alu instid0(SALU_CYCLE_1)
	s_and_not1_b32 vcc_lo, exec_lo, s3
	s_cbranch_vccnz .LBB118_3720
; %bb.3711:
	s_wait_xcnt 0x0
	v_cvt_f32_i32_e32 v1, v4
	s_mov_b32 s3, exec_lo
                                        ; implicit-def: $vgpr5
	s_delay_alu instid0(VALU_DEP_1) | instskip(NEXT) | instid1(VALU_DEP_1)
	v_and_b32_e32 v8, 0x7fffffff, v1
	v_cmpx_gt_u32_e32 0x47800000, v8
	s_xor_b32 s3, exec_lo, s3
	s_cbranch_execz .LBB118_3717
; %bb.3712:
	s_mov_b32 s6, exec_lo
                                        ; implicit-def: $vgpr5
	v_cmpx_lt_u32_e32 0x387fffff, v8
	s_xor_b32 s6, exec_lo, s6
; %bb.3713:
	v_bfe_u32 v5, v1, 21, 1
	s_delay_alu instid0(VALU_DEP_1) | instskip(NEXT) | instid1(VALU_DEP_1)
	v_add3_u32 v5, v1, v5, 0x80fffff
	v_lshrrev_b32_e32 v5, 21, v5
; %bb.3714:
	s_and_not1_saveexec_b32 s6, s6
; %bb.3715:
	v_add_f32_e64 v5, 0x43000000, |v1|
; %bb.3716:
	s_or_b32 exec_lo, exec_lo, s6
                                        ; implicit-def: $vgpr8
.LBB118_3717:
	s_and_not1_saveexec_b32 s3, s3
; %bb.3718:
	v_mov_b32_e32 v5, 0x7f
	v_cmp_lt_u32_e32 vcc_lo, 0x7f800000, v8
	s_delay_alu instid0(VALU_DEP_2)
	v_cndmask_b32_e32 v5, 0x7c, v5, vcc_lo
; %bb.3719:
	s_or_b32 exec_lo, exec_lo, s3
	v_lshrrev_b32_e32 v1, 24, v1
	s_delay_alu instid0(VALU_DEP_1)
	v_and_or_b32 v1, 0x80, v1, v5
	global_store_b8 v[2:3], v1, off
.LBB118_3720:
	s_mov_b32 s3, 0
	s_mov_b32 s6, -1
.LBB118_3721:
	s_and_not1_b32 vcc_lo, exec_lo, s3
	s_mov_b32 s3, 0
	s_cbranch_vccnz .LBB118_3728
; %bb.3722:
	s_cmp_gt_i32 s2, 14
	s_mov_b32 s3, -1
	s_cbranch_scc0 .LBB118_3726
; %bb.3723:
	s_cmp_eq_u32 s2, 15
	s_mov_b32 s0, -1
	s_cbranch_scc0 .LBB118_3725
; %bb.3724:
	s_wait_xcnt 0x0
	v_cvt_f32_i32_e32 v1, v4
	s_mov_b32 s0, 0
	s_mov_b32 s6, -1
	s_delay_alu instid0(VALU_DEP_1) | instskip(NEXT) | instid1(VALU_DEP_1)
	v_bfe_u32 v5, v1, 16, 1
	v_add3_u32 v1, v1, v5, 0x7fff
	global_store_d16_hi_b16 v[2:3], v1, off
.LBB118_3725:
	s_mov_b32 s3, 0
.LBB118_3726:
	s_delay_alu instid0(SALU_CYCLE_1)
	s_and_b32 vcc_lo, exec_lo, s3
	s_mov_b32 s3, 0
	s_cbranch_vccz .LBB118_3728
; %bb.3727:
	s_cmp_lg_u32 s2, 11
	s_mov_b32 s3, -1
	s_cselect_b32 s0, -1, 0
.LBB118_3728:
	s_delay_alu instid0(SALU_CYCLE_1)
	s_and_b32 vcc_lo, exec_lo, s0
	s_cbranch_vccnz .LBB118_4022
; %bb.3729:
	s_and_not1_b32 vcc_lo, exec_lo, s3
	s_cbranch_vccnz .LBB118_3731
.LBB118_3730:
	v_cmp_ne_u32_e32 vcc_lo, 0, v4
	s_mov_b32 s6, -1
	s_wait_xcnt 0x0
	v_cndmask_b32_e64 v1, 0, 1, vcc_lo
	global_store_b8 v[2:3], v1, off
.LBB118_3731:
	s_mov_b32 s0, 0
	s_branch .LBB118_3733
.LBB118_3732:
	s_mov_b32 s0, -1
	s_mov_b32 s6, 0
.LBB118_3733:
	s_and_b32 vcc_lo, exec_lo, s0
	s_cbranch_vccz .LBB118_3772
; %bb.3734:
	s_and_b32 s0, 0xffff, s20
	s_mov_b32 s2, -1
	s_cmp_lt_i32 s0, 5
	s_cbranch_scc1 .LBB118_3755
; %bb.3735:
	s_cmp_lt_i32 s0, 8
	s_cbranch_scc1 .LBB118_3745
; %bb.3736:
	;; [unrolled: 3-line block ×3, first 2 shown]
	s_cmp_gt_i32 s0, 9
	s_cbranch_scc0 .LBB118_3739
; %bb.3738:
	s_wait_xcnt 0x0
	v_cvt_f64_i32_e32 v[8:9], v4
	v_mov_b32_e32 v10, 0
	s_mov_b32 s2, 0
	s_delay_alu instid0(VALU_DEP_1)
	v_mov_b32_e32 v11, v10
	global_store_b128 v[2:3], v[8:11], off
.LBB118_3739:
	s_and_not1_b32 vcc_lo, exec_lo, s2
	s_cbranch_vccnz .LBB118_3741
; %bb.3740:
	s_wait_xcnt 0x0
	v_cvt_f32_i32_e32 v8, v4
	v_mov_b32_e32 v9, 0
	global_store_b64 v[2:3], v[8:9], off
.LBB118_3741:
	s_mov_b32 s2, 0
.LBB118_3742:
	s_delay_alu instid0(SALU_CYCLE_1)
	s_and_not1_b32 vcc_lo, exec_lo, s2
	s_cbranch_vccnz .LBB118_3744
; %bb.3743:
	s_wait_xcnt 0x0
	v_cvt_f32_i32_e32 v1, v4
	s_delay_alu instid0(VALU_DEP_1) | instskip(NEXT) | instid1(VALU_DEP_1)
	v_cvt_f16_f32_e32 v1, v1
	v_and_b32_e32 v1, 0xffff, v1
	global_store_b32 v[2:3], v1, off
.LBB118_3744:
	s_mov_b32 s2, 0
.LBB118_3745:
	s_delay_alu instid0(SALU_CYCLE_1)
	s_and_not1_b32 vcc_lo, exec_lo, s2
	s_cbranch_vccnz .LBB118_3754
; %bb.3746:
	s_cmp_lt_i32 s0, 6
	s_mov_b32 s2, -1
	s_cbranch_scc1 .LBB118_3752
; %bb.3747:
	s_cmp_gt_i32 s0, 6
	s_cbranch_scc0 .LBB118_3749
; %bb.3748:
	s_wait_xcnt 0x0
	v_cvt_f64_i32_e32 v[8:9], v4
	s_mov_b32 s2, 0
	global_store_b64 v[2:3], v[8:9], off
.LBB118_3749:
	s_and_not1_b32 vcc_lo, exec_lo, s2
	s_cbranch_vccnz .LBB118_3751
; %bb.3750:
	s_wait_xcnt 0x0
	v_cvt_f32_i32_e32 v1, v4
	global_store_b32 v[2:3], v1, off
.LBB118_3751:
	s_mov_b32 s2, 0
.LBB118_3752:
	s_delay_alu instid0(SALU_CYCLE_1)
	s_and_not1_b32 vcc_lo, exec_lo, s2
	s_cbranch_vccnz .LBB118_3754
; %bb.3753:
	s_wait_xcnt 0x0
	v_cvt_f32_i32_e32 v1, v4
	s_delay_alu instid0(VALU_DEP_1)
	v_cvt_f16_f32_e32 v1, v1
	global_store_b16 v[2:3], v1, off
.LBB118_3754:
	s_mov_b32 s2, 0
.LBB118_3755:
	s_delay_alu instid0(SALU_CYCLE_1)
	s_and_not1_b32 vcc_lo, exec_lo, s2
	s_cbranch_vccnz .LBB118_3771
; %bb.3756:
	s_cmp_lt_i32 s0, 2
	s_mov_b32 s2, -1
	s_cbranch_scc1 .LBB118_3766
; %bb.3757:
	s_cmp_lt_i32 s0, 3
	s_cbranch_scc1 .LBB118_3763
; %bb.3758:
	s_cmp_gt_i32 s0, 3
	s_cbranch_scc0 .LBB118_3760
; %bb.3759:
	s_wait_xcnt 0x0
	v_ashrrev_i32_e32 v5, 31, v4
	s_mov_b32 s2, 0
	global_store_b64 v[2:3], v[4:5], off
.LBB118_3760:
	s_and_not1_b32 vcc_lo, exec_lo, s2
	s_cbranch_vccnz .LBB118_3762
; %bb.3761:
	global_store_b32 v[2:3], v4, off
.LBB118_3762:
	s_mov_b32 s2, 0
.LBB118_3763:
	s_delay_alu instid0(SALU_CYCLE_1)
	s_and_not1_b32 vcc_lo, exec_lo, s2
	s_cbranch_vccnz .LBB118_3765
; %bb.3764:
	global_store_b16 v[2:3], v4, off
.LBB118_3765:
	s_mov_b32 s2, 0
.LBB118_3766:
	s_delay_alu instid0(SALU_CYCLE_1)
	s_and_not1_b32 vcc_lo, exec_lo, s2
	s_cbranch_vccnz .LBB118_3771
; %bb.3767:
	s_cmp_gt_i32 s0, 0
	s_mov_b32 s0, -1
	s_cbranch_scc0 .LBB118_3769
; %bb.3768:
	s_mov_b32 s0, 0
	global_store_b8 v[2:3], v4, off
.LBB118_3769:
	s_and_not1_b32 vcc_lo, exec_lo, s0
	s_cbranch_vccnz .LBB118_3771
; %bb.3770:
	global_store_b8 v[2:3], v4, off
.LBB118_3771:
	s_mov_b32 s6, -1
.LBB118_3772:
	s_delay_alu instid0(SALU_CYCLE_1)
	s_and_not1_b32 vcc_lo, exec_lo, s6
	s_cbranch_vccnz .LBB118_3968
; %bb.3773:
	v_add_nc_u32_e32 v0, s1, v0
	s_wait_xcnt 0x0
	v_maxmin_i32 v4, v14, v16, v17
	s_cmp_lt_i32 s20, 11
	s_delay_alu instid0(VALU_DEP_2) | instskip(NEXT) | instid1(VALU_DEP_1)
	v_ashrrev_i32_e32 v1, 31, v0
	v_add_nc_u64_e32 v[2:3], s[4:5], v[0:1]
	s_cbranch_scc1 .LBB118_3851
; %bb.3774:
	s_and_b32 s2, 0xffff, s20
	s_mov_b32 s7, -1
	s_mov_b32 s3, 0
	s_cmp_gt_i32 s2, 25
	s_mov_b32 s6, 0
	s_mov_b32 s0, 0
	s_cbranch_scc0 .LBB118_3807
; %bb.3775:
	s_cmp_gt_i32 s2, 28
	s_cbranch_scc0 .LBB118_3790
; %bb.3776:
	s_cmp_gt_i32 s2, 43
	;; [unrolled: 3-line block ×3, first 2 shown]
	s_cbranch_scc0 .LBB118_3780
; %bb.3778:
	s_mov_b32 s0, -1
	s_mov_b32 s7, 0
	s_cmp_eq_u32 s2, 46
	s_cbranch_scc0 .LBB118_3780
; %bb.3779:
	v_cvt_f32_i32_e32 v1, v4
	s_mov_b32 s0, 0
	s_mov_b32 s6, -1
	s_delay_alu instid0(VALU_DEP_1) | instskip(NEXT) | instid1(VALU_DEP_1)
	v_bfe_u32 v5, v1, 16, 1
	v_add3_u32 v1, v1, v5, 0x7fff
	s_delay_alu instid0(VALU_DEP_1)
	v_lshrrev_b32_e32 v1, 16, v1
	global_store_b32 v[2:3], v1, off
.LBB118_3780:
	s_and_b32 vcc_lo, exec_lo, s7
	s_cbranch_vccz .LBB118_3785
; %bb.3781:
	s_cmp_eq_u32 s2, 44
	s_mov_b32 s0, -1
	s_cbranch_scc0 .LBB118_3785
; %bb.3782:
	s_wait_xcnt 0x0
	v_cvt_f32_i32_e32 v1, v4
	v_mov_b32_e32 v5, 0xff
	s_mov_b32 s6, exec_lo
	s_delay_alu instid0(VALU_DEP_2) | instskip(NEXT) | instid1(VALU_DEP_1)
	v_bfe_u32 v8, v1, 23, 8
	v_cmpx_ne_u32_e32 0xff, v8
	s_cbranch_execz .LBB118_3784
; %bb.3783:
	v_and_b32_e32 v5, 0x400000, v1
	v_and_or_b32 v8, 0x3fffff, v1, v8
	v_lshrrev_b32_e32 v1, 23, v1
	s_delay_alu instid0(VALU_DEP_3) | instskip(NEXT) | instid1(VALU_DEP_3)
	v_cmp_ne_u32_e32 vcc_lo, 0, v5
	v_cmp_ne_u32_e64 s0, 0, v8
	s_and_b32 s0, vcc_lo, s0
	s_delay_alu instid0(SALU_CYCLE_1) | instskip(NEXT) | instid1(VALU_DEP_1)
	v_cndmask_b32_e64 v5, 0, 1, s0
	v_add_nc_u32_e32 v5, v1, v5
.LBB118_3784:
	s_or_b32 exec_lo, exec_lo, s6
	s_mov_b32 s0, 0
	s_mov_b32 s6, -1
	global_store_b8 v[2:3], v5, off
.LBB118_3785:
	s_mov_b32 s7, 0
.LBB118_3786:
	s_delay_alu instid0(SALU_CYCLE_1)
	s_and_b32 vcc_lo, exec_lo, s7
	s_cbranch_vccz .LBB118_3789
; %bb.3787:
	s_cmp_eq_u32 s2, 29
	s_mov_b32 s0, -1
	s_cbranch_scc0 .LBB118_3789
; %bb.3788:
	s_wait_xcnt 0x0
	v_ashrrev_i32_e32 v5, 31, v4
	s_mov_b32 s0, 0
	s_mov_b32 s6, -1
	global_store_b64 v[2:3], v[4:5], off
.LBB118_3789:
	s_mov_b32 s7, 0
.LBB118_3790:
	s_delay_alu instid0(SALU_CYCLE_1)
	s_and_b32 vcc_lo, exec_lo, s7
	s_cbranch_vccz .LBB118_3806
; %bb.3791:
	s_cmp_lt_i32 s2, 27
	s_mov_b32 s6, -1
	s_cbranch_scc1 .LBB118_3797
; %bb.3792:
	s_cmp_gt_i32 s2, 27
	s_cbranch_scc0 .LBB118_3794
; %bb.3793:
	s_mov_b32 s6, 0
	global_store_b32 v[2:3], v4, off
.LBB118_3794:
	s_and_not1_b32 vcc_lo, exec_lo, s6
	s_cbranch_vccnz .LBB118_3796
; %bb.3795:
	global_store_b16 v[2:3], v4, off
.LBB118_3796:
	s_mov_b32 s6, 0
.LBB118_3797:
	s_delay_alu instid0(SALU_CYCLE_1)
	s_and_not1_b32 vcc_lo, exec_lo, s6
	s_cbranch_vccnz .LBB118_3805
; %bb.3798:
	s_wait_xcnt 0x0
	v_cvt_f32_i32_e32 v1, v4
	v_mov_b32_e32 v8, 0x80
	s_mov_b32 s6, exec_lo
	s_delay_alu instid0(VALU_DEP_2) | instskip(NEXT) | instid1(VALU_DEP_1)
	v_and_b32_e32 v5, 0x7fffffff, v1
	v_cmpx_gt_u32_e32 0x43800000, v5
	s_cbranch_execz .LBB118_3804
; %bb.3799:
	v_cmp_lt_u32_e32 vcc_lo, 0x3bffffff, v5
	s_mov_b32 s7, 0
                                        ; implicit-def: $vgpr5
	s_and_saveexec_b32 s8, vcc_lo
	s_delay_alu instid0(SALU_CYCLE_1)
	s_xor_b32 s8, exec_lo, s8
	s_cbranch_execz .LBB118_4025
; %bb.3800:
	v_bfe_u32 v5, v1, 20, 1
	s_mov_b32 s7, exec_lo
	s_delay_alu instid0(VALU_DEP_1) | instskip(NEXT) | instid1(VALU_DEP_1)
	v_add3_u32 v5, v1, v5, 0x487ffff
	v_lshrrev_b32_e32 v5, 20, v5
	s_and_not1_saveexec_b32 s8, s8
	s_cbranch_execnz .LBB118_4026
.LBB118_3801:
	s_or_b32 exec_lo, exec_lo, s8
	v_mov_b32_e32 v8, 0
	s_and_saveexec_b32 s8, s7
.LBB118_3802:
	v_lshrrev_b32_e32 v1, 24, v1
	s_delay_alu instid0(VALU_DEP_1)
	v_and_or_b32 v8, 0x80, v1, v5
.LBB118_3803:
	s_or_b32 exec_lo, exec_lo, s8
.LBB118_3804:
	s_delay_alu instid0(SALU_CYCLE_1)
	s_or_b32 exec_lo, exec_lo, s6
	global_store_b8 v[2:3], v8, off
.LBB118_3805:
	s_mov_b32 s6, -1
.LBB118_3806:
	s_mov_b32 s7, 0
.LBB118_3807:
	s_delay_alu instid0(SALU_CYCLE_1)
	s_and_b32 vcc_lo, exec_lo, s7
	s_cbranch_vccz .LBB118_3847
; %bb.3808:
	s_cmp_gt_i32 s2, 22
	s_mov_b32 s3, -1
	s_cbranch_scc0 .LBB118_3840
; %bb.3809:
	s_cmp_lt_i32 s2, 24
	s_cbranch_scc1 .LBB118_3829
; %bb.3810:
	s_cmp_gt_i32 s2, 24
	s_cbranch_scc0 .LBB118_3818
; %bb.3811:
	s_wait_xcnt 0x0
	v_cvt_f32_i32_e32 v1, v4
	v_mov_b32_e32 v8, 0x80
	s_mov_b32 s3, exec_lo
	s_delay_alu instid0(VALU_DEP_2) | instskip(NEXT) | instid1(VALU_DEP_1)
	v_and_b32_e32 v5, 0x7fffffff, v1
	v_cmpx_gt_u32_e32 0x47800000, v5
	s_cbranch_execz .LBB118_3817
; %bb.3812:
	v_cmp_lt_u32_e32 vcc_lo, 0x37ffffff, v5
	s_mov_b32 s6, 0
                                        ; implicit-def: $vgpr5
	s_and_saveexec_b32 s7, vcc_lo
	s_delay_alu instid0(SALU_CYCLE_1)
	s_xor_b32 s7, exec_lo, s7
	s_cbranch_execz .LBB118_4028
; %bb.3813:
	v_bfe_u32 v5, v1, 21, 1
	s_mov_b32 s6, exec_lo
	s_delay_alu instid0(VALU_DEP_1) | instskip(NEXT) | instid1(VALU_DEP_1)
	v_add3_u32 v5, v1, v5, 0x88fffff
	v_lshrrev_b32_e32 v5, 21, v5
	s_and_not1_saveexec_b32 s7, s7
	s_cbranch_execnz .LBB118_4029
.LBB118_3814:
	s_or_b32 exec_lo, exec_lo, s7
	v_mov_b32_e32 v8, 0
	s_and_saveexec_b32 s7, s6
.LBB118_3815:
	v_lshrrev_b32_e32 v1, 24, v1
	s_delay_alu instid0(VALU_DEP_1)
	v_and_or_b32 v8, 0x80, v1, v5
.LBB118_3816:
	s_or_b32 exec_lo, exec_lo, s7
.LBB118_3817:
	s_delay_alu instid0(SALU_CYCLE_1)
	s_or_b32 exec_lo, exec_lo, s3
	s_mov_b32 s3, 0
	global_store_b8 v[2:3], v8, off
.LBB118_3818:
	s_and_b32 vcc_lo, exec_lo, s3
	s_cbranch_vccz .LBB118_3828
; %bb.3819:
	s_wait_xcnt 0x0
	v_cvt_f32_i32_e32 v1, v4
	s_mov_b32 s3, exec_lo
                                        ; implicit-def: $vgpr5
	s_delay_alu instid0(VALU_DEP_1) | instskip(NEXT) | instid1(VALU_DEP_1)
	v_and_b32_e32 v8, 0x7fffffff, v1
	v_cmpx_gt_u32_e32 0x43f00000, v8
	s_xor_b32 s3, exec_lo, s3
	s_cbranch_execz .LBB118_3825
; %bb.3820:
	s_mov_b32 s6, exec_lo
                                        ; implicit-def: $vgpr5
	v_cmpx_lt_u32_e32 0x3c7fffff, v8
	s_xor_b32 s6, exec_lo, s6
; %bb.3821:
	v_bfe_u32 v5, v1, 20, 1
	s_delay_alu instid0(VALU_DEP_1) | instskip(NEXT) | instid1(VALU_DEP_1)
	v_add3_u32 v5, v1, v5, 0x407ffff
	v_and_b32_e32 v8, 0xff00000, v5
	v_lshrrev_b32_e32 v5, 20, v5
	s_delay_alu instid0(VALU_DEP_2) | instskip(NEXT) | instid1(VALU_DEP_2)
	v_cmp_ne_u32_e32 vcc_lo, 0x7f00000, v8
	v_cndmask_b32_e32 v5, 0x7e, v5, vcc_lo
; %bb.3822:
	s_and_not1_saveexec_b32 s6, s6
; %bb.3823:
	v_add_f32_e64 v5, 0x46800000, |v1|
; %bb.3824:
	s_or_b32 exec_lo, exec_lo, s6
                                        ; implicit-def: $vgpr8
.LBB118_3825:
	s_and_not1_saveexec_b32 s3, s3
; %bb.3826:
	v_mov_b32_e32 v5, 0x7f
	v_cmp_lt_u32_e32 vcc_lo, 0x7f800000, v8
	s_delay_alu instid0(VALU_DEP_2)
	v_cndmask_b32_e32 v5, 0x7e, v5, vcc_lo
; %bb.3827:
	s_or_b32 exec_lo, exec_lo, s3
	v_lshrrev_b32_e32 v1, 24, v1
	s_delay_alu instid0(VALU_DEP_1)
	v_and_or_b32 v1, 0x80, v1, v5
	global_store_b8 v[2:3], v1, off
.LBB118_3828:
	s_mov_b32 s3, 0
.LBB118_3829:
	s_delay_alu instid0(SALU_CYCLE_1)
	s_and_not1_b32 vcc_lo, exec_lo, s3
	s_cbranch_vccnz .LBB118_3839
; %bb.3830:
	s_wait_xcnt 0x0
	v_cvt_f32_i32_e32 v1, v4
	s_mov_b32 s3, exec_lo
                                        ; implicit-def: $vgpr5
	s_delay_alu instid0(VALU_DEP_1) | instskip(NEXT) | instid1(VALU_DEP_1)
	v_and_b32_e32 v8, 0x7fffffff, v1
	v_cmpx_gt_u32_e32 0x47800000, v8
	s_xor_b32 s3, exec_lo, s3
	s_cbranch_execz .LBB118_3836
; %bb.3831:
	s_mov_b32 s6, exec_lo
                                        ; implicit-def: $vgpr5
	v_cmpx_lt_u32_e32 0x387fffff, v8
	s_xor_b32 s6, exec_lo, s6
; %bb.3832:
	v_bfe_u32 v5, v1, 21, 1
	s_delay_alu instid0(VALU_DEP_1) | instskip(NEXT) | instid1(VALU_DEP_1)
	v_add3_u32 v5, v1, v5, 0x80fffff
	v_lshrrev_b32_e32 v5, 21, v5
; %bb.3833:
	s_and_not1_saveexec_b32 s6, s6
; %bb.3834:
	v_add_f32_e64 v5, 0x43000000, |v1|
; %bb.3835:
	s_or_b32 exec_lo, exec_lo, s6
                                        ; implicit-def: $vgpr8
.LBB118_3836:
	s_and_not1_saveexec_b32 s3, s3
; %bb.3837:
	v_mov_b32_e32 v5, 0x7f
	v_cmp_lt_u32_e32 vcc_lo, 0x7f800000, v8
	s_delay_alu instid0(VALU_DEP_2)
	v_cndmask_b32_e32 v5, 0x7c, v5, vcc_lo
; %bb.3838:
	s_or_b32 exec_lo, exec_lo, s3
	v_lshrrev_b32_e32 v1, 24, v1
	s_delay_alu instid0(VALU_DEP_1)
	v_and_or_b32 v1, 0x80, v1, v5
	global_store_b8 v[2:3], v1, off
.LBB118_3839:
	s_mov_b32 s3, 0
	s_mov_b32 s6, -1
.LBB118_3840:
	s_and_not1_b32 vcc_lo, exec_lo, s3
	s_mov_b32 s3, 0
	s_cbranch_vccnz .LBB118_3847
; %bb.3841:
	s_cmp_gt_i32 s2, 14
	s_mov_b32 s3, -1
	s_cbranch_scc0 .LBB118_3845
; %bb.3842:
	s_cmp_eq_u32 s2, 15
	s_mov_b32 s0, -1
	s_cbranch_scc0 .LBB118_3844
; %bb.3843:
	s_wait_xcnt 0x0
	v_cvt_f32_i32_e32 v1, v4
	s_mov_b32 s0, 0
	s_mov_b32 s6, -1
	s_delay_alu instid0(VALU_DEP_1) | instskip(NEXT) | instid1(VALU_DEP_1)
	v_bfe_u32 v5, v1, 16, 1
	v_add3_u32 v1, v1, v5, 0x7fff
	global_store_d16_hi_b16 v[2:3], v1, off
.LBB118_3844:
	s_mov_b32 s3, 0
.LBB118_3845:
	s_delay_alu instid0(SALU_CYCLE_1)
	s_and_b32 vcc_lo, exec_lo, s3
	s_mov_b32 s3, 0
	s_cbranch_vccz .LBB118_3847
; %bb.3846:
	s_cmp_lg_u32 s2, 11
	s_mov_b32 s3, -1
	s_cselect_b32 s0, -1, 0
.LBB118_3847:
	s_delay_alu instid0(SALU_CYCLE_1)
	s_and_b32 vcc_lo, exec_lo, s0
	s_cbranch_vccnz .LBB118_4027
; %bb.3848:
	s_and_not1_b32 vcc_lo, exec_lo, s3
	s_cbranch_vccnz .LBB118_3850
.LBB118_3849:
	v_cmp_ne_u32_e32 vcc_lo, 0, v4
	s_mov_b32 s6, -1
	s_wait_xcnt 0x0
	v_cndmask_b32_e64 v1, 0, 1, vcc_lo
	global_store_b8 v[2:3], v1, off
.LBB118_3850:
	s_mov_b32 s0, 0
	s_branch .LBB118_3852
.LBB118_3851:
	s_mov_b32 s0, -1
	s_mov_b32 s6, 0
.LBB118_3852:
	s_and_b32 vcc_lo, exec_lo, s0
	s_cbranch_vccz .LBB118_3891
; %bb.3853:
	s_and_b32 s0, 0xffff, s20
	s_mov_b32 s2, -1
	s_cmp_lt_i32 s0, 5
	s_cbranch_scc1 .LBB118_3874
; %bb.3854:
	s_cmp_lt_i32 s0, 8
	s_cbranch_scc1 .LBB118_3864
; %bb.3855:
	;; [unrolled: 3-line block ×3, first 2 shown]
	s_cmp_gt_i32 s0, 9
	s_cbranch_scc0 .LBB118_3858
; %bb.3857:
	s_wait_xcnt 0x0
	v_cvt_f64_i32_e32 v[8:9], v4
	v_mov_b32_e32 v10, 0
	s_mov_b32 s2, 0
	s_delay_alu instid0(VALU_DEP_1)
	v_mov_b32_e32 v11, v10
	global_store_b128 v[2:3], v[8:11], off
.LBB118_3858:
	s_and_not1_b32 vcc_lo, exec_lo, s2
	s_cbranch_vccnz .LBB118_3860
; %bb.3859:
	s_wait_xcnt 0x0
	v_cvt_f32_i32_e32 v8, v4
	v_mov_b32_e32 v9, 0
	global_store_b64 v[2:3], v[8:9], off
.LBB118_3860:
	s_mov_b32 s2, 0
.LBB118_3861:
	s_delay_alu instid0(SALU_CYCLE_1)
	s_and_not1_b32 vcc_lo, exec_lo, s2
	s_cbranch_vccnz .LBB118_3863
; %bb.3862:
	s_wait_xcnt 0x0
	v_cvt_f32_i32_e32 v1, v4
	s_delay_alu instid0(VALU_DEP_1) | instskip(NEXT) | instid1(VALU_DEP_1)
	v_cvt_f16_f32_e32 v1, v1
	v_and_b32_e32 v1, 0xffff, v1
	global_store_b32 v[2:3], v1, off
.LBB118_3863:
	s_mov_b32 s2, 0
.LBB118_3864:
	s_delay_alu instid0(SALU_CYCLE_1)
	s_and_not1_b32 vcc_lo, exec_lo, s2
	s_cbranch_vccnz .LBB118_3873
; %bb.3865:
	s_cmp_lt_i32 s0, 6
	s_mov_b32 s2, -1
	s_cbranch_scc1 .LBB118_3871
; %bb.3866:
	s_cmp_gt_i32 s0, 6
	s_cbranch_scc0 .LBB118_3868
; %bb.3867:
	s_wait_xcnt 0x0
	v_cvt_f64_i32_e32 v[8:9], v4
	s_mov_b32 s2, 0
	global_store_b64 v[2:3], v[8:9], off
.LBB118_3868:
	s_and_not1_b32 vcc_lo, exec_lo, s2
	s_cbranch_vccnz .LBB118_3870
; %bb.3869:
	s_wait_xcnt 0x0
	v_cvt_f32_i32_e32 v1, v4
	global_store_b32 v[2:3], v1, off
.LBB118_3870:
	s_mov_b32 s2, 0
.LBB118_3871:
	s_delay_alu instid0(SALU_CYCLE_1)
	s_and_not1_b32 vcc_lo, exec_lo, s2
	s_cbranch_vccnz .LBB118_3873
; %bb.3872:
	s_wait_xcnt 0x0
	v_cvt_f32_i32_e32 v1, v4
	s_delay_alu instid0(VALU_DEP_1)
	v_cvt_f16_f32_e32 v1, v1
	global_store_b16 v[2:3], v1, off
.LBB118_3873:
	s_mov_b32 s2, 0
.LBB118_3874:
	s_delay_alu instid0(SALU_CYCLE_1)
	s_and_not1_b32 vcc_lo, exec_lo, s2
	s_cbranch_vccnz .LBB118_3890
; %bb.3875:
	s_cmp_lt_i32 s0, 2
	s_mov_b32 s2, -1
	s_cbranch_scc1 .LBB118_3885
; %bb.3876:
	s_cmp_lt_i32 s0, 3
	s_cbranch_scc1 .LBB118_3882
; %bb.3877:
	s_cmp_gt_i32 s0, 3
	s_cbranch_scc0 .LBB118_3879
; %bb.3878:
	s_wait_xcnt 0x0
	v_ashrrev_i32_e32 v5, 31, v4
	s_mov_b32 s2, 0
	global_store_b64 v[2:3], v[4:5], off
.LBB118_3879:
	s_and_not1_b32 vcc_lo, exec_lo, s2
	s_cbranch_vccnz .LBB118_3881
; %bb.3880:
	global_store_b32 v[2:3], v4, off
.LBB118_3881:
	s_mov_b32 s2, 0
.LBB118_3882:
	s_delay_alu instid0(SALU_CYCLE_1)
	s_and_not1_b32 vcc_lo, exec_lo, s2
	s_cbranch_vccnz .LBB118_3884
; %bb.3883:
	global_store_b16 v[2:3], v4, off
.LBB118_3884:
	s_mov_b32 s2, 0
.LBB118_3885:
	s_delay_alu instid0(SALU_CYCLE_1)
	s_and_not1_b32 vcc_lo, exec_lo, s2
	s_cbranch_vccnz .LBB118_3890
; %bb.3886:
	s_cmp_gt_i32 s0, 0
	s_mov_b32 s0, -1
	s_cbranch_scc0 .LBB118_3888
; %bb.3887:
	s_mov_b32 s0, 0
	global_store_b8 v[2:3], v4, off
.LBB118_3888:
	s_and_not1_b32 vcc_lo, exec_lo, s0
	s_cbranch_vccnz .LBB118_3890
; %bb.3889:
	global_store_b8 v[2:3], v4, off
.LBB118_3890:
	s_mov_b32 s6, -1
.LBB118_3891:
	s_delay_alu instid0(SALU_CYCLE_1)
	s_and_not1_b32 vcc_lo, exec_lo, s6
	s_cbranch_vccnz .LBB118_3968
; %bb.3892:
	v_add_nc_u32_e32 v0, s1, v0
	s_wait_xcnt 0x0
	v_maxmin_i32 v2, v6, v7, v18
	s_cmp_lt_i32 s20, 11
	s_delay_alu instid0(VALU_DEP_2) | instskip(NEXT) | instid1(VALU_DEP_1)
	v_ashrrev_i32_e32 v1, 31, v0
	v_add_nc_u64_e32 v[0:1], s[4:5], v[0:1]
	s_cbranch_scc1 .LBB118_4013
; %bb.3893:
	s_and_b32 s2, 0xffff, s20
	s_mov_b32 s3, -1
	s_mov_b32 s1, 0
	s_cmp_gt_i32 s2, 25
	s_mov_b32 s0, 0
	s_cbranch_scc0 .LBB118_3926
; %bb.3894:
	s_cmp_gt_i32 s2, 28
	s_cbranch_scc0 .LBB118_3910
; %bb.3895:
	s_cmp_gt_i32 s2, 43
	;; [unrolled: 3-line block ×3, first 2 shown]
	s_cbranch_scc0 .LBB118_3900
; %bb.3897:
	s_cmp_eq_u32 s2, 46
	s_mov_b32 s0, -1
	s_cbranch_scc0 .LBB118_3899
; %bb.3898:
	v_cvt_f32_i32_e32 v3, v2
	s_mov_b32 s0, 0
	s_delay_alu instid0(VALU_DEP_1) | instskip(NEXT) | instid1(VALU_DEP_1)
	v_bfe_u32 v4, v3, 16, 1
	v_add3_u32 v3, v3, v4, 0x7fff
	s_delay_alu instid0(VALU_DEP_1)
	v_lshrrev_b32_e32 v3, 16, v3
	global_store_b32 v[0:1], v3, off
.LBB118_3899:
	s_mov_b32 s3, 0
.LBB118_3900:
	s_delay_alu instid0(SALU_CYCLE_1)
	s_and_b32 vcc_lo, exec_lo, s3
	s_cbranch_vccz .LBB118_3905
; %bb.3901:
	s_cmp_eq_u32 s2, 44
	s_mov_b32 s0, -1
	s_cbranch_scc0 .LBB118_3905
; %bb.3902:
	s_wait_xcnt 0x0
	v_cvt_f32_i32_e32 v3, v2
	v_mov_b32_e32 v4, 0xff
	s_mov_b32 s3, exec_lo
	s_delay_alu instid0(VALU_DEP_2) | instskip(NEXT) | instid1(VALU_DEP_1)
	v_bfe_u32 v5, v3, 23, 8
	v_cmpx_ne_u32_e32 0xff, v5
	s_cbranch_execz .LBB118_3904
; %bb.3903:
	v_and_b32_e32 v4, 0x400000, v3
	v_and_or_b32 v5, 0x3fffff, v3, v5
	v_lshrrev_b32_e32 v3, 23, v3
	s_delay_alu instid0(VALU_DEP_3) | instskip(NEXT) | instid1(VALU_DEP_3)
	v_cmp_ne_u32_e32 vcc_lo, 0, v4
	v_cmp_ne_u32_e64 s0, 0, v5
	s_and_b32 s0, vcc_lo, s0
	s_delay_alu instid0(SALU_CYCLE_1) | instskip(NEXT) | instid1(VALU_DEP_1)
	v_cndmask_b32_e64 v4, 0, 1, s0
	v_add_nc_u32_e32 v4, v3, v4
.LBB118_3904:
	s_or_b32 exec_lo, exec_lo, s3
	s_mov_b32 s0, 0
	global_store_b8 v[0:1], v4, off
.LBB118_3905:
	s_mov_b32 s3, 0
.LBB118_3906:
	s_delay_alu instid0(SALU_CYCLE_1)
	s_and_b32 vcc_lo, exec_lo, s3
	s_cbranch_vccz .LBB118_3909
; %bb.3907:
	s_cmp_eq_u32 s2, 29
	s_mov_b32 s0, -1
	s_cbranch_scc0 .LBB118_3909
; %bb.3908:
	s_wait_xcnt 0x0
	v_ashrrev_i32_e32 v3, 31, v2
	s_mov_b32 s0, 0
	global_store_b64 v[0:1], v[2:3], off
.LBB118_3909:
	s_mov_b32 s3, 0
.LBB118_3910:
	s_delay_alu instid0(SALU_CYCLE_1)
	s_and_b32 vcc_lo, exec_lo, s3
	s_cbranch_vccz .LBB118_3925
; %bb.3911:
	s_cmp_lt_i32 s2, 27
	s_mov_b32 s3, -1
	s_cbranch_scc1 .LBB118_3917
; %bb.3912:
	s_cmp_gt_i32 s2, 27
	s_cbranch_scc0 .LBB118_3914
; %bb.3913:
	s_mov_b32 s3, 0
	global_store_b32 v[0:1], v2, off
.LBB118_3914:
	s_and_not1_b32 vcc_lo, exec_lo, s3
	s_cbranch_vccnz .LBB118_3916
; %bb.3915:
	global_store_b16 v[0:1], v2, off
.LBB118_3916:
	s_mov_b32 s3, 0
.LBB118_3917:
	s_delay_alu instid0(SALU_CYCLE_1)
	s_and_not1_b32 vcc_lo, exec_lo, s3
	s_cbranch_vccnz .LBB118_3925
; %bb.3918:
	s_wait_xcnt 0x0
	v_cvt_f32_i32_e32 v3, v2
	v_mov_b32_e32 v5, 0x80
	s_mov_b32 s3, exec_lo
	s_delay_alu instid0(VALU_DEP_2) | instskip(NEXT) | instid1(VALU_DEP_1)
	v_and_b32_e32 v4, 0x7fffffff, v3
	v_cmpx_gt_u32_e32 0x43800000, v4
	s_cbranch_execz .LBB118_3924
; %bb.3919:
	v_cmp_lt_u32_e32 vcc_lo, 0x3bffffff, v4
	s_mov_b32 s4, 0
                                        ; implicit-def: $vgpr4
	s_and_saveexec_b32 s5, vcc_lo
	s_delay_alu instid0(SALU_CYCLE_1)
	s_xor_b32 s5, exec_lo, s5
	s_cbranch_execz .LBB118_4030
; %bb.3920:
	v_bfe_u32 v4, v3, 20, 1
	s_mov_b32 s4, exec_lo
	s_delay_alu instid0(VALU_DEP_1) | instskip(NEXT) | instid1(VALU_DEP_1)
	v_add3_u32 v4, v3, v4, 0x487ffff
	v_lshrrev_b32_e32 v4, 20, v4
	s_and_not1_saveexec_b32 s5, s5
	s_cbranch_execnz .LBB118_4031
.LBB118_3921:
	s_or_b32 exec_lo, exec_lo, s5
	v_mov_b32_e32 v5, 0
	s_and_saveexec_b32 s5, s4
.LBB118_3922:
	v_lshrrev_b32_e32 v3, 24, v3
	s_delay_alu instid0(VALU_DEP_1)
	v_and_or_b32 v5, 0x80, v3, v4
.LBB118_3923:
	s_or_b32 exec_lo, exec_lo, s5
.LBB118_3924:
	s_delay_alu instid0(SALU_CYCLE_1)
	s_or_b32 exec_lo, exec_lo, s3
	global_store_b8 v[0:1], v5, off
.LBB118_3925:
	s_mov_b32 s3, 0
.LBB118_3926:
	s_delay_alu instid0(SALU_CYCLE_1)
	s_and_b32 vcc_lo, exec_lo, s3
	s_cbranch_vccz .LBB118_3966
; %bb.3927:
	s_cmp_gt_i32 s2, 22
	s_mov_b32 s1, -1
	s_cbranch_scc0 .LBB118_3959
; %bb.3928:
	s_cmp_lt_i32 s2, 24
	s_cbranch_scc1 .LBB118_3948
; %bb.3929:
	s_cmp_gt_i32 s2, 24
	s_cbranch_scc0 .LBB118_3937
; %bb.3930:
	s_wait_xcnt 0x0
	v_cvt_f32_i32_e32 v3, v2
	v_mov_b32_e32 v5, 0x80
	s_mov_b32 s1, exec_lo
	s_delay_alu instid0(VALU_DEP_2) | instskip(NEXT) | instid1(VALU_DEP_1)
	v_and_b32_e32 v4, 0x7fffffff, v3
	v_cmpx_gt_u32_e32 0x47800000, v4
	s_cbranch_execz .LBB118_3936
; %bb.3931:
	v_cmp_lt_u32_e32 vcc_lo, 0x37ffffff, v4
	s_mov_b32 s3, 0
                                        ; implicit-def: $vgpr4
	s_and_saveexec_b32 s4, vcc_lo
	s_delay_alu instid0(SALU_CYCLE_1)
	s_xor_b32 s4, exec_lo, s4
	s_cbranch_execz .LBB118_4033
; %bb.3932:
	v_bfe_u32 v4, v3, 21, 1
	s_mov_b32 s3, exec_lo
	s_delay_alu instid0(VALU_DEP_1) | instskip(NEXT) | instid1(VALU_DEP_1)
	v_add3_u32 v4, v3, v4, 0x88fffff
	v_lshrrev_b32_e32 v4, 21, v4
	s_and_not1_saveexec_b32 s4, s4
	s_cbranch_execnz .LBB118_4034
.LBB118_3933:
	s_or_b32 exec_lo, exec_lo, s4
	v_mov_b32_e32 v5, 0
	s_and_saveexec_b32 s4, s3
.LBB118_3934:
	v_lshrrev_b32_e32 v3, 24, v3
	s_delay_alu instid0(VALU_DEP_1)
	v_and_or_b32 v5, 0x80, v3, v4
.LBB118_3935:
	s_or_b32 exec_lo, exec_lo, s4
.LBB118_3936:
	s_delay_alu instid0(SALU_CYCLE_1)
	s_or_b32 exec_lo, exec_lo, s1
	s_mov_b32 s1, 0
	global_store_b8 v[0:1], v5, off
.LBB118_3937:
	s_and_b32 vcc_lo, exec_lo, s1
	s_cbranch_vccz .LBB118_3947
; %bb.3938:
	s_wait_xcnt 0x0
	v_cvt_f32_i32_e32 v3, v2
	s_mov_b32 s1, exec_lo
                                        ; implicit-def: $vgpr4
	s_delay_alu instid0(VALU_DEP_1) | instskip(NEXT) | instid1(VALU_DEP_1)
	v_and_b32_e32 v5, 0x7fffffff, v3
	v_cmpx_gt_u32_e32 0x43f00000, v5
	s_xor_b32 s1, exec_lo, s1
	s_cbranch_execz .LBB118_3944
; %bb.3939:
	s_mov_b32 s3, exec_lo
                                        ; implicit-def: $vgpr4
	v_cmpx_lt_u32_e32 0x3c7fffff, v5
	s_xor_b32 s3, exec_lo, s3
; %bb.3940:
	v_bfe_u32 v4, v3, 20, 1
	s_delay_alu instid0(VALU_DEP_1) | instskip(NEXT) | instid1(VALU_DEP_1)
	v_add3_u32 v4, v3, v4, 0x407ffff
	v_and_b32_e32 v5, 0xff00000, v4
	v_lshrrev_b32_e32 v4, 20, v4
	s_delay_alu instid0(VALU_DEP_2) | instskip(NEXT) | instid1(VALU_DEP_2)
	v_cmp_ne_u32_e32 vcc_lo, 0x7f00000, v5
	v_cndmask_b32_e32 v4, 0x7e, v4, vcc_lo
; %bb.3941:
	s_and_not1_saveexec_b32 s3, s3
; %bb.3942:
	v_add_f32_e64 v4, 0x46800000, |v3|
; %bb.3943:
	s_or_b32 exec_lo, exec_lo, s3
                                        ; implicit-def: $vgpr5
.LBB118_3944:
	s_and_not1_saveexec_b32 s1, s1
; %bb.3945:
	v_mov_b32_e32 v4, 0x7f
	v_cmp_lt_u32_e32 vcc_lo, 0x7f800000, v5
	s_delay_alu instid0(VALU_DEP_2)
	v_cndmask_b32_e32 v4, 0x7e, v4, vcc_lo
; %bb.3946:
	s_or_b32 exec_lo, exec_lo, s1
	v_lshrrev_b32_e32 v3, 24, v3
	s_delay_alu instid0(VALU_DEP_1)
	v_and_or_b32 v3, 0x80, v3, v4
	global_store_b8 v[0:1], v3, off
.LBB118_3947:
	s_mov_b32 s1, 0
.LBB118_3948:
	s_delay_alu instid0(SALU_CYCLE_1)
	s_and_not1_b32 vcc_lo, exec_lo, s1
	s_cbranch_vccnz .LBB118_3958
; %bb.3949:
	s_wait_xcnt 0x0
	v_cvt_f32_i32_e32 v3, v2
	s_mov_b32 s1, exec_lo
                                        ; implicit-def: $vgpr4
	s_delay_alu instid0(VALU_DEP_1) | instskip(NEXT) | instid1(VALU_DEP_1)
	v_and_b32_e32 v5, 0x7fffffff, v3
	v_cmpx_gt_u32_e32 0x47800000, v5
	s_xor_b32 s1, exec_lo, s1
	s_cbranch_execz .LBB118_3955
; %bb.3950:
	s_mov_b32 s3, exec_lo
                                        ; implicit-def: $vgpr4
	v_cmpx_lt_u32_e32 0x387fffff, v5
	s_xor_b32 s3, exec_lo, s3
; %bb.3951:
	v_bfe_u32 v4, v3, 21, 1
	s_delay_alu instid0(VALU_DEP_1) | instskip(NEXT) | instid1(VALU_DEP_1)
	v_add3_u32 v4, v3, v4, 0x80fffff
	v_lshrrev_b32_e32 v4, 21, v4
; %bb.3952:
	s_and_not1_saveexec_b32 s3, s3
; %bb.3953:
	v_add_f32_e64 v4, 0x43000000, |v3|
; %bb.3954:
	s_or_b32 exec_lo, exec_lo, s3
                                        ; implicit-def: $vgpr5
.LBB118_3955:
	s_and_not1_saveexec_b32 s1, s1
; %bb.3956:
	v_mov_b32_e32 v4, 0x7f
	v_cmp_lt_u32_e32 vcc_lo, 0x7f800000, v5
	s_delay_alu instid0(VALU_DEP_2)
	v_cndmask_b32_e32 v4, 0x7c, v4, vcc_lo
; %bb.3957:
	s_or_b32 exec_lo, exec_lo, s1
	v_lshrrev_b32_e32 v3, 24, v3
	s_delay_alu instid0(VALU_DEP_1)
	v_and_or_b32 v3, 0x80, v3, v4
	global_store_b8 v[0:1], v3, off
.LBB118_3958:
	s_mov_b32 s1, 0
.LBB118_3959:
	s_delay_alu instid0(SALU_CYCLE_1)
	s_and_not1_b32 vcc_lo, exec_lo, s1
	s_mov_b32 s1, 0
	s_cbranch_vccnz .LBB118_3966
; %bb.3960:
	s_cmp_gt_i32 s2, 14
	s_mov_b32 s1, -1
	s_cbranch_scc0 .LBB118_3964
; %bb.3961:
	s_cmp_eq_u32 s2, 15
	s_mov_b32 s0, -1
	s_cbranch_scc0 .LBB118_3963
; %bb.3962:
	s_wait_xcnt 0x0
	v_cvt_f32_i32_e32 v3, v2
	s_mov_b32 s0, 0
	s_delay_alu instid0(VALU_DEP_1) | instskip(NEXT) | instid1(VALU_DEP_1)
	v_bfe_u32 v4, v3, 16, 1
	v_add3_u32 v3, v3, v4, 0x7fff
	global_store_d16_hi_b16 v[0:1], v3, off
.LBB118_3963:
	s_mov_b32 s1, 0
.LBB118_3964:
	s_delay_alu instid0(SALU_CYCLE_1)
	s_and_b32 vcc_lo, exec_lo, s1
	s_mov_b32 s1, 0
	s_cbranch_vccz .LBB118_3966
; %bb.3965:
	s_cmp_lg_u32 s2, 11
	s_mov_b32 s1, -1
	s_cselect_b32 s0, -1, 0
.LBB118_3966:
	s_delay_alu instid0(SALU_CYCLE_1)
	s_and_b32 vcc_lo, exec_lo, s0
	s_cbranch_vccnz .LBB118_4032
.LBB118_3967:
	s_mov_b32 s0, 0
	s_branch .LBB118_3969
.LBB118_3968:
	s_mov_b32 s0, 0
	s_mov_b32 s1, 0
                                        ; implicit-def: $sgpr20
                                        ; implicit-def: $vgpr0_vgpr1
                                        ; implicit-def: $vgpr2
.LBB118_3969:
	s_and_not1_b32 s2, s19, exec_lo
	s_and_b32 s3, s16, exec_lo
	s_and_b32 s0, s0, exec_lo
	;; [unrolled: 1-line block ×3, first 2 shown]
	s_or_b32 s19, s2, s3
.LBB118_3970:
	s_wait_xcnt 0x0
	s_or_b32 exec_lo, exec_lo, s18
	s_and_saveexec_b32 s1, s19
	s_cbranch_execz .LBB118_3973
; %bb.3971:
	; divergent unreachable
	s_or_b32 exec_lo, exec_lo, s1
	s_and_saveexec_b32 s1, s16
	s_delay_alu instid0(SALU_CYCLE_1)
	s_xor_b32 s1, exec_lo, s1
	s_cbranch_execnz .LBB118_3974
.LBB118_3972:
	s_or_b32 exec_lo, exec_lo, s1
	s_and_saveexec_b32 s1, s0
	s_cbranch_execnz .LBB118_3975
	s_branch .LBB118_4012
.LBB118_3973:
	s_or_b32 exec_lo, exec_lo, s1
	s_and_saveexec_b32 s1, s16
	s_delay_alu instid0(SALU_CYCLE_1)
	s_xor_b32 s1, exec_lo, s1
	s_cbranch_execz .LBB118_3972
.LBB118_3974:
	s_wait_loadcnt 0x0
	v_cmp_ne_u32_e32 vcc_lo, 0, v2
	v_cndmask_b32_e64 v3, 0, 1, vcc_lo
	global_store_b8 v[0:1], v3, off
	s_wait_xcnt 0x0
	s_or_b32 exec_lo, exec_lo, s1
	s_and_saveexec_b32 s1, s0
	s_cbranch_execz .LBB118_4012
.LBB118_3975:
	s_sext_i32_i16 s1, s20
	s_mov_b32 s0, -1
	s_cmp_lt_i32 s1, 5
	s_cbranch_scc1 .LBB118_3996
; %bb.3976:
	s_cmp_lt_i32 s1, 8
	s_cbranch_scc1 .LBB118_3986
; %bb.3977:
	;; [unrolled: 3-line block ×3, first 2 shown]
	s_cmp_gt_i32 s1, 9
	s_cbranch_scc0 .LBB118_3980
; %bb.3979:
	s_wait_loadcnt 0x0
	v_cvt_f64_i32_e32 v[4:5], v2
	v_mov_b32_e32 v6, 0
	s_mov_b32 s0, 0
	s_delay_alu instid0(VALU_DEP_1)
	v_mov_b32_e32 v7, v6
	global_store_b128 v[0:1], v[4:7], off
.LBB118_3980:
	s_and_not1_b32 vcc_lo, exec_lo, s0
	s_cbranch_vccnz .LBB118_3982
; %bb.3981:
	s_wait_loadcnt 0x0
	v_cvt_f32_i32_e32 v4, v2
	v_mov_b32_e32 v5, 0
	global_store_b64 v[0:1], v[4:5], off
.LBB118_3982:
	s_mov_b32 s0, 0
.LBB118_3983:
	s_delay_alu instid0(SALU_CYCLE_1)
	s_and_not1_b32 vcc_lo, exec_lo, s0
	s_cbranch_vccnz .LBB118_3985
; %bb.3984:
	s_wait_loadcnt 0x0
	v_cvt_f32_i32_e32 v3, v2
	s_delay_alu instid0(VALU_DEP_1) | instskip(NEXT) | instid1(VALU_DEP_1)
	v_cvt_f16_f32_e32 v3, v3
	v_and_b32_e32 v3, 0xffff, v3
	global_store_b32 v[0:1], v3, off
.LBB118_3985:
	s_mov_b32 s0, 0
.LBB118_3986:
	s_delay_alu instid0(SALU_CYCLE_1)
	s_and_not1_b32 vcc_lo, exec_lo, s0
	s_cbranch_vccnz .LBB118_3995
; %bb.3987:
	s_sext_i32_i16 s1, s20
	s_mov_b32 s0, -1
	s_cmp_lt_i32 s1, 6
	s_cbranch_scc1 .LBB118_3993
; %bb.3988:
	s_cmp_gt_i32 s1, 6
	s_cbranch_scc0 .LBB118_3990
; %bb.3989:
	s_wait_loadcnt 0x0
	v_cvt_f64_i32_e32 v[4:5], v2
	s_mov_b32 s0, 0
	global_store_b64 v[0:1], v[4:5], off
.LBB118_3990:
	s_and_not1_b32 vcc_lo, exec_lo, s0
	s_cbranch_vccnz .LBB118_3992
; %bb.3991:
	s_wait_loadcnt 0x0
	v_cvt_f32_i32_e32 v3, v2
	global_store_b32 v[0:1], v3, off
.LBB118_3992:
	s_mov_b32 s0, 0
.LBB118_3993:
	s_delay_alu instid0(SALU_CYCLE_1)
	s_and_not1_b32 vcc_lo, exec_lo, s0
	s_cbranch_vccnz .LBB118_3995
; %bb.3994:
	s_wait_loadcnt 0x0
	v_cvt_f32_i32_e32 v3, v2
	s_delay_alu instid0(VALU_DEP_1)
	v_cvt_f16_f32_e32 v3, v3
	global_store_b16 v[0:1], v3, off
.LBB118_3995:
	s_mov_b32 s0, 0
.LBB118_3996:
	s_delay_alu instid0(SALU_CYCLE_1)
	s_and_not1_b32 vcc_lo, exec_lo, s0
	s_cbranch_vccnz .LBB118_4012
; %bb.3997:
	s_sext_i32_i16 s1, s20
	s_mov_b32 s0, -1
	s_cmp_lt_i32 s1, 2
	s_cbranch_scc1 .LBB118_4007
; %bb.3998:
	s_cmp_lt_i32 s1, 3
	s_cbranch_scc1 .LBB118_4004
; %bb.3999:
	s_cmp_gt_i32 s1, 3
	s_cbranch_scc0 .LBB118_4001
; %bb.4000:
	s_wait_loadcnt 0x0
	v_ashrrev_i32_e32 v3, 31, v2
	s_mov_b32 s0, 0
	global_store_b64 v[0:1], v[2:3], off
.LBB118_4001:
	s_and_not1_b32 vcc_lo, exec_lo, s0
	s_cbranch_vccnz .LBB118_4003
; %bb.4002:
	s_wait_loadcnt 0x0
	global_store_b32 v[0:1], v2, off
.LBB118_4003:
	s_mov_b32 s0, 0
.LBB118_4004:
	s_delay_alu instid0(SALU_CYCLE_1)
	s_and_not1_b32 vcc_lo, exec_lo, s0
	s_cbranch_vccnz .LBB118_4006
; %bb.4005:
	s_wait_loadcnt 0x0
	global_store_b16 v[0:1], v2, off
.LBB118_4006:
	s_mov_b32 s0, 0
.LBB118_4007:
	s_delay_alu instid0(SALU_CYCLE_1)
	s_and_not1_b32 vcc_lo, exec_lo, s0
	s_cbranch_vccnz .LBB118_4012
; %bb.4008:
	s_sext_i32_i16 s0, s20
	s_delay_alu instid0(SALU_CYCLE_1)
	s_cmp_gt_i32 s0, 0
	s_mov_b32 s0, -1
	s_cbranch_scc0 .LBB118_4010
; %bb.4009:
	s_mov_b32 s0, 0
	s_wait_loadcnt 0x0
	global_store_b8 v[0:1], v2, off
.LBB118_4010:
	s_and_not1_b32 vcc_lo, exec_lo, s0
	s_cbranch_vccnz .LBB118_4012
; %bb.4011:
	s_wait_loadcnt 0x0
	global_store_b8 v[0:1], v2, off
	s_endpgm
.LBB118_4012:
	s_endpgm
.LBB118_4013:
	s_mov_b32 s1, 0
	s_mov_b32 s0, -1
	s_branch .LBB118_3969
.LBB118_4014:
	s_or_b32 s16, s16, exec_lo
	s_trap 2
	s_cbranch_execz .LBB118_3483
	s_branch .LBB118_3484
.LBB118_4015:
	s_and_not1_saveexec_b32 s7, s7
	s_cbranch_execz .LBB118_3563
.LBB118_4016:
	v_add_f32_e64 v5, 0x46000000, |v1|
	s_and_not1_b32 s6, s6, exec_lo
	s_delay_alu instid0(VALU_DEP_1) | instskip(NEXT) | instid1(VALU_DEP_1)
	v_and_b32_e32 v5, 0xff, v5
	v_cmp_ne_u32_e32 vcc_lo, 0, v5
	s_and_b32 s8, vcc_lo, exec_lo
	s_delay_alu instid0(SALU_CYCLE_1)
	s_or_b32 s6, s6, s8
	s_or_b32 exec_lo, exec_lo, s7
	v_mov_b32_e32 v8, 0
	s_and_saveexec_b32 s7, s6
	s_cbranch_execnz .LBB118_3564
	s_branch .LBB118_3565
.LBB118_4017:
	s_or_b32 s16, s16, exec_lo
	s_trap 2
	s_cbranch_execz .LBB118_3611
	s_branch .LBB118_3612
.LBB118_4018:
	s_and_not1_saveexec_b32 s6, s6
	s_cbranch_execz .LBB118_3576
.LBB118_4019:
	v_add_f32_e64 v5, 0x42800000, |v1|
	s_and_not1_b32 s3, s3, exec_lo
	s_delay_alu instid0(VALU_DEP_1) | instskip(NEXT) | instid1(VALU_DEP_1)
	v_and_b32_e32 v5, 0xff, v5
	v_cmp_ne_u32_e32 vcc_lo, 0, v5
	s_and_b32 s7, vcc_lo, exec_lo
	s_delay_alu instid0(SALU_CYCLE_1)
	s_or_b32 s3, s3, s7
	s_or_b32 exec_lo, exec_lo, s6
	v_mov_b32_e32 v8, 0
	s_and_saveexec_b32 s6, s3
	s_cbranch_execnz .LBB118_3577
	s_branch .LBB118_3578
.LBB118_4020:
	s_and_not1_saveexec_b32 s8, s8
	s_cbranch_execz .LBB118_3682
.LBB118_4021:
	v_add_f32_e64 v5, 0x46000000, |v1|
	s_and_not1_b32 s7, s7, exec_lo
	s_delay_alu instid0(VALU_DEP_1) | instskip(NEXT) | instid1(VALU_DEP_1)
	v_and_b32_e32 v5, 0xff, v5
	v_cmp_ne_u32_e32 vcc_lo, 0, v5
	s_and_b32 s9, vcc_lo, exec_lo
	s_delay_alu instid0(SALU_CYCLE_1)
	s_or_b32 s7, s7, s9
	s_or_b32 exec_lo, exec_lo, s8
	v_mov_b32_e32 v8, 0
	s_and_saveexec_b32 s8, s7
	s_cbranch_execnz .LBB118_3683
	s_branch .LBB118_3684
.LBB118_4022:
	s_or_b32 s16, s16, exec_lo
	s_trap 2
	s_cbranch_execz .LBB118_3730
	s_branch .LBB118_3731
.LBB118_4023:
	s_and_not1_saveexec_b32 s7, s7
	s_cbranch_execz .LBB118_3695
.LBB118_4024:
	v_add_f32_e64 v5, 0x42800000, |v1|
	s_and_not1_b32 s6, s6, exec_lo
	s_delay_alu instid0(VALU_DEP_1) | instskip(NEXT) | instid1(VALU_DEP_1)
	v_and_b32_e32 v5, 0xff, v5
	v_cmp_ne_u32_e32 vcc_lo, 0, v5
	s_and_b32 s8, vcc_lo, exec_lo
	s_delay_alu instid0(SALU_CYCLE_1)
	s_or_b32 s6, s6, s8
	s_or_b32 exec_lo, exec_lo, s7
	v_mov_b32_e32 v8, 0
	s_and_saveexec_b32 s7, s6
	s_cbranch_execnz .LBB118_3696
	s_branch .LBB118_3697
.LBB118_4025:
	s_and_not1_saveexec_b32 s8, s8
	s_cbranch_execz .LBB118_3801
.LBB118_4026:
	v_add_f32_e64 v5, 0x46000000, |v1|
	s_and_not1_b32 s7, s7, exec_lo
	s_delay_alu instid0(VALU_DEP_1) | instskip(NEXT) | instid1(VALU_DEP_1)
	v_and_b32_e32 v5, 0xff, v5
	v_cmp_ne_u32_e32 vcc_lo, 0, v5
	s_and_b32 s9, vcc_lo, exec_lo
	s_delay_alu instid0(SALU_CYCLE_1)
	s_or_b32 s7, s7, s9
	s_or_b32 exec_lo, exec_lo, s8
	v_mov_b32_e32 v8, 0
	s_and_saveexec_b32 s8, s7
	s_cbranch_execnz .LBB118_3802
	s_branch .LBB118_3803
.LBB118_4027:
	s_or_b32 s16, s16, exec_lo
	s_trap 2
	s_cbranch_execz .LBB118_3849
	s_branch .LBB118_3850
.LBB118_4028:
	s_and_not1_saveexec_b32 s7, s7
	s_cbranch_execz .LBB118_3814
.LBB118_4029:
	v_add_f32_e64 v5, 0x42800000, |v1|
	s_and_not1_b32 s6, s6, exec_lo
	s_delay_alu instid0(VALU_DEP_1) | instskip(NEXT) | instid1(VALU_DEP_1)
	v_and_b32_e32 v5, 0xff, v5
	v_cmp_ne_u32_e32 vcc_lo, 0, v5
	s_and_b32 s8, vcc_lo, exec_lo
	s_delay_alu instid0(SALU_CYCLE_1)
	s_or_b32 s6, s6, s8
	s_or_b32 exec_lo, exec_lo, s7
	v_mov_b32_e32 v8, 0
	s_and_saveexec_b32 s7, s6
	s_cbranch_execnz .LBB118_3815
	s_branch .LBB118_3816
.LBB118_4030:
	s_and_not1_saveexec_b32 s5, s5
	s_cbranch_execz .LBB118_3921
.LBB118_4031:
	v_add_f32_e64 v4, 0x46000000, |v3|
	s_and_not1_b32 s4, s4, exec_lo
	s_delay_alu instid0(VALU_DEP_1) | instskip(NEXT) | instid1(VALU_DEP_1)
	v_and_b32_e32 v4, 0xff, v4
	v_cmp_ne_u32_e32 vcc_lo, 0, v4
	s_and_b32 s6, vcc_lo, exec_lo
	s_delay_alu instid0(SALU_CYCLE_1)
	s_or_b32 s4, s4, s6
	s_or_b32 exec_lo, exec_lo, s5
	v_mov_b32_e32 v5, 0
	s_and_saveexec_b32 s5, s4
	s_cbranch_execnz .LBB118_3922
	s_branch .LBB118_3923
.LBB118_4032:
	s_mov_b32 s1, 0
	s_or_b32 s16, s16, exec_lo
	s_trap 2
	s_branch .LBB118_3967
.LBB118_4033:
	s_and_not1_saveexec_b32 s4, s4
	s_cbranch_execz .LBB118_3933
.LBB118_4034:
	v_add_f32_e64 v4, 0x42800000, |v3|
	s_and_not1_b32 s3, s3, exec_lo
	s_delay_alu instid0(VALU_DEP_1) | instskip(NEXT) | instid1(VALU_DEP_1)
	v_and_b32_e32 v4, 0xff, v4
	v_cmp_ne_u32_e32 vcc_lo, 0, v4
	s_and_b32 s5, vcc_lo, exec_lo
	s_delay_alu instid0(SALU_CYCLE_1)
	s_or_b32 s3, s3, s5
	s_or_b32 exec_lo, exec_lo, s4
	v_mov_b32_e32 v5, 0
	s_and_saveexec_b32 s4, s3
	s_cbranch_execnz .LBB118_3934
	s_branch .LBB118_3935
	.section	.rodata,"a",@progbits
	.p2align	6, 0x0
	.amdhsa_kernel _ZN2at6native32elementwise_kernel_manual_unrollILi128ELi4EZNS0_15gpu_kernel_implIZZZNS0_12_GLOBAL__N_117clamp_kernel_implERNS_18TensorIteratorBaseEENKUlvE_clEvENKUlvE1_clEvEUliiiE_EEvS5_RKT_EUlibE_EEviT1_
		.amdhsa_group_segment_fixed_size 0
		.amdhsa_private_segment_fixed_size 0
		.amdhsa_kernarg_size 64
		.amdhsa_user_sgpr_count 2
		.amdhsa_user_sgpr_dispatch_ptr 0
		.amdhsa_user_sgpr_queue_ptr 0
		.amdhsa_user_sgpr_kernarg_segment_ptr 1
		.amdhsa_user_sgpr_dispatch_id 0
		.amdhsa_user_sgpr_kernarg_preload_length 0
		.amdhsa_user_sgpr_kernarg_preload_offset 0
		.amdhsa_user_sgpr_private_segment_size 0
		.amdhsa_wavefront_size32 1
		.amdhsa_uses_dynamic_stack 0
		.amdhsa_enable_private_segment 0
		.amdhsa_system_sgpr_workgroup_id_x 1
		.amdhsa_system_sgpr_workgroup_id_y 0
		.amdhsa_system_sgpr_workgroup_id_z 0
		.amdhsa_system_sgpr_workgroup_info 0
		.amdhsa_system_vgpr_workitem_id 0
		.amdhsa_next_free_vgpr 24
		.amdhsa_next_free_sgpr 42
		.amdhsa_named_barrier_count 0
		.amdhsa_reserve_vcc 1
		.amdhsa_float_round_mode_32 0
		.amdhsa_float_round_mode_16_64 0
		.amdhsa_float_denorm_mode_32 3
		.amdhsa_float_denorm_mode_16_64 3
		.amdhsa_fp16_overflow 0
		.amdhsa_memory_ordered 1
		.amdhsa_forward_progress 1
		.amdhsa_inst_pref_size 255
		.amdhsa_round_robin_scheduling 0
		.amdhsa_exception_fp_ieee_invalid_op 0
		.amdhsa_exception_fp_denorm_src 0
		.amdhsa_exception_fp_ieee_div_zero 0
		.amdhsa_exception_fp_ieee_overflow 0
		.amdhsa_exception_fp_ieee_underflow 0
		.amdhsa_exception_fp_ieee_inexact 0
		.amdhsa_exception_int_div_zero 0
	.end_amdhsa_kernel
	.section	.text._ZN2at6native32elementwise_kernel_manual_unrollILi128ELi4EZNS0_15gpu_kernel_implIZZZNS0_12_GLOBAL__N_117clamp_kernel_implERNS_18TensorIteratorBaseEENKUlvE_clEvENKUlvE1_clEvEUliiiE_EEvS5_RKT_EUlibE_EEviT1_,"axG",@progbits,_ZN2at6native32elementwise_kernel_manual_unrollILi128ELi4EZNS0_15gpu_kernel_implIZZZNS0_12_GLOBAL__N_117clamp_kernel_implERNS_18TensorIteratorBaseEENKUlvE_clEvENKUlvE1_clEvEUliiiE_EEvS5_RKT_EUlibE_EEviT1_,comdat
.Lfunc_end118:
	.size	_ZN2at6native32elementwise_kernel_manual_unrollILi128ELi4EZNS0_15gpu_kernel_implIZZZNS0_12_GLOBAL__N_117clamp_kernel_implERNS_18TensorIteratorBaseEENKUlvE_clEvENKUlvE1_clEvEUliiiE_EEvS5_RKT_EUlibE_EEviT1_, .Lfunc_end118-_ZN2at6native32elementwise_kernel_manual_unrollILi128ELi4EZNS0_15gpu_kernel_implIZZZNS0_12_GLOBAL__N_117clamp_kernel_implERNS_18TensorIteratorBaseEENKUlvE_clEvENKUlvE1_clEvEUliiiE_EEvS5_RKT_EUlibE_EEviT1_
                                        ; -- End function
	.set _ZN2at6native32elementwise_kernel_manual_unrollILi128ELi4EZNS0_15gpu_kernel_implIZZZNS0_12_GLOBAL__N_117clamp_kernel_implERNS_18TensorIteratorBaseEENKUlvE_clEvENKUlvE1_clEvEUliiiE_EEvS5_RKT_EUlibE_EEviT1_.num_vgpr, 24
	.set _ZN2at6native32elementwise_kernel_manual_unrollILi128ELi4EZNS0_15gpu_kernel_implIZZZNS0_12_GLOBAL__N_117clamp_kernel_implERNS_18TensorIteratorBaseEENKUlvE_clEvENKUlvE1_clEvEUliiiE_EEvS5_RKT_EUlibE_EEviT1_.num_agpr, 0
	.set _ZN2at6native32elementwise_kernel_manual_unrollILi128ELi4EZNS0_15gpu_kernel_implIZZZNS0_12_GLOBAL__N_117clamp_kernel_implERNS_18TensorIteratorBaseEENKUlvE_clEvENKUlvE1_clEvEUliiiE_EEvS5_RKT_EUlibE_EEviT1_.numbered_sgpr, 42
	.set _ZN2at6native32elementwise_kernel_manual_unrollILi128ELi4EZNS0_15gpu_kernel_implIZZZNS0_12_GLOBAL__N_117clamp_kernel_implERNS_18TensorIteratorBaseEENKUlvE_clEvENKUlvE1_clEvEUliiiE_EEvS5_RKT_EUlibE_EEviT1_.num_named_barrier, 0
	.set _ZN2at6native32elementwise_kernel_manual_unrollILi128ELi4EZNS0_15gpu_kernel_implIZZZNS0_12_GLOBAL__N_117clamp_kernel_implERNS_18TensorIteratorBaseEENKUlvE_clEvENKUlvE1_clEvEUliiiE_EEvS5_RKT_EUlibE_EEviT1_.private_seg_size, 0
	.set _ZN2at6native32elementwise_kernel_manual_unrollILi128ELi4EZNS0_15gpu_kernel_implIZZZNS0_12_GLOBAL__N_117clamp_kernel_implERNS_18TensorIteratorBaseEENKUlvE_clEvENKUlvE1_clEvEUliiiE_EEvS5_RKT_EUlibE_EEviT1_.uses_vcc, 1
	.set _ZN2at6native32elementwise_kernel_manual_unrollILi128ELi4EZNS0_15gpu_kernel_implIZZZNS0_12_GLOBAL__N_117clamp_kernel_implERNS_18TensorIteratorBaseEENKUlvE_clEvENKUlvE1_clEvEUliiiE_EEvS5_RKT_EUlibE_EEviT1_.uses_flat_scratch, 0
	.set _ZN2at6native32elementwise_kernel_manual_unrollILi128ELi4EZNS0_15gpu_kernel_implIZZZNS0_12_GLOBAL__N_117clamp_kernel_implERNS_18TensorIteratorBaseEENKUlvE_clEvENKUlvE1_clEvEUliiiE_EEvS5_RKT_EUlibE_EEviT1_.has_dyn_sized_stack, 0
	.set _ZN2at6native32elementwise_kernel_manual_unrollILi128ELi4EZNS0_15gpu_kernel_implIZZZNS0_12_GLOBAL__N_117clamp_kernel_implERNS_18TensorIteratorBaseEENKUlvE_clEvENKUlvE1_clEvEUliiiE_EEvS5_RKT_EUlibE_EEviT1_.has_recursion, 0
	.set _ZN2at6native32elementwise_kernel_manual_unrollILi128ELi4EZNS0_15gpu_kernel_implIZZZNS0_12_GLOBAL__N_117clamp_kernel_implERNS_18TensorIteratorBaseEENKUlvE_clEvENKUlvE1_clEvEUliiiE_EEvS5_RKT_EUlibE_EEviT1_.has_indirect_call, 0
	.section	.AMDGPU.csdata,"",@progbits
; Kernel info:
; codeLenInByte = 68496
; TotalNumSgprs: 44
; NumVgprs: 24
; ScratchSize: 0
; MemoryBound: 1
; FloatMode: 240
; IeeeMode: 1
; LDSByteSize: 0 bytes/workgroup (compile time only)
; SGPRBlocks: 0
; VGPRBlocks: 1
; NumSGPRsForWavesPerEU: 44
; NumVGPRsForWavesPerEU: 24
; NamedBarCnt: 0
; Occupancy: 16
; WaveLimiterHint : 0
; COMPUTE_PGM_RSRC2:SCRATCH_EN: 0
; COMPUTE_PGM_RSRC2:USER_SGPR: 2
; COMPUTE_PGM_RSRC2:TRAP_HANDLER: 0
; COMPUTE_PGM_RSRC2:TGID_X_EN: 1
; COMPUTE_PGM_RSRC2:TGID_Y_EN: 0
; COMPUTE_PGM_RSRC2:TGID_Z_EN: 0
; COMPUTE_PGM_RSRC2:TIDIG_COMP_CNT: 0
	.section	.text._ZN2at6native32elementwise_kernel_manual_unrollILi128ELi4EZNS0_15gpu_kernel_implIZZZNS0_12_GLOBAL__N_117clamp_kernel_implERNS_18TensorIteratorBaseEENKUlvE_clEvENKUlvE1_clEvEUliiiE_EEvS5_RKT_EUlibE0_EEviT1_,"axG",@progbits,_ZN2at6native32elementwise_kernel_manual_unrollILi128ELi4EZNS0_15gpu_kernel_implIZZZNS0_12_GLOBAL__N_117clamp_kernel_implERNS_18TensorIteratorBaseEENKUlvE_clEvENKUlvE1_clEvEUliiiE_EEvS5_RKT_EUlibE0_EEviT1_,comdat
	.globl	_ZN2at6native32elementwise_kernel_manual_unrollILi128ELi4EZNS0_15gpu_kernel_implIZZZNS0_12_GLOBAL__N_117clamp_kernel_implERNS_18TensorIteratorBaseEENKUlvE_clEvENKUlvE1_clEvEUliiiE_EEvS5_RKT_EUlibE0_EEviT1_ ; -- Begin function _ZN2at6native32elementwise_kernel_manual_unrollILi128ELi4EZNS0_15gpu_kernel_implIZZZNS0_12_GLOBAL__N_117clamp_kernel_implERNS_18TensorIteratorBaseEENKUlvE_clEvENKUlvE1_clEvEUliiiE_EEvS5_RKT_EUlibE0_EEviT1_
	.p2align	8
	.type	_ZN2at6native32elementwise_kernel_manual_unrollILi128ELi4EZNS0_15gpu_kernel_implIZZZNS0_12_GLOBAL__N_117clamp_kernel_implERNS_18TensorIteratorBaseEENKUlvE_clEvENKUlvE1_clEvEUliiiE_EEvS5_RKT_EUlibE0_EEviT1_,@function
_ZN2at6native32elementwise_kernel_manual_unrollILi128ELi4EZNS0_15gpu_kernel_implIZZZNS0_12_GLOBAL__N_117clamp_kernel_implERNS_18TensorIteratorBaseEENKUlvE_clEvENKUlvE1_clEvEUliiiE_EEvS5_RKT_EUlibE0_EEviT1_: ; @_ZN2at6native32elementwise_kernel_manual_unrollILi128ELi4EZNS0_15gpu_kernel_implIZZZNS0_12_GLOBAL__N_117clamp_kernel_implERNS_18TensorIteratorBaseEENKUlvE_clEvENKUlvE1_clEvEUliiiE_EEvS5_RKT_EUlibE0_EEviT1_
; %bb.0:
	s_clause 0x1
	s_load_b32 s33, s[0:1], 0x8
	s_load_b32 s44, s[0:1], 0x0
	s_bfe_u32 s2, ttmp6, 0x4000c
	s_and_b32 s3, ttmp6, 15
	s_add_co_i32 s2, s2, 1
	s_getreg_b32 s4, hwreg(HW_REG_IB_STS2, 6, 4)
	s_mul_i32 s2, ttmp9, s2
	s_mov_b32 s35, 0
	s_add_co_i32 s3, s3, s2
	s_cmp_eq_u32 s4, 0
	s_mov_b32 s29, -1
	s_cselect_b32 s2, ttmp9, s3
	s_mov_b32 s10, 0
	v_lshl_or_b32 v0, s2, 9, v0
	s_add_nc_u64 s[2:3], s[0:1], 8
	s_wait_xcnt 0x0
	s_mov_b32 s0, exec_lo
	s_delay_alu instid0(VALU_DEP_1) | instskip(SKIP_2) | instid1(SALU_CYCLE_1)
	v_or_b32_e32 v1, 0x180, v0
	s_wait_kmcnt 0x0
	s_add_co_i32 s34, s33, -1
	s_cmp_gt_u32 s34, 1
	s_cselect_b32 s36, -1, 0
	v_cmpx_le_i32_e64 s44, v1
	s_xor_b32 s37, exec_lo, s0
	s_cbranch_execz .LBB119_2061
; %bb.1:
	v_mov_b32_e32 v1, 0
	s_clause 0x3
	s_load_b128 s[20:23], s[2:3], 0x4
	s_load_b64 s[0:1], s[2:3], 0x14
	s_load_b256 s[12:19], s[2:3], 0xc4
	s_load_b256 s[4:11], s[2:3], 0x1c8
	s_cmp_lg_u32 s33, 0
	s_mov_b32 s25, 0
	s_cselect_b32 s45, -1, 0
	global_load_b32 v1, v1, s[2:3] offset:489
	s_min_u32 s43, s34, 15
	s_cmp_gt_u32 s33, 1
	s_mov_b32 s27, s25
	s_mov_b32 s48, s25
	;; [unrolled: 1-line block ×4, first 2 shown]
	s_cselect_b32 s41, -1, 0
	s_mov_b32 s42, s25
	s_mov_b32 s49, exec_lo
	s_wait_kmcnt 0x0
	s_mov_b32 s24, s21
	s_mov_b32 s26, s0
	s_wait_loadcnt 0x0
	v_readfirstlane_b32 s38, v1
	s_lshr_b32 s39, s38, 16
	s_lshr_b32 s40, s38, 8
	;; [unrolled: 1-line block ×3, first 2 shown]
	v_cmpx_gt_i32_e64 s44, v0
	s_cbranch_execz .LBB119_511
; %bb.2:
	s_and_not1_b32 vcc_lo, exec_lo, s36
	s_cbranch_vccnz .LBB119_8
; %bb.3:
	s_and_not1_b32 vcc_lo, exec_lo, s45
	s_cbranch_vccnz .LBB119_9
; %bb.4:
	v_dual_mov_b32 v6, 0 :: v_dual_mov_b32 v1, v0
	v_dual_mov_b32 v4, 0 :: v_dual_mov_b32 v2, 0
	v_mov_b32_e32 v8, 0
	s_add_co_i32 s0, s43, 1
	s_mov_b64 s[28:29], 0xffffffffffffffe0
	s_and_b32 s0, s0, 30
	s_add_nc_u64 s[28:29], s[2:3], s[28:29]
	s_mov_b64 s[30:31], s[2:3]
.LBB119_5:                              ; =>This Inner Loop Header: Depth=1
	s_clause 0x1
	s_load_b128 s[60:63], s[30:31], 0x4
	s_load_b64 s[46:47], s[30:31], 0x14
	s_load_b256 s[52:59], s[28:29], 0xe4
	s_add_co_i32 s0, s0, -2
	s_wait_xcnt 0x0
	s_add_nc_u64 s[30:31], s[30:31], 24
	s_cmp_lg_u32 s0, 0
	s_add_nc_u64 s[28:29], s[28:29], 32
	s_wait_kmcnt 0x0
	v_mul_hi_u32 v3, s61, v1
	s_delay_alu instid0(VALU_DEP_1) | instskip(NEXT) | instid1(VALU_DEP_1)
	v_add_nc_u32_e32 v3, v1, v3
	v_lshrrev_b32_e32 v3, s62, v3
	s_delay_alu instid0(VALU_DEP_1) | instskip(SKIP_1) | instid1(VALU_DEP_1)
	v_mul_hi_u32 v5, s46, v3
	v_mul_lo_u32 v7, v3, s60
	v_dual_add_nc_u32 v5, v3, v5 :: v_dual_sub_nc_u32 v7, v1, v7
	s_delay_alu instid0(VALU_DEP_1) | instskip(NEXT) | instid1(VALU_DEP_2)
	v_lshrrev_b32_e32 v1, s47, v5
	v_mad_u32 v8, v7, s53, v8
	v_mad_u32 v2, v7, s52, v2
	;; [unrolled: 1-line block ×4, first 2 shown]
	v_mul_lo_u32 v5, v1, s63
	s_delay_alu instid0(VALU_DEP_1) | instskip(NEXT) | instid1(VALU_DEP_1)
	v_sub_nc_u32_e32 v3, v3, v5
	v_mad_u32 v8, v3, s57, v8
	v_mad_u32 v2, v3, s56, v2
	;; [unrolled: 1-line block ×4, first 2 shown]
	s_cbranch_scc1 .LBB119_5
; %bb.6:
	s_bitcmp1_b32 s43, 0
	s_cselect_b32 s0, -1, 0
	s_delay_alu instid0(SALU_CYCLE_1)
	s_and_b32 vcc_lo, exec_lo, s0
	s_cbranch_vccnz .LBB119_10
; %bb.7:
	s_load_b96 s[56:58], s[30:31], 0x4
	s_load_b128 s[52:55], s[28:29], 0xe4
	s_wait_kmcnt 0x0
	v_mul_hi_u32 v3, s57, v1
	s_delay_alu instid0(VALU_DEP_1) | instskip(NEXT) | instid1(VALU_DEP_1)
	v_add_nc_u32_e32 v3, v1, v3
	v_lshrrev_b32_e32 v3, s58, v3
	s_delay_alu instid0(VALU_DEP_1) | instskip(NEXT) | instid1(VALU_DEP_1)
	v_mul_lo_u32 v3, v3, s56
	v_sub_nc_u32_e32 v1, v1, v3
	s_delay_alu instid0(VALU_DEP_1)
	v_mad_u32 v2, v1, s52, v2
	v_mad_u32 v8, v1, s53, v8
	;; [unrolled: 1-line block ×4, first 2 shown]
	s_cbranch_execz .LBB119_11
	s_branch .LBB119_13
.LBB119_8:
                                        ; implicit-def: $vgpr8
                                        ; implicit-def: $vgpr2
                                        ; implicit-def: $vgpr4
                                        ; implicit-def: $vgpr6
	s_branch .LBB119_11
.LBB119_9:
	v_dual_mov_b32 v8, 0 :: v_dual_mov_b32 v2, 0
	v_dual_mov_b32 v4, 0 :: v_dual_mov_b32 v6, 0
.LBB119_10:
	s_cbranch_execnz .LBB119_13
.LBB119_11:
	v_mov_b32_e32 v1, 0
	s_and_not1_b32 vcc_lo, exec_lo, s41
	s_delay_alu instid0(VALU_DEP_1) | instskip(NEXT) | instid1(VALU_DEP_1)
	v_mul_u64_e32 v[2:3], s[24:25], v[0:1]
	v_add_nc_u32_e32 v2, v0, v3
	s_delay_alu instid0(VALU_DEP_1) | instskip(NEXT) | instid1(VALU_DEP_1)
	v_lshrrev_b32_e32 v10, s22, v2
	v_mul_lo_u32 v2, v10, s20
	s_delay_alu instid0(VALU_DEP_1) | instskip(NEXT) | instid1(VALU_DEP_1)
	v_sub_nc_u32_e32 v3, v0, v2
	v_mul_lo_u32 v8, v3, s13
	v_mul_lo_u32 v2, v3, s12
	;; [unrolled: 1-line block ×4, first 2 shown]
	s_cbranch_vccnz .LBB119_13
; %bb.12:
	v_mov_b32_e32 v11, v1
	s_delay_alu instid0(VALU_DEP_1) | instskip(NEXT) | instid1(VALU_DEP_1)
	v_mul_u64_e32 v[12:13], s[26:27], v[10:11]
	v_add_nc_u32_e32 v1, v10, v13
	s_delay_alu instid0(VALU_DEP_1) | instskip(NEXT) | instid1(VALU_DEP_1)
	v_lshrrev_b32_e32 v1, s1, v1
	v_mul_lo_u32 v1, v1, s23
	s_delay_alu instid0(VALU_DEP_1) | instskip(NEXT) | instid1(VALU_DEP_1)
	v_sub_nc_u32_e32 v1, v10, v1
	v_mad_u32 v2, v1, s16, v2
	v_mad_u32 v8, v1, s17, v8
	;; [unrolled: 1-line block ×4, first 2 shown]
.LBB119_13:
	v_mov_b32_e32 v9, 0
	s_and_b32 s0, s40, 0xff
	s_delay_alu instid0(SALU_CYCLE_1) | instskip(NEXT) | instid1(VALU_DEP_1)
	s_cmp_lt_i32 s0, 11
	v_add_nc_u64_e32 v[8:9], s[6:7], v[8:9]
	s_cbranch_scc1 .LBB119_20
; %bb.14:
	s_and_b32 s29, 0xffff, s0
	s_delay_alu instid0(SALU_CYCLE_1)
	s_cmp_gt_i32 s29, 25
	s_cbranch_scc0 .LBB119_29
; %bb.15:
	s_cmp_gt_i32 s29, 28
	s_cbranch_scc0 .LBB119_39
; %bb.16:
	;; [unrolled: 3-line block ×4, first 2 shown]
	s_cmp_eq_u32 s29, 46
	s_mov_b32 s31, 0
	s_cbranch_scc0 .LBB119_48
; %bb.19:
	global_load_b32 v1, v[8:9], off
	s_mov_b32 s30, -1
	s_mov_b32 s28, 0
	s_wait_loadcnt 0x0
	v_lshlrev_b32_e32 v1, 16, v1
	s_delay_alu instid0(VALU_DEP_1)
	v_cvt_i32_f32_e32 v1, v1
	s_branch .LBB119_50
.LBB119_20:
	s_mov_b32 s28, 0
	s_mov_b32 s30, 0
                                        ; implicit-def: $vgpr1
	s_cbranch_execnz .LBB119_112
.LBB119_21:
	s_and_not1_b32 vcc_lo, exec_lo, s30
	s_cbranch_vccnz .LBB119_159
.LBB119_22:
	v_mov_b32_e32 v7, 0
	s_and_b32 s0, s39, 0xff
	s_delay_alu instid0(SALU_CYCLE_1) | instskip(NEXT) | instid1(VALU_DEP_1)
	s_cmp_lt_i32 s0, 11
	v_add_nc_u64_e32 v[6:7], s[8:9], v[6:7]
	s_cbranch_scc1 .LBB119_30
; %bb.23:
	s_and_b32 s30, 0xffff, s0
	s_delay_alu instid0(SALU_CYCLE_1)
	s_cmp_gt_i32 s30, 25
	s_cbranch_scc0 .LBB119_40
; %bb.24:
	s_cmp_gt_i32 s30, 28
	s_cbranch_scc0 .LBB119_43
; %bb.25:
	;; [unrolled: 3-line block ×4, first 2 shown]
	s_cmp_eq_u32 s30, 46
	s_mov_b32 s42, 0
	s_cbranch_scc0 .LBB119_160
; %bb.28:
	global_load_b32 v3, v[6:7], off
	s_mov_b32 s31, -1
	s_mov_b32 s29, 0
	s_wait_loadcnt 0x0
	v_lshlrev_b32_e32 v3, 16, v3
	s_delay_alu instid0(VALU_DEP_1)
	v_cvt_i32_f32_e32 v8, v3
	s_branch .LBB119_162
.LBB119_29:
	s_mov_b32 s28, 0
	s_mov_b32 s30, 0
                                        ; implicit-def: $vgpr1
	s_cbranch_execnz .LBB119_79
	s_branch .LBB119_111
.LBB119_30:
	s_mov_b32 s29, 0
	s_mov_b32 s31, 0
                                        ; implicit-def: $vgpr8
	s_cbranch_execnz .LBB119_224
.LBB119_31:
	s_and_not1_b32 vcc_lo, exec_lo, s31
	s_cbranch_vccnz .LBB119_272
.LBB119_32:
	v_mov_b32_e32 v5, 0
	s_and_b32 s0, 0xffff, s21
	s_delay_alu instid0(SALU_CYCLE_1) | instskip(NEXT) | instid1(VALU_DEP_1)
	s_cmp_lt_i32 s0, 11
	v_add_nc_u64_e32 v[4:5], s[10:11], v[4:5]
	s_cbranch_scc1 .LBB119_41
; %bb.33:
	s_cmp_gt_i32 s0, 25
	s_cbranch_scc0 .LBB119_44
; %bb.34:
	s_cmp_gt_i32 s0, 28
	s_cbranch_scc0 .LBB119_47
	;; [unrolled: 3-line block ×4, first 2 shown]
; %bb.37:
	s_cmp_eq_u32 s0, 46
	s_mov_b32 s42, 0
	s_cbranch_scc0 .LBB119_273
; %bb.38:
	global_load_b32 v3, v[4:5], off
	s_mov_b32 s31, -1
	s_mov_b32 s30, 0
	s_wait_loadcnt 0x0
	v_lshlrev_b32_e32 v3, 16, v3
	s_delay_alu instid0(VALU_DEP_1)
	v_cvt_i32_f32_e32 v6, v3
	s_branch .LBB119_275
.LBB119_39:
	s_mov_b32 s31, -1
	s_mov_b32 s28, 0
	s_mov_b32 s30, 0
                                        ; implicit-def: $vgpr1
	s_branch .LBB119_62
.LBB119_40:
	s_mov_b32 s42, -1
	s_mov_b32 s29, 0
	s_mov_b32 s31, 0
                                        ; implicit-def: $vgpr8
	s_branch .LBB119_190
.LBB119_41:
	s_mov_b32 s42, -1
	s_mov_b32 s30, 0
	s_mov_b32 s31, 0
                                        ; implicit-def: $vgpr6
	s_branch .LBB119_336
.LBB119_42:
	s_mov_b32 s31, -1
	s_mov_b32 s28, 0
	s_mov_b32 s30, 0
                                        ; implicit-def: $vgpr1
	s_branch .LBB119_57
.LBB119_43:
	s_mov_b32 s42, -1
	s_mov_b32 s29, 0
	s_mov_b32 s31, 0
                                        ; implicit-def: $vgpr8
	s_branch .LBB119_173
.LBB119_44:
	s_mov_b32 s42, -1
	s_mov_b32 s30, 0
	s_mov_b32 s31, 0
                                        ; implicit-def: $vgpr6
	s_branch .LBB119_302
.LBB119_45:
	s_mov_b32 s31, -1
	s_mov_b32 s28, 0
	s_branch .LBB119_49
.LBB119_46:
	s_mov_b32 s42, -1
	s_mov_b32 s29, 0
	s_mov_b32 s31, 0
                                        ; implicit-def: $vgpr8
	s_branch .LBB119_168
.LBB119_47:
	s_mov_b32 s42, -1
	s_mov_b32 s30, 0
	s_mov_b32 s31, 0
                                        ; implicit-def: $vgpr6
	s_branch .LBB119_285
.LBB119_48:
	s_mov_b32 s28, -1
.LBB119_49:
	s_mov_b32 s30, 0
                                        ; implicit-def: $vgpr1
.LBB119_50:
	s_and_b32 vcc_lo, exec_lo, s31
	s_cbranch_vccz .LBB119_56
; %bb.51:
	s_cmp_eq_u32 s29, 44
	s_cbranch_scc0 .LBB119_55
; %bb.52:
	global_load_u8 v1, v[8:9], off
	s_mov_b32 s28, 0
	s_mov_b32 s30, -1
	s_wait_loadcnt 0x0
	v_lshlrev_b32_e32 v3, 23, v1
	v_cmp_ne_u32_e32 vcc_lo, 0, v1
	s_delay_alu instid0(VALU_DEP_2) | instskip(NEXT) | instid1(VALU_DEP_1)
	v_cvt_i32_f32_e32 v3, v3
	v_cndmask_b32_e32 v1, 0, v3, vcc_lo
	s_branch .LBB119_56
.LBB119_53:
	s_mov_b32 s42, -1
	s_mov_b32 s29, 0
	s_branch .LBB119_161
.LBB119_54:
	s_mov_b32 s42, -1
	s_mov_b32 s30, 0
	s_mov_b32 s31, 0
                                        ; implicit-def: $vgpr6
	s_branch .LBB119_280
.LBB119_55:
	s_mov_b32 s28, -1
                                        ; implicit-def: $vgpr1
.LBB119_56:
	s_mov_b32 s31, 0
.LBB119_57:
	s_delay_alu instid0(SALU_CYCLE_1)
	s_and_b32 vcc_lo, exec_lo, s31
	s_cbranch_vccz .LBB119_61
; %bb.58:
	s_cmp_eq_u32 s29, 29
	s_cbranch_scc0 .LBB119_60
; %bb.59:
	global_load_b32 v1, v[8:9], off
	s_mov_b32 s30, -1
	s_mov_b32 s28, 0
	s_branch .LBB119_61
.LBB119_60:
	s_mov_b32 s28, -1
                                        ; implicit-def: $vgpr1
.LBB119_61:
	s_mov_b32 s31, 0
.LBB119_62:
	s_delay_alu instid0(SALU_CYCLE_1)
	s_and_b32 vcc_lo, exec_lo, s31
	s_cbranch_vccz .LBB119_78
; %bb.63:
	s_cmp_lt_i32 s29, 27
	s_cbranch_scc1 .LBB119_66
; %bb.64:
	s_cmp_gt_i32 s29, 27
	s_cbranch_scc0 .LBB119_67
; %bb.65:
	s_wait_loadcnt 0x0
	global_load_b32 v1, v[8:9], off
	s_mov_b32 s30, 0
	s_branch .LBB119_68
.LBB119_66:
	s_mov_b32 s30, -1
                                        ; implicit-def: $vgpr1
	s_branch .LBB119_71
.LBB119_67:
	s_mov_b32 s30, -1
                                        ; implicit-def: $vgpr1
.LBB119_68:
	s_delay_alu instid0(SALU_CYCLE_1)
	s_and_not1_b32 vcc_lo, exec_lo, s30
	s_cbranch_vccnz .LBB119_70
; %bb.69:
	s_wait_loadcnt 0x0
	global_load_u16 v1, v[8:9], off
.LBB119_70:
	s_mov_b32 s30, 0
.LBB119_71:
	s_delay_alu instid0(SALU_CYCLE_1)
	s_and_not1_b32 vcc_lo, exec_lo, s30
	s_cbranch_vccnz .LBB119_77
; %bb.72:
	global_load_u8 v3, v[8:9], off
	s_mov_b32 s31, 0
	s_mov_b32 s30, exec_lo
	s_wait_loadcnt 0x0
	v_cmpx_lt_i16_e32 0x7f, v3
	s_xor_b32 s30, exec_lo, s30
	s_cbranch_execz .LBB119_88
; %bb.73:
	v_cmp_ne_u16_e32 vcc_lo, 0x80, v3
	s_and_b32 s31, vcc_lo, exec_lo
	s_and_not1_saveexec_b32 s30, s30
	s_cbranch_execnz .LBB119_89
.LBB119_74:
	s_or_b32 exec_lo, exec_lo, s30
	v_mov_b32_e32 v1, 0
	s_and_saveexec_b32 s30, s31
	s_cbranch_execz .LBB119_76
.LBB119_75:
	v_and_b32_e32 v1, 0xffff, v3
	s_delay_alu instid0(VALU_DEP_1) | instskip(SKIP_1) | instid1(VALU_DEP_2)
	v_and_b32_e32 v5, 7, v1
	v_bfe_u32 v11, v1, 3, 4
	v_clz_i32_u32_e32 v7, v5
	s_delay_alu instid0(VALU_DEP_2) | instskip(NEXT) | instid1(VALU_DEP_2)
	v_cmp_eq_u32_e32 vcc_lo, 0, v11
	v_min_u32_e32 v7, 32, v7
	s_delay_alu instid0(VALU_DEP_1) | instskip(NEXT) | instid1(VALU_DEP_1)
	v_subrev_nc_u32_e32 v10, 28, v7
	v_dual_lshlrev_b32 v1, v10, v1 :: v_dual_sub_nc_u32 v7, 29, v7
	s_delay_alu instid0(VALU_DEP_1) | instskip(NEXT) | instid1(VALU_DEP_1)
	v_dual_lshlrev_b32 v3, 24, v3 :: v_dual_bitop2_b32 v1, 7, v1 bitop3:0x40
	v_dual_cndmask_b32 v1, v5, v1, vcc_lo :: v_dual_cndmask_b32 v7, v11, v7, vcc_lo
	s_delay_alu instid0(VALU_DEP_2) | instskip(NEXT) | instid1(VALU_DEP_2)
	v_and_b32_e32 v3, 0x80000000, v3
	v_lshlrev_b32_e32 v1, 20, v1
	s_delay_alu instid0(VALU_DEP_3) | instskip(NEXT) | instid1(VALU_DEP_1)
	v_lshl_add_u32 v5, v7, 23, 0x3b800000
	v_or3_b32 v1, v3, v5, v1
	s_delay_alu instid0(VALU_DEP_1)
	v_cvt_i32_f32_e32 v1, v1
.LBB119_76:
	s_or_b32 exec_lo, exec_lo, s30
.LBB119_77:
	s_mov_b32 s30, -1
.LBB119_78:
	s_branch .LBB119_111
.LBB119_79:
	s_cmp_gt_i32 s29, 22
	s_cbranch_scc0 .LBB119_87
; %bb.80:
	s_cmp_lt_i32 s29, 24
	s_cbranch_scc1 .LBB119_90
; %bb.81:
	s_cmp_gt_i32 s29, 24
	s_cbranch_scc0 .LBB119_91
; %bb.82:
	global_load_u8 v3, v[8:9], off
	s_mov_b32 s31, 0
	s_mov_b32 s30, exec_lo
	s_wait_loadcnt 0x0
	v_cmpx_lt_i16_e32 0x7f, v3
	s_xor_b32 s30, exec_lo, s30
	s_cbranch_execz .LBB119_103
; %bb.83:
	v_cmp_ne_u16_e32 vcc_lo, 0x80, v3
	s_and_b32 s31, vcc_lo, exec_lo
	s_and_not1_saveexec_b32 s30, s30
	s_cbranch_execnz .LBB119_104
.LBB119_84:
	s_or_b32 exec_lo, exec_lo, s30
	v_mov_b32_e32 v1, 0
	s_and_saveexec_b32 s30, s31
	s_cbranch_execz .LBB119_86
.LBB119_85:
	v_and_b32_e32 v1, 0xffff, v3
	s_delay_alu instid0(VALU_DEP_1) | instskip(SKIP_1) | instid1(VALU_DEP_2)
	v_and_b32_e32 v5, 3, v1
	v_bfe_u32 v11, v1, 2, 5
	v_clz_i32_u32_e32 v7, v5
	s_delay_alu instid0(VALU_DEP_2) | instskip(NEXT) | instid1(VALU_DEP_2)
	v_cmp_eq_u32_e32 vcc_lo, 0, v11
	v_min_u32_e32 v7, 32, v7
	s_delay_alu instid0(VALU_DEP_1) | instskip(NEXT) | instid1(VALU_DEP_1)
	v_subrev_nc_u32_e32 v10, 29, v7
	v_dual_lshlrev_b32 v1, v10, v1 :: v_dual_sub_nc_u32 v7, 30, v7
	s_delay_alu instid0(VALU_DEP_1) | instskip(NEXT) | instid1(VALU_DEP_1)
	v_dual_lshlrev_b32 v3, 24, v3 :: v_dual_bitop2_b32 v1, 3, v1 bitop3:0x40
	v_dual_cndmask_b32 v1, v5, v1, vcc_lo :: v_dual_cndmask_b32 v7, v11, v7, vcc_lo
	s_delay_alu instid0(VALU_DEP_2) | instskip(NEXT) | instid1(VALU_DEP_2)
	v_and_b32_e32 v3, 0x80000000, v3
	v_lshlrev_b32_e32 v1, 21, v1
	s_delay_alu instid0(VALU_DEP_3) | instskip(NEXT) | instid1(VALU_DEP_1)
	v_lshl_add_u32 v5, v7, 23, 0x37800000
	v_or3_b32 v1, v3, v5, v1
	s_delay_alu instid0(VALU_DEP_1)
	v_cvt_i32_f32_e32 v1, v1
.LBB119_86:
	s_or_b32 exec_lo, exec_lo, s30
	s_mov_b32 s30, 0
	s_branch .LBB119_92
.LBB119_87:
	s_mov_b32 s31, -1
                                        ; implicit-def: $vgpr1
	s_branch .LBB119_98
.LBB119_88:
	s_and_not1_saveexec_b32 s30, s30
	s_cbranch_execz .LBB119_74
.LBB119_89:
	v_cmp_ne_u16_e32 vcc_lo, 0, v3
	s_and_not1_b32 s31, s31, exec_lo
	s_and_b32 s42, vcc_lo, exec_lo
	s_delay_alu instid0(SALU_CYCLE_1)
	s_or_b32 s31, s31, s42
	s_or_b32 exec_lo, exec_lo, s30
	v_mov_b32_e32 v1, 0
	s_and_saveexec_b32 s30, s31
	s_cbranch_execnz .LBB119_75
	s_branch .LBB119_76
.LBB119_90:
	s_mov_b32 s30, -1
                                        ; implicit-def: $vgpr1
	s_branch .LBB119_95
.LBB119_91:
	s_mov_b32 s30, -1
                                        ; implicit-def: $vgpr1
.LBB119_92:
	s_delay_alu instid0(SALU_CYCLE_1)
	s_and_b32 vcc_lo, exec_lo, s30
	s_cbranch_vccz .LBB119_94
; %bb.93:
	s_wait_loadcnt 0x0
	global_load_u8 v1, v[8:9], off
	s_wait_loadcnt 0x0
	v_lshlrev_b32_e32 v1, 24, v1
	s_delay_alu instid0(VALU_DEP_1) | instskip(NEXT) | instid1(VALU_DEP_1)
	v_and_b32_e32 v3, 0x7f000000, v1
	v_clz_i32_u32_e32 v5, v3
	v_cmp_ne_u32_e32 vcc_lo, 0, v3
	v_add_nc_u32_e32 v10, 0x1000000, v3
	s_delay_alu instid0(VALU_DEP_3) | instskip(NEXT) | instid1(VALU_DEP_1)
	v_min_u32_e32 v5, 32, v5
	v_sub_nc_u32_e64 v5, v5, 4 clamp
	s_delay_alu instid0(VALU_DEP_1) | instskip(NEXT) | instid1(VALU_DEP_1)
	v_dual_lshlrev_b32 v7, v5, v3 :: v_dual_lshlrev_b32 v5, 23, v5
	v_lshrrev_b32_e32 v7, 4, v7
	s_delay_alu instid0(VALU_DEP_1) | instskip(NEXT) | instid1(VALU_DEP_1)
	v_dual_sub_nc_u32 v5, v7, v5 :: v_dual_ashrrev_i32 v7, 8, v10
	v_add_nc_u32_e32 v5, 0x3c000000, v5
	s_delay_alu instid0(VALU_DEP_1) | instskip(NEXT) | instid1(VALU_DEP_1)
	v_and_or_b32 v5, 0x7f800000, v7, v5
	v_cndmask_b32_e32 v3, 0, v5, vcc_lo
	s_delay_alu instid0(VALU_DEP_1) | instskip(NEXT) | instid1(VALU_DEP_1)
	v_and_or_b32 v1, 0x80000000, v1, v3
	v_cvt_i32_f32_e32 v1, v1
.LBB119_94:
	s_mov_b32 s30, 0
.LBB119_95:
	s_delay_alu instid0(SALU_CYCLE_1)
	s_and_not1_b32 vcc_lo, exec_lo, s30
	s_cbranch_vccnz .LBB119_97
; %bb.96:
	s_wait_loadcnt 0x0
	global_load_u8 v1, v[8:9], off
	s_wait_loadcnt 0x0
	v_lshlrev_b32_e32 v3, 25, v1
	v_lshlrev_b16 v1, 8, v1
	s_delay_alu instid0(VALU_DEP_1) | instskip(SKIP_1) | instid1(VALU_DEP_2)
	v_and_or_b32 v7, 0x7f00, v1, 0.5
	v_bfe_i32 v1, v1, 0, 16
	v_add_f32_e32 v7, -0.5, v7
	v_lshrrev_b32_e32 v5, 4, v3
	v_cmp_gt_u32_e32 vcc_lo, 0x8000000, v3
	s_delay_alu instid0(VALU_DEP_2) | instskip(NEXT) | instid1(VALU_DEP_1)
	v_or_b32_e32 v5, 0x70000000, v5
	v_mul_f32_e32 v5, 0x7800000, v5
	s_delay_alu instid0(VALU_DEP_1) | instskip(NEXT) | instid1(VALU_DEP_1)
	v_cndmask_b32_e32 v3, v5, v7, vcc_lo
	v_and_or_b32 v1, 0x80000000, v1, v3
	s_delay_alu instid0(VALU_DEP_1)
	v_cvt_i32_f32_e32 v1, v1
.LBB119_97:
	s_mov_b32 s31, 0
	s_mov_b32 s30, -1
.LBB119_98:
	s_and_not1_b32 vcc_lo, exec_lo, s31
	s_cbranch_vccnz .LBB119_111
; %bb.99:
	s_cmp_gt_i32 s29, 14
	s_cbranch_scc0 .LBB119_102
; %bb.100:
	s_cmp_eq_u32 s29, 15
	s_cbranch_scc0 .LBB119_105
; %bb.101:
	s_wait_loadcnt 0x0
	global_load_u16 v1, v[8:9], off
	s_mov_b32 s30, -1
	s_mov_b32 s28, 0
	s_wait_loadcnt 0x0
	v_lshlrev_b32_e32 v1, 16, v1
	s_delay_alu instid0(VALU_DEP_1)
	v_cvt_i32_f32_e32 v1, v1
	s_branch .LBB119_106
.LBB119_102:
	s_mov_b32 s31, -1
                                        ; implicit-def: $vgpr1
	s_branch .LBB119_107
.LBB119_103:
	s_and_not1_saveexec_b32 s30, s30
	s_cbranch_execz .LBB119_84
.LBB119_104:
	v_cmp_ne_u16_e32 vcc_lo, 0, v3
	s_and_not1_b32 s31, s31, exec_lo
	s_and_b32 s42, vcc_lo, exec_lo
	s_delay_alu instid0(SALU_CYCLE_1)
	s_or_b32 s31, s31, s42
	s_or_b32 exec_lo, exec_lo, s30
	v_mov_b32_e32 v1, 0
	s_and_saveexec_b32 s30, s31
	s_cbranch_execnz .LBB119_85
	s_branch .LBB119_86
.LBB119_105:
	s_mov_b32 s28, -1
                                        ; implicit-def: $vgpr1
.LBB119_106:
	s_mov_b32 s31, 0
.LBB119_107:
	s_delay_alu instid0(SALU_CYCLE_1)
	s_and_b32 vcc_lo, exec_lo, s31
	s_cbranch_vccz .LBB119_111
; %bb.108:
	s_cmp_eq_u32 s29, 11
	s_cbranch_scc0 .LBB119_110
; %bb.109:
	s_wait_loadcnt 0x0
	global_load_u8 v1, v[8:9], off
	s_mov_b32 s28, 0
	s_mov_b32 s30, -1
	s_wait_loadcnt 0x0
	v_cmp_ne_u16_e32 vcc_lo, 0, v1
	v_cndmask_b32_e64 v1, 0, 1, vcc_lo
	s_branch .LBB119_111
.LBB119_110:
	s_mov_b32 s28, -1
                                        ; implicit-def: $vgpr1
.LBB119_111:
	s_branch .LBB119_21
.LBB119_112:
	s_and_b32 s0, 0xffff, s0
	s_delay_alu instid0(SALU_CYCLE_1)
	s_cmp_lt_i32 s0, 5
	s_cbranch_scc1 .LBB119_117
; %bb.113:
	s_cmp_lt_i32 s0, 8
	s_cbranch_scc1 .LBB119_118
; %bb.114:
	s_cmp_lt_i32 s0, 9
	s_cbranch_scc1 .LBB119_119
; %bb.115:
	s_cmp_gt_i32 s0, 9
	s_cbranch_scc0 .LBB119_120
; %bb.116:
	global_load_b64 v[10:11], v[8:9], off
	s_mov_b32 s29, 0
	s_wait_loadcnt 0x0
	v_cvt_i32_f64_e32 v1, v[10:11]
	s_branch .LBB119_121
.LBB119_117:
                                        ; implicit-def: $vgpr1
	s_branch .LBB119_139
.LBB119_118:
	s_mov_b32 s29, -1
                                        ; implicit-def: $vgpr1
	s_branch .LBB119_127
.LBB119_119:
	s_mov_b32 s29, -1
                                        ; implicit-def: $vgpr1
	s_branch .LBB119_124
.LBB119_120:
	s_mov_b32 s29, -1
                                        ; implicit-def: $vgpr1
.LBB119_121:
	s_delay_alu instid0(SALU_CYCLE_1)
	s_and_not1_b32 vcc_lo, exec_lo, s29
	s_cbranch_vccnz .LBB119_123
; %bb.122:
	s_wait_loadcnt 0x0
	global_load_b32 v1, v[8:9], off
	s_wait_loadcnt 0x0
	v_cvt_i32_f32_e32 v1, v1
.LBB119_123:
	s_mov_b32 s29, 0
.LBB119_124:
	s_delay_alu instid0(SALU_CYCLE_1)
	s_and_not1_b32 vcc_lo, exec_lo, s29
	s_cbranch_vccnz .LBB119_126
; %bb.125:
	s_wait_loadcnt 0x0
	global_load_b32 v1, v[8:9], off
	s_wait_loadcnt 0x0
	v_cvt_f32_f16_e32 v1, v1
	s_delay_alu instid0(VALU_DEP_1)
	v_cvt_i32_f32_e32 v1, v1
.LBB119_126:
	s_mov_b32 s29, 0
.LBB119_127:
	s_delay_alu instid0(SALU_CYCLE_1)
	s_and_not1_b32 vcc_lo, exec_lo, s29
	s_cbranch_vccnz .LBB119_138
; %bb.128:
	s_cmp_lt_i32 s0, 6
	s_cbranch_scc1 .LBB119_131
; %bb.129:
	s_cmp_gt_i32 s0, 6
	s_cbranch_scc0 .LBB119_132
; %bb.130:
	global_load_b64 v[10:11], v[8:9], off
	s_mov_b32 s29, 0
	s_wait_loadcnt 0x0
	v_cvt_i32_f64_e32 v1, v[10:11]
	s_branch .LBB119_133
.LBB119_131:
	s_mov_b32 s29, -1
                                        ; implicit-def: $vgpr1
	s_branch .LBB119_136
.LBB119_132:
	s_mov_b32 s29, -1
                                        ; implicit-def: $vgpr1
.LBB119_133:
	s_delay_alu instid0(SALU_CYCLE_1)
	s_and_not1_b32 vcc_lo, exec_lo, s29
	s_cbranch_vccnz .LBB119_135
; %bb.134:
	s_wait_loadcnt 0x0
	global_load_b32 v1, v[8:9], off
	s_wait_loadcnt 0x0
	v_cvt_i32_f32_e32 v1, v1
.LBB119_135:
	s_mov_b32 s29, 0
.LBB119_136:
	s_delay_alu instid0(SALU_CYCLE_1)
	s_and_not1_b32 vcc_lo, exec_lo, s29
	s_cbranch_vccnz .LBB119_138
; %bb.137:
	s_wait_loadcnt 0x0
	global_load_u16 v1, v[8:9], off
	s_wait_loadcnt 0x0
	v_cvt_f32_f16_e32 v1, v1
	s_delay_alu instid0(VALU_DEP_1)
	v_cvt_i32_f32_e32 v1, v1
.LBB119_138:
	s_cbranch_execnz .LBB119_158
.LBB119_139:
	s_cmp_lt_i32 s0, 2
	s_cbranch_scc1 .LBB119_143
; %bb.140:
	s_cmp_lt_i32 s0, 3
	s_cbranch_scc1 .LBB119_144
; %bb.141:
	s_cmp_gt_i32 s0, 3
	s_cbranch_scc0 .LBB119_145
; %bb.142:
	s_wait_loadcnt 0x0
	global_load_b32 v1, v[8:9], off
	s_mov_b32 s29, 0
	s_branch .LBB119_146
.LBB119_143:
	s_mov_b32 s29, -1
                                        ; implicit-def: $vgpr1
	s_branch .LBB119_152
.LBB119_144:
	s_mov_b32 s29, -1
                                        ; implicit-def: $vgpr1
	s_branch .LBB119_149
.LBB119_145:
	s_mov_b32 s29, -1
                                        ; implicit-def: $vgpr1
.LBB119_146:
	s_delay_alu instid0(SALU_CYCLE_1)
	s_and_not1_b32 vcc_lo, exec_lo, s29
	s_cbranch_vccnz .LBB119_148
; %bb.147:
	s_wait_loadcnt 0x0
	global_load_b32 v1, v[8:9], off
.LBB119_148:
	s_mov_b32 s29, 0
.LBB119_149:
	s_delay_alu instid0(SALU_CYCLE_1)
	s_and_not1_b32 vcc_lo, exec_lo, s29
	s_cbranch_vccnz .LBB119_151
; %bb.150:
	s_wait_loadcnt 0x0
	global_load_i16 v1, v[8:9], off
.LBB119_151:
	s_mov_b32 s29, 0
.LBB119_152:
	s_delay_alu instid0(SALU_CYCLE_1)
	s_and_not1_b32 vcc_lo, exec_lo, s29
	s_cbranch_vccnz .LBB119_158
; %bb.153:
	s_cmp_gt_i32 s0, 0
	s_mov_b32 s0, 0
	s_cbranch_scc0 .LBB119_155
; %bb.154:
	s_wait_loadcnt 0x0
	global_load_i8 v1, v[8:9], off
	s_branch .LBB119_156
.LBB119_155:
	s_mov_b32 s0, -1
                                        ; implicit-def: $vgpr1
.LBB119_156:
	s_delay_alu instid0(SALU_CYCLE_1)
	s_and_not1_b32 vcc_lo, exec_lo, s0
	s_cbranch_vccnz .LBB119_158
; %bb.157:
	s_wait_loadcnt 0x0
	global_load_u8 v1, v[8:9], off
.LBB119_158:
	s_branch .LBB119_22
.LBB119_159:
	s_mov_b32 s0, 0
	s_mov_b32 s30, 0
	;; [unrolled: 1-line block ×3, first 2 shown]
	s_branch .LBB119_509
.LBB119_160:
	s_mov_b32 s29, -1
.LBB119_161:
	s_mov_b32 s31, 0
                                        ; implicit-def: $vgpr8
.LBB119_162:
	s_and_b32 vcc_lo, exec_lo, s42
	s_cbranch_vccz .LBB119_167
; %bb.163:
	s_cmp_eq_u32 s30, 44
	s_cbranch_scc0 .LBB119_166
; %bb.164:
	global_load_u8 v3, v[6:7], off
	s_mov_b32 s29, 0
	s_mov_b32 s31, -1
	s_wait_loadcnt 0x0
	v_lshlrev_b32_e32 v5, 23, v3
	v_cmp_ne_u32_e32 vcc_lo, 0, v3
	s_delay_alu instid0(VALU_DEP_2) | instskip(NEXT) | instid1(VALU_DEP_1)
	v_cvt_i32_f32_e32 v5, v5
	v_cndmask_b32_e32 v8, 0, v5, vcc_lo
	s_branch .LBB119_167
.LBB119_165:
	s_mov_b32 s42, -1
	s_mov_b32 s30, 0
	s_branch .LBB119_274
.LBB119_166:
	s_mov_b32 s29, -1
                                        ; implicit-def: $vgpr8
.LBB119_167:
	s_mov_b32 s42, 0
.LBB119_168:
	s_delay_alu instid0(SALU_CYCLE_1)
	s_and_b32 vcc_lo, exec_lo, s42
	s_cbranch_vccz .LBB119_172
; %bb.169:
	s_cmp_eq_u32 s30, 29
	s_cbranch_scc0 .LBB119_171
; %bb.170:
	global_load_b32 v8, v[6:7], off
	s_mov_b32 s31, -1
	s_mov_b32 s29, 0
	s_branch .LBB119_172
.LBB119_171:
	s_mov_b32 s29, -1
                                        ; implicit-def: $vgpr8
.LBB119_172:
	s_mov_b32 s42, 0
.LBB119_173:
	s_delay_alu instid0(SALU_CYCLE_1)
	s_and_b32 vcc_lo, exec_lo, s42
	s_cbranch_vccz .LBB119_189
; %bb.174:
	s_cmp_lt_i32 s30, 27
	s_cbranch_scc1 .LBB119_177
; %bb.175:
	s_cmp_gt_i32 s30, 27
	s_cbranch_scc0 .LBB119_178
; %bb.176:
	s_wait_loadcnt 0x0
	global_load_b32 v8, v[6:7], off
	s_mov_b32 s31, 0
	s_branch .LBB119_179
.LBB119_177:
	s_mov_b32 s31, -1
                                        ; implicit-def: $vgpr8
	s_branch .LBB119_182
.LBB119_178:
	s_mov_b32 s31, -1
                                        ; implicit-def: $vgpr8
.LBB119_179:
	s_delay_alu instid0(SALU_CYCLE_1)
	s_and_not1_b32 vcc_lo, exec_lo, s31
	s_cbranch_vccnz .LBB119_181
; %bb.180:
	s_wait_loadcnt 0x0
	global_load_u16 v8, v[6:7], off
.LBB119_181:
	s_mov_b32 s31, 0
.LBB119_182:
	s_delay_alu instid0(SALU_CYCLE_1)
	s_and_not1_b32 vcc_lo, exec_lo, s31
	s_cbranch_vccnz .LBB119_188
; %bb.183:
	global_load_u8 v3, v[6:7], off
	s_mov_b32 s42, 0
	s_mov_b32 s31, exec_lo
	s_wait_loadcnt 0x0
	v_cmpx_lt_i16_e32 0x7f, v3
	s_xor_b32 s31, exec_lo, s31
	s_cbranch_execz .LBB119_200
; %bb.184:
	v_cmp_ne_u16_e32 vcc_lo, 0x80, v3
	s_and_b32 s42, vcc_lo, exec_lo
	s_and_not1_saveexec_b32 s31, s31
	s_cbranch_execnz .LBB119_201
.LBB119_185:
	s_or_b32 exec_lo, exec_lo, s31
	v_mov_b32_e32 v8, 0
	s_and_saveexec_b32 s31, s42
	s_cbranch_execz .LBB119_187
.LBB119_186:
	v_and_b32_e32 v5, 0xffff, v3
	s_delay_alu instid0(VALU_DEP_1) | instskip(SKIP_1) | instid1(VALU_DEP_2)
	v_dual_lshlrev_b32 v3, 24, v3 :: v_dual_bitop2_b32 v8, 7, v5 bitop3:0x40
	v_bfe_u32 v11, v5, 3, 4
	v_and_b32_e32 v3, 0x80000000, v3
	s_delay_alu instid0(VALU_DEP_3) | instskip(NEXT) | instid1(VALU_DEP_3)
	v_clz_i32_u32_e32 v9, v8
	v_cmp_eq_u32_e32 vcc_lo, 0, v11
	s_delay_alu instid0(VALU_DEP_2) | instskip(NEXT) | instid1(VALU_DEP_1)
	v_min_u32_e32 v9, 32, v9
	v_subrev_nc_u32_e32 v10, 28, v9
	v_sub_nc_u32_e32 v9, 29, v9
	s_delay_alu instid0(VALU_DEP_2) | instskip(NEXT) | instid1(VALU_DEP_2)
	v_lshlrev_b32_e32 v5, v10, v5
	v_cndmask_b32_e32 v9, v11, v9, vcc_lo
	s_delay_alu instid0(VALU_DEP_2) | instskip(NEXT) | instid1(VALU_DEP_1)
	v_and_b32_e32 v5, 7, v5
	v_cndmask_b32_e32 v5, v8, v5, vcc_lo
	s_delay_alu instid0(VALU_DEP_3) | instskip(NEXT) | instid1(VALU_DEP_2)
	v_lshl_add_u32 v8, v9, 23, 0x3b800000
	v_lshlrev_b32_e32 v5, 20, v5
	s_delay_alu instid0(VALU_DEP_1) | instskip(NEXT) | instid1(VALU_DEP_1)
	v_or3_b32 v3, v3, v8, v5
	v_cvt_i32_f32_e32 v8, v3
.LBB119_187:
	s_or_b32 exec_lo, exec_lo, s31
.LBB119_188:
	s_mov_b32 s31, -1
.LBB119_189:
	s_mov_b32 s42, 0
.LBB119_190:
	s_delay_alu instid0(SALU_CYCLE_1)
	s_and_b32 vcc_lo, exec_lo, s42
	s_cbranch_vccz .LBB119_223
; %bb.191:
	s_cmp_gt_i32 s30, 22
	s_cbranch_scc0 .LBB119_199
; %bb.192:
	s_cmp_lt_i32 s30, 24
	s_cbranch_scc1 .LBB119_202
; %bb.193:
	s_cmp_gt_i32 s30, 24
	s_cbranch_scc0 .LBB119_203
; %bb.194:
	global_load_u8 v3, v[6:7], off
	s_mov_b32 s42, 0
	s_mov_b32 s31, exec_lo
	s_wait_loadcnt 0x0
	v_cmpx_lt_i16_e32 0x7f, v3
	s_xor_b32 s31, exec_lo, s31
	s_cbranch_execz .LBB119_215
; %bb.195:
	v_cmp_ne_u16_e32 vcc_lo, 0x80, v3
	s_and_b32 s42, vcc_lo, exec_lo
	s_and_not1_saveexec_b32 s31, s31
	s_cbranch_execnz .LBB119_216
.LBB119_196:
	s_or_b32 exec_lo, exec_lo, s31
	v_mov_b32_e32 v8, 0
	s_and_saveexec_b32 s31, s42
	s_cbranch_execz .LBB119_198
.LBB119_197:
	v_and_b32_e32 v5, 0xffff, v3
	s_delay_alu instid0(VALU_DEP_1) | instskip(SKIP_1) | instid1(VALU_DEP_2)
	v_dual_lshlrev_b32 v3, 24, v3 :: v_dual_bitop2_b32 v8, 3, v5 bitop3:0x40
	v_bfe_u32 v11, v5, 2, 5
	v_and_b32_e32 v3, 0x80000000, v3
	s_delay_alu instid0(VALU_DEP_3) | instskip(NEXT) | instid1(VALU_DEP_3)
	v_clz_i32_u32_e32 v9, v8
	v_cmp_eq_u32_e32 vcc_lo, 0, v11
	s_delay_alu instid0(VALU_DEP_2) | instskip(NEXT) | instid1(VALU_DEP_1)
	v_min_u32_e32 v9, 32, v9
	v_subrev_nc_u32_e32 v10, 29, v9
	v_sub_nc_u32_e32 v9, 30, v9
	s_delay_alu instid0(VALU_DEP_2) | instskip(NEXT) | instid1(VALU_DEP_2)
	v_lshlrev_b32_e32 v5, v10, v5
	v_cndmask_b32_e32 v9, v11, v9, vcc_lo
	s_delay_alu instid0(VALU_DEP_2) | instskip(NEXT) | instid1(VALU_DEP_1)
	v_and_b32_e32 v5, 3, v5
	v_cndmask_b32_e32 v5, v8, v5, vcc_lo
	s_delay_alu instid0(VALU_DEP_3) | instskip(NEXT) | instid1(VALU_DEP_2)
	v_lshl_add_u32 v8, v9, 23, 0x37800000
	v_lshlrev_b32_e32 v5, 21, v5
	s_delay_alu instid0(VALU_DEP_1) | instskip(NEXT) | instid1(VALU_DEP_1)
	v_or3_b32 v3, v3, v8, v5
	v_cvt_i32_f32_e32 v8, v3
.LBB119_198:
	s_or_b32 exec_lo, exec_lo, s31
	s_mov_b32 s31, 0
	s_branch .LBB119_204
.LBB119_199:
	s_mov_b32 s42, -1
                                        ; implicit-def: $vgpr8
	s_branch .LBB119_210
.LBB119_200:
	s_and_not1_saveexec_b32 s31, s31
	s_cbranch_execz .LBB119_185
.LBB119_201:
	v_cmp_ne_u16_e32 vcc_lo, 0, v3
	s_and_not1_b32 s42, s42, exec_lo
	s_and_b32 s46, vcc_lo, exec_lo
	s_delay_alu instid0(SALU_CYCLE_1)
	s_or_b32 s42, s42, s46
	s_or_b32 exec_lo, exec_lo, s31
	v_mov_b32_e32 v8, 0
	s_and_saveexec_b32 s31, s42
	s_cbranch_execnz .LBB119_186
	s_branch .LBB119_187
.LBB119_202:
	s_mov_b32 s31, -1
                                        ; implicit-def: $vgpr8
	s_branch .LBB119_207
.LBB119_203:
	s_mov_b32 s31, -1
                                        ; implicit-def: $vgpr8
.LBB119_204:
	s_delay_alu instid0(SALU_CYCLE_1)
	s_and_b32 vcc_lo, exec_lo, s31
	s_cbranch_vccz .LBB119_206
; %bb.205:
	global_load_u8 v3, v[6:7], off
	s_wait_loadcnt 0x0
	v_lshlrev_b32_e32 v3, 24, v3
	s_delay_alu instid0(VALU_DEP_1) | instskip(NEXT) | instid1(VALU_DEP_1)
	v_and_b32_e32 v5, 0x7f000000, v3
	v_clz_i32_u32_e32 v8, v5
	v_cmp_ne_u32_e32 vcc_lo, 0, v5
	v_add_nc_u32_e32 v10, 0x1000000, v5
	s_delay_alu instid0(VALU_DEP_3) | instskip(NEXT) | instid1(VALU_DEP_1)
	v_min_u32_e32 v8, 32, v8
	v_sub_nc_u32_e64 v8, v8, 4 clamp
	s_delay_alu instid0(VALU_DEP_1) | instskip(NEXT) | instid1(VALU_DEP_1)
	v_dual_lshlrev_b32 v9, v8, v5 :: v_dual_lshlrev_b32 v8, 23, v8
	v_lshrrev_b32_e32 v9, 4, v9
	s_delay_alu instid0(VALU_DEP_1) | instskip(NEXT) | instid1(VALU_DEP_1)
	v_dual_sub_nc_u32 v8, v9, v8 :: v_dual_ashrrev_i32 v9, 8, v10
	v_add_nc_u32_e32 v8, 0x3c000000, v8
	s_delay_alu instid0(VALU_DEP_1) | instskip(NEXT) | instid1(VALU_DEP_1)
	v_and_or_b32 v8, 0x7f800000, v9, v8
	v_cndmask_b32_e32 v5, 0, v8, vcc_lo
	s_delay_alu instid0(VALU_DEP_1) | instskip(NEXT) | instid1(VALU_DEP_1)
	v_and_or_b32 v3, 0x80000000, v3, v5
	v_cvt_i32_f32_e32 v8, v3
.LBB119_206:
	s_mov_b32 s31, 0
.LBB119_207:
	s_delay_alu instid0(SALU_CYCLE_1)
	s_and_not1_b32 vcc_lo, exec_lo, s31
	s_cbranch_vccnz .LBB119_209
; %bb.208:
	global_load_u8 v3, v[6:7], off
	s_wait_loadcnt 0x0
	v_lshlrev_b32_e32 v5, 25, v3
	v_lshlrev_b16 v3, 8, v3
	s_delay_alu instid0(VALU_DEP_1) | instskip(SKIP_1) | instid1(VALU_DEP_2)
	v_and_or_b32 v9, 0x7f00, v3, 0.5
	v_bfe_i32 v3, v3, 0, 16
	v_add_f32_e32 v9, -0.5, v9
	v_lshrrev_b32_e32 v8, 4, v5
	v_cmp_gt_u32_e32 vcc_lo, 0x8000000, v5
	s_delay_alu instid0(VALU_DEP_2) | instskip(NEXT) | instid1(VALU_DEP_1)
	v_or_b32_e32 v8, 0x70000000, v8
	v_mul_f32_e32 v8, 0x7800000, v8
	s_delay_alu instid0(VALU_DEP_1) | instskip(NEXT) | instid1(VALU_DEP_1)
	v_cndmask_b32_e32 v5, v8, v9, vcc_lo
	v_and_or_b32 v3, 0x80000000, v3, v5
	s_delay_alu instid0(VALU_DEP_1)
	v_cvt_i32_f32_e32 v8, v3
.LBB119_209:
	s_mov_b32 s42, 0
	s_mov_b32 s31, -1
.LBB119_210:
	s_and_not1_b32 vcc_lo, exec_lo, s42
	s_cbranch_vccnz .LBB119_223
; %bb.211:
	s_cmp_gt_i32 s30, 14
	s_cbranch_scc0 .LBB119_214
; %bb.212:
	s_cmp_eq_u32 s30, 15
	s_cbranch_scc0 .LBB119_217
; %bb.213:
	global_load_u16 v3, v[6:7], off
	s_mov_b32 s31, -1
	s_mov_b32 s29, 0
	s_wait_loadcnt 0x0
	v_lshlrev_b32_e32 v3, 16, v3
	s_delay_alu instid0(VALU_DEP_1)
	v_cvt_i32_f32_e32 v8, v3
	s_branch .LBB119_218
.LBB119_214:
	s_mov_b32 s42, -1
                                        ; implicit-def: $vgpr8
	s_branch .LBB119_219
.LBB119_215:
	s_and_not1_saveexec_b32 s31, s31
	s_cbranch_execz .LBB119_196
.LBB119_216:
	v_cmp_ne_u16_e32 vcc_lo, 0, v3
	s_and_not1_b32 s42, s42, exec_lo
	s_and_b32 s46, vcc_lo, exec_lo
	s_delay_alu instid0(SALU_CYCLE_1)
	s_or_b32 s42, s42, s46
	s_or_b32 exec_lo, exec_lo, s31
	v_mov_b32_e32 v8, 0
	s_and_saveexec_b32 s31, s42
	s_cbranch_execnz .LBB119_197
	s_branch .LBB119_198
.LBB119_217:
	s_mov_b32 s29, -1
                                        ; implicit-def: $vgpr8
.LBB119_218:
	s_mov_b32 s42, 0
.LBB119_219:
	s_delay_alu instid0(SALU_CYCLE_1)
	s_and_b32 vcc_lo, exec_lo, s42
	s_cbranch_vccz .LBB119_223
; %bb.220:
	s_cmp_eq_u32 s30, 11
	s_cbranch_scc0 .LBB119_222
; %bb.221:
	global_load_u8 v3, v[6:7], off
	s_mov_b32 s29, 0
	s_mov_b32 s31, -1
	s_wait_loadcnt 0x0
	v_cmp_ne_u16_e32 vcc_lo, 0, v3
	v_cndmask_b32_e64 v8, 0, 1, vcc_lo
	s_branch .LBB119_223
.LBB119_222:
	s_mov_b32 s29, -1
                                        ; implicit-def: $vgpr8
.LBB119_223:
	s_branch .LBB119_31
.LBB119_224:
	s_and_b32 s0, 0xffff, s0
	s_delay_alu instid0(SALU_CYCLE_1)
	s_cmp_lt_i32 s0, 5
	s_cbranch_scc1 .LBB119_229
; %bb.225:
	s_cmp_lt_i32 s0, 8
	s_cbranch_scc1 .LBB119_230
; %bb.226:
	;; [unrolled: 3-line block ×3, first 2 shown]
	s_cmp_gt_i32 s0, 9
	s_cbranch_scc0 .LBB119_232
; %bb.228:
	s_wait_loadcnt 0x0
	global_load_b64 v[8:9], v[6:7], off
	s_mov_b32 s30, 0
	s_wait_loadcnt 0x0
	v_cvt_i32_f64_e32 v8, v[8:9]
	s_branch .LBB119_233
.LBB119_229:
	s_mov_b32 s30, -1
                                        ; implicit-def: $vgpr8
	s_branch .LBB119_251
.LBB119_230:
	s_mov_b32 s30, -1
                                        ; implicit-def: $vgpr8
	s_branch .LBB119_239
.LBB119_231:
	s_mov_b32 s30, -1
                                        ; implicit-def: $vgpr8
	s_branch .LBB119_236
.LBB119_232:
	s_mov_b32 s30, -1
                                        ; implicit-def: $vgpr8
.LBB119_233:
	s_delay_alu instid0(SALU_CYCLE_1)
	s_and_not1_b32 vcc_lo, exec_lo, s30
	s_cbranch_vccnz .LBB119_235
; %bb.234:
	global_load_b32 v3, v[6:7], off
	s_wait_loadcnt 0x0
	v_cvt_i32_f32_e32 v8, v3
.LBB119_235:
	s_mov_b32 s30, 0
.LBB119_236:
	s_delay_alu instid0(SALU_CYCLE_1)
	s_and_not1_b32 vcc_lo, exec_lo, s30
	s_cbranch_vccnz .LBB119_238
; %bb.237:
	global_load_b32 v3, v[6:7], off
	s_wait_loadcnt 0x0
	v_cvt_f32_f16_e32 v3, v3
	s_delay_alu instid0(VALU_DEP_1)
	v_cvt_i32_f32_e32 v8, v3
.LBB119_238:
	s_mov_b32 s30, 0
.LBB119_239:
	s_delay_alu instid0(SALU_CYCLE_1)
	s_and_not1_b32 vcc_lo, exec_lo, s30
	s_cbranch_vccnz .LBB119_250
; %bb.240:
	s_cmp_lt_i32 s0, 6
	s_cbranch_scc1 .LBB119_243
; %bb.241:
	s_cmp_gt_i32 s0, 6
	s_cbranch_scc0 .LBB119_244
; %bb.242:
	s_wait_loadcnt 0x0
	global_load_b64 v[8:9], v[6:7], off
	s_mov_b32 s30, 0
	s_wait_loadcnt 0x0
	v_cvt_i32_f64_e32 v8, v[8:9]
	s_branch .LBB119_245
.LBB119_243:
	s_mov_b32 s30, -1
                                        ; implicit-def: $vgpr8
	s_branch .LBB119_248
.LBB119_244:
	s_mov_b32 s30, -1
                                        ; implicit-def: $vgpr8
.LBB119_245:
	s_delay_alu instid0(SALU_CYCLE_1)
	s_and_not1_b32 vcc_lo, exec_lo, s30
	s_cbranch_vccnz .LBB119_247
; %bb.246:
	global_load_b32 v3, v[6:7], off
	s_wait_loadcnt 0x0
	v_cvt_i32_f32_e32 v8, v3
.LBB119_247:
	s_mov_b32 s30, 0
.LBB119_248:
	s_delay_alu instid0(SALU_CYCLE_1)
	s_and_not1_b32 vcc_lo, exec_lo, s30
	s_cbranch_vccnz .LBB119_250
; %bb.249:
	global_load_u16 v3, v[6:7], off
	s_wait_loadcnt 0x0
	v_cvt_f32_f16_e32 v3, v3
	s_delay_alu instid0(VALU_DEP_1)
	v_cvt_i32_f32_e32 v8, v3
.LBB119_250:
	s_mov_b32 s30, 0
.LBB119_251:
	s_delay_alu instid0(SALU_CYCLE_1)
	s_and_not1_b32 vcc_lo, exec_lo, s30
	s_cbranch_vccnz .LBB119_271
; %bb.252:
	s_cmp_lt_i32 s0, 2
	s_cbranch_scc1 .LBB119_256
; %bb.253:
	s_cmp_lt_i32 s0, 3
	s_cbranch_scc1 .LBB119_257
; %bb.254:
	s_cmp_gt_i32 s0, 3
	s_cbranch_scc0 .LBB119_258
; %bb.255:
	s_wait_loadcnt 0x0
	global_load_b32 v8, v[6:7], off
	s_mov_b32 s30, 0
	s_branch .LBB119_259
.LBB119_256:
	s_mov_b32 s30, -1
                                        ; implicit-def: $vgpr8
	s_branch .LBB119_265
.LBB119_257:
	s_mov_b32 s30, -1
                                        ; implicit-def: $vgpr8
	s_branch .LBB119_262
.LBB119_258:
	s_mov_b32 s30, -1
                                        ; implicit-def: $vgpr8
.LBB119_259:
	s_delay_alu instid0(SALU_CYCLE_1)
	s_and_not1_b32 vcc_lo, exec_lo, s30
	s_cbranch_vccnz .LBB119_261
; %bb.260:
	s_wait_loadcnt 0x0
	global_load_b32 v8, v[6:7], off
.LBB119_261:
	s_mov_b32 s30, 0
.LBB119_262:
	s_delay_alu instid0(SALU_CYCLE_1)
	s_and_not1_b32 vcc_lo, exec_lo, s30
	s_cbranch_vccnz .LBB119_264
; %bb.263:
	s_wait_loadcnt 0x0
	global_load_i16 v8, v[6:7], off
.LBB119_264:
	s_mov_b32 s30, 0
.LBB119_265:
	s_delay_alu instid0(SALU_CYCLE_1)
	s_and_not1_b32 vcc_lo, exec_lo, s30
	s_cbranch_vccnz .LBB119_271
; %bb.266:
	s_cmp_gt_i32 s0, 0
	s_mov_b32 s0, 0
	s_cbranch_scc0 .LBB119_268
; %bb.267:
	s_wait_loadcnt 0x0
	global_load_i8 v8, v[6:7], off
	s_branch .LBB119_269
.LBB119_268:
	s_mov_b32 s0, -1
                                        ; implicit-def: $vgpr8
.LBB119_269:
	s_delay_alu instid0(SALU_CYCLE_1)
	s_and_not1_b32 vcc_lo, exec_lo, s0
	s_cbranch_vccnz .LBB119_271
; %bb.270:
	s_wait_loadcnt 0x0
	global_load_u8 v8, v[6:7], off
.LBB119_271:
	s_branch .LBB119_32
.LBB119_272:
	s_mov_b32 s0, 0
	s_mov_b32 s30, 0
	s_branch .LBB119_509
.LBB119_273:
	s_mov_b32 s30, -1
.LBB119_274:
	s_mov_b32 s31, 0
                                        ; implicit-def: $vgpr6
.LBB119_275:
	s_and_b32 vcc_lo, exec_lo, s42
	s_cbranch_vccz .LBB119_279
; %bb.276:
	s_cmp_eq_u32 s0, 44
	s_cbranch_scc0 .LBB119_278
; %bb.277:
	global_load_u8 v3, v[4:5], off
	s_mov_b32 s30, 0
	s_mov_b32 s31, -1
	s_wait_loadcnt 0x0
	v_lshlrev_b32_e32 v6, 23, v3
	v_cmp_ne_u32_e32 vcc_lo, 0, v3
	s_delay_alu instid0(VALU_DEP_2) | instskip(NEXT) | instid1(VALU_DEP_1)
	v_cvt_i32_f32_e32 v6, v6
	v_cndmask_b32_e32 v6, 0, v6, vcc_lo
	s_branch .LBB119_279
.LBB119_278:
	s_mov_b32 s30, -1
                                        ; implicit-def: $vgpr6
.LBB119_279:
	s_mov_b32 s42, 0
.LBB119_280:
	s_delay_alu instid0(SALU_CYCLE_1)
	s_and_b32 vcc_lo, exec_lo, s42
	s_cbranch_vccz .LBB119_284
; %bb.281:
	s_cmp_eq_u32 s0, 29
	s_cbranch_scc0 .LBB119_283
; %bb.282:
	global_load_b32 v6, v[4:5], off
	s_mov_b32 s31, -1
	s_mov_b32 s30, 0
	s_branch .LBB119_284
.LBB119_283:
	s_mov_b32 s30, -1
                                        ; implicit-def: $vgpr6
.LBB119_284:
	s_mov_b32 s42, 0
.LBB119_285:
	s_delay_alu instid0(SALU_CYCLE_1)
	s_and_b32 vcc_lo, exec_lo, s42
	s_cbranch_vccz .LBB119_301
; %bb.286:
	s_cmp_lt_i32 s0, 27
	s_cbranch_scc1 .LBB119_289
; %bb.287:
	s_cmp_gt_i32 s0, 27
	s_cbranch_scc0 .LBB119_290
; %bb.288:
	s_wait_loadcnt 0x0
	global_load_b32 v6, v[4:5], off
	s_mov_b32 s31, 0
	s_branch .LBB119_291
.LBB119_289:
	s_mov_b32 s31, -1
                                        ; implicit-def: $vgpr6
	s_branch .LBB119_294
.LBB119_290:
	s_mov_b32 s31, -1
                                        ; implicit-def: $vgpr6
.LBB119_291:
	s_delay_alu instid0(SALU_CYCLE_1)
	s_and_not1_b32 vcc_lo, exec_lo, s31
	s_cbranch_vccnz .LBB119_293
; %bb.292:
	s_wait_loadcnt 0x0
	global_load_u16 v6, v[4:5], off
.LBB119_293:
	s_mov_b32 s31, 0
.LBB119_294:
	s_delay_alu instid0(SALU_CYCLE_1)
	s_and_not1_b32 vcc_lo, exec_lo, s31
	s_cbranch_vccnz .LBB119_300
; %bb.295:
	global_load_u8 v3, v[4:5], off
	s_mov_b32 s42, 0
	s_mov_b32 s31, exec_lo
	s_wait_loadcnt 0x0
	v_cmpx_lt_i16_e32 0x7f, v3
	s_xor_b32 s31, exec_lo, s31
	s_cbranch_execz .LBB119_312
; %bb.296:
	v_cmp_ne_u16_e32 vcc_lo, 0x80, v3
	s_and_b32 s42, vcc_lo, exec_lo
	s_and_not1_saveexec_b32 s31, s31
	s_cbranch_execnz .LBB119_313
.LBB119_297:
	s_or_b32 exec_lo, exec_lo, s31
	v_mov_b32_e32 v6, 0
	s_and_saveexec_b32 s31, s42
	s_cbranch_execz .LBB119_299
.LBB119_298:
	v_and_b32_e32 v6, 0xffff, v3
	s_delay_alu instid0(VALU_DEP_1) | instskip(SKIP_1) | instid1(VALU_DEP_2)
	v_and_b32_e32 v7, 7, v6
	v_bfe_u32 v11, v6, 3, 4
	v_clz_i32_u32_e32 v9, v7
	s_delay_alu instid0(VALU_DEP_2) | instskip(NEXT) | instid1(VALU_DEP_2)
	v_cmp_eq_u32_e32 vcc_lo, 0, v11
	v_min_u32_e32 v9, 32, v9
	s_delay_alu instid0(VALU_DEP_1) | instskip(NEXT) | instid1(VALU_DEP_1)
	v_subrev_nc_u32_e32 v10, 28, v9
	v_dual_lshlrev_b32 v6, v10, v6 :: v_dual_sub_nc_u32 v9, 29, v9
	s_delay_alu instid0(VALU_DEP_1) | instskip(NEXT) | instid1(VALU_DEP_2)
	v_dual_lshlrev_b32 v3, 24, v3 :: v_dual_bitop2_b32 v6, 7, v6 bitop3:0x40
	v_cndmask_b32_e32 v9, v11, v9, vcc_lo
	s_delay_alu instid0(VALU_DEP_2) | instskip(NEXT) | instid1(VALU_DEP_3)
	v_cndmask_b32_e32 v6, v7, v6, vcc_lo
	v_and_b32_e32 v3, 0x80000000, v3
	s_delay_alu instid0(VALU_DEP_3) | instskip(NEXT) | instid1(VALU_DEP_3)
	v_lshl_add_u32 v7, v9, 23, 0x3b800000
	v_lshlrev_b32_e32 v6, 20, v6
	s_delay_alu instid0(VALU_DEP_1) | instskip(NEXT) | instid1(VALU_DEP_1)
	v_or3_b32 v3, v3, v7, v6
	v_cvt_i32_f32_e32 v6, v3
.LBB119_299:
	s_or_b32 exec_lo, exec_lo, s31
.LBB119_300:
	s_mov_b32 s31, -1
.LBB119_301:
	s_mov_b32 s42, 0
.LBB119_302:
	s_delay_alu instid0(SALU_CYCLE_1)
	s_and_b32 vcc_lo, exec_lo, s42
	s_cbranch_vccz .LBB119_335
; %bb.303:
	s_cmp_gt_i32 s0, 22
	s_cbranch_scc0 .LBB119_311
; %bb.304:
	s_cmp_lt_i32 s0, 24
	s_cbranch_scc1 .LBB119_314
; %bb.305:
	s_cmp_gt_i32 s0, 24
	s_cbranch_scc0 .LBB119_315
; %bb.306:
	global_load_u8 v3, v[4:5], off
	s_mov_b32 s42, 0
	s_mov_b32 s31, exec_lo
	s_wait_loadcnt 0x0
	v_cmpx_lt_i16_e32 0x7f, v3
	s_xor_b32 s31, exec_lo, s31
	s_cbranch_execz .LBB119_327
; %bb.307:
	v_cmp_ne_u16_e32 vcc_lo, 0x80, v3
	s_and_b32 s42, vcc_lo, exec_lo
	s_and_not1_saveexec_b32 s31, s31
	s_cbranch_execnz .LBB119_328
.LBB119_308:
	s_or_b32 exec_lo, exec_lo, s31
	v_mov_b32_e32 v6, 0
	s_and_saveexec_b32 s31, s42
	s_cbranch_execz .LBB119_310
.LBB119_309:
	v_and_b32_e32 v6, 0xffff, v3
	s_delay_alu instid0(VALU_DEP_1) | instskip(SKIP_1) | instid1(VALU_DEP_2)
	v_and_b32_e32 v7, 3, v6
	v_bfe_u32 v11, v6, 2, 5
	v_clz_i32_u32_e32 v9, v7
	s_delay_alu instid0(VALU_DEP_2) | instskip(NEXT) | instid1(VALU_DEP_2)
	v_cmp_eq_u32_e32 vcc_lo, 0, v11
	v_min_u32_e32 v9, 32, v9
	s_delay_alu instid0(VALU_DEP_1) | instskip(NEXT) | instid1(VALU_DEP_1)
	v_subrev_nc_u32_e32 v10, 29, v9
	v_dual_lshlrev_b32 v6, v10, v6 :: v_dual_sub_nc_u32 v9, 30, v9
	s_delay_alu instid0(VALU_DEP_1) | instskip(NEXT) | instid1(VALU_DEP_2)
	v_dual_lshlrev_b32 v3, 24, v3 :: v_dual_bitop2_b32 v6, 3, v6 bitop3:0x40
	v_cndmask_b32_e32 v9, v11, v9, vcc_lo
	s_delay_alu instid0(VALU_DEP_2) | instskip(NEXT) | instid1(VALU_DEP_3)
	v_cndmask_b32_e32 v6, v7, v6, vcc_lo
	v_and_b32_e32 v3, 0x80000000, v3
	s_delay_alu instid0(VALU_DEP_3) | instskip(NEXT) | instid1(VALU_DEP_3)
	v_lshl_add_u32 v7, v9, 23, 0x37800000
	v_lshlrev_b32_e32 v6, 21, v6
	s_delay_alu instid0(VALU_DEP_1) | instskip(NEXT) | instid1(VALU_DEP_1)
	v_or3_b32 v3, v3, v7, v6
	v_cvt_i32_f32_e32 v6, v3
.LBB119_310:
	s_or_b32 exec_lo, exec_lo, s31
	s_mov_b32 s31, 0
	s_branch .LBB119_316
.LBB119_311:
	s_mov_b32 s42, -1
                                        ; implicit-def: $vgpr6
	s_branch .LBB119_322
.LBB119_312:
	s_and_not1_saveexec_b32 s31, s31
	s_cbranch_execz .LBB119_297
.LBB119_313:
	v_cmp_ne_u16_e32 vcc_lo, 0, v3
	s_and_not1_b32 s42, s42, exec_lo
	s_and_b32 s46, vcc_lo, exec_lo
	s_delay_alu instid0(SALU_CYCLE_1)
	s_or_b32 s42, s42, s46
	s_or_b32 exec_lo, exec_lo, s31
	v_mov_b32_e32 v6, 0
	s_and_saveexec_b32 s31, s42
	s_cbranch_execnz .LBB119_298
	s_branch .LBB119_299
.LBB119_314:
	s_mov_b32 s31, -1
                                        ; implicit-def: $vgpr6
	s_branch .LBB119_319
.LBB119_315:
	s_mov_b32 s31, -1
                                        ; implicit-def: $vgpr6
.LBB119_316:
	s_delay_alu instid0(SALU_CYCLE_1)
	s_and_b32 vcc_lo, exec_lo, s31
	s_cbranch_vccz .LBB119_318
; %bb.317:
	global_load_u8 v3, v[4:5], off
	s_wait_loadcnt 0x0
	v_lshlrev_b32_e32 v3, 24, v3
	s_delay_alu instid0(VALU_DEP_1) | instskip(NEXT) | instid1(VALU_DEP_1)
	v_and_b32_e32 v6, 0x7f000000, v3
	v_clz_i32_u32_e32 v7, v6
	v_add_nc_u32_e32 v10, 0x1000000, v6
	v_cmp_ne_u32_e32 vcc_lo, 0, v6
	s_delay_alu instid0(VALU_DEP_3) | instskip(NEXT) | instid1(VALU_DEP_1)
	v_min_u32_e32 v7, 32, v7
	v_sub_nc_u32_e64 v7, v7, 4 clamp
	s_delay_alu instid0(VALU_DEP_1) | instskip(NEXT) | instid1(VALU_DEP_1)
	v_dual_lshlrev_b32 v9, v7, v6 :: v_dual_lshlrev_b32 v7, 23, v7
	v_lshrrev_b32_e32 v9, 4, v9
	s_delay_alu instid0(VALU_DEP_1) | instskip(NEXT) | instid1(VALU_DEP_1)
	v_dual_sub_nc_u32 v7, v9, v7 :: v_dual_ashrrev_i32 v9, 8, v10
	v_add_nc_u32_e32 v7, 0x3c000000, v7
	s_delay_alu instid0(VALU_DEP_1) | instskip(NEXT) | instid1(VALU_DEP_1)
	v_and_or_b32 v7, 0x7f800000, v9, v7
	v_cndmask_b32_e32 v6, 0, v7, vcc_lo
	s_delay_alu instid0(VALU_DEP_1) | instskip(NEXT) | instid1(VALU_DEP_1)
	v_and_or_b32 v3, 0x80000000, v3, v6
	v_cvt_i32_f32_e32 v6, v3
.LBB119_318:
	s_mov_b32 s31, 0
.LBB119_319:
	s_delay_alu instid0(SALU_CYCLE_1)
	s_and_not1_b32 vcc_lo, exec_lo, s31
	s_cbranch_vccnz .LBB119_321
; %bb.320:
	global_load_u8 v3, v[4:5], off
	s_wait_loadcnt 0x0
	v_lshlrev_b32_e32 v6, 25, v3
	v_lshlrev_b16 v3, 8, v3
	s_delay_alu instid0(VALU_DEP_1) | instskip(SKIP_1) | instid1(VALU_DEP_2)
	v_and_or_b32 v9, 0x7f00, v3, 0.5
	v_bfe_i32 v3, v3, 0, 16
	v_dual_add_f32 v9, -0.5, v9 :: v_dual_lshrrev_b32 v7, 4, v6
	v_cmp_gt_u32_e32 vcc_lo, 0x8000000, v6
	s_delay_alu instid0(VALU_DEP_2) | instskip(NEXT) | instid1(VALU_DEP_1)
	v_or_b32_e32 v7, 0x70000000, v7
	v_mul_f32_e32 v7, 0x7800000, v7
	s_delay_alu instid0(VALU_DEP_1) | instskip(NEXT) | instid1(VALU_DEP_1)
	v_cndmask_b32_e32 v6, v7, v9, vcc_lo
	v_and_or_b32 v3, 0x80000000, v3, v6
	s_delay_alu instid0(VALU_DEP_1)
	v_cvt_i32_f32_e32 v6, v3
.LBB119_321:
	s_mov_b32 s42, 0
	s_mov_b32 s31, -1
.LBB119_322:
	s_and_not1_b32 vcc_lo, exec_lo, s42
	s_cbranch_vccnz .LBB119_335
; %bb.323:
	s_cmp_gt_i32 s0, 14
	s_cbranch_scc0 .LBB119_326
; %bb.324:
	s_cmp_eq_u32 s0, 15
	s_cbranch_scc0 .LBB119_329
; %bb.325:
	global_load_u16 v3, v[4:5], off
	s_mov_b32 s31, -1
	s_mov_b32 s30, 0
	s_wait_loadcnt 0x0
	v_lshlrev_b32_e32 v3, 16, v3
	s_delay_alu instid0(VALU_DEP_1)
	v_cvt_i32_f32_e32 v6, v3
	s_branch .LBB119_330
.LBB119_326:
	s_mov_b32 s42, -1
                                        ; implicit-def: $vgpr6
	s_branch .LBB119_331
.LBB119_327:
	s_and_not1_saveexec_b32 s31, s31
	s_cbranch_execz .LBB119_308
.LBB119_328:
	v_cmp_ne_u16_e32 vcc_lo, 0, v3
	s_and_not1_b32 s42, s42, exec_lo
	s_and_b32 s46, vcc_lo, exec_lo
	s_delay_alu instid0(SALU_CYCLE_1)
	s_or_b32 s42, s42, s46
	s_or_b32 exec_lo, exec_lo, s31
	v_mov_b32_e32 v6, 0
	s_and_saveexec_b32 s31, s42
	s_cbranch_execnz .LBB119_309
	s_branch .LBB119_310
.LBB119_329:
	s_mov_b32 s30, -1
                                        ; implicit-def: $vgpr6
.LBB119_330:
	s_mov_b32 s42, 0
.LBB119_331:
	s_delay_alu instid0(SALU_CYCLE_1)
	s_and_b32 vcc_lo, exec_lo, s42
	s_cbranch_vccz .LBB119_335
; %bb.332:
	s_cmp_eq_u32 s0, 11
	s_cbranch_scc0 .LBB119_334
; %bb.333:
	global_load_u8 v3, v[4:5], off
	s_mov_b32 s30, 0
	s_mov_b32 s31, -1
	s_wait_loadcnt 0x0
	v_cmp_ne_u16_e32 vcc_lo, 0, v3
	v_cndmask_b32_e64 v6, 0, 1, vcc_lo
	s_branch .LBB119_335
.LBB119_334:
	s_mov_b32 s30, -1
                                        ; implicit-def: $vgpr6
.LBB119_335:
	s_mov_b32 s42, 0
.LBB119_336:
	s_delay_alu instid0(SALU_CYCLE_1)
	s_and_b32 vcc_lo, exec_lo, s42
	s_cbranch_vccz .LBB119_385
; %bb.337:
	s_cmp_lt_i32 s0, 5
	s_cbranch_scc1 .LBB119_342
; %bb.338:
	s_cmp_lt_i32 s0, 8
	s_cbranch_scc1 .LBB119_343
	;; [unrolled: 3-line block ×3, first 2 shown]
; %bb.340:
	s_cmp_gt_i32 s0, 9
	s_cbranch_scc0 .LBB119_345
; %bb.341:
	s_wait_loadcnt 0x0
	global_load_b64 v[6:7], v[4:5], off
	s_mov_b32 s31, 0
	s_wait_loadcnt 0x0
	v_cvt_i32_f64_e32 v6, v[6:7]
	s_branch .LBB119_346
.LBB119_342:
	s_mov_b32 s31, -1
                                        ; implicit-def: $vgpr6
	s_branch .LBB119_364
.LBB119_343:
	s_mov_b32 s31, -1
                                        ; implicit-def: $vgpr6
	s_branch .LBB119_352
.LBB119_344:
	s_mov_b32 s31, -1
                                        ; implicit-def: $vgpr6
	s_branch .LBB119_349
.LBB119_345:
	s_mov_b32 s31, -1
                                        ; implicit-def: $vgpr6
.LBB119_346:
	s_delay_alu instid0(SALU_CYCLE_1)
	s_and_not1_b32 vcc_lo, exec_lo, s31
	s_cbranch_vccnz .LBB119_348
; %bb.347:
	global_load_b32 v3, v[4:5], off
	s_wait_loadcnt 0x0
	v_cvt_i32_f32_e32 v6, v3
.LBB119_348:
	s_mov_b32 s31, 0
.LBB119_349:
	s_delay_alu instid0(SALU_CYCLE_1)
	s_and_not1_b32 vcc_lo, exec_lo, s31
	s_cbranch_vccnz .LBB119_351
; %bb.350:
	global_load_b32 v3, v[4:5], off
	s_wait_loadcnt 0x0
	v_cvt_f32_f16_e32 v3, v3
	s_delay_alu instid0(VALU_DEP_1)
	v_cvt_i32_f32_e32 v6, v3
.LBB119_351:
	s_mov_b32 s31, 0
.LBB119_352:
	s_delay_alu instid0(SALU_CYCLE_1)
	s_and_not1_b32 vcc_lo, exec_lo, s31
	s_cbranch_vccnz .LBB119_363
; %bb.353:
	s_cmp_lt_i32 s0, 6
	s_cbranch_scc1 .LBB119_356
; %bb.354:
	s_cmp_gt_i32 s0, 6
	s_cbranch_scc0 .LBB119_357
; %bb.355:
	s_wait_loadcnt 0x0
	global_load_b64 v[6:7], v[4:5], off
	s_mov_b32 s31, 0
	s_wait_loadcnt 0x0
	v_cvt_i32_f64_e32 v6, v[6:7]
	s_branch .LBB119_358
.LBB119_356:
	s_mov_b32 s31, -1
                                        ; implicit-def: $vgpr6
	s_branch .LBB119_361
.LBB119_357:
	s_mov_b32 s31, -1
                                        ; implicit-def: $vgpr6
.LBB119_358:
	s_delay_alu instid0(SALU_CYCLE_1)
	s_and_not1_b32 vcc_lo, exec_lo, s31
	s_cbranch_vccnz .LBB119_360
; %bb.359:
	global_load_b32 v3, v[4:5], off
	s_wait_loadcnt 0x0
	v_cvt_i32_f32_e32 v6, v3
.LBB119_360:
	s_mov_b32 s31, 0
.LBB119_361:
	s_delay_alu instid0(SALU_CYCLE_1)
	s_and_not1_b32 vcc_lo, exec_lo, s31
	s_cbranch_vccnz .LBB119_363
; %bb.362:
	global_load_u16 v3, v[4:5], off
	s_wait_loadcnt 0x0
	v_cvt_f32_f16_e32 v3, v3
	s_delay_alu instid0(VALU_DEP_1)
	v_cvt_i32_f32_e32 v6, v3
.LBB119_363:
	s_mov_b32 s31, 0
.LBB119_364:
	s_delay_alu instid0(SALU_CYCLE_1)
	s_and_not1_b32 vcc_lo, exec_lo, s31
	s_cbranch_vccnz .LBB119_384
; %bb.365:
	s_cmp_lt_i32 s0, 2
	s_cbranch_scc1 .LBB119_369
; %bb.366:
	s_cmp_lt_i32 s0, 3
	s_cbranch_scc1 .LBB119_370
; %bb.367:
	s_cmp_gt_i32 s0, 3
	s_cbranch_scc0 .LBB119_371
; %bb.368:
	s_wait_loadcnt 0x0
	global_load_b32 v6, v[4:5], off
	s_mov_b32 s31, 0
	s_branch .LBB119_372
.LBB119_369:
	s_mov_b32 s31, -1
                                        ; implicit-def: $vgpr6
	s_branch .LBB119_378
.LBB119_370:
	s_mov_b32 s31, -1
                                        ; implicit-def: $vgpr6
	s_branch .LBB119_375
.LBB119_371:
	s_mov_b32 s31, -1
                                        ; implicit-def: $vgpr6
.LBB119_372:
	s_delay_alu instid0(SALU_CYCLE_1)
	s_and_not1_b32 vcc_lo, exec_lo, s31
	s_cbranch_vccnz .LBB119_374
; %bb.373:
	s_wait_loadcnt 0x0
	global_load_b32 v6, v[4:5], off
.LBB119_374:
	s_mov_b32 s31, 0
.LBB119_375:
	s_delay_alu instid0(SALU_CYCLE_1)
	s_and_not1_b32 vcc_lo, exec_lo, s31
	s_cbranch_vccnz .LBB119_377
; %bb.376:
	s_wait_loadcnt 0x0
	global_load_i16 v6, v[4:5], off
.LBB119_377:
	s_mov_b32 s31, 0
.LBB119_378:
	s_delay_alu instid0(SALU_CYCLE_1)
	s_and_not1_b32 vcc_lo, exec_lo, s31
	s_cbranch_vccnz .LBB119_384
; %bb.379:
	s_cmp_gt_i32 s0, 0
	s_mov_b32 s0, 0
	s_cbranch_scc0 .LBB119_381
; %bb.380:
	s_wait_loadcnt 0x0
	global_load_i8 v6, v[4:5], off
	s_branch .LBB119_382
.LBB119_381:
	s_mov_b32 s0, -1
                                        ; implicit-def: $vgpr6
.LBB119_382:
	s_delay_alu instid0(SALU_CYCLE_1)
	s_and_not1_b32 vcc_lo, exec_lo, s0
	s_cbranch_vccnz .LBB119_384
; %bb.383:
	s_wait_loadcnt 0x0
	global_load_u8 v6, v[4:5], off
.LBB119_384:
	s_mov_b32 s31, -1
.LBB119_385:
	s_delay_alu instid0(SALU_CYCLE_1)
	s_and_not1_b32 vcc_lo, exec_lo, s31
	s_cbranch_vccnz .LBB119_393
; %bb.386:
	v_mov_b32_e32 v3, 0
	s_wait_loadcnt 0x0
	s_delay_alu instid0(VALU_DEP_2) | instskip(SKIP_1) | instid1(SALU_CYCLE_1)
	v_maxmin_i32 v4, v1, v8, v6
	s_and_b32 s31, s38, 0xff
	s_cmp_lt_i32 s31, 11
	v_add_nc_u64_e32 v[2:3], s[4:5], v[2:3]
	s_cbranch_scc1 .LBB119_394
; %bb.387:
	s_and_b32 s42, 0xffff, s31
	s_delay_alu instid0(SALU_CYCLE_1)
	s_cmp_gt_i32 s42, 25
	s_cbranch_scc0 .LBB119_395
; %bb.388:
	s_cmp_gt_i32 s42, 28
	s_cbranch_scc0 .LBB119_396
; %bb.389:
	;; [unrolled: 3-line block ×4, first 2 shown]
	s_mov_b32 s47, 0
	s_mov_b32 s0, -1
	s_cmp_eq_u32 s42, 46
	s_mov_b32 s46, 0
	s_cbranch_scc0 .LBB119_399
; %bb.392:
	v_cvt_f32_i32_e32 v1, v4
	s_mov_b32 s46, -1
	s_mov_b32 s0, 0
	s_delay_alu instid0(VALU_DEP_1) | instskip(NEXT) | instid1(VALU_DEP_1)
	v_bfe_u32 v5, v1, 16, 1
	v_add3_u32 v1, v1, v5, 0x7fff
	s_delay_alu instid0(VALU_DEP_1)
	v_lshrrev_b32_e32 v1, 16, v1
	global_store_b32 v[2:3], v1, off
	s_branch .LBB119_399
.LBB119_393:
	s_mov_b32 s0, 0
	s_branch .LBB119_509
.LBB119_394:
	s_mov_b32 s42, -1
	s_mov_b32 s0, 0
	s_mov_b32 s46, 0
	s_branch .LBB119_468
.LBB119_395:
	s_mov_b32 s47, -1
	s_mov_b32 s0, 0
	s_mov_b32 s46, 0
	s_branch .LBB119_426
.LBB119_396:
	s_mov_b32 s47, -1
	s_mov_b32 s0, 0
	s_mov_b32 s46, 0
	s_branch .LBB119_409
.LBB119_397:
	s_mov_b32 s47, -1
	s_mov_b32 s0, 0
	s_mov_b32 s46, 0
	s_branch .LBB119_405
.LBB119_398:
	s_mov_b32 s47, -1
	s_mov_b32 s0, 0
	s_mov_b32 s46, 0
.LBB119_399:
	s_and_b32 vcc_lo, exec_lo, s47
	s_cbranch_vccz .LBB119_404
; %bb.400:
	s_cmp_eq_u32 s42, 44
	s_mov_b32 s0, -1
	s_cbranch_scc0 .LBB119_404
; %bb.401:
	s_wait_xcnt 0x0
	v_cvt_f32_i32_e32 v1, v4
	v_mov_b32_e32 v5, 0xff
	s_mov_b32 s46, exec_lo
	s_delay_alu instid0(VALU_DEP_2) | instskip(NEXT) | instid1(VALU_DEP_1)
	v_bfe_u32 v6, v1, 23, 8
	v_cmpx_ne_u32_e32 0xff, v6
	s_cbranch_execz .LBB119_403
; %bb.402:
	v_and_b32_e32 v5, 0x400000, v1
	v_and_or_b32 v6, 0x3fffff, v1, v6
	v_lshrrev_b32_e32 v1, 23, v1
	s_delay_alu instid0(VALU_DEP_3) | instskip(NEXT) | instid1(VALU_DEP_3)
	v_cmp_ne_u32_e32 vcc_lo, 0, v5
	v_cmp_ne_u32_e64 s0, 0, v6
	s_and_b32 s0, vcc_lo, s0
	s_delay_alu instid0(SALU_CYCLE_1) | instskip(NEXT) | instid1(VALU_DEP_1)
	v_cndmask_b32_e64 v5, 0, 1, s0
	v_add_nc_u32_e32 v5, v1, v5
.LBB119_403:
	s_or_b32 exec_lo, exec_lo, s46
	s_mov_b32 s46, -1
	s_mov_b32 s0, 0
	global_store_b8 v[2:3], v5, off
.LBB119_404:
	s_mov_b32 s47, 0
.LBB119_405:
	s_delay_alu instid0(SALU_CYCLE_1)
	s_and_b32 vcc_lo, exec_lo, s47
	s_cbranch_vccz .LBB119_408
; %bb.406:
	s_cmp_eq_u32 s42, 29
	s_mov_b32 s0, -1
	s_cbranch_scc0 .LBB119_408
; %bb.407:
	s_wait_xcnt 0x0
	v_ashrrev_i32_e32 v5, 31, v4
	s_mov_b32 s46, -1
	s_mov_b32 s0, 0
	s_mov_b32 s47, 0
	global_store_b64 v[2:3], v[4:5], off
	s_branch .LBB119_409
.LBB119_408:
	s_mov_b32 s47, 0
.LBB119_409:
	s_delay_alu instid0(SALU_CYCLE_1)
	s_and_b32 vcc_lo, exec_lo, s47
	s_cbranch_vccz .LBB119_425
; %bb.410:
	s_cmp_lt_i32 s42, 27
	s_mov_b32 s46, -1
	s_cbranch_scc1 .LBB119_416
; %bb.411:
	s_cmp_gt_i32 s42, 27
	s_cbranch_scc0 .LBB119_413
; %bb.412:
	s_mov_b32 s46, 0
	global_store_b32 v[2:3], v4, off
.LBB119_413:
	s_and_not1_b32 vcc_lo, exec_lo, s46
	s_cbranch_vccnz .LBB119_415
; %bb.414:
	global_store_b16 v[2:3], v4, off
.LBB119_415:
	s_mov_b32 s46, 0
.LBB119_416:
	s_delay_alu instid0(SALU_CYCLE_1)
	s_and_not1_b32 vcc_lo, exec_lo, s46
	s_cbranch_vccnz .LBB119_424
; %bb.417:
	s_wait_xcnt 0x0
	v_cvt_f32_i32_e32 v1, v4
	v_mov_b32_e32 v6, 0x80
	s_mov_b32 s46, exec_lo
	s_delay_alu instid0(VALU_DEP_2) | instskip(NEXT) | instid1(VALU_DEP_1)
	v_and_b32_e32 v5, 0x7fffffff, v1
	v_cmpx_gt_u32_e32 0x43800000, v5
	s_cbranch_execz .LBB119_423
; %bb.418:
	v_cmp_lt_u32_e32 vcc_lo, 0x3bffffff, v5
	s_mov_b32 s47, 0
                                        ; implicit-def: $vgpr5
	s_and_saveexec_b32 s48, vcc_lo
	s_delay_alu instid0(SALU_CYCLE_1)
	s_xor_b32 s48, exec_lo, s48
	s_cbranch_execz .LBB119_664
; %bb.419:
	v_bfe_u32 v5, v1, 20, 1
	s_mov_b32 s47, exec_lo
	s_delay_alu instid0(VALU_DEP_1) | instskip(NEXT) | instid1(VALU_DEP_1)
	v_add3_u32 v5, v1, v5, 0x487ffff
	v_lshrrev_b32_e32 v5, 20, v5
	s_and_not1_saveexec_b32 s48, s48
	s_cbranch_execnz .LBB119_665
.LBB119_420:
	s_or_b32 exec_lo, exec_lo, s48
	v_mov_b32_e32 v6, 0
	s_and_saveexec_b32 s48, s47
.LBB119_421:
	v_lshrrev_b32_e32 v1, 24, v1
	s_delay_alu instid0(VALU_DEP_1)
	v_and_or_b32 v6, 0x80, v1, v5
.LBB119_422:
	s_or_b32 exec_lo, exec_lo, s48
.LBB119_423:
	s_delay_alu instid0(SALU_CYCLE_1)
	s_or_b32 exec_lo, exec_lo, s46
	global_store_b8 v[2:3], v6, off
.LBB119_424:
	s_mov_b32 s46, -1
.LBB119_425:
	s_mov_b32 s47, 0
.LBB119_426:
	s_delay_alu instid0(SALU_CYCLE_1)
	s_and_b32 vcc_lo, exec_lo, s47
	s_cbranch_vccz .LBB119_467
; %bb.427:
	s_cmp_gt_i32 s42, 22
	s_mov_b32 s47, -1
	s_cbranch_scc0 .LBB119_459
; %bb.428:
	s_cmp_lt_i32 s42, 24
	s_mov_b32 s46, -1
	s_cbranch_scc1 .LBB119_448
; %bb.429:
	s_cmp_gt_i32 s42, 24
	s_cbranch_scc0 .LBB119_437
; %bb.430:
	s_wait_xcnt 0x0
	v_cvt_f32_i32_e32 v1, v4
	v_mov_b32_e32 v6, 0x80
	s_mov_b32 s46, exec_lo
	s_delay_alu instid0(VALU_DEP_2) | instskip(NEXT) | instid1(VALU_DEP_1)
	v_and_b32_e32 v5, 0x7fffffff, v1
	v_cmpx_gt_u32_e32 0x47800000, v5
	s_cbranch_execz .LBB119_436
; %bb.431:
	v_cmp_lt_u32_e32 vcc_lo, 0x37ffffff, v5
	s_mov_b32 s47, 0
                                        ; implicit-def: $vgpr5
	s_and_saveexec_b32 s48, vcc_lo
	s_delay_alu instid0(SALU_CYCLE_1)
	s_xor_b32 s48, exec_lo, s48
	s_cbranch_execz .LBB119_792
; %bb.432:
	v_bfe_u32 v5, v1, 21, 1
	s_mov_b32 s47, exec_lo
	s_delay_alu instid0(VALU_DEP_1) | instskip(NEXT) | instid1(VALU_DEP_1)
	v_add3_u32 v5, v1, v5, 0x88fffff
	v_lshrrev_b32_e32 v5, 21, v5
	s_and_not1_saveexec_b32 s48, s48
	s_cbranch_execnz .LBB119_793
.LBB119_433:
	s_or_b32 exec_lo, exec_lo, s48
	v_mov_b32_e32 v6, 0
	s_and_saveexec_b32 s48, s47
.LBB119_434:
	v_lshrrev_b32_e32 v1, 24, v1
	s_delay_alu instid0(VALU_DEP_1)
	v_and_or_b32 v6, 0x80, v1, v5
.LBB119_435:
	s_or_b32 exec_lo, exec_lo, s48
.LBB119_436:
	s_delay_alu instid0(SALU_CYCLE_1)
	s_or_b32 exec_lo, exec_lo, s46
	s_mov_b32 s46, 0
	global_store_b8 v[2:3], v6, off
.LBB119_437:
	s_and_b32 vcc_lo, exec_lo, s46
	s_cbranch_vccz .LBB119_447
; %bb.438:
	s_wait_xcnt 0x0
	v_cvt_f32_i32_e32 v1, v4
	s_mov_b32 s46, exec_lo
                                        ; implicit-def: $vgpr5
	s_delay_alu instid0(VALU_DEP_1) | instskip(NEXT) | instid1(VALU_DEP_1)
	v_and_b32_e32 v6, 0x7fffffff, v1
	v_cmpx_gt_u32_e32 0x43f00000, v6
	s_xor_b32 s46, exec_lo, s46
	s_cbranch_execz .LBB119_444
; %bb.439:
	s_mov_b32 s47, exec_lo
                                        ; implicit-def: $vgpr5
	v_cmpx_lt_u32_e32 0x3c7fffff, v6
	s_xor_b32 s47, exec_lo, s47
; %bb.440:
	v_bfe_u32 v5, v1, 20, 1
	s_delay_alu instid0(VALU_DEP_1) | instskip(NEXT) | instid1(VALU_DEP_1)
	v_add3_u32 v5, v1, v5, 0x407ffff
	v_and_b32_e32 v6, 0xff00000, v5
	v_lshrrev_b32_e32 v5, 20, v5
	s_delay_alu instid0(VALU_DEP_2) | instskip(NEXT) | instid1(VALU_DEP_2)
	v_cmp_ne_u32_e32 vcc_lo, 0x7f00000, v6
	v_cndmask_b32_e32 v5, 0x7e, v5, vcc_lo
; %bb.441:
	s_and_not1_saveexec_b32 s47, s47
; %bb.442:
	v_add_f32_e64 v5, 0x46800000, |v1|
; %bb.443:
	s_or_b32 exec_lo, exec_lo, s47
                                        ; implicit-def: $vgpr6
.LBB119_444:
	s_and_not1_saveexec_b32 s46, s46
; %bb.445:
	v_mov_b32_e32 v5, 0x7f
	v_cmp_lt_u32_e32 vcc_lo, 0x7f800000, v6
	s_delay_alu instid0(VALU_DEP_2)
	v_cndmask_b32_e32 v5, 0x7e, v5, vcc_lo
; %bb.446:
	s_or_b32 exec_lo, exec_lo, s46
	v_lshrrev_b32_e32 v1, 24, v1
	s_delay_alu instid0(VALU_DEP_1)
	v_and_or_b32 v1, 0x80, v1, v5
	global_store_b8 v[2:3], v1, off
.LBB119_447:
	s_mov_b32 s46, 0
.LBB119_448:
	s_delay_alu instid0(SALU_CYCLE_1)
	s_and_not1_b32 vcc_lo, exec_lo, s46
	s_cbranch_vccnz .LBB119_458
; %bb.449:
	s_wait_xcnt 0x0
	v_cvt_f32_i32_e32 v1, v4
	s_mov_b32 s46, exec_lo
                                        ; implicit-def: $vgpr5
	s_delay_alu instid0(VALU_DEP_1) | instskip(NEXT) | instid1(VALU_DEP_1)
	v_and_b32_e32 v6, 0x7fffffff, v1
	v_cmpx_gt_u32_e32 0x47800000, v6
	s_xor_b32 s46, exec_lo, s46
	s_cbranch_execz .LBB119_455
; %bb.450:
	s_mov_b32 s47, exec_lo
                                        ; implicit-def: $vgpr5
	v_cmpx_lt_u32_e32 0x387fffff, v6
	s_xor_b32 s47, exec_lo, s47
; %bb.451:
	v_bfe_u32 v5, v1, 21, 1
	s_delay_alu instid0(VALU_DEP_1) | instskip(NEXT) | instid1(VALU_DEP_1)
	v_add3_u32 v5, v1, v5, 0x80fffff
	v_lshrrev_b32_e32 v5, 21, v5
; %bb.452:
	s_and_not1_saveexec_b32 s47, s47
; %bb.453:
	v_add_f32_e64 v5, 0x43000000, |v1|
; %bb.454:
	s_or_b32 exec_lo, exec_lo, s47
                                        ; implicit-def: $vgpr6
.LBB119_455:
	s_and_not1_saveexec_b32 s46, s46
; %bb.456:
	v_mov_b32_e32 v5, 0x7f
	v_cmp_lt_u32_e32 vcc_lo, 0x7f800000, v6
	s_delay_alu instid0(VALU_DEP_2)
	v_cndmask_b32_e32 v5, 0x7c, v5, vcc_lo
; %bb.457:
	s_or_b32 exec_lo, exec_lo, s46
	v_lshrrev_b32_e32 v1, 24, v1
	s_delay_alu instid0(VALU_DEP_1)
	v_and_or_b32 v1, 0x80, v1, v5
	global_store_b8 v[2:3], v1, off
.LBB119_458:
	s_mov_b32 s47, 0
	s_mov_b32 s46, -1
.LBB119_459:
	s_and_not1_b32 vcc_lo, exec_lo, s47
	s_cbranch_vccnz .LBB119_467
; %bb.460:
	s_cmp_gt_i32 s42, 14
	s_mov_b32 s47, -1
	s_cbranch_scc0 .LBB119_464
; %bb.461:
	s_cmp_eq_u32 s42, 15
	s_mov_b32 s0, -1
	s_cbranch_scc0 .LBB119_463
; %bb.462:
	s_wait_xcnt 0x0
	v_cvt_f32_i32_e32 v1, v4
	s_mov_b32 s46, -1
	s_mov_b32 s0, 0
	s_delay_alu instid0(VALU_DEP_1) | instskip(NEXT) | instid1(VALU_DEP_1)
	v_bfe_u32 v5, v1, 16, 1
	v_add3_u32 v1, v1, v5, 0x7fff
	global_store_d16_hi_b16 v[2:3], v1, off
.LBB119_463:
	s_mov_b32 s47, 0
.LBB119_464:
	s_delay_alu instid0(SALU_CYCLE_1)
	s_and_b32 vcc_lo, exec_lo, s47
	s_cbranch_vccz .LBB119_467
; %bb.465:
	s_cmp_eq_u32 s42, 11
	s_mov_b32 s0, -1
	s_cbranch_scc0 .LBB119_467
; %bb.466:
	v_cmp_ne_u32_e32 vcc_lo, 0, v4
	s_mov_b32 s0, 0
	s_mov_b32 s46, -1
	s_wait_xcnt 0x0
	v_cndmask_b32_e64 v1, 0, 1, vcc_lo
	global_store_b8 v[2:3], v1, off
.LBB119_467:
	s_mov_b32 s42, 0
.LBB119_468:
	s_delay_alu instid0(SALU_CYCLE_1)
	s_and_b32 vcc_lo, exec_lo, s42
	s_cbranch_vccz .LBB119_507
; %bb.469:
	s_and_b32 s31, 0xffff, s31
	s_mov_b32 s42, -1
	s_cmp_lt_i32 s31, 5
	s_cbranch_scc1 .LBB119_490
; %bb.470:
	s_cmp_lt_i32 s31, 8
	s_cbranch_scc1 .LBB119_480
; %bb.471:
	;; [unrolled: 3-line block ×3, first 2 shown]
	s_cmp_gt_i32 s31, 9
	s_cbranch_scc0 .LBB119_474
; %bb.473:
	s_wait_xcnt 0x0
	v_cvt_f64_i32_e32 v[6:7], v4
	v_mov_b32_e32 v8, 0
	s_mov_b32 s42, 0
	s_delay_alu instid0(VALU_DEP_1)
	v_mov_b32_e32 v9, v8
	global_store_b128 v[2:3], v[6:9], off
.LBB119_474:
	s_and_not1_b32 vcc_lo, exec_lo, s42
	s_cbranch_vccnz .LBB119_476
; %bb.475:
	s_wait_xcnt 0x0
	v_cvt_f32_i32_e32 v6, v4
	v_mov_b32_e32 v7, 0
	global_store_b64 v[2:3], v[6:7], off
.LBB119_476:
	s_mov_b32 s42, 0
.LBB119_477:
	s_delay_alu instid0(SALU_CYCLE_1)
	s_and_not1_b32 vcc_lo, exec_lo, s42
	s_cbranch_vccnz .LBB119_479
; %bb.478:
	s_wait_xcnt 0x0
	v_cvt_f32_i32_e32 v1, v4
	s_delay_alu instid0(VALU_DEP_1) | instskip(NEXT) | instid1(VALU_DEP_1)
	v_cvt_f16_f32_e32 v1, v1
	v_and_b32_e32 v1, 0xffff, v1
	global_store_b32 v[2:3], v1, off
.LBB119_479:
	s_mov_b32 s42, 0
.LBB119_480:
	s_delay_alu instid0(SALU_CYCLE_1)
	s_and_not1_b32 vcc_lo, exec_lo, s42
	s_cbranch_vccnz .LBB119_489
; %bb.481:
	s_cmp_lt_i32 s31, 6
	s_mov_b32 s42, -1
	s_cbranch_scc1 .LBB119_487
; %bb.482:
	s_cmp_gt_i32 s31, 6
	s_cbranch_scc0 .LBB119_484
; %bb.483:
	s_wait_xcnt 0x0
	v_cvt_f64_i32_e32 v[6:7], v4
	s_mov_b32 s42, 0
	global_store_b64 v[2:3], v[6:7], off
.LBB119_484:
	s_and_not1_b32 vcc_lo, exec_lo, s42
	s_cbranch_vccnz .LBB119_486
; %bb.485:
	s_wait_xcnt 0x0
	v_cvt_f32_i32_e32 v1, v4
	global_store_b32 v[2:3], v1, off
.LBB119_486:
	s_mov_b32 s42, 0
.LBB119_487:
	s_delay_alu instid0(SALU_CYCLE_1)
	s_and_not1_b32 vcc_lo, exec_lo, s42
	s_cbranch_vccnz .LBB119_489
; %bb.488:
	s_wait_xcnt 0x0
	v_cvt_f32_i32_e32 v1, v4
	s_delay_alu instid0(VALU_DEP_1)
	v_cvt_f16_f32_e32 v1, v1
	global_store_b16 v[2:3], v1, off
.LBB119_489:
	s_mov_b32 s42, 0
.LBB119_490:
	s_delay_alu instid0(SALU_CYCLE_1)
	s_and_not1_b32 vcc_lo, exec_lo, s42
	s_cbranch_vccnz .LBB119_506
; %bb.491:
	s_cmp_lt_i32 s31, 2
	s_mov_b32 s42, -1
	s_cbranch_scc1 .LBB119_501
; %bb.492:
	s_cmp_lt_i32 s31, 3
	s_cbranch_scc1 .LBB119_498
; %bb.493:
	s_cmp_gt_i32 s31, 3
	s_cbranch_scc0 .LBB119_495
; %bb.494:
	s_wait_xcnt 0x0
	v_ashrrev_i32_e32 v5, 31, v4
	s_mov_b32 s42, 0
	global_store_b64 v[2:3], v[4:5], off
.LBB119_495:
	s_and_not1_b32 vcc_lo, exec_lo, s42
	s_cbranch_vccnz .LBB119_497
; %bb.496:
	global_store_b32 v[2:3], v4, off
.LBB119_497:
	s_mov_b32 s42, 0
.LBB119_498:
	s_delay_alu instid0(SALU_CYCLE_1)
	s_and_not1_b32 vcc_lo, exec_lo, s42
	s_cbranch_vccnz .LBB119_500
; %bb.499:
	global_store_b16 v[2:3], v4, off
.LBB119_500:
	s_mov_b32 s42, 0
.LBB119_501:
	s_delay_alu instid0(SALU_CYCLE_1)
	s_and_not1_b32 vcc_lo, exec_lo, s42
	s_cbranch_vccnz .LBB119_506
; %bb.502:
	s_cmp_gt_i32 s31, 0
	s_mov_b32 s31, -1
	s_cbranch_scc0 .LBB119_504
; %bb.503:
	s_mov_b32 s31, 0
	global_store_b8 v[2:3], v4, off
.LBB119_504:
	s_and_not1_b32 vcc_lo, exec_lo, s31
	s_cbranch_vccnz .LBB119_506
; %bb.505:
	global_store_b8 v[2:3], v4, off
.LBB119_506:
	s_mov_b32 s46, -1
.LBB119_507:
	s_delay_alu instid0(SALU_CYCLE_1)
	s_and_not1_b32 vcc_lo, exec_lo, s46
	s_cbranch_vccnz .LBB119_509
; %bb.508:
	v_add_nc_u32_e32 v0, 0x80, v0
	s_mov_b32 s31, -1
	s_branch .LBB119_510
.LBB119_509:
	s_mov_b32 s31, 0
                                        ; implicit-def: $vgpr0
.LBB119_510:
	s_and_b32 s42, s0, exec_lo
	s_and_b32 s46, s30, exec_lo
	;; [unrolled: 1-line block ×4, first 2 shown]
	s_or_not1_b32 s29, s31, exec_lo
.LBB119_511:
	s_wait_xcnt 0x0
	s_or_b32 exec_lo, exec_lo, s49
	s_mov_b32 s30, 0
	s_mov_b32 s28, 0
                                        ; implicit-def: $sgpr0
                                        ; implicit-def: $vgpr8_vgpr9
                                        ; implicit-def: $vgpr2
                                        ; implicit-def: $vgpr4
                                        ; implicit-def: $vgpr6
                                        ; implicit-def: $vgpr10
	s_and_saveexec_b32 s49, s29
	s_cbranch_execz .LBB119_519
; %bb.512:
	s_mov_b32 s31, -1
	s_mov_b32 s50, s48
	s_mov_b32 s53, s47
	s_mov_b32 s52, s46
	s_mov_b32 s51, s42
	s_mov_b32 s54, exec_lo
	v_cmpx_gt_i32_e64 s44, v0
	s_cbranch_execz .LBB119_1033
; %bb.513:
	s_and_not1_b32 vcc_lo, exec_lo, s36
	s_cbranch_vccnz .LBB119_522
; %bb.514:
	s_and_not1_b32 vcc_lo, exec_lo, s45
	s_cbranch_vccnz .LBB119_523
; %bb.515:
	s_wait_loadcnt 0x0
	v_dual_mov_b32 v6, 0 :: v_dual_mov_b32 v1, v0
	v_dual_mov_b32 v4, 0 :: v_dual_mov_b32 v2, 0
	v_mov_b32_e32 v8, 0
	s_add_co_i32 s0, s43, 1
	s_mov_b64 s[28:29], 0xffffffffffffffe0
	s_and_b32 s0, s0, 30
	s_add_nc_u64 s[28:29], s[2:3], s[28:29]
	s_mov_b64 s[30:31], s[2:3]
.LBB119_516:                            ; =>This Inner Loop Header: Depth=1
	s_clause 0x1
	s_load_b128 s[64:67], s[30:31], 0x4
	s_load_b64 s[50:51], s[30:31], 0x14
	s_load_b256 s[56:63], s[28:29], 0xe4
	s_add_co_i32 s0, s0, -2
	s_wait_xcnt 0x0
	s_add_nc_u64 s[30:31], s[30:31], 24
	s_cmp_eq_u32 s0, 0
	s_add_nc_u64 s[28:29], s[28:29], 32
	s_wait_kmcnt 0x0
	v_mul_hi_u32 v3, s65, v1
	s_delay_alu instid0(VALU_DEP_1) | instskip(NEXT) | instid1(VALU_DEP_1)
	v_add_nc_u32_e32 v3, v1, v3
	v_lshrrev_b32_e32 v3, s66, v3
	s_delay_alu instid0(VALU_DEP_1) | instskip(SKIP_1) | instid1(VALU_DEP_1)
	v_mul_hi_u32 v5, s50, v3
	v_mul_lo_u32 v7, v3, s64
	v_dual_add_nc_u32 v5, v3, v5 :: v_dual_sub_nc_u32 v7, v1, v7
	s_delay_alu instid0(VALU_DEP_1) | instskip(NEXT) | instid1(VALU_DEP_2)
	v_lshrrev_b32_e32 v1, s51, v5
	v_mad_u32 v8, v7, s57, v8
	v_mad_u32 v2, v7, s56, v2
	v_mad_u32 v4, v7, s59, v4
	v_mad_u32 v6, v7, s58, v6
	v_mul_lo_u32 v5, v1, s67
	s_delay_alu instid0(VALU_DEP_1) | instskip(NEXT) | instid1(VALU_DEP_1)
	v_sub_nc_u32_e32 v3, v3, v5
	v_mad_u32 v8, v3, s61, v8
	v_mad_u32 v2, v3, s60, v2
	;; [unrolled: 1-line block ×4, first 2 shown]
	s_cbranch_scc0 .LBB119_516
; %bb.517:
	s_bitcmp1_b32 s43, 0
	s_cselect_b32 s0, -1, 0
	s_delay_alu instid0(SALU_CYCLE_1)
	s_and_b32 vcc_lo, exec_lo, s0
	s_cbranch_vccnz .LBB119_524
; %bb.518:
	s_load_b96 s[60:62], s[30:31], 0x4
	s_load_b128 s[56:59], s[28:29], 0xe4
	s_wait_kmcnt 0x0
	v_mul_hi_u32 v3, s61, v1
	s_delay_alu instid0(VALU_DEP_1) | instskip(NEXT) | instid1(VALU_DEP_1)
	v_add_nc_u32_e32 v3, v1, v3
	v_lshrrev_b32_e32 v3, s62, v3
	s_delay_alu instid0(VALU_DEP_1) | instskip(NEXT) | instid1(VALU_DEP_1)
	v_mul_lo_u32 v3, v3, s60
	v_sub_nc_u32_e32 v1, v1, v3
	s_delay_alu instid0(VALU_DEP_1)
	v_mad_u32 v2, v1, s56, v2
	v_mad_u32 v8, v1, s57, v8
	;; [unrolled: 1-line block ×4, first 2 shown]
	s_branch .LBB119_524
.LBB119_519:
	s_or_b32 exec_lo, exec_lo, s49
	s_mov_b32 s1, 0
	s_and_saveexec_b32 s6, s48
	s_cbranch_execnz .LBB119_1645
.LBB119_520:
	s_or_b32 exec_lo, exec_lo, s6
	s_and_saveexec_b32 s6, s25
	s_delay_alu instid0(SALU_CYCLE_1)
	s_xor_b32 s6, exec_lo, s6
	s_cbranch_execz .LBB119_1646
.LBB119_521:
	s_wait_loadcnt 0x0
	global_load_u8 v0, v[8:9], off
	s_or_b32 s28, s28, exec_lo
	s_wait_loadcnt 0x0
	v_cmp_ne_u16_e32 vcc_lo, 0, v0
	v_cndmask_b32_e64 v10, 0, 1, vcc_lo
	s_wait_xcnt 0x0
	s_or_b32 exec_lo, exec_lo, s6
	s_and_saveexec_b32 s6, s30
	s_cbranch_execz .LBB119_1692
	s_branch .LBB119_1647
.LBB119_522:
                                        ; implicit-def: $vgpr8
                                        ; implicit-def: $vgpr2
                                        ; implicit-def: $vgpr4
                                        ; implicit-def: $vgpr6
	s_branch .LBB119_525
.LBB119_523:
	s_wait_loadcnt 0x0
	v_dual_mov_b32 v8, 0 :: v_dual_mov_b32 v2, 0
	v_dual_mov_b32 v4, 0 :: v_dual_mov_b32 v6, 0
.LBB119_524:
	s_cbranch_execnz .LBB119_527
.LBB119_525:
	s_wait_loadcnt 0x0
	v_mov_b32_e32 v1, 0
	s_and_not1_b32 vcc_lo, exec_lo, s41
	s_delay_alu instid0(VALU_DEP_1) | instskip(NEXT) | instid1(VALU_DEP_1)
	v_mul_u64_e32 v[2:3], s[24:25], v[0:1]
	v_add_nc_u32_e32 v2, v0, v3
	s_delay_alu instid0(VALU_DEP_1) | instskip(NEXT) | instid1(VALU_DEP_1)
	v_lshrrev_b32_e32 v10, s22, v2
	v_mul_lo_u32 v2, v10, s20
	s_delay_alu instid0(VALU_DEP_1) | instskip(NEXT) | instid1(VALU_DEP_1)
	v_sub_nc_u32_e32 v3, v0, v2
	v_mul_lo_u32 v8, v3, s13
	v_mul_lo_u32 v2, v3, s12
	;; [unrolled: 1-line block ×4, first 2 shown]
	s_cbranch_vccnz .LBB119_527
; %bb.526:
	v_mov_b32_e32 v11, v1
	s_delay_alu instid0(VALU_DEP_1) | instskip(NEXT) | instid1(VALU_DEP_1)
	v_mul_u64_e32 v[12:13], s[26:27], v[10:11]
	v_add_nc_u32_e32 v1, v10, v13
	s_delay_alu instid0(VALU_DEP_1) | instskip(NEXT) | instid1(VALU_DEP_1)
	v_lshrrev_b32_e32 v1, s1, v1
	v_mul_lo_u32 v1, v1, s23
	s_delay_alu instid0(VALU_DEP_1) | instskip(NEXT) | instid1(VALU_DEP_1)
	v_sub_nc_u32_e32 v1, v10, v1
	v_mad_u32 v2, v1, s16, v2
	v_mad_u32 v8, v1, s17, v8
	;; [unrolled: 1-line block ×4, first 2 shown]
.LBB119_527:
	v_mov_b32_e32 v9, 0
	s_and_b32 s0, s40, 0xff
	s_delay_alu instid0(SALU_CYCLE_1) | instskip(SKIP_1) | instid1(VALU_DEP_1)
	s_cmp_lt_i32 s0, 11
	s_wait_loadcnt 0x0
	v_add_nc_u64_e32 v[8:9], s[6:7], v[8:9]
	s_cbranch_scc1 .LBB119_534
; %bb.528:
	s_and_b32 s29, 0xffff, s0
	s_delay_alu instid0(SALU_CYCLE_1)
	s_cmp_gt_i32 s29, 25
	s_cbranch_scc0 .LBB119_543
; %bb.529:
	s_cmp_gt_i32 s29, 28
	s_cbranch_scc0 .LBB119_545
; %bb.530:
	;; [unrolled: 3-line block ×4, first 2 shown]
	s_cmp_eq_u32 s29, 46
	s_mov_b32 s31, 0
	s_cbranch_scc0 .LBB119_551
; %bb.533:
	global_load_b32 v1, v[8:9], off
	s_mov_b32 s30, -1
	s_mov_b32 s28, 0
	s_wait_loadcnt 0x0
	v_lshlrev_b32_e32 v1, 16, v1
	s_delay_alu instid0(VALU_DEP_1)
	v_cvt_i32_f32_e32 v1, v1
	s_branch .LBB119_553
.LBB119_534:
	s_mov_b32 s30, 0
	s_mov_b32 s28, s48
                                        ; implicit-def: $vgpr1
	s_cbranch_execnz .LBB119_615
.LBB119_535:
	s_and_not1_b32 vcc_lo, exec_lo, s30
	s_cbranch_vccnz .LBB119_663
.LBB119_536:
	v_mov_b32_e32 v7, 0
	s_and_b32 s0, s39, 0xff
	s_delay_alu instid0(SALU_CYCLE_1) | instskip(NEXT) | instid1(VALU_DEP_1)
	s_cmp_lt_i32 s0, 11
	v_add_nc_u64_e32 v[6:7], s[8:9], v[6:7]
	s_cbranch_scc1 .LBB119_544
; %bb.537:
	s_and_b32 s30, 0xffff, s0
	s_delay_alu instid0(SALU_CYCLE_1)
	s_cmp_gt_i32 s30, 25
	s_cbranch_scc0 .LBB119_546
; %bb.538:
	s_cmp_gt_i32 s30, 28
	s_cbranch_scc0 .LBB119_548
; %bb.539:
	;; [unrolled: 3-line block ×4, first 2 shown]
	s_cmp_eq_u32 s30, 46
	s_mov_b32 s50, 0
	s_cbranch_scc0 .LBB119_666
; %bb.542:
	global_load_b32 v3, v[6:7], off
	s_mov_b32 s31, -1
	s_mov_b32 s29, 0
	s_wait_loadcnt 0x0
	v_lshlrev_b32_e32 v3, 16, v3
	s_wait_xcnt 0x1
	s_delay_alu instid0(VALU_DEP_1)
	v_cvt_i32_f32_e32 v8, v3
	s_branch .LBB119_668
.LBB119_543:
	s_mov_b32 s31, -1
	s_mov_b32 s30, 0
	s_mov_b32 s28, s48
                                        ; implicit-def: $vgpr1
	s_branch .LBB119_581
.LBB119_544:
	s_mov_b32 s30, -1
	s_mov_b32 s31, 0
	s_mov_b32 s29, s47
                                        ; implicit-def: $vgpr8
	s_branch .LBB119_729
.LBB119_545:
	s_mov_b32 s31, -1
	s_mov_b32 s30, 0
	s_mov_b32 s28, s48
                                        ; implicit-def: $vgpr1
	s_branch .LBB119_564
.LBB119_546:
	s_mov_b32 s50, -1
	s_mov_b32 s31, 0
	s_mov_b32 s29, s47
                                        ; implicit-def: $vgpr8
	s_branch .LBB119_695
.LBB119_547:
	s_mov_b32 s31, -1
	s_mov_b32 s30, 0
	s_mov_b32 s28, s48
                                        ; implicit-def: $vgpr1
	s_branch .LBB119_559
.LBB119_548:
	s_mov_b32 s50, -1
	s_mov_b32 s31, 0
	s_mov_b32 s29, s47
                                        ; implicit-def: $vgpr8
	s_branch .LBB119_678
.LBB119_549:
	s_mov_b32 s31, -1
	s_mov_b32 s30, 0
	s_mov_b32 s28, s48
	s_branch .LBB119_552
.LBB119_550:
	s_mov_b32 s50, -1
	s_mov_b32 s31, 0
	s_mov_b32 s29, s47
                                        ; implicit-def: $vgpr8
	s_branch .LBB119_673
.LBB119_551:
	s_mov_b32 s28, -1
	s_mov_b32 s30, 0
.LBB119_552:
                                        ; implicit-def: $vgpr1
.LBB119_553:
	s_and_b32 vcc_lo, exec_lo, s31
	s_cbranch_vccz .LBB119_558
; %bb.554:
	s_cmp_eq_u32 s29, 44
	s_cbranch_scc0 .LBB119_557
; %bb.555:
	global_load_u8 v1, v[8:9], off
	s_mov_b32 s28, 0
	s_mov_b32 s30, -1
	s_wait_loadcnt 0x0
	v_lshlrev_b32_e32 v3, 23, v1
	v_cmp_ne_u32_e32 vcc_lo, 0, v1
	s_delay_alu instid0(VALU_DEP_2) | instskip(NEXT) | instid1(VALU_DEP_1)
	v_cvt_i32_f32_e32 v3, v3
	v_cndmask_b32_e32 v1, 0, v3, vcc_lo
	s_branch .LBB119_558
.LBB119_556:
	s_mov_b32 s50, -1
	s_mov_b32 s31, 0
	s_mov_b32 s29, s47
	s_branch .LBB119_667
.LBB119_557:
	s_mov_b32 s28, -1
                                        ; implicit-def: $vgpr1
.LBB119_558:
	s_mov_b32 s31, 0
.LBB119_559:
	s_delay_alu instid0(SALU_CYCLE_1)
	s_and_b32 vcc_lo, exec_lo, s31
	s_cbranch_vccz .LBB119_563
; %bb.560:
	s_cmp_eq_u32 s29, 29
	s_cbranch_scc0 .LBB119_562
; %bb.561:
	global_load_b32 v1, v[8:9], off
	s_mov_b32 s30, -1
	s_mov_b32 s28, 0
	s_branch .LBB119_563
.LBB119_562:
	s_mov_b32 s28, -1
                                        ; implicit-def: $vgpr1
.LBB119_563:
	s_mov_b32 s31, 0
.LBB119_564:
	s_delay_alu instid0(SALU_CYCLE_1)
	s_and_b32 vcc_lo, exec_lo, s31
	s_cbranch_vccz .LBB119_580
; %bb.565:
	s_cmp_lt_i32 s29, 27
	s_cbranch_scc1 .LBB119_568
; %bb.566:
	s_cmp_gt_i32 s29, 27
	s_cbranch_scc0 .LBB119_569
; %bb.567:
	s_wait_loadcnt 0x0
	global_load_b32 v1, v[8:9], off
	s_mov_b32 s30, 0
	s_branch .LBB119_570
.LBB119_568:
	s_mov_b32 s30, -1
                                        ; implicit-def: $vgpr1
	s_branch .LBB119_573
.LBB119_569:
	s_mov_b32 s30, -1
                                        ; implicit-def: $vgpr1
.LBB119_570:
	s_delay_alu instid0(SALU_CYCLE_1)
	s_and_not1_b32 vcc_lo, exec_lo, s30
	s_cbranch_vccnz .LBB119_572
; %bb.571:
	s_wait_loadcnt 0x0
	global_load_u16 v1, v[8:9], off
.LBB119_572:
	s_mov_b32 s30, 0
.LBB119_573:
	s_delay_alu instid0(SALU_CYCLE_1)
	s_and_not1_b32 vcc_lo, exec_lo, s30
	s_cbranch_vccnz .LBB119_579
; %bb.574:
	global_load_u8 v3, v[8:9], off
	s_mov_b32 s31, 0
	s_mov_b32 s30, exec_lo
	s_wait_loadcnt 0x0
	v_cmpx_lt_i16_e32 0x7f, v3
	s_xor_b32 s30, exec_lo, s30
	s_cbranch_execz .LBB119_591
; %bb.575:
	v_cmp_ne_u16_e32 vcc_lo, 0x80, v3
	s_and_b32 s31, vcc_lo, exec_lo
	s_and_not1_saveexec_b32 s30, s30
	s_cbranch_execnz .LBB119_592
.LBB119_576:
	s_or_b32 exec_lo, exec_lo, s30
	v_mov_b32_e32 v1, 0
	s_and_saveexec_b32 s30, s31
	s_cbranch_execz .LBB119_578
.LBB119_577:
	v_and_b32_e32 v1, 0xffff, v3
	s_delay_alu instid0(VALU_DEP_1) | instskip(SKIP_1) | instid1(VALU_DEP_2)
	v_and_b32_e32 v5, 7, v1
	v_bfe_u32 v11, v1, 3, 4
	v_clz_i32_u32_e32 v7, v5
	s_delay_alu instid0(VALU_DEP_2) | instskip(NEXT) | instid1(VALU_DEP_2)
	v_cmp_eq_u32_e32 vcc_lo, 0, v11
	v_min_u32_e32 v7, 32, v7
	s_delay_alu instid0(VALU_DEP_1) | instskip(NEXT) | instid1(VALU_DEP_1)
	v_subrev_nc_u32_e32 v10, 28, v7
	v_dual_lshlrev_b32 v1, v10, v1 :: v_dual_sub_nc_u32 v7, 29, v7
	s_delay_alu instid0(VALU_DEP_1) | instskip(NEXT) | instid1(VALU_DEP_1)
	v_dual_lshlrev_b32 v3, 24, v3 :: v_dual_bitop2_b32 v1, 7, v1 bitop3:0x40
	v_dual_cndmask_b32 v1, v5, v1, vcc_lo :: v_dual_cndmask_b32 v7, v11, v7, vcc_lo
	s_delay_alu instid0(VALU_DEP_2) | instskip(NEXT) | instid1(VALU_DEP_2)
	v_and_b32_e32 v3, 0x80000000, v3
	v_lshlrev_b32_e32 v1, 20, v1
	s_delay_alu instid0(VALU_DEP_3) | instskip(NEXT) | instid1(VALU_DEP_1)
	v_lshl_add_u32 v5, v7, 23, 0x3b800000
	v_or3_b32 v1, v3, v5, v1
	s_delay_alu instid0(VALU_DEP_1)
	v_cvt_i32_f32_e32 v1, v1
.LBB119_578:
	s_or_b32 exec_lo, exec_lo, s30
.LBB119_579:
	s_mov_b32 s30, -1
.LBB119_580:
	s_mov_b32 s31, 0
.LBB119_581:
	s_delay_alu instid0(SALU_CYCLE_1)
	s_and_b32 vcc_lo, exec_lo, s31
	s_cbranch_vccz .LBB119_614
; %bb.582:
	s_cmp_gt_i32 s29, 22
	s_cbranch_scc0 .LBB119_590
; %bb.583:
	s_cmp_lt_i32 s29, 24
	s_cbranch_scc1 .LBB119_593
; %bb.584:
	s_cmp_gt_i32 s29, 24
	s_cbranch_scc0 .LBB119_594
; %bb.585:
	global_load_u8 v3, v[8:9], off
	s_mov_b32 s31, 0
	s_mov_b32 s30, exec_lo
	s_wait_loadcnt 0x0
	v_cmpx_lt_i16_e32 0x7f, v3
	s_xor_b32 s30, exec_lo, s30
	s_cbranch_execz .LBB119_606
; %bb.586:
	v_cmp_ne_u16_e32 vcc_lo, 0x80, v3
	s_and_b32 s31, vcc_lo, exec_lo
	s_and_not1_saveexec_b32 s30, s30
	s_cbranch_execnz .LBB119_607
.LBB119_587:
	s_or_b32 exec_lo, exec_lo, s30
	v_mov_b32_e32 v1, 0
	s_and_saveexec_b32 s30, s31
	s_cbranch_execz .LBB119_589
.LBB119_588:
	v_and_b32_e32 v1, 0xffff, v3
	s_delay_alu instid0(VALU_DEP_1) | instskip(SKIP_1) | instid1(VALU_DEP_2)
	v_and_b32_e32 v5, 3, v1
	v_bfe_u32 v11, v1, 2, 5
	v_clz_i32_u32_e32 v7, v5
	s_delay_alu instid0(VALU_DEP_2) | instskip(NEXT) | instid1(VALU_DEP_2)
	v_cmp_eq_u32_e32 vcc_lo, 0, v11
	v_min_u32_e32 v7, 32, v7
	s_delay_alu instid0(VALU_DEP_1) | instskip(NEXT) | instid1(VALU_DEP_1)
	v_subrev_nc_u32_e32 v10, 29, v7
	v_dual_lshlrev_b32 v1, v10, v1 :: v_dual_sub_nc_u32 v7, 30, v7
	s_delay_alu instid0(VALU_DEP_1) | instskip(NEXT) | instid1(VALU_DEP_1)
	v_dual_lshlrev_b32 v3, 24, v3 :: v_dual_bitop2_b32 v1, 3, v1 bitop3:0x40
	v_dual_cndmask_b32 v1, v5, v1, vcc_lo :: v_dual_cndmask_b32 v7, v11, v7, vcc_lo
	s_delay_alu instid0(VALU_DEP_2) | instskip(NEXT) | instid1(VALU_DEP_2)
	v_and_b32_e32 v3, 0x80000000, v3
	v_lshlrev_b32_e32 v1, 21, v1
	s_delay_alu instid0(VALU_DEP_3) | instskip(NEXT) | instid1(VALU_DEP_1)
	v_lshl_add_u32 v5, v7, 23, 0x37800000
	v_or3_b32 v1, v3, v5, v1
	s_delay_alu instid0(VALU_DEP_1)
	v_cvt_i32_f32_e32 v1, v1
.LBB119_589:
	s_or_b32 exec_lo, exec_lo, s30
	s_mov_b32 s30, 0
	s_branch .LBB119_595
.LBB119_590:
	s_mov_b32 s31, -1
                                        ; implicit-def: $vgpr1
	s_branch .LBB119_601
.LBB119_591:
	s_and_not1_saveexec_b32 s30, s30
	s_cbranch_execz .LBB119_576
.LBB119_592:
	v_cmp_ne_u16_e32 vcc_lo, 0, v3
	s_and_not1_b32 s31, s31, exec_lo
	s_and_b32 s50, vcc_lo, exec_lo
	s_delay_alu instid0(SALU_CYCLE_1)
	s_or_b32 s31, s31, s50
	s_or_b32 exec_lo, exec_lo, s30
	v_mov_b32_e32 v1, 0
	s_and_saveexec_b32 s30, s31
	s_cbranch_execnz .LBB119_577
	s_branch .LBB119_578
.LBB119_593:
	s_mov_b32 s30, -1
                                        ; implicit-def: $vgpr1
	s_branch .LBB119_598
.LBB119_594:
	s_mov_b32 s30, -1
                                        ; implicit-def: $vgpr1
.LBB119_595:
	s_delay_alu instid0(SALU_CYCLE_1)
	s_and_b32 vcc_lo, exec_lo, s30
	s_cbranch_vccz .LBB119_597
; %bb.596:
	s_wait_loadcnt 0x0
	global_load_u8 v1, v[8:9], off
	s_wait_loadcnt 0x0
	v_lshlrev_b32_e32 v1, 24, v1
	s_delay_alu instid0(VALU_DEP_1) | instskip(NEXT) | instid1(VALU_DEP_1)
	v_and_b32_e32 v3, 0x7f000000, v1
	v_clz_i32_u32_e32 v5, v3
	v_cmp_ne_u32_e32 vcc_lo, 0, v3
	v_add_nc_u32_e32 v10, 0x1000000, v3
	s_delay_alu instid0(VALU_DEP_3) | instskip(NEXT) | instid1(VALU_DEP_1)
	v_min_u32_e32 v5, 32, v5
	v_sub_nc_u32_e64 v5, v5, 4 clamp
	s_delay_alu instid0(VALU_DEP_1) | instskip(NEXT) | instid1(VALU_DEP_1)
	v_dual_lshlrev_b32 v7, v5, v3 :: v_dual_lshlrev_b32 v5, 23, v5
	v_lshrrev_b32_e32 v7, 4, v7
	s_delay_alu instid0(VALU_DEP_1) | instskip(NEXT) | instid1(VALU_DEP_1)
	v_dual_sub_nc_u32 v5, v7, v5 :: v_dual_ashrrev_i32 v7, 8, v10
	v_add_nc_u32_e32 v5, 0x3c000000, v5
	s_delay_alu instid0(VALU_DEP_1) | instskip(NEXT) | instid1(VALU_DEP_1)
	v_and_or_b32 v5, 0x7f800000, v7, v5
	v_cndmask_b32_e32 v3, 0, v5, vcc_lo
	s_delay_alu instid0(VALU_DEP_1) | instskip(NEXT) | instid1(VALU_DEP_1)
	v_and_or_b32 v1, 0x80000000, v1, v3
	v_cvt_i32_f32_e32 v1, v1
.LBB119_597:
	s_mov_b32 s30, 0
.LBB119_598:
	s_delay_alu instid0(SALU_CYCLE_1)
	s_and_not1_b32 vcc_lo, exec_lo, s30
	s_cbranch_vccnz .LBB119_600
; %bb.599:
	s_wait_loadcnt 0x0
	global_load_u8 v1, v[8:9], off
	s_wait_loadcnt 0x0
	v_lshlrev_b32_e32 v3, 25, v1
	v_lshlrev_b16 v1, 8, v1
	s_delay_alu instid0(VALU_DEP_1) | instskip(SKIP_1) | instid1(VALU_DEP_2)
	v_and_or_b32 v7, 0x7f00, v1, 0.5
	v_bfe_i32 v1, v1, 0, 16
	v_add_f32_e32 v7, -0.5, v7
	v_lshrrev_b32_e32 v5, 4, v3
	v_cmp_gt_u32_e32 vcc_lo, 0x8000000, v3
	s_delay_alu instid0(VALU_DEP_2) | instskip(NEXT) | instid1(VALU_DEP_1)
	v_or_b32_e32 v5, 0x70000000, v5
	v_mul_f32_e32 v5, 0x7800000, v5
	s_delay_alu instid0(VALU_DEP_1) | instskip(NEXT) | instid1(VALU_DEP_1)
	v_cndmask_b32_e32 v3, v5, v7, vcc_lo
	v_and_or_b32 v1, 0x80000000, v1, v3
	s_delay_alu instid0(VALU_DEP_1)
	v_cvt_i32_f32_e32 v1, v1
.LBB119_600:
	s_mov_b32 s31, 0
	s_mov_b32 s30, -1
.LBB119_601:
	s_and_not1_b32 vcc_lo, exec_lo, s31
	s_cbranch_vccnz .LBB119_614
; %bb.602:
	s_cmp_gt_i32 s29, 14
	s_cbranch_scc0 .LBB119_605
; %bb.603:
	s_cmp_eq_u32 s29, 15
	s_cbranch_scc0 .LBB119_608
; %bb.604:
	s_wait_loadcnt 0x0
	global_load_u16 v1, v[8:9], off
	s_mov_b32 s30, -1
	s_mov_b32 s28, 0
	s_wait_loadcnt 0x0
	v_lshlrev_b32_e32 v1, 16, v1
	s_delay_alu instid0(VALU_DEP_1)
	v_cvt_i32_f32_e32 v1, v1
	s_branch .LBB119_609
.LBB119_605:
	s_mov_b32 s31, -1
                                        ; implicit-def: $vgpr1
	s_branch .LBB119_610
.LBB119_606:
	s_and_not1_saveexec_b32 s30, s30
	s_cbranch_execz .LBB119_587
.LBB119_607:
	v_cmp_ne_u16_e32 vcc_lo, 0, v3
	s_and_not1_b32 s31, s31, exec_lo
	s_and_b32 s50, vcc_lo, exec_lo
	s_delay_alu instid0(SALU_CYCLE_1)
	s_or_b32 s31, s31, s50
	s_or_b32 exec_lo, exec_lo, s30
	v_mov_b32_e32 v1, 0
	s_and_saveexec_b32 s30, s31
	s_cbranch_execnz .LBB119_588
	s_branch .LBB119_589
.LBB119_608:
	s_mov_b32 s28, -1
                                        ; implicit-def: $vgpr1
.LBB119_609:
	s_mov_b32 s31, 0
.LBB119_610:
	s_delay_alu instid0(SALU_CYCLE_1)
	s_and_b32 vcc_lo, exec_lo, s31
	s_cbranch_vccz .LBB119_614
; %bb.611:
	s_cmp_eq_u32 s29, 11
	s_cbranch_scc0 .LBB119_613
; %bb.612:
	s_wait_loadcnt 0x0
	global_load_u8 v1, v[8:9], off
	s_mov_b32 s28, 0
	s_mov_b32 s30, -1
	s_wait_loadcnt 0x0
	v_cmp_ne_u16_e32 vcc_lo, 0, v1
	v_cndmask_b32_e64 v1, 0, 1, vcc_lo
	s_branch .LBB119_614
.LBB119_613:
	s_mov_b32 s28, -1
                                        ; implicit-def: $vgpr1
.LBB119_614:
	s_branch .LBB119_535
.LBB119_615:
	s_and_b32 s0, 0xffff, s0
	s_delay_alu instid0(SALU_CYCLE_1)
	s_cmp_lt_i32 s0, 5
	s_cbranch_scc1 .LBB119_620
; %bb.616:
	s_cmp_lt_i32 s0, 8
	s_cbranch_scc1 .LBB119_621
; %bb.617:
	;; [unrolled: 3-line block ×3, first 2 shown]
	s_cmp_gt_i32 s0, 9
	s_cbranch_scc0 .LBB119_623
; %bb.619:
	global_load_b64 v[10:11], v[8:9], off
	s_mov_b32 s29, 0
	s_wait_loadcnt 0x0
	v_cvt_i32_f64_e32 v1, v[10:11]
	s_branch .LBB119_624
.LBB119_620:
	s_mov_b32 s29, -1
                                        ; implicit-def: $vgpr1
	s_branch .LBB119_642
.LBB119_621:
	s_mov_b32 s29, -1
                                        ; implicit-def: $vgpr1
	s_branch .LBB119_630
.LBB119_622:
	s_mov_b32 s29, -1
                                        ; implicit-def: $vgpr1
	s_branch .LBB119_627
.LBB119_623:
	s_mov_b32 s29, -1
                                        ; implicit-def: $vgpr1
.LBB119_624:
	s_delay_alu instid0(SALU_CYCLE_1)
	s_and_not1_b32 vcc_lo, exec_lo, s29
	s_cbranch_vccnz .LBB119_626
; %bb.625:
	s_wait_loadcnt 0x0
	global_load_b32 v1, v[8:9], off
	s_wait_loadcnt 0x0
	v_cvt_i32_f32_e32 v1, v1
.LBB119_626:
	s_mov_b32 s29, 0
.LBB119_627:
	s_delay_alu instid0(SALU_CYCLE_1)
	s_and_not1_b32 vcc_lo, exec_lo, s29
	s_cbranch_vccnz .LBB119_629
; %bb.628:
	s_wait_loadcnt 0x0
	global_load_b32 v1, v[8:9], off
	s_wait_loadcnt 0x0
	v_cvt_f32_f16_e32 v1, v1
	s_delay_alu instid0(VALU_DEP_1)
	v_cvt_i32_f32_e32 v1, v1
.LBB119_629:
	s_mov_b32 s29, 0
.LBB119_630:
	s_delay_alu instid0(SALU_CYCLE_1)
	s_and_not1_b32 vcc_lo, exec_lo, s29
	s_cbranch_vccnz .LBB119_641
; %bb.631:
	s_cmp_lt_i32 s0, 6
	s_cbranch_scc1 .LBB119_634
; %bb.632:
	s_cmp_gt_i32 s0, 6
	s_cbranch_scc0 .LBB119_635
; %bb.633:
	global_load_b64 v[10:11], v[8:9], off
	s_mov_b32 s29, 0
	s_wait_loadcnt 0x0
	v_cvt_i32_f64_e32 v1, v[10:11]
	s_branch .LBB119_636
.LBB119_634:
	s_mov_b32 s29, -1
                                        ; implicit-def: $vgpr1
	s_branch .LBB119_639
.LBB119_635:
	s_mov_b32 s29, -1
                                        ; implicit-def: $vgpr1
.LBB119_636:
	s_delay_alu instid0(SALU_CYCLE_1)
	s_and_not1_b32 vcc_lo, exec_lo, s29
	s_cbranch_vccnz .LBB119_638
; %bb.637:
	s_wait_loadcnt 0x0
	global_load_b32 v1, v[8:9], off
	s_wait_loadcnt 0x0
	v_cvt_i32_f32_e32 v1, v1
.LBB119_638:
	s_mov_b32 s29, 0
.LBB119_639:
	s_delay_alu instid0(SALU_CYCLE_1)
	s_and_not1_b32 vcc_lo, exec_lo, s29
	s_cbranch_vccnz .LBB119_641
; %bb.640:
	s_wait_loadcnt 0x0
	global_load_u16 v1, v[8:9], off
	s_wait_loadcnt 0x0
	v_cvt_f32_f16_e32 v1, v1
	s_delay_alu instid0(VALU_DEP_1)
	v_cvt_i32_f32_e32 v1, v1
.LBB119_641:
	s_mov_b32 s29, 0
.LBB119_642:
	s_delay_alu instid0(SALU_CYCLE_1)
	s_and_not1_b32 vcc_lo, exec_lo, s29
	s_cbranch_vccnz .LBB119_662
; %bb.643:
	s_cmp_lt_i32 s0, 2
	s_cbranch_scc1 .LBB119_647
; %bb.644:
	s_cmp_lt_i32 s0, 3
	s_cbranch_scc1 .LBB119_648
; %bb.645:
	s_cmp_gt_i32 s0, 3
	s_cbranch_scc0 .LBB119_649
; %bb.646:
	s_wait_loadcnt 0x0
	global_load_b32 v1, v[8:9], off
	s_mov_b32 s29, 0
	s_branch .LBB119_650
.LBB119_647:
	s_mov_b32 s29, -1
                                        ; implicit-def: $vgpr1
	s_branch .LBB119_656
.LBB119_648:
	s_mov_b32 s29, -1
                                        ; implicit-def: $vgpr1
	s_branch .LBB119_653
.LBB119_649:
	s_mov_b32 s29, -1
                                        ; implicit-def: $vgpr1
.LBB119_650:
	s_delay_alu instid0(SALU_CYCLE_1)
	s_and_not1_b32 vcc_lo, exec_lo, s29
	s_cbranch_vccnz .LBB119_652
; %bb.651:
	s_wait_loadcnt 0x0
	global_load_b32 v1, v[8:9], off
.LBB119_652:
	s_mov_b32 s29, 0
.LBB119_653:
	s_delay_alu instid0(SALU_CYCLE_1)
	s_and_not1_b32 vcc_lo, exec_lo, s29
	s_cbranch_vccnz .LBB119_655
; %bb.654:
	s_wait_loadcnt 0x0
	global_load_i16 v1, v[8:9], off
.LBB119_655:
	s_mov_b32 s29, 0
.LBB119_656:
	s_delay_alu instid0(SALU_CYCLE_1)
	s_and_not1_b32 vcc_lo, exec_lo, s29
	s_cbranch_vccnz .LBB119_662
; %bb.657:
	s_cmp_gt_i32 s0, 0
	s_mov_b32 s0, 0
	s_cbranch_scc0 .LBB119_659
; %bb.658:
	s_wait_loadcnt 0x0
	global_load_i8 v1, v[8:9], off
	s_branch .LBB119_660
.LBB119_659:
	s_mov_b32 s0, -1
                                        ; implicit-def: $vgpr1
.LBB119_660:
	s_delay_alu instid0(SALU_CYCLE_1)
	s_and_not1_b32 vcc_lo, exec_lo, s0
	s_cbranch_vccnz .LBB119_662
; %bb.661:
	s_wait_loadcnt 0x0
	global_load_u8 v1, v[8:9], off
.LBB119_662:
	s_branch .LBB119_536
.LBB119_663:
	s_mov_b32 s31, 0
	s_mov_b32 s0, s42
	;; [unrolled: 1-line block ×4, first 2 shown]
	s_branch .LBB119_1031
.LBB119_664:
	s_and_not1_saveexec_b32 s48, s48
	s_cbranch_execz .LBB119_420
.LBB119_665:
	v_add_f32_e64 v5, 0x46000000, |v1|
	s_and_not1_b32 s47, s47, exec_lo
	s_delay_alu instid0(VALU_DEP_1) | instskip(NEXT) | instid1(VALU_DEP_1)
	v_and_b32_e32 v5, 0xff, v5
	v_cmp_ne_u32_e32 vcc_lo, 0, v5
	s_and_b32 s50, vcc_lo, exec_lo
	s_delay_alu instid0(SALU_CYCLE_1)
	s_or_b32 s47, s47, s50
	s_or_b32 exec_lo, exec_lo, s48
	v_mov_b32_e32 v6, 0
	s_and_saveexec_b32 s48, s47
	s_cbranch_execnz .LBB119_421
	s_branch .LBB119_422
.LBB119_666:
	s_mov_b32 s29, -1
	s_mov_b32 s31, 0
.LBB119_667:
                                        ; implicit-def: $vgpr8
.LBB119_668:
	s_and_b32 vcc_lo, exec_lo, s50
	s_cbranch_vccz .LBB119_672
; %bb.669:
	s_cmp_eq_u32 s30, 44
	s_cbranch_scc0 .LBB119_671
; %bb.670:
	global_load_u8 v3, v[6:7], off
	s_mov_b32 s29, 0
	s_mov_b32 s31, -1
	s_wait_loadcnt 0x0
	v_lshlrev_b32_e32 v5, 23, v3
	v_cmp_ne_u32_e32 vcc_lo, 0, v3
	s_delay_alu instid0(VALU_DEP_2) | instskip(SKIP_1) | instid1(VALU_DEP_1)
	v_cvt_i32_f32_e32 v5, v5
	s_wait_xcnt 0x1
	v_cndmask_b32_e32 v8, 0, v5, vcc_lo
	s_branch .LBB119_672
.LBB119_671:
	s_mov_b32 s29, -1
                                        ; implicit-def: $vgpr8
.LBB119_672:
	s_mov_b32 s50, 0
.LBB119_673:
	s_delay_alu instid0(SALU_CYCLE_1)
	s_and_b32 vcc_lo, exec_lo, s50
	s_cbranch_vccz .LBB119_677
; %bb.674:
	s_cmp_eq_u32 s30, 29
	s_cbranch_scc0 .LBB119_676
; %bb.675:
	global_load_b32 v8, v[6:7], off
	s_mov_b32 s31, -1
	s_mov_b32 s29, 0
	s_branch .LBB119_677
.LBB119_676:
	s_mov_b32 s29, -1
                                        ; implicit-def: $vgpr8
.LBB119_677:
	s_mov_b32 s50, 0
.LBB119_678:
	s_delay_alu instid0(SALU_CYCLE_1)
	s_and_b32 vcc_lo, exec_lo, s50
	s_cbranch_vccz .LBB119_694
; %bb.679:
	s_cmp_lt_i32 s30, 27
	s_cbranch_scc1 .LBB119_682
; %bb.680:
	s_cmp_gt_i32 s30, 27
	s_cbranch_scc0 .LBB119_683
; %bb.681:
	s_wait_loadcnt 0x0
	global_load_b32 v8, v[6:7], off
	s_mov_b32 s31, 0
	s_branch .LBB119_684
.LBB119_682:
	s_mov_b32 s31, -1
                                        ; implicit-def: $vgpr8
	s_branch .LBB119_687
.LBB119_683:
	s_mov_b32 s31, -1
                                        ; implicit-def: $vgpr8
.LBB119_684:
	s_delay_alu instid0(SALU_CYCLE_1)
	s_and_not1_b32 vcc_lo, exec_lo, s31
	s_cbranch_vccnz .LBB119_686
; %bb.685:
	s_wait_loadcnt 0x0
	global_load_u16 v8, v[6:7], off
.LBB119_686:
	s_mov_b32 s31, 0
.LBB119_687:
	s_delay_alu instid0(SALU_CYCLE_1)
	s_and_not1_b32 vcc_lo, exec_lo, s31
	s_cbranch_vccnz .LBB119_693
; %bb.688:
	global_load_u8 v3, v[6:7], off
	s_mov_b32 s50, 0
	s_mov_b32 s31, exec_lo
	s_wait_loadcnt 0x0
	v_cmpx_lt_i16_e32 0x7f, v3
	s_xor_b32 s31, exec_lo, s31
	s_cbranch_execz .LBB119_705
; %bb.689:
	v_cmp_ne_u16_e32 vcc_lo, 0x80, v3
	s_and_b32 s50, vcc_lo, exec_lo
	s_and_not1_saveexec_b32 s31, s31
	s_cbranch_execnz .LBB119_706
.LBB119_690:
	s_or_b32 exec_lo, exec_lo, s31
	v_mov_b32_e32 v8, 0
	s_and_saveexec_b32 s31, s50
	s_cbranch_execz .LBB119_692
.LBB119_691:
	v_and_b32_e32 v5, 0xffff, v3
	s_delay_alu instid0(VALU_DEP_1) | instskip(SKIP_1) | instid1(VALU_DEP_2)
	v_dual_lshlrev_b32 v3, 24, v3 :: v_dual_bitop2_b32 v8, 7, v5 bitop3:0x40
	v_bfe_u32 v11, v5, 3, 4
	v_and_b32_e32 v3, 0x80000000, v3
	s_delay_alu instid0(VALU_DEP_3) | instskip(NEXT) | instid1(VALU_DEP_3)
	v_clz_i32_u32_e32 v9, v8
	v_cmp_eq_u32_e32 vcc_lo, 0, v11
	s_delay_alu instid0(VALU_DEP_2) | instskip(NEXT) | instid1(VALU_DEP_1)
	v_min_u32_e32 v9, 32, v9
	v_subrev_nc_u32_e32 v10, 28, v9
	v_sub_nc_u32_e32 v9, 29, v9
	s_delay_alu instid0(VALU_DEP_2) | instskip(NEXT) | instid1(VALU_DEP_2)
	v_lshlrev_b32_e32 v5, v10, v5
	v_cndmask_b32_e32 v9, v11, v9, vcc_lo
	s_delay_alu instid0(VALU_DEP_2) | instskip(NEXT) | instid1(VALU_DEP_1)
	v_and_b32_e32 v5, 7, v5
	v_cndmask_b32_e32 v5, v8, v5, vcc_lo
	s_delay_alu instid0(VALU_DEP_3) | instskip(NEXT) | instid1(VALU_DEP_2)
	v_lshl_add_u32 v8, v9, 23, 0x3b800000
	v_lshlrev_b32_e32 v5, 20, v5
	s_delay_alu instid0(VALU_DEP_1) | instskip(NEXT) | instid1(VALU_DEP_1)
	v_or3_b32 v3, v3, v8, v5
	v_cvt_i32_f32_e32 v8, v3
.LBB119_692:
	s_or_b32 exec_lo, exec_lo, s31
.LBB119_693:
	s_mov_b32 s31, -1
.LBB119_694:
	s_mov_b32 s50, 0
.LBB119_695:
	s_delay_alu instid0(SALU_CYCLE_1)
	s_and_b32 vcc_lo, exec_lo, s50
	s_cbranch_vccz .LBB119_728
; %bb.696:
	s_cmp_gt_i32 s30, 22
	s_cbranch_scc0 .LBB119_704
; %bb.697:
	s_cmp_lt_i32 s30, 24
	s_cbranch_scc1 .LBB119_707
; %bb.698:
	s_cmp_gt_i32 s30, 24
	s_cbranch_scc0 .LBB119_708
; %bb.699:
	global_load_u8 v3, v[6:7], off
	s_mov_b32 s50, 0
	s_mov_b32 s31, exec_lo
	s_wait_loadcnt 0x0
	v_cmpx_lt_i16_e32 0x7f, v3
	s_xor_b32 s31, exec_lo, s31
	s_cbranch_execz .LBB119_720
; %bb.700:
	v_cmp_ne_u16_e32 vcc_lo, 0x80, v3
	s_and_b32 s50, vcc_lo, exec_lo
	s_and_not1_saveexec_b32 s31, s31
	s_cbranch_execnz .LBB119_721
.LBB119_701:
	s_or_b32 exec_lo, exec_lo, s31
	v_mov_b32_e32 v8, 0
	s_and_saveexec_b32 s31, s50
	s_cbranch_execz .LBB119_703
.LBB119_702:
	v_and_b32_e32 v5, 0xffff, v3
	s_delay_alu instid0(VALU_DEP_1) | instskip(SKIP_1) | instid1(VALU_DEP_2)
	v_dual_lshlrev_b32 v3, 24, v3 :: v_dual_bitop2_b32 v8, 3, v5 bitop3:0x40
	v_bfe_u32 v11, v5, 2, 5
	v_and_b32_e32 v3, 0x80000000, v3
	s_delay_alu instid0(VALU_DEP_3) | instskip(NEXT) | instid1(VALU_DEP_3)
	v_clz_i32_u32_e32 v9, v8
	v_cmp_eq_u32_e32 vcc_lo, 0, v11
	s_delay_alu instid0(VALU_DEP_2) | instskip(NEXT) | instid1(VALU_DEP_1)
	v_min_u32_e32 v9, 32, v9
	v_subrev_nc_u32_e32 v10, 29, v9
	v_sub_nc_u32_e32 v9, 30, v9
	s_delay_alu instid0(VALU_DEP_2) | instskip(NEXT) | instid1(VALU_DEP_2)
	v_lshlrev_b32_e32 v5, v10, v5
	v_cndmask_b32_e32 v9, v11, v9, vcc_lo
	s_delay_alu instid0(VALU_DEP_2) | instskip(NEXT) | instid1(VALU_DEP_1)
	v_and_b32_e32 v5, 3, v5
	v_cndmask_b32_e32 v5, v8, v5, vcc_lo
	s_delay_alu instid0(VALU_DEP_3) | instskip(NEXT) | instid1(VALU_DEP_2)
	v_lshl_add_u32 v8, v9, 23, 0x37800000
	v_lshlrev_b32_e32 v5, 21, v5
	s_delay_alu instid0(VALU_DEP_1) | instskip(NEXT) | instid1(VALU_DEP_1)
	v_or3_b32 v3, v3, v8, v5
	v_cvt_i32_f32_e32 v8, v3
.LBB119_703:
	s_or_b32 exec_lo, exec_lo, s31
	s_mov_b32 s31, 0
	s_branch .LBB119_709
.LBB119_704:
	s_mov_b32 s50, -1
                                        ; implicit-def: $vgpr8
	s_branch .LBB119_715
.LBB119_705:
	s_and_not1_saveexec_b32 s31, s31
	s_cbranch_execz .LBB119_690
.LBB119_706:
	v_cmp_ne_u16_e32 vcc_lo, 0, v3
	s_and_not1_b32 s50, s50, exec_lo
	s_and_b32 s51, vcc_lo, exec_lo
	s_delay_alu instid0(SALU_CYCLE_1)
	s_or_b32 s50, s50, s51
	s_or_b32 exec_lo, exec_lo, s31
	v_mov_b32_e32 v8, 0
	s_and_saveexec_b32 s31, s50
	s_cbranch_execnz .LBB119_691
	s_branch .LBB119_692
.LBB119_707:
	s_mov_b32 s31, -1
                                        ; implicit-def: $vgpr8
	s_branch .LBB119_712
.LBB119_708:
	s_mov_b32 s31, -1
                                        ; implicit-def: $vgpr8
.LBB119_709:
	s_delay_alu instid0(SALU_CYCLE_1)
	s_and_b32 vcc_lo, exec_lo, s31
	s_cbranch_vccz .LBB119_711
; %bb.710:
	global_load_u8 v3, v[6:7], off
	s_wait_loadcnt 0x0
	v_lshlrev_b32_e32 v3, 24, v3
	s_delay_alu instid0(VALU_DEP_1) | instskip(SKIP_1) | instid1(VALU_DEP_1)
	v_and_b32_e32 v5, 0x7f000000, v3
	s_wait_xcnt 0x1
	v_clz_i32_u32_e32 v8, v5
	v_cmp_ne_u32_e32 vcc_lo, 0, v5
	v_add_nc_u32_e32 v10, 0x1000000, v5
	s_delay_alu instid0(VALU_DEP_3) | instskip(NEXT) | instid1(VALU_DEP_1)
	v_min_u32_e32 v8, 32, v8
	v_sub_nc_u32_e64 v8, v8, 4 clamp
	s_delay_alu instid0(VALU_DEP_1) | instskip(NEXT) | instid1(VALU_DEP_1)
	v_dual_lshlrev_b32 v9, v8, v5 :: v_dual_lshlrev_b32 v8, 23, v8
	v_lshrrev_b32_e32 v9, 4, v9
	s_delay_alu instid0(VALU_DEP_1) | instskip(NEXT) | instid1(VALU_DEP_1)
	v_dual_sub_nc_u32 v8, v9, v8 :: v_dual_ashrrev_i32 v9, 8, v10
	v_add_nc_u32_e32 v8, 0x3c000000, v8
	s_delay_alu instid0(VALU_DEP_1) | instskip(NEXT) | instid1(VALU_DEP_1)
	v_and_or_b32 v8, 0x7f800000, v9, v8
	v_cndmask_b32_e32 v5, 0, v8, vcc_lo
	s_delay_alu instid0(VALU_DEP_1) | instskip(NEXT) | instid1(VALU_DEP_1)
	v_and_or_b32 v3, 0x80000000, v3, v5
	v_cvt_i32_f32_e32 v8, v3
.LBB119_711:
	s_mov_b32 s31, 0
.LBB119_712:
	s_delay_alu instid0(SALU_CYCLE_1)
	s_and_not1_b32 vcc_lo, exec_lo, s31
	s_cbranch_vccnz .LBB119_714
; %bb.713:
	global_load_u8 v3, v[6:7], off
	s_wait_loadcnt 0x0
	v_lshlrev_b32_e32 v5, 25, v3
	v_lshlrev_b16 v3, 8, v3
	s_wait_xcnt 0x1
	s_delay_alu instid0(VALU_DEP_1) | instskip(SKIP_1) | instid1(VALU_DEP_2)
	v_and_or_b32 v9, 0x7f00, v3, 0.5
	v_bfe_i32 v3, v3, 0, 16
	v_add_f32_e32 v9, -0.5, v9
	v_lshrrev_b32_e32 v8, 4, v5
	v_cmp_gt_u32_e32 vcc_lo, 0x8000000, v5
	s_delay_alu instid0(VALU_DEP_2) | instskip(NEXT) | instid1(VALU_DEP_1)
	v_or_b32_e32 v8, 0x70000000, v8
	v_mul_f32_e32 v8, 0x7800000, v8
	s_delay_alu instid0(VALU_DEP_1) | instskip(NEXT) | instid1(VALU_DEP_1)
	v_cndmask_b32_e32 v5, v8, v9, vcc_lo
	v_and_or_b32 v3, 0x80000000, v3, v5
	s_delay_alu instid0(VALU_DEP_1)
	v_cvt_i32_f32_e32 v8, v3
.LBB119_714:
	s_mov_b32 s50, 0
	s_mov_b32 s31, -1
.LBB119_715:
	s_and_not1_b32 vcc_lo, exec_lo, s50
	s_cbranch_vccnz .LBB119_728
; %bb.716:
	s_cmp_gt_i32 s30, 14
	s_cbranch_scc0 .LBB119_719
; %bb.717:
	s_cmp_eq_u32 s30, 15
	s_cbranch_scc0 .LBB119_722
; %bb.718:
	global_load_u16 v3, v[6:7], off
	s_mov_b32 s31, -1
	s_mov_b32 s29, 0
	s_wait_loadcnt 0x0
	v_lshlrev_b32_e32 v3, 16, v3
	s_wait_xcnt 0x1
	s_delay_alu instid0(VALU_DEP_1)
	v_cvt_i32_f32_e32 v8, v3
	s_branch .LBB119_723
.LBB119_719:
	s_mov_b32 s50, -1
                                        ; implicit-def: $vgpr8
	s_branch .LBB119_724
.LBB119_720:
	s_and_not1_saveexec_b32 s31, s31
	s_cbranch_execz .LBB119_701
.LBB119_721:
	v_cmp_ne_u16_e32 vcc_lo, 0, v3
	s_and_not1_b32 s50, s50, exec_lo
	s_and_b32 s51, vcc_lo, exec_lo
	s_delay_alu instid0(SALU_CYCLE_1)
	s_or_b32 s50, s50, s51
	s_or_b32 exec_lo, exec_lo, s31
	v_mov_b32_e32 v8, 0
	s_and_saveexec_b32 s31, s50
	s_cbranch_execnz .LBB119_702
	s_branch .LBB119_703
.LBB119_722:
	s_mov_b32 s29, -1
                                        ; implicit-def: $vgpr8
.LBB119_723:
	s_mov_b32 s50, 0
.LBB119_724:
	s_delay_alu instid0(SALU_CYCLE_1)
	s_and_b32 vcc_lo, exec_lo, s50
	s_cbranch_vccz .LBB119_728
; %bb.725:
	s_cmp_eq_u32 s30, 11
	s_cbranch_scc0 .LBB119_727
; %bb.726:
	global_load_u8 v3, v[6:7], off
	s_mov_b32 s29, 0
	s_mov_b32 s31, -1
	s_wait_loadcnt 0x0
	v_cmp_ne_u16_e32 vcc_lo, 0, v3
	s_wait_xcnt 0x1
	v_cndmask_b32_e64 v8, 0, 1, vcc_lo
	s_branch .LBB119_728
.LBB119_727:
	s_mov_b32 s29, -1
                                        ; implicit-def: $vgpr8
.LBB119_728:
	s_mov_b32 s30, 0
.LBB119_729:
	s_delay_alu instid0(SALU_CYCLE_1)
	s_and_b32 vcc_lo, exec_lo, s30
	s_cbranch_vccz .LBB119_778
; %bb.730:
	s_and_b32 s0, 0xffff, s0
	s_delay_alu instid0(SALU_CYCLE_1)
	s_cmp_lt_i32 s0, 5
	s_cbranch_scc1 .LBB119_735
; %bb.731:
	s_cmp_lt_i32 s0, 8
	s_cbranch_scc1 .LBB119_736
; %bb.732:
	;; [unrolled: 3-line block ×3, first 2 shown]
	s_cmp_gt_i32 s0, 9
	s_cbranch_scc0 .LBB119_738
; %bb.734:
	s_wait_loadcnt 0x0
	global_load_b64 v[8:9], v[6:7], off
	s_mov_b32 s30, 0
	s_wait_loadcnt 0x0
	v_cvt_i32_f64_e32 v8, v[8:9]
	s_branch .LBB119_739
.LBB119_735:
	s_mov_b32 s30, -1
                                        ; implicit-def: $vgpr8
	s_branch .LBB119_757
.LBB119_736:
	s_mov_b32 s30, -1
                                        ; implicit-def: $vgpr8
	s_branch .LBB119_745
.LBB119_737:
	s_mov_b32 s30, -1
                                        ; implicit-def: $vgpr8
	s_branch .LBB119_742
.LBB119_738:
	s_mov_b32 s30, -1
                                        ; implicit-def: $vgpr8
.LBB119_739:
	s_delay_alu instid0(SALU_CYCLE_1)
	s_and_not1_b32 vcc_lo, exec_lo, s30
	s_cbranch_vccnz .LBB119_741
; %bb.740:
	global_load_b32 v3, v[6:7], off
	s_wait_loadcnt 0x0
	s_wait_xcnt 0x1
	v_cvt_i32_f32_e32 v8, v3
.LBB119_741:
	s_mov_b32 s30, 0
.LBB119_742:
	s_delay_alu instid0(SALU_CYCLE_1)
	s_and_not1_b32 vcc_lo, exec_lo, s30
	s_cbranch_vccnz .LBB119_744
; %bb.743:
	global_load_b32 v3, v[6:7], off
	s_wait_loadcnt 0x0
	v_cvt_f32_f16_e32 v3, v3
	s_wait_xcnt 0x1
	s_delay_alu instid0(VALU_DEP_1)
	v_cvt_i32_f32_e32 v8, v3
.LBB119_744:
	s_mov_b32 s30, 0
.LBB119_745:
	s_delay_alu instid0(SALU_CYCLE_1)
	s_and_not1_b32 vcc_lo, exec_lo, s30
	s_cbranch_vccnz .LBB119_756
; %bb.746:
	s_cmp_lt_i32 s0, 6
	s_cbranch_scc1 .LBB119_749
; %bb.747:
	s_cmp_gt_i32 s0, 6
	s_cbranch_scc0 .LBB119_750
; %bb.748:
	s_wait_loadcnt 0x0
	global_load_b64 v[8:9], v[6:7], off
	s_mov_b32 s30, 0
	s_wait_loadcnt 0x0
	v_cvt_i32_f64_e32 v8, v[8:9]
	s_branch .LBB119_751
.LBB119_749:
	s_mov_b32 s30, -1
                                        ; implicit-def: $vgpr8
	s_branch .LBB119_754
.LBB119_750:
	s_mov_b32 s30, -1
                                        ; implicit-def: $vgpr8
.LBB119_751:
	s_delay_alu instid0(SALU_CYCLE_1)
	s_and_not1_b32 vcc_lo, exec_lo, s30
	s_cbranch_vccnz .LBB119_753
; %bb.752:
	global_load_b32 v3, v[6:7], off
	s_wait_loadcnt 0x0
	s_wait_xcnt 0x1
	v_cvt_i32_f32_e32 v8, v3
.LBB119_753:
	s_mov_b32 s30, 0
.LBB119_754:
	s_delay_alu instid0(SALU_CYCLE_1)
	s_and_not1_b32 vcc_lo, exec_lo, s30
	s_cbranch_vccnz .LBB119_756
; %bb.755:
	global_load_u16 v3, v[6:7], off
	s_wait_loadcnt 0x0
	v_cvt_f32_f16_e32 v3, v3
	s_wait_xcnt 0x1
	s_delay_alu instid0(VALU_DEP_1)
	v_cvt_i32_f32_e32 v8, v3
.LBB119_756:
	s_mov_b32 s30, 0
.LBB119_757:
	s_delay_alu instid0(SALU_CYCLE_1)
	s_and_not1_b32 vcc_lo, exec_lo, s30
	s_cbranch_vccnz .LBB119_777
; %bb.758:
	s_cmp_lt_i32 s0, 2
	s_cbranch_scc1 .LBB119_762
; %bb.759:
	s_cmp_lt_i32 s0, 3
	s_cbranch_scc1 .LBB119_763
; %bb.760:
	s_cmp_gt_i32 s0, 3
	s_cbranch_scc0 .LBB119_764
; %bb.761:
	s_wait_loadcnt 0x0
	global_load_b32 v8, v[6:7], off
	s_mov_b32 s30, 0
	s_branch .LBB119_765
.LBB119_762:
	s_mov_b32 s30, -1
                                        ; implicit-def: $vgpr8
	s_branch .LBB119_771
.LBB119_763:
	s_mov_b32 s30, -1
                                        ; implicit-def: $vgpr8
	s_branch .LBB119_768
.LBB119_764:
	s_mov_b32 s30, -1
                                        ; implicit-def: $vgpr8
.LBB119_765:
	s_delay_alu instid0(SALU_CYCLE_1)
	s_and_not1_b32 vcc_lo, exec_lo, s30
	s_cbranch_vccnz .LBB119_767
; %bb.766:
	s_wait_loadcnt 0x0
	global_load_b32 v8, v[6:7], off
.LBB119_767:
	s_mov_b32 s30, 0
.LBB119_768:
	s_delay_alu instid0(SALU_CYCLE_1)
	s_and_not1_b32 vcc_lo, exec_lo, s30
	s_cbranch_vccnz .LBB119_770
; %bb.769:
	s_wait_loadcnt 0x0
	global_load_i16 v8, v[6:7], off
.LBB119_770:
	s_mov_b32 s30, 0
.LBB119_771:
	s_delay_alu instid0(SALU_CYCLE_1)
	s_and_not1_b32 vcc_lo, exec_lo, s30
	s_cbranch_vccnz .LBB119_777
; %bb.772:
	s_cmp_gt_i32 s0, 0
	s_mov_b32 s0, 0
	s_cbranch_scc0 .LBB119_774
; %bb.773:
	s_wait_loadcnt 0x0
	global_load_i8 v8, v[6:7], off
	s_branch .LBB119_775
.LBB119_774:
	s_mov_b32 s0, -1
                                        ; implicit-def: $vgpr8
.LBB119_775:
	s_delay_alu instid0(SALU_CYCLE_1)
	s_and_not1_b32 vcc_lo, exec_lo, s0
	s_cbranch_vccnz .LBB119_777
; %bb.776:
	s_wait_loadcnt 0x0
	global_load_u8 v8, v[6:7], off
.LBB119_777:
	s_mov_b32 s31, -1
.LBB119_778:
	s_delay_alu instid0(SALU_CYCLE_1)
	s_and_not1_b32 vcc_lo, exec_lo, s31
	s_cbranch_vccnz .LBB119_786
; %bb.779:
	v_mov_b32_e32 v5, 0
	s_and_b32 s0, 0xffff, s21
	s_delay_alu instid0(SALU_CYCLE_1) | instskip(NEXT) | instid1(VALU_DEP_1)
	s_cmp_lt_i32 s0, 11
	v_add_nc_u64_e32 v[4:5], s[10:11], v[4:5]
	s_cbranch_scc1 .LBB119_787
; %bb.780:
	s_cmp_gt_i32 s0, 25
	s_cbranch_scc0 .LBB119_788
; %bb.781:
	s_cmp_gt_i32 s0, 28
	s_cbranch_scc0 .LBB119_789
	;; [unrolled: 3-line block ×4, first 2 shown]
; %bb.784:
	s_cmp_eq_u32 s0, 46
	s_mov_b32 s50, 0
	s_cbranch_scc0 .LBB119_794
; %bb.785:
	global_load_b32 v3, v[4:5], off
	s_mov_b32 s31, -1
	s_mov_b32 s30, 0
	s_wait_loadcnt 0x0
	v_lshlrev_b32_e32 v3, 16, v3
	s_wait_xcnt 0x1
	s_delay_alu instid0(VALU_DEP_1)
	v_cvt_i32_f32_e32 v6, v3
	s_branch .LBB119_796
.LBB119_786:
	s_mov_b32 s31, 0
	s_mov_b32 s0, s42
	;; [unrolled: 1-line block ×3, first 2 shown]
	s_branch .LBB119_1031
.LBB119_787:
	s_mov_b32 s50, -1
	s_mov_b32 s31, 0
	s_mov_b32 s30, s46
                                        ; implicit-def: $vgpr6
	s_branch .LBB119_857
.LBB119_788:
	s_mov_b32 s50, -1
	s_mov_b32 s31, 0
	s_mov_b32 s30, s46
                                        ; implicit-def: $vgpr6
	s_branch .LBB119_823
.LBB119_789:
	s_mov_b32 s50, -1
	s_mov_b32 s31, 0
	s_mov_b32 s30, s46
                                        ; implicit-def: $vgpr6
	s_branch .LBB119_806
.LBB119_790:
	s_mov_b32 s50, -1
	s_mov_b32 s31, 0
	s_mov_b32 s30, s46
                                        ; implicit-def: $vgpr6
	s_branch .LBB119_801
.LBB119_791:
	s_mov_b32 s50, -1
	s_mov_b32 s31, 0
	s_mov_b32 s30, s46
	s_branch .LBB119_795
.LBB119_792:
	s_and_not1_saveexec_b32 s48, s48
	s_cbranch_execz .LBB119_433
.LBB119_793:
	v_add_f32_e64 v5, 0x42800000, |v1|
	s_and_not1_b32 s47, s47, exec_lo
	s_delay_alu instid0(VALU_DEP_1) | instskip(NEXT) | instid1(VALU_DEP_1)
	v_and_b32_e32 v5, 0xff, v5
	v_cmp_ne_u32_e32 vcc_lo, 0, v5
	s_and_b32 s50, vcc_lo, exec_lo
	s_delay_alu instid0(SALU_CYCLE_1)
	s_or_b32 s47, s47, s50
	s_or_b32 exec_lo, exec_lo, s48
	v_mov_b32_e32 v6, 0
	s_and_saveexec_b32 s48, s47
	s_cbranch_execnz .LBB119_434
	s_branch .LBB119_435
.LBB119_794:
	s_mov_b32 s30, -1
	s_mov_b32 s31, 0
.LBB119_795:
                                        ; implicit-def: $vgpr6
.LBB119_796:
	s_and_b32 vcc_lo, exec_lo, s50
	s_cbranch_vccz .LBB119_800
; %bb.797:
	s_cmp_eq_u32 s0, 44
	s_cbranch_scc0 .LBB119_799
; %bb.798:
	global_load_u8 v3, v[4:5], off
	s_mov_b32 s30, 0
	s_mov_b32 s31, -1
	s_wait_loadcnt 0x0
	s_wait_xcnt 0x1
	v_lshlrev_b32_e32 v6, 23, v3
	v_cmp_ne_u32_e32 vcc_lo, 0, v3
	s_delay_alu instid0(VALU_DEP_2) | instskip(NEXT) | instid1(VALU_DEP_1)
	v_cvt_i32_f32_e32 v6, v6
	v_cndmask_b32_e32 v6, 0, v6, vcc_lo
	s_branch .LBB119_800
.LBB119_799:
	s_mov_b32 s30, -1
                                        ; implicit-def: $vgpr6
.LBB119_800:
	s_mov_b32 s50, 0
.LBB119_801:
	s_delay_alu instid0(SALU_CYCLE_1)
	s_and_b32 vcc_lo, exec_lo, s50
	s_cbranch_vccz .LBB119_805
; %bb.802:
	s_cmp_eq_u32 s0, 29
	s_cbranch_scc0 .LBB119_804
; %bb.803:
	global_load_b32 v6, v[4:5], off
	s_mov_b32 s31, -1
	s_mov_b32 s30, 0
	s_branch .LBB119_805
.LBB119_804:
	s_mov_b32 s30, -1
                                        ; implicit-def: $vgpr6
.LBB119_805:
	s_mov_b32 s50, 0
.LBB119_806:
	s_delay_alu instid0(SALU_CYCLE_1)
	s_and_b32 vcc_lo, exec_lo, s50
	s_cbranch_vccz .LBB119_822
; %bb.807:
	s_cmp_lt_i32 s0, 27
	s_cbranch_scc1 .LBB119_810
; %bb.808:
	s_cmp_gt_i32 s0, 27
	s_cbranch_scc0 .LBB119_811
; %bb.809:
	s_wait_loadcnt 0x0
	global_load_b32 v6, v[4:5], off
	s_mov_b32 s31, 0
	s_branch .LBB119_812
.LBB119_810:
	s_mov_b32 s31, -1
                                        ; implicit-def: $vgpr6
	s_branch .LBB119_815
.LBB119_811:
	s_mov_b32 s31, -1
                                        ; implicit-def: $vgpr6
.LBB119_812:
	s_delay_alu instid0(SALU_CYCLE_1)
	s_and_not1_b32 vcc_lo, exec_lo, s31
	s_cbranch_vccnz .LBB119_814
; %bb.813:
	s_wait_loadcnt 0x0
	global_load_u16 v6, v[4:5], off
.LBB119_814:
	s_mov_b32 s31, 0
.LBB119_815:
	s_delay_alu instid0(SALU_CYCLE_1)
	s_and_not1_b32 vcc_lo, exec_lo, s31
	s_cbranch_vccnz .LBB119_821
; %bb.816:
	global_load_u8 v3, v[4:5], off
	s_mov_b32 s50, 0
	s_mov_b32 s31, exec_lo
	s_wait_loadcnt 0x0
	v_cmpx_lt_i16_e32 0x7f, v3
	s_xor_b32 s31, exec_lo, s31
	s_cbranch_execz .LBB119_833
; %bb.817:
	v_cmp_ne_u16_e32 vcc_lo, 0x80, v3
	s_and_b32 s50, vcc_lo, exec_lo
	s_and_not1_saveexec_b32 s31, s31
	s_cbranch_execnz .LBB119_834
.LBB119_818:
	s_or_b32 exec_lo, exec_lo, s31
	v_mov_b32_e32 v6, 0
	s_and_saveexec_b32 s31, s50
	s_cbranch_execz .LBB119_820
.LBB119_819:
	v_and_b32_e32 v6, 0xffff, v3
	s_delay_alu instid0(VALU_DEP_1) | instskip(SKIP_1) | instid1(VALU_DEP_2)
	v_and_b32_e32 v7, 7, v6
	v_bfe_u32 v11, v6, 3, 4
	v_clz_i32_u32_e32 v9, v7
	s_delay_alu instid0(VALU_DEP_2) | instskip(NEXT) | instid1(VALU_DEP_2)
	v_cmp_eq_u32_e32 vcc_lo, 0, v11
	v_min_u32_e32 v9, 32, v9
	s_delay_alu instid0(VALU_DEP_1) | instskip(NEXT) | instid1(VALU_DEP_1)
	v_subrev_nc_u32_e32 v10, 28, v9
	v_dual_lshlrev_b32 v6, v10, v6 :: v_dual_sub_nc_u32 v9, 29, v9
	s_delay_alu instid0(VALU_DEP_1) | instskip(NEXT) | instid1(VALU_DEP_2)
	v_dual_lshlrev_b32 v3, 24, v3 :: v_dual_bitop2_b32 v6, 7, v6 bitop3:0x40
	v_cndmask_b32_e32 v9, v11, v9, vcc_lo
	s_delay_alu instid0(VALU_DEP_2) | instskip(NEXT) | instid1(VALU_DEP_3)
	v_cndmask_b32_e32 v6, v7, v6, vcc_lo
	v_and_b32_e32 v3, 0x80000000, v3
	s_delay_alu instid0(VALU_DEP_3) | instskip(NEXT) | instid1(VALU_DEP_3)
	v_lshl_add_u32 v7, v9, 23, 0x3b800000
	v_lshlrev_b32_e32 v6, 20, v6
	s_delay_alu instid0(VALU_DEP_1) | instskip(NEXT) | instid1(VALU_DEP_1)
	v_or3_b32 v3, v3, v7, v6
	v_cvt_i32_f32_e32 v6, v3
.LBB119_820:
	s_or_b32 exec_lo, exec_lo, s31
.LBB119_821:
	s_mov_b32 s31, -1
.LBB119_822:
	s_mov_b32 s50, 0
.LBB119_823:
	s_delay_alu instid0(SALU_CYCLE_1)
	s_and_b32 vcc_lo, exec_lo, s50
	s_cbranch_vccz .LBB119_856
; %bb.824:
	s_cmp_gt_i32 s0, 22
	s_cbranch_scc0 .LBB119_832
; %bb.825:
	s_cmp_lt_i32 s0, 24
	s_cbranch_scc1 .LBB119_835
; %bb.826:
	s_cmp_gt_i32 s0, 24
	s_cbranch_scc0 .LBB119_836
; %bb.827:
	global_load_u8 v3, v[4:5], off
	s_mov_b32 s50, 0
	s_mov_b32 s31, exec_lo
	s_wait_loadcnt 0x0
	v_cmpx_lt_i16_e32 0x7f, v3
	s_xor_b32 s31, exec_lo, s31
	s_cbranch_execz .LBB119_848
; %bb.828:
	v_cmp_ne_u16_e32 vcc_lo, 0x80, v3
	s_and_b32 s50, vcc_lo, exec_lo
	s_and_not1_saveexec_b32 s31, s31
	s_cbranch_execnz .LBB119_849
.LBB119_829:
	s_or_b32 exec_lo, exec_lo, s31
	v_mov_b32_e32 v6, 0
	s_and_saveexec_b32 s31, s50
	s_cbranch_execz .LBB119_831
.LBB119_830:
	v_and_b32_e32 v6, 0xffff, v3
	s_delay_alu instid0(VALU_DEP_1) | instskip(SKIP_1) | instid1(VALU_DEP_2)
	v_and_b32_e32 v7, 3, v6
	v_bfe_u32 v11, v6, 2, 5
	v_clz_i32_u32_e32 v9, v7
	s_delay_alu instid0(VALU_DEP_2) | instskip(NEXT) | instid1(VALU_DEP_2)
	v_cmp_eq_u32_e32 vcc_lo, 0, v11
	v_min_u32_e32 v9, 32, v9
	s_delay_alu instid0(VALU_DEP_1) | instskip(NEXT) | instid1(VALU_DEP_1)
	v_subrev_nc_u32_e32 v10, 29, v9
	v_dual_lshlrev_b32 v6, v10, v6 :: v_dual_sub_nc_u32 v9, 30, v9
	s_delay_alu instid0(VALU_DEP_1) | instskip(NEXT) | instid1(VALU_DEP_2)
	v_dual_lshlrev_b32 v3, 24, v3 :: v_dual_bitop2_b32 v6, 3, v6 bitop3:0x40
	v_cndmask_b32_e32 v9, v11, v9, vcc_lo
	s_delay_alu instid0(VALU_DEP_2) | instskip(NEXT) | instid1(VALU_DEP_3)
	v_cndmask_b32_e32 v6, v7, v6, vcc_lo
	v_and_b32_e32 v3, 0x80000000, v3
	s_delay_alu instid0(VALU_DEP_3) | instskip(NEXT) | instid1(VALU_DEP_3)
	v_lshl_add_u32 v7, v9, 23, 0x37800000
	v_lshlrev_b32_e32 v6, 21, v6
	s_delay_alu instid0(VALU_DEP_1) | instskip(NEXT) | instid1(VALU_DEP_1)
	v_or3_b32 v3, v3, v7, v6
	v_cvt_i32_f32_e32 v6, v3
.LBB119_831:
	s_or_b32 exec_lo, exec_lo, s31
	s_mov_b32 s31, 0
	s_branch .LBB119_837
.LBB119_832:
	s_mov_b32 s50, -1
                                        ; implicit-def: $vgpr6
	s_branch .LBB119_843
.LBB119_833:
	s_and_not1_saveexec_b32 s31, s31
	s_cbranch_execz .LBB119_818
.LBB119_834:
	v_cmp_ne_u16_e32 vcc_lo, 0, v3
	s_and_not1_b32 s50, s50, exec_lo
	s_and_b32 s51, vcc_lo, exec_lo
	s_delay_alu instid0(SALU_CYCLE_1)
	s_or_b32 s50, s50, s51
	s_or_b32 exec_lo, exec_lo, s31
	v_mov_b32_e32 v6, 0
	s_and_saveexec_b32 s31, s50
	s_cbranch_execnz .LBB119_819
	s_branch .LBB119_820
.LBB119_835:
	s_mov_b32 s31, -1
                                        ; implicit-def: $vgpr6
	s_branch .LBB119_840
.LBB119_836:
	s_mov_b32 s31, -1
                                        ; implicit-def: $vgpr6
.LBB119_837:
	s_delay_alu instid0(SALU_CYCLE_1)
	s_and_b32 vcc_lo, exec_lo, s31
	s_cbranch_vccz .LBB119_839
; %bb.838:
	global_load_u8 v3, v[4:5], off
	s_wait_loadcnt 0x0
	v_lshlrev_b32_e32 v3, 24, v3
	s_wait_xcnt 0x1
	s_delay_alu instid0(VALU_DEP_1) | instskip(NEXT) | instid1(VALU_DEP_1)
	v_and_b32_e32 v6, 0x7f000000, v3
	v_clz_i32_u32_e32 v7, v6
	v_add_nc_u32_e32 v10, 0x1000000, v6
	v_cmp_ne_u32_e32 vcc_lo, 0, v6
	s_delay_alu instid0(VALU_DEP_3) | instskip(NEXT) | instid1(VALU_DEP_1)
	v_min_u32_e32 v7, 32, v7
	v_sub_nc_u32_e64 v7, v7, 4 clamp
	s_delay_alu instid0(VALU_DEP_1) | instskip(NEXT) | instid1(VALU_DEP_1)
	v_dual_lshlrev_b32 v9, v7, v6 :: v_dual_lshlrev_b32 v7, 23, v7
	v_lshrrev_b32_e32 v9, 4, v9
	s_delay_alu instid0(VALU_DEP_1) | instskip(NEXT) | instid1(VALU_DEP_1)
	v_dual_sub_nc_u32 v7, v9, v7 :: v_dual_ashrrev_i32 v9, 8, v10
	v_add_nc_u32_e32 v7, 0x3c000000, v7
	s_delay_alu instid0(VALU_DEP_1) | instskip(NEXT) | instid1(VALU_DEP_1)
	v_and_or_b32 v7, 0x7f800000, v9, v7
	v_cndmask_b32_e32 v6, 0, v7, vcc_lo
	s_delay_alu instid0(VALU_DEP_1) | instskip(NEXT) | instid1(VALU_DEP_1)
	v_and_or_b32 v3, 0x80000000, v3, v6
	v_cvt_i32_f32_e32 v6, v3
.LBB119_839:
	s_mov_b32 s31, 0
.LBB119_840:
	s_delay_alu instid0(SALU_CYCLE_1)
	s_and_not1_b32 vcc_lo, exec_lo, s31
	s_cbranch_vccnz .LBB119_842
; %bb.841:
	global_load_u8 v3, v[4:5], off
	s_wait_loadcnt 0x0
	s_wait_xcnt 0x1
	v_lshlrev_b32_e32 v6, 25, v3
	v_lshlrev_b16 v3, 8, v3
	s_delay_alu instid0(VALU_DEP_1) | instskip(SKIP_1) | instid1(VALU_DEP_2)
	v_and_or_b32 v9, 0x7f00, v3, 0.5
	v_bfe_i32 v3, v3, 0, 16
	v_dual_add_f32 v9, -0.5, v9 :: v_dual_lshrrev_b32 v7, 4, v6
	v_cmp_gt_u32_e32 vcc_lo, 0x8000000, v6
	s_delay_alu instid0(VALU_DEP_2) | instskip(NEXT) | instid1(VALU_DEP_1)
	v_or_b32_e32 v7, 0x70000000, v7
	v_mul_f32_e32 v7, 0x7800000, v7
	s_delay_alu instid0(VALU_DEP_1) | instskip(NEXT) | instid1(VALU_DEP_1)
	v_cndmask_b32_e32 v6, v7, v9, vcc_lo
	v_and_or_b32 v3, 0x80000000, v3, v6
	s_delay_alu instid0(VALU_DEP_1)
	v_cvt_i32_f32_e32 v6, v3
.LBB119_842:
	s_mov_b32 s50, 0
	s_mov_b32 s31, -1
.LBB119_843:
	s_and_not1_b32 vcc_lo, exec_lo, s50
	s_cbranch_vccnz .LBB119_856
; %bb.844:
	s_cmp_gt_i32 s0, 14
	s_cbranch_scc0 .LBB119_847
; %bb.845:
	s_cmp_eq_u32 s0, 15
	s_cbranch_scc0 .LBB119_850
; %bb.846:
	global_load_u16 v3, v[4:5], off
	s_mov_b32 s31, -1
	s_mov_b32 s30, 0
	s_wait_loadcnt 0x0
	v_lshlrev_b32_e32 v3, 16, v3
	s_wait_xcnt 0x1
	s_delay_alu instid0(VALU_DEP_1)
	v_cvt_i32_f32_e32 v6, v3
	s_branch .LBB119_851
.LBB119_847:
	s_mov_b32 s50, -1
                                        ; implicit-def: $vgpr6
	s_branch .LBB119_852
.LBB119_848:
	s_and_not1_saveexec_b32 s31, s31
	s_cbranch_execz .LBB119_829
.LBB119_849:
	v_cmp_ne_u16_e32 vcc_lo, 0, v3
	s_and_not1_b32 s50, s50, exec_lo
	s_and_b32 s51, vcc_lo, exec_lo
	s_delay_alu instid0(SALU_CYCLE_1)
	s_or_b32 s50, s50, s51
	s_or_b32 exec_lo, exec_lo, s31
	v_mov_b32_e32 v6, 0
	s_and_saveexec_b32 s31, s50
	s_cbranch_execnz .LBB119_830
	s_branch .LBB119_831
.LBB119_850:
	s_mov_b32 s30, -1
                                        ; implicit-def: $vgpr6
.LBB119_851:
	s_mov_b32 s50, 0
.LBB119_852:
	s_delay_alu instid0(SALU_CYCLE_1)
	s_and_b32 vcc_lo, exec_lo, s50
	s_cbranch_vccz .LBB119_856
; %bb.853:
	s_cmp_eq_u32 s0, 11
	s_cbranch_scc0 .LBB119_855
; %bb.854:
	global_load_u8 v3, v[4:5], off
	s_mov_b32 s30, 0
	s_mov_b32 s31, -1
	s_wait_loadcnt 0x0
	v_cmp_ne_u16_e32 vcc_lo, 0, v3
	s_wait_xcnt 0x1
	v_cndmask_b32_e64 v6, 0, 1, vcc_lo
	s_branch .LBB119_856
.LBB119_855:
	s_mov_b32 s30, -1
                                        ; implicit-def: $vgpr6
.LBB119_856:
	s_mov_b32 s50, 0
.LBB119_857:
	s_delay_alu instid0(SALU_CYCLE_1)
	s_and_b32 vcc_lo, exec_lo, s50
	s_cbranch_vccz .LBB119_906
; %bb.858:
	s_cmp_lt_i32 s0, 5
	s_cbranch_scc1 .LBB119_863
; %bb.859:
	s_cmp_lt_i32 s0, 8
	s_cbranch_scc1 .LBB119_864
	;; [unrolled: 3-line block ×3, first 2 shown]
; %bb.861:
	s_cmp_gt_i32 s0, 9
	s_cbranch_scc0 .LBB119_866
; %bb.862:
	s_wait_loadcnt 0x0
	global_load_b64 v[6:7], v[4:5], off
	s_mov_b32 s31, 0
	s_wait_loadcnt 0x0
	v_cvt_i32_f64_e32 v6, v[6:7]
	s_branch .LBB119_867
.LBB119_863:
	s_mov_b32 s31, -1
                                        ; implicit-def: $vgpr6
	s_branch .LBB119_885
.LBB119_864:
	s_mov_b32 s31, -1
                                        ; implicit-def: $vgpr6
	s_branch .LBB119_873
.LBB119_865:
	s_mov_b32 s31, -1
                                        ; implicit-def: $vgpr6
	s_branch .LBB119_870
.LBB119_866:
	s_mov_b32 s31, -1
                                        ; implicit-def: $vgpr6
.LBB119_867:
	s_delay_alu instid0(SALU_CYCLE_1)
	s_and_not1_b32 vcc_lo, exec_lo, s31
	s_cbranch_vccnz .LBB119_869
; %bb.868:
	global_load_b32 v3, v[4:5], off
	s_wait_loadcnt 0x0
	s_wait_xcnt 0x1
	v_cvt_i32_f32_e32 v6, v3
.LBB119_869:
	s_mov_b32 s31, 0
.LBB119_870:
	s_delay_alu instid0(SALU_CYCLE_1)
	s_and_not1_b32 vcc_lo, exec_lo, s31
	s_cbranch_vccnz .LBB119_872
; %bb.871:
	global_load_b32 v3, v[4:5], off
	s_wait_loadcnt 0x0
	v_cvt_f32_f16_e32 v3, v3
	s_wait_xcnt 0x1
	s_delay_alu instid0(VALU_DEP_1)
	v_cvt_i32_f32_e32 v6, v3
.LBB119_872:
	s_mov_b32 s31, 0
.LBB119_873:
	s_delay_alu instid0(SALU_CYCLE_1)
	s_and_not1_b32 vcc_lo, exec_lo, s31
	s_cbranch_vccnz .LBB119_884
; %bb.874:
	s_cmp_lt_i32 s0, 6
	s_cbranch_scc1 .LBB119_877
; %bb.875:
	s_cmp_gt_i32 s0, 6
	s_cbranch_scc0 .LBB119_878
; %bb.876:
	s_wait_loadcnt 0x0
	global_load_b64 v[6:7], v[4:5], off
	s_mov_b32 s31, 0
	s_wait_loadcnt 0x0
	v_cvt_i32_f64_e32 v6, v[6:7]
	s_branch .LBB119_879
.LBB119_877:
	s_mov_b32 s31, -1
                                        ; implicit-def: $vgpr6
	s_branch .LBB119_882
.LBB119_878:
	s_mov_b32 s31, -1
                                        ; implicit-def: $vgpr6
.LBB119_879:
	s_delay_alu instid0(SALU_CYCLE_1)
	s_and_not1_b32 vcc_lo, exec_lo, s31
	s_cbranch_vccnz .LBB119_881
; %bb.880:
	global_load_b32 v3, v[4:5], off
	s_wait_loadcnt 0x0
	s_wait_xcnt 0x1
	v_cvt_i32_f32_e32 v6, v3
.LBB119_881:
	s_mov_b32 s31, 0
.LBB119_882:
	s_delay_alu instid0(SALU_CYCLE_1)
	s_and_not1_b32 vcc_lo, exec_lo, s31
	s_cbranch_vccnz .LBB119_884
; %bb.883:
	global_load_u16 v3, v[4:5], off
	s_wait_loadcnt 0x0
	v_cvt_f32_f16_e32 v3, v3
	s_wait_xcnt 0x1
	s_delay_alu instid0(VALU_DEP_1)
	v_cvt_i32_f32_e32 v6, v3
.LBB119_884:
	s_mov_b32 s31, 0
.LBB119_885:
	s_delay_alu instid0(SALU_CYCLE_1)
	s_and_not1_b32 vcc_lo, exec_lo, s31
	s_cbranch_vccnz .LBB119_905
; %bb.886:
	s_cmp_lt_i32 s0, 2
	s_cbranch_scc1 .LBB119_890
; %bb.887:
	s_cmp_lt_i32 s0, 3
	s_cbranch_scc1 .LBB119_891
; %bb.888:
	s_cmp_gt_i32 s0, 3
	s_cbranch_scc0 .LBB119_892
; %bb.889:
	s_wait_loadcnt 0x0
	global_load_b32 v6, v[4:5], off
	s_mov_b32 s31, 0
	s_branch .LBB119_893
.LBB119_890:
	s_mov_b32 s31, -1
                                        ; implicit-def: $vgpr6
	s_branch .LBB119_899
.LBB119_891:
	s_mov_b32 s31, -1
                                        ; implicit-def: $vgpr6
	s_branch .LBB119_896
.LBB119_892:
	s_mov_b32 s31, -1
                                        ; implicit-def: $vgpr6
.LBB119_893:
	s_delay_alu instid0(SALU_CYCLE_1)
	s_and_not1_b32 vcc_lo, exec_lo, s31
	s_cbranch_vccnz .LBB119_895
; %bb.894:
	s_wait_loadcnt 0x0
	global_load_b32 v6, v[4:5], off
.LBB119_895:
	s_mov_b32 s31, 0
.LBB119_896:
	s_delay_alu instid0(SALU_CYCLE_1)
	s_and_not1_b32 vcc_lo, exec_lo, s31
	s_cbranch_vccnz .LBB119_898
; %bb.897:
	s_wait_loadcnt 0x0
	global_load_i16 v6, v[4:5], off
.LBB119_898:
	s_mov_b32 s31, 0
.LBB119_899:
	s_delay_alu instid0(SALU_CYCLE_1)
	s_and_not1_b32 vcc_lo, exec_lo, s31
	s_cbranch_vccnz .LBB119_905
; %bb.900:
	s_cmp_gt_i32 s0, 0
	s_mov_b32 s0, 0
	s_cbranch_scc0 .LBB119_902
; %bb.901:
	s_wait_loadcnt 0x0
	global_load_i8 v6, v[4:5], off
	s_branch .LBB119_903
.LBB119_902:
	s_mov_b32 s0, -1
                                        ; implicit-def: $vgpr6
.LBB119_903:
	s_delay_alu instid0(SALU_CYCLE_1)
	s_and_not1_b32 vcc_lo, exec_lo, s0
	s_cbranch_vccnz .LBB119_905
; %bb.904:
	s_wait_loadcnt 0x0
	global_load_u8 v6, v[4:5], off
.LBB119_905:
	s_mov_b32 s31, -1
.LBB119_906:
	s_delay_alu instid0(SALU_CYCLE_1)
	s_and_not1_b32 vcc_lo, exec_lo, s31
	s_cbranch_vccnz .LBB119_914
; %bb.907:
	v_mov_b32_e32 v3, 0
	s_wait_loadcnt 0x0
	s_delay_alu instid0(VALU_DEP_2) | instskip(SKIP_1) | instid1(SALU_CYCLE_1)
	v_maxmin_i32 v4, v1, v8, v6
	s_and_b32 s31, s38, 0xff
	s_cmp_lt_i32 s31, 11
	v_add_nc_u64_e32 v[2:3], s[4:5], v[2:3]
	s_cbranch_scc1 .LBB119_915
; %bb.908:
	s_and_b32 s50, 0xffff, s31
	s_delay_alu instid0(SALU_CYCLE_1)
	s_cmp_gt_i32 s50, 25
	s_cbranch_scc0 .LBB119_916
; %bb.909:
	s_cmp_gt_i32 s50, 28
	s_cbranch_scc0 .LBB119_917
; %bb.910:
	;; [unrolled: 3-line block ×4, first 2 shown]
	s_mov_b32 s52, 0
	s_mov_b32 s0, -1
	s_cmp_eq_u32 s50, 46
	s_mov_b32 s51, 0
	s_cbranch_scc0 .LBB119_920
; %bb.913:
	v_cvt_f32_i32_e32 v1, v4
	s_mov_b32 s51, -1
	s_mov_b32 s0, 0
	s_delay_alu instid0(VALU_DEP_1) | instskip(NEXT) | instid1(VALU_DEP_1)
	v_bfe_u32 v5, v1, 16, 1
	v_add3_u32 v1, v1, v5, 0x7fff
	s_delay_alu instid0(VALU_DEP_1)
	v_lshrrev_b32_e32 v1, 16, v1
	global_store_b32 v[2:3], v1, off
	s_branch .LBB119_920
.LBB119_914:
	s_mov_b32 s31, 0
	s_mov_b32 s0, s42
	s_branch .LBB119_1031
.LBB119_915:
	s_mov_b32 s50, -1
	s_mov_b32 s51, 0
	s_mov_b32 s0, s42
	s_branch .LBB119_989
.LBB119_916:
	s_mov_b32 s52, -1
	s_mov_b32 s51, 0
	s_mov_b32 s0, s42
	s_branch .LBB119_947
.LBB119_917:
	s_mov_b32 s52, -1
	s_mov_b32 s51, 0
	s_mov_b32 s0, s42
	s_branch .LBB119_930
.LBB119_918:
	s_mov_b32 s52, -1
	s_mov_b32 s51, 0
	s_mov_b32 s0, s42
	s_branch .LBB119_926
.LBB119_919:
	s_mov_b32 s52, -1
	s_mov_b32 s51, 0
	s_mov_b32 s0, s42
.LBB119_920:
	s_and_b32 vcc_lo, exec_lo, s52
	s_cbranch_vccz .LBB119_925
; %bb.921:
	s_cmp_eq_u32 s50, 44
	s_mov_b32 s0, -1
	s_cbranch_scc0 .LBB119_925
; %bb.922:
	s_wait_xcnt 0x0
	v_cvt_f32_i32_e32 v1, v4
	v_mov_b32_e32 v5, 0xff
	s_mov_b32 s51, exec_lo
	s_delay_alu instid0(VALU_DEP_2) | instskip(NEXT) | instid1(VALU_DEP_1)
	v_bfe_u32 v6, v1, 23, 8
	v_cmpx_ne_u32_e32 0xff, v6
	s_cbranch_execz .LBB119_924
; %bb.923:
	v_and_b32_e32 v5, 0x400000, v1
	v_and_or_b32 v6, 0x3fffff, v1, v6
	v_lshrrev_b32_e32 v1, 23, v1
	s_delay_alu instid0(VALU_DEP_3) | instskip(NEXT) | instid1(VALU_DEP_3)
	v_cmp_ne_u32_e32 vcc_lo, 0, v5
	v_cmp_ne_u32_e64 s0, 0, v6
	s_and_b32 s0, vcc_lo, s0
	s_delay_alu instid0(SALU_CYCLE_1) | instskip(NEXT) | instid1(VALU_DEP_1)
	v_cndmask_b32_e64 v5, 0, 1, s0
	v_add_nc_u32_e32 v5, v1, v5
.LBB119_924:
	s_or_b32 exec_lo, exec_lo, s51
	s_mov_b32 s51, -1
	s_mov_b32 s0, 0
	global_store_b8 v[2:3], v5, off
.LBB119_925:
	s_mov_b32 s52, 0
.LBB119_926:
	s_delay_alu instid0(SALU_CYCLE_1)
	s_and_b32 vcc_lo, exec_lo, s52
	s_cbranch_vccz .LBB119_929
; %bb.927:
	s_cmp_eq_u32 s50, 29
	s_mov_b32 s0, -1
	s_cbranch_scc0 .LBB119_929
; %bb.928:
	s_wait_xcnt 0x0
	v_ashrrev_i32_e32 v5, 31, v4
	s_mov_b32 s51, -1
	s_mov_b32 s0, 0
	s_mov_b32 s52, 0
	global_store_b64 v[2:3], v[4:5], off
	s_branch .LBB119_930
.LBB119_929:
	s_mov_b32 s52, 0
.LBB119_930:
	s_delay_alu instid0(SALU_CYCLE_1)
	s_and_b32 vcc_lo, exec_lo, s52
	s_cbranch_vccz .LBB119_946
; %bb.931:
	s_cmp_lt_i32 s50, 27
	s_mov_b32 s51, -1
	s_cbranch_scc1 .LBB119_937
; %bb.932:
	s_cmp_gt_i32 s50, 27
	s_cbranch_scc0 .LBB119_934
; %bb.933:
	s_mov_b32 s51, 0
	global_store_b32 v[2:3], v4, off
.LBB119_934:
	s_and_not1_b32 vcc_lo, exec_lo, s51
	s_cbranch_vccnz .LBB119_936
; %bb.935:
	global_store_b16 v[2:3], v4, off
.LBB119_936:
	s_mov_b32 s51, 0
.LBB119_937:
	s_delay_alu instid0(SALU_CYCLE_1)
	s_and_not1_b32 vcc_lo, exec_lo, s51
	s_cbranch_vccnz .LBB119_945
; %bb.938:
	s_wait_xcnt 0x0
	v_cvt_f32_i32_e32 v1, v4
	v_mov_b32_e32 v6, 0x80
	s_mov_b32 s51, exec_lo
	s_delay_alu instid0(VALU_DEP_2) | instskip(NEXT) | instid1(VALU_DEP_1)
	v_and_b32_e32 v5, 0x7fffffff, v1
	v_cmpx_gt_u32_e32 0x43800000, v5
	s_cbranch_execz .LBB119_944
; %bb.939:
	v_cmp_lt_u32_e32 vcc_lo, 0x3bffffff, v5
	s_mov_b32 s52, 0
                                        ; implicit-def: $vgpr5
	s_and_saveexec_b32 s53, vcc_lo
	s_delay_alu instid0(SALU_CYCLE_1)
	s_xor_b32 s53, exec_lo, s53
	s_cbranch_execz .LBB119_1185
; %bb.940:
	v_bfe_u32 v5, v1, 20, 1
	s_mov_b32 s52, exec_lo
	s_delay_alu instid0(VALU_DEP_1) | instskip(NEXT) | instid1(VALU_DEP_1)
	v_add3_u32 v5, v1, v5, 0x487ffff
	v_lshrrev_b32_e32 v5, 20, v5
	s_and_not1_saveexec_b32 s53, s53
	s_cbranch_execnz .LBB119_1186
.LBB119_941:
	s_or_b32 exec_lo, exec_lo, s53
	v_mov_b32_e32 v6, 0
	s_and_saveexec_b32 s53, s52
.LBB119_942:
	v_lshrrev_b32_e32 v1, 24, v1
	s_delay_alu instid0(VALU_DEP_1)
	v_and_or_b32 v6, 0x80, v1, v5
.LBB119_943:
	s_or_b32 exec_lo, exec_lo, s53
.LBB119_944:
	s_delay_alu instid0(SALU_CYCLE_1)
	s_or_b32 exec_lo, exec_lo, s51
	global_store_b8 v[2:3], v6, off
.LBB119_945:
	s_mov_b32 s51, -1
.LBB119_946:
	s_mov_b32 s52, 0
.LBB119_947:
	s_delay_alu instid0(SALU_CYCLE_1)
	s_and_b32 vcc_lo, exec_lo, s52
	s_cbranch_vccz .LBB119_988
; %bb.948:
	s_cmp_gt_i32 s50, 22
	s_mov_b32 s52, -1
	s_cbranch_scc0 .LBB119_980
; %bb.949:
	s_cmp_lt_i32 s50, 24
	s_mov_b32 s51, -1
	s_cbranch_scc1 .LBB119_969
; %bb.950:
	s_cmp_gt_i32 s50, 24
	s_cbranch_scc0 .LBB119_958
; %bb.951:
	s_wait_xcnt 0x0
	v_cvt_f32_i32_e32 v1, v4
	v_mov_b32_e32 v6, 0x80
	s_mov_b32 s51, exec_lo
	s_delay_alu instid0(VALU_DEP_2) | instskip(NEXT) | instid1(VALU_DEP_1)
	v_and_b32_e32 v5, 0x7fffffff, v1
	v_cmpx_gt_u32_e32 0x47800000, v5
	s_cbranch_execz .LBB119_957
; %bb.952:
	v_cmp_lt_u32_e32 vcc_lo, 0x37ffffff, v5
	s_mov_b32 s52, 0
                                        ; implicit-def: $vgpr5
	s_and_saveexec_b32 s53, vcc_lo
	s_delay_alu instid0(SALU_CYCLE_1)
	s_xor_b32 s53, exec_lo, s53
	s_cbranch_execz .LBB119_1313
; %bb.953:
	v_bfe_u32 v5, v1, 21, 1
	s_mov_b32 s52, exec_lo
	s_delay_alu instid0(VALU_DEP_1) | instskip(NEXT) | instid1(VALU_DEP_1)
	v_add3_u32 v5, v1, v5, 0x88fffff
	v_lshrrev_b32_e32 v5, 21, v5
	s_and_not1_saveexec_b32 s53, s53
	s_cbranch_execnz .LBB119_1314
.LBB119_954:
	s_or_b32 exec_lo, exec_lo, s53
	v_mov_b32_e32 v6, 0
	s_and_saveexec_b32 s53, s52
.LBB119_955:
	v_lshrrev_b32_e32 v1, 24, v1
	s_delay_alu instid0(VALU_DEP_1)
	v_and_or_b32 v6, 0x80, v1, v5
.LBB119_956:
	s_or_b32 exec_lo, exec_lo, s53
.LBB119_957:
	s_delay_alu instid0(SALU_CYCLE_1)
	s_or_b32 exec_lo, exec_lo, s51
	s_mov_b32 s51, 0
	global_store_b8 v[2:3], v6, off
.LBB119_958:
	s_and_b32 vcc_lo, exec_lo, s51
	s_cbranch_vccz .LBB119_968
; %bb.959:
	s_wait_xcnt 0x0
	v_cvt_f32_i32_e32 v1, v4
	s_mov_b32 s51, exec_lo
                                        ; implicit-def: $vgpr5
	s_delay_alu instid0(VALU_DEP_1) | instskip(NEXT) | instid1(VALU_DEP_1)
	v_and_b32_e32 v6, 0x7fffffff, v1
	v_cmpx_gt_u32_e32 0x43f00000, v6
	s_xor_b32 s51, exec_lo, s51
	s_cbranch_execz .LBB119_965
; %bb.960:
	s_mov_b32 s52, exec_lo
                                        ; implicit-def: $vgpr5
	v_cmpx_lt_u32_e32 0x3c7fffff, v6
	s_xor_b32 s52, exec_lo, s52
; %bb.961:
	v_bfe_u32 v5, v1, 20, 1
	s_delay_alu instid0(VALU_DEP_1) | instskip(NEXT) | instid1(VALU_DEP_1)
	v_add3_u32 v5, v1, v5, 0x407ffff
	v_and_b32_e32 v6, 0xff00000, v5
	v_lshrrev_b32_e32 v5, 20, v5
	s_delay_alu instid0(VALU_DEP_2) | instskip(NEXT) | instid1(VALU_DEP_2)
	v_cmp_ne_u32_e32 vcc_lo, 0x7f00000, v6
	v_cndmask_b32_e32 v5, 0x7e, v5, vcc_lo
; %bb.962:
	s_and_not1_saveexec_b32 s52, s52
; %bb.963:
	v_add_f32_e64 v5, 0x46800000, |v1|
; %bb.964:
	s_or_b32 exec_lo, exec_lo, s52
                                        ; implicit-def: $vgpr6
.LBB119_965:
	s_and_not1_saveexec_b32 s51, s51
; %bb.966:
	v_mov_b32_e32 v5, 0x7f
	v_cmp_lt_u32_e32 vcc_lo, 0x7f800000, v6
	s_delay_alu instid0(VALU_DEP_2)
	v_cndmask_b32_e32 v5, 0x7e, v5, vcc_lo
; %bb.967:
	s_or_b32 exec_lo, exec_lo, s51
	v_lshrrev_b32_e32 v1, 24, v1
	s_delay_alu instid0(VALU_DEP_1)
	v_and_or_b32 v1, 0x80, v1, v5
	global_store_b8 v[2:3], v1, off
.LBB119_968:
	s_mov_b32 s51, 0
.LBB119_969:
	s_delay_alu instid0(SALU_CYCLE_1)
	s_and_not1_b32 vcc_lo, exec_lo, s51
	s_cbranch_vccnz .LBB119_979
; %bb.970:
	s_wait_xcnt 0x0
	v_cvt_f32_i32_e32 v1, v4
	s_mov_b32 s51, exec_lo
                                        ; implicit-def: $vgpr5
	s_delay_alu instid0(VALU_DEP_1) | instskip(NEXT) | instid1(VALU_DEP_1)
	v_and_b32_e32 v6, 0x7fffffff, v1
	v_cmpx_gt_u32_e32 0x47800000, v6
	s_xor_b32 s51, exec_lo, s51
	s_cbranch_execz .LBB119_976
; %bb.971:
	s_mov_b32 s52, exec_lo
                                        ; implicit-def: $vgpr5
	v_cmpx_lt_u32_e32 0x387fffff, v6
	s_xor_b32 s52, exec_lo, s52
; %bb.972:
	v_bfe_u32 v5, v1, 21, 1
	s_delay_alu instid0(VALU_DEP_1) | instskip(NEXT) | instid1(VALU_DEP_1)
	v_add3_u32 v5, v1, v5, 0x80fffff
	v_lshrrev_b32_e32 v5, 21, v5
; %bb.973:
	s_and_not1_saveexec_b32 s52, s52
; %bb.974:
	v_add_f32_e64 v5, 0x43000000, |v1|
; %bb.975:
	s_or_b32 exec_lo, exec_lo, s52
                                        ; implicit-def: $vgpr6
.LBB119_976:
	s_and_not1_saveexec_b32 s51, s51
; %bb.977:
	v_mov_b32_e32 v5, 0x7f
	v_cmp_lt_u32_e32 vcc_lo, 0x7f800000, v6
	s_delay_alu instid0(VALU_DEP_2)
	v_cndmask_b32_e32 v5, 0x7c, v5, vcc_lo
; %bb.978:
	s_or_b32 exec_lo, exec_lo, s51
	v_lshrrev_b32_e32 v1, 24, v1
	s_delay_alu instid0(VALU_DEP_1)
	v_and_or_b32 v1, 0x80, v1, v5
	global_store_b8 v[2:3], v1, off
.LBB119_979:
	s_mov_b32 s52, 0
	s_mov_b32 s51, -1
.LBB119_980:
	s_and_not1_b32 vcc_lo, exec_lo, s52
	s_cbranch_vccnz .LBB119_988
; %bb.981:
	s_cmp_gt_i32 s50, 14
	s_mov_b32 s52, -1
	s_cbranch_scc0 .LBB119_985
; %bb.982:
	s_cmp_eq_u32 s50, 15
	s_mov_b32 s0, -1
	s_cbranch_scc0 .LBB119_984
; %bb.983:
	s_wait_xcnt 0x0
	v_cvt_f32_i32_e32 v1, v4
	s_mov_b32 s51, -1
	s_mov_b32 s0, 0
	s_delay_alu instid0(VALU_DEP_1) | instskip(NEXT) | instid1(VALU_DEP_1)
	v_bfe_u32 v5, v1, 16, 1
	v_add3_u32 v1, v1, v5, 0x7fff
	global_store_d16_hi_b16 v[2:3], v1, off
.LBB119_984:
	s_mov_b32 s52, 0
.LBB119_985:
	s_delay_alu instid0(SALU_CYCLE_1)
	s_and_b32 vcc_lo, exec_lo, s52
	s_cbranch_vccz .LBB119_988
; %bb.986:
	s_cmp_eq_u32 s50, 11
	s_mov_b32 s0, -1
	s_cbranch_scc0 .LBB119_988
; %bb.987:
	v_cmp_ne_u32_e32 vcc_lo, 0, v4
	s_mov_b32 s0, 0
	s_mov_b32 s51, -1
	s_wait_xcnt 0x0
	v_cndmask_b32_e64 v1, 0, 1, vcc_lo
	global_store_b8 v[2:3], v1, off
.LBB119_988:
	s_mov_b32 s50, 0
.LBB119_989:
	s_delay_alu instid0(SALU_CYCLE_1)
	s_and_b32 vcc_lo, exec_lo, s50
	s_cbranch_vccz .LBB119_1028
; %bb.990:
	s_and_b32 s31, 0xffff, s31
	s_mov_b32 s50, -1
	s_cmp_lt_i32 s31, 5
	s_cbranch_scc1 .LBB119_1011
; %bb.991:
	s_cmp_lt_i32 s31, 8
	s_cbranch_scc1 .LBB119_1001
; %bb.992:
	;; [unrolled: 3-line block ×3, first 2 shown]
	s_cmp_gt_i32 s31, 9
	s_cbranch_scc0 .LBB119_995
; %bb.994:
	s_wait_xcnt 0x0
	v_cvt_f64_i32_e32 v[6:7], v4
	v_mov_b32_e32 v8, 0
	s_mov_b32 s50, 0
	s_delay_alu instid0(VALU_DEP_1)
	v_mov_b32_e32 v9, v8
	global_store_b128 v[2:3], v[6:9], off
.LBB119_995:
	s_and_not1_b32 vcc_lo, exec_lo, s50
	s_cbranch_vccnz .LBB119_997
; %bb.996:
	s_wait_xcnt 0x0
	v_cvt_f32_i32_e32 v6, v4
	v_mov_b32_e32 v7, 0
	global_store_b64 v[2:3], v[6:7], off
.LBB119_997:
	s_mov_b32 s50, 0
.LBB119_998:
	s_delay_alu instid0(SALU_CYCLE_1)
	s_and_not1_b32 vcc_lo, exec_lo, s50
	s_cbranch_vccnz .LBB119_1000
; %bb.999:
	s_wait_xcnt 0x0
	v_cvt_f32_i32_e32 v1, v4
	s_delay_alu instid0(VALU_DEP_1) | instskip(NEXT) | instid1(VALU_DEP_1)
	v_cvt_f16_f32_e32 v1, v1
	v_and_b32_e32 v1, 0xffff, v1
	global_store_b32 v[2:3], v1, off
.LBB119_1000:
	s_mov_b32 s50, 0
.LBB119_1001:
	s_delay_alu instid0(SALU_CYCLE_1)
	s_and_not1_b32 vcc_lo, exec_lo, s50
	s_cbranch_vccnz .LBB119_1010
; %bb.1002:
	s_cmp_lt_i32 s31, 6
	s_mov_b32 s50, -1
	s_cbranch_scc1 .LBB119_1008
; %bb.1003:
	s_cmp_gt_i32 s31, 6
	s_cbranch_scc0 .LBB119_1005
; %bb.1004:
	s_wait_xcnt 0x0
	v_cvt_f64_i32_e32 v[6:7], v4
	s_mov_b32 s50, 0
	global_store_b64 v[2:3], v[6:7], off
.LBB119_1005:
	s_and_not1_b32 vcc_lo, exec_lo, s50
	s_cbranch_vccnz .LBB119_1007
; %bb.1006:
	s_wait_xcnt 0x0
	v_cvt_f32_i32_e32 v1, v4
	global_store_b32 v[2:3], v1, off
.LBB119_1007:
	s_mov_b32 s50, 0
.LBB119_1008:
	s_delay_alu instid0(SALU_CYCLE_1)
	s_and_not1_b32 vcc_lo, exec_lo, s50
	s_cbranch_vccnz .LBB119_1010
; %bb.1009:
	s_wait_xcnt 0x0
	v_cvt_f32_i32_e32 v1, v4
	s_delay_alu instid0(VALU_DEP_1)
	v_cvt_f16_f32_e32 v1, v1
	global_store_b16 v[2:3], v1, off
.LBB119_1010:
	s_mov_b32 s50, 0
.LBB119_1011:
	s_delay_alu instid0(SALU_CYCLE_1)
	s_and_not1_b32 vcc_lo, exec_lo, s50
	s_cbranch_vccnz .LBB119_1027
; %bb.1012:
	s_cmp_lt_i32 s31, 2
	s_mov_b32 s50, -1
	s_cbranch_scc1 .LBB119_1022
; %bb.1013:
	s_cmp_lt_i32 s31, 3
	s_cbranch_scc1 .LBB119_1019
; %bb.1014:
	s_cmp_gt_i32 s31, 3
	s_cbranch_scc0 .LBB119_1016
; %bb.1015:
	s_wait_xcnt 0x0
	v_ashrrev_i32_e32 v5, 31, v4
	s_mov_b32 s50, 0
	global_store_b64 v[2:3], v[4:5], off
.LBB119_1016:
	s_and_not1_b32 vcc_lo, exec_lo, s50
	s_cbranch_vccnz .LBB119_1018
; %bb.1017:
	global_store_b32 v[2:3], v4, off
.LBB119_1018:
	s_mov_b32 s50, 0
.LBB119_1019:
	s_delay_alu instid0(SALU_CYCLE_1)
	s_and_not1_b32 vcc_lo, exec_lo, s50
	s_cbranch_vccnz .LBB119_1021
; %bb.1020:
	global_store_b16 v[2:3], v4, off
.LBB119_1021:
	s_mov_b32 s50, 0
.LBB119_1022:
	s_delay_alu instid0(SALU_CYCLE_1)
	s_and_not1_b32 vcc_lo, exec_lo, s50
	s_cbranch_vccnz .LBB119_1027
; %bb.1023:
	s_cmp_gt_i32 s31, 0
	s_mov_b32 s31, -1
	s_cbranch_scc0 .LBB119_1025
; %bb.1024:
	s_mov_b32 s31, 0
	global_store_b8 v[2:3], v4, off
.LBB119_1025:
	s_and_not1_b32 vcc_lo, exec_lo, s31
	s_cbranch_vccnz .LBB119_1027
; %bb.1026:
	global_store_b8 v[2:3], v4, off
.LBB119_1027:
	s_mov_b32 s51, -1
.LBB119_1028:
	s_delay_alu instid0(SALU_CYCLE_1)
	s_and_not1_b32 vcc_lo, exec_lo, s51
	s_cbranch_vccnz .LBB119_1030
; %bb.1029:
	v_add_nc_u32_e32 v0, 0x80, v0
	s_mov_b32 s31, -1
	s_branch .LBB119_1032
.LBB119_1030:
	s_mov_b32 s31, 0
.LBB119_1031:
                                        ; implicit-def: $vgpr0
.LBB119_1032:
	s_and_not1_b32 s50, s42, exec_lo
	s_and_b32 s0, s0, exec_lo
	s_and_not1_b32 s52, s46, exec_lo
	s_and_b32 s30, s30, exec_lo
	s_or_b32 s51, s50, s0
	s_or_b32 s52, s52, s30
	s_and_not1_b32 s0, s47, exec_lo
	s_and_b32 s29, s29, exec_lo
	s_and_not1_b32 s30, s48, exec_lo
	s_and_b32 s28, s28, exec_lo
	s_or_b32 s53, s0, s29
	s_or_b32 s50, s30, s28
	s_or_not1_b32 s31, s31, exec_lo
.LBB119_1033:
	s_wait_xcnt 0x0
	s_or_b32 exec_lo, exec_lo, s54
	s_mov_b32 s29, 0
	s_mov_b32 s30, 0
	;; [unrolled: 1-line block ×3, first 2 shown]
                                        ; implicit-def: $sgpr0
                                        ; implicit-def: $vgpr8_vgpr9
                                        ; implicit-def: $vgpr2
                                        ; implicit-def: $vgpr4
                                        ; implicit-def: $vgpr6
                                        ; implicit-def: $vgpr10
	s_and_saveexec_b32 s54, s31
	s_cbranch_execz .LBB119_1644
; %bb.1034:
	s_mov_b32 s31, -1
	s_mov_b32 s56, s50
	s_mov_b32 s58, s53
	s_mov_b32 s57, s52
	s_mov_b32 s59, s51
	s_mov_b32 s55, exec_lo
	v_cmpx_gt_i32_e64 s44, v0
	s_cbranch_execz .LBB119_1554
; %bb.1035:
	s_and_not1_b32 vcc_lo, exec_lo, s36
	s_cbranch_vccnz .LBB119_1041
; %bb.1036:
	s_and_not1_b32 vcc_lo, exec_lo, s45
	s_cbranch_vccnz .LBB119_1042
; %bb.1037:
	s_wait_loadcnt 0x0
	v_dual_mov_b32 v6, 0 :: v_dual_mov_b32 v1, v0
	v_dual_mov_b32 v4, 0 :: v_dual_mov_b32 v2, 0
	v_mov_b32_e32 v8, 0
	s_add_co_i32 s0, s43, 1
	s_mov_b64 s[28:29], 0xffffffffffffffe0
	s_and_b32 s0, s0, 30
	s_add_nc_u64 s[28:29], s[2:3], s[28:29]
	s_mov_b64 s[30:31], s[2:3]
.LBB119_1038:                           ; =>This Inner Loop Header: Depth=1
	s_clause 0x1
	s_load_b128 s[64:67], s[30:31], 0x4
	s_load_b64 s[68:69], s[30:31], 0x14
	s_load_b256 s[56:63], s[28:29], 0xe4
	s_add_co_i32 s0, s0, -2
	s_wait_xcnt 0x0
	s_add_nc_u64 s[30:31], s[30:31], 24
	s_cmp_eq_u32 s0, 0
	s_add_nc_u64 s[28:29], s[28:29], 32
	s_wait_kmcnt 0x0
	v_mul_hi_u32 v3, s65, v1
	s_delay_alu instid0(VALU_DEP_1) | instskip(NEXT) | instid1(VALU_DEP_1)
	v_add_nc_u32_e32 v3, v1, v3
	v_lshrrev_b32_e32 v3, s66, v3
	s_delay_alu instid0(VALU_DEP_1) | instskip(SKIP_1) | instid1(VALU_DEP_1)
	v_mul_hi_u32 v5, s68, v3
	v_mul_lo_u32 v7, v3, s64
	v_dual_add_nc_u32 v5, v3, v5 :: v_dual_sub_nc_u32 v7, v1, v7
	s_delay_alu instid0(VALU_DEP_1) | instskip(NEXT) | instid1(VALU_DEP_2)
	v_lshrrev_b32_e32 v1, s69, v5
	v_mad_u32 v8, v7, s57, v8
	v_mad_u32 v2, v7, s56, v2
	v_mad_u32 v4, v7, s59, v4
	v_mad_u32 v6, v7, s58, v6
	v_mul_lo_u32 v5, v1, s67
	s_delay_alu instid0(VALU_DEP_1) | instskip(NEXT) | instid1(VALU_DEP_1)
	v_sub_nc_u32_e32 v3, v3, v5
	v_mad_u32 v8, v3, s61, v8
	v_mad_u32 v2, v3, s60, v2
	;; [unrolled: 1-line block ×4, first 2 shown]
	s_cbranch_scc0 .LBB119_1038
; %bb.1039:
	s_bitcmp1_b32 s43, 0
	s_cselect_b32 s0, -1, 0
	s_delay_alu instid0(SALU_CYCLE_1)
	s_and_b32 vcc_lo, exec_lo, s0
	s_cbranch_vccnz .LBB119_1043
; %bb.1040:
	s_load_b96 s[60:62], s[30:31], 0x4
	s_load_b128 s[56:59], s[28:29], 0xe4
	s_wait_kmcnt 0x0
	v_mul_hi_u32 v3, s61, v1
	s_delay_alu instid0(VALU_DEP_1) | instskip(NEXT) | instid1(VALU_DEP_1)
	v_add_nc_u32_e32 v3, v1, v3
	v_lshrrev_b32_e32 v3, s62, v3
	s_delay_alu instid0(VALU_DEP_1) | instskip(NEXT) | instid1(VALU_DEP_1)
	v_mul_lo_u32 v3, v3, s60
	v_sub_nc_u32_e32 v1, v1, v3
	s_delay_alu instid0(VALU_DEP_1)
	v_mad_u32 v2, v1, s56, v2
	v_mad_u32 v8, v1, s57, v8
	;; [unrolled: 1-line block ×4, first 2 shown]
	s_branch .LBB119_1043
.LBB119_1041:
	s_mov_b32 s0, -1
                                        ; implicit-def: $vgpr8
                                        ; implicit-def: $vgpr2
                                        ; implicit-def: $vgpr4
                                        ; implicit-def: $vgpr6
	s_branch .LBB119_1044
.LBB119_1042:
	s_wait_loadcnt 0x0
	v_dual_mov_b32 v8, 0 :: v_dual_mov_b32 v2, 0
	v_dual_mov_b32 v4, 0 :: v_dual_mov_b32 v6, 0
.LBB119_1043:
	s_mov_b32 s0, 0
.LBB119_1044:
	s_delay_alu instid0(SALU_CYCLE_1)
	s_and_not1_b32 vcc_lo, exec_lo, s0
	s_cbranch_vccnz .LBB119_1047
; %bb.1045:
	s_wait_loadcnt 0x0
	v_mov_b32_e32 v1, 0
	s_and_not1_b32 vcc_lo, exec_lo, s41
	s_delay_alu instid0(VALU_DEP_1) | instskip(NEXT) | instid1(VALU_DEP_1)
	v_mul_u64_e32 v[2:3], s[24:25], v[0:1]
	v_add_nc_u32_e32 v2, v0, v3
	s_delay_alu instid0(VALU_DEP_1) | instskip(NEXT) | instid1(VALU_DEP_1)
	v_lshrrev_b32_e32 v10, s22, v2
	v_mul_lo_u32 v2, v10, s20
	s_delay_alu instid0(VALU_DEP_1) | instskip(NEXT) | instid1(VALU_DEP_1)
	v_sub_nc_u32_e32 v3, v0, v2
	v_mul_lo_u32 v8, v3, s13
	v_mul_lo_u32 v2, v3, s12
	;; [unrolled: 1-line block ×4, first 2 shown]
	s_cbranch_vccnz .LBB119_1047
; %bb.1046:
	v_mov_b32_e32 v11, v1
	s_delay_alu instid0(VALU_DEP_1) | instskip(NEXT) | instid1(VALU_DEP_1)
	v_mul_u64_e32 v[12:13], s[26:27], v[10:11]
	v_add_nc_u32_e32 v1, v10, v13
	s_delay_alu instid0(VALU_DEP_1) | instskip(NEXT) | instid1(VALU_DEP_1)
	v_lshrrev_b32_e32 v1, s1, v1
	v_mul_lo_u32 v1, v1, s23
	s_delay_alu instid0(VALU_DEP_1) | instskip(NEXT) | instid1(VALU_DEP_1)
	v_sub_nc_u32_e32 v1, v10, v1
	v_mad_u32 v2, v1, s16, v2
	v_mad_u32 v8, v1, s17, v8
	;; [unrolled: 1-line block ×4, first 2 shown]
.LBB119_1047:
	v_mov_b32_e32 v9, 0
	s_and_b32 s0, s40, 0xff
	s_delay_alu instid0(SALU_CYCLE_1) | instskip(SKIP_1) | instid1(VALU_DEP_1)
	s_cmp_lt_i32 s0, 11
	s_wait_loadcnt 0x0
	v_add_nc_u64_e32 v[8:9], s[6:7], v[8:9]
	s_cbranch_scc1 .LBB119_1054
; %bb.1048:
	s_and_b32 s29, 0xffff, s0
	s_delay_alu instid0(SALU_CYCLE_1)
	s_cmp_gt_i32 s29, 25
	s_cbranch_scc0 .LBB119_1055
; %bb.1049:
	s_cmp_gt_i32 s29, 28
	s_cbranch_scc0 .LBB119_1056
; %bb.1050:
	;; [unrolled: 3-line block ×4, first 2 shown]
	s_cmp_eq_u32 s29, 46
	s_mov_b32 s31, 0
	s_cbranch_scc0 .LBB119_1059
; %bb.1053:
	global_load_b32 v1, v[8:9], off
	s_mov_b32 s30, -1
	s_mov_b32 s28, 0
	s_wait_loadcnt 0x0
	v_lshlrev_b32_e32 v1, 16, v1
	s_delay_alu instid0(VALU_DEP_1)
	v_cvt_i32_f32_e32 v1, v1
	s_branch .LBB119_1061
.LBB119_1054:
	s_mov_b32 s29, -1
	s_mov_b32 s30, 0
	s_mov_b32 s28, s50
                                        ; implicit-def: $vgpr1
	s_branch .LBB119_1122
.LBB119_1055:
	s_mov_b32 s31, -1
	s_mov_b32 s30, 0
	s_mov_b32 s28, s50
                                        ; implicit-def: $vgpr1
	s_branch .LBB119_1088
.LBB119_1056:
	s_mov_b32 s31, -1
	s_mov_b32 s30, 0
	s_mov_b32 s28, s50
                                        ; implicit-def: $vgpr1
	s_branch .LBB119_1071
.LBB119_1057:
	s_mov_b32 s31, -1
	s_mov_b32 s30, 0
	s_mov_b32 s28, s50
                                        ; implicit-def: $vgpr1
	s_branch .LBB119_1066
.LBB119_1058:
	s_mov_b32 s31, -1
	s_mov_b32 s30, 0
	s_mov_b32 s28, s50
	s_branch .LBB119_1060
.LBB119_1059:
	s_mov_b32 s28, -1
	s_mov_b32 s30, 0
.LBB119_1060:
                                        ; implicit-def: $vgpr1
.LBB119_1061:
	s_and_b32 vcc_lo, exec_lo, s31
	s_cbranch_vccz .LBB119_1065
; %bb.1062:
	s_cmp_eq_u32 s29, 44
	s_cbranch_scc0 .LBB119_1064
; %bb.1063:
	global_load_u8 v1, v[8:9], off
	s_mov_b32 s28, 0
	s_mov_b32 s30, -1
	s_wait_loadcnt 0x0
	v_lshlrev_b32_e32 v3, 23, v1
	v_cmp_ne_u32_e32 vcc_lo, 0, v1
	s_delay_alu instid0(VALU_DEP_2) | instskip(NEXT) | instid1(VALU_DEP_1)
	v_cvt_i32_f32_e32 v3, v3
	v_cndmask_b32_e32 v1, 0, v3, vcc_lo
	s_branch .LBB119_1065
.LBB119_1064:
	s_mov_b32 s28, -1
                                        ; implicit-def: $vgpr1
.LBB119_1065:
	s_mov_b32 s31, 0
.LBB119_1066:
	s_delay_alu instid0(SALU_CYCLE_1)
	s_and_b32 vcc_lo, exec_lo, s31
	s_cbranch_vccz .LBB119_1070
; %bb.1067:
	s_cmp_eq_u32 s29, 29
	s_cbranch_scc0 .LBB119_1069
; %bb.1068:
	global_load_b32 v1, v[8:9], off
	s_mov_b32 s30, -1
	s_mov_b32 s28, 0
	s_branch .LBB119_1070
.LBB119_1069:
	s_mov_b32 s28, -1
                                        ; implicit-def: $vgpr1
.LBB119_1070:
	s_mov_b32 s31, 0
.LBB119_1071:
	s_delay_alu instid0(SALU_CYCLE_1)
	s_and_b32 vcc_lo, exec_lo, s31
	s_cbranch_vccz .LBB119_1087
; %bb.1072:
	s_cmp_lt_i32 s29, 27
	s_cbranch_scc1 .LBB119_1075
; %bb.1073:
	s_cmp_gt_i32 s29, 27
	s_cbranch_scc0 .LBB119_1076
; %bb.1074:
	s_wait_loadcnt 0x0
	global_load_b32 v1, v[8:9], off
	s_mov_b32 s30, 0
	s_branch .LBB119_1077
.LBB119_1075:
	s_mov_b32 s30, -1
                                        ; implicit-def: $vgpr1
	s_branch .LBB119_1080
.LBB119_1076:
	s_mov_b32 s30, -1
                                        ; implicit-def: $vgpr1
.LBB119_1077:
	s_delay_alu instid0(SALU_CYCLE_1)
	s_and_not1_b32 vcc_lo, exec_lo, s30
	s_cbranch_vccnz .LBB119_1079
; %bb.1078:
	s_wait_loadcnt 0x0
	global_load_u16 v1, v[8:9], off
.LBB119_1079:
	s_mov_b32 s30, 0
.LBB119_1080:
	s_delay_alu instid0(SALU_CYCLE_1)
	s_and_not1_b32 vcc_lo, exec_lo, s30
	s_cbranch_vccnz .LBB119_1086
; %bb.1081:
	global_load_u8 v3, v[8:9], off
	s_mov_b32 s31, 0
	s_mov_b32 s30, exec_lo
	s_wait_loadcnt 0x0
	v_cmpx_lt_i16_e32 0x7f, v3
	s_xor_b32 s30, exec_lo, s30
	s_cbranch_execz .LBB119_1098
; %bb.1082:
	v_cmp_ne_u16_e32 vcc_lo, 0x80, v3
	s_and_b32 s31, vcc_lo, exec_lo
	s_and_not1_saveexec_b32 s30, s30
	s_cbranch_execnz .LBB119_1099
.LBB119_1083:
	s_or_b32 exec_lo, exec_lo, s30
	v_mov_b32_e32 v1, 0
	s_and_saveexec_b32 s30, s31
	s_cbranch_execz .LBB119_1085
.LBB119_1084:
	v_and_b32_e32 v1, 0xffff, v3
	s_delay_alu instid0(VALU_DEP_1) | instskip(SKIP_1) | instid1(VALU_DEP_2)
	v_and_b32_e32 v5, 7, v1
	v_bfe_u32 v11, v1, 3, 4
	v_clz_i32_u32_e32 v7, v5
	s_delay_alu instid0(VALU_DEP_2) | instskip(NEXT) | instid1(VALU_DEP_2)
	v_cmp_eq_u32_e32 vcc_lo, 0, v11
	v_min_u32_e32 v7, 32, v7
	s_delay_alu instid0(VALU_DEP_1) | instskip(NEXT) | instid1(VALU_DEP_1)
	v_subrev_nc_u32_e32 v10, 28, v7
	v_dual_lshlrev_b32 v1, v10, v1 :: v_dual_sub_nc_u32 v7, 29, v7
	s_delay_alu instid0(VALU_DEP_1) | instskip(NEXT) | instid1(VALU_DEP_1)
	v_dual_lshlrev_b32 v3, 24, v3 :: v_dual_bitop2_b32 v1, 7, v1 bitop3:0x40
	v_dual_cndmask_b32 v1, v5, v1, vcc_lo :: v_dual_cndmask_b32 v7, v11, v7, vcc_lo
	s_delay_alu instid0(VALU_DEP_2) | instskip(NEXT) | instid1(VALU_DEP_2)
	v_and_b32_e32 v3, 0x80000000, v3
	v_lshlrev_b32_e32 v1, 20, v1
	s_delay_alu instid0(VALU_DEP_3) | instskip(NEXT) | instid1(VALU_DEP_1)
	v_lshl_add_u32 v5, v7, 23, 0x3b800000
	v_or3_b32 v1, v3, v5, v1
	s_delay_alu instid0(VALU_DEP_1)
	v_cvt_i32_f32_e32 v1, v1
.LBB119_1085:
	s_or_b32 exec_lo, exec_lo, s30
.LBB119_1086:
	s_mov_b32 s30, -1
.LBB119_1087:
	s_mov_b32 s31, 0
.LBB119_1088:
	s_delay_alu instid0(SALU_CYCLE_1)
	s_and_b32 vcc_lo, exec_lo, s31
	s_cbranch_vccz .LBB119_1121
; %bb.1089:
	s_cmp_gt_i32 s29, 22
	s_cbranch_scc0 .LBB119_1097
; %bb.1090:
	s_cmp_lt_i32 s29, 24
	s_cbranch_scc1 .LBB119_1100
; %bb.1091:
	s_cmp_gt_i32 s29, 24
	s_cbranch_scc0 .LBB119_1101
; %bb.1092:
	global_load_u8 v3, v[8:9], off
	s_mov_b32 s31, 0
	s_mov_b32 s30, exec_lo
	s_wait_loadcnt 0x0
	v_cmpx_lt_i16_e32 0x7f, v3
	s_xor_b32 s30, exec_lo, s30
	s_cbranch_execz .LBB119_1113
; %bb.1093:
	v_cmp_ne_u16_e32 vcc_lo, 0x80, v3
	s_and_b32 s31, vcc_lo, exec_lo
	s_and_not1_saveexec_b32 s30, s30
	s_cbranch_execnz .LBB119_1114
.LBB119_1094:
	s_or_b32 exec_lo, exec_lo, s30
	v_mov_b32_e32 v1, 0
	s_and_saveexec_b32 s30, s31
	s_cbranch_execz .LBB119_1096
.LBB119_1095:
	v_and_b32_e32 v1, 0xffff, v3
	s_delay_alu instid0(VALU_DEP_1) | instskip(SKIP_1) | instid1(VALU_DEP_2)
	v_and_b32_e32 v5, 3, v1
	v_bfe_u32 v11, v1, 2, 5
	v_clz_i32_u32_e32 v7, v5
	s_delay_alu instid0(VALU_DEP_2) | instskip(NEXT) | instid1(VALU_DEP_2)
	v_cmp_eq_u32_e32 vcc_lo, 0, v11
	v_min_u32_e32 v7, 32, v7
	s_delay_alu instid0(VALU_DEP_1) | instskip(NEXT) | instid1(VALU_DEP_1)
	v_subrev_nc_u32_e32 v10, 29, v7
	v_dual_lshlrev_b32 v1, v10, v1 :: v_dual_sub_nc_u32 v7, 30, v7
	s_delay_alu instid0(VALU_DEP_1) | instskip(NEXT) | instid1(VALU_DEP_1)
	v_dual_lshlrev_b32 v3, 24, v3 :: v_dual_bitop2_b32 v1, 3, v1 bitop3:0x40
	v_dual_cndmask_b32 v1, v5, v1, vcc_lo :: v_dual_cndmask_b32 v7, v11, v7, vcc_lo
	s_delay_alu instid0(VALU_DEP_2) | instskip(NEXT) | instid1(VALU_DEP_2)
	v_and_b32_e32 v3, 0x80000000, v3
	v_lshlrev_b32_e32 v1, 21, v1
	s_delay_alu instid0(VALU_DEP_3) | instskip(NEXT) | instid1(VALU_DEP_1)
	v_lshl_add_u32 v5, v7, 23, 0x37800000
	v_or3_b32 v1, v3, v5, v1
	s_delay_alu instid0(VALU_DEP_1)
	v_cvt_i32_f32_e32 v1, v1
.LBB119_1096:
	s_or_b32 exec_lo, exec_lo, s30
	s_mov_b32 s30, 0
	s_branch .LBB119_1102
.LBB119_1097:
	s_mov_b32 s31, -1
                                        ; implicit-def: $vgpr1
	s_branch .LBB119_1108
.LBB119_1098:
	s_and_not1_saveexec_b32 s30, s30
	s_cbranch_execz .LBB119_1083
.LBB119_1099:
	v_cmp_ne_u16_e32 vcc_lo, 0, v3
	s_and_not1_b32 s31, s31, exec_lo
	s_and_b32 s56, vcc_lo, exec_lo
	s_delay_alu instid0(SALU_CYCLE_1)
	s_or_b32 s31, s31, s56
	s_or_b32 exec_lo, exec_lo, s30
	v_mov_b32_e32 v1, 0
	s_and_saveexec_b32 s30, s31
	s_cbranch_execnz .LBB119_1084
	s_branch .LBB119_1085
.LBB119_1100:
	s_mov_b32 s30, -1
                                        ; implicit-def: $vgpr1
	s_branch .LBB119_1105
.LBB119_1101:
	s_mov_b32 s30, -1
                                        ; implicit-def: $vgpr1
.LBB119_1102:
	s_delay_alu instid0(SALU_CYCLE_1)
	s_and_b32 vcc_lo, exec_lo, s30
	s_cbranch_vccz .LBB119_1104
; %bb.1103:
	s_wait_loadcnt 0x0
	global_load_u8 v1, v[8:9], off
	s_wait_loadcnt 0x0
	v_lshlrev_b32_e32 v1, 24, v1
	s_delay_alu instid0(VALU_DEP_1) | instskip(NEXT) | instid1(VALU_DEP_1)
	v_and_b32_e32 v3, 0x7f000000, v1
	v_clz_i32_u32_e32 v5, v3
	v_cmp_ne_u32_e32 vcc_lo, 0, v3
	v_add_nc_u32_e32 v10, 0x1000000, v3
	s_delay_alu instid0(VALU_DEP_3) | instskip(NEXT) | instid1(VALU_DEP_1)
	v_min_u32_e32 v5, 32, v5
	v_sub_nc_u32_e64 v5, v5, 4 clamp
	s_delay_alu instid0(VALU_DEP_1) | instskip(NEXT) | instid1(VALU_DEP_1)
	v_dual_lshlrev_b32 v7, v5, v3 :: v_dual_lshlrev_b32 v5, 23, v5
	v_lshrrev_b32_e32 v7, 4, v7
	s_delay_alu instid0(VALU_DEP_1) | instskip(NEXT) | instid1(VALU_DEP_1)
	v_dual_sub_nc_u32 v5, v7, v5 :: v_dual_ashrrev_i32 v7, 8, v10
	v_add_nc_u32_e32 v5, 0x3c000000, v5
	s_delay_alu instid0(VALU_DEP_1) | instskip(NEXT) | instid1(VALU_DEP_1)
	v_and_or_b32 v5, 0x7f800000, v7, v5
	v_cndmask_b32_e32 v3, 0, v5, vcc_lo
	s_delay_alu instid0(VALU_DEP_1) | instskip(NEXT) | instid1(VALU_DEP_1)
	v_and_or_b32 v1, 0x80000000, v1, v3
	v_cvt_i32_f32_e32 v1, v1
.LBB119_1104:
	s_mov_b32 s30, 0
.LBB119_1105:
	s_delay_alu instid0(SALU_CYCLE_1)
	s_and_not1_b32 vcc_lo, exec_lo, s30
	s_cbranch_vccnz .LBB119_1107
; %bb.1106:
	s_wait_loadcnt 0x0
	global_load_u8 v1, v[8:9], off
	s_wait_loadcnt 0x0
	v_lshlrev_b32_e32 v3, 25, v1
	v_lshlrev_b16 v1, 8, v1
	s_delay_alu instid0(VALU_DEP_1) | instskip(SKIP_1) | instid1(VALU_DEP_2)
	v_and_or_b32 v7, 0x7f00, v1, 0.5
	v_bfe_i32 v1, v1, 0, 16
	v_add_f32_e32 v7, -0.5, v7
	v_lshrrev_b32_e32 v5, 4, v3
	v_cmp_gt_u32_e32 vcc_lo, 0x8000000, v3
	s_delay_alu instid0(VALU_DEP_2) | instskip(NEXT) | instid1(VALU_DEP_1)
	v_or_b32_e32 v5, 0x70000000, v5
	v_mul_f32_e32 v5, 0x7800000, v5
	s_delay_alu instid0(VALU_DEP_1) | instskip(NEXT) | instid1(VALU_DEP_1)
	v_cndmask_b32_e32 v3, v5, v7, vcc_lo
	v_and_or_b32 v1, 0x80000000, v1, v3
	s_delay_alu instid0(VALU_DEP_1)
	v_cvt_i32_f32_e32 v1, v1
.LBB119_1107:
	s_mov_b32 s31, 0
	s_mov_b32 s30, -1
.LBB119_1108:
	s_and_not1_b32 vcc_lo, exec_lo, s31
	s_cbranch_vccnz .LBB119_1121
; %bb.1109:
	s_cmp_gt_i32 s29, 14
	s_cbranch_scc0 .LBB119_1112
; %bb.1110:
	s_cmp_eq_u32 s29, 15
	s_cbranch_scc0 .LBB119_1115
; %bb.1111:
	s_wait_loadcnt 0x0
	global_load_u16 v1, v[8:9], off
	s_mov_b32 s30, -1
	s_mov_b32 s28, 0
	s_wait_loadcnt 0x0
	v_lshlrev_b32_e32 v1, 16, v1
	s_delay_alu instid0(VALU_DEP_1)
	v_cvt_i32_f32_e32 v1, v1
	s_branch .LBB119_1116
.LBB119_1112:
	s_mov_b32 s31, -1
                                        ; implicit-def: $vgpr1
	s_branch .LBB119_1117
.LBB119_1113:
	s_and_not1_saveexec_b32 s30, s30
	s_cbranch_execz .LBB119_1094
.LBB119_1114:
	v_cmp_ne_u16_e32 vcc_lo, 0, v3
	s_and_not1_b32 s31, s31, exec_lo
	s_and_b32 s56, vcc_lo, exec_lo
	s_delay_alu instid0(SALU_CYCLE_1)
	s_or_b32 s31, s31, s56
	s_or_b32 exec_lo, exec_lo, s30
	v_mov_b32_e32 v1, 0
	s_and_saveexec_b32 s30, s31
	s_cbranch_execnz .LBB119_1095
	s_branch .LBB119_1096
.LBB119_1115:
	s_mov_b32 s28, -1
                                        ; implicit-def: $vgpr1
.LBB119_1116:
	s_mov_b32 s31, 0
.LBB119_1117:
	s_delay_alu instid0(SALU_CYCLE_1)
	s_and_b32 vcc_lo, exec_lo, s31
	s_cbranch_vccz .LBB119_1121
; %bb.1118:
	s_cmp_eq_u32 s29, 11
	s_cbranch_scc0 .LBB119_1120
; %bb.1119:
	s_wait_loadcnt 0x0
	global_load_u8 v1, v[8:9], off
	s_mov_b32 s28, 0
	s_mov_b32 s30, -1
	s_wait_loadcnt 0x0
	v_cmp_ne_u16_e32 vcc_lo, 0, v1
	v_cndmask_b32_e64 v1, 0, 1, vcc_lo
	s_branch .LBB119_1121
.LBB119_1120:
	s_mov_b32 s28, -1
                                        ; implicit-def: $vgpr1
.LBB119_1121:
	s_mov_b32 s29, 0
.LBB119_1122:
	s_delay_alu instid0(SALU_CYCLE_1)
	s_and_b32 vcc_lo, exec_lo, s29
	s_cbranch_vccz .LBB119_1171
; %bb.1123:
	s_and_b32 s0, 0xffff, s0
	s_delay_alu instid0(SALU_CYCLE_1)
	s_cmp_lt_i32 s0, 5
	s_cbranch_scc1 .LBB119_1128
; %bb.1124:
	s_cmp_lt_i32 s0, 8
	s_cbranch_scc1 .LBB119_1129
; %bb.1125:
	;; [unrolled: 3-line block ×3, first 2 shown]
	s_cmp_gt_i32 s0, 9
	s_cbranch_scc0 .LBB119_1131
; %bb.1127:
	global_load_b64 v[10:11], v[8:9], off
	s_mov_b32 s29, 0
	s_wait_loadcnt 0x0
	v_cvt_i32_f64_e32 v1, v[10:11]
	s_branch .LBB119_1132
.LBB119_1128:
	s_mov_b32 s29, -1
                                        ; implicit-def: $vgpr1
	s_branch .LBB119_1150
.LBB119_1129:
	s_mov_b32 s29, -1
                                        ; implicit-def: $vgpr1
	s_branch .LBB119_1138
.LBB119_1130:
	s_mov_b32 s29, -1
                                        ; implicit-def: $vgpr1
	s_branch .LBB119_1135
.LBB119_1131:
	s_mov_b32 s29, -1
                                        ; implicit-def: $vgpr1
.LBB119_1132:
	s_delay_alu instid0(SALU_CYCLE_1)
	s_and_not1_b32 vcc_lo, exec_lo, s29
	s_cbranch_vccnz .LBB119_1134
; %bb.1133:
	s_wait_loadcnt 0x0
	global_load_b32 v1, v[8:9], off
	s_wait_loadcnt 0x0
	v_cvt_i32_f32_e32 v1, v1
.LBB119_1134:
	s_mov_b32 s29, 0
.LBB119_1135:
	s_delay_alu instid0(SALU_CYCLE_1)
	s_and_not1_b32 vcc_lo, exec_lo, s29
	s_cbranch_vccnz .LBB119_1137
; %bb.1136:
	s_wait_loadcnt 0x0
	global_load_b32 v1, v[8:9], off
	s_wait_loadcnt 0x0
	v_cvt_f32_f16_e32 v1, v1
	s_delay_alu instid0(VALU_DEP_1)
	v_cvt_i32_f32_e32 v1, v1
.LBB119_1137:
	s_mov_b32 s29, 0
.LBB119_1138:
	s_delay_alu instid0(SALU_CYCLE_1)
	s_and_not1_b32 vcc_lo, exec_lo, s29
	s_cbranch_vccnz .LBB119_1149
; %bb.1139:
	s_cmp_lt_i32 s0, 6
	s_cbranch_scc1 .LBB119_1142
; %bb.1140:
	s_cmp_gt_i32 s0, 6
	s_cbranch_scc0 .LBB119_1143
; %bb.1141:
	global_load_b64 v[10:11], v[8:9], off
	s_mov_b32 s29, 0
	s_wait_loadcnt 0x0
	v_cvt_i32_f64_e32 v1, v[10:11]
	s_branch .LBB119_1144
.LBB119_1142:
	s_mov_b32 s29, -1
                                        ; implicit-def: $vgpr1
	s_branch .LBB119_1147
.LBB119_1143:
	s_mov_b32 s29, -1
                                        ; implicit-def: $vgpr1
.LBB119_1144:
	s_delay_alu instid0(SALU_CYCLE_1)
	s_and_not1_b32 vcc_lo, exec_lo, s29
	s_cbranch_vccnz .LBB119_1146
; %bb.1145:
	s_wait_loadcnt 0x0
	global_load_b32 v1, v[8:9], off
	s_wait_loadcnt 0x0
	v_cvt_i32_f32_e32 v1, v1
.LBB119_1146:
	s_mov_b32 s29, 0
.LBB119_1147:
	s_delay_alu instid0(SALU_CYCLE_1)
	s_and_not1_b32 vcc_lo, exec_lo, s29
	s_cbranch_vccnz .LBB119_1149
; %bb.1148:
	s_wait_loadcnt 0x0
	global_load_u16 v1, v[8:9], off
	s_wait_loadcnt 0x0
	v_cvt_f32_f16_e32 v1, v1
	s_delay_alu instid0(VALU_DEP_1)
	v_cvt_i32_f32_e32 v1, v1
.LBB119_1149:
	s_mov_b32 s29, 0
.LBB119_1150:
	s_delay_alu instid0(SALU_CYCLE_1)
	s_and_not1_b32 vcc_lo, exec_lo, s29
	s_cbranch_vccnz .LBB119_1170
; %bb.1151:
	s_cmp_lt_i32 s0, 2
	s_cbranch_scc1 .LBB119_1155
; %bb.1152:
	s_cmp_lt_i32 s0, 3
	s_cbranch_scc1 .LBB119_1156
; %bb.1153:
	s_cmp_gt_i32 s0, 3
	s_cbranch_scc0 .LBB119_1157
; %bb.1154:
	s_wait_loadcnt 0x0
	global_load_b32 v1, v[8:9], off
	s_mov_b32 s29, 0
	s_branch .LBB119_1158
.LBB119_1155:
	s_mov_b32 s29, -1
                                        ; implicit-def: $vgpr1
	s_branch .LBB119_1164
.LBB119_1156:
	s_mov_b32 s29, -1
                                        ; implicit-def: $vgpr1
	s_branch .LBB119_1161
.LBB119_1157:
	s_mov_b32 s29, -1
                                        ; implicit-def: $vgpr1
.LBB119_1158:
	s_delay_alu instid0(SALU_CYCLE_1)
	s_and_not1_b32 vcc_lo, exec_lo, s29
	s_cbranch_vccnz .LBB119_1160
; %bb.1159:
	s_wait_loadcnt 0x0
	global_load_b32 v1, v[8:9], off
.LBB119_1160:
	s_mov_b32 s29, 0
.LBB119_1161:
	s_delay_alu instid0(SALU_CYCLE_1)
	s_and_not1_b32 vcc_lo, exec_lo, s29
	s_cbranch_vccnz .LBB119_1163
; %bb.1162:
	s_wait_loadcnt 0x0
	global_load_i16 v1, v[8:9], off
.LBB119_1163:
	s_mov_b32 s29, 0
.LBB119_1164:
	s_delay_alu instid0(SALU_CYCLE_1)
	s_and_not1_b32 vcc_lo, exec_lo, s29
	s_cbranch_vccnz .LBB119_1170
; %bb.1165:
	s_cmp_gt_i32 s0, 0
	s_mov_b32 s0, 0
	s_cbranch_scc0 .LBB119_1167
; %bb.1166:
	s_wait_loadcnt 0x0
	global_load_i8 v1, v[8:9], off
	s_branch .LBB119_1168
.LBB119_1167:
	s_mov_b32 s0, -1
                                        ; implicit-def: $vgpr1
.LBB119_1168:
	s_delay_alu instid0(SALU_CYCLE_1)
	s_and_not1_b32 vcc_lo, exec_lo, s0
	s_cbranch_vccnz .LBB119_1170
; %bb.1169:
	s_wait_loadcnt 0x0
	global_load_u8 v1, v[8:9], off
.LBB119_1170:
	s_mov_b32 s30, -1
.LBB119_1171:
	s_delay_alu instid0(SALU_CYCLE_1)
	s_and_not1_b32 vcc_lo, exec_lo, s30
	s_cbranch_vccnz .LBB119_1179
; %bb.1172:
	v_mov_b32_e32 v7, 0
	s_and_b32 s0, s39, 0xff
	s_delay_alu instid0(SALU_CYCLE_1) | instskip(NEXT) | instid1(VALU_DEP_1)
	s_cmp_lt_i32 s0, 11
	v_add_nc_u64_e32 v[6:7], s[8:9], v[6:7]
	s_cbranch_scc1 .LBB119_1180
; %bb.1173:
	s_and_b32 s30, 0xffff, s0
	s_delay_alu instid0(SALU_CYCLE_1)
	s_cmp_gt_i32 s30, 25
	s_cbranch_scc0 .LBB119_1181
; %bb.1174:
	s_cmp_gt_i32 s30, 28
	s_cbranch_scc0 .LBB119_1182
; %bb.1175:
	;; [unrolled: 3-line block ×4, first 2 shown]
	s_cmp_eq_u32 s30, 46
	s_mov_b32 s56, 0
	s_cbranch_scc0 .LBB119_1187
; %bb.1178:
	global_load_b32 v3, v[6:7], off
	s_mov_b32 s31, -1
	s_mov_b32 s29, 0
	s_wait_loadcnt 0x0
	v_lshlrev_b32_e32 v3, 16, v3
	s_wait_xcnt 0x1
	s_delay_alu instid0(VALU_DEP_1)
	v_cvt_i32_f32_e32 v8, v3
	s_branch .LBB119_1189
.LBB119_1179:
	s_mov_b32 s31, 0
	s_mov_b32 s0, s51
	;; [unrolled: 1-line block ×4, first 2 shown]
	s_branch .LBB119_1552
.LBB119_1180:
	s_mov_b32 s30, -1
	s_mov_b32 s31, 0
	s_mov_b32 s29, s53
                                        ; implicit-def: $vgpr8
	s_branch .LBB119_1250
.LBB119_1181:
	s_mov_b32 s56, -1
	s_mov_b32 s31, 0
	s_mov_b32 s29, s53
                                        ; implicit-def: $vgpr8
	s_branch .LBB119_1216
.LBB119_1182:
	s_mov_b32 s56, -1
	s_mov_b32 s31, 0
	s_mov_b32 s29, s53
                                        ; implicit-def: $vgpr8
	s_branch .LBB119_1199
.LBB119_1183:
	s_mov_b32 s56, -1
	s_mov_b32 s31, 0
	s_mov_b32 s29, s53
                                        ; implicit-def: $vgpr8
	s_branch .LBB119_1194
.LBB119_1184:
	s_mov_b32 s56, -1
	s_mov_b32 s31, 0
	s_mov_b32 s29, s53
	s_branch .LBB119_1188
.LBB119_1185:
	s_and_not1_saveexec_b32 s53, s53
	s_cbranch_execz .LBB119_941
.LBB119_1186:
	v_add_f32_e64 v5, 0x46000000, |v1|
	s_and_not1_b32 s52, s52, exec_lo
	s_delay_alu instid0(VALU_DEP_1) | instskip(NEXT) | instid1(VALU_DEP_1)
	v_and_b32_e32 v5, 0xff, v5
	v_cmp_ne_u32_e32 vcc_lo, 0, v5
	s_and_b32 s55, vcc_lo, exec_lo
	s_delay_alu instid0(SALU_CYCLE_1)
	s_or_b32 s52, s52, s55
	s_or_b32 exec_lo, exec_lo, s53
	v_mov_b32_e32 v6, 0
	s_and_saveexec_b32 s53, s52
	s_cbranch_execnz .LBB119_942
	s_branch .LBB119_943
.LBB119_1187:
	s_mov_b32 s29, -1
	s_mov_b32 s31, 0
.LBB119_1188:
                                        ; implicit-def: $vgpr8
.LBB119_1189:
	s_and_b32 vcc_lo, exec_lo, s56
	s_cbranch_vccz .LBB119_1193
; %bb.1190:
	s_cmp_eq_u32 s30, 44
	s_cbranch_scc0 .LBB119_1192
; %bb.1191:
	global_load_u8 v3, v[6:7], off
	s_mov_b32 s29, 0
	s_mov_b32 s31, -1
	s_wait_loadcnt 0x0
	v_lshlrev_b32_e32 v5, 23, v3
	v_cmp_ne_u32_e32 vcc_lo, 0, v3
	s_delay_alu instid0(VALU_DEP_2) | instskip(SKIP_1) | instid1(VALU_DEP_1)
	v_cvt_i32_f32_e32 v5, v5
	s_wait_xcnt 0x1
	v_cndmask_b32_e32 v8, 0, v5, vcc_lo
	s_branch .LBB119_1193
.LBB119_1192:
	s_mov_b32 s29, -1
                                        ; implicit-def: $vgpr8
.LBB119_1193:
	s_mov_b32 s56, 0
.LBB119_1194:
	s_delay_alu instid0(SALU_CYCLE_1)
	s_and_b32 vcc_lo, exec_lo, s56
	s_cbranch_vccz .LBB119_1198
; %bb.1195:
	s_cmp_eq_u32 s30, 29
	s_cbranch_scc0 .LBB119_1197
; %bb.1196:
	global_load_b32 v8, v[6:7], off
	s_mov_b32 s31, -1
	s_mov_b32 s29, 0
	s_branch .LBB119_1198
.LBB119_1197:
	s_mov_b32 s29, -1
                                        ; implicit-def: $vgpr8
.LBB119_1198:
	s_mov_b32 s56, 0
.LBB119_1199:
	s_delay_alu instid0(SALU_CYCLE_1)
	s_and_b32 vcc_lo, exec_lo, s56
	s_cbranch_vccz .LBB119_1215
; %bb.1200:
	s_cmp_lt_i32 s30, 27
	s_cbranch_scc1 .LBB119_1203
; %bb.1201:
	s_cmp_gt_i32 s30, 27
	s_cbranch_scc0 .LBB119_1204
; %bb.1202:
	s_wait_loadcnt 0x0
	global_load_b32 v8, v[6:7], off
	s_mov_b32 s31, 0
	s_branch .LBB119_1205
.LBB119_1203:
	s_mov_b32 s31, -1
                                        ; implicit-def: $vgpr8
	s_branch .LBB119_1208
.LBB119_1204:
	s_mov_b32 s31, -1
                                        ; implicit-def: $vgpr8
.LBB119_1205:
	s_delay_alu instid0(SALU_CYCLE_1)
	s_and_not1_b32 vcc_lo, exec_lo, s31
	s_cbranch_vccnz .LBB119_1207
; %bb.1206:
	s_wait_loadcnt 0x0
	global_load_u16 v8, v[6:7], off
.LBB119_1207:
	s_mov_b32 s31, 0
.LBB119_1208:
	s_delay_alu instid0(SALU_CYCLE_1)
	s_and_not1_b32 vcc_lo, exec_lo, s31
	s_cbranch_vccnz .LBB119_1214
; %bb.1209:
	global_load_u8 v3, v[6:7], off
	s_mov_b32 s56, 0
	s_mov_b32 s31, exec_lo
	s_wait_loadcnt 0x0
	v_cmpx_lt_i16_e32 0x7f, v3
	s_xor_b32 s31, exec_lo, s31
	s_cbranch_execz .LBB119_1226
; %bb.1210:
	v_cmp_ne_u16_e32 vcc_lo, 0x80, v3
	s_and_b32 s56, vcc_lo, exec_lo
	s_and_not1_saveexec_b32 s31, s31
	s_cbranch_execnz .LBB119_1227
.LBB119_1211:
	s_or_b32 exec_lo, exec_lo, s31
	v_mov_b32_e32 v8, 0
	s_and_saveexec_b32 s31, s56
	s_cbranch_execz .LBB119_1213
.LBB119_1212:
	v_and_b32_e32 v5, 0xffff, v3
	s_delay_alu instid0(VALU_DEP_1) | instskip(SKIP_1) | instid1(VALU_DEP_2)
	v_dual_lshlrev_b32 v3, 24, v3 :: v_dual_bitop2_b32 v8, 7, v5 bitop3:0x40
	v_bfe_u32 v11, v5, 3, 4
	v_and_b32_e32 v3, 0x80000000, v3
	s_delay_alu instid0(VALU_DEP_3) | instskip(NEXT) | instid1(VALU_DEP_3)
	v_clz_i32_u32_e32 v9, v8
	v_cmp_eq_u32_e32 vcc_lo, 0, v11
	s_delay_alu instid0(VALU_DEP_2) | instskip(NEXT) | instid1(VALU_DEP_1)
	v_min_u32_e32 v9, 32, v9
	v_subrev_nc_u32_e32 v10, 28, v9
	v_sub_nc_u32_e32 v9, 29, v9
	s_delay_alu instid0(VALU_DEP_2) | instskip(NEXT) | instid1(VALU_DEP_2)
	v_lshlrev_b32_e32 v5, v10, v5
	v_cndmask_b32_e32 v9, v11, v9, vcc_lo
	s_delay_alu instid0(VALU_DEP_2) | instskip(NEXT) | instid1(VALU_DEP_1)
	v_and_b32_e32 v5, 7, v5
	v_cndmask_b32_e32 v5, v8, v5, vcc_lo
	s_delay_alu instid0(VALU_DEP_3) | instskip(NEXT) | instid1(VALU_DEP_2)
	v_lshl_add_u32 v8, v9, 23, 0x3b800000
	v_lshlrev_b32_e32 v5, 20, v5
	s_delay_alu instid0(VALU_DEP_1) | instskip(NEXT) | instid1(VALU_DEP_1)
	v_or3_b32 v3, v3, v8, v5
	v_cvt_i32_f32_e32 v8, v3
.LBB119_1213:
	s_or_b32 exec_lo, exec_lo, s31
.LBB119_1214:
	s_mov_b32 s31, -1
.LBB119_1215:
	s_mov_b32 s56, 0
.LBB119_1216:
	s_delay_alu instid0(SALU_CYCLE_1)
	s_and_b32 vcc_lo, exec_lo, s56
	s_cbranch_vccz .LBB119_1249
; %bb.1217:
	s_cmp_gt_i32 s30, 22
	s_cbranch_scc0 .LBB119_1225
; %bb.1218:
	s_cmp_lt_i32 s30, 24
	s_cbranch_scc1 .LBB119_1228
; %bb.1219:
	s_cmp_gt_i32 s30, 24
	s_cbranch_scc0 .LBB119_1229
; %bb.1220:
	global_load_u8 v3, v[6:7], off
	s_mov_b32 s56, 0
	s_mov_b32 s31, exec_lo
	s_wait_loadcnt 0x0
	v_cmpx_lt_i16_e32 0x7f, v3
	s_xor_b32 s31, exec_lo, s31
	s_cbranch_execz .LBB119_1241
; %bb.1221:
	v_cmp_ne_u16_e32 vcc_lo, 0x80, v3
	s_and_b32 s56, vcc_lo, exec_lo
	s_and_not1_saveexec_b32 s31, s31
	s_cbranch_execnz .LBB119_1242
.LBB119_1222:
	s_or_b32 exec_lo, exec_lo, s31
	v_mov_b32_e32 v8, 0
	s_and_saveexec_b32 s31, s56
	s_cbranch_execz .LBB119_1224
.LBB119_1223:
	v_and_b32_e32 v5, 0xffff, v3
	s_delay_alu instid0(VALU_DEP_1) | instskip(SKIP_1) | instid1(VALU_DEP_2)
	v_dual_lshlrev_b32 v3, 24, v3 :: v_dual_bitop2_b32 v8, 3, v5 bitop3:0x40
	v_bfe_u32 v11, v5, 2, 5
	v_and_b32_e32 v3, 0x80000000, v3
	s_delay_alu instid0(VALU_DEP_3) | instskip(NEXT) | instid1(VALU_DEP_3)
	v_clz_i32_u32_e32 v9, v8
	v_cmp_eq_u32_e32 vcc_lo, 0, v11
	s_delay_alu instid0(VALU_DEP_2) | instskip(NEXT) | instid1(VALU_DEP_1)
	v_min_u32_e32 v9, 32, v9
	v_subrev_nc_u32_e32 v10, 29, v9
	v_sub_nc_u32_e32 v9, 30, v9
	s_delay_alu instid0(VALU_DEP_2) | instskip(NEXT) | instid1(VALU_DEP_2)
	v_lshlrev_b32_e32 v5, v10, v5
	v_cndmask_b32_e32 v9, v11, v9, vcc_lo
	s_delay_alu instid0(VALU_DEP_2) | instskip(NEXT) | instid1(VALU_DEP_1)
	v_and_b32_e32 v5, 3, v5
	v_cndmask_b32_e32 v5, v8, v5, vcc_lo
	s_delay_alu instid0(VALU_DEP_3) | instskip(NEXT) | instid1(VALU_DEP_2)
	v_lshl_add_u32 v8, v9, 23, 0x37800000
	v_lshlrev_b32_e32 v5, 21, v5
	s_delay_alu instid0(VALU_DEP_1) | instskip(NEXT) | instid1(VALU_DEP_1)
	v_or3_b32 v3, v3, v8, v5
	v_cvt_i32_f32_e32 v8, v3
.LBB119_1224:
	s_or_b32 exec_lo, exec_lo, s31
	s_mov_b32 s31, 0
	s_branch .LBB119_1230
.LBB119_1225:
	s_mov_b32 s56, -1
                                        ; implicit-def: $vgpr8
	s_branch .LBB119_1236
.LBB119_1226:
	s_and_not1_saveexec_b32 s31, s31
	s_cbranch_execz .LBB119_1211
.LBB119_1227:
	v_cmp_ne_u16_e32 vcc_lo, 0, v3
	s_and_not1_b32 s56, s56, exec_lo
	s_and_b32 s57, vcc_lo, exec_lo
	s_delay_alu instid0(SALU_CYCLE_1)
	s_or_b32 s56, s56, s57
	s_or_b32 exec_lo, exec_lo, s31
	v_mov_b32_e32 v8, 0
	s_and_saveexec_b32 s31, s56
	s_cbranch_execnz .LBB119_1212
	s_branch .LBB119_1213
.LBB119_1228:
	s_mov_b32 s31, -1
                                        ; implicit-def: $vgpr8
	s_branch .LBB119_1233
.LBB119_1229:
	s_mov_b32 s31, -1
                                        ; implicit-def: $vgpr8
.LBB119_1230:
	s_delay_alu instid0(SALU_CYCLE_1)
	s_and_b32 vcc_lo, exec_lo, s31
	s_cbranch_vccz .LBB119_1232
; %bb.1231:
	global_load_u8 v3, v[6:7], off
	s_wait_loadcnt 0x0
	v_lshlrev_b32_e32 v3, 24, v3
	s_delay_alu instid0(VALU_DEP_1) | instskip(SKIP_1) | instid1(VALU_DEP_1)
	v_and_b32_e32 v5, 0x7f000000, v3
	s_wait_xcnt 0x1
	v_clz_i32_u32_e32 v8, v5
	v_cmp_ne_u32_e32 vcc_lo, 0, v5
	v_add_nc_u32_e32 v10, 0x1000000, v5
	s_delay_alu instid0(VALU_DEP_3) | instskip(NEXT) | instid1(VALU_DEP_1)
	v_min_u32_e32 v8, 32, v8
	v_sub_nc_u32_e64 v8, v8, 4 clamp
	s_delay_alu instid0(VALU_DEP_1) | instskip(NEXT) | instid1(VALU_DEP_1)
	v_dual_lshlrev_b32 v9, v8, v5 :: v_dual_lshlrev_b32 v8, 23, v8
	v_lshrrev_b32_e32 v9, 4, v9
	s_delay_alu instid0(VALU_DEP_1) | instskip(NEXT) | instid1(VALU_DEP_1)
	v_dual_sub_nc_u32 v8, v9, v8 :: v_dual_ashrrev_i32 v9, 8, v10
	v_add_nc_u32_e32 v8, 0x3c000000, v8
	s_delay_alu instid0(VALU_DEP_1) | instskip(NEXT) | instid1(VALU_DEP_1)
	v_and_or_b32 v8, 0x7f800000, v9, v8
	v_cndmask_b32_e32 v5, 0, v8, vcc_lo
	s_delay_alu instid0(VALU_DEP_1) | instskip(NEXT) | instid1(VALU_DEP_1)
	v_and_or_b32 v3, 0x80000000, v3, v5
	v_cvt_i32_f32_e32 v8, v3
.LBB119_1232:
	s_mov_b32 s31, 0
.LBB119_1233:
	s_delay_alu instid0(SALU_CYCLE_1)
	s_and_not1_b32 vcc_lo, exec_lo, s31
	s_cbranch_vccnz .LBB119_1235
; %bb.1234:
	global_load_u8 v3, v[6:7], off
	s_wait_loadcnt 0x0
	v_lshlrev_b32_e32 v5, 25, v3
	v_lshlrev_b16 v3, 8, v3
	s_wait_xcnt 0x1
	s_delay_alu instid0(VALU_DEP_1) | instskip(SKIP_1) | instid1(VALU_DEP_2)
	v_and_or_b32 v9, 0x7f00, v3, 0.5
	v_bfe_i32 v3, v3, 0, 16
	v_add_f32_e32 v9, -0.5, v9
	v_lshrrev_b32_e32 v8, 4, v5
	v_cmp_gt_u32_e32 vcc_lo, 0x8000000, v5
	s_delay_alu instid0(VALU_DEP_2) | instskip(NEXT) | instid1(VALU_DEP_1)
	v_or_b32_e32 v8, 0x70000000, v8
	v_mul_f32_e32 v8, 0x7800000, v8
	s_delay_alu instid0(VALU_DEP_1) | instskip(NEXT) | instid1(VALU_DEP_1)
	v_cndmask_b32_e32 v5, v8, v9, vcc_lo
	v_and_or_b32 v3, 0x80000000, v3, v5
	s_delay_alu instid0(VALU_DEP_1)
	v_cvt_i32_f32_e32 v8, v3
.LBB119_1235:
	s_mov_b32 s56, 0
	s_mov_b32 s31, -1
.LBB119_1236:
	s_and_not1_b32 vcc_lo, exec_lo, s56
	s_cbranch_vccnz .LBB119_1249
; %bb.1237:
	s_cmp_gt_i32 s30, 14
	s_cbranch_scc0 .LBB119_1240
; %bb.1238:
	s_cmp_eq_u32 s30, 15
	s_cbranch_scc0 .LBB119_1243
; %bb.1239:
	global_load_u16 v3, v[6:7], off
	s_mov_b32 s31, -1
	s_mov_b32 s29, 0
	s_wait_loadcnt 0x0
	v_lshlrev_b32_e32 v3, 16, v3
	s_wait_xcnt 0x1
	s_delay_alu instid0(VALU_DEP_1)
	v_cvt_i32_f32_e32 v8, v3
	s_branch .LBB119_1244
.LBB119_1240:
	s_mov_b32 s56, -1
                                        ; implicit-def: $vgpr8
	s_branch .LBB119_1245
.LBB119_1241:
	s_and_not1_saveexec_b32 s31, s31
	s_cbranch_execz .LBB119_1222
.LBB119_1242:
	v_cmp_ne_u16_e32 vcc_lo, 0, v3
	s_and_not1_b32 s56, s56, exec_lo
	s_and_b32 s57, vcc_lo, exec_lo
	s_delay_alu instid0(SALU_CYCLE_1)
	s_or_b32 s56, s56, s57
	s_or_b32 exec_lo, exec_lo, s31
	v_mov_b32_e32 v8, 0
	s_and_saveexec_b32 s31, s56
	s_cbranch_execnz .LBB119_1223
	s_branch .LBB119_1224
.LBB119_1243:
	s_mov_b32 s29, -1
                                        ; implicit-def: $vgpr8
.LBB119_1244:
	s_mov_b32 s56, 0
.LBB119_1245:
	s_delay_alu instid0(SALU_CYCLE_1)
	s_and_b32 vcc_lo, exec_lo, s56
	s_cbranch_vccz .LBB119_1249
; %bb.1246:
	s_cmp_eq_u32 s30, 11
	s_cbranch_scc0 .LBB119_1248
; %bb.1247:
	global_load_u8 v3, v[6:7], off
	s_mov_b32 s29, 0
	s_mov_b32 s31, -1
	s_wait_loadcnt 0x0
	v_cmp_ne_u16_e32 vcc_lo, 0, v3
	s_wait_xcnt 0x1
	v_cndmask_b32_e64 v8, 0, 1, vcc_lo
	s_branch .LBB119_1249
.LBB119_1248:
	s_mov_b32 s29, -1
                                        ; implicit-def: $vgpr8
.LBB119_1249:
	s_mov_b32 s30, 0
.LBB119_1250:
	s_delay_alu instid0(SALU_CYCLE_1)
	s_and_b32 vcc_lo, exec_lo, s30
	s_cbranch_vccz .LBB119_1299
; %bb.1251:
	s_and_b32 s0, 0xffff, s0
	s_delay_alu instid0(SALU_CYCLE_1)
	s_cmp_lt_i32 s0, 5
	s_cbranch_scc1 .LBB119_1256
; %bb.1252:
	s_cmp_lt_i32 s0, 8
	s_cbranch_scc1 .LBB119_1257
; %bb.1253:
	;; [unrolled: 3-line block ×3, first 2 shown]
	s_cmp_gt_i32 s0, 9
	s_cbranch_scc0 .LBB119_1259
; %bb.1255:
	s_wait_loadcnt 0x0
	global_load_b64 v[8:9], v[6:7], off
	s_mov_b32 s30, 0
	s_wait_loadcnt 0x0
	v_cvt_i32_f64_e32 v8, v[8:9]
	s_branch .LBB119_1260
.LBB119_1256:
	s_mov_b32 s30, -1
                                        ; implicit-def: $vgpr8
	s_branch .LBB119_1278
.LBB119_1257:
	s_mov_b32 s30, -1
                                        ; implicit-def: $vgpr8
	s_branch .LBB119_1266
.LBB119_1258:
	s_mov_b32 s30, -1
                                        ; implicit-def: $vgpr8
	s_branch .LBB119_1263
.LBB119_1259:
	s_mov_b32 s30, -1
                                        ; implicit-def: $vgpr8
.LBB119_1260:
	s_delay_alu instid0(SALU_CYCLE_1)
	s_and_not1_b32 vcc_lo, exec_lo, s30
	s_cbranch_vccnz .LBB119_1262
; %bb.1261:
	global_load_b32 v3, v[6:7], off
	s_wait_loadcnt 0x0
	s_wait_xcnt 0x1
	v_cvt_i32_f32_e32 v8, v3
.LBB119_1262:
	s_mov_b32 s30, 0
.LBB119_1263:
	s_delay_alu instid0(SALU_CYCLE_1)
	s_and_not1_b32 vcc_lo, exec_lo, s30
	s_cbranch_vccnz .LBB119_1265
; %bb.1264:
	global_load_b32 v3, v[6:7], off
	s_wait_loadcnt 0x0
	v_cvt_f32_f16_e32 v3, v3
	s_wait_xcnt 0x1
	s_delay_alu instid0(VALU_DEP_1)
	v_cvt_i32_f32_e32 v8, v3
.LBB119_1265:
	s_mov_b32 s30, 0
.LBB119_1266:
	s_delay_alu instid0(SALU_CYCLE_1)
	s_and_not1_b32 vcc_lo, exec_lo, s30
	s_cbranch_vccnz .LBB119_1277
; %bb.1267:
	s_cmp_lt_i32 s0, 6
	s_cbranch_scc1 .LBB119_1270
; %bb.1268:
	s_cmp_gt_i32 s0, 6
	s_cbranch_scc0 .LBB119_1271
; %bb.1269:
	s_wait_loadcnt 0x0
	global_load_b64 v[8:9], v[6:7], off
	s_mov_b32 s30, 0
	s_wait_loadcnt 0x0
	v_cvt_i32_f64_e32 v8, v[8:9]
	s_branch .LBB119_1272
.LBB119_1270:
	s_mov_b32 s30, -1
                                        ; implicit-def: $vgpr8
	s_branch .LBB119_1275
.LBB119_1271:
	s_mov_b32 s30, -1
                                        ; implicit-def: $vgpr8
.LBB119_1272:
	s_delay_alu instid0(SALU_CYCLE_1)
	s_and_not1_b32 vcc_lo, exec_lo, s30
	s_cbranch_vccnz .LBB119_1274
; %bb.1273:
	global_load_b32 v3, v[6:7], off
	s_wait_loadcnt 0x0
	s_wait_xcnt 0x1
	v_cvt_i32_f32_e32 v8, v3
.LBB119_1274:
	s_mov_b32 s30, 0
.LBB119_1275:
	s_delay_alu instid0(SALU_CYCLE_1)
	s_and_not1_b32 vcc_lo, exec_lo, s30
	s_cbranch_vccnz .LBB119_1277
; %bb.1276:
	global_load_u16 v3, v[6:7], off
	s_wait_loadcnt 0x0
	v_cvt_f32_f16_e32 v3, v3
	s_wait_xcnt 0x1
	s_delay_alu instid0(VALU_DEP_1)
	v_cvt_i32_f32_e32 v8, v3
.LBB119_1277:
	s_mov_b32 s30, 0
.LBB119_1278:
	s_delay_alu instid0(SALU_CYCLE_1)
	s_and_not1_b32 vcc_lo, exec_lo, s30
	s_cbranch_vccnz .LBB119_1298
; %bb.1279:
	s_cmp_lt_i32 s0, 2
	s_cbranch_scc1 .LBB119_1283
; %bb.1280:
	s_cmp_lt_i32 s0, 3
	s_cbranch_scc1 .LBB119_1284
; %bb.1281:
	s_cmp_gt_i32 s0, 3
	s_cbranch_scc0 .LBB119_1285
; %bb.1282:
	s_wait_loadcnt 0x0
	global_load_b32 v8, v[6:7], off
	s_mov_b32 s30, 0
	s_branch .LBB119_1286
.LBB119_1283:
	s_mov_b32 s30, -1
                                        ; implicit-def: $vgpr8
	s_branch .LBB119_1292
.LBB119_1284:
	s_mov_b32 s30, -1
                                        ; implicit-def: $vgpr8
	s_branch .LBB119_1289
.LBB119_1285:
	s_mov_b32 s30, -1
                                        ; implicit-def: $vgpr8
.LBB119_1286:
	s_delay_alu instid0(SALU_CYCLE_1)
	s_and_not1_b32 vcc_lo, exec_lo, s30
	s_cbranch_vccnz .LBB119_1288
; %bb.1287:
	s_wait_loadcnt 0x0
	global_load_b32 v8, v[6:7], off
.LBB119_1288:
	s_mov_b32 s30, 0
.LBB119_1289:
	s_delay_alu instid0(SALU_CYCLE_1)
	s_and_not1_b32 vcc_lo, exec_lo, s30
	s_cbranch_vccnz .LBB119_1291
; %bb.1290:
	s_wait_loadcnt 0x0
	global_load_i16 v8, v[6:7], off
.LBB119_1291:
	s_mov_b32 s30, 0
.LBB119_1292:
	s_delay_alu instid0(SALU_CYCLE_1)
	s_and_not1_b32 vcc_lo, exec_lo, s30
	s_cbranch_vccnz .LBB119_1298
; %bb.1293:
	s_cmp_gt_i32 s0, 0
	s_mov_b32 s0, 0
	s_cbranch_scc0 .LBB119_1295
; %bb.1294:
	s_wait_loadcnt 0x0
	global_load_i8 v8, v[6:7], off
	s_branch .LBB119_1296
.LBB119_1295:
	s_mov_b32 s0, -1
                                        ; implicit-def: $vgpr8
.LBB119_1296:
	s_delay_alu instid0(SALU_CYCLE_1)
	s_and_not1_b32 vcc_lo, exec_lo, s0
	s_cbranch_vccnz .LBB119_1298
; %bb.1297:
	s_wait_loadcnt 0x0
	global_load_u8 v8, v[6:7], off
.LBB119_1298:
	s_mov_b32 s31, -1
.LBB119_1299:
	s_delay_alu instid0(SALU_CYCLE_1)
	s_and_not1_b32 vcc_lo, exec_lo, s31
	s_cbranch_vccnz .LBB119_1307
; %bb.1300:
	v_mov_b32_e32 v5, 0
	s_and_b32 s0, 0xffff, s21
	s_delay_alu instid0(SALU_CYCLE_1) | instskip(NEXT) | instid1(VALU_DEP_1)
	s_cmp_lt_i32 s0, 11
	v_add_nc_u64_e32 v[4:5], s[10:11], v[4:5]
	s_cbranch_scc1 .LBB119_1308
; %bb.1301:
	s_cmp_gt_i32 s0, 25
	s_cbranch_scc0 .LBB119_1309
; %bb.1302:
	s_cmp_gt_i32 s0, 28
	s_cbranch_scc0 .LBB119_1310
	;; [unrolled: 3-line block ×4, first 2 shown]
; %bb.1305:
	s_cmp_eq_u32 s0, 46
	s_mov_b32 s56, 0
	s_cbranch_scc0 .LBB119_1315
; %bb.1306:
	global_load_b32 v3, v[4:5], off
	s_mov_b32 s31, -1
	s_mov_b32 s30, 0
	s_wait_loadcnt 0x0
	v_lshlrev_b32_e32 v3, 16, v3
	s_wait_xcnt 0x1
	s_delay_alu instid0(VALU_DEP_1)
	v_cvt_i32_f32_e32 v6, v3
	s_branch .LBB119_1317
.LBB119_1307:
	s_mov_b32 s31, 0
	s_mov_b32 s0, s51
	;; [unrolled: 1-line block ×3, first 2 shown]
	s_branch .LBB119_1552
.LBB119_1308:
	s_mov_b32 s56, -1
	s_mov_b32 s31, 0
	s_mov_b32 s30, s52
                                        ; implicit-def: $vgpr6
	s_branch .LBB119_1378
.LBB119_1309:
	s_mov_b32 s56, -1
	s_mov_b32 s31, 0
	s_mov_b32 s30, s52
                                        ; implicit-def: $vgpr6
	s_branch .LBB119_1344
.LBB119_1310:
	s_mov_b32 s56, -1
	s_mov_b32 s31, 0
	s_mov_b32 s30, s52
                                        ; implicit-def: $vgpr6
	s_branch .LBB119_1327
.LBB119_1311:
	s_mov_b32 s56, -1
	s_mov_b32 s31, 0
	s_mov_b32 s30, s52
                                        ; implicit-def: $vgpr6
	s_branch .LBB119_1322
.LBB119_1312:
	s_mov_b32 s56, -1
	s_mov_b32 s31, 0
	s_mov_b32 s30, s52
	s_branch .LBB119_1316
.LBB119_1313:
	s_and_not1_saveexec_b32 s53, s53
	s_cbranch_execz .LBB119_954
.LBB119_1314:
	v_add_f32_e64 v5, 0x42800000, |v1|
	s_and_not1_b32 s52, s52, exec_lo
	s_delay_alu instid0(VALU_DEP_1) | instskip(NEXT) | instid1(VALU_DEP_1)
	v_and_b32_e32 v5, 0xff, v5
	v_cmp_ne_u32_e32 vcc_lo, 0, v5
	s_and_b32 s55, vcc_lo, exec_lo
	s_delay_alu instid0(SALU_CYCLE_1)
	s_or_b32 s52, s52, s55
	s_or_b32 exec_lo, exec_lo, s53
	v_mov_b32_e32 v6, 0
	s_and_saveexec_b32 s53, s52
	s_cbranch_execnz .LBB119_955
	s_branch .LBB119_956
.LBB119_1315:
	s_mov_b32 s30, -1
	s_mov_b32 s31, 0
.LBB119_1316:
                                        ; implicit-def: $vgpr6
.LBB119_1317:
	s_and_b32 vcc_lo, exec_lo, s56
	s_cbranch_vccz .LBB119_1321
; %bb.1318:
	s_cmp_eq_u32 s0, 44
	s_cbranch_scc0 .LBB119_1320
; %bb.1319:
	global_load_u8 v3, v[4:5], off
	s_mov_b32 s30, 0
	s_mov_b32 s31, -1
	s_wait_loadcnt 0x0
	s_wait_xcnt 0x1
	v_lshlrev_b32_e32 v6, 23, v3
	v_cmp_ne_u32_e32 vcc_lo, 0, v3
	s_delay_alu instid0(VALU_DEP_2) | instskip(NEXT) | instid1(VALU_DEP_1)
	v_cvt_i32_f32_e32 v6, v6
	v_cndmask_b32_e32 v6, 0, v6, vcc_lo
	s_branch .LBB119_1321
.LBB119_1320:
	s_mov_b32 s30, -1
                                        ; implicit-def: $vgpr6
.LBB119_1321:
	s_mov_b32 s56, 0
.LBB119_1322:
	s_delay_alu instid0(SALU_CYCLE_1)
	s_and_b32 vcc_lo, exec_lo, s56
	s_cbranch_vccz .LBB119_1326
; %bb.1323:
	s_cmp_eq_u32 s0, 29
	s_cbranch_scc0 .LBB119_1325
; %bb.1324:
	global_load_b32 v6, v[4:5], off
	s_mov_b32 s31, -1
	s_mov_b32 s30, 0
	s_branch .LBB119_1326
.LBB119_1325:
	s_mov_b32 s30, -1
                                        ; implicit-def: $vgpr6
.LBB119_1326:
	s_mov_b32 s56, 0
.LBB119_1327:
	s_delay_alu instid0(SALU_CYCLE_1)
	s_and_b32 vcc_lo, exec_lo, s56
	s_cbranch_vccz .LBB119_1343
; %bb.1328:
	s_cmp_lt_i32 s0, 27
	s_cbranch_scc1 .LBB119_1331
; %bb.1329:
	s_cmp_gt_i32 s0, 27
	s_cbranch_scc0 .LBB119_1332
; %bb.1330:
	s_wait_loadcnt 0x0
	global_load_b32 v6, v[4:5], off
	s_mov_b32 s31, 0
	s_branch .LBB119_1333
.LBB119_1331:
	s_mov_b32 s31, -1
                                        ; implicit-def: $vgpr6
	s_branch .LBB119_1336
.LBB119_1332:
	s_mov_b32 s31, -1
                                        ; implicit-def: $vgpr6
.LBB119_1333:
	s_delay_alu instid0(SALU_CYCLE_1)
	s_and_not1_b32 vcc_lo, exec_lo, s31
	s_cbranch_vccnz .LBB119_1335
; %bb.1334:
	s_wait_loadcnt 0x0
	global_load_u16 v6, v[4:5], off
.LBB119_1335:
	s_mov_b32 s31, 0
.LBB119_1336:
	s_delay_alu instid0(SALU_CYCLE_1)
	s_and_not1_b32 vcc_lo, exec_lo, s31
	s_cbranch_vccnz .LBB119_1342
; %bb.1337:
	global_load_u8 v3, v[4:5], off
	s_mov_b32 s56, 0
	s_mov_b32 s31, exec_lo
	s_wait_loadcnt 0x0
	v_cmpx_lt_i16_e32 0x7f, v3
	s_xor_b32 s31, exec_lo, s31
	s_cbranch_execz .LBB119_1354
; %bb.1338:
	v_cmp_ne_u16_e32 vcc_lo, 0x80, v3
	s_and_b32 s56, vcc_lo, exec_lo
	s_and_not1_saveexec_b32 s31, s31
	s_cbranch_execnz .LBB119_1355
.LBB119_1339:
	s_or_b32 exec_lo, exec_lo, s31
	v_mov_b32_e32 v6, 0
	s_and_saveexec_b32 s31, s56
	s_cbranch_execz .LBB119_1341
.LBB119_1340:
	v_and_b32_e32 v6, 0xffff, v3
	s_delay_alu instid0(VALU_DEP_1) | instskip(SKIP_1) | instid1(VALU_DEP_2)
	v_and_b32_e32 v7, 7, v6
	v_bfe_u32 v11, v6, 3, 4
	v_clz_i32_u32_e32 v9, v7
	s_delay_alu instid0(VALU_DEP_2) | instskip(NEXT) | instid1(VALU_DEP_2)
	v_cmp_eq_u32_e32 vcc_lo, 0, v11
	v_min_u32_e32 v9, 32, v9
	s_delay_alu instid0(VALU_DEP_1) | instskip(NEXT) | instid1(VALU_DEP_1)
	v_subrev_nc_u32_e32 v10, 28, v9
	v_dual_lshlrev_b32 v6, v10, v6 :: v_dual_sub_nc_u32 v9, 29, v9
	s_delay_alu instid0(VALU_DEP_1) | instskip(NEXT) | instid1(VALU_DEP_2)
	v_dual_lshlrev_b32 v3, 24, v3 :: v_dual_bitop2_b32 v6, 7, v6 bitop3:0x40
	v_cndmask_b32_e32 v9, v11, v9, vcc_lo
	s_delay_alu instid0(VALU_DEP_2) | instskip(NEXT) | instid1(VALU_DEP_3)
	v_cndmask_b32_e32 v6, v7, v6, vcc_lo
	v_and_b32_e32 v3, 0x80000000, v3
	s_delay_alu instid0(VALU_DEP_3) | instskip(NEXT) | instid1(VALU_DEP_3)
	v_lshl_add_u32 v7, v9, 23, 0x3b800000
	v_lshlrev_b32_e32 v6, 20, v6
	s_delay_alu instid0(VALU_DEP_1) | instskip(NEXT) | instid1(VALU_DEP_1)
	v_or3_b32 v3, v3, v7, v6
	v_cvt_i32_f32_e32 v6, v3
.LBB119_1341:
	s_or_b32 exec_lo, exec_lo, s31
.LBB119_1342:
	s_mov_b32 s31, -1
.LBB119_1343:
	s_mov_b32 s56, 0
.LBB119_1344:
	s_delay_alu instid0(SALU_CYCLE_1)
	s_and_b32 vcc_lo, exec_lo, s56
	s_cbranch_vccz .LBB119_1377
; %bb.1345:
	s_cmp_gt_i32 s0, 22
	s_cbranch_scc0 .LBB119_1353
; %bb.1346:
	s_cmp_lt_i32 s0, 24
	s_cbranch_scc1 .LBB119_1356
; %bb.1347:
	s_cmp_gt_i32 s0, 24
	s_cbranch_scc0 .LBB119_1357
; %bb.1348:
	global_load_u8 v3, v[4:5], off
	s_mov_b32 s56, 0
	s_mov_b32 s31, exec_lo
	s_wait_loadcnt 0x0
	v_cmpx_lt_i16_e32 0x7f, v3
	s_xor_b32 s31, exec_lo, s31
	s_cbranch_execz .LBB119_1369
; %bb.1349:
	v_cmp_ne_u16_e32 vcc_lo, 0x80, v3
	s_and_b32 s56, vcc_lo, exec_lo
	s_and_not1_saveexec_b32 s31, s31
	s_cbranch_execnz .LBB119_1370
.LBB119_1350:
	s_or_b32 exec_lo, exec_lo, s31
	v_mov_b32_e32 v6, 0
	s_and_saveexec_b32 s31, s56
	s_cbranch_execz .LBB119_1352
.LBB119_1351:
	v_and_b32_e32 v6, 0xffff, v3
	s_delay_alu instid0(VALU_DEP_1) | instskip(SKIP_1) | instid1(VALU_DEP_2)
	v_and_b32_e32 v7, 3, v6
	v_bfe_u32 v11, v6, 2, 5
	v_clz_i32_u32_e32 v9, v7
	s_delay_alu instid0(VALU_DEP_2) | instskip(NEXT) | instid1(VALU_DEP_2)
	v_cmp_eq_u32_e32 vcc_lo, 0, v11
	v_min_u32_e32 v9, 32, v9
	s_delay_alu instid0(VALU_DEP_1) | instskip(NEXT) | instid1(VALU_DEP_1)
	v_subrev_nc_u32_e32 v10, 29, v9
	v_dual_lshlrev_b32 v6, v10, v6 :: v_dual_sub_nc_u32 v9, 30, v9
	s_delay_alu instid0(VALU_DEP_1) | instskip(NEXT) | instid1(VALU_DEP_2)
	v_dual_lshlrev_b32 v3, 24, v3 :: v_dual_bitop2_b32 v6, 3, v6 bitop3:0x40
	v_cndmask_b32_e32 v9, v11, v9, vcc_lo
	s_delay_alu instid0(VALU_DEP_2) | instskip(NEXT) | instid1(VALU_DEP_3)
	v_cndmask_b32_e32 v6, v7, v6, vcc_lo
	v_and_b32_e32 v3, 0x80000000, v3
	s_delay_alu instid0(VALU_DEP_3) | instskip(NEXT) | instid1(VALU_DEP_3)
	v_lshl_add_u32 v7, v9, 23, 0x37800000
	v_lshlrev_b32_e32 v6, 21, v6
	s_delay_alu instid0(VALU_DEP_1) | instskip(NEXT) | instid1(VALU_DEP_1)
	v_or3_b32 v3, v3, v7, v6
	v_cvt_i32_f32_e32 v6, v3
.LBB119_1352:
	s_or_b32 exec_lo, exec_lo, s31
	s_mov_b32 s31, 0
	s_branch .LBB119_1358
.LBB119_1353:
	s_mov_b32 s56, -1
                                        ; implicit-def: $vgpr6
	s_branch .LBB119_1364
.LBB119_1354:
	s_and_not1_saveexec_b32 s31, s31
	s_cbranch_execz .LBB119_1339
.LBB119_1355:
	v_cmp_ne_u16_e32 vcc_lo, 0, v3
	s_and_not1_b32 s56, s56, exec_lo
	s_and_b32 s57, vcc_lo, exec_lo
	s_delay_alu instid0(SALU_CYCLE_1)
	s_or_b32 s56, s56, s57
	s_or_b32 exec_lo, exec_lo, s31
	v_mov_b32_e32 v6, 0
	s_and_saveexec_b32 s31, s56
	s_cbranch_execnz .LBB119_1340
	s_branch .LBB119_1341
.LBB119_1356:
	s_mov_b32 s31, -1
                                        ; implicit-def: $vgpr6
	s_branch .LBB119_1361
.LBB119_1357:
	s_mov_b32 s31, -1
                                        ; implicit-def: $vgpr6
.LBB119_1358:
	s_delay_alu instid0(SALU_CYCLE_1)
	s_and_b32 vcc_lo, exec_lo, s31
	s_cbranch_vccz .LBB119_1360
; %bb.1359:
	global_load_u8 v3, v[4:5], off
	s_wait_loadcnt 0x0
	v_lshlrev_b32_e32 v3, 24, v3
	s_wait_xcnt 0x1
	s_delay_alu instid0(VALU_DEP_1) | instskip(NEXT) | instid1(VALU_DEP_1)
	v_and_b32_e32 v6, 0x7f000000, v3
	v_clz_i32_u32_e32 v7, v6
	v_add_nc_u32_e32 v10, 0x1000000, v6
	v_cmp_ne_u32_e32 vcc_lo, 0, v6
	s_delay_alu instid0(VALU_DEP_3) | instskip(NEXT) | instid1(VALU_DEP_1)
	v_min_u32_e32 v7, 32, v7
	v_sub_nc_u32_e64 v7, v7, 4 clamp
	s_delay_alu instid0(VALU_DEP_1) | instskip(NEXT) | instid1(VALU_DEP_1)
	v_dual_lshlrev_b32 v9, v7, v6 :: v_dual_lshlrev_b32 v7, 23, v7
	v_lshrrev_b32_e32 v9, 4, v9
	s_delay_alu instid0(VALU_DEP_1) | instskip(NEXT) | instid1(VALU_DEP_1)
	v_dual_sub_nc_u32 v7, v9, v7 :: v_dual_ashrrev_i32 v9, 8, v10
	v_add_nc_u32_e32 v7, 0x3c000000, v7
	s_delay_alu instid0(VALU_DEP_1) | instskip(NEXT) | instid1(VALU_DEP_1)
	v_and_or_b32 v7, 0x7f800000, v9, v7
	v_cndmask_b32_e32 v6, 0, v7, vcc_lo
	s_delay_alu instid0(VALU_DEP_1) | instskip(NEXT) | instid1(VALU_DEP_1)
	v_and_or_b32 v3, 0x80000000, v3, v6
	v_cvt_i32_f32_e32 v6, v3
.LBB119_1360:
	s_mov_b32 s31, 0
.LBB119_1361:
	s_delay_alu instid0(SALU_CYCLE_1)
	s_and_not1_b32 vcc_lo, exec_lo, s31
	s_cbranch_vccnz .LBB119_1363
; %bb.1362:
	global_load_u8 v3, v[4:5], off
	s_wait_loadcnt 0x0
	s_wait_xcnt 0x1
	v_lshlrev_b32_e32 v6, 25, v3
	v_lshlrev_b16 v3, 8, v3
	s_delay_alu instid0(VALU_DEP_1) | instskip(SKIP_1) | instid1(VALU_DEP_2)
	v_and_or_b32 v9, 0x7f00, v3, 0.5
	v_bfe_i32 v3, v3, 0, 16
	v_dual_add_f32 v9, -0.5, v9 :: v_dual_lshrrev_b32 v7, 4, v6
	v_cmp_gt_u32_e32 vcc_lo, 0x8000000, v6
	s_delay_alu instid0(VALU_DEP_2) | instskip(NEXT) | instid1(VALU_DEP_1)
	v_or_b32_e32 v7, 0x70000000, v7
	v_mul_f32_e32 v7, 0x7800000, v7
	s_delay_alu instid0(VALU_DEP_1) | instskip(NEXT) | instid1(VALU_DEP_1)
	v_cndmask_b32_e32 v6, v7, v9, vcc_lo
	v_and_or_b32 v3, 0x80000000, v3, v6
	s_delay_alu instid0(VALU_DEP_1)
	v_cvt_i32_f32_e32 v6, v3
.LBB119_1363:
	s_mov_b32 s56, 0
	s_mov_b32 s31, -1
.LBB119_1364:
	s_and_not1_b32 vcc_lo, exec_lo, s56
	s_cbranch_vccnz .LBB119_1377
; %bb.1365:
	s_cmp_gt_i32 s0, 14
	s_cbranch_scc0 .LBB119_1368
; %bb.1366:
	s_cmp_eq_u32 s0, 15
	s_cbranch_scc0 .LBB119_1371
; %bb.1367:
	global_load_u16 v3, v[4:5], off
	s_mov_b32 s31, -1
	s_mov_b32 s30, 0
	s_wait_loadcnt 0x0
	v_lshlrev_b32_e32 v3, 16, v3
	s_wait_xcnt 0x1
	s_delay_alu instid0(VALU_DEP_1)
	v_cvt_i32_f32_e32 v6, v3
	s_branch .LBB119_1372
.LBB119_1368:
	s_mov_b32 s56, -1
                                        ; implicit-def: $vgpr6
	s_branch .LBB119_1373
.LBB119_1369:
	s_and_not1_saveexec_b32 s31, s31
	s_cbranch_execz .LBB119_1350
.LBB119_1370:
	v_cmp_ne_u16_e32 vcc_lo, 0, v3
	s_and_not1_b32 s56, s56, exec_lo
	s_and_b32 s57, vcc_lo, exec_lo
	s_delay_alu instid0(SALU_CYCLE_1)
	s_or_b32 s56, s56, s57
	s_or_b32 exec_lo, exec_lo, s31
	v_mov_b32_e32 v6, 0
	s_and_saveexec_b32 s31, s56
	s_cbranch_execnz .LBB119_1351
	s_branch .LBB119_1352
.LBB119_1371:
	s_mov_b32 s30, -1
                                        ; implicit-def: $vgpr6
.LBB119_1372:
	s_mov_b32 s56, 0
.LBB119_1373:
	s_delay_alu instid0(SALU_CYCLE_1)
	s_and_b32 vcc_lo, exec_lo, s56
	s_cbranch_vccz .LBB119_1377
; %bb.1374:
	s_cmp_eq_u32 s0, 11
	s_cbranch_scc0 .LBB119_1376
; %bb.1375:
	global_load_u8 v3, v[4:5], off
	s_mov_b32 s30, 0
	s_mov_b32 s31, -1
	s_wait_loadcnt 0x0
	v_cmp_ne_u16_e32 vcc_lo, 0, v3
	s_wait_xcnt 0x1
	v_cndmask_b32_e64 v6, 0, 1, vcc_lo
	s_branch .LBB119_1377
.LBB119_1376:
	s_mov_b32 s30, -1
                                        ; implicit-def: $vgpr6
.LBB119_1377:
	s_mov_b32 s56, 0
.LBB119_1378:
	s_delay_alu instid0(SALU_CYCLE_1)
	s_and_b32 vcc_lo, exec_lo, s56
	s_cbranch_vccz .LBB119_1427
; %bb.1379:
	s_cmp_lt_i32 s0, 5
	s_cbranch_scc1 .LBB119_1384
; %bb.1380:
	s_cmp_lt_i32 s0, 8
	s_cbranch_scc1 .LBB119_1385
	;; [unrolled: 3-line block ×3, first 2 shown]
; %bb.1382:
	s_cmp_gt_i32 s0, 9
	s_cbranch_scc0 .LBB119_1387
; %bb.1383:
	s_wait_loadcnt 0x0
	global_load_b64 v[6:7], v[4:5], off
	s_mov_b32 s31, 0
	s_wait_loadcnt 0x0
	v_cvt_i32_f64_e32 v6, v[6:7]
	s_branch .LBB119_1388
.LBB119_1384:
	s_mov_b32 s31, -1
                                        ; implicit-def: $vgpr6
	s_branch .LBB119_1406
.LBB119_1385:
	s_mov_b32 s31, -1
                                        ; implicit-def: $vgpr6
	s_branch .LBB119_1394
.LBB119_1386:
	s_mov_b32 s31, -1
                                        ; implicit-def: $vgpr6
	s_branch .LBB119_1391
.LBB119_1387:
	s_mov_b32 s31, -1
                                        ; implicit-def: $vgpr6
.LBB119_1388:
	s_delay_alu instid0(SALU_CYCLE_1)
	s_and_not1_b32 vcc_lo, exec_lo, s31
	s_cbranch_vccnz .LBB119_1390
; %bb.1389:
	global_load_b32 v3, v[4:5], off
	s_wait_loadcnt 0x0
	s_wait_xcnt 0x1
	v_cvt_i32_f32_e32 v6, v3
.LBB119_1390:
	s_mov_b32 s31, 0
.LBB119_1391:
	s_delay_alu instid0(SALU_CYCLE_1)
	s_and_not1_b32 vcc_lo, exec_lo, s31
	s_cbranch_vccnz .LBB119_1393
; %bb.1392:
	global_load_b32 v3, v[4:5], off
	s_wait_loadcnt 0x0
	v_cvt_f32_f16_e32 v3, v3
	s_wait_xcnt 0x1
	s_delay_alu instid0(VALU_DEP_1)
	v_cvt_i32_f32_e32 v6, v3
.LBB119_1393:
	s_mov_b32 s31, 0
.LBB119_1394:
	s_delay_alu instid0(SALU_CYCLE_1)
	s_and_not1_b32 vcc_lo, exec_lo, s31
	s_cbranch_vccnz .LBB119_1405
; %bb.1395:
	s_cmp_lt_i32 s0, 6
	s_cbranch_scc1 .LBB119_1398
; %bb.1396:
	s_cmp_gt_i32 s0, 6
	s_cbranch_scc0 .LBB119_1399
; %bb.1397:
	s_wait_loadcnt 0x0
	global_load_b64 v[6:7], v[4:5], off
	s_mov_b32 s31, 0
	s_wait_loadcnt 0x0
	v_cvt_i32_f64_e32 v6, v[6:7]
	s_branch .LBB119_1400
.LBB119_1398:
	s_mov_b32 s31, -1
                                        ; implicit-def: $vgpr6
	s_branch .LBB119_1403
.LBB119_1399:
	s_mov_b32 s31, -1
                                        ; implicit-def: $vgpr6
.LBB119_1400:
	s_delay_alu instid0(SALU_CYCLE_1)
	s_and_not1_b32 vcc_lo, exec_lo, s31
	s_cbranch_vccnz .LBB119_1402
; %bb.1401:
	global_load_b32 v3, v[4:5], off
	s_wait_loadcnt 0x0
	s_wait_xcnt 0x1
	v_cvt_i32_f32_e32 v6, v3
.LBB119_1402:
	s_mov_b32 s31, 0
.LBB119_1403:
	s_delay_alu instid0(SALU_CYCLE_1)
	s_and_not1_b32 vcc_lo, exec_lo, s31
	s_cbranch_vccnz .LBB119_1405
; %bb.1404:
	global_load_u16 v3, v[4:5], off
	s_wait_loadcnt 0x0
	v_cvt_f32_f16_e32 v3, v3
	s_wait_xcnt 0x1
	s_delay_alu instid0(VALU_DEP_1)
	v_cvt_i32_f32_e32 v6, v3
.LBB119_1405:
	s_mov_b32 s31, 0
.LBB119_1406:
	s_delay_alu instid0(SALU_CYCLE_1)
	s_and_not1_b32 vcc_lo, exec_lo, s31
	s_cbranch_vccnz .LBB119_1426
; %bb.1407:
	s_cmp_lt_i32 s0, 2
	s_cbranch_scc1 .LBB119_1411
; %bb.1408:
	s_cmp_lt_i32 s0, 3
	s_cbranch_scc1 .LBB119_1412
; %bb.1409:
	s_cmp_gt_i32 s0, 3
	s_cbranch_scc0 .LBB119_1413
; %bb.1410:
	s_wait_loadcnt 0x0
	global_load_b32 v6, v[4:5], off
	s_mov_b32 s31, 0
	s_branch .LBB119_1414
.LBB119_1411:
	s_mov_b32 s31, -1
                                        ; implicit-def: $vgpr6
	s_branch .LBB119_1420
.LBB119_1412:
	s_mov_b32 s31, -1
                                        ; implicit-def: $vgpr6
	s_branch .LBB119_1417
.LBB119_1413:
	s_mov_b32 s31, -1
                                        ; implicit-def: $vgpr6
.LBB119_1414:
	s_delay_alu instid0(SALU_CYCLE_1)
	s_and_not1_b32 vcc_lo, exec_lo, s31
	s_cbranch_vccnz .LBB119_1416
; %bb.1415:
	s_wait_loadcnt 0x0
	global_load_b32 v6, v[4:5], off
.LBB119_1416:
	s_mov_b32 s31, 0
.LBB119_1417:
	s_delay_alu instid0(SALU_CYCLE_1)
	s_and_not1_b32 vcc_lo, exec_lo, s31
	s_cbranch_vccnz .LBB119_1419
; %bb.1418:
	s_wait_loadcnt 0x0
	global_load_i16 v6, v[4:5], off
.LBB119_1419:
	s_mov_b32 s31, 0
.LBB119_1420:
	s_delay_alu instid0(SALU_CYCLE_1)
	s_and_not1_b32 vcc_lo, exec_lo, s31
	s_cbranch_vccnz .LBB119_1426
; %bb.1421:
	s_cmp_gt_i32 s0, 0
	s_mov_b32 s0, 0
	s_cbranch_scc0 .LBB119_1423
; %bb.1422:
	s_wait_loadcnt 0x0
	global_load_i8 v6, v[4:5], off
	s_branch .LBB119_1424
.LBB119_1423:
	s_mov_b32 s0, -1
                                        ; implicit-def: $vgpr6
.LBB119_1424:
	s_delay_alu instid0(SALU_CYCLE_1)
	s_and_not1_b32 vcc_lo, exec_lo, s0
	s_cbranch_vccnz .LBB119_1426
; %bb.1425:
	s_wait_loadcnt 0x0
	global_load_u8 v6, v[4:5], off
.LBB119_1426:
	s_mov_b32 s31, -1
.LBB119_1427:
	s_delay_alu instid0(SALU_CYCLE_1)
	s_and_not1_b32 vcc_lo, exec_lo, s31
	s_cbranch_vccnz .LBB119_1435
; %bb.1428:
	v_mov_b32_e32 v3, 0
	s_wait_loadcnt 0x0
	s_delay_alu instid0(VALU_DEP_2) | instskip(SKIP_1) | instid1(SALU_CYCLE_1)
	v_maxmin_i32 v4, v1, v8, v6
	s_and_b32 s31, s38, 0xff
	s_cmp_lt_i32 s31, 11
	v_add_nc_u64_e32 v[2:3], s[4:5], v[2:3]
	s_cbranch_scc1 .LBB119_1436
; %bb.1429:
	s_and_b32 s56, 0xffff, s31
	s_delay_alu instid0(SALU_CYCLE_1)
	s_cmp_gt_i32 s56, 25
	s_cbranch_scc0 .LBB119_1437
; %bb.1430:
	s_cmp_gt_i32 s56, 28
	s_cbranch_scc0 .LBB119_1438
; %bb.1431:
	;; [unrolled: 3-line block ×4, first 2 shown]
	s_mov_b32 s58, 0
	s_mov_b32 s0, -1
	s_cmp_eq_u32 s56, 46
	s_mov_b32 s57, 0
	s_cbranch_scc0 .LBB119_1441
; %bb.1434:
	v_cvt_f32_i32_e32 v1, v4
	s_mov_b32 s57, -1
	s_mov_b32 s0, 0
	s_delay_alu instid0(VALU_DEP_1) | instskip(NEXT) | instid1(VALU_DEP_1)
	v_bfe_u32 v5, v1, 16, 1
	v_add3_u32 v1, v1, v5, 0x7fff
	s_delay_alu instid0(VALU_DEP_1)
	v_lshrrev_b32_e32 v1, 16, v1
	global_store_b32 v[2:3], v1, off
	s_branch .LBB119_1441
.LBB119_1435:
	s_mov_b32 s31, 0
	s_mov_b32 s0, s51
	s_branch .LBB119_1552
.LBB119_1436:
	s_mov_b32 s56, -1
	s_mov_b32 s57, 0
	s_mov_b32 s0, s51
	s_branch .LBB119_1510
.LBB119_1437:
	s_mov_b32 s58, -1
	s_mov_b32 s57, 0
	s_mov_b32 s0, s51
	s_branch .LBB119_1468
.LBB119_1438:
	s_mov_b32 s58, -1
	s_mov_b32 s57, 0
	s_mov_b32 s0, s51
	s_branch .LBB119_1451
.LBB119_1439:
	s_mov_b32 s58, -1
	s_mov_b32 s57, 0
	s_mov_b32 s0, s51
	s_branch .LBB119_1447
.LBB119_1440:
	s_mov_b32 s58, -1
	s_mov_b32 s57, 0
	s_mov_b32 s0, s51
.LBB119_1441:
	s_and_b32 vcc_lo, exec_lo, s58
	s_cbranch_vccz .LBB119_1446
; %bb.1442:
	s_cmp_eq_u32 s56, 44
	s_mov_b32 s0, -1
	s_cbranch_scc0 .LBB119_1446
; %bb.1443:
	s_wait_xcnt 0x0
	v_cvt_f32_i32_e32 v1, v4
	v_mov_b32_e32 v5, 0xff
	s_mov_b32 s57, exec_lo
	s_delay_alu instid0(VALU_DEP_2) | instskip(NEXT) | instid1(VALU_DEP_1)
	v_bfe_u32 v6, v1, 23, 8
	v_cmpx_ne_u32_e32 0xff, v6
	s_cbranch_execz .LBB119_1445
; %bb.1444:
	v_and_b32_e32 v5, 0x400000, v1
	v_and_or_b32 v6, 0x3fffff, v1, v6
	v_lshrrev_b32_e32 v1, 23, v1
	s_delay_alu instid0(VALU_DEP_3) | instskip(NEXT) | instid1(VALU_DEP_3)
	v_cmp_ne_u32_e32 vcc_lo, 0, v5
	v_cmp_ne_u32_e64 s0, 0, v6
	s_and_b32 s0, vcc_lo, s0
	s_delay_alu instid0(SALU_CYCLE_1) | instskip(NEXT) | instid1(VALU_DEP_1)
	v_cndmask_b32_e64 v5, 0, 1, s0
	v_add_nc_u32_e32 v5, v1, v5
.LBB119_1445:
	s_or_b32 exec_lo, exec_lo, s57
	s_mov_b32 s57, -1
	s_mov_b32 s0, 0
	global_store_b8 v[2:3], v5, off
.LBB119_1446:
	s_mov_b32 s58, 0
.LBB119_1447:
	s_delay_alu instid0(SALU_CYCLE_1)
	s_and_b32 vcc_lo, exec_lo, s58
	s_cbranch_vccz .LBB119_1450
; %bb.1448:
	s_cmp_eq_u32 s56, 29
	s_mov_b32 s0, -1
	s_cbranch_scc0 .LBB119_1450
; %bb.1449:
	s_wait_xcnt 0x0
	v_ashrrev_i32_e32 v5, 31, v4
	s_mov_b32 s57, -1
	s_mov_b32 s0, 0
	s_mov_b32 s58, 0
	global_store_b64 v[2:3], v[4:5], off
	s_branch .LBB119_1451
.LBB119_1450:
	s_mov_b32 s58, 0
.LBB119_1451:
	s_delay_alu instid0(SALU_CYCLE_1)
	s_and_b32 vcc_lo, exec_lo, s58
	s_cbranch_vccz .LBB119_1467
; %bb.1452:
	s_cmp_lt_i32 s56, 27
	s_mov_b32 s57, -1
	s_cbranch_scc1 .LBB119_1458
; %bb.1453:
	s_cmp_gt_i32 s56, 27
	s_cbranch_scc0 .LBB119_1455
; %bb.1454:
	s_mov_b32 s57, 0
	global_store_b32 v[2:3], v4, off
.LBB119_1455:
	s_and_not1_b32 vcc_lo, exec_lo, s57
	s_cbranch_vccnz .LBB119_1457
; %bb.1456:
	global_store_b16 v[2:3], v4, off
.LBB119_1457:
	s_mov_b32 s57, 0
.LBB119_1458:
	s_delay_alu instid0(SALU_CYCLE_1)
	s_and_not1_b32 vcc_lo, exec_lo, s57
	s_cbranch_vccnz .LBB119_1466
; %bb.1459:
	s_wait_xcnt 0x0
	v_cvt_f32_i32_e32 v1, v4
	v_mov_b32_e32 v6, 0x80
	s_mov_b32 s57, exec_lo
	s_delay_alu instid0(VALU_DEP_2) | instskip(NEXT) | instid1(VALU_DEP_1)
	v_and_b32_e32 v5, 0x7fffffff, v1
	v_cmpx_gt_u32_e32 0x43800000, v5
	s_cbranch_execz .LBB119_1465
; %bb.1460:
	v_cmp_lt_u32_e32 vcc_lo, 0x3bffffff, v5
	s_mov_b32 s58, 0
                                        ; implicit-def: $vgpr5
	s_and_saveexec_b32 s59, vcc_lo
	s_delay_alu instid0(SALU_CYCLE_1)
	s_xor_b32 s59, exec_lo, s59
	s_cbranch_execz .LBB119_2745
; %bb.1461:
	v_bfe_u32 v5, v1, 20, 1
	s_mov_b32 s58, exec_lo
	s_delay_alu instid0(VALU_DEP_1) | instskip(NEXT) | instid1(VALU_DEP_1)
	v_add3_u32 v5, v1, v5, 0x487ffff
	v_lshrrev_b32_e32 v5, 20, v5
	s_and_not1_saveexec_b32 s59, s59
	s_cbranch_execnz .LBB119_2746
.LBB119_1462:
	s_or_b32 exec_lo, exec_lo, s59
	v_mov_b32_e32 v6, 0
	s_and_saveexec_b32 s59, s58
.LBB119_1463:
	v_lshrrev_b32_e32 v1, 24, v1
	s_delay_alu instid0(VALU_DEP_1)
	v_and_or_b32 v6, 0x80, v1, v5
.LBB119_1464:
	s_or_b32 exec_lo, exec_lo, s59
.LBB119_1465:
	s_delay_alu instid0(SALU_CYCLE_1)
	s_or_b32 exec_lo, exec_lo, s57
	global_store_b8 v[2:3], v6, off
.LBB119_1466:
	s_mov_b32 s57, -1
.LBB119_1467:
	s_mov_b32 s58, 0
.LBB119_1468:
	s_delay_alu instid0(SALU_CYCLE_1)
	s_and_b32 vcc_lo, exec_lo, s58
	s_cbranch_vccz .LBB119_1509
; %bb.1469:
	s_cmp_gt_i32 s56, 22
	s_mov_b32 s58, -1
	s_cbranch_scc0 .LBB119_1501
; %bb.1470:
	s_cmp_lt_i32 s56, 24
	s_mov_b32 s57, -1
	s_cbranch_scc1 .LBB119_1490
; %bb.1471:
	s_cmp_gt_i32 s56, 24
	s_cbranch_scc0 .LBB119_1479
; %bb.1472:
	s_wait_xcnt 0x0
	v_cvt_f32_i32_e32 v1, v4
	v_mov_b32_e32 v6, 0x80
	s_mov_b32 s57, exec_lo
	s_delay_alu instid0(VALU_DEP_2) | instskip(NEXT) | instid1(VALU_DEP_1)
	v_and_b32_e32 v5, 0x7fffffff, v1
	v_cmpx_gt_u32_e32 0x47800000, v5
	s_cbranch_execz .LBB119_1478
; %bb.1473:
	v_cmp_lt_u32_e32 vcc_lo, 0x37ffffff, v5
	s_mov_b32 s58, 0
                                        ; implicit-def: $vgpr5
	s_and_saveexec_b32 s59, vcc_lo
	s_delay_alu instid0(SALU_CYCLE_1)
	s_xor_b32 s59, exec_lo, s59
	s_cbranch_execz .LBB119_2874
; %bb.1474:
	v_bfe_u32 v5, v1, 21, 1
	s_mov_b32 s58, exec_lo
	s_delay_alu instid0(VALU_DEP_1) | instskip(NEXT) | instid1(VALU_DEP_1)
	v_add3_u32 v5, v1, v5, 0x88fffff
	v_lshrrev_b32_e32 v5, 21, v5
	s_and_not1_saveexec_b32 s59, s59
	s_cbranch_execnz .LBB119_2875
.LBB119_1475:
	s_or_b32 exec_lo, exec_lo, s59
	v_mov_b32_e32 v6, 0
	s_and_saveexec_b32 s59, s58
.LBB119_1476:
	v_lshrrev_b32_e32 v1, 24, v1
	s_delay_alu instid0(VALU_DEP_1)
	v_and_or_b32 v6, 0x80, v1, v5
.LBB119_1477:
	s_or_b32 exec_lo, exec_lo, s59
.LBB119_1478:
	s_delay_alu instid0(SALU_CYCLE_1)
	s_or_b32 exec_lo, exec_lo, s57
	s_mov_b32 s57, 0
	global_store_b8 v[2:3], v6, off
.LBB119_1479:
	s_and_b32 vcc_lo, exec_lo, s57
	s_cbranch_vccz .LBB119_1489
; %bb.1480:
	s_wait_xcnt 0x0
	v_cvt_f32_i32_e32 v1, v4
	s_mov_b32 s57, exec_lo
                                        ; implicit-def: $vgpr5
	s_delay_alu instid0(VALU_DEP_1) | instskip(NEXT) | instid1(VALU_DEP_1)
	v_and_b32_e32 v6, 0x7fffffff, v1
	v_cmpx_gt_u32_e32 0x43f00000, v6
	s_xor_b32 s57, exec_lo, s57
	s_cbranch_execz .LBB119_1486
; %bb.1481:
	s_mov_b32 s58, exec_lo
                                        ; implicit-def: $vgpr5
	v_cmpx_lt_u32_e32 0x3c7fffff, v6
	s_xor_b32 s58, exec_lo, s58
; %bb.1482:
	v_bfe_u32 v5, v1, 20, 1
	s_delay_alu instid0(VALU_DEP_1) | instskip(NEXT) | instid1(VALU_DEP_1)
	v_add3_u32 v5, v1, v5, 0x407ffff
	v_and_b32_e32 v6, 0xff00000, v5
	v_lshrrev_b32_e32 v5, 20, v5
	s_delay_alu instid0(VALU_DEP_2) | instskip(NEXT) | instid1(VALU_DEP_2)
	v_cmp_ne_u32_e32 vcc_lo, 0x7f00000, v6
	v_cndmask_b32_e32 v5, 0x7e, v5, vcc_lo
; %bb.1483:
	s_and_not1_saveexec_b32 s58, s58
; %bb.1484:
	v_add_f32_e64 v5, 0x46800000, |v1|
; %bb.1485:
	s_or_b32 exec_lo, exec_lo, s58
                                        ; implicit-def: $vgpr6
.LBB119_1486:
	s_and_not1_saveexec_b32 s57, s57
; %bb.1487:
	v_mov_b32_e32 v5, 0x7f
	v_cmp_lt_u32_e32 vcc_lo, 0x7f800000, v6
	s_delay_alu instid0(VALU_DEP_2)
	v_cndmask_b32_e32 v5, 0x7e, v5, vcc_lo
; %bb.1488:
	s_or_b32 exec_lo, exec_lo, s57
	v_lshrrev_b32_e32 v1, 24, v1
	s_delay_alu instid0(VALU_DEP_1)
	v_and_or_b32 v1, 0x80, v1, v5
	global_store_b8 v[2:3], v1, off
.LBB119_1489:
	s_mov_b32 s57, 0
.LBB119_1490:
	s_delay_alu instid0(SALU_CYCLE_1)
	s_and_not1_b32 vcc_lo, exec_lo, s57
	s_cbranch_vccnz .LBB119_1500
; %bb.1491:
	s_wait_xcnt 0x0
	v_cvt_f32_i32_e32 v1, v4
	s_mov_b32 s57, exec_lo
                                        ; implicit-def: $vgpr5
	s_delay_alu instid0(VALU_DEP_1) | instskip(NEXT) | instid1(VALU_DEP_1)
	v_and_b32_e32 v6, 0x7fffffff, v1
	v_cmpx_gt_u32_e32 0x47800000, v6
	s_xor_b32 s57, exec_lo, s57
	s_cbranch_execz .LBB119_1497
; %bb.1492:
	s_mov_b32 s58, exec_lo
                                        ; implicit-def: $vgpr5
	v_cmpx_lt_u32_e32 0x387fffff, v6
	s_xor_b32 s58, exec_lo, s58
; %bb.1493:
	v_bfe_u32 v5, v1, 21, 1
	s_delay_alu instid0(VALU_DEP_1) | instskip(NEXT) | instid1(VALU_DEP_1)
	v_add3_u32 v5, v1, v5, 0x80fffff
	v_lshrrev_b32_e32 v5, 21, v5
; %bb.1494:
	s_and_not1_saveexec_b32 s58, s58
; %bb.1495:
	v_add_f32_e64 v5, 0x43000000, |v1|
; %bb.1496:
	s_or_b32 exec_lo, exec_lo, s58
                                        ; implicit-def: $vgpr6
.LBB119_1497:
	s_and_not1_saveexec_b32 s57, s57
; %bb.1498:
	v_mov_b32_e32 v5, 0x7f
	v_cmp_lt_u32_e32 vcc_lo, 0x7f800000, v6
	s_delay_alu instid0(VALU_DEP_2)
	v_cndmask_b32_e32 v5, 0x7c, v5, vcc_lo
; %bb.1499:
	s_or_b32 exec_lo, exec_lo, s57
	v_lshrrev_b32_e32 v1, 24, v1
	s_delay_alu instid0(VALU_DEP_1)
	v_and_or_b32 v1, 0x80, v1, v5
	global_store_b8 v[2:3], v1, off
.LBB119_1500:
	s_mov_b32 s58, 0
	s_mov_b32 s57, -1
.LBB119_1501:
	s_and_not1_b32 vcc_lo, exec_lo, s58
	s_cbranch_vccnz .LBB119_1509
; %bb.1502:
	s_cmp_gt_i32 s56, 14
	s_mov_b32 s58, -1
	s_cbranch_scc0 .LBB119_1506
; %bb.1503:
	s_cmp_eq_u32 s56, 15
	s_mov_b32 s0, -1
	s_cbranch_scc0 .LBB119_1505
; %bb.1504:
	s_wait_xcnt 0x0
	v_cvt_f32_i32_e32 v1, v4
	s_mov_b32 s57, -1
	s_mov_b32 s0, 0
	s_delay_alu instid0(VALU_DEP_1) | instskip(NEXT) | instid1(VALU_DEP_1)
	v_bfe_u32 v5, v1, 16, 1
	v_add3_u32 v1, v1, v5, 0x7fff
	global_store_d16_hi_b16 v[2:3], v1, off
.LBB119_1505:
	s_mov_b32 s58, 0
.LBB119_1506:
	s_delay_alu instid0(SALU_CYCLE_1)
	s_and_b32 vcc_lo, exec_lo, s58
	s_cbranch_vccz .LBB119_1509
; %bb.1507:
	s_cmp_eq_u32 s56, 11
	s_mov_b32 s0, -1
	s_cbranch_scc0 .LBB119_1509
; %bb.1508:
	v_cmp_ne_u32_e32 vcc_lo, 0, v4
	s_mov_b32 s0, 0
	s_mov_b32 s57, -1
	s_wait_xcnt 0x0
	v_cndmask_b32_e64 v1, 0, 1, vcc_lo
	global_store_b8 v[2:3], v1, off
.LBB119_1509:
	s_mov_b32 s56, 0
.LBB119_1510:
	s_delay_alu instid0(SALU_CYCLE_1)
	s_and_b32 vcc_lo, exec_lo, s56
	s_cbranch_vccz .LBB119_1549
; %bb.1511:
	s_and_b32 s31, 0xffff, s31
	s_mov_b32 s56, -1
	s_cmp_lt_i32 s31, 5
	s_cbranch_scc1 .LBB119_1532
; %bb.1512:
	s_cmp_lt_i32 s31, 8
	s_cbranch_scc1 .LBB119_1522
; %bb.1513:
	;; [unrolled: 3-line block ×3, first 2 shown]
	s_cmp_gt_i32 s31, 9
	s_cbranch_scc0 .LBB119_1516
; %bb.1515:
	s_wait_xcnt 0x0
	v_cvt_f64_i32_e32 v[6:7], v4
	v_mov_b32_e32 v8, 0
	s_mov_b32 s56, 0
	s_delay_alu instid0(VALU_DEP_1)
	v_mov_b32_e32 v9, v8
	global_store_b128 v[2:3], v[6:9], off
.LBB119_1516:
	s_and_not1_b32 vcc_lo, exec_lo, s56
	s_cbranch_vccnz .LBB119_1518
; %bb.1517:
	s_wait_xcnt 0x0
	v_cvt_f32_i32_e32 v6, v4
	v_mov_b32_e32 v7, 0
	global_store_b64 v[2:3], v[6:7], off
.LBB119_1518:
	s_mov_b32 s56, 0
.LBB119_1519:
	s_delay_alu instid0(SALU_CYCLE_1)
	s_and_not1_b32 vcc_lo, exec_lo, s56
	s_cbranch_vccnz .LBB119_1521
; %bb.1520:
	s_wait_xcnt 0x0
	v_cvt_f32_i32_e32 v1, v4
	s_delay_alu instid0(VALU_DEP_1) | instskip(NEXT) | instid1(VALU_DEP_1)
	v_cvt_f16_f32_e32 v1, v1
	v_and_b32_e32 v1, 0xffff, v1
	global_store_b32 v[2:3], v1, off
.LBB119_1521:
	s_mov_b32 s56, 0
.LBB119_1522:
	s_delay_alu instid0(SALU_CYCLE_1)
	s_and_not1_b32 vcc_lo, exec_lo, s56
	s_cbranch_vccnz .LBB119_1531
; %bb.1523:
	s_cmp_lt_i32 s31, 6
	s_mov_b32 s56, -1
	s_cbranch_scc1 .LBB119_1529
; %bb.1524:
	s_cmp_gt_i32 s31, 6
	s_cbranch_scc0 .LBB119_1526
; %bb.1525:
	s_wait_xcnt 0x0
	v_cvt_f64_i32_e32 v[6:7], v4
	s_mov_b32 s56, 0
	global_store_b64 v[2:3], v[6:7], off
.LBB119_1526:
	s_and_not1_b32 vcc_lo, exec_lo, s56
	s_cbranch_vccnz .LBB119_1528
; %bb.1527:
	s_wait_xcnt 0x0
	v_cvt_f32_i32_e32 v1, v4
	global_store_b32 v[2:3], v1, off
.LBB119_1528:
	s_mov_b32 s56, 0
.LBB119_1529:
	s_delay_alu instid0(SALU_CYCLE_1)
	s_and_not1_b32 vcc_lo, exec_lo, s56
	s_cbranch_vccnz .LBB119_1531
; %bb.1530:
	s_wait_xcnt 0x0
	v_cvt_f32_i32_e32 v1, v4
	s_delay_alu instid0(VALU_DEP_1)
	v_cvt_f16_f32_e32 v1, v1
	global_store_b16 v[2:3], v1, off
.LBB119_1531:
	s_mov_b32 s56, 0
.LBB119_1532:
	s_delay_alu instid0(SALU_CYCLE_1)
	s_and_not1_b32 vcc_lo, exec_lo, s56
	s_cbranch_vccnz .LBB119_1548
; %bb.1533:
	s_cmp_lt_i32 s31, 2
	s_mov_b32 s56, -1
	s_cbranch_scc1 .LBB119_1543
; %bb.1534:
	s_cmp_lt_i32 s31, 3
	s_cbranch_scc1 .LBB119_1540
; %bb.1535:
	s_cmp_gt_i32 s31, 3
	s_cbranch_scc0 .LBB119_1537
; %bb.1536:
	s_wait_xcnt 0x0
	v_ashrrev_i32_e32 v5, 31, v4
	s_mov_b32 s56, 0
	global_store_b64 v[2:3], v[4:5], off
.LBB119_1537:
	s_and_not1_b32 vcc_lo, exec_lo, s56
	s_cbranch_vccnz .LBB119_1539
; %bb.1538:
	global_store_b32 v[2:3], v4, off
.LBB119_1539:
	s_mov_b32 s56, 0
.LBB119_1540:
	s_delay_alu instid0(SALU_CYCLE_1)
	s_and_not1_b32 vcc_lo, exec_lo, s56
	s_cbranch_vccnz .LBB119_1542
; %bb.1541:
	global_store_b16 v[2:3], v4, off
.LBB119_1542:
	s_mov_b32 s56, 0
.LBB119_1543:
	s_delay_alu instid0(SALU_CYCLE_1)
	s_and_not1_b32 vcc_lo, exec_lo, s56
	s_cbranch_vccnz .LBB119_1548
; %bb.1544:
	s_cmp_gt_i32 s31, 0
	s_mov_b32 s31, -1
	s_cbranch_scc0 .LBB119_1546
; %bb.1545:
	s_mov_b32 s31, 0
	global_store_b8 v[2:3], v4, off
.LBB119_1546:
	s_and_not1_b32 vcc_lo, exec_lo, s31
	s_cbranch_vccnz .LBB119_1548
; %bb.1547:
	global_store_b8 v[2:3], v4, off
.LBB119_1548:
	s_mov_b32 s57, -1
.LBB119_1549:
	s_delay_alu instid0(SALU_CYCLE_1)
	s_and_not1_b32 vcc_lo, exec_lo, s57
	s_cbranch_vccnz .LBB119_1551
; %bb.1550:
	v_add_nc_u32_e32 v0, 0x80, v0
	s_mov_b32 s31, -1
	s_branch .LBB119_1553
.LBB119_1551:
	s_mov_b32 s31, 0
.LBB119_1552:
                                        ; implicit-def: $vgpr0
.LBB119_1553:
	s_and_not1_b32 s56, s51, exec_lo
	s_and_b32 s0, s0, exec_lo
	s_and_not1_b32 s57, s52, exec_lo
	s_and_b32 s30, s30, exec_lo
	s_or_b32 s59, s56, s0
	s_or_b32 s57, s57, s30
	s_and_not1_b32 s0, s53, exec_lo
	s_and_b32 s29, s29, exec_lo
	s_and_not1_b32 s30, s50, exec_lo
	s_and_b32 s28, s28, exec_lo
	s_or_b32 s58, s0, s29
	s_or_b32 s56, s30, s28
	s_or_not1_b32 s31, s31, exec_lo
.LBB119_1554:
	s_wait_xcnt 0x0
	s_or_b32 exec_lo, exec_lo, s55
	s_mov_b32 s29, 0
	s_mov_b32 s30, 0
	;; [unrolled: 1-line block ×3, first 2 shown]
                                        ; implicit-def: $sgpr0
                                        ; implicit-def: $vgpr8_vgpr9
                                        ; implicit-def: $vgpr2
                                        ; implicit-def: $vgpr4
                                        ; implicit-def: $vgpr6
                                        ; implicit-def: $vgpr10
	s_and_saveexec_b32 s55, s31
	s_cbranch_execz .LBB119_1643
; %bb.1555:
	v_cmp_gt_i32_e32 vcc_lo, s44, v0
	s_mov_b32 s31, s56
                                        ; implicit-def: $sgpr0
                                        ; implicit-def: $vgpr8_vgpr9
                                        ; implicit-def: $vgpr2
                                        ; implicit-def: $vgpr4
                                        ; implicit-def: $vgpr6
                                        ; implicit-def: $vgpr10
	s_and_saveexec_b32 s44, vcc_lo
	s_cbranch_execz .LBB119_1642
; %bb.1556:
	s_and_not1_b32 vcc_lo, exec_lo, s36
	s_cbranch_vccnz .LBB119_1562
; %bb.1557:
	s_and_not1_b32 vcc_lo, exec_lo, s45
	s_cbranch_vccnz .LBB119_1563
; %bb.1558:
	s_wait_loadcnt 0x0
	v_dual_mov_b32 v6, 0 :: v_dual_mov_b32 v1, v0
	v_dual_mov_b32 v4, 0 :: v_dual_mov_b32 v2, 0
	v_mov_b32_e32 v8, 0
	s_add_co_i32 s0, s43, 1
	s_mov_b64 s[28:29], 0xffffffffffffffe0
	s_and_b32 s0, s0, 30
	s_add_nc_u64 s[28:29], s[2:3], s[28:29]
	s_mov_b64 s[30:31], s[2:3]
.LBB119_1559:                           ; =>This Inner Loop Header: Depth=1
	s_clause 0x1
	s_load_b128 s[68:71], s[30:31], 0x4
	s_load_b64 s[72:73], s[30:31], 0x14
	s_load_b256 s[60:67], s[28:29], 0xe4
	s_add_co_i32 s0, s0, -2
	s_wait_xcnt 0x0
	s_add_nc_u64 s[30:31], s[30:31], 24
	s_cmp_eq_u32 s0, 0
	s_add_nc_u64 s[28:29], s[28:29], 32
	s_wait_kmcnt 0x0
	v_mul_hi_u32 v3, s69, v1
	s_delay_alu instid0(VALU_DEP_1) | instskip(NEXT) | instid1(VALU_DEP_1)
	v_add_nc_u32_e32 v3, v1, v3
	v_lshrrev_b32_e32 v3, s70, v3
	s_delay_alu instid0(VALU_DEP_1) | instskip(SKIP_1) | instid1(VALU_DEP_1)
	v_mul_hi_u32 v5, s72, v3
	v_mul_lo_u32 v7, v3, s68
	v_dual_add_nc_u32 v5, v3, v5 :: v_dual_sub_nc_u32 v7, v1, v7
	s_delay_alu instid0(VALU_DEP_1) | instskip(NEXT) | instid1(VALU_DEP_2)
	v_lshrrev_b32_e32 v1, s73, v5
	v_mad_u32 v8, v7, s61, v8
	v_mad_u32 v2, v7, s60, v2
	;; [unrolled: 1-line block ×4, first 2 shown]
	v_mul_lo_u32 v5, v1, s71
	s_delay_alu instid0(VALU_DEP_1) | instskip(NEXT) | instid1(VALU_DEP_1)
	v_sub_nc_u32_e32 v3, v3, v5
	v_mad_u32 v8, v3, s65, v8
	v_mad_u32 v2, v3, s64, v2
	v_mad_u32 v4, v3, s67, v4
	v_mad_u32 v6, v3, s66, v6
	s_cbranch_scc0 .LBB119_1559
; %bb.1560:
	s_bitcmp1_b32 s43, 0
	s_cselect_b32 s0, -1, 0
	s_delay_alu instid0(SALU_CYCLE_1)
	s_and_b32 vcc_lo, exec_lo, s0
	s_cbranch_vccnz .LBB119_1564
; %bb.1561:
	s_load_b96 s[64:66], s[30:31], 0x4
	s_load_b128 s[60:63], s[28:29], 0xe4
	s_wait_kmcnt 0x0
	v_mul_hi_u32 v3, s65, v1
	s_delay_alu instid0(VALU_DEP_1) | instskip(NEXT) | instid1(VALU_DEP_1)
	v_add_nc_u32_e32 v3, v1, v3
	v_lshrrev_b32_e32 v3, s66, v3
	s_delay_alu instid0(VALU_DEP_1) | instskip(NEXT) | instid1(VALU_DEP_1)
	v_mul_lo_u32 v3, v3, s64
	v_sub_nc_u32_e32 v1, v1, v3
	s_delay_alu instid0(VALU_DEP_1)
	v_mad_u32 v2, v1, s60, v2
	v_mad_u32 v8, v1, s61, v8
	;; [unrolled: 1-line block ×4, first 2 shown]
	s_branch .LBB119_1564
.LBB119_1562:
	s_mov_b32 s0, -1
                                        ; implicit-def: $vgpr8
                                        ; implicit-def: $vgpr2
                                        ; implicit-def: $vgpr4
                                        ; implicit-def: $vgpr6
	s_branch .LBB119_1565
.LBB119_1563:
	s_wait_loadcnt 0x0
	v_dual_mov_b32 v8, 0 :: v_dual_mov_b32 v2, 0
	v_dual_mov_b32 v4, 0 :: v_dual_mov_b32 v6, 0
.LBB119_1564:
	s_mov_b32 s0, 0
.LBB119_1565:
	s_delay_alu instid0(SALU_CYCLE_1)
	s_and_not1_b32 vcc_lo, exec_lo, s0
	s_cbranch_vccnz .LBB119_1568
; %bb.1566:
	s_wait_loadcnt 0x0
	v_mov_b32_e32 v1, 0
	s_and_not1_b32 vcc_lo, exec_lo, s41
	s_delay_alu instid0(VALU_DEP_1) | instskip(NEXT) | instid1(VALU_DEP_1)
	v_mul_u64_e32 v[2:3], s[24:25], v[0:1]
	v_add_nc_u32_e32 v2, v0, v3
	s_delay_alu instid0(VALU_DEP_1) | instskip(NEXT) | instid1(VALU_DEP_1)
	v_lshrrev_b32_e32 v10, s22, v2
	v_mul_lo_u32 v2, v10, s20
	s_delay_alu instid0(VALU_DEP_1) | instskip(NEXT) | instid1(VALU_DEP_1)
	v_sub_nc_u32_e32 v0, v0, v2
	v_mul_lo_u32 v8, v0, s13
	v_mul_lo_u32 v2, v0, s12
	;; [unrolled: 1-line block ×4, first 2 shown]
	s_cbranch_vccnz .LBB119_1568
; %bb.1567:
	v_mov_b32_e32 v11, v1
	s_delay_alu instid0(VALU_DEP_1) | instskip(NEXT) | instid1(VALU_DEP_1)
	v_mul_u64_e32 v[0:1], s[26:27], v[10:11]
	v_add_nc_u32_e32 v0, v10, v1
	s_delay_alu instid0(VALU_DEP_1) | instskip(NEXT) | instid1(VALU_DEP_1)
	v_lshrrev_b32_e32 v0, s1, v0
	v_mul_lo_u32 v0, v0, s23
	s_delay_alu instid0(VALU_DEP_1) | instskip(NEXT) | instid1(VALU_DEP_1)
	v_sub_nc_u32_e32 v0, v10, v0
	v_mad_u32 v2, v0, s16, v2
	v_mad_u32 v8, v0, s17, v8
	;; [unrolled: 1-line block ×4, first 2 shown]
.LBB119_1568:
	v_mov_b32_e32 v9, 0
	s_and_b32 s0, s40, 0xff
	s_delay_alu instid0(SALU_CYCLE_1) | instskip(SKIP_1) | instid1(VALU_DEP_1)
	s_cmp_lt_i32 s0, 11
	s_wait_loadcnt 0x0
	v_add_nc_u64_e32 v[8:9], s[6:7], v[8:9]
	s_cbranch_scc1 .LBB119_1575
; %bb.1569:
	s_and_b32 s6, 0xffff, s0
	s_mov_b32 s7, 0
	s_cmp_gt_i32 s6, 25
	s_cbranch_scc0 .LBB119_1576
; %bb.1570:
	s_cmp_gt_i32 s6, 28
	s_cbranch_scc0 .LBB119_1577
; %bb.1571:
	;; [unrolled: 3-line block ×4, first 2 shown]
	s_cmp_eq_u32 s6, 46
	s_mov_b32 s13, 0
	s_cbranch_scc0 .LBB119_1580
; %bb.1574:
	global_load_b32 v0, v[8:9], off
	s_mov_b32 s1, 0
	s_mov_b32 s12, -1
	s_wait_loadcnt 0x0
	v_lshlrev_b32_e32 v0, 16, v0
	s_delay_alu instid0(VALU_DEP_1)
	v_cvt_i32_f32_e32 v10, v0
	s_branch .LBB119_1582
.LBB119_1575:
	s_mov_b32 s6, -1
	s_mov_b32 s12, 0
	s_mov_b32 s7, 0
	;; [unrolled: 1-line block ×3, first 2 shown]
                                        ; implicit-def: $vgpr10
	s_branch .LBB119_1641
.LBB119_1576:
	s_mov_b32 s13, -1
	s_mov_b32 s12, 0
	s_mov_b32 s1, s56
                                        ; implicit-def: $vgpr10
	s_branch .LBB119_1609
.LBB119_1577:
	s_mov_b32 s13, -1
	s_mov_b32 s12, 0
	s_mov_b32 s1, s56
                                        ; implicit-def: $vgpr10
	s_branch .LBB119_1592
.LBB119_1578:
	s_mov_b32 s13, -1
	s_mov_b32 s12, 0
	s_mov_b32 s1, s56
                                        ; implicit-def: $vgpr10
	s_branch .LBB119_1587
.LBB119_1579:
	s_mov_b32 s13, -1
	s_mov_b32 s12, 0
	s_mov_b32 s1, s56
	s_branch .LBB119_1581
.LBB119_1580:
	s_mov_b32 s1, -1
	s_mov_b32 s12, 0
.LBB119_1581:
                                        ; implicit-def: $vgpr10
.LBB119_1582:
	s_and_b32 vcc_lo, exec_lo, s13
	s_cbranch_vccz .LBB119_1586
; %bb.1583:
	s_cmp_eq_u32 s6, 44
	s_cbranch_scc0 .LBB119_1585
; %bb.1584:
	global_load_u8 v0, v[8:9], off
	s_mov_b32 s1, 0
	s_mov_b32 s12, -1
	s_wait_loadcnt 0x0
	v_lshlrev_b32_e32 v1, 23, v0
	v_cmp_ne_u32_e32 vcc_lo, 0, v0
	s_delay_alu instid0(VALU_DEP_2) | instskip(NEXT) | instid1(VALU_DEP_1)
	v_cvt_i32_f32_e32 v1, v1
	v_cndmask_b32_e32 v10, 0, v1, vcc_lo
	s_branch .LBB119_1586
.LBB119_1585:
	s_mov_b32 s1, -1
                                        ; implicit-def: $vgpr10
.LBB119_1586:
	s_mov_b32 s13, 0
.LBB119_1587:
	s_delay_alu instid0(SALU_CYCLE_1)
	s_and_b32 vcc_lo, exec_lo, s13
	s_cbranch_vccz .LBB119_1591
; %bb.1588:
	s_cmp_eq_u32 s6, 29
	s_cbranch_scc0 .LBB119_1590
; %bb.1589:
	global_load_b32 v10, v[8:9], off
	s_mov_b32 s1, 0
	s_mov_b32 s12, -1
	s_branch .LBB119_1591
.LBB119_1590:
	s_mov_b32 s1, -1
                                        ; implicit-def: $vgpr10
.LBB119_1591:
	s_mov_b32 s13, 0
.LBB119_1592:
	s_delay_alu instid0(SALU_CYCLE_1)
	s_and_b32 vcc_lo, exec_lo, s13
	s_cbranch_vccz .LBB119_1608
; %bb.1593:
	s_cmp_lt_i32 s6, 27
	s_cbranch_scc1 .LBB119_1596
; %bb.1594:
	s_cmp_gt_i32 s6, 27
	s_cbranch_scc0 .LBB119_1597
; %bb.1595:
	s_wait_loadcnt 0x0
	global_load_b32 v10, v[8:9], off
	s_mov_b32 s12, 0
	s_branch .LBB119_1598
.LBB119_1596:
	s_mov_b32 s12, -1
                                        ; implicit-def: $vgpr10
	s_branch .LBB119_1601
.LBB119_1597:
	s_mov_b32 s12, -1
                                        ; implicit-def: $vgpr10
.LBB119_1598:
	s_delay_alu instid0(SALU_CYCLE_1)
	s_and_not1_b32 vcc_lo, exec_lo, s12
	s_cbranch_vccnz .LBB119_1600
; %bb.1599:
	s_wait_loadcnt 0x0
	global_load_u16 v10, v[8:9], off
.LBB119_1600:
	s_mov_b32 s12, 0
.LBB119_1601:
	s_delay_alu instid0(SALU_CYCLE_1)
	s_and_not1_b32 vcc_lo, exec_lo, s12
	s_cbranch_vccnz .LBB119_1607
; %bb.1602:
	global_load_u8 v0, v[8:9], off
	s_mov_b32 s13, 0
	s_mov_b32 s12, exec_lo
	s_wait_loadcnt 0x0
	v_cmpx_lt_i16_e32 0x7f, v0
	s_xor_b32 s12, exec_lo, s12
	s_cbranch_execz .LBB119_1619
; %bb.1603:
	v_cmp_ne_u16_e32 vcc_lo, 0x80, v0
	s_and_b32 s13, vcc_lo, exec_lo
	s_and_not1_saveexec_b32 s12, s12
	s_cbranch_execnz .LBB119_1620
.LBB119_1604:
	s_or_b32 exec_lo, exec_lo, s12
	v_mov_b32_e32 v10, 0
	s_and_saveexec_b32 s12, s13
	s_cbranch_execz .LBB119_1606
.LBB119_1605:
	v_and_b32_e32 v1, 0xffff, v0
	s_delay_alu instid0(VALU_DEP_1) | instskip(SKIP_1) | instid1(VALU_DEP_2)
	v_dual_lshlrev_b32 v0, 24, v0 :: v_dual_bitop2_b32 v3, 7, v1 bitop3:0x40
	v_bfe_u32 v10, v1, 3, 4
	v_and_b32_e32 v0, 0x80000000, v0
	s_delay_alu instid0(VALU_DEP_3) | instskip(NEXT) | instid1(VALU_DEP_3)
	v_clz_i32_u32_e32 v5, v3
	v_cmp_eq_u32_e32 vcc_lo, 0, v10
	s_delay_alu instid0(VALU_DEP_2) | instskip(NEXT) | instid1(VALU_DEP_1)
	v_min_u32_e32 v5, 32, v5
	v_subrev_nc_u32_e32 v7, 28, v5
	v_sub_nc_u32_e32 v5, 29, v5
	s_delay_alu instid0(VALU_DEP_2) | instskip(NEXT) | instid1(VALU_DEP_2)
	v_lshlrev_b32_e32 v1, v7, v1
	v_cndmask_b32_e32 v5, v10, v5, vcc_lo
	s_delay_alu instid0(VALU_DEP_2) | instskip(NEXT) | instid1(VALU_DEP_1)
	v_and_b32_e32 v1, 7, v1
	v_cndmask_b32_e32 v1, v3, v1, vcc_lo
	s_delay_alu instid0(VALU_DEP_3) | instskip(NEXT) | instid1(VALU_DEP_2)
	v_lshl_add_u32 v3, v5, 23, 0x3b800000
	v_lshlrev_b32_e32 v1, 20, v1
	s_delay_alu instid0(VALU_DEP_1) | instskip(NEXT) | instid1(VALU_DEP_1)
	v_or3_b32 v0, v0, v3, v1
	v_cvt_i32_f32_e32 v10, v0
.LBB119_1606:
	s_or_b32 exec_lo, exec_lo, s12
.LBB119_1607:
	s_mov_b32 s12, -1
.LBB119_1608:
	s_mov_b32 s13, 0
.LBB119_1609:
	s_delay_alu instid0(SALU_CYCLE_1)
	s_and_b32 vcc_lo, exec_lo, s13
	s_cbranch_vccz .LBB119_1640
; %bb.1610:
	s_cmp_gt_i32 s6, 22
	s_cbranch_scc0 .LBB119_1618
; %bb.1611:
	s_cmp_lt_i32 s6, 24
	s_cbranch_scc1 .LBB119_1621
; %bb.1612:
	s_cmp_gt_i32 s6, 24
	s_cbranch_scc0 .LBB119_1622
; %bb.1613:
	global_load_u8 v0, v[8:9], off
	s_mov_b32 s12, 0
	s_mov_b32 s7, exec_lo
	s_wait_loadcnt 0x0
	v_cmpx_lt_i16_e32 0x7f, v0
	s_xor_b32 s7, exec_lo, s7
	s_cbranch_execz .LBB119_1634
; %bb.1614:
	v_cmp_ne_u16_e32 vcc_lo, 0x80, v0
	s_and_b32 s12, vcc_lo, exec_lo
	s_and_not1_saveexec_b32 s7, s7
	s_cbranch_execnz .LBB119_1635
.LBB119_1615:
	s_or_b32 exec_lo, exec_lo, s7
	v_mov_b32_e32 v10, 0
	s_and_saveexec_b32 s7, s12
	s_cbranch_execz .LBB119_1617
.LBB119_1616:
	v_and_b32_e32 v1, 0xffff, v0
	s_delay_alu instid0(VALU_DEP_1) | instskip(SKIP_1) | instid1(VALU_DEP_2)
	v_dual_lshlrev_b32 v0, 24, v0 :: v_dual_bitop2_b32 v3, 3, v1 bitop3:0x40
	v_bfe_u32 v10, v1, 2, 5
	v_and_b32_e32 v0, 0x80000000, v0
	s_delay_alu instid0(VALU_DEP_3) | instskip(NEXT) | instid1(VALU_DEP_3)
	v_clz_i32_u32_e32 v5, v3
	v_cmp_eq_u32_e32 vcc_lo, 0, v10
	s_delay_alu instid0(VALU_DEP_2) | instskip(NEXT) | instid1(VALU_DEP_1)
	v_min_u32_e32 v5, 32, v5
	v_subrev_nc_u32_e32 v7, 29, v5
	v_sub_nc_u32_e32 v5, 30, v5
	s_delay_alu instid0(VALU_DEP_2) | instskip(NEXT) | instid1(VALU_DEP_2)
	v_lshlrev_b32_e32 v1, v7, v1
	v_cndmask_b32_e32 v5, v10, v5, vcc_lo
	s_delay_alu instid0(VALU_DEP_2) | instskip(NEXT) | instid1(VALU_DEP_1)
	v_and_b32_e32 v1, 3, v1
	v_cndmask_b32_e32 v1, v3, v1, vcc_lo
	s_delay_alu instid0(VALU_DEP_3) | instskip(NEXT) | instid1(VALU_DEP_2)
	v_lshl_add_u32 v3, v5, 23, 0x37800000
	v_lshlrev_b32_e32 v1, 21, v1
	s_delay_alu instid0(VALU_DEP_1) | instskip(NEXT) | instid1(VALU_DEP_1)
	v_or3_b32 v0, v0, v3, v1
	v_cvt_i32_f32_e32 v10, v0
.LBB119_1617:
	s_or_b32 exec_lo, exec_lo, s7
	s_mov_b32 s7, 0
	s_branch .LBB119_1623
.LBB119_1618:
	s_mov_b32 s7, -1
                                        ; implicit-def: $vgpr10
	s_branch .LBB119_1629
.LBB119_1619:
	s_and_not1_saveexec_b32 s12, s12
	s_cbranch_execz .LBB119_1604
.LBB119_1620:
	v_cmp_ne_u16_e32 vcc_lo, 0, v0
	s_and_not1_b32 s13, s13, exec_lo
	s_and_b32 s14, vcc_lo, exec_lo
	s_delay_alu instid0(SALU_CYCLE_1)
	s_or_b32 s13, s13, s14
	s_or_b32 exec_lo, exec_lo, s12
	v_mov_b32_e32 v10, 0
	s_and_saveexec_b32 s12, s13
	s_cbranch_execnz .LBB119_1605
	s_branch .LBB119_1606
.LBB119_1621:
	s_mov_b32 s7, -1
                                        ; implicit-def: $vgpr10
	s_branch .LBB119_1626
.LBB119_1622:
	s_mov_b32 s7, -1
                                        ; implicit-def: $vgpr10
.LBB119_1623:
	s_delay_alu instid0(SALU_CYCLE_1)
	s_and_b32 vcc_lo, exec_lo, s7
	s_cbranch_vccz .LBB119_1625
; %bb.1624:
	global_load_u8 v0, v[8:9], off
	s_wait_loadcnt 0x0
	v_lshlrev_b32_e32 v0, 24, v0
	s_delay_alu instid0(VALU_DEP_1) | instskip(NEXT) | instid1(VALU_DEP_1)
	v_and_b32_e32 v1, 0x7f000000, v0
	v_clz_i32_u32_e32 v3, v1
	v_add_nc_u32_e32 v7, 0x1000000, v1
	v_cmp_ne_u32_e32 vcc_lo, 0, v1
	s_delay_alu instid0(VALU_DEP_3) | instskip(NEXT) | instid1(VALU_DEP_1)
	v_min_u32_e32 v3, 32, v3
	v_sub_nc_u32_e64 v3, v3, 4 clamp
	s_delay_alu instid0(VALU_DEP_1) | instskip(NEXT) | instid1(VALU_DEP_1)
	v_dual_lshlrev_b32 v5, v3, v1 :: v_dual_lshlrev_b32 v3, 23, v3
	v_lshrrev_b32_e32 v5, 4, v5
	s_delay_alu instid0(VALU_DEP_1) | instskip(SKIP_1) | instid1(VALU_DEP_2)
	v_sub_nc_u32_e32 v3, v5, v3
	v_ashrrev_i32_e32 v5, 8, v7
	v_add_nc_u32_e32 v3, 0x3c000000, v3
	s_delay_alu instid0(VALU_DEP_1) | instskip(NEXT) | instid1(VALU_DEP_1)
	v_and_or_b32 v3, 0x7f800000, v5, v3
	v_cndmask_b32_e32 v1, 0, v3, vcc_lo
	s_delay_alu instid0(VALU_DEP_1) | instskip(NEXT) | instid1(VALU_DEP_1)
	v_and_or_b32 v0, 0x80000000, v0, v1
	v_cvt_i32_f32_e32 v10, v0
.LBB119_1625:
	s_mov_b32 s7, 0
.LBB119_1626:
	s_delay_alu instid0(SALU_CYCLE_1)
	s_and_not1_b32 vcc_lo, exec_lo, s7
	s_cbranch_vccnz .LBB119_1628
; %bb.1627:
	global_load_u8 v0, v[8:9], off
	s_wait_loadcnt 0x0
	v_lshlrev_b32_e32 v1, 25, v0
	v_lshlrev_b16 v0, 8, v0
	s_delay_alu instid0(VALU_DEP_1) | instskip(SKIP_1) | instid1(VALU_DEP_2)
	v_and_or_b32 v5, 0x7f00, v0, 0.5
	v_bfe_i32 v0, v0, 0, 16
	v_add_f32_e32 v5, -0.5, v5
	v_lshrrev_b32_e32 v3, 4, v1
	v_cmp_gt_u32_e32 vcc_lo, 0x8000000, v1
	s_delay_alu instid0(VALU_DEP_2) | instskip(NEXT) | instid1(VALU_DEP_1)
	v_or_b32_e32 v3, 0x70000000, v3
	v_mul_f32_e32 v3, 0x7800000, v3
	s_delay_alu instid0(VALU_DEP_1) | instskip(NEXT) | instid1(VALU_DEP_1)
	v_cndmask_b32_e32 v1, v3, v5, vcc_lo
	v_and_or_b32 v0, 0x80000000, v0, v1
	s_delay_alu instid0(VALU_DEP_1)
	v_cvt_i32_f32_e32 v10, v0
.LBB119_1628:
	s_mov_b32 s7, 0
	s_mov_b32 s12, -1
.LBB119_1629:
	s_and_not1_b32 vcc_lo, exec_lo, s7
	s_mov_b32 s7, 0
	s_cbranch_vccnz .LBB119_1640
; %bb.1630:
	s_cmp_gt_i32 s6, 14
	s_cbranch_scc0 .LBB119_1633
; %bb.1631:
	s_cmp_eq_u32 s6, 15
	s_cbranch_scc0 .LBB119_1636
; %bb.1632:
	global_load_u16 v0, v[8:9], off
	s_mov_b32 s1, 0
	s_mov_b32 s12, -1
	s_wait_loadcnt 0x0
	v_lshlrev_b32_e32 v0, 16, v0
	s_delay_alu instid0(VALU_DEP_1)
	v_cvt_i32_f32_e32 v10, v0
	s_branch .LBB119_1638
.LBB119_1633:
	s_mov_b32 s7, -1
	s_branch .LBB119_1637
.LBB119_1634:
	s_and_not1_saveexec_b32 s7, s7
	s_cbranch_execz .LBB119_1615
.LBB119_1635:
	v_cmp_ne_u16_e32 vcc_lo, 0, v0
	s_and_not1_b32 s12, s12, exec_lo
	s_and_b32 s13, vcc_lo, exec_lo
	s_delay_alu instid0(SALU_CYCLE_1)
	s_or_b32 s12, s12, s13
	s_or_b32 exec_lo, exec_lo, s7
	v_mov_b32_e32 v10, 0
	s_and_saveexec_b32 s7, s12
	s_cbranch_execnz .LBB119_1616
	s_branch .LBB119_1617
.LBB119_1636:
	s_mov_b32 s1, -1
.LBB119_1637:
                                        ; implicit-def: $vgpr10
.LBB119_1638:
	s_and_b32 vcc_lo, exec_lo, s7
	s_mov_b32 s7, 0
	s_cbranch_vccz .LBB119_1640
; %bb.1639:
	s_cmp_lg_u32 s6, 11
	s_mov_b32 s7, -1
	s_cselect_b32 s6, -1, 0
	s_and_not1_b32 s1, s1, exec_lo
	s_and_b32 s6, s6, exec_lo
	s_delay_alu instid0(SALU_CYCLE_1)
	s_or_b32 s1, s1, s6
.LBB119_1640:
	s_mov_b32 s6, 0
.LBB119_1641:
	s_delay_alu instid0(SALU_CYCLE_1)
	s_and_b32 s30, s6, exec_lo
	s_and_not1_b32 s6, s56, exec_lo
	s_and_b32 s1, s1, exec_lo
	s_and_b32 s28, s12, exec_lo
	;; [unrolled: 1-line block ×3, first 2 shown]
	s_or_b32 s31, s6, s1
.LBB119_1642:
	s_wait_xcnt 0x0
	s_or_b32 exec_lo, exec_lo, s44
	s_delay_alu instid0(SALU_CYCLE_1)
	s_and_not1_b32 s1, s56, exec_lo
	s_and_b32 s6, s31, exec_lo
	s_and_b32 s28, s28, exec_lo
	;; [unrolled: 1-line block ×4, first 2 shown]
	s_or_b32 s56, s1, s6
.LBB119_1643:
	s_or_b32 exec_lo, exec_lo, s55
	s_delay_alu instid0(SALU_CYCLE_1)
	s_and_not1_b32 s1, s51, exec_lo
	s_and_b32 s6, s59, exec_lo
	s_and_not1_b32 s7, s53, exec_lo
	s_or_b32 s51, s1, s6
	s_and_not1_b32 s1, s52, exec_lo
	s_and_b32 s6, s57, exec_lo
	s_and_b32 s12, s58, exec_lo
	s_or_b32 s52, s1, s6
	s_and_not1_b32 s1, s50, exec_lo
	s_and_b32 s6, s56, exec_lo
	s_or_b32 s53, s7, s12
	s_and_b32 s28, s28, exec_lo
	s_and_b32 s30, s30, exec_lo
	;; [unrolled: 1-line block ×3, first 2 shown]
	s_or_b32 s50, s1, s6
.LBB119_1644:
	s_or_b32 exec_lo, exec_lo, s54
	s_delay_alu instid0(SALU_CYCLE_1)
	s_and_not1_b32 s1, s42, exec_lo
	s_and_b32 s6, s51, exec_lo
	s_and_not1_b32 s7, s47, exec_lo
	s_or_b32 s42, s1, s6
	s_and_not1_b32 s1, s46, exec_lo
	s_and_b32 s6, s52, exec_lo
	s_and_b32 s12, s53, exec_lo
	s_or_b32 s46, s1, s6
	s_and_not1_b32 s1, s48, exec_lo
	s_and_b32 s6, s50, exec_lo
	s_or_b32 s47, s7, s12
	s_and_b32 s28, s28, exec_lo
	s_and_b32 s30, s30, exec_lo
	;; [unrolled: 1-line block ×3, first 2 shown]
	s_or_b32 s48, s1, s6
	s_or_b32 exec_lo, exec_lo, s49
	s_mov_b32 s1, 0
	s_and_saveexec_b32 s6, s48
	s_cbranch_execz .LBB119_520
.LBB119_1645:
	s_mov_b32 s1, exec_lo
	s_and_not1_b32 s25, s25, exec_lo
	s_trap 2
	s_or_b32 exec_lo, exec_lo, s6
	s_and_saveexec_b32 s6, s25
	s_delay_alu instid0(SALU_CYCLE_1)
	s_xor_b32 s6, exec_lo, s6
	s_cbranch_execnz .LBB119_521
.LBB119_1646:
	s_or_b32 exec_lo, exec_lo, s6
	s_and_saveexec_b32 s6, s30
	s_cbranch_execz .LBB119_1692
.LBB119_1647:
	s_sext_i32_i16 s7, s0
	s_delay_alu instid0(SALU_CYCLE_1)
	s_cmp_lt_i32 s7, 5
	s_cbranch_scc1 .LBB119_1652
; %bb.1648:
	s_cmp_lt_i32 s7, 8
	s_cbranch_scc1 .LBB119_1653
; %bb.1649:
	;; [unrolled: 3-line block ×3, first 2 shown]
	s_cmp_gt_i32 s7, 9
	s_cbranch_scc0 .LBB119_1655
; %bb.1651:
	s_wait_loadcnt 0x0
	global_load_b64 v[0:1], v[8:9], off
	s_mov_b32 s7, 0
	s_wait_loadcnt 0x0
	v_cvt_i32_f64_e32 v10, v[0:1]
	s_branch .LBB119_1656
.LBB119_1652:
                                        ; implicit-def: $vgpr10
	s_branch .LBB119_1673
.LBB119_1653:
                                        ; implicit-def: $vgpr10
	s_branch .LBB119_1662
.LBB119_1654:
	s_mov_b32 s7, -1
                                        ; implicit-def: $vgpr10
	s_branch .LBB119_1659
.LBB119_1655:
	s_mov_b32 s7, -1
                                        ; implicit-def: $vgpr10
.LBB119_1656:
	s_delay_alu instid0(SALU_CYCLE_1)
	s_and_not1_b32 vcc_lo, exec_lo, s7
	s_cbranch_vccnz .LBB119_1658
; %bb.1657:
	s_wait_loadcnt 0x0
	global_load_b32 v0, v[8:9], off
	s_wait_loadcnt 0x0
	v_cvt_i32_f32_e32 v10, v0
.LBB119_1658:
	s_mov_b32 s7, 0
.LBB119_1659:
	s_delay_alu instid0(SALU_CYCLE_1)
	s_and_not1_b32 vcc_lo, exec_lo, s7
	s_cbranch_vccnz .LBB119_1661
; %bb.1660:
	s_wait_loadcnt 0x0
	global_load_b32 v0, v[8:9], off
	s_wait_loadcnt 0x0
	v_cvt_f32_f16_e32 v0, v0
	s_delay_alu instid0(VALU_DEP_1)
	v_cvt_i32_f32_e32 v10, v0
.LBB119_1661:
	s_cbranch_execnz .LBB119_1672
.LBB119_1662:
	s_sext_i32_i16 s7, s0
	s_delay_alu instid0(SALU_CYCLE_1)
	s_cmp_lt_i32 s7, 6
	s_cbranch_scc1 .LBB119_1665
; %bb.1663:
	s_cmp_gt_i32 s7, 6
	s_cbranch_scc0 .LBB119_1666
; %bb.1664:
	s_wait_loadcnt 0x0
	global_load_b64 v[0:1], v[8:9], off
	s_mov_b32 s7, 0
	s_wait_loadcnt 0x0
	v_cvt_i32_f64_e32 v10, v[0:1]
	s_branch .LBB119_1667
.LBB119_1665:
	s_mov_b32 s7, -1
                                        ; implicit-def: $vgpr10
	s_branch .LBB119_1670
.LBB119_1666:
	s_mov_b32 s7, -1
                                        ; implicit-def: $vgpr10
.LBB119_1667:
	s_delay_alu instid0(SALU_CYCLE_1)
	s_and_not1_b32 vcc_lo, exec_lo, s7
	s_cbranch_vccnz .LBB119_1669
; %bb.1668:
	s_wait_loadcnt 0x0
	global_load_b32 v0, v[8:9], off
	s_wait_loadcnt 0x0
	v_cvt_i32_f32_e32 v10, v0
.LBB119_1669:
	s_mov_b32 s7, 0
.LBB119_1670:
	s_delay_alu instid0(SALU_CYCLE_1)
	s_and_not1_b32 vcc_lo, exec_lo, s7
	s_cbranch_vccnz .LBB119_1672
; %bb.1671:
	s_wait_loadcnt 0x0
	global_load_u16 v0, v[8:9], off
	s_wait_loadcnt 0x0
	v_cvt_f32_f16_e32 v0, v0
	s_delay_alu instid0(VALU_DEP_1)
	v_cvt_i32_f32_e32 v10, v0
.LBB119_1672:
	s_cbranch_execnz .LBB119_1691
.LBB119_1673:
	s_sext_i32_i16 s7, s0
	s_delay_alu instid0(SALU_CYCLE_1)
	s_cmp_lt_i32 s7, 2
	s_cbranch_scc1 .LBB119_1677
; %bb.1674:
	s_cmp_lt_i32 s7, 3
	s_cbranch_scc1 .LBB119_1678
; %bb.1675:
	s_cmp_gt_i32 s7, 3
	s_cbranch_scc0 .LBB119_1679
; %bb.1676:
	s_wait_loadcnt 0x0
	global_load_b32 v10, v[8:9], off
	s_mov_b32 s7, 0
	s_branch .LBB119_1680
.LBB119_1677:
                                        ; implicit-def: $vgpr10
	s_branch .LBB119_1686
.LBB119_1678:
	s_mov_b32 s7, -1
                                        ; implicit-def: $vgpr10
	s_branch .LBB119_1683
.LBB119_1679:
	s_mov_b32 s7, -1
                                        ; implicit-def: $vgpr10
.LBB119_1680:
	s_delay_alu instid0(SALU_CYCLE_1)
	s_and_not1_b32 vcc_lo, exec_lo, s7
	s_cbranch_vccnz .LBB119_1682
; %bb.1681:
	s_wait_loadcnt 0x0
	global_load_b32 v10, v[8:9], off
.LBB119_1682:
	s_mov_b32 s7, 0
.LBB119_1683:
	s_delay_alu instid0(SALU_CYCLE_1)
	s_and_not1_b32 vcc_lo, exec_lo, s7
	s_cbranch_vccnz .LBB119_1685
; %bb.1684:
	s_wait_loadcnt 0x0
	global_load_i16 v10, v[8:9], off
.LBB119_1685:
	s_cbranch_execnz .LBB119_1691
.LBB119_1686:
	s_sext_i32_i16 s0, s0
	s_delay_alu instid0(SALU_CYCLE_1)
	s_cmp_gt_i32 s0, 0
	s_mov_b32 s0, 0
	s_cbranch_scc0 .LBB119_1688
; %bb.1687:
	s_wait_loadcnt 0x0
	global_load_i8 v10, v[8:9], off
	s_branch .LBB119_1689
.LBB119_1688:
	s_mov_b32 s0, -1
                                        ; implicit-def: $vgpr10
.LBB119_1689:
	s_delay_alu instid0(SALU_CYCLE_1)
	s_and_not1_b32 vcc_lo, exec_lo, s0
	s_cbranch_vccnz .LBB119_1691
; %bb.1690:
	s_wait_loadcnt 0x0
	global_load_u8 v10, v[8:9], off
.LBB119_1691:
	s_or_b32 s28, s28, exec_lo
.LBB119_1692:
	s_wait_xcnt 0x0
	s_or_b32 exec_lo, exec_lo, s6
	s_mov_b32 s7, 0
	s_mov_b32 s13, 0
	;; [unrolled: 1-line block ×3, first 2 shown]
                                        ; implicit-def: $sgpr0
                                        ; implicit-def: $vgpr0_vgpr1
                                        ; implicit-def: $vgpr7
	s_and_saveexec_b32 s6, s28
	s_cbranch_execz .LBB119_1700
; %bb.1693:
	v_mov_b32_e32 v7, 0
	s_and_b32 s0, s39, 0xff
	s_delay_alu instid0(SALU_CYCLE_1) | instskip(SKIP_1) | instid1(VALU_DEP_1)
	s_cmp_lt_i32 s0, 11
	s_wait_loadcnt 0x0
	v_add_nc_u64_e32 v[0:1], s[8:9], v[6:7]
	s_cbranch_scc1 .LBB119_1703
; %bb.1694:
	s_and_b32 s8, 0xffff, s0
	s_mov_b32 s9, 0
	s_cmp_gt_i32 s8, 25
	s_cbranch_scc0 .LBB119_1704
; %bb.1695:
	s_cmp_gt_i32 s8, 28
	s_cbranch_scc0 .LBB119_1705
; %bb.1696:
	;; [unrolled: 3-line block ×4, first 2 shown]
	s_cmp_eq_u32 s8, 46
	s_cbranch_scc0 .LBB119_1708
; %bb.1699:
	global_load_b32 v3, v[0:1], off
	s_mov_b32 s12, -1
	s_wait_loadcnt 0x0
	v_lshlrev_b32_e32 v3, 16, v3
	s_delay_alu instid0(VALU_DEP_1)
	v_cvt_i32_f32_e32 v7, v3
	s_branch .LBB119_1710
.LBB119_1700:
	s_or_b32 exec_lo, exec_lo, s6
	s_and_saveexec_b32 s6, s47
	s_cbranch_execnz .LBB119_1769
.LBB119_1701:
	s_or_b32 exec_lo, exec_lo, s6
	s_and_saveexec_b32 s6, s7
	s_delay_alu instid0(SALU_CYCLE_1)
	s_xor_b32 s6, exec_lo, s6
	s_cbranch_execz .LBB119_1770
.LBB119_1702:
	s_wait_loadcnt 0x0
	global_load_u8 v3, v[0:1], off
	s_or_b32 s12, s12, exec_lo
	s_wait_loadcnt 0x0
	v_cmp_ne_u16_e32 vcc_lo, 0, v3
	v_cndmask_b32_e64 v7, 0, 1, vcc_lo
	s_wait_xcnt 0x0
	s_or_b32 exec_lo, exec_lo, s6
	s_and_saveexec_b32 s6, s13
	s_cbranch_execz .LBB119_1816
	s_branch .LBB119_1771
.LBB119_1703:
	s_mov_b32 s8, -1
	s_mov_b32 s9, 0
	s_mov_b32 s7, s47
                                        ; implicit-def: $vgpr7
	s_branch .LBB119_1768
.LBB119_1704:
	s_mov_b32 s7, s47
                                        ; implicit-def: $vgpr7
	s_cbranch_execnz .LBB119_1737
	s_branch .LBB119_1767
.LBB119_1705:
	s_mov_b32 s13, -1
	s_mov_b32 s7, s47
                                        ; implicit-def: $vgpr7
	s_branch .LBB119_1720
.LBB119_1706:
	s_mov_b32 s13, -1
	s_mov_b32 s7, s47
                                        ; implicit-def: $vgpr7
	s_branch .LBB119_1715
.LBB119_1707:
	s_mov_b32 s13, -1
	s_mov_b32 s7, s47
	s_branch .LBB119_1709
.LBB119_1708:
	s_mov_b32 s7, -1
.LBB119_1709:
                                        ; implicit-def: $vgpr7
.LBB119_1710:
	s_and_b32 vcc_lo, exec_lo, s13
	s_cbranch_vccz .LBB119_1714
; %bb.1711:
	s_cmp_eq_u32 s8, 44
	s_cbranch_scc0 .LBB119_1713
; %bb.1712:
	global_load_u8 v3, v[0:1], off
	s_mov_b32 s7, 0
	s_mov_b32 s12, -1
	s_wait_loadcnt 0x0
	v_lshlrev_b32_e32 v5, 23, v3
	v_cmp_ne_u32_e32 vcc_lo, 0, v3
	s_delay_alu instid0(VALU_DEP_2) | instskip(NEXT) | instid1(VALU_DEP_1)
	v_cvt_i32_f32_e32 v5, v5
	v_cndmask_b32_e32 v7, 0, v5, vcc_lo
	s_branch .LBB119_1714
.LBB119_1713:
	s_mov_b32 s7, -1
                                        ; implicit-def: $vgpr7
.LBB119_1714:
	s_mov_b32 s13, 0
.LBB119_1715:
	s_delay_alu instid0(SALU_CYCLE_1)
	s_and_b32 vcc_lo, exec_lo, s13
	s_cbranch_vccz .LBB119_1719
; %bb.1716:
	s_cmp_eq_u32 s8, 29
	s_cbranch_scc0 .LBB119_1718
; %bb.1717:
	global_load_b32 v7, v[0:1], off
	s_mov_b32 s7, 0
	s_mov_b32 s12, -1
	s_branch .LBB119_1719
.LBB119_1718:
	s_mov_b32 s7, -1
                                        ; implicit-def: $vgpr7
.LBB119_1719:
	s_mov_b32 s13, 0
.LBB119_1720:
	s_delay_alu instid0(SALU_CYCLE_1)
	s_and_b32 vcc_lo, exec_lo, s13
	s_cbranch_vccz .LBB119_1736
; %bb.1721:
	s_cmp_lt_i32 s8, 27
	s_cbranch_scc1 .LBB119_1724
; %bb.1722:
	s_cmp_gt_i32 s8, 27
	s_cbranch_scc0 .LBB119_1725
; %bb.1723:
	s_wait_loadcnt 0x0
	global_load_b32 v7, v[0:1], off
	s_mov_b32 s12, 0
	s_branch .LBB119_1726
.LBB119_1724:
	s_mov_b32 s12, -1
                                        ; implicit-def: $vgpr7
	s_branch .LBB119_1729
.LBB119_1725:
	s_mov_b32 s12, -1
                                        ; implicit-def: $vgpr7
.LBB119_1726:
	s_delay_alu instid0(SALU_CYCLE_1)
	s_and_not1_b32 vcc_lo, exec_lo, s12
	s_cbranch_vccnz .LBB119_1728
; %bb.1727:
	s_wait_loadcnt 0x0
	global_load_u16 v7, v[0:1], off
.LBB119_1728:
	s_mov_b32 s12, 0
.LBB119_1729:
	s_delay_alu instid0(SALU_CYCLE_1)
	s_and_not1_b32 vcc_lo, exec_lo, s12
	s_cbranch_vccnz .LBB119_1735
; %bb.1730:
	global_load_u8 v3, v[0:1], off
	s_mov_b32 s13, 0
	s_mov_b32 s12, exec_lo
	s_wait_loadcnt 0x0
	v_cmpx_lt_i16_e32 0x7f, v3
	s_xor_b32 s12, exec_lo, s12
	s_cbranch_execz .LBB119_1746
; %bb.1731:
	v_cmp_ne_u16_e32 vcc_lo, 0x80, v3
	s_and_b32 s13, vcc_lo, exec_lo
	s_and_not1_saveexec_b32 s12, s12
	s_cbranch_execnz .LBB119_1747
.LBB119_1732:
	s_or_b32 exec_lo, exec_lo, s12
	v_mov_b32_e32 v7, 0
	s_and_saveexec_b32 s12, s13
	s_cbranch_execz .LBB119_1734
.LBB119_1733:
	v_and_b32_e32 v5, 0xffff, v3
	s_delay_alu instid0(VALU_DEP_1) | instskip(SKIP_1) | instid1(VALU_DEP_2)
	v_and_b32_e32 v6, 7, v5
	v_bfe_u32 v9, v5, 3, 4
	v_clz_i32_u32_e32 v7, v6
	s_delay_alu instid0(VALU_DEP_2) | instskip(NEXT) | instid1(VALU_DEP_2)
	v_cmp_eq_u32_e32 vcc_lo, 0, v9
	v_min_u32_e32 v7, 32, v7
	s_delay_alu instid0(VALU_DEP_1) | instskip(NEXT) | instid1(VALU_DEP_1)
	v_subrev_nc_u32_e32 v8, 28, v7
	v_dual_lshlrev_b32 v5, v8, v5 :: v_dual_sub_nc_u32 v7, 29, v7
	s_delay_alu instid0(VALU_DEP_1) | instskip(NEXT) | instid1(VALU_DEP_1)
	v_dual_lshlrev_b32 v3, 24, v3 :: v_dual_bitop2_b32 v5, 7, v5 bitop3:0x40
	v_dual_cndmask_b32 v5, v6, v5, vcc_lo :: v_dual_cndmask_b32 v7, v9, v7, vcc_lo
	s_delay_alu instid0(VALU_DEP_2) | instskip(NEXT) | instid1(VALU_DEP_2)
	v_and_b32_e32 v3, 0x80000000, v3
	v_lshlrev_b32_e32 v5, 20, v5
	s_delay_alu instid0(VALU_DEP_3) | instskip(NEXT) | instid1(VALU_DEP_1)
	v_lshl_add_u32 v6, v7, 23, 0x3b800000
	v_or3_b32 v3, v3, v6, v5
	s_delay_alu instid0(VALU_DEP_1)
	v_cvt_i32_f32_e32 v7, v3
.LBB119_1734:
	s_or_b32 exec_lo, exec_lo, s12
.LBB119_1735:
	s_mov_b32 s12, -1
.LBB119_1736:
	s_branch .LBB119_1767
.LBB119_1737:
	s_cmp_gt_i32 s8, 22
	s_cbranch_scc0 .LBB119_1745
; %bb.1738:
	s_cmp_lt_i32 s8, 24
	s_cbranch_scc1 .LBB119_1748
; %bb.1739:
	s_cmp_gt_i32 s8, 24
	s_cbranch_scc0 .LBB119_1749
; %bb.1740:
	global_load_u8 v3, v[0:1], off
	s_mov_b32 s12, 0
	s_mov_b32 s9, exec_lo
	s_wait_loadcnt 0x0
	v_cmpx_lt_i16_e32 0x7f, v3
	s_xor_b32 s9, exec_lo, s9
	s_cbranch_execz .LBB119_1761
; %bb.1741:
	v_cmp_ne_u16_e32 vcc_lo, 0x80, v3
	s_and_b32 s12, vcc_lo, exec_lo
	s_and_not1_saveexec_b32 s9, s9
	s_cbranch_execnz .LBB119_1762
.LBB119_1742:
	s_or_b32 exec_lo, exec_lo, s9
	v_mov_b32_e32 v7, 0
	s_and_saveexec_b32 s9, s12
	s_cbranch_execz .LBB119_1744
.LBB119_1743:
	v_and_b32_e32 v5, 0xffff, v3
	s_delay_alu instid0(VALU_DEP_1) | instskip(SKIP_1) | instid1(VALU_DEP_2)
	v_and_b32_e32 v6, 3, v5
	v_bfe_u32 v9, v5, 2, 5
	v_clz_i32_u32_e32 v7, v6
	s_delay_alu instid0(VALU_DEP_2) | instskip(NEXT) | instid1(VALU_DEP_2)
	v_cmp_eq_u32_e32 vcc_lo, 0, v9
	v_min_u32_e32 v7, 32, v7
	s_delay_alu instid0(VALU_DEP_1) | instskip(NEXT) | instid1(VALU_DEP_1)
	v_subrev_nc_u32_e32 v8, 29, v7
	v_dual_lshlrev_b32 v5, v8, v5 :: v_dual_sub_nc_u32 v7, 30, v7
	s_delay_alu instid0(VALU_DEP_1) | instskip(NEXT) | instid1(VALU_DEP_1)
	v_dual_lshlrev_b32 v3, 24, v3 :: v_dual_bitop2_b32 v5, 3, v5 bitop3:0x40
	v_dual_cndmask_b32 v5, v6, v5, vcc_lo :: v_dual_cndmask_b32 v7, v9, v7, vcc_lo
	s_delay_alu instid0(VALU_DEP_2) | instskip(NEXT) | instid1(VALU_DEP_2)
	v_and_b32_e32 v3, 0x80000000, v3
	v_lshlrev_b32_e32 v5, 21, v5
	s_delay_alu instid0(VALU_DEP_3) | instskip(NEXT) | instid1(VALU_DEP_1)
	v_lshl_add_u32 v6, v7, 23, 0x37800000
	v_or3_b32 v3, v3, v6, v5
	s_delay_alu instid0(VALU_DEP_1)
	v_cvt_i32_f32_e32 v7, v3
.LBB119_1744:
	s_or_b32 exec_lo, exec_lo, s9
	s_mov_b32 s9, 0
	s_branch .LBB119_1750
.LBB119_1745:
	s_mov_b32 s9, -1
                                        ; implicit-def: $vgpr7
	s_branch .LBB119_1756
.LBB119_1746:
	s_and_not1_saveexec_b32 s12, s12
	s_cbranch_execz .LBB119_1732
.LBB119_1747:
	v_cmp_ne_u16_e32 vcc_lo, 0, v3
	s_and_not1_b32 s13, s13, exec_lo
	s_and_b32 s14, vcc_lo, exec_lo
	s_delay_alu instid0(SALU_CYCLE_1)
	s_or_b32 s13, s13, s14
	s_or_b32 exec_lo, exec_lo, s12
	v_mov_b32_e32 v7, 0
	s_and_saveexec_b32 s12, s13
	s_cbranch_execnz .LBB119_1733
	s_branch .LBB119_1734
.LBB119_1748:
	s_mov_b32 s9, -1
                                        ; implicit-def: $vgpr7
	s_branch .LBB119_1753
.LBB119_1749:
	s_mov_b32 s9, -1
                                        ; implicit-def: $vgpr7
.LBB119_1750:
	s_delay_alu instid0(SALU_CYCLE_1)
	s_and_b32 vcc_lo, exec_lo, s9
	s_cbranch_vccz .LBB119_1752
; %bb.1751:
	global_load_u8 v3, v[0:1], off
	s_wait_loadcnt 0x0
	v_lshlrev_b32_e32 v3, 24, v3
	s_delay_alu instid0(VALU_DEP_1) | instskip(NEXT) | instid1(VALU_DEP_1)
	v_and_b32_e32 v5, 0x7f000000, v3
	v_clz_i32_u32_e32 v6, v5
	v_cmp_ne_u32_e32 vcc_lo, 0, v5
	v_add_nc_u32_e32 v8, 0x1000000, v5
	s_delay_alu instid0(VALU_DEP_3) | instskip(NEXT) | instid1(VALU_DEP_1)
	v_min_u32_e32 v6, 32, v6
	v_sub_nc_u32_e64 v6, v6, 4 clamp
	s_delay_alu instid0(VALU_DEP_1) | instskip(NEXT) | instid1(VALU_DEP_1)
	v_dual_lshlrev_b32 v7, v6, v5 :: v_dual_lshlrev_b32 v6, 23, v6
	v_lshrrev_b32_e32 v7, 4, v7
	s_delay_alu instid0(VALU_DEP_1) | instskip(NEXT) | instid1(VALU_DEP_1)
	v_dual_sub_nc_u32 v6, v7, v6 :: v_dual_ashrrev_i32 v7, 8, v8
	v_add_nc_u32_e32 v6, 0x3c000000, v6
	s_delay_alu instid0(VALU_DEP_1) | instskip(NEXT) | instid1(VALU_DEP_1)
	v_and_or_b32 v6, 0x7f800000, v7, v6
	v_cndmask_b32_e32 v5, 0, v6, vcc_lo
	s_delay_alu instid0(VALU_DEP_1) | instskip(NEXT) | instid1(VALU_DEP_1)
	v_and_or_b32 v3, 0x80000000, v3, v5
	v_cvt_i32_f32_e32 v7, v3
.LBB119_1752:
	s_mov_b32 s9, 0
.LBB119_1753:
	s_delay_alu instid0(SALU_CYCLE_1)
	s_and_not1_b32 vcc_lo, exec_lo, s9
	s_cbranch_vccnz .LBB119_1755
; %bb.1754:
	global_load_u8 v3, v[0:1], off
	s_wait_loadcnt 0x0
	v_lshlrev_b32_e32 v5, 25, v3
	v_lshlrev_b16 v3, 8, v3
	s_delay_alu instid0(VALU_DEP_1) | instskip(NEXT) | instid1(VALU_DEP_3)
	v_and_or_b32 v7, 0x7f00, v3, 0.5
	v_lshrrev_b32_e32 v6, 4, v5
	v_bfe_i32 v3, v3, 0, 16
	s_delay_alu instid0(VALU_DEP_3) | instskip(NEXT) | instid1(VALU_DEP_3)
	v_add_f32_e32 v7, -0.5, v7
	v_or_b32_e32 v6, 0x70000000, v6
	s_delay_alu instid0(VALU_DEP_1) | instskip(SKIP_1) | instid1(VALU_DEP_2)
	v_mul_f32_e32 v6, 0x7800000, v6
	v_cmp_gt_u32_e32 vcc_lo, 0x8000000, v5
	v_cndmask_b32_e32 v5, v6, v7, vcc_lo
	s_delay_alu instid0(VALU_DEP_1) | instskip(NEXT) | instid1(VALU_DEP_1)
	v_and_or_b32 v3, 0x80000000, v3, v5
	v_cvt_i32_f32_e32 v7, v3
.LBB119_1755:
	s_mov_b32 s9, 0
	s_mov_b32 s12, -1
.LBB119_1756:
	s_and_not1_b32 vcc_lo, exec_lo, s9
	s_mov_b32 s9, 0
	s_cbranch_vccnz .LBB119_1767
; %bb.1757:
	s_cmp_gt_i32 s8, 14
	s_cbranch_scc0 .LBB119_1760
; %bb.1758:
	s_cmp_eq_u32 s8, 15
	s_cbranch_scc0 .LBB119_1763
; %bb.1759:
	global_load_u16 v3, v[0:1], off
	s_mov_b32 s7, 0
	s_mov_b32 s12, -1
	s_wait_loadcnt 0x0
	v_lshlrev_b32_e32 v3, 16, v3
	s_delay_alu instid0(VALU_DEP_1)
	v_cvt_i32_f32_e32 v7, v3
	s_branch .LBB119_1765
.LBB119_1760:
	s_mov_b32 s9, -1
	s_branch .LBB119_1764
.LBB119_1761:
	s_and_not1_saveexec_b32 s9, s9
	s_cbranch_execz .LBB119_1742
.LBB119_1762:
	v_cmp_ne_u16_e32 vcc_lo, 0, v3
	s_and_not1_b32 s12, s12, exec_lo
	s_and_b32 s13, vcc_lo, exec_lo
	s_delay_alu instid0(SALU_CYCLE_1)
	s_or_b32 s12, s12, s13
	s_or_b32 exec_lo, exec_lo, s9
	v_mov_b32_e32 v7, 0
	s_and_saveexec_b32 s9, s12
	s_cbranch_execnz .LBB119_1743
	s_branch .LBB119_1744
.LBB119_1763:
	s_mov_b32 s7, -1
.LBB119_1764:
                                        ; implicit-def: $vgpr7
.LBB119_1765:
	s_and_b32 vcc_lo, exec_lo, s9
	s_mov_b32 s9, 0
	s_cbranch_vccz .LBB119_1767
; %bb.1766:
	s_cmp_lg_u32 s8, 11
	s_mov_b32 s9, -1
	s_cselect_b32 s8, -1, 0
	s_and_not1_b32 s7, s7, exec_lo
	s_and_b32 s8, s8, exec_lo
	s_delay_alu instid0(SALU_CYCLE_1)
	s_or_b32 s7, s7, s8
.LBB119_1767:
	s_mov_b32 s8, 0
.LBB119_1768:
	s_delay_alu instid0(SALU_CYCLE_1)
	s_and_b32 s13, s8, exec_lo
	s_and_not1_b32 s8, s47, exec_lo
	s_and_b32 s14, s7, exec_lo
	s_and_b32 s12, s12, exec_lo
	;; [unrolled: 1-line block ×3, first 2 shown]
	s_or_b32 s47, s8, s14
	s_wait_xcnt 0x0
	s_or_b32 exec_lo, exec_lo, s6
	s_and_saveexec_b32 s6, s47
	s_cbranch_execz .LBB119_1701
.LBB119_1769:
	s_or_b32 s1, s1, exec_lo
	s_and_not1_b32 s7, s7, exec_lo
	s_trap 2
	s_or_b32 exec_lo, exec_lo, s6
	s_and_saveexec_b32 s6, s7
	s_delay_alu instid0(SALU_CYCLE_1)
	s_xor_b32 s6, exec_lo, s6
	s_cbranch_execnz .LBB119_1702
.LBB119_1770:
	s_or_b32 exec_lo, exec_lo, s6
	s_and_saveexec_b32 s6, s13
	s_cbranch_execz .LBB119_1816
.LBB119_1771:
	s_sext_i32_i16 s7, s0
	s_delay_alu instid0(SALU_CYCLE_1)
	s_cmp_lt_i32 s7, 5
	s_cbranch_scc1 .LBB119_1776
; %bb.1772:
	s_cmp_lt_i32 s7, 8
	s_cbranch_scc1 .LBB119_1777
; %bb.1773:
	;; [unrolled: 3-line block ×3, first 2 shown]
	s_cmp_gt_i32 s7, 9
	s_cbranch_scc0 .LBB119_1779
; %bb.1775:
	s_wait_loadcnt 0x0
	global_load_b64 v[6:7], v[0:1], off
	s_mov_b32 s7, 0
	s_wait_loadcnt 0x0
	v_cvt_i32_f64_e32 v7, v[6:7]
	s_branch .LBB119_1780
.LBB119_1776:
                                        ; implicit-def: $vgpr7
	s_branch .LBB119_1797
.LBB119_1777:
                                        ; implicit-def: $vgpr7
	s_branch .LBB119_1786
.LBB119_1778:
	s_mov_b32 s7, -1
                                        ; implicit-def: $vgpr7
	s_branch .LBB119_1783
.LBB119_1779:
	s_mov_b32 s7, -1
                                        ; implicit-def: $vgpr7
.LBB119_1780:
	s_delay_alu instid0(SALU_CYCLE_1)
	s_and_not1_b32 vcc_lo, exec_lo, s7
	s_cbranch_vccnz .LBB119_1782
; %bb.1781:
	s_wait_loadcnt 0x0
	global_load_b32 v3, v[0:1], off
	s_wait_loadcnt 0x0
	v_cvt_i32_f32_e32 v7, v3
.LBB119_1782:
	s_mov_b32 s7, 0
.LBB119_1783:
	s_delay_alu instid0(SALU_CYCLE_1)
	s_and_not1_b32 vcc_lo, exec_lo, s7
	s_cbranch_vccnz .LBB119_1785
; %bb.1784:
	s_wait_loadcnt 0x0
	global_load_b32 v3, v[0:1], off
	s_wait_loadcnt 0x0
	v_cvt_f32_f16_e32 v3, v3
	s_delay_alu instid0(VALU_DEP_1)
	v_cvt_i32_f32_e32 v7, v3
.LBB119_1785:
	s_cbranch_execnz .LBB119_1796
.LBB119_1786:
	s_sext_i32_i16 s7, s0
	s_delay_alu instid0(SALU_CYCLE_1)
	s_cmp_lt_i32 s7, 6
	s_cbranch_scc1 .LBB119_1789
; %bb.1787:
	s_cmp_gt_i32 s7, 6
	s_cbranch_scc0 .LBB119_1790
; %bb.1788:
	s_wait_loadcnt 0x0
	global_load_b64 v[6:7], v[0:1], off
	s_mov_b32 s7, 0
	s_wait_loadcnt 0x0
	v_cvt_i32_f64_e32 v7, v[6:7]
	s_branch .LBB119_1791
.LBB119_1789:
	s_mov_b32 s7, -1
                                        ; implicit-def: $vgpr7
	s_branch .LBB119_1794
.LBB119_1790:
	s_mov_b32 s7, -1
                                        ; implicit-def: $vgpr7
.LBB119_1791:
	s_delay_alu instid0(SALU_CYCLE_1)
	s_and_not1_b32 vcc_lo, exec_lo, s7
	s_cbranch_vccnz .LBB119_1793
; %bb.1792:
	s_wait_loadcnt 0x0
	global_load_b32 v3, v[0:1], off
	s_wait_loadcnt 0x0
	v_cvt_i32_f32_e32 v7, v3
.LBB119_1793:
	s_mov_b32 s7, 0
.LBB119_1794:
	s_delay_alu instid0(SALU_CYCLE_1)
	s_and_not1_b32 vcc_lo, exec_lo, s7
	s_cbranch_vccnz .LBB119_1796
; %bb.1795:
	s_wait_loadcnt 0x0
	global_load_u16 v3, v[0:1], off
	s_wait_loadcnt 0x0
	v_cvt_f32_f16_e32 v3, v3
	s_delay_alu instid0(VALU_DEP_1)
	v_cvt_i32_f32_e32 v7, v3
.LBB119_1796:
	s_cbranch_execnz .LBB119_1815
.LBB119_1797:
	s_sext_i32_i16 s7, s0
	s_delay_alu instid0(SALU_CYCLE_1)
	s_cmp_lt_i32 s7, 2
	s_cbranch_scc1 .LBB119_1801
; %bb.1798:
	s_cmp_lt_i32 s7, 3
	s_cbranch_scc1 .LBB119_1802
; %bb.1799:
	s_cmp_gt_i32 s7, 3
	s_cbranch_scc0 .LBB119_1803
; %bb.1800:
	s_wait_loadcnt 0x0
	global_load_b32 v7, v[0:1], off
	s_mov_b32 s7, 0
	s_branch .LBB119_1804
.LBB119_1801:
                                        ; implicit-def: $vgpr7
	s_branch .LBB119_1810
.LBB119_1802:
	s_mov_b32 s7, -1
                                        ; implicit-def: $vgpr7
	s_branch .LBB119_1807
.LBB119_1803:
	s_mov_b32 s7, -1
                                        ; implicit-def: $vgpr7
.LBB119_1804:
	s_delay_alu instid0(SALU_CYCLE_1)
	s_and_not1_b32 vcc_lo, exec_lo, s7
	s_cbranch_vccnz .LBB119_1806
; %bb.1805:
	s_wait_loadcnt 0x0
	global_load_b32 v7, v[0:1], off
.LBB119_1806:
	s_mov_b32 s7, 0
.LBB119_1807:
	s_delay_alu instid0(SALU_CYCLE_1)
	s_and_not1_b32 vcc_lo, exec_lo, s7
	s_cbranch_vccnz .LBB119_1809
; %bb.1808:
	s_wait_loadcnt 0x0
	global_load_i16 v7, v[0:1], off
.LBB119_1809:
	s_cbranch_execnz .LBB119_1815
.LBB119_1810:
	s_sext_i32_i16 s0, s0
	s_delay_alu instid0(SALU_CYCLE_1)
	s_cmp_gt_i32 s0, 0
	s_mov_b32 s0, 0
	s_cbranch_scc0 .LBB119_1812
; %bb.1811:
	s_wait_loadcnt 0x0
	global_load_i8 v7, v[0:1], off
	s_branch .LBB119_1813
.LBB119_1812:
	s_mov_b32 s0, -1
                                        ; implicit-def: $vgpr7
.LBB119_1813:
	s_delay_alu instid0(SALU_CYCLE_1)
	s_and_not1_b32 vcc_lo, exec_lo, s0
	s_cbranch_vccnz .LBB119_1815
; %bb.1814:
	s_wait_loadcnt 0x0
	global_load_u8 v7, v[0:1], off
.LBB119_1815:
	s_or_b32 s12, s12, exec_lo
.LBB119_1816:
	s_wait_xcnt 0x0
	s_or_b32 exec_lo, exec_lo, s6
	s_mov_b32 s7, 0
	s_mov_b32 s6, 0
	s_mov_b32 s8, 0
                                        ; implicit-def: $vgpr0_vgpr1
                                        ; implicit-def: $vgpr5
	s_and_saveexec_b32 s0, s12
	s_cbranch_execz .LBB119_1824
; %bb.1817:
	v_mov_b32_e32 v5, 0
	s_and_b32 s6, 0xffff, s21
	s_delay_alu instid0(SALU_CYCLE_1) | instskip(SKIP_1) | instid1(VALU_DEP_1)
	s_cmp_lt_i32 s6, 11
	s_wait_loadcnt 0x0
	v_add_nc_u64_e32 v[0:1], s[10:11], v[4:5]
	s_cbranch_scc1 .LBB119_1827
; %bb.1818:
	s_cmp_gt_i32 s6, 25
	s_mov_b32 s9, 0
	s_cbranch_scc0 .LBB119_1828
; %bb.1819:
	s_cmp_gt_i32 s6, 28
	s_cbranch_scc0 .LBB119_1829
; %bb.1820:
	s_cmp_gt_i32 s6, 43
	;; [unrolled: 3-line block ×3, first 2 shown]
	s_cbranch_scc0 .LBB119_1831
; %bb.1822:
	s_cmp_eq_u32 s6, 46
	s_mov_b32 s10, 0
	s_cbranch_scc0 .LBB119_1832
; %bb.1823:
	global_load_b32 v3, v[0:1], off
	s_mov_b32 s8, -1
	s_wait_loadcnt 0x0
	v_lshlrev_b32_e32 v3, 16, v3
	s_delay_alu instid0(VALU_DEP_1)
	v_cvt_i32_f32_e32 v5, v3
	s_branch .LBB119_1834
.LBB119_1824:
	s_or_b32 exec_lo, exec_lo, s0
	s_and_saveexec_b32 s0, s46
	s_cbranch_execnz .LBB119_1893
.LBB119_1825:
	s_or_b32 exec_lo, exec_lo, s0
	s_and_saveexec_b32 s0, s7
	s_delay_alu instid0(SALU_CYCLE_1)
	s_xor_b32 s0, exec_lo, s0
	s_cbranch_execz .LBB119_1894
.LBB119_1826:
	s_wait_loadcnt 0x0
	global_load_u8 v3, v[0:1], off
	s_or_b32 s8, s8, exec_lo
	s_wait_loadcnt 0x0
	v_cmp_ne_u16_e32 vcc_lo, 0, v3
	v_cndmask_b32_e64 v5, 0, 1, vcc_lo
	s_wait_xcnt 0x0
	s_or_b32 exec_lo, exec_lo, s0
	s_and_saveexec_b32 s0, s6
	s_cbranch_execz .LBB119_1940
	s_branch .LBB119_1895
.LBB119_1827:
	s_mov_b32 s6, -1
	s_mov_b32 s9, 0
	s_mov_b32 s7, s46
                                        ; implicit-def: $vgpr5
	s_branch .LBB119_1892
.LBB119_1828:
	s_mov_b32 s7, s46
                                        ; implicit-def: $vgpr5
	s_cbranch_execnz .LBB119_1861
	s_branch .LBB119_1891
.LBB119_1829:
	s_mov_b32 s10, -1
	s_mov_b32 s7, s46
                                        ; implicit-def: $vgpr5
	s_branch .LBB119_1844
.LBB119_1830:
	s_mov_b32 s10, -1
	s_mov_b32 s7, s46
                                        ; implicit-def: $vgpr5
	s_branch .LBB119_1839
.LBB119_1831:
	s_mov_b32 s10, -1
	s_mov_b32 s7, s46
	s_branch .LBB119_1833
.LBB119_1832:
	s_mov_b32 s7, -1
.LBB119_1833:
                                        ; implicit-def: $vgpr5
.LBB119_1834:
	s_and_b32 vcc_lo, exec_lo, s10
	s_cbranch_vccz .LBB119_1838
; %bb.1835:
	s_cmp_eq_u32 s6, 44
	s_cbranch_scc0 .LBB119_1837
; %bb.1836:
	global_load_u8 v3, v[0:1], off
	s_mov_b32 s7, 0
	s_mov_b32 s8, -1
	s_wait_loadcnt 0x0
	v_lshlrev_b32_e32 v4, 23, v3
	v_cmp_ne_u32_e32 vcc_lo, 0, v3
	s_delay_alu instid0(VALU_DEP_2) | instskip(NEXT) | instid1(VALU_DEP_1)
	v_cvt_i32_f32_e32 v4, v4
	v_cndmask_b32_e32 v5, 0, v4, vcc_lo
	s_branch .LBB119_1838
.LBB119_1837:
	s_mov_b32 s7, -1
                                        ; implicit-def: $vgpr5
.LBB119_1838:
	s_mov_b32 s10, 0
.LBB119_1839:
	s_delay_alu instid0(SALU_CYCLE_1)
	s_and_b32 vcc_lo, exec_lo, s10
	s_cbranch_vccz .LBB119_1843
; %bb.1840:
	s_cmp_eq_u32 s6, 29
	s_cbranch_scc0 .LBB119_1842
; %bb.1841:
	global_load_b32 v5, v[0:1], off
	s_mov_b32 s7, 0
	s_mov_b32 s8, -1
	s_branch .LBB119_1843
.LBB119_1842:
	s_mov_b32 s7, -1
                                        ; implicit-def: $vgpr5
.LBB119_1843:
	s_mov_b32 s10, 0
.LBB119_1844:
	s_delay_alu instid0(SALU_CYCLE_1)
	s_and_b32 vcc_lo, exec_lo, s10
	s_cbranch_vccz .LBB119_1860
; %bb.1845:
	s_cmp_lt_i32 s6, 27
	s_cbranch_scc1 .LBB119_1848
; %bb.1846:
	s_cmp_gt_i32 s6, 27
	s_cbranch_scc0 .LBB119_1849
; %bb.1847:
	s_wait_loadcnt 0x0
	global_load_b32 v5, v[0:1], off
	s_mov_b32 s8, 0
	s_branch .LBB119_1850
.LBB119_1848:
	s_mov_b32 s8, -1
                                        ; implicit-def: $vgpr5
	s_branch .LBB119_1853
.LBB119_1849:
	s_mov_b32 s8, -1
                                        ; implicit-def: $vgpr5
.LBB119_1850:
	s_delay_alu instid0(SALU_CYCLE_1)
	s_and_not1_b32 vcc_lo, exec_lo, s8
	s_cbranch_vccnz .LBB119_1852
; %bb.1851:
	s_wait_loadcnt 0x0
	global_load_u16 v5, v[0:1], off
.LBB119_1852:
	s_mov_b32 s8, 0
.LBB119_1853:
	s_delay_alu instid0(SALU_CYCLE_1)
	s_and_not1_b32 vcc_lo, exec_lo, s8
	s_cbranch_vccnz .LBB119_1859
; %bb.1854:
	global_load_u8 v3, v[0:1], off
	s_mov_b32 s10, 0
	s_mov_b32 s8, exec_lo
	s_wait_loadcnt 0x0
	v_cmpx_lt_i16_e32 0x7f, v3
	s_xor_b32 s8, exec_lo, s8
	s_cbranch_execz .LBB119_1870
; %bb.1855:
	v_cmp_ne_u16_e32 vcc_lo, 0x80, v3
	s_and_b32 s10, vcc_lo, exec_lo
	s_and_not1_saveexec_b32 s8, s8
	s_cbranch_execnz .LBB119_1871
.LBB119_1856:
	s_or_b32 exec_lo, exec_lo, s8
	v_mov_b32_e32 v5, 0
	s_and_saveexec_b32 s8, s10
	s_cbranch_execz .LBB119_1858
.LBB119_1857:
	v_and_b32_e32 v4, 0xffff, v3
	s_delay_alu instid0(VALU_DEP_1) | instskip(SKIP_1) | instid1(VALU_DEP_2)
	v_and_b32_e32 v5, 7, v4
	v_bfe_u32 v9, v4, 3, 4
	v_clz_i32_u32_e32 v6, v5
	s_delay_alu instid0(VALU_DEP_2) | instskip(NEXT) | instid1(VALU_DEP_2)
	v_cmp_eq_u32_e32 vcc_lo, 0, v9
	v_min_u32_e32 v6, 32, v6
	s_delay_alu instid0(VALU_DEP_1) | instskip(NEXT) | instid1(VALU_DEP_1)
	v_subrev_nc_u32_e32 v8, 28, v6
	v_dual_lshlrev_b32 v4, v8, v4 :: v_dual_sub_nc_u32 v6, 29, v6
	s_delay_alu instid0(VALU_DEP_1) | instskip(NEXT) | instid1(VALU_DEP_2)
	v_dual_lshlrev_b32 v3, 24, v3 :: v_dual_bitop2_b32 v4, 7, v4 bitop3:0x40
	v_cndmask_b32_e32 v6, v9, v6, vcc_lo
	s_delay_alu instid0(VALU_DEP_2) | instskip(NEXT) | instid1(VALU_DEP_3)
	v_cndmask_b32_e32 v4, v5, v4, vcc_lo
	v_and_b32_e32 v3, 0x80000000, v3
	s_delay_alu instid0(VALU_DEP_3) | instskip(NEXT) | instid1(VALU_DEP_3)
	v_lshl_add_u32 v5, v6, 23, 0x3b800000
	v_lshlrev_b32_e32 v4, 20, v4
	s_delay_alu instid0(VALU_DEP_1) | instskip(NEXT) | instid1(VALU_DEP_1)
	v_or3_b32 v3, v3, v5, v4
	v_cvt_i32_f32_e32 v5, v3
.LBB119_1858:
	s_or_b32 exec_lo, exec_lo, s8
.LBB119_1859:
	s_mov_b32 s8, -1
.LBB119_1860:
	s_branch .LBB119_1891
.LBB119_1861:
	s_cmp_gt_i32 s6, 22
	s_cbranch_scc0 .LBB119_1869
; %bb.1862:
	s_cmp_lt_i32 s6, 24
	s_cbranch_scc1 .LBB119_1872
; %bb.1863:
	s_cmp_gt_i32 s6, 24
	s_cbranch_scc0 .LBB119_1873
; %bb.1864:
	global_load_u8 v3, v[0:1], off
	s_mov_b32 s8, exec_lo
	s_wait_loadcnt 0x0
	v_cmpx_lt_i16_e32 0x7f, v3
	s_xor_b32 s8, exec_lo, s8
	s_cbranch_execz .LBB119_1885
; %bb.1865:
	v_cmp_ne_u16_e32 vcc_lo, 0x80, v3
	s_and_b32 s9, vcc_lo, exec_lo
	s_and_not1_saveexec_b32 s8, s8
	s_cbranch_execnz .LBB119_1886
.LBB119_1866:
	s_or_b32 exec_lo, exec_lo, s8
	v_mov_b32_e32 v5, 0
	s_and_saveexec_b32 s8, s9
	s_cbranch_execz .LBB119_1868
.LBB119_1867:
	v_and_b32_e32 v4, 0xffff, v3
	s_delay_alu instid0(VALU_DEP_1) | instskip(SKIP_1) | instid1(VALU_DEP_2)
	v_and_b32_e32 v5, 3, v4
	v_bfe_u32 v9, v4, 2, 5
	v_clz_i32_u32_e32 v6, v5
	s_delay_alu instid0(VALU_DEP_2) | instskip(NEXT) | instid1(VALU_DEP_2)
	v_cmp_eq_u32_e32 vcc_lo, 0, v9
	v_min_u32_e32 v6, 32, v6
	s_delay_alu instid0(VALU_DEP_1) | instskip(NEXT) | instid1(VALU_DEP_1)
	v_subrev_nc_u32_e32 v8, 29, v6
	v_dual_lshlrev_b32 v4, v8, v4 :: v_dual_sub_nc_u32 v6, 30, v6
	s_delay_alu instid0(VALU_DEP_1) | instskip(NEXT) | instid1(VALU_DEP_2)
	v_dual_lshlrev_b32 v3, 24, v3 :: v_dual_bitop2_b32 v4, 3, v4 bitop3:0x40
	v_cndmask_b32_e32 v6, v9, v6, vcc_lo
	s_delay_alu instid0(VALU_DEP_2) | instskip(NEXT) | instid1(VALU_DEP_3)
	v_cndmask_b32_e32 v4, v5, v4, vcc_lo
	v_and_b32_e32 v3, 0x80000000, v3
	s_delay_alu instid0(VALU_DEP_3) | instskip(NEXT) | instid1(VALU_DEP_3)
	v_lshl_add_u32 v5, v6, 23, 0x37800000
	v_lshlrev_b32_e32 v4, 21, v4
	s_delay_alu instid0(VALU_DEP_1) | instskip(NEXT) | instid1(VALU_DEP_1)
	v_or3_b32 v3, v3, v5, v4
	v_cvt_i32_f32_e32 v5, v3
.LBB119_1868:
	s_or_b32 exec_lo, exec_lo, s8
	s_mov_b32 s8, 0
	s_branch .LBB119_1874
.LBB119_1869:
	s_mov_b32 s9, -1
                                        ; implicit-def: $vgpr5
	s_branch .LBB119_1880
.LBB119_1870:
	s_and_not1_saveexec_b32 s8, s8
	s_cbranch_execz .LBB119_1856
.LBB119_1871:
	v_cmp_ne_u16_e32 vcc_lo, 0, v3
	s_and_not1_b32 s10, s10, exec_lo
	s_and_b32 s11, vcc_lo, exec_lo
	s_delay_alu instid0(SALU_CYCLE_1)
	s_or_b32 s10, s10, s11
	s_or_b32 exec_lo, exec_lo, s8
	v_mov_b32_e32 v5, 0
	s_and_saveexec_b32 s8, s10
	s_cbranch_execnz .LBB119_1857
	s_branch .LBB119_1858
.LBB119_1872:
	s_mov_b32 s8, -1
                                        ; implicit-def: $vgpr5
	s_branch .LBB119_1877
.LBB119_1873:
	s_mov_b32 s8, -1
                                        ; implicit-def: $vgpr5
.LBB119_1874:
	s_delay_alu instid0(SALU_CYCLE_1)
	s_and_b32 vcc_lo, exec_lo, s8
	s_cbranch_vccz .LBB119_1876
; %bb.1875:
	global_load_u8 v3, v[0:1], off
	s_wait_loadcnt 0x0
	v_lshlrev_b32_e32 v3, 24, v3
	s_delay_alu instid0(VALU_DEP_1) | instskip(NEXT) | instid1(VALU_DEP_1)
	v_and_b32_e32 v4, 0x7f000000, v3
	v_clz_i32_u32_e32 v5, v4
	v_add_nc_u32_e32 v8, 0x1000000, v4
	v_cmp_ne_u32_e32 vcc_lo, 0, v4
	s_delay_alu instid0(VALU_DEP_3) | instskip(NEXT) | instid1(VALU_DEP_1)
	v_min_u32_e32 v5, 32, v5
	v_sub_nc_u32_e64 v5, v5, 4 clamp
	s_delay_alu instid0(VALU_DEP_1) | instskip(NEXT) | instid1(VALU_DEP_1)
	v_dual_lshlrev_b32 v6, v5, v4 :: v_dual_lshlrev_b32 v5, 23, v5
	v_lshrrev_b32_e32 v6, 4, v6
	s_delay_alu instid0(VALU_DEP_1) | instskip(NEXT) | instid1(VALU_DEP_1)
	v_dual_sub_nc_u32 v5, v6, v5 :: v_dual_ashrrev_i32 v6, 8, v8
	v_add_nc_u32_e32 v5, 0x3c000000, v5
	s_delay_alu instid0(VALU_DEP_1) | instskip(NEXT) | instid1(VALU_DEP_1)
	v_and_or_b32 v5, 0x7f800000, v6, v5
	v_cndmask_b32_e32 v4, 0, v5, vcc_lo
	s_delay_alu instid0(VALU_DEP_1) | instskip(NEXT) | instid1(VALU_DEP_1)
	v_and_or_b32 v3, 0x80000000, v3, v4
	v_cvt_i32_f32_e32 v5, v3
.LBB119_1876:
	s_mov_b32 s8, 0
.LBB119_1877:
	s_delay_alu instid0(SALU_CYCLE_1)
	s_and_not1_b32 vcc_lo, exec_lo, s8
	s_cbranch_vccnz .LBB119_1879
; %bb.1878:
	global_load_u8 v3, v[0:1], off
	s_wait_loadcnt 0x0
	v_lshlrev_b32_e32 v4, 25, v3
	v_lshlrev_b16 v3, 8, v3
	s_delay_alu instid0(VALU_DEP_1) | instskip(SKIP_1) | instid1(VALU_DEP_2)
	v_and_or_b32 v6, 0x7f00, v3, 0.5
	v_bfe_i32 v3, v3, 0, 16
	v_dual_add_f32 v6, -0.5, v6 :: v_dual_lshrrev_b32 v5, 4, v4
	v_cmp_gt_u32_e32 vcc_lo, 0x8000000, v4
	s_delay_alu instid0(VALU_DEP_2) | instskip(NEXT) | instid1(VALU_DEP_1)
	v_or_b32_e32 v5, 0x70000000, v5
	v_mul_f32_e32 v5, 0x7800000, v5
	s_delay_alu instid0(VALU_DEP_1) | instskip(NEXT) | instid1(VALU_DEP_1)
	v_cndmask_b32_e32 v4, v5, v6, vcc_lo
	v_and_or_b32 v3, 0x80000000, v3, v4
	s_delay_alu instid0(VALU_DEP_1)
	v_cvt_i32_f32_e32 v5, v3
.LBB119_1879:
	s_mov_b32 s9, 0
	s_mov_b32 s8, -1
.LBB119_1880:
	s_and_not1_b32 vcc_lo, exec_lo, s9
	s_mov_b32 s9, 0
	s_cbranch_vccnz .LBB119_1891
; %bb.1881:
	s_cmp_gt_i32 s6, 14
	s_cbranch_scc0 .LBB119_1884
; %bb.1882:
	s_cmp_eq_u32 s6, 15
	s_cbranch_scc0 .LBB119_1887
; %bb.1883:
	global_load_u16 v3, v[0:1], off
	s_mov_b32 s7, 0
	s_mov_b32 s8, -1
	s_wait_loadcnt 0x0
	v_lshlrev_b32_e32 v3, 16, v3
	s_delay_alu instid0(VALU_DEP_1)
	v_cvt_i32_f32_e32 v5, v3
	s_branch .LBB119_1889
.LBB119_1884:
	s_mov_b32 s9, -1
	s_branch .LBB119_1888
.LBB119_1885:
	s_and_not1_saveexec_b32 s8, s8
	s_cbranch_execz .LBB119_1866
.LBB119_1886:
	v_cmp_ne_u16_e32 vcc_lo, 0, v3
	s_and_not1_b32 s9, s9, exec_lo
	s_and_b32 s10, vcc_lo, exec_lo
	s_delay_alu instid0(SALU_CYCLE_1)
	s_or_b32 s9, s9, s10
	s_or_b32 exec_lo, exec_lo, s8
	v_mov_b32_e32 v5, 0
	s_and_saveexec_b32 s8, s9
	s_cbranch_execnz .LBB119_1867
	s_branch .LBB119_1868
.LBB119_1887:
	s_mov_b32 s7, -1
.LBB119_1888:
                                        ; implicit-def: $vgpr5
.LBB119_1889:
	s_and_b32 vcc_lo, exec_lo, s9
	s_mov_b32 s9, 0
	s_cbranch_vccz .LBB119_1891
; %bb.1890:
	s_cmp_lg_u32 s6, 11
	s_mov_b32 s9, -1
	s_cselect_b32 s6, -1, 0
	s_and_not1_b32 s7, s7, exec_lo
	s_and_b32 s6, s6, exec_lo
	s_delay_alu instid0(SALU_CYCLE_1)
	s_or_b32 s7, s7, s6
.LBB119_1891:
	s_mov_b32 s6, 0
.LBB119_1892:
	s_and_not1_b32 s10, s46, exec_lo
	s_and_b32 s11, s7, exec_lo
	s_and_b32 s8, s8, exec_lo
	;; [unrolled: 1-line block ×4, first 2 shown]
	s_or_b32 s46, s10, s11
	s_wait_xcnt 0x0
	s_or_b32 exec_lo, exec_lo, s0
	s_and_saveexec_b32 s0, s46
	s_cbranch_execz .LBB119_1825
.LBB119_1893:
	s_or_b32 s1, s1, exec_lo
	s_and_not1_b32 s7, s7, exec_lo
	s_trap 2
	s_or_b32 exec_lo, exec_lo, s0
	s_and_saveexec_b32 s0, s7
	s_delay_alu instid0(SALU_CYCLE_1)
	s_xor_b32 s0, exec_lo, s0
	s_cbranch_execnz .LBB119_1826
.LBB119_1894:
	s_or_b32 exec_lo, exec_lo, s0
	s_and_saveexec_b32 s0, s6
	s_cbranch_execz .LBB119_1940
.LBB119_1895:
	s_sext_i32_i16 s6, s21
	s_delay_alu instid0(SALU_CYCLE_1)
	s_cmp_lt_i32 s6, 5
	s_cbranch_scc1 .LBB119_1900
; %bb.1896:
	s_cmp_lt_i32 s6, 8
	s_cbranch_scc1 .LBB119_1901
; %bb.1897:
	;; [unrolled: 3-line block ×3, first 2 shown]
	s_cmp_gt_i32 s6, 9
	s_cbranch_scc0 .LBB119_1903
; %bb.1899:
	s_wait_loadcnt 0x0
	global_load_b64 v[4:5], v[0:1], off
	s_mov_b32 s6, 0
	s_wait_loadcnt 0x0
	v_cvt_i32_f64_e32 v5, v[4:5]
	s_branch .LBB119_1904
.LBB119_1900:
                                        ; implicit-def: $vgpr5
	s_branch .LBB119_1921
.LBB119_1901:
                                        ; implicit-def: $vgpr5
	s_branch .LBB119_1910
.LBB119_1902:
	s_mov_b32 s6, -1
                                        ; implicit-def: $vgpr5
	s_branch .LBB119_1907
.LBB119_1903:
	s_mov_b32 s6, -1
                                        ; implicit-def: $vgpr5
.LBB119_1904:
	s_delay_alu instid0(SALU_CYCLE_1)
	s_and_not1_b32 vcc_lo, exec_lo, s6
	s_cbranch_vccnz .LBB119_1906
; %bb.1905:
	s_wait_loadcnt 0x0
	global_load_b32 v3, v[0:1], off
	s_wait_loadcnt 0x0
	v_cvt_i32_f32_e32 v5, v3
.LBB119_1906:
	s_mov_b32 s6, 0
.LBB119_1907:
	s_delay_alu instid0(SALU_CYCLE_1)
	s_and_not1_b32 vcc_lo, exec_lo, s6
	s_cbranch_vccnz .LBB119_1909
; %bb.1908:
	s_wait_loadcnt 0x0
	global_load_b32 v3, v[0:1], off
	s_wait_loadcnt 0x0
	v_cvt_f32_f16_e32 v3, v3
	s_delay_alu instid0(VALU_DEP_1)
	v_cvt_i32_f32_e32 v5, v3
.LBB119_1909:
	s_cbranch_execnz .LBB119_1920
.LBB119_1910:
	s_sext_i32_i16 s6, s21
	s_delay_alu instid0(SALU_CYCLE_1)
	s_cmp_lt_i32 s6, 6
	s_cbranch_scc1 .LBB119_1913
; %bb.1911:
	s_cmp_gt_i32 s6, 6
	s_cbranch_scc0 .LBB119_1914
; %bb.1912:
	s_wait_loadcnt 0x0
	global_load_b64 v[4:5], v[0:1], off
	s_mov_b32 s6, 0
	s_wait_loadcnt 0x0
	v_cvt_i32_f64_e32 v5, v[4:5]
	s_branch .LBB119_1915
.LBB119_1913:
	s_mov_b32 s6, -1
                                        ; implicit-def: $vgpr5
	s_branch .LBB119_1918
.LBB119_1914:
	s_mov_b32 s6, -1
                                        ; implicit-def: $vgpr5
.LBB119_1915:
	s_delay_alu instid0(SALU_CYCLE_1)
	s_and_not1_b32 vcc_lo, exec_lo, s6
	s_cbranch_vccnz .LBB119_1917
; %bb.1916:
	s_wait_loadcnt 0x0
	global_load_b32 v3, v[0:1], off
	s_wait_loadcnt 0x0
	v_cvt_i32_f32_e32 v5, v3
.LBB119_1917:
	s_mov_b32 s6, 0
.LBB119_1918:
	s_delay_alu instid0(SALU_CYCLE_1)
	s_and_not1_b32 vcc_lo, exec_lo, s6
	s_cbranch_vccnz .LBB119_1920
; %bb.1919:
	s_wait_loadcnt 0x0
	global_load_u16 v3, v[0:1], off
	s_wait_loadcnt 0x0
	v_cvt_f32_f16_e32 v3, v3
	s_delay_alu instid0(VALU_DEP_1)
	v_cvt_i32_f32_e32 v5, v3
.LBB119_1920:
	s_cbranch_execnz .LBB119_1939
.LBB119_1921:
	s_sext_i32_i16 s6, s21
	s_delay_alu instid0(SALU_CYCLE_1)
	s_cmp_lt_i32 s6, 2
	s_cbranch_scc1 .LBB119_1925
; %bb.1922:
	s_cmp_lt_i32 s6, 3
	s_cbranch_scc1 .LBB119_1926
; %bb.1923:
	s_cmp_gt_i32 s6, 3
	s_cbranch_scc0 .LBB119_1927
; %bb.1924:
	s_wait_loadcnt 0x0
	global_load_b32 v5, v[0:1], off
	s_mov_b32 s6, 0
	s_branch .LBB119_1928
.LBB119_1925:
                                        ; implicit-def: $vgpr5
	s_branch .LBB119_1934
.LBB119_1926:
	s_mov_b32 s6, -1
                                        ; implicit-def: $vgpr5
	s_branch .LBB119_1931
.LBB119_1927:
	s_mov_b32 s6, -1
                                        ; implicit-def: $vgpr5
.LBB119_1928:
	s_delay_alu instid0(SALU_CYCLE_1)
	s_and_not1_b32 vcc_lo, exec_lo, s6
	s_cbranch_vccnz .LBB119_1930
; %bb.1929:
	s_wait_loadcnt 0x0
	global_load_b32 v5, v[0:1], off
.LBB119_1930:
	s_mov_b32 s6, 0
.LBB119_1931:
	s_delay_alu instid0(SALU_CYCLE_1)
	s_and_not1_b32 vcc_lo, exec_lo, s6
	s_cbranch_vccnz .LBB119_1933
; %bb.1932:
	s_wait_loadcnt 0x0
	global_load_i16 v5, v[0:1], off
.LBB119_1933:
	s_cbranch_execnz .LBB119_1939
.LBB119_1934:
	s_sext_i32_i16 s6, s21
	s_delay_alu instid0(SALU_CYCLE_1)
	s_cmp_gt_i32 s6, 0
	s_mov_b32 s6, 0
	s_cbranch_scc0 .LBB119_1936
; %bb.1935:
	s_wait_loadcnt 0x0
	global_load_i8 v5, v[0:1], off
	s_branch .LBB119_1937
.LBB119_1936:
	s_mov_b32 s6, -1
                                        ; implicit-def: $vgpr5
.LBB119_1937:
	s_delay_alu instid0(SALU_CYCLE_1)
	s_and_not1_b32 vcc_lo, exec_lo, s6
	s_cbranch_vccnz .LBB119_1939
; %bb.1938:
	s_wait_loadcnt 0x0
	global_load_u8 v5, v[0:1], off
.LBB119_1939:
	s_or_b32 s8, s8, exec_lo
.LBB119_1940:
	s_wait_xcnt 0x0
	s_or_b32 exec_lo, exec_lo, s0
	s_mov_b32 s0, 0
	s_mov_b32 s9, 0
                                        ; implicit-def: $sgpr6
                                        ; implicit-def: $vgpr0_vgpr1
                                        ; implicit-def: $vgpr4
	s_and_saveexec_b32 s7, s8
	s_cbranch_execz .LBB119_1948
; %bb.1941:
	v_mov_b32_e32 v3, 0
	s_wait_loadcnt 0x0
	s_delay_alu instid0(VALU_DEP_2) | instskip(SKIP_1) | instid1(SALU_CYCLE_1)
	v_maxmin_i32 v4, v10, v7, v5
	s_and_b32 s6, s38, 0xff
	s_cmp_lt_i32 s6, 11
	v_add_nc_u64_e32 v[0:1], s[4:5], v[2:3]
	s_cbranch_scc1 .LBB119_1951
; %bb.1942:
	s_and_b32 s4, 0xffff, s6
	s_mov_b32 s5, -1
	s_cmp_gt_i32 s4, 25
	s_mov_b32 s0, s42
	s_cbranch_scc0 .LBB119_1979
; %bb.1943:
	s_cmp_gt_i32 s4, 28
	s_mov_b32 s0, s42
	s_cbranch_scc0 .LBB119_1963
; %bb.1944:
	;; [unrolled: 4-line block ×4, first 2 shown]
	s_cmp_eq_u32 s4, 46
	s_mov_b32 s0, -1
	s_cbranch_scc0 .LBB119_1952
; %bb.1947:
	v_cvt_f32_i32_e32 v2, v4
	s_mov_b32 s0, 0
	s_mov_b32 s5, 0
	s_delay_alu instid0(VALU_DEP_1) | instskip(NEXT) | instid1(VALU_DEP_1)
	v_bfe_u32 v3, v2, 16, 1
	v_add3_u32 v2, v2, v3, 0x7fff
	s_delay_alu instid0(VALU_DEP_1)
	v_lshrrev_b32_e32 v2, 16, v2
	global_store_b32 v[0:1], v2, off
	s_branch .LBB119_1953
.LBB119_1948:
	s_or_b32 exec_lo, exec_lo, s7
	s_and_saveexec_b32 s4, s42
	s_cbranch_execnz .LBB119_2021
.LBB119_1949:
	s_or_b32 exec_lo, exec_lo, s4
	s_and_saveexec_b32 s4, s0
	s_delay_alu instid0(SALU_CYCLE_1)
	s_xor_b32 s0, exec_lo, s4
	s_cbranch_execz .LBB119_2022
.LBB119_1950:
	v_cmp_ne_u32_e32 vcc_lo, 0, v4
	v_cndmask_b32_e64 v2, 0, 1, vcc_lo
	s_wait_loadcnt 0x0
	global_store_b8 v[0:1], v2, off
	s_wait_xcnt 0x0
	s_or_b32 exec_lo, exec_lo, s0
	s_and_saveexec_b32 s0, s9
	s_delay_alu instid0(SALU_CYCLE_1)
	s_xor_b32 s0, exec_lo, s0
	s_cbranch_execz .LBB119_2060
	s_branch .LBB119_2023
.LBB119_1951:
	s_mov_b32 s8, 0
	s_mov_b32 s5, -1
	s_mov_b32 s0, s42
	s_branch .LBB119_2020
.LBB119_1952:
	s_mov_b32 s5, 0
.LBB119_1953:
	s_delay_alu instid0(SALU_CYCLE_1)
	s_and_b32 vcc_lo, exec_lo, s5
	s_cbranch_vccz .LBB119_1958
; %bb.1954:
	s_cmp_eq_u32 s4, 44
	s_mov_b32 s0, -1
	s_cbranch_scc0 .LBB119_1958
; %bb.1955:
	s_wait_xcnt 0x0
	v_cvt_f32_i32_e32 v2, v4
	v_mov_b32_e32 v3, 0xff
	s_mov_b32 s5, exec_lo
	s_delay_alu instid0(VALU_DEP_2) | instskip(NEXT) | instid1(VALU_DEP_1)
	v_bfe_u32 v5, v2, 23, 8
	v_cmpx_ne_u32_e32 0xff, v5
	s_cbranch_execz .LBB119_1957
; %bb.1956:
	v_and_b32_e32 v3, 0x400000, v2
	v_and_or_b32 v5, 0x3fffff, v2, v5
	v_lshrrev_b32_e32 v2, 23, v2
	s_delay_alu instid0(VALU_DEP_3) | instskip(NEXT) | instid1(VALU_DEP_3)
	v_cmp_ne_u32_e32 vcc_lo, 0, v3
	v_cmp_ne_u32_e64 s0, 0, v5
	s_and_b32 s0, vcc_lo, s0
	s_delay_alu instid0(SALU_CYCLE_1) | instskip(NEXT) | instid1(VALU_DEP_1)
	v_cndmask_b32_e64 v3, 0, 1, s0
	v_add_nc_u32_e32 v3, v2, v3
.LBB119_1957:
	s_or_b32 exec_lo, exec_lo, s5
	s_mov_b32 s0, 0
	global_store_b8 v[0:1], v3, off
.LBB119_1958:
	s_mov_b32 s5, 0
.LBB119_1959:
	s_delay_alu instid0(SALU_CYCLE_1)
	s_and_b32 vcc_lo, exec_lo, s5
	s_cbranch_vccz .LBB119_1962
; %bb.1960:
	s_cmp_eq_u32 s4, 29
	s_mov_b32 s0, -1
	s_cbranch_scc0 .LBB119_1962
; %bb.1961:
	v_ashrrev_i32_e32 v5, 31, v4
	s_mov_b32 s0, 0
	s_mov_b32 s5, 0
	global_store_b64 v[0:1], v[4:5], off
	s_branch .LBB119_1963
.LBB119_1962:
	s_mov_b32 s5, 0
.LBB119_1963:
	s_delay_alu instid0(SALU_CYCLE_1)
	s_and_b32 vcc_lo, exec_lo, s5
	s_cbranch_vccz .LBB119_1978
; %bb.1964:
	s_cmp_lt_i32 s4, 27
	s_mov_b32 s5, -1
	s_cbranch_scc1 .LBB119_1970
; %bb.1965:
	s_cmp_gt_i32 s4, 27
	s_cbranch_scc0 .LBB119_1967
; %bb.1966:
	s_mov_b32 s5, 0
	global_store_b32 v[0:1], v4, off
.LBB119_1967:
	s_and_not1_b32 vcc_lo, exec_lo, s5
	s_cbranch_vccnz .LBB119_1969
; %bb.1968:
	global_store_b16 v[0:1], v4, off
.LBB119_1969:
	s_mov_b32 s5, 0
.LBB119_1970:
	s_delay_alu instid0(SALU_CYCLE_1)
	s_and_not1_b32 vcc_lo, exec_lo, s5
	s_cbranch_vccnz .LBB119_1978
; %bb.1971:
	s_wait_xcnt 0x0
	v_cvt_f32_i32_e32 v2, v4
	v_mov_b32_e32 v5, 0x80
	s_mov_b32 s5, exec_lo
	s_delay_alu instid0(VALU_DEP_2) | instskip(NEXT) | instid1(VALU_DEP_1)
	v_and_b32_e32 v3, 0x7fffffff, v2
	v_cmpx_gt_u32_e32 0x43800000, v3
	s_cbranch_execz .LBB119_1977
; %bb.1972:
	v_cmp_lt_u32_e32 vcc_lo, 0x3bffffff, v3
	s_mov_b32 s8, 0
                                        ; implicit-def: $vgpr3
	s_and_saveexec_b32 s9, vcc_lo
	s_delay_alu instid0(SALU_CYCLE_1)
	s_xor_b32 s9, exec_lo, s9
	s_cbranch_execz .LBB119_2119
; %bb.1973:
	v_bfe_u32 v3, v2, 20, 1
	s_mov_b32 s8, exec_lo
	s_delay_alu instid0(VALU_DEP_1) | instskip(NEXT) | instid1(VALU_DEP_1)
	v_add3_u32 v3, v2, v3, 0x487ffff
	v_lshrrev_b32_e32 v3, 20, v3
	s_and_not1_saveexec_b32 s9, s9
	s_cbranch_execnz .LBB119_2120
.LBB119_1974:
	s_or_b32 exec_lo, exec_lo, s9
	v_mov_b32_e32 v5, 0
	s_and_saveexec_b32 s9, s8
.LBB119_1975:
	v_lshrrev_b32_e32 v2, 24, v2
	s_delay_alu instid0(VALU_DEP_1)
	v_and_or_b32 v5, 0x80, v2, v3
.LBB119_1976:
	s_or_b32 exec_lo, exec_lo, s9
.LBB119_1977:
	s_delay_alu instid0(SALU_CYCLE_1)
	s_or_b32 exec_lo, exec_lo, s5
	global_store_b8 v[0:1], v5, off
.LBB119_1978:
	s_mov_b32 s5, 0
.LBB119_1979:
	s_delay_alu instid0(SALU_CYCLE_1)
	s_and_b32 vcc_lo, exec_lo, s5
	s_mov_b32 s5, 0
	s_cbranch_vccz .LBB119_2019
; %bb.1980:
	s_cmp_gt_i32 s4, 22
	s_mov_b32 s8, -1
	s_cbranch_scc0 .LBB119_2012
; %bb.1981:
	s_cmp_lt_i32 s4, 24
	s_cbranch_scc1 .LBB119_2001
; %bb.1982:
	s_cmp_gt_i32 s4, 24
	s_cbranch_scc0 .LBB119_1990
; %bb.1983:
	s_wait_xcnt 0x0
	v_cvt_f32_i32_e32 v2, v4
	v_mov_b32_e32 v5, 0x80
	s_mov_b32 s8, exec_lo
	s_delay_alu instid0(VALU_DEP_2) | instskip(NEXT) | instid1(VALU_DEP_1)
	v_and_b32_e32 v3, 0x7fffffff, v2
	v_cmpx_gt_u32_e32 0x47800000, v3
	s_cbranch_execz .LBB119_1989
; %bb.1984:
	v_cmp_lt_u32_e32 vcc_lo, 0x37ffffff, v3
	s_mov_b32 s9, 0
                                        ; implicit-def: $vgpr3
	s_and_saveexec_b32 s10, vcc_lo
	s_delay_alu instid0(SALU_CYCLE_1)
	s_xor_b32 s10, exec_lo, s10
	s_cbranch_execz .LBB119_2240
; %bb.1985:
	v_bfe_u32 v3, v2, 21, 1
	s_mov_b32 s9, exec_lo
	s_delay_alu instid0(VALU_DEP_1) | instskip(NEXT) | instid1(VALU_DEP_1)
	v_add3_u32 v3, v2, v3, 0x88fffff
	v_lshrrev_b32_e32 v3, 21, v3
	s_and_not1_saveexec_b32 s10, s10
	s_cbranch_execnz .LBB119_2241
.LBB119_1986:
	s_or_b32 exec_lo, exec_lo, s10
	v_mov_b32_e32 v5, 0
	s_and_saveexec_b32 s10, s9
.LBB119_1987:
	v_lshrrev_b32_e32 v2, 24, v2
	s_delay_alu instid0(VALU_DEP_1)
	v_and_or_b32 v5, 0x80, v2, v3
.LBB119_1988:
	s_or_b32 exec_lo, exec_lo, s10
.LBB119_1989:
	s_delay_alu instid0(SALU_CYCLE_1)
	s_or_b32 exec_lo, exec_lo, s8
	s_mov_b32 s8, 0
	global_store_b8 v[0:1], v5, off
.LBB119_1990:
	s_and_b32 vcc_lo, exec_lo, s8
	s_cbranch_vccz .LBB119_2000
; %bb.1991:
	s_wait_xcnt 0x0
	v_cvt_f32_i32_e32 v2, v4
	s_mov_b32 s8, exec_lo
                                        ; implicit-def: $vgpr3
	s_delay_alu instid0(VALU_DEP_1) | instskip(NEXT) | instid1(VALU_DEP_1)
	v_and_b32_e32 v5, 0x7fffffff, v2
	v_cmpx_gt_u32_e32 0x43f00000, v5
	s_xor_b32 s8, exec_lo, s8
	s_cbranch_execz .LBB119_1997
; %bb.1992:
	s_mov_b32 s9, exec_lo
                                        ; implicit-def: $vgpr3
	v_cmpx_lt_u32_e32 0x3c7fffff, v5
	s_xor_b32 s9, exec_lo, s9
; %bb.1993:
	v_bfe_u32 v3, v2, 20, 1
	s_delay_alu instid0(VALU_DEP_1) | instskip(NEXT) | instid1(VALU_DEP_1)
	v_add3_u32 v3, v2, v3, 0x407ffff
	v_and_b32_e32 v5, 0xff00000, v3
	v_lshrrev_b32_e32 v3, 20, v3
	s_delay_alu instid0(VALU_DEP_2) | instskip(NEXT) | instid1(VALU_DEP_2)
	v_cmp_ne_u32_e32 vcc_lo, 0x7f00000, v5
	v_cndmask_b32_e32 v3, 0x7e, v3, vcc_lo
; %bb.1994:
	s_and_not1_saveexec_b32 s9, s9
; %bb.1995:
	v_add_f32_e64 v3, 0x46800000, |v2|
; %bb.1996:
	s_or_b32 exec_lo, exec_lo, s9
                                        ; implicit-def: $vgpr5
.LBB119_1997:
	s_and_not1_saveexec_b32 s8, s8
; %bb.1998:
	v_mov_b32_e32 v3, 0x7f
	v_cmp_lt_u32_e32 vcc_lo, 0x7f800000, v5
	s_delay_alu instid0(VALU_DEP_2)
	v_cndmask_b32_e32 v3, 0x7e, v3, vcc_lo
; %bb.1999:
	s_or_b32 exec_lo, exec_lo, s8
	v_lshrrev_b32_e32 v2, 24, v2
	s_delay_alu instid0(VALU_DEP_1)
	v_and_or_b32 v2, 0x80, v2, v3
	global_store_b8 v[0:1], v2, off
.LBB119_2000:
	s_mov_b32 s8, 0
.LBB119_2001:
	s_delay_alu instid0(SALU_CYCLE_1)
	s_and_not1_b32 vcc_lo, exec_lo, s8
	s_cbranch_vccnz .LBB119_2011
; %bb.2002:
	s_wait_xcnt 0x0
	v_cvt_f32_i32_e32 v2, v4
	s_mov_b32 s8, exec_lo
                                        ; implicit-def: $vgpr3
	s_delay_alu instid0(VALU_DEP_1) | instskip(NEXT) | instid1(VALU_DEP_1)
	v_and_b32_e32 v5, 0x7fffffff, v2
	v_cmpx_gt_u32_e32 0x47800000, v5
	s_xor_b32 s8, exec_lo, s8
	s_cbranch_execz .LBB119_2008
; %bb.2003:
	s_mov_b32 s9, exec_lo
                                        ; implicit-def: $vgpr3
	v_cmpx_lt_u32_e32 0x387fffff, v5
	s_xor_b32 s9, exec_lo, s9
; %bb.2004:
	v_bfe_u32 v3, v2, 21, 1
	s_delay_alu instid0(VALU_DEP_1) | instskip(NEXT) | instid1(VALU_DEP_1)
	v_add3_u32 v3, v2, v3, 0x80fffff
	v_lshrrev_b32_e32 v3, 21, v3
; %bb.2005:
	s_and_not1_saveexec_b32 s9, s9
; %bb.2006:
	v_add_f32_e64 v3, 0x43000000, |v2|
; %bb.2007:
	s_or_b32 exec_lo, exec_lo, s9
                                        ; implicit-def: $vgpr5
.LBB119_2008:
	s_and_not1_saveexec_b32 s8, s8
; %bb.2009:
	v_mov_b32_e32 v3, 0x7f
	v_cmp_lt_u32_e32 vcc_lo, 0x7f800000, v5
	s_delay_alu instid0(VALU_DEP_2)
	v_cndmask_b32_e32 v3, 0x7c, v3, vcc_lo
; %bb.2010:
	s_or_b32 exec_lo, exec_lo, s8
	v_lshrrev_b32_e32 v2, 24, v2
	s_delay_alu instid0(VALU_DEP_1)
	v_and_or_b32 v2, 0x80, v2, v3
	global_store_b8 v[0:1], v2, off
.LBB119_2011:
	s_mov_b32 s8, 0
.LBB119_2012:
	s_delay_alu instid0(SALU_CYCLE_1)
	s_and_not1_b32 vcc_lo, exec_lo, s8
	s_mov_b32 s8, 0
	s_cbranch_vccnz .LBB119_2020
; %bb.2013:
	s_cmp_gt_i32 s4, 14
	s_mov_b32 s8, -1
	s_cbranch_scc0 .LBB119_2017
; %bb.2014:
	s_cmp_eq_u32 s4, 15
	s_mov_b32 s0, -1
	s_cbranch_scc0 .LBB119_2016
; %bb.2015:
	s_wait_xcnt 0x0
	v_cvt_f32_i32_e32 v2, v4
	s_mov_b32 s0, 0
	s_delay_alu instid0(VALU_DEP_1) | instskip(NEXT) | instid1(VALU_DEP_1)
	v_bfe_u32 v3, v2, 16, 1
	v_add3_u32 v2, v2, v3, 0x7fff
	global_store_d16_hi_b16 v[0:1], v2, off
.LBB119_2016:
	s_mov_b32 s8, 0
.LBB119_2017:
	s_delay_alu instid0(SALU_CYCLE_1)
	s_and_b32 vcc_lo, exec_lo, s8
	s_mov_b32 s8, 0
	s_cbranch_vccz .LBB119_2020
; %bb.2018:
	s_cmp_lg_u32 s4, 11
	s_mov_b32 s8, -1
	s_cselect_b32 s4, -1, 0
	s_and_not1_b32 s0, s0, exec_lo
	s_and_b32 s4, s4, exec_lo
	s_delay_alu instid0(SALU_CYCLE_1)
	s_or_b32 s0, s0, s4
	s_branch .LBB119_2020
.LBB119_2019:
	s_mov_b32 s8, 0
.LBB119_2020:
	s_and_b32 s9, s5, exec_lo
	s_and_not1_b32 s4, s42, exec_lo
	s_and_b32 s5, s0, exec_lo
	s_and_b32 s0, s8, exec_lo
	s_or_b32 s42, s4, s5
	s_wait_xcnt 0x0
	s_or_b32 exec_lo, exec_lo, s7
	s_and_saveexec_b32 s4, s42
	s_cbranch_execz .LBB119_1949
.LBB119_2021:
	s_or_b32 s1, s1, exec_lo
	s_and_not1_b32 s0, s0, exec_lo
	s_trap 2
	s_or_b32 exec_lo, exec_lo, s4
	s_and_saveexec_b32 s4, s0
	s_delay_alu instid0(SALU_CYCLE_1)
	s_xor_b32 s0, exec_lo, s4
	s_cbranch_execnz .LBB119_1950
.LBB119_2022:
	s_or_b32 exec_lo, exec_lo, s0
	s_and_saveexec_b32 s0, s9
	s_delay_alu instid0(SALU_CYCLE_1)
	s_xor_b32 s0, exec_lo, s0
	s_cbranch_execz .LBB119_2060
.LBB119_2023:
	s_sext_i32_i16 s5, s6
	s_mov_b32 s4, -1
	s_cmp_lt_i32 s5, 5
	s_cbranch_scc1 .LBB119_2044
; %bb.2024:
	s_cmp_lt_i32 s5, 8
	s_cbranch_scc1 .LBB119_2034
; %bb.2025:
	;; [unrolled: 3-line block ×3, first 2 shown]
	s_cmp_gt_i32 s5, 9
	s_cbranch_scc0 .LBB119_2028
; %bb.2027:
	s_wait_loadcnt 0x0
	v_cvt_f64_i32_e32 v[6:7], v4
	v_mov_b32_e32 v8, 0
	s_mov_b32 s4, 0
	s_delay_alu instid0(VALU_DEP_1)
	v_mov_b32_e32 v9, v8
	global_store_b128 v[0:1], v[6:9], off
.LBB119_2028:
	s_and_not1_b32 vcc_lo, exec_lo, s4
	s_cbranch_vccnz .LBB119_2030
; %bb.2029:
	v_cvt_f32_i32_e32 v2, v4
	v_mov_b32_e32 v3, 0
	s_wait_loadcnt 0x0
	global_store_b64 v[0:1], v[2:3], off
.LBB119_2030:
	s_mov_b32 s4, 0
.LBB119_2031:
	s_delay_alu instid0(SALU_CYCLE_1)
	s_and_not1_b32 vcc_lo, exec_lo, s4
	s_cbranch_vccnz .LBB119_2033
; %bb.2032:
	s_wait_xcnt 0x0
	v_cvt_f32_i32_e32 v2, v4
	s_delay_alu instid0(VALU_DEP_1) | instskip(NEXT) | instid1(VALU_DEP_1)
	v_cvt_f16_f32_e32 v2, v2
	v_and_b32_e32 v2, 0xffff, v2
	s_wait_loadcnt 0x0
	global_store_b32 v[0:1], v2, off
.LBB119_2033:
	s_mov_b32 s4, 0
.LBB119_2034:
	s_delay_alu instid0(SALU_CYCLE_1)
	s_and_not1_b32 vcc_lo, exec_lo, s4
	s_cbranch_vccnz .LBB119_2043
; %bb.2035:
	s_sext_i32_i16 s5, s6
	s_mov_b32 s4, -1
	s_cmp_lt_i32 s5, 6
	s_cbranch_scc1 .LBB119_2041
; %bb.2036:
	s_cmp_gt_i32 s5, 6
	s_cbranch_scc0 .LBB119_2038
; %bb.2037:
	s_wait_xcnt 0x0
	v_cvt_f64_i32_e32 v[2:3], v4
	s_mov_b32 s4, 0
	s_wait_loadcnt 0x0
	global_store_b64 v[0:1], v[2:3], off
.LBB119_2038:
	s_and_not1_b32 vcc_lo, exec_lo, s4
	s_cbranch_vccnz .LBB119_2040
; %bb.2039:
	s_wait_xcnt 0x0
	v_cvt_f32_i32_e32 v2, v4
	s_wait_loadcnt 0x0
	global_store_b32 v[0:1], v2, off
.LBB119_2040:
	s_mov_b32 s4, 0
.LBB119_2041:
	s_delay_alu instid0(SALU_CYCLE_1)
	s_and_not1_b32 vcc_lo, exec_lo, s4
	s_cbranch_vccnz .LBB119_2043
; %bb.2042:
	s_wait_xcnt 0x0
	v_cvt_f32_i32_e32 v2, v4
	s_delay_alu instid0(VALU_DEP_1)
	v_cvt_f16_f32_e32 v2, v2
	s_wait_loadcnt 0x0
	global_store_b16 v[0:1], v2, off
.LBB119_2043:
	s_mov_b32 s4, 0
.LBB119_2044:
	s_delay_alu instid0(SALU_CYCLE_1)
	s_and_not1_b32 vcc_lo, exec_lo, s4
	s_cbranch_vccnz .LBB119_2060
; %bb.2045:
	s_sext_i32_i16 s5, s6
	s_mov_b32 s4, -1
	s_cmp_lt_i32 s5, 2
	s_cbranch_scc1 .LBB119_2055
; %bb.2046:
	s_cmp_lt_i32 s5, 3
	s_cbranch_scc1 .LBB119_2052
; %bb.2047:
	s_cmp_gt_i32 s5, 3
	s_cbranch_scc0 .LBB119_2049
; %bb.2048:
	s_wait_loadcnt 0x0
	v_ashrrev_i32_e32 v5, 31, v4
	s_mov_b32 s4, 0
	global_store_b64 v[0:1], v[4:5], off
.LBB119_2049:
	s_and_not1_b32 vcc_lo, exec_lo, s4
	s_cbranch_vccnz .LBB119_2051
; %bb.2050:
	s_wait_loadcnt 0x0
	global_store_b32 v[0:1], v4, off
.LBB119_2051:
	s_mov_b32 s4, 0
.LBB119_2052:
	s_delay_alu instid0(SALU_CYCLE_1)
	s_and_not1_b32 vcc_lo, exec_lo, s4
	s_cbranch_vccnz .LBB119_2054
; %bb.2053:
	s_wait_loadcnt 0x0
	global_store_b16 v[0:1], v4, off
.LBB119_2054:
	s_mov_b32 s4, 0
.LBB119_2055:
	s_delay_alu instid0(SALU_CYCLE_1)
	s_and_not1_b32 vcc_lo, exec_lo, s4
	s_cbranch_vccnz .LBB119_2060
; %bb.2056:
	s_sext_i32_i16 s4, s6
	s_delay_alu instid0(SALU_CYCLE_1)
	s_cmp_gt_i32 s4, 0
	s_mov_b32 s4, -1
	s_cbranch_scc0 .LBB119_2058
; %bb.2057:
	s_mov_b32 s4, 0
	s_wait_loadcnt 0x0
	global_store_b8 v[0:1], v4, off
.LBB119_2058:
	s_and_not1_b32 vcc_lo, exec_lo, s4
	s_cbranch_vccnz .LBB119_2060
; %bb.2059:
	s_wait_loadcnt 0x0
	global_store_b8 v[0:1], v4, off
.LBB119_2060:
	s_wait_xcnt 0x0
	s_or_b32 exec_lo, exec_lo, s0
	s_delay_alu instid0(SALU_CYCLE_1)
	s_and_b32 s10, s1, exec_lo
                                        ; implicit-def: $vgpr1
                                        ; implicit-def: $vgpr0
.LBB119_2061:
	s_or_saveexec_b32 s11, s37
	s_mov_b32 s0, 0
                                        ; implicit-def: $vgpr2_vgpr3
                                        ; implicit-def: $sgpr1
                                        ; implicit-def: $vgpr4
	s_xor_b32 exec_lo, exec_lo, s11
	s_cbranch_execz .LBB119_4060
; %bb.2062:
	v_cndmask_b32_e64 v3, 0, 1, s36
	s_and_not1_b32 vcc_lo, exec_lo, s36
	s_cbranch_vccnz .LBB119_2068
; %bb.2063:
	s_cmp_lg_u32 s33, 0
	s_mov_b32 s6, 0
	s_cbranch_scc0 .LBB119_2072
; %bb.2064:
	s_min_u32 s7, s34, 15
	v_dual_mov_b32 v28, 0 :: v_dual_mov_b32 v2, v0
	s_wait_loadcnt 0x0
	v_dual_mov_b32 v26, 0 :: v_dual_mov_b32 v6, 0
	v_mov_b32_e32 v30, 0
	s_add_co_i32 s4, s7, 1
	s_mov_b64 s[0:1], 0xffffffffffffffe0
	s_and_b32 s8, s4, 30
	s_add_nc_u64 s[0:1], s[2:3], s[0:1]
	s_mov_b64 s[4:5], s[2:3]
.LBB119_2065:                           ; =>This Inner Loop Header: Depth=1
	s_clause 0x1
	s_load_b128 s[20:23], s[4:5], 0x4
	s_load_b64 s[24:25], s[4:5], 0x14
	s_load_b256 s[12:19], s[0:1], 0xe4
	s_add_co_i32 s8, s8, -2
	s_wait_xcnt 0x0
	s_add_nc_u64 s[4:5], s[4:5], 24
	s_cmp_lg_u32 s8, 0
	s_add_nc_u64 s[0:1], s[0:1], 32
	s_wait_kmcnt 0x0
	v_mul_hi_u32 v4, s21, v2
	s_delay_alu instid0(VALU_DEP_1) | instskip(NEXT) | instid1(VALU_DEP_1)
	v_add_nc_u32_e32 v4, v2, v4
	v_lshrrev_b32_e32 v4, s22, v4
	s_delay_alu instid0(VALU_DEP_1) | instskip(SKIP_1) | instid1(VALU_DEP_1)
	v_mul_hi_u32 v5, s24, v4
	v_mul_lo_u32 v7, v4, s20
	v_dual_add_nc_u32 v5, v4, v5 :: v_dual_sub_nc_u32 v7, v2, v7
	s_delay_alu instid0(VALU_DEP_1) | instskip(NEXT) | instid1(VALU_DEP_2)
	v_lshrrev_b32_e32 v2, s25, v5
	v_mad_u32 v8, v7, s13, v30
	v_mad_u32 v6, v7, s12, v6
	;; [unrolled: 1-line block ×4, first 2 shown]
	v_mul_lo_u32 v5, v2, s23
	s_delay_alu instid0(VALU_DEP_1) | instskip(NEXT) | instid1(VALU_DEP_1)
	v_sub_nc_u32_e32 v4, v4, v5
	v_mad_u32 v30, v4, s17, v8
	v_mad_u32 v6, v4, s16, v6
	;; [unrolled: 1-line block ×4, first 2 shown]
	s_cbranch_scc1 .LBB119_2065
; %bb.2066:
	s_bitcmp1_b32 s7, 0
	s_cselect_b32 s7, -1, 0
	s_delay_alu instid0(SALU_CYCLE_1)
	s_and_b32 vcc_lo, exec_lo, s7
	s_cbranch_vccnz .LBB119_2069
; %bb.2067:
	s_load_b96 s[16:18], s[4:5], 0x4
	s_load_b128 s[12:15], s[0:1], 0xe4
	s_wait_kmcnt 0x0
	v_mul_hi_u32 v4, s17, v2
	s_delay_alu instid0(VALU_DEP_1) | instskip(NEXT) | instid1(VALU_DEP_1)
	v_add_nc_u32_e32 v4, v2, v4
	v_lshrrev_b32_e32 v4, s18, v4
	s_delay_alu instid0(VALU_DEP_1) | instskip(NEXT) | instid1(VALU_DEP_1)
	v_mul_lo_u32 v4, v4, s16
	v_sub_nc_u32_e32 v2, v2, v4
	s_delay_alu instid0(VALU_DEP_1)
	v_mad_u32 v6, v2, s12, v6
	v_mad_u32 v30, v2, s13, v30
	;; [unrolled: 1-line block ×4, first 2 shown]
	s_and_not1_b32 vcc_lo, exec_lo, s6
	s_cbranch_vccz .LBB119_2070
	s_branch .LBB119_2073
.LBB119_2068:
	s_mov_b32 s6, -1
                                        ; implicit-def: $vgpr30
                                        ; implicit-def: $vgpr6
                                        ; implicit-def: $vgpr26
                                        ; implicit-def: $vgpr28
.LBB119_2069:
	s_delay_alu instid0(SALU_CYCLE_1)
	s_and_not1_b32 vcc_lo, exec_lo, s6
	s_cbranch_vccnz .LBB119_2073
.LBB119_2070:
	s_clause 0x1
	s_load_b96 s[12:14], s[2:3], 0x4
	s_load_b128 s[4:7], s[2:3], 0xc4
	s_cmp_lt_u32 s33, 2
	s_wait_kmcnt 0x0
	v_mul_hi_u32 v2, s13, v0
	s_delay_alu instid0(VALU_DEP_1) | instskip(NEXT) | instid1(VALU_DEP_1)
	v_add_nc_u32_e32 v2, v0, v2
	v_lshrrev_b32_e32 v2, s14, v2
	s_delay_alu instid0(VALU_DEP_1) | instskip(NEXT) | instid1(VALU_DEP_1)
	v_mul_lo_u32 v4, v2, s12
	v_sub_nc_u32_e32 v4, v0, v4
	s_delay_alu instid0(VALU_DEP_1)
	v_mul_lo_u32 v30, v4, s5
	s_wait_loadcnt 0x0
	v_mul_lo_u32 v6, v4, s4
	v_mul_lo_u32 v26, v4, s7
	;; [unrolled: 1-line block ×3, first 2 shown]
	s_cbranch_scc1 .LBB119_2073
; %bb.2071:
	s_clause 0x1
	s_load_b96 s[12:14], s[2:3], 0x10
	s_load_b128 s[4:7], s[2:3], 0xd4
	s_wait_kmcnt 0x0
	v_mul_hi_u32 v4, s13, v2
	s_delay_alu instid0(VALU_DEP_1) | instskip(NEXT) | instid1(VALU_DEP_1)
	v_add_nc_u32_e32 v4, v2, v4
	v_lshrrev_b32_e32 v4, s14, v4
	s_delay_alu instid0(VALU_DEP_1) | instskip(NEXT) | instid1(VALU_DEP_1)
	v_mul_lo_u32 v4, v4, s12
	v_sub_nc_u32_e32 v2, v2, v4
	s_delay_alu instid0(VALU_DEP_1)
	v_mad_u32 v6, v2, s4, v6
	v_mad_u32 v30, v2, s5, v30
	;; [unrolled: 1-line block ×4, first 2 shown]
	s_branch .LBB119_2073
.LBB119_2072:
	s_wait_loadcnt 0x0
	v_dual_mov_b32 v30, 0 :: v_dual_mov_b32 v6, 0
	v_dual_mov_b32 v26, 0 :: v_dual_mov_b32 v28, 0
	s_and_not1_b32 vcc_lo, exec_lo, s6
	s_cbranch_vccz .LBB119_2070
.LBB119_2073:
	v_cmp_ne_u32_e32 vcc_lo, 1, v3
	v_add_nc_u32_e32 v2, 0x80, v0
	s_cbranch_vccnz .LBB119_2079
; %bb.2074:
	s_cmp_lg_u32 s33, 0
	s_mov_b32 s6, 0
	s_cbranch_scc0 .LBB119_2083
; %bb.2075:
	s_min_u32 s7, s34, 15
	s_wait_loadcnt 0x0
	v_dual_mov_b32 v22, 0 :: v_dual_mov_b32 v5, v2
	v_dual_mov_b32 v20, 0 :: v_dual_mov_b32 v4, 0
	v_mov_b32_e32 v24, 0
	s_add_co_i32 s4, s7, 1
	s_mov_b64 s[0:1], 0xffffffffffffffe0
	s_and_b32 s8, s4, 30
	s_add_nc_u64 s[0:1], s[2:3], s[0:1]
	s_mov_b64 s[4:5], s[2:3]
.LBB119_2076:                           ; =>This Inner Loop Header: Depth=1
	s_clause 0x1
	s_load_b128 s[20:23], s[4:5], 0x4
	s_load_b64 s[24:25], s[4:5], 0x14
	s_load_b256 s[12:19], s[0:1], 0xe4
	s_add_co_i32 s8, s8, -2
	s_wait_xcnt 0x0
	s_add_nc_u64 s[4:5], s[4:5], 24
	s_cmp_lg_u32 s8, 0
	s_add_nc_u64 s[0:1], s[0:1], 32
	s_wait_kmcnt 0x0
	v_mul_hi_u32 v7, s21, v5
	s_delay_alu instid0(VALU_DEP_1) | instskip(NEXT) | instid1(VALU_DEP_1)
	v_add_nc_u32_e32 v7, v5, v7
	v_lshrrev_b32_e32 v7, s22, v7
	s_delay_alu instid0(VALU_DEP_1) | instskip(SKIP_1) | instid1(VALU_DEP_1)
	v_mul_hi_u32 v8, s24, v7
	v_mul_lo_u32 v9, v7, s20
	v_dual_add_nc_u32 v8, v7, v8 :: v_dual_sub_nc_u32 v9, v5, v9
	s_delay_alu instid0(VALU_DEP_1) | instskip(NEXT) | instid1(VALU_DEP_2)
	v_lshrrev_b32_e32 v5, s25, v8
	v_mad_u32 v10, v9, s13, v24
	v_mad_u32 v4, v9, s12, v4
	;; [unrolled: 1-line block ×4, first 2 shown]
	v_mul_lo_u32 v8, v5, s23
	s_delay_alu instid0(VALU_DEP_1) | instskip(NEXT) | instid1(VALU_DEP_1)
	v_sub_nc_u32_e32 v7, v7, v8
	v_mad_u32 v24, v7, s17, v10
	v_mad_u32 v4, v7, s16, v4
	;; [unrolled: 1-line block ×4, first 2 shown]
	s_cbranch_scc1 .LBB119_2076
; %bb.2077:
	s_bitcmp1_b32 s7, 0
	s_cselect_b32 s7, -1, 0
	s_delay_alu instid0(SALU_CYCLE_1)
	s_and_b32 vcc_lo, exec_lo, s7
	s_cbranch_vccnz .LBB119_2080
; %bb.2078:
	s_load_b96 s[16:18], s[4:5], 0x4
	s_load_b128 s[12:15], s[0:1], 0xe4
	s_wait_kmcnt 0x0
	v_mul_hi_u32 v7, s17, v5
	s_delay_alu instid0(VALU_DEP_1) | instskip(NEXT) | instid1(VALU_DEP_1)
	v_add_nc_u32_e32 v7, v5, v7
	v_lshrrev_b32_e32 v7, s18, v7
	s_delay_alu instid0(VALU_DEP_1) | instskip(NEXT) | instid1(VALU_DEP_1)
	v_mul_lo_u32 v7, v7, s16
	v_sub_nc_u32_e32 v5, v5, v7
	s_delay_alu instid0(VALU_DEP_1)
	v_mad_u32 v4, v5, s12, v4
	v_mad_u32 v24, v5, s13, v24
	;; [unrolled: 1-line block ×4, first 2 shown]
	s_and_not1_b32 vcc_lo, exec_lo, s6
	s_cbranch_vccz .LBB119_2081
	s_branch .LBB119_2084
.LBB119_2079:
	s_mov_b32 s6, -1
                                        ; implicit-def: $vgpr24
                                        ; implicit-def: $vgpr4
                                        ; implicit-def: $vgpr20
                                        ; implicit-def: $vgpr22
.LBB119_2080:
	s_delay_alu instid0(SALU_CYCLE_1)
	s_and_not1_b32 vcc_lo, exec_lo, s6
	s_cbranch_vccnz .LBB119_2084
.LBB119_2081:
	s_clause 0x1
	s_load_b96 s[12:14], s[2:3], 0x4
	s_load_b128 s[4:7], s[2:3], 0xc4
	s_cmp_lt_u32 s33, 2
	s_wait_kmcnt 0x0
	v_mul_hi_u32 v4, s13, v2
	s_delay_alu instid0(VALU_DEP_1) | instskip(SKIP_1) | instid1(VALU_DEP_1)
	v_add_nc_u32_e32 v4, v2, v4
	s_wait_loadcnt 0x0
	v_lshrrev_b32_e32 v5, s14, v4
	s_delay_alu instid0(VALU_DEP_1) | instskip(NEXT) | instid1(VALU_DEP_1)
	v_mul_lo_u32 v4, v5, s12
	v_sub_nc_u32_e32 v2, v2, v4
	s_delay_alu instid0(VALU_DEP_1)
	v_mul_lo_u32 v24, v2, s5
	v_mul_lo_u32 v4, v2, s4
	;; [unrolled: 1-line block ×4, first 2 shown]
	s_cbranch_scc1 .LBB119_2084
; %bb.2082:
	s_clause 0x1
	s_load_b96 s[12:14], s[2:3], 0x10
	s_load_b128 s[4:7], s[2:3], 0xd4
	s_wait_kmcnt 0x0
	v_mul_hi_u32 v2, s13, v5
	s_delay_alu instid0(VALU_DEP_1) | instskip(NEXT) | instid1(VALU_DEP_1)
	v_add_nc_u32_e32 v2, v5, v2
	v_lshrrev_b32_e32 v2, s14, v2
	s_delay_alu instid0(VALU_DEP_1) | instskip(NEXT) | instid1(VALU_DEP_1)
	v_mul_lo_u32 v2, v2, s12
	v_sub_nc_u32_e32 v2, v5, v2
	s_delay_alu instid0(VALU_DEP_1)
	v_mad_u32 v4, v2, s4, v4
	v_mad_u32 v24, v2, s5, v24
	;; [unrolled: 1-line block ×4, first 2 shown]
	s_branch .LBB119_2084
.LBB119_2083:
	v_dual_mov_b32 v24, 0 :: v_dual_mov_b32 v4, 0
	v_dual_mov_b32 v20, 0 :: v_dual_mov_b32 v22, 0
	s_and_not1_b32 vcc_lo, exec_lo, s6
	s_cbranch_vccz .LBB119_2081
.LBB119_2084:
	v_cmp_ne_u32_e32 vcc_lo, 1, v3
	v_add_nc_u32_e32 v0, 0x100, v0
	s_cbranch_vccnz .LBB119_2090
; %bb.2085:
	s_cmp_lg_u32 s33, 0
	s_mov_b32 s6, 0
	s_cbranch_scc0 .LBB119_2094
; %bb.2086:
	s_min_u32 s7, s34, 15
	s_wait_loadcnt 0x0
	v_dual_mov_b32 v16, 0 :: v_dual_mov_b32 v5, v0
	v_dual_mov_b32 v14, 0 :: v_dual_mov_b32 v2, 0
	v_mov_b32_e32 v18, 0
	s_add_co_i32 s4, s7, 1
	s_mov_b64 s[0:1], 0xffffffffffffffe0
	s_and_b32 s8, s4, 30
	s_add_nc_u64 s[0:1], s[2:3], s[0:1]
	s_mov_b64 s[4:5], s[2:3]
.LBB119_2087:                           ; =>This Inner Loop Header: Depth=1
	s_clause 0x1
	s_load_b128 s[20:23], s[4:5], 0x4
	s_load_b64 s[24:25], s[4:5], 0x14
	s_load_b256 s[12:19], s[0:1], 0xe4
	s_add_co_i32 s8, s8, -2
	s_wait_xcnt 0x0
	s_add_nc_u64 s[4:5], s[4:5], 24
	s_cmp_lg_u32 s8, 0
	s_add_nc_u64 s[0:1], s[0:1], 32
	s_wait_kmcnt 0x0
	v_mul_hi_u32 v7, s21, v5
	s_delay_alu instid0(VALU_DEP_1) | instskip(NEXT) | instid1(VALU_DEP_1)
	v_add_nc_u32_e32 v7, v5, v7
	v_lshrrev_b32_e32 v7, s22, v7
	s_delay_alu instid0(VALU_DEP_1) | instskip(SKIP_1) | instid1(VALU_DEP_1)
	v_mul_hi_u32 v8, s24, v7
	v_mul_lo_u32 v9, v7, s20
	v_dual_add_nc_u32 v8, v7, v8 :: v_dual_sub_nc_u32 v9, v5, v9
	s_delay_alu instid0(VALU_DEP_1) | instskip(NEXT) | instid1(VALU_DEP_2)
	v_lshrrev_b32_e32 v5, s25, v8
	v_mad_u32 v10, v9, s13, v18
	v_mad_u32 v2, v9, s12, v2
	;; [unrolled: 1-line block ×4, first 2 shown]
	v_mul_lo_u32 v8, v5, s23
	s_delay_alu instid0(VALU_DEP_1) | instskip(NEXT) | instid1(VALU_DEP_1)
	v_sub_nc_u32_e32 v7, v7, v8
	v_mad_u32 v18, v7, s17, v10
	v_mad_u32 v2, v7, s16, v2
	;; [unrolled: 1-line block ×4, first 2 shown]
	s_cbranch_scc1 .LBB119_2087
; %bb.2088:
	s_bitcmp1_b32 s7, 0
	s_cselect_b32 s7, -1, 0
	s_delay_alu instid0(SALU_CYCLE_1)
	s_and_b32 vcc_lo, exec_lo, s7
	s_cbranch_vccnz .LBB119_2091
; %bb.2089:
	s_load_b96 s[16:18], s[4:5], 0x4
	s_load_b128 s[12:15], s[0:1], 0xe4
	s_wait_kmcnt 0x0
	v_mul_hi_u32 v7, s17, v5
	s_delay_alu instid0(VALU_DEP_1) | instskip(NEXT) | instid1(VALU_DEP_1)
	v_add_nc_u32_e32 v7, v5, v7
	v_lshrrev_b32_e32 v7, s18, v7
	s_delay_alu instid0(VALU_DEP_1) | instskip(NEXT) | instid1(VALU_DEP_1)
	v_mul_lo_u32 v7, v7, s16
	v_sub_nc_u32_e32 v5, v5, v7
	s_delay_alu instid0(VALU_DEP_1)
	v_mad_u32 v2, v5, s12, v2
	v_mad_u32 v18, v5, s13, v18
	;; [unrolled: 1-line block ×4, first 2 shown]
	s_and_not1_b32 vcc_lo, exec_lo, s6
	s_cbranch_vccz .LBB119_2092
	s_branch .LBB119_2095
.LBB119_2090:
	s_mov_b32 s6, -1
                                        ; implicit-def: $vgpr18
                                        ; implicit-def: $vgpr2
                                        ; implicit-def: $vgpr14
                                        ; implicit-def: $vgpr16
.LBB119_2091:
	s_delay_alu instid0(SALU_CYCLE_1)
	s_and_not1_b32 vcc_lo, exec_lo, s6
	s_cbranch_vccnz .LBB119_2095
.LBB119_2092:
	s_clause 0x1
	s_load_b96 s[12:14], s[2:3], 0x4
	s_load_b128 s[4:7], s[2:3], 0xc4
	s_cmp_lt_u32 s33, 2
	s_wait_kmcnt 0x0
	v_mul_hi_u32 v2, s13, v0
	s_delay_alu instid0(VALU_DEP_1) | instskip(SKIP_1) | instid1(VALU_DEP_1)
	v_add_nc_u32_e32 v2, v0, v2
	s_wait_loadcnt 0x0
	v_lshrrev_b32_e32 v5, s14, v2
	s_delay_alu instid0(VALU_DEP_1) | instskip(NEXT) | instid1(VALU_DEP_1)
	v_mul_lo_u32 v2, v5, s12
	v_sub_nc_u32_e32 v0, v0, v2
	s_delay_alu instid0(VALU_DEP_1)
	v_mul_lo_u32 v18, v0, s5
	v_mul_lo_u32 v2, v0, s4
	v_mul_lo_u32 v14, v0, s7
	v_mul_lo_u32 v16, v0, s6
	s_cbranch_scc1 .LBB119_2095
; %bb.2093:
	s_clause 0x1
	s_load_b96 s[12:14], s[2:3], 0x10
	s_load_b128 s[4:7], s[2:3], 0xd4
	s_wait_kmcnt 0x0
	v_mul_hi_u32 v0, s13, v5
	s_delay_alu instid0(VALU_DEP_1) | instskip(NEXT) | instid1(VALU_DEP_1)
	v_add_nc_u32_e32 v0, v5, v0
	v_lshrrev_b32_e32 v0, s14, v0
	s_delay_alu instid0(VALU_DEP_1) | instskip(NEXT) | instid1(VALU_DEP_1)
	v_mul_lo_u32 v0, v0, s12
	v_sub_nc_u32_e32 v0, v5, v0
	s_delay_alu instid0(VALU_DEP_1)
	v_mad_u32 v2, v0, s4, v2
	v_mad_u32 v18, v0, s5, v18
	;; [unrolled: 1-line block ×4, first 2 shown]
	s_branch .LBB119_2095
.LBB119_2094:
	v_dual_mov_b32 v18, 0 :: v_dual_mov_b32 v2, 0
	v_dual_mov_b32 v14, 0 :: v_dual_mov_b32 v16, 0
	s_and_not1_b32 vcc_lo, exec_lo, s6
	s_cbranch_vccz .LBB119_2092
.LBB119_2095:
	v_cmp_ne_u32_e32 vcc_lo, 1, v3
	s_cbranch_vccnz .LBB119_2101
; %bb.2096:
	s_cmp_lg_u32 s33, 0
	s_mov_b32 s6, 0
	s_cbranch_scc0 .LBB119_2105
; %bb.2097:
	s_min_u32 s7, s34, 15
	s_wait_loadcnt 0x0
	v_dual_mov_b32 v10, 0 :: v_dual_mov_b32 v3, v1
	v_dual_mov_b32 v8, 0 :: v_dual_mov_b32 v0, 0
	v_mov_b32_e32 v12, 0
	s_add_co_i32 s4, s7, 1
	s_mov_b64 s[0:1], 0xffffffffffffffe0
	s_and_b32 s8, s4, 30
	s_add_nc_u64 s[0:1], s[2:3], s[0:1]
	s_mov_b64 s[4:5], s[2:3]
.LBB119_2098:                           ; =>This Inner Loop Header: Depth=1
	s_clause 0x1
	s_load_b128 s[20:23], s[4:5], 0x4
	s_load_b64 s[24:25], s[4:5], 0x14
	s_load_b256 s[12:19], s[0:1], 0xe4
	s_add_co_i32 s8, s8, -2
	s_wait_xcnt 0x0
	s_add_nc_u64 s[4:5], s[4:5], 24
	s_cmp_lg_u32 s8, 0
	s_add_nc_u64 s[0:1], s[0:1], 32
	s_wait_kmcnt 0x0
	v_mul_hi_u32 v5, s21, v3
	s_delay_alu instid0(VALU_DEP_1) | instskip(NEXT) | instid1(VALU_DEP_1)
	v_add_nc_u32_e32 v5, v3, v5
	v_lshrrev_b32_e32 v5, s22, v5
	s_delay_alu instid0(VALU_DEP_1) | instskip(SKIP_1) | instid1(VALU_DEP_1)
	v_mul_hi_u32 v7, s24, v5
	v_mul_lo_u32 v9, v5, s20
	v_dual_add_nc_u32 v7, v5, v7 :: v_dual_sub_nc_u32 v9, v3, v9
	s_delay_alu instid0(VALU_DEP_1) | instskip(NEXT) | instid1(VALU_DEP_2)
	v_lshrrev_b32_e32 v3, s25, v7
	v_mad_u32 v11, v9, s13, v12
	v_mad_u32 v0, v9, s12, v0
	;; [unrolled: 1-line block ×4, first 2 shown]
	v_mul_lo_u32 v7, v3, s23
	s_delay_alu instid0(VALU_DEP_1) | instskip(NEXT) | instid1(VALU_DEP_1)
	v_sub_nc_u32_e32 v5, v5, v7
	v_mad_u32 v12, v5, s17, v11
	v_mad_u32 v0, v5, s16, v0
	;; [unrolled: 1-line block ×4, first 2 shown]
	s_cbranch_scc1 .LBB119_2098
; %bb.2099:
	s_bitcmp1_b32 s7, 0
	s_cselect_b32 s7, -1, 0
	s_delay_alu instid0(SALU_CYCLE_1)
	s_and_b32 vcc_lo, exec_lo, s7
	s_cbranch_vccnz .LBB119_2102
; %bb.2100:
	s_load_b96 s[16:18], s[4:5], 0x4
	s_load_b128 s[12:15], s[0:1], 0xe4
	s_wait_kmcnt 0x0
	v_mul_hi_u32 v5, s17, v3
	s_delay_alu instid0(VALU_DEP_1) | instskip(NEXT) | instid1(VALU_DEP_1)
	v_add_nc_u32_e32 v5, v3, v5
	v_lshrrev_b32_e32 v5, s18, v5
	s_delay_alu instid0(VALU_DEP_1) | instskip(NEXT) | instid1(VALU_DEP_1)
	v_mul_lo_u32 v5, v5, s16
	v_sub_nc_u32_e32 v3, v3, v5
	s_delay_alu instid0(VALU_DEP_1)
	v_mad_u32 v0, v3, s12, v0
	v_mad_u32 v12, v3, s13, v12
	;; [unrolled: 1-line block ×4, first 2 shown]
	s_and_not1_b32 vcc_lo, exec_lo, s6
	s_cbranch_vccz .LBB119_2103
	s_branch .LBB119_2106
.LBB119_2101:
	s_mov_b32 s6, -1
                                        ; implicit-def: $vgpr12
                                        ; implicit-def: $vgpr0
                                        ; implicit-def: $vgpr8
                                        ; implicit-def: $vgpr10
.LBB119_2102:
	s_delay_alu instid0(SALU_CYCLE_1)
	s_and_not1_b32 vcc_lo, exec_lo, s6
	s_cbranch_vccnz .LBB119_2106
.LBB119_2103:
	s_clause 0x1
	s_load_b96 s[12:14], s[2:3], 0x4
	s_load_b128 s[4:7], s[2:3], 0xc4
	s_cmp_lt_u32 s33, 2
	s_wait_loadcnt 0x0
	s_wait_kmcnt 0x0
	v_mul_hi_u32 v0, s13, v1
	s_delay_alu instid0(VALU_DEP_1) | instskip(NEXT) | instid1(VALU_DEP_1)
	v_add_nc_u32_e32 v0, v1, v0
	v_lshrrev_b32_e32 v3, s14, v0
	s_delay_alu instid0(VALU_DEP_1) | instskip(NEXT) | instid1(VALU_DEP_1)
	v_mul_lo_u32 v0, v3, s12
	v_sub_nc_u32_e32 v1, v1, v0
	s_delay_alu instid0(VALU_DEP_1)
	v_mul_lo_u32 v12, v1, s5
	v_mul_lo_u32 v0, v1, s4
	;; [unrolled: 1-line block ×4, first 2 shown]
	s_cbranch_scc1 .LBB119_2106
; %bb.2104:
	s_clause 0x1
	s_load_b96 s[12:14], s[2:3], 0x10
	s_load_b128 s[4:7], s[2:3], 0xd4
	s_wait_kmcnt 0x0
	v_mul_hi_u32 v1, s13, v3
	s_delay_alu instid0(VALU_DEP_1) | instskip(NEXT) | instid1(VALU_DEP_1)
	v_add_nc_u32_e32 v1, v3, v1
	v_lshrrev_b32_e32 v1, s14, v1
	s_delay_alu instid0(VALU_DEP_1) | instskip(NEXT) | instid1(VALU_DEP_1)
	v_mul_lo_u32 v1, v1, s12
	v_sub_nc_u32_e32 v1, v3, v1
	s_delay_alu instid0(VALU_DEP_1)
	v_mad_u32 v0, v1, s4, v0
	v_mad_u32 v12, v1, s5, v12
	;; [unrolled: 1-line block ×4, first 2 shown]
	s_branch .LBB119_2106
.LBB119_2105:
	v_dual_mov_b32 v12, 0 :: v_dual_mov_b32 v0, 0
	s_wait_loadcnt 0x0
	v_dual_mov_b32 v8, 0 :: v_dual_mov_b32 v10, 0
	s_and_not1_b32 vcc_lo, exec_lo, s6
	s_cbranch_vccz .LBB119_2103
.LBB119_2106:
	v_mov_b32_e32 v31, 0
	s_load_b128 s[4:7], s[2:3], 0x1c8
	s_wait_loadcnt 0x0
	global_load_u8 v1, v31, s[2:3] offset:490
	s_wait_kmcnt 0x0
	v_add_nc_u64_e32 v[30:31], s[6:7], v[30:31]
	s_wait_loadcnt 0x0
	v_and_b32_e32 v3, 0xffff, v1
	v_readfirstlane_b32 s13, v1
	s_delay_alu instid0(VALU_DEP_2)
	v_cmp_gt_i32_e32 vcc_lo, 11, v3
	s_cbranch_vccnz .LBB119_2113
; %bb.2107:
	s_and_b32 s0, 0xffff, s13
	s_mov_b32 s8, 0
	s_cmp_gt_i32 s0, 25
	s_cbranch_scc0 .LBB119_2115
; %bb.2108:
	s_cmp_gt_i32 s0, 28
	s_cbranch_scc0 .LBB119_2116
; %bb.2109:
	;; [unrolled: 3-line block ×4, first 2 shown]
	s_cmp_eq_u32 s0, 46
	s_mov_b32 s12, 0
	s_cbranch_scc0 .LBB119_2121
; %bb.2112:
	global_load_b32 v1, v[30:31], off
	s_mov_b32 s1, 0
	s_mov_b32 s9, -1
	s_wait_loadcnt 0x0
	v_lshlrev_b32_e32 v1, 16, v1
	s_delay_alu instid0(VALU_DEP_1)
	v_cvt_i32_f32_e32 v1, v1
	s_branch .LBB119_2123
.LBB119_2113:
	s_mov_b32 s9, 0
	s_mov_b32 s12, s10
                                        ; implicit-def: $vgpr1
	s_cbranch_execnz .LBB119_2181
.LBB119_2114:
	s_and_not1_b32 vcc_lo, exec_lo, s9
	s_cbranch_vccz .LBB119_2226
	s_branch .LBB119_4058
.LBB119_2115:
	s_mov_b32 s9, 0
	s_mov_b32 s1, 0
                                        ; implicit-def: $vgpr1
	s_cbranch_execnz .LBB119_2148
	s_branch .LBB119_2177
.LBB119_2116:
	s_mov_b32 s9, 0
	s_mov_b32 s1, 0
                                        ; implicit-def: $vgpr1
	s_cbranch_execz .LBB119_2147
	s_branch .LBB119_2132
.LBB119_2117:
	s_mov_b32 s9, 0
	s_mov_b32 s1, 0
                                        ; implicit-def: $vgpr1
	s_cbranch_execnz .LBB119_2128
	s_branch .LBB119_2131
.LBB119_2118:
	s_mov_b32 s12, -1
	s_mov_b32 s9, 0
	s_mov_b32 s1, 0
	s_branch .LBB119_2122
.LBB119_2119:
	s_and_not1_saveexec_b32 s9, s9
	s_cbranch_execz .LBB119_1974
.LBB119_2120:
	v_add_f32_e64 v3, 0x46000000, |v2|
	s_and_not1_b32 s8, s8, exec_lo
	s_delay_alu instid0(VALU_DEP_1) | instskip(NEXT) | instid1(VALU_DEP_1)
	v_and_b32_e32 v3, 0xff, v3
	v_cmp_ne_u32_e32 vcc_lo, 0, v3
	s_and_b32 s10, vcc_lo, exec_lo
	s_delay_alu instid0(SALU_CYCLE_1)
	s_or_b32 s8, s8, s10
	s_or_b32 exec_lo, exec_lo, s9
	v_mov_b32_e32 v5, 0
	s_and_saveexec_b32 s9, s8
	s_cbranch_execnz .LBB119_1975
	s_branch .LBB119_1976
.LBB119_2121:
	s_mov_b32 s1, -1
	s_mov_b32 s9, 0
.LBB119_2122:
                                        ; implicit-def: $vgpr1
.LBB119_2123:
	s_and_b32 vcc_lo, exec_lo, s12
	s_cbranch_vccz .LBB119_2126
; %bb.2124:
	s_cmp_eq_u32 s0, 44
	s_cbranch_scc0 .LBB119_2127
; %bb.2125:
	global_load_u8 v1, v[30:31], off
	s_mov_b32 s1, 0
	s_mov_b32 s9, -1
	s_wait_loadcnt 0x0
	v_lshlrev_b32_e32 v3, 23, v1
	v_cmp_ne_u32_e32 vcc_lo, 0, v1
	s_delay_alu instid0(VALU_DEP_2) | instskip(NEXT) | instid1(VALU_DEP_1)
	v_cvt_i32_f32_e32 v3, v3
	v_cndmask_b32_e32 v1, 0, v3, vcc_lo
.LBB119_2126:
	s_branch .LBB119_2131
.LBB119_2127:
	s_mov_b32 s1, -1
                                        ; implicit-def: $vgpr1
	s_branch .LBB119_2131
.LBB119_2128:
	s_cmp_eq_u32 s0, 29
	s_cbranch_scc0 .LBB119_2130
; %bb.2129:
	global_load_b32 v1, v[30:31], off
	s_mov_b32 s1, 0
	s_mov_b32 s9, -1
	s_branch .LBB119_2131
.LBB119_2130:
	s_mov_b32 s1, -1
                                        ; implicit-def: $vgpr1
.LBB119_2131:
	s_branch .LBB119_2147
.LBB119_2132:
	s_cmp_lt_i32 s0, 27
	s_cbranch_scc1 .LBB119_2135
; %bb.2133:
	s_cmp_gt_i32 s0, 27
	s_cbranch_scc0 .LBB119_2136
; %bb.2134:
	s_wait_loadcnt 0x0
	global_load_b32 v1, v[30:31], off
	s_mov_b32 s9, 0
	s_branch .LBB119_2137
.LBB119_2135:
	s_mov_b32 s9, -1
                                        ; implicit-def: $vgpr1
	s_branch .LBB119_2140
.LBB119_2136:
	s_mov_b32 s9, -1
                                        ; implicit-def: $vgpr1
.LBB119_2137:
	s_delay_alu instid0(SALU_CYCLE_1)
	s_and_not1_b32 vcc_lo, exec_lo, s9
	s_cbranch_vccnz .LBB119_2139
; %bb.2138:
	s_wait_loadcnt 0x0
	global_load_u16 v1, v[30:31], off
.LBB119_2139:
	s_mov_b32 s9, 0
.LBB119_2140:
	s_delay_alu instid0(SALU_CYCLE_1)
	s_and_not1_b32 vcc_lo, exec_lo, s9
	s_cbranch_vccnz .LBB119_2146
; %bb.2141:
	global_load_u8 v3, v[30:31], off
	s_mov_b32 s12, 0
	s_mov_b32 s9, exec_lo
	s_wait_loadcnt 0x0
	v_cmpx_lt_i16_e32 0x7f, v3
	s_xor_b32 s9, exec_lo, s9
	s_cbranch_execz .LBB119_2157
; %bb.2142:
	v_cmp_ne_u16_e32 vcc_lo, 0x80, v3
	s_and_b32 s12, vcc_lo, exec_lo
	s_and_not1_saveexec_b32 s9, s9
	s_cbranch_execnz .LBB119_2158
.LBB119_2143:
	s_or_b32 exec_lo, exec_lo, s9
	v_mov_b32_e32 v1, 0
	s_and_saveexec_b32 s9, s12
	s_cbranch_execz .LBB119_2145
.LBB119_2144:
	v_and_b32_e32 v1, 0xffff, v3
	s_delay_alu instid0(VALU_DEP_1) | instskip(SKIP_1) | instid1(VALU_DEP_2)
	v_and_b32_e32 v5, 7, v1
	v_bfe_u32 v11, v1, 3, 4
	v_clz_i32_u32_e32 v7, v5
	s_delay_alu instid0(VALU_DEP_2) | instskip(NEXT) | instid1(VALU_DEP_2)
	v_cmp_eq_u32_e32 vcc_lo, 0, v11
	v_min_u32_e32 v7, 32, v7
	s_delay_alu instid0(VALU_DEP_1) | instskip(NEXT) | instid1(VALU_DEP_1)
	v_subrev_nc_u32_e32 v9, 28, v7
	v_dual_lshlrev_b32 v1, v9, v1 :: v_dual_sub_nc_u32 v7, 29, v7
	s_delay_alu instid0(VALU_DEP_1) | instskip(NEXT) | instid1(VALU_DEP_1)
	v_dual_lshlrev_b32 v3, 24, v3 :: v_dual_bitop2_b32 v1, 7, v1 bitop3:0x40
	v_dual_cndmask_b32 v1, v5, v1, vcc_lo :: v_dual_cndmask_b32 v7, v11, v7, vcc_lo
	s_delay_alu instid0(VALU_DEP_2) | instskip(NEXT) | instid1(VALU_DEP_2)
	v_and_b32_e32 v3, 0x80000000, v3
	v_lshlrev_b32_e32 v1, 20, v1
	s_delay_alu instid0(VALU_DEP_3) | instskip(NEXT) | instid1(VALU_DEP_1)
	v_lshl_add_u32 v5, v7, 23, 0x3b800000
	v_or3_b32 v1, v3, v5, v1
	s_delay_alu instid0(VALU_DEP_1)
	v_cvt_i32_f32_e32 v1, v1
.LBB119_2145:
	s_or_b32 exec_lo, exec_lo, s9
.LBB119_2146:
	s_mov_b32 s9, -1
.LBB119_2147:
	s_branch .LBB119_2177
.LBB119_2148:
	s_cmp_gt_i32 s0, 22
	s_cbranch_scc0 .LBB119_2156
; %bb.2149:
	s_cmp_lt_i32 s0, 24
	s_cbranch_scc1 .LBB119_2159
; %bb.2150:
	s_cmp_gt_i32 s0, 24
	s_cbranch_scc0 .LBB119_2160
; %bb.2151:
	global_load_u8 v3, v[30:31], off
	s_mov_b32 s9, 0
	s_mov_b32 s8, exec_lo
	s_wait_loadcnt 0x0
	v_cmpx_lt_i16_e32 0x7f, v3
	s_xor_b32 s8, exec_lo, s8
	s_cbranch_execz .LBB119_2171
; %bb.2152:
	v_cmp_ne_u16_e32 vcc_lo, 0x80, v3
	s_and_b32 s9, vcc_lo, exec_lo
	s_and_not1_saveexec_b32 s8, s8
	s_cbranch_execnz .LBB119_2172
.LBB119_2153:
	s_or_b32 exec_lo, exec_lo, s8
	v_mov_b32_e32 v1, 0
	s_and_saveexec_b32 s8, s9
	s_cbranch_execz .LBB119_2155
.LBB119_2154:
	v_and_b32_e32 v1, 0xffff, v3
	s_delay_alu instid0(VALU_DEP_1) | instskip(SKIP_1) | instid1(VALU_DEP_2)
	v_and_b32_e32 v5, 3, v1
	v_bfe_u32 v11, v1, 2, 5
	v_clz_i32_u32_e32 v7, v5
	s_delay_alu instid0(VALU_DEP_2) | instskip(NEXT) | instid1(VALU_DEP_2)
	v_cmp_eq_u32_e32 vcc_lo, 0, v11
	v_min_u32_e32 v7, 32, v7
	s_delay_alu instid0(VALU_DEP_1) | instskip(NEXT) | instid1(VALU_DEP_1)
	v_subrev_nc_u32_e32 v9, 29, v7
	v_dual_lshlrev_b32 v1, v9, v1 :: v_dual_sub_nc_u32 v7, 30, v7
	s_delay_alu instid0(VALU_DEP_1) | instskip(NEXT) | instid1(VALU_DEP_1)
	v_dual_lshlrev_b32 v3, 24, v3 :: v_dual_bitop2_b32 v1, 3, v1 bitop3:0x40
	v_dual_cndmask_b32 v1, v5, v1, vcc_lo :: v_dual_cndmask_b32 v7, v11, v7, vcc_lo
	s_delay_alu instid0(VALU_DEP_2) | instskip(NEXT) | instid1(VALU_DEP_2)
	v_and_b32_e32 v3, 0x80000000, v3
	v_lshlrev_b32_e32 v1, 21, v1
	s_delay_alu instid0(VALU_DEP_3) | instskip(NEXT) | instid1(VALU_DEP_1)
	v_lshl_add_u32 v5, v7, 23, 0x37800000
	v_or3_b32 v1, v3, v5, v1
	s_delay_alu instid0(VALU_DEP_1)
	v_cvt_i32_f32_e32 v1, v1
.LBB119_2155:
	s_or_b32 exec_lo, exec_lo, s8
	s_mov_b32 s8, 0
	s_branch .LBB119_2161
.LBB119_2156:
                                        ; implicit-def: $vgpr1
	s_mov_b32 s8, 0
	s_branch .LBB119_2167
.LBB119_2157:
	s_and_not1_saveexec_b32 s9, s9
	s_cbranch_execz .LBB119_2143
.LBB119_2158:
	v_cmp_ne_u16_e32 vcc_lo, 0, v3
	s_and_not1_b32 s12, s12, exec_lo
	s_and_b32 s14, vcc_lo, exec_lo
	s_delay_alu instid0(SALU_CYCLE_1)
	s_or_b32 s12, s12, s14
	s_or_b32 exec_lo, exec_lo, s9
	v_mov_b32_e32 v1, 0
	s_and_saveexec_b32 s9, s12
	s_cbranch_execnz .LBB119_2144
	s_branch .LBB119_2145
.LBB119_2159:
	s_mov_b32 s8, -1
                                        ; implicit-def: $vgpr1
	s_branch .LBB119_2164
.LBB119_2160:
	s_mov_b32 s8, -1
                                        ; implicit-def: $vgpr1
.LBB119_2161:
	s_delay_alu instid0(SALU_CYCLE_1)
	s_and_b32 vcc_lo, exec_lo, s8
	s_cbranch_vccz .LBB119_2163
; %bb.2162:
	s_wait_loadcnt 0x0
	global_load_u8 v1, v[30:31], off
	s_wait_loadcnt 0x0
	v_lshlrev_b32_e32 v1, 24, v1
	s_delay_alu instid0(VALU_DEP_1) | instskip(NEXT) | instid1(VALU_DEP_1)
	v_and_b32_e32 v3, 0x7f000000, v1
	v_clz_i32_u32_e32 v5, v3
	v_add_nc_u32_e32 v9, 0x1000000, v3
	v_cmp_ne_u32_e32 vcc_lo, 0, v3
	s_delay_alu instid0(VALU_DEP_3) | instskip(NEXT) | instid1(VALU_DEP_1)
	v_min_u32_e32 v5, 32, v5
	v_sub_nc_u32_e64 v5, v5, 4 clamp
	s_delay_alu instid0(VALU_DEP_1) | instskip(NEXT) | instid1(VALU_DEP_1)
	v_dual_lshlrev_b32 v7, v5, v3 :: v_dual_lshlrev_b32 v5, 23, v5
	v_lshrrev_b32_e32 v7, 4, v7
	s_delay_alu instid0(VALU_DEP_1) | instskip(SKIP_1) | instid1(VALU_DEP_2)
	v_sub_nc_u32_e32 v5, v7, v5
	v_ashrrev_i32_e32 v7, 8, v9
	v_add_nc_u32_e32 v5, 0x3c000000, v5
	s_delay_alu instid0(VALU_DEP_1) | instskip(NEXT) | instid1(VALU_DEP_1)
	v_and_or_b32 v5, 0x7f800000, v7, v5
	v_cndmask_b32_e32 v3, 0, v5, vcc_lo
	s_delay_alu instid0(VALU_DEP_1) | instskip(NEXT) | instid1(VALU_DEP_1)
	v_and_or_b32 v1, 0x80000000, v1, v3
	v_cvt_i32_f32_e32 v1, v1
.LBB119_2163:
	s_mov_b32 s8, 0
.LBB119_2164:
	s_delay_alu instid0(SALU_CYCLE_1)
	s_and_not1_b32 vcc_lo, exec_lo, s8
	s_cbranch_vccnz .LBB119_2166
; %bb.2165:
	s_wait_loadcnt 0x0
	global_load_u8 v1, v[30:31], off
	s_wait_loadcnt 0x0
	v_lshlrev_b32_e32 v3, 25, v1
	v_lshlrev_b16 v1, 8, v1
	s_delay_alu instid0(VALU_DEP_1) | instskip(SKIP_1) | instid1(VALU_DEP_2)
	v_and_or_b32 v7, 0x7f00, v1, 0.5
	v_bfe_i32 v1, v1, 0, 16
	v_add_f32_e32 v7, -0.5, v7
	v_lshrrev_b32_e32 v5, 4, v3
	v_cmp_gt_u32_e32 vcc_lo, 0x8000000, v3
	s_delay_alu instid0(VALU_DEP_2) | instskip(NEXT) | instid1(VALU_DEP_1)
	v_or_b32_e32 v5, 0x70000000, v5
	v_mul_f32_e32 v5, 0x7800000, v5
	s_delay_alu instid0(VALU_DEP_1) | instskip(NEXT) | instid1(VALU_DEP_1)
	v_cndmask_b32_e32 v3, v5, v7, vcc_lo
	v_and_or_b32 v1, 0x80000000, v1, v3
	s_delay_alu instid0(VALU_DEP_1)
	v_cvt_i32_f32_e32 v1, v1
.LBB119_2166:
	s_mov_b32 s9, -1
	s_mov_b32 s8, 0
	s_cbranch_execnz .LBB119_2177
.LBB119_2167:
	s_cmp_gt_i32 s0, 14
	s_cbranch_scc0 .LBB119_2170
; %bb.2168:
	s_cmp_eq_u32 s0, 15
	s_cbranch_scc0 .LBB119_2173
; %bb.2169:
	s_wait_loadcnt 0x0
	global_load_u16 v1, v[30:31], off
	s_mov_b32 s1, 0
	s_mov_b32 s9, -1
	s_wait_loadcnt 0x0
	v_lshlrev_b32_e32 v1, 16, v1
	s_delay_alu instid0(VALU_DEP_1)
	v_cvt_i32_f32_e32 v1, v1
	s_branch .LBB119_2175
.LBB119_2170:
	s_mov_b32 s8, -1
	s_branch .LBB119_2174
.LBB119_2171:
	s_and_not1_saveexec_b32 s8, s8
	s_cbranch_execz .LBB119_2153
.LBB119_2172:
	v_cmp_ne_u16_e32 vcc_lo, 0, v3
	s_and_not1_b32 s9, s9, exec_lo
	s_and_b32 s12, vcc_lo, exec_lo
	s_delay_alu instid0(SALU_CYCLE_1)
	s_or_b32 s9, s9, s12
	s_or_b32 exec_lo, exec_lo, s8
	v_mov_b32_e32 v1, 0
	s_and_saveexec_b32 s8, s9
	s_cbranch_execnz .LBB119_2154
	s_branch .LBB119_2155
.LBB119_2173:
	s_mov_b32 s1, -1
.LBB119_2174:
                                        ; implicit-def: $vgpr1
.LBB119_2175:
	s_and_b32 vcc_lo, exec_lo, s8
	s_mov_b32 s8, 0
	s_cbranch_vccz .LBB119_2177
; %bb.2176:
	s_cmp_lg_u32 s0, 11
	s_mov_b32 s8, -1
	s_cselect_b32 s1, -1, 0
.LBB119_2177:
	s_delay_alu instid0(SALU_CYCLE_1)
	s_and_b32 vcc_lo, exec_lo, s1
	s_mov_b32 s12, s10
	s_cbranch_vccnz .LBB119_2238
; %bb.2178:
	s_and_not1_b32 vcc_lo, exec_lo, s8
	s_cbranch_vccnz .LBB119_2180
.LBB119_2179:
	s_wait_loadcnt 0x0
	global_load_u8 v1, v[30:31], off
	s_mov_b32 s9, -1
	s_wait_loadcnt 0x0
	v_cmp_ne_u16_e32 vcc_lo, 0, v1
	v_cndmask_b32_e64 v1, 0, 1, vcc_lo
.LBB119_2180:
	s_branch .LBB119_2114
.LBB119_2181:
	s_and_b32 s0, 0xffff, s13
	s_delay_alu instid0(SALU_CYCLE_1)
	s_cmp_lt_i32 s0, 5
	s_cbranch_scc1 .LBB119_2186
; %bb.2182:
	s_cmp_lt_i32 s0, 8
	s_cbranch_scc1 .LBB119_2187
; %bb.2183:
	;; [unrolled: 3-line block ×3, first 2 shown]
	s_cmp_gt_i32 s0, 9
	s_cbranch_scc0 .LBB119_2189
; %bb.2185:
	global_load_b64 v[32:33], v[30:31], off
	s_mov_b32 s1, 0
	s_wait_loadcnt 0x0
	v_cvt_i32_f64_e32 v1, v[32:33]
	s_branch .LBB119_2190
.LBB119_2186:
                                        ; implicit-def: $vgpr1
	s_branch .LBB119_2207
.LBB119_2187:
                                        ; implicit-def: $vgpr1
	s_branch .LBB119_2196
.LBB119_2188:
	s_mov_b32 s1, -1
                                        ; implicit-def: $vgpr1
	s_branch .LBB119_2193
.LBB119_2189:
	s_mov_b32 s1, -1
                                        ; implicit-def: $vgpr1
.LBB119_2190:
	s_delay_alu instid0(SALU_CYCLE_1)
	s_and_not1_b32 vcc_lo, exec_lo, s1
	s_cbranch_vccnz .LBB119_2192
; %bb.2191:
	s_wait_loadcnt 0x0
	global_load_b32 v1, v[30:31], off
	s_wait_loadcnt 0x0
	v_cvt_i32_f32_e32 v1, v1
.LBB119_2192:
	s_mov_b32 s1, 0
.LBB119_2193:
	s_delay_alu instid0(SALU_CYCLE_1)
	s_and_not1_b32 vcc_lo, exec_lo, s1
	s_cbranch_vccnz .LBB119_2195
; %bb.2194:
	s_wait_loadcnt 0x0
	global_load_b32 v1, v[30:31], off
	s_wait_loadcnt 0x0
	v_cvt_f32_f16_e32 v1, v1
	s_delay_alu instid0(VALU_DEP_1)
	v_cvt_i32_f32_e32 v1, v1
.LBB119_2195:
	s_cbranch_execnz .LBB119_2206
.LBB119_2196:
	s_cmp_lt_i32 s0, 6
	s_cbranch_scc1 .LBB119_2199
; %bb.2197:
	s_cmp_gt_i32 s0, 6
	s_cbranch_scc0 .LBB119_2200
; %bb.2198:
	global_load_b64 v[32:33], v[30:31], off
	s_mov_b32 s1, 0
	s_wait_loadcnt 0x0
	v_cvt_i32_f64_e32 v1, v[32:33]
	s_branch .LBB119_2201
.LBB119_2199:
	s_mov_b32 s1, -1
                                        ; implicit-def: $vgpr1
	s_branch .LBB119_2204
.LBB119_2200:
	s_mov_b32 s1, -1
                                        ; implicit-def: $vgpr1
.LBB119_2201:
	s_delay_alu instid0(SALU_CYCLE_1)
	s_and_not1_b32 vcc_lo, exec_lo, s1
	s_cbranch_vccnz .LBB119_2203
; %bb.2202:
	s_wait_loadcnt 0x0
	global_load_b32 v1, v[30:31], off
	s_wait_loadcnt 0x0
	v_cvt_i32_f32_e32 v1, v1
.LBB119_2203:
	s_mov_b32 s1, 0
.LBB119_2204:
	s_delay_alu instid0(SALU_CYCLE_1)
	s_and_not1_b32 vcc_lo, exec_lo, s1
	s_cbranch_vccnz .LBB119_2206
; %bb.2205:
	s_wait_loadcnt 0x0
	global_load_u16 v1, v[30:31], off
	s_wait_loadcnt 0x0
	v_cvt_f32_f16_e32 v1, v1
	s_delay_alu instid0(VALU_DEP_1)
	v_cvt_i32_f32_e32 v1, v1
.LBB119_2206:
	s_cbranch_execnz .LBB119_2225
.LBB119_2207:
	s_cmp_lt_i32 s0, 2
	s_cbranch_scc1 .LBB119_2211
; %bb.2208:
	s_cmp_lt_i32 s0, 3
	s_cbranch_scc1 .LBB119_2212
; %bb.2209:
	s_cmp_gt_i32 s0, 3
	s_cbranch_scc0 .LBB119_2213
; %bb.2210:
	s_wait_loadcnt 0x0
	global_load_b32 v1, v[30:31], off
	s_mov_b32 s1, 0
	s_branch .LBB119_2214
.LBB119_2211:
                                        ; implicit-def: $vgpr1
	s_branch .LBB119_2220
.LBB119_2212:
	s_mov_b32 s1, -1
                                        ; implicit-def: $vgpr1
	s_branch .LBB119_2217
.LBB119_2213:
	s_mov_b32 s1, -1
                                        ; implicit-def: $vgpr1
.LBB119_2214:
	s_delay_alu instid0(SALU_CYCLE_1)
	s_and_not1_b32 vcc_lo, exec_lo, s1
	s_cbranch_vccnz .LBB119_2216
; %bb.2215:
	s_wait_loadcnt 0x0
	global_load_b32 v1, v[30:31], off
.LBB119_2216:
	s_mov_b32 s1, 0
.LBB119_2217:
	s_delay_alu instid0(SALU_CYCLE_1)
	s_and_not1_b32 vcc_lo, exec_lo, s1
	s_cbranch_vccnz .LBB119_2219
; %bb.2218:
	s_wait_loadcnt 0x0
	global_load_i16 v1, v[30:31], off
.LBB119_2219:
	s_cbranch_execnz .LBB119_2225
.LBB119_2220:
	s_cmp_gt_i32 s0, 0
	s_mov_b32 s0, 0
	s_cbranch_scc0 .LBB119_2222
; %bb.2221:
	s_wait_loadcnt 0x0
	global_load_i8 v1, v[30:31], off
	s_branch .LBB119_2223
.LBB119_2222:
	s_mov_b32 s0, -1
                                        ; implicit-def: $vgpr1
.LBB119_2223:
	s_delay_alu instid0(SALU_CYCLE_1)
	s_and_not1_b32 vcc_lo, exec_lo, s0
	s_cbranch_vccnz .LBB119_2225
; %bb.2224:
	s_wait_loadcnt 0x0
	global_load_u8 v1, v[30:31], off
.LBB119_2225:
.LBB119_2226:
	v_mov_b32_e32 v29, 0
	s_load_b64 s[0:1], s[2:3], 0x1d8
	global_load_u8 v3, v29, s[2:3] offset:491
	s_wait_kmcnt 0x0
	v_add_nc_u64_e32 v[28:29], s[0:1], v[28:29]
	s_wait_loadcnt 0x0
	v_and_b32_e32 v5, 0xffff, v3
	v_readfirstlane_b32 s14, v3
	s_delay_alu instid0(VALU_DEP_2)
	v_cmp_gt_i32_e32 vcc_lo, 11, v5
	s_cbranch_vccnz .LBB119_2233
; %bb.2227:
	s_and_b32 s8, 0xffff, s14
	s_mov_b32 s15, 0
	s_cmp_gt_i32 s8, 25
	s_cbranch_scc0 .LBB119_2235
; %bb.2228:
	s_cmp_gt_i32 s8, 28
	s_cbranch_scc0 .LBB119_2236
; %bb.2229:
	;; [unrolled: 3-line block ×4, first 2 shown]
	s_cmp_eq_u32 s8, 46
	s_mov_b32 s17, 0
	s_cbranch_scc0 .LBB119_2242
; %bb.2232:
	global_load_b32 v3, v[28:29], off
	s_mov_b32 s9, 0
	s_mov_b32 s16, -1
	s_wait_loadcnt 0x0
	v_lshlrev_b32_e32 v3, 16, v3
	s_delay_alu instid0(VALU_DEP_1)
	v_cvt_i32_f32_e32 v3, v3
	s_branch .LBB119_2244
.LBB119_2233:
	s_mov_b32 s16, 0
                                        ; implicit-def: $vgpr3
	s_cbranch_execnz .LBB119_2305
.LBB119_2234:
	s_and_not1_b32 vcc_lo, exec_lo, s16
	s_cbranch_vccnz .LBB119_4058
	s_branch .LBB119_2352
.LBB119_2235:
	s_mov_b32 s16, 0
	s_mov_b32 s9, 0
                                        ; implicit-def: $vgpr3
	s_cbranch_execnz .LBB119_2271
	s_branch .LBB119_2301
.LBB119_2236:
	s_mov_b32 s17, -1
	s_mov_b32 s16, 0
	s_mov_b32 s9, 0
                                        ; implicit-def: $vgpr3
	s_branch .LBB119_2254
.LBB119_2237:
	s_mov_b32 s17, -1
	s_mov_b32 s16, 0
	s_mov_b32 s9, 0
                                        ; implicit-def: $vgpr3
	s_branch .LBB119_2249
.LBB119_2238:
	s_or_b32 s12, s10, exec_lo
	s_trap 2
	s_cbranch_execz .LBB119_2179
	s_branch .LBB119_2180
.LBB119_2239:
	s_mov_b32 s17, -1
	s_mov_b32 s16, 0
	s_mov_b32 s9, 0
	s_branch .LBB119_2243
.LBB119_2240:
	s_and_not1_saveexec_b32 s10, s10
	s_cbranch_execz .LBB119_1986
.LBB119_2241:
	v_add_f32_e64 v3, 0x42800000, |v2|
	s_and_not1_b32 s9, s9, exec_lo
	s_delay_alu instid0(VALU_DEP_1) | instskip(NEXT) | instid1(VALU_DEP_1)
	v_and_b32_e32 v3, 0xff, v3
	v_cmp_ne_u32_e32 vcc_lo, 0, v3
	s_and_b32 s11, vcc_lo, exec_lo
	s_delay_alu instid0(SALU_CYCLE_1)
	s_or_b32 s9, s9, s11
	s_or_b32 exec_lo, exec_lo, s10
	v_mov_b32_e32 v5, 0
	s_and_saveexec_b32 s10, s9
	s_cbranch_execnz .LBB119_1987
	s_branch .LBB119_1988
.LBB119_2242:
	s_mov_b32 s9, -1
	s_mov_b32 s16, 0
.LBB119_2243:
                                        ; implicit-def: $vgpr3
.LBB119_2244:
	s_and_b32 vcc_lo, exec_lo, s17
	s_cbranch_vccz .LBB119_2248
; %bb.2245:
	s_cmp_eq_u32 s8, 44
	s_cbranch_scc0 .LBB119_2247
; %bb.2246:
	global_load_u8 v3, v[28:29], off
	s_mov_b32 s9, 0
	s_mov_b32 s16, -1
	s_wait_loadcnt 0x0
	v_lshlrev_b32_e32 v5, 23, v3
	v_cmp_ne_u32_e32 vcc_lo, 0, v3
	s_delay_alu instid0(VALU_DEP_2) | instskip(NEXT) | instid1(VALU_DEP_1)
	v_cvt_i32_f32_e32 v5, v5
	v_cndmask_b32_e32 v3, 0, v5, vcc_lo
	s_branch .LBB119_2248
.LBB119_2247:
	s_mov_b32 s9, -1
                                        ; implicit-def: $vgpr3
.LBB119_2248:
	s_mov_b32 s17, 0
.LBB119_2249:
	s_delay_alu instid0(SALU_CYCLE_1)
	s_and_b32 vcc_lo, exec_lo, s17
	s_cbranch_vccz .LBB119_2253
; %bb.2250:
	s_cmp_eq_u32 s8, 29
	s_cbranch_scc0 .LBB119_2252
; %bb.2251:
	global_load_b32 v3, v[28:29], off
	s_mov_b32 s9, 0
	s_mov_b32 s16, -1
	s_branch .LBB119_2253
.LBB119_2252:
	s_mov_b32 s9, -1
                                        ; implicit-def: $vgpr3
.LBB119_2253:
	s_mov_b32 s17, 0
.LBB119_2254:
	s_delay_alu instid0(SALU_CYCLE_1)
	s_and_b32 vcc_lo, exec_lo, s17
	s_cbranch_vccz .LBB119_2270
; %bb.2255:
	s_cmp_lt_i32 s8, 27
	s_cbranch_scc1 .LBB119_2258
; %bb.2256:
	s_cmp_gt_i32 s8, 27
	s_cbranch_scc0 .LBB119_2259
; %bb.2257:
	s_wait_loadcnt 0x0
	global_load_b32 v3, v[28:29], off
	s_mov_b32 s16, 0
	s_branch .LBB119_2260
.LBB119_2258:
	s_mov_b32 s16, -1
                                        ; implicit-def: $vgpr3
	s_branch .LBB119_2263
.LBB119_2259:
	s_mov_b32 s16, -1
                                        ; implicit-def: $vgpr3
.LBB119_2260:
	s_delay_alu instid0(SALU_CYCLE_1)
	s_and_not1_b32 vcc_lo, exec_lo, s16
	s_cbranch_vccnz .LBB119_2262
; %bb.2261:
	s_wait_loadcnt 0x0
	global_load_u16 v3, v[28:29], off
.LBB119_2262:
	s_mov_b32 s16, 0
.LBB119_2263:
	s_delay_alu instid0(SALU_CYCLE_1)
	s_and_not1_b32 vcc_lo, exec_lo, s16
	s_cbranch_vccnz .LBB119_2269
; %bb.2264:
	global_load_u8 v5, v[28:29], off
	s_mov_b32 s17, 0
	s_mov_b32 s16, exec_lo
	s_wait_loadcnt 0x0
	v_cmpx_lt_i16_e32 0x7f, v5
	s_xor_b32 s16, exec_lo, s16
	s_cbranch_execz .LBB119_2280
; %bb.2265:
	v_cmp_ne_u16_e32 vcc_lo, 0x80, v5
	s_and_b32 s17, vcc_lo, exec_lo
	s_and_not1_saveexec_b32 s16, s16
	s_cbranch_execnz .LBB119_2281
.LBB119_2266:
	s_or_b32 exec_lo, exec_lo, s16
	v_mov_b32_e32 v3, 0
	s_and_saveexec_b32 s16, s17
	s_cbranch_execz .LBB119_2268
.LBB119_2267:
	v_and_b32_e32 v3, 0xffff, v5
	s_delay_alu instid0(VALU_DEP_1) | instskip(SKIP_1) | instid1(VALU_DEP_2)
	v_and_b32_e32 v7, 7, v3
	v_bfe_u32 v13, v3, 3, 4
	v_clz_i32_u32_e32 v9, v7
	s_delay_alu instid0(VALU_DEP_2) | instskip(NEXT) | instid1(VALU_DEP_2)
	v_cmp_eq_u32_e32 vcc_lo, 0, v13
	v_min_u32_e32 v9, 32, v9
	s_delay_alu instid0(VALU_DEP_1) | instskip(NEXT) | instid1(VALU_DEP_1)
	v_subrev_nc_u32_e32 v11, 28, v9
	v_dual_lshlrev_b32 v3, v11, v3 :: v_dual_sub_nc_u32 v9, 29, v9
	s_delay_alu instid0(VALU_DEP_1) | instskip(NEXT) | instid1(VALU_DEP_1)
	v_dual_lshlrev_b32 v5, 24, v5 :: v_dual_bitop2_b32 v3, 7, v3 bitop3:0x40
	v_dual_cndmask_b32 v3, v7, v3, vcc_lo :: v_dual_cndmask_b32 v9, v13, v9, vcc_lo
	s_delay_alu instid0(VALU_DEP_2) | instskip(NEXT) | instid1(VALU_DEP_2)
	v_and_b32_e32 v5, 0x80000000, v5
	v_lshlrev_b32_e32 v3, 20, v3
	s_delay_alu instid0(VALU_DEP_3) | instskip(NEXT) | instid1(VALU_DEP_1)
	v_lshl_add_u32 v7, v9, 23, 0x3b800000
	v_or3_b32 v3, v5, v7, v3
	s_delay_alu instid0(VALU_DEP_1)
	v_cvt_i32_f32_e32 v3, v3
.LBB119_2268:
	s_or_b32 exec_lo, exec_lo, s16
.LBB119_2269:
	s_mov_b32 s16, -1
.LBB119_2270:
	s_branch .LBB119_2301
.LBB119_2271:
	s_cmp_gt_i32 s8, 22
	s_cbranch_scc0 .LBB119_2279
; %bb.2272:
	s_cmp_lt_i32 s8, 24
	s_cbranch_scc1 .LBB119_2282
; %bb.2273:
	s_cmp_gt_i32 s8, 24
	s_cbranch_scc0 .LBB119_2283
; %bb.2274:
	global_load_u8 v5, v[28:29], off
	s_mov_b32 s16, 0
	s_mov_b32 s15, exec_lo
	s_wait_loadcnt 0x0
	v_cmpx_lt_i16_e32 0x7f, v5
	s_xor_b32 s15, exec_lo, s15
	s_cbranch_execz .LBB119_2295
; %bb.2275:
	v_cmp_ne_u16_e32 vcc_lo, 0x80, v5
	s_and_b32 s16, vcc_lo, exec_lo
	s_and_not1_saveexec_b32 s15, s15
	s_cbranch_execnz .LBB119_2296
.LBB119_2276:
	s_or_b32 exec_lo, exec_lo, s15
	v_mov_b32_e32 v3, 0
	s_and_saveexec_b32 s15, s16
	s_cbranch_execz .LBB119_2278
.LBB119_2277:
	v_and_b32_e32 v3, 0xffff, v5
	s_delay_alu instid0(VALU_DEP_1) | instskip(SKIP_1) | instid1(VALU_DEP_2)
	v_and_b32_e32 v7, 3, v3
	v_bfe_u32 v13, v3, 2, 5
	v_clz_i32_u32_e32 v9, v7
	s_delay_alu instid0(VALU_DEP_2) | instskip(NEXT) | instid1(VALU_DEP_2)
	v_cmp_eq_u32_e32 vcc_lo, 0, v13
	v_min_u32_e32 v9, 32, v9
	s_delay_alu instid0(VALU_DEP_1) | instskip(NEXT) | instid1(VALU_DEP_1)
	v_subrev_nc_u32_e32 v11, 29, v9
	v_dual_lshlrev_b32 v3, v11, v3 :: v_dual_sub_nc_u32 v9, 30, v9
	s_delay_alu instid0(VALU_DEP_1) | instskip(NEXT) | instid1(VALU_DEP_1)
	v_dual_lshlrev_b32 v5, 24, v5 :: v_dual_bitop2_b32 v3, 3, v3 bitop3:0x40
	v_dual_cndmask_b32 v3, v7, v3, vcc_lo :: v_dual_cndmask_b32 v9, v13, v9, vcc_lo
	s_delay_alu instid0(VALU_DEP_2) | instskip(NEXT) | instid1(VALU_DEP_2)
	v_and_b32_e32 v5, 0x80000000, v5
	v_lshlrev_b32_e32 v3, 21, v3
	s_delay_alu instid0(VALU_DEP_3) | instskip(NEXT) | instid1(VALU_DEP_1)
	v_lshl_add_u32 v7, v9, 23, 0x37800000
	v_or3_b32 v3, v5, v7, v3
	s_delay_alu instid0(VALU_DEP_1)
	v_cvt_i32_f32_e32 v3, v3
.LBB119_2278:
	s_or_b32 exec_lo, exec_lo, s15
	s_mov_b32 s15, 0
	s_branch .LBB119_2284
.LBB119_2279:
	s_mov_b32 s15, -1
                                        ; implicit-def: $vgpr3
	s_branch .LBB119_2290
.LBB119_2280:
	s_and_not1_saveexec_b32 s16, s16
	s_cbranch_execz .LBB119_2266
.LBB119_2281:
	v_cmp_ne_u16_e32 vcc_lo, 0, v5
	s_and_not1_b32 s17, s17, exec_lo
	s_and_b32 s18, vcc_lo, exec_lo
	s_delay_alu instid0(SALU_CYCLE_1)
	s_or_b32 s17, s17, s18
	s_or_b32 exec_lo, exec_lo, s16
	v_mov_b32_e32 v3, 0
	s_and_saveexec_b32 s16, s17
	s_cbranch_execnz .LBB119_2267
	s_branch .LBB119_2268
.LBB119_2282:
	s_mov_b32 s15, -1
                                        ; implicit-def: $vgpr3
	s_branch .LBB119_2287
.LBB119_2283:
	s_mov_b32 s15, -1
                                        ; implicit-def: $vgpr3
.LBB119_2284:
	s_delay_alu instid0(SALU_CYCLE_1)
	s_and_b32 vcc_lo, exec_lo, s15
	s_cbranch_vccz .LBB119_2286
; %bb.2285:
	s_wait_loadcnt 0x0
	global_load_u8 v3, v[28:29], off
	s_wait_loadcnt 0x0
	v_lshlrev_b32_e32 v3, 24, v3
	s_delay_alu instid0(VALU_DEP_1) | instskip(NEXT) | instid1(VALU_DEP_1)
	v_and_b32_e32 v5, 0x7f000000, v3
	v_clz_i32_u32_e32 v7, v5
	v_add_nc_u32_e32 v11, 0x1000000, v5
	v_cmp_ne_u32_e32 vcc_lo, 0, v5
	s_delay_alu instid0(VALU_DEP_3) | instskip(NEXT) | instid1(VALU_DEP_1)
	v_min_u32_e32 v7, 32, v7
	v_sub_nc_u32_e64 v7, v7, 4 clamp
	s_delay_alu instid0(VALU_DEP_1) | instskip(NEXT) | instid1(VALU_DEP_1)
	v_dual_lshlrev_b32 v9, v7, v5 :: v_dual_lshlrev_b32 v7, 23, v7
	v_lshrrev_b32_e32 v9, 4, v9
	s_delay_alu instid0(VALU_DEP_1) | instskip(SKIP_1) | instid1(VALU_DEP_2)
	v_sub_nc_u32_e32 v7, v9, v7
	v_ashrrev_i32_e32 v9, 8, v11
	v_add_nc_u32_e32 v7, 0x3c000000, v7
	s_delay_alu instid0(VALU_DEP_1) | instskip(NEXT) | instid1(VALU_DEP_1)
	v_and_or_b32 v7, 0x7f800000, v9, v7
	v_cndmask_b32_e32 v5, 0, v7, vcc_lo
	s_delay_alu instid0(VALU_DEP_1) | instskip(NEXT) | instid1(VALU_DEP_1)
	v_and_or_b32 v3, 0x80000000, v3, v5
	v_cvt_i32_f32_e32 v3, v3
.LBB119_2286:
	s_mov_b32 s15, 0
.LBB119_2287:
	s_delay_alu instid0(SALU_CYCLE_1)
	s_and_not1_b32 vcc_lo, exec_lo, s15
	s_cbranch_vccnz .LBB119_2289
; %bb.2288:
	s_wait_loadcnt 0x0
	global_load_u8 v3, v[28:29], off
	s_wait_loadcnt 0x0
	v_lshlrev_b32_e32 v5, 25, v3
	v_lshlrev_b16 v3, 8, v3
	s_delay_alu instid0(VALU_DEP_1) | instskip(SKIP_1) | instid1(VALU_DEP_2)
	v_and_or_b32 v9, 0x7f00, v3, 0.5
	v_bfe_i32 v3, v3, 0, 16
	v_add_f32_e32 v9, -0.5, v9
	v_lshrrev_b32_e32 v7, 4, v5
	v_cmp_gt_u32_e32 vcc_lo, 0x8000000, v5
	s_delay_alu instid0(VALU_DEP_2) | instskip(NEXT) | instid1(VALU_DEP_1)
	v_or_b32_e32 v7, 0x70000000, v7
	v_mul_f32_e32 v7, 0x7800000, v7
	s_delay_alu instid0(VALU_DEP_1) | instskip(NEXT) | instid1(VALU_DEP_1)
	v_cndmask_b32_e32 v5, v7, v9, vcc_lo
	v_and_or_b32 v3, 0x80000000, v3, v5
	s_delay_alu instid0(VALU_DEP_1)
	v_cvt_i32_f32_e32 v3, v3
.LBB119_2289:
	s_mov_b32 s15, 0
	s_mov_b32 s16, -1
.LBB119_2290:
	s_and_not1_b32 vcc_lo, exec_lo, s15
	s_mov_b32 s15, 0
	s_cbranch_vccnz .LBB119_2301
; %bb.2291:
	s_cmp_gt_i32 s8, 14
	s_cbranch_scc0 .LBB119_2294
; %bb.2292:
	s_cmp_eq_u32 s8, 15
	s_cbranch_scc0 .LBB119_2297
; %bb.2293:
	s_wait_loadcnt 0x0
	global_load_u16 v3, v[28:29], off
	s_mov_b32 s9, 0
	s_mov_b32 s16, -1
	s_wait_loadcnt 0x0
	v_lshlrev_b32_e32 v3, 16, v3
	s_delay_alu instid0(VALU_DEP_1)
	v_cvt_i32_f32_e32 v3, v3
	s_branch .LBB119_2299
.LBB119_2294:
	s_mov_b32 s15, -1
	s_branch .LBB119_2298
.LBB119_2295:
	s_and_not1_saveexec_b32 s15, s15
	s_cbranch_execz .LBB119_2276
.LBB119_2296:
	v_cmp_ne_u16_e32 vcc_lo, 0, v5
	s_and_not1_b32 s16, s16, exec_lo
	s_and_b32 s17, vcc_lo, exec_lo
	s_delay_alu instid0(SALU_CYCLE_1)
	s_or_b32 s16, s16, s17
	s_or_b32 exec_lo, exec_lo, s15
	v_mov_b32_e32 v3, 0
	s_and_saveexec_b32 s15, s16
	s_cbranch_execnz .LBB119_2277
	s_branch .LBB119_2278
.LBB119_2297:
	s_mov_b32 s9, -1
.LBB119_2298:
                                        ; implicit-def: $vgpr3
.LBB119_2299:
	s_and_b32 vcc_lo, exec_lo, s15
	s_mov_b32 s15, 0
	s_cbranch_vccz .LBB119_2301
; %bb.2300:
	s_cmp_lg_u32 s8, 11
	s_mov_b32 s15, -1
	s_cselect_b32 s9, -1, 0
.LBB119_2301:
	s_delay_alu instid0(SALU_CYCLE_1)
	s_and_b32 vcc_lo, exec_lo, s9
	s_cbranch_vccnz .LBB119_2364
; %bb.2302:
	s_and_not1_b32 vcc_lo, exec_lo, s15
	s_cbranch_vccnz .LBB119_2304
.LBB119_2303:
	s_wait_loadcnt 0x0
	global_load_u8 v3, v[28:29], off
	s_mov_b32 s16, -1
	s_wait_loadcnt 0x0
	v_cmp_ne_u16_e32 vcc_lo, 0, v3
	v_cndmask_b32_e64 v3, 0, 1, vcc_lo
.LBB119_2304:
	s_branch .LBB119_2234
.LBB119_2305:
	s_and_b32 s8, 0xffff, s14
	s_delay_alu instid0(SALU_CYCLE_1)
	s_cmp_lt_i32 s8, 5
	s_cbranch_scc1 .LBB119_2310
; %bb.2306:
	s_cmp_lt_i32 s8, 8
	s_cbranch_scc1 .LBB119_2311
; %bb.2307:
	;; [unrolled: 3-line block ×3, first 2 shown]
	s_cmp_gt_i32 s8, 9
	s_cbranch_scc0 .LBB119_2313
; %bb.2309:
	global_load_b64 v[30:31], v[28:29], off
	s_mov_b32 s9, 0
	s_wait_loadcnt 0x0
	v_cvt_i32_f64_e32 v3, v[30:31]
	s_branch .LBB119_2314
.LBB119_2310:
                                        ; implicit-def: $vgpr3
	s_branch .LBB119_2332
.LBB119_2311:
	s_mov_b32 s9, -1
                                        ; implicit-def: $vgpr3
	s_branch .LBB119_2320
.LBB119_2312:
	s_mov_b32 s9, -1
                                        ; implicit-def: $vgpr3
	s_branch .LBB119_2317
.LBB119_2313:
	s_mov_b32 s9, -1
                                        ; implicit-def: $vgpr3
.LBB119_2314:
	s_delay_alu instid0(SALU_CYCLE_1)
	s_and_not1_b32 vcc_lo, exec_lo, s9
	s_cbranch_vccnz .LBB119_2316
; %bb.2315:
	s_wait_loadcnt 0x0
	global_load_b32 v3, v[28:29], off
	s_wait_loadcnt 0x0
	v_cvt_i32_f32_e32 v3, v3
.LBB119_2316:
	s_mov_b32 s9, 0
.LBB119_2317:
	s_delay_alu instid0(SALU_CYCLE_1)
	s_and_not1_b32 vcc_lo, exec_lo, s9
	s_cbranch_vccnz .LBB119_2319
; %bb.2318:
	s_wait_loadcnt 0x0
	global_load_b32 v3, v[28:29], off
	s_wait_loadcnt 0x0
	v_cvt_f32_f16_e32 v3, v3
	s_delay_alu instid0(VALU_DEP_1)
	v_cvt_i32_f32_e32 v3, v3
.LBB119_2319:
	s_mov_b32 s9, 0
.LBB119_2320:
	s_delay_alu instid0(SALU_CYCLE_1)
	s_and_not1_b32 vcc_lo, exec_lo, s9
	s_cbranch_vccnz .LBB119_2331
; %bb.2321:
	s_cmp_lt_i32 s8, 6
	s_cbranch_scc1 .LBB119_2324
; %bb.2322:
	s_cmp_gt_i32 s8, 6
	s_cbranch_scc0 .LBB119_2325
; %bb.2323:
	global_load_b64 v[30:31], v[28:29], off
	s_mov_b32 s9, 0
	s_wait_loadcnt 0x0
	v_cvt_i32_f64_e32 v3, v[30:31]
	s_branch .LBB119_2326
.LBB119_2324:
	s_mov_b32 s9, -1
                                        ; implicit-def: $vgpr3
	s_branch .LBB119_2329
.LBB119_2325:
	s_mov_b32 s9, -1
                                        ; implicit-def: $vgpr3
.LBB119_2326:
	s_delay_alu instid0(SALU_CYCLE_1)
	s_and_not1_b32 vcc_lo, exec_lo, s9
	s_cbranch_vccnz .LBB119_2328
; %bb.2327:
	s_wait_loadcnt 0x0
	global_load_b32 v3, v[28:29], off
	s_wait_loadcnt 0x0
	v_cvt_i32_f32_e32 v3, v3
.LBB119_2328:
	s_mov_b32 s9, 0
.LBB119_2329:
	s_delay_alu instid0(SALU_CYCLE_1)
	s_and_not1_b32 vcc_lo, exec_lo, s9
	s_cbranch_vccnz .LBB119_2331
; %bb.2330:
	s_wait_loadcnt 0x0
	global_load_u16 v3, v[28:29], off
	s_wait_loadcnt 0x0
	v_cvt_f32_f16_e32 v3, v3
	s_delay_alu instid0(VALU_DEP_1)
	v_cvt_i32_f32_e32 v3, v3
.LBB119_2331:
	s_cbranch_execnz .LBB119_2351
.LBB119_2332:
	s_cmp_lt_i32 s8, 2
	s_cbranch_scc1 .LBB119_2336
; %bb.2333:
	s_cmp_lt_i32 s8, 3
	s_cbranch_scc1 .LBB119_2337
; %bb.2334:
	s_cmp_gt_i32 s8, 3
	s_cbranch_scc0 .LBB119_2338
; %bb.2335:
	s_wait_loadcnt 0x0
	global_load_b32 v3, v[28:29], off
	s_mov_b32 s9, 0
	s_branch .LBB119_2339
.LBB119_2336:
	s_mov_b32 s9, -1
                                        ; implicit-def: $vgpr3
	s_branch .LBB119_2345
.LBB119_2337:
	s_mov_b32 s9, -1
                                        ; implicit-def: $vgpr3
	s_branch .LBB119_2342
.LBB119_2338:
	s_mov_b32 s9, -1
                                        ; implicit-def: $vgpr3
.LBB119_2339:
	s_delay_alu instid0(SALU_CYCLE_1)
	s_and_not1_b32 vcc_lo, exec_lo, s9
	s_cbranch_vccnz .LBB119_2341
; %bb.2340:
	s_wait_loadcnt 0x0
	global_load_b32 v3, v[28:29], off
.LBB119_2341:
	s_mov_b32 s9, 0
.LBB119_2342:
	s_delay_alu instid0(SALU_CYCLE_1)
	s_and_not1_b32 vcc_lo, exec_lo, s9
	s_cbranch_vccnz .LBB119_2344
; %bb.2343:
	s_wait_loadcnt 0x0
	global_load_i16 v3, v[28:29], off
.LBB119_2344:
	s_mov_b32 s9, 0
.LBB119_2345:
	s_delay_alu instid0(SALU_CYCLE_1)
	s_and_not1_b32 vcc_lo, exec_lo, s9
	s_cbranch_vccnz .LBB119_2351
; %bb.2346:
	s_cmp_gt_i32 s8, 0
	s_mov_b32 s8, 0
	s_cbranch_scc0 .LBB119_2348
; %bb.2347:
	s_wait_loadcnt 0x0
	global_load_i8 v3, v[28:29], off
	s_branch .LBB119_2349
.LBB119_2348:
	s_mov_b32 s8, -1
                                        ; implicit-def: $vgpr3
.LBB119_2349:
	s_delay_alu instid0(SALU_CYCLE_1)
	s_and_not1_b32 vcc_lo, exec_lo, s8
	s_cbranch_vccnz .LBB119_2351
; %bb.2350:
	s_wait_loadcnt 0x0
	global_load_u8 v3, v[28:29], off
.LBB119_2351:
.LBB119_2352:
	s_clause 0x1
	s_load_b64 s[8:9], s[2:3], 0x1e0
	s_load_b32 s15, s[2:3], 0x1ec
	v_mov_b32_e32 v27, 0
	s_wait_kmcnt 0x0
	s_delay_alu instid0(VALU_DEP_1) | instskip(SKIP_1) | instid1(SALU_CYCLE_1)
	v_add_nc_u64_e32 v[26:27], s[8:9], v[26:27]
	s_and_b32 s15, s15, 0xff
	s_cmp_lt_i32 s15, 11
	s_cbranch_scc1 .LBB119_2359
; %bb.2353:
	s_and_b32 s16, 0xffff, s15
	s_mov_b32 s18, 0
	s_cmp_gt_i32 s16, 25
	s_cbranch_scc0 .LBB119_2361
; %bb.2354:
	s_cmp_gt_i32 s16, 28
	s_cbranch_scc0 .LBB119_2362
; %bb.2355:
	s_cmp_gt_i32 s16, 43
	s_cbranch_scc0 .LBB119_2363
; %bb.2356:
	s_cmp_gt_i32 s16, 45
	s_cbranch_scc0 .LBB119_2365
; %bb.2357:
	s_cmp_eq_u32 s16, 46
	s_mov_b32 s20, 0
	s_cbranch_scc0 .LBB119_2366
; %bb.2358:
	global_load_b32 v5, v[26:27], off
	s_mov_b32 s17, 0
	s_mov_b32 s19, -1
	s_wait_loadcnt 0x0
	v_lshlrev_b32_e32 v5, 16, v5
	s_delay_alu instid0(VALU_DEP_1)
	v_cvt_i32_f32_e32 v5, v5
	s_branch .LBB119_2368
.LBB119_2359:
	s_mov_b32 s19, 0
                                        ; implicit-def: $vgpr5
	s_cbranch_execnz .LBB119_2430
.LBB119_2360:
	s_and_not1_b32 vcc_lo, exec_lo, s19
	s_cbranch_vccnz .LBB119_4058
	s_branch .LBB119_2478
.LBB119_2361:
	s_mov_b32 s20, -1
	s_mov_b32 s19, 0
	s_mov_b32 s17, 0
                                        ; implicit-def: $vgpr5
	s_branch .LBB119_2395
.LBB119_2362:
	s_mov_b32 s20, -1
	s_mov_b32 s19, 0
	s_mov_b32 s17, 0
                                        ; implicit-def: $vgpr5
	s_branch .LBB119_2378
.LBB119_2363:
	s_mov_b32 s20, -1
	s_mov_b32 s19, 0
	s_mov_b32 s17, 0
                                        ; implicit-def: $vgpr5
	s_branch .LBB119_2373
.LBB119_2364:
	s_or_b32 s12, s12, exec_lo
	s_trap 2
	s_cbranch_execz .LBB119_2303
	s_branch .LBB119_2304
.LBB119_2365:
	s_mov_b32 s20, -1
	s_mov_b32 s19, 0
	s_mov_b32 s17, 0
	s_branch .LBB119_2367
.LBB119_2366:
	s_mov_b32 s17, -1
	s_mov_b32 s19, 0
.LBB119_2367:
                                        ; implicit-def: $vgpr5
.LBB119_2368:
	s_and_b32 vcc_lo, exec_lo, s20
	s_cbranch_vccz .LBB119_2372
; %bb.2369:
	s_cmp_eq_u32 s16, 44
	s_cbranch_scc0 .LBB119_2371
; %bb.2370:
	global_load_u8 v5, v[26:27], off
	s_mov_b32 s17, 0
	s_mov_b32 s19, -1
	s_wait_loadcnt 0x0
	v_lshlrev_b32_e32 v7, 23, v5
	v_cmp_ne_u32_e32 vcc_lo, 0, v5
	s_delay_alu instid0(VALU_DEP_2) | instskip(NEXT) | instid1(VALU_DEP_1)
	v_cvt_i32_f32_e32 v7, v7
	v_cndmask_b32_e32 v5, 0, v7, vcc_lo
	s_branch .LBB119_2372
.LBB119_2371:
	s_mov_b32 s17, -1
                                        ; implicit-def: $vgpr5
.LBB119_2372:
	s_mov_b32 s20, 0
.LBB119_2373:
	s_delay_alu instid0(SALU_CYCLE_1)
	s_and_b32 vcc_lo, exec_lo, s20
	s_cbranch_vccz .LBB119_2377
; %bb.2374:
	s_cmp_eq_u32 s16, 29
	s_cbranch_scc0 .LBB119_2376
; %bb.2375:
	global_load_b32 v5, v[26:27], off
	s_mov_b32 s17, 0
	s_mov_b32 s19, -1
	s_branch .LBB119_2377
.LBB119_2376:
	s_mov_b32 s17, -1
                                        ; implicit-def: $vgpr5
.LBB119_2377:
	s_mov_b32 s20, 0
.LBB119_2378:
	s_delay_alu instid0(SALU_CYCLE_1)
	s_and_b32 vcc_lo, exec_lo, s20
	s_cbranch_vccz .LBB119_2394
; %bb.2379:
	s_cmp_lt_i32 s16, 27
	s_cbranch_scc1 .LBB119_2382
; %bb.2380:
	s_cmp_gt_i32 s16, 27
	s_cbranch_scc0 .LBB119_2383
; %bb.2381:
	s_wait_loadcnt 0x0
	global_load_b32 v5, v[26:27], off
	s_mov_b32 s19, 0
	s_branch .LBB119_2384
.LBB119_2382:
	s_mov_b32 s19, -1
                                        ; implicit-def: $vgpr5
	s_branch .LBB119_2387
.LBB119_2383:
	s_mov_b32 s19, -1
                                        ; implicit-def: $vgpr5
.LBB119_2384:
	s_delay_alu instid0(SALU_CYCLE_1)
	s_and_not1_b32 vcc_lo, exec_lo, s19
	s_cbranch_vccnz .LBB119_2386
; %bb.2385:
	s_wait_loadcnt 0x0
	global_load_u16 v5, v[26:27], off
.LBB119_2386:
	s_mov_b32 s19, 0
.LBB119_2387:
	s_delay_alu instid0(SALU_CYCLE_1)
	s_and_not1_b32 vcc_lo, exec_lo, s19
	s_cbranch_vccnz .LBB119_2393
; %bb.2388:
	global_load_u8 v7, v[26:27], off
	s_mov_b32 s20, 0
	s_mov_b32 s19, exec_lo
	s_wait_loadcnt 0x0
	v_cmpx_lt_i16_e32 0x7f, v7
	s_xor_b32 s19, exec_lo, s19
	s_cbranch_execz .LBB119_2405
; %bb.2389:
	v_cmp_ne_u16_e32 vcc_lo, 0x80, v7
	s_and_b32 s20, vcc_lo, exec_lo
	s_and_not1_saveexec_b32 s19, s19
	s_cbranch_execnz .LBB119_2406
.LBB119_2390:
	s_or_b32 exec_lo, exec_lo, s19
	v_mov_b32_e32 v5, 0
	s_and_saveexec_b32 s19, s20
	s_cbranch_execz .LBB119_2392
.LBB119_2391:
	v_and_b32_e32 v5, 0xffff, v7
	s_delay_alu instid0(VALU_DEP_1) | instskip(SKIP_1) | instid1(VALU_DEP_2)
	v_and_b32_e32 v9, 7, v5
	v_bfe_u32 v15, v5, 3, 4
	v_clz_i32_u32_e32 v11, v9
	s_delay_alu instid0(VALU_DEP_2) | instskip(NEXT) | instid1(VALU_DEP_2)
	v_cmp_eq_u32_e32 vcc_lo, 0, v15
	v_min_u32_e32 v11, 32, v11
	s_delay_alu instid0(VALU_DEP_1) | instskip(NEXT) | instid1(VALU_DEP_1)
	v_subrev_nc_u32_e32 v13, 28, v11
	v_dual_lshlrev_b32 v5, v13, v5 :: v_dual_sub_nc_u32 v11, 29, v11
	s_delay_alu instid0(VALU_DEP_1) | instskip(NEXT) | instid1(VALU_DEP_1)
	v_dual_lshlrev_b32 v7, 24, v7 :: v_dual_bitop2_b32 v5, 7, v5 bitop3:0x40
	v_dual_cndmask_b32 v5, v9, v5, vcc_lo :: v_dual_cndmask_b32 v11, v15, v11, vcc_lo
	s_delay_alu instid0(VALU_DEP_2) | instskip(NEXT) | instid1(VALU_DEP_2)
	v_and_b32_e32 v7, 0x80000000, v7
	v_lshlrev_b32_e32 v5, 20, v5
	s_delay_alu instid0(VALU_DEP_3) | instskip(NEXT) | instid1(VALU_DEP_1)
	v_lshl_add_u32 v9, v11, 23, 0x3b800000
	v_or3_b32 v5, v7, v9, v5
	s_delay_alu instid0(VALU_DEP_1)
	v_cvt_i32_f32_e32 v5, v5
.LBB119_2392:
	s_or_b32 exec_lo, exec_lo, s19
.LBB119_2393:
	s_mov_b32 s19, -1
.LBB119_2394:
	s_mov_b32 s20, 0
.LBB119_2395:
	s_delay_alu instid0(SALU_CYCLE_1)
	s_and_b32 vcc_lo, exec_lo, s20
	s_cbranch_vccz .LBB119_2426
; %bb.2396:
	s_cmp_gt_i32 s16, 22
	s_cbranch_scc0 .LBB119_2404
; %bb.2397:
	s_cmp_lt_i32 s16, 24
	s_cbranch_scc1 .LBB119_2407
; %bb.2398:
	s_cmp_gt_i32 s16, 24
	s_cbranch_scc0 .LBB119_2408
; %bb.2399:
	global_load_u8 v7, v[26:27], off
	s_mov_b32 s19, 0
	s_mov_b32 s18, exec_lo
	s_wait_loadcnt 0x0
	v_cmpx_lt_i16_e32 0x7f, v7
	s_xor_b32 s18, exec_lo, s18
	s_cbranch_execz .LBB119_2420
; %bb.2400:
	v_cmp_ne_u16_e32 vcc_lo, 0x80, v7
	s_and_b32 s19, vcc_lo, exec_lo
	s_and_not1_saveexec_b32 s18, s18
	s_cbranch_execnz .LBB119_2421
.LBB119_2401:
	s_or_b32 exec_lo, exec_lo, s18
	v_mov_b32_e32 v5, 0
	s_and_saveexec_b32 s18, s19
	s_cbranch_execz .LBB119_2403
.LBB119_2402:
	v_and_b32_e32 v5, 0xffff, v7
	s_delay_alu instid0(VALU_DEP_1) | instskip(SKIP_1) | instid1(VALU_DEP_2)
	v_and_b32_e32 v9, 3, v5
	v_bfe_u32 v15, v5, 2, 5
	v_clz_i32_u32_e32 v11, v9
	s_delay_alu instid0(VALU_DEP_2) | instskip(NEXT) | instid1(VALU_DEP_2)
	v_cmp_eq_u32_e32 vcc_lo, 0, v15
	v_min_u32_e32 v11, 32, v11
	s_delay_alu instid0(VALU_DEP_1) | instskip(NEXT) | instid1(VALU_DEP_1)
	v_subrev_nc_u32_e32 v13, 29, v11
	v_dual_lshlrev_b32 v5, v13, v5 :: v_dual_sub_nc_u32 v11, 30, v11
	s_delay_alu instid0(VALU_DEP_1) | instskip(NEXT) | instid1(VALU_DEP_1)
	v_dual_lshlrev_b32 v7, 24, v7 :: v_dual_bitop2_b32 v5, 3, v5 bitop3:0x40
	v_dual_cndmask_b32 v5, v9, v5, vcc_lo :: v_dual_cndmask_b32 v11, v15, v11, vcc_lo
	s_delay_alu instid0(VALU_DEP_2) | instskip(NEXT) | instid1(VALU_DEP_2)
	v_and_b32_e32 v7, 0x80000000, v7
	v_lshlrev_b32_e32 v5, 21, v5
	s_delay_alu instid0(VALU_DEP_3) | instskip(NEXT) | instid1(VALU_DEP_1)
	v_lshl_add_u32 v9, v11, 23, 0x37800000
	v_or3_b32 v5, v7, v9, v5
	s_delay_alu instid0(VALU_DEP_1)
	v_cvt_i32_f32_e32 v5, v5
.LBB119_2403:
	s_or_b32 exec_lo, exec_lo, s18
	s_mov_b32 s18, 0
	s_branch .LBB119_2409
.LBB119_2404:
	s_mov_b32 s18, -1
                                        ; implicit-def: $vgpr5
	s_branch .LBB119_2415
.LBB119_2405:
	s_and_not1_saveexec_b32 s19, s19
	s_cbranch_execz .LBB119_2390
.LBB119_2406:
	v_cmp_ne_u16_e32 vcc_lo, 0, v7
	s_and_not1_b32 s20, s20, exec_lo
	s_and_b32 s21, vcc_lo, exec_lo
	s_delay_alu instid0(SALU_CYCLE_1)
	s_or_b32 s20, s20, s21
	s_or_b32 exec_lo, exec_lo, s19
	v_mov_b32_e32 v5, 0
	s_and_saveexec_b32 s19, s20
	s_cbranch_execnz .LBB119_2391
	s_branch .LBB119_2392
.LBB119_2407:
	s_mov_b32 s18, -1
                                        ; implicit-def: $vgpr5
	s_branch .LBB119_2412
.LBB119_2408:
	s_mov_b32 s18, -1
                                        ; implicit-def: $vgpr5
.LBB119_2409:
	s_delay_alu instid0(SALU_CYCLE_1)
	s_and_b32 vcc_lo, exec_lo, s18
	s_cbranch_vccz .LBB119_2411
; %bb.2410:
	s_wait_loadcnt 0x0
	global_load_u8 v5, v[26:27], off
	s_wait_loadcnt 0x0
	v_lshlrev_b32_e32 v5, 24, v5
	s_delay_alu instid0(VALU_DEP_1) | instskip(NEXT) | instid1(VALU_DEP_1)
	v_and_b32_e32 v7, 0x7f000000, v5
	v_clz_i32_u32_e32 v9, v7
	v_add_nc_u32_e32 v13, 0x1000000, v7
	v_cmp_ne_u32_e32 vcc_lo, 0, v7
	s_delay_alu instid0(VALU_DEP_3) | instskip(NEXT) | instid1(VALU_DEP_1)
	v_min_u32_e32 v9, 32, v9
	v_sub_nc_u32_e64 v9, v9, 4 clamp
	s_delay_alu instid0(VALU_DEP_1) | instskip(NEXT) | instid1(VALU_DEP_1)
	v_dual_lshlrev_b32 v11, v9, v7 :: v_dual_lshlrev_b32 v9, 23, v9
	v_lshrrev_b32_e32 v11, 4, v11
	s_delay_alu instid0(VALU_DEP_1) | instskip(SKIP_1) | instid1(VALU_DEP_2)
	v_sub_nc_u32_e32 v9, v11, v9
	v_ashrrev_i32_e32 v11, 8, v13
	v_add_nc_u32_e32 v9, 0x3c000000, v9
	s_delay_alu instid0(VALU_DEP_1) | instskip(NEXT) | instid1(VALU_DEP_1)
	v_and_or_b32 v9, 0x7f800000, v11, v9
	v_cndmask_b32_e32 v7, 0, v9, vcc_lo
	s_delay_alu instid0(VALU_DEP_1) | instskip(NEXT) | instid1(VALU_DEP_1)
	v_and_or_b32 v5, 0x80000000, v5, v7
	v_cvt_i32_f32_e32 v5, v5
.LBB119_2411:
	s_mov_b32 s18, 0
.LBB119_2412:
	s_delay_alu instid0(SALU_CYCLE_1)
	s_and_not1_b32 vcc_lo, exec_lo, s18
	s_cbranch_vccnz .LBB119_2414
; %bb.2413:
	s_wait_loadcnt 0x0
	global_load_u8 v5, v[26:27], off
	s_wait_loadcnt 0x0
	v_lshlrev_b32_e32 v7, 25, v5
	v_lshlrev_b16 v5, 8, v5
	s_delay_alu instid0(VALU_DEP_1) | instskip(SKIP_1) | instid1(VALU_DEP_2)
	v_and_or_b32 v11, 0x7f00, v5, 0.5
	v_bfe_i32 v5, v5, 0, 16
	v_add_f32_e32 v11, -0.5, v11
	v_lshrrev_b32_e32 v9, 4, v7
	v_cmp_gt_u32_e32 vcc_lo, 0x8000000, v7
	s_delay_alu instid0(VALU_DEP_2) | instskip(NEXT) | instid1(VALU_DEP_1)
	v_or_b32_e32 v9, 0x70000000, v9
	v_mul_f32_e32 v9, 0x7800000, v9
	s_delay_alu instid0(VALU_DEP_1) | instskip(NEXT) | instid1(VALU_DEP_1)
	v_cndmask_b32_e32 v7, v9, v11, vcc_lo
	v_and_or_b32 v5, 0x80000000, v5, v7
	s_delay_alu instid0(VALU_DEP_1)
	v_cvt_i32_f32_e32 v5, v5
.LBB119_2414:
	s_mov_b32 s18, 0
	s_mov_b32 s19, -1
.LBB119_2415:
	s_and_not1_b32 vcc_lo, exec_lo, s18
	s_mov_b32 s18, 0
	s_cbranch_vccnz .LBB119_2426
; %bb.2416:
	s_cmp_gt_i32 s16, 14
	s_cbranch_scc0 .LBB119_2419
; %bb.2417:
	s_cmp_eq_u32 s16, 15
	s_cbranch_scc0 .LBB119_2422
; %bb.2418:
	s_wait_loadcnt 0x0
	global_load_u16 v5, v[26:27], off
	s_mov_b32 s17, 0
	s_mov_b32 s19, -1
	s_wait_loadcnt 0x0
	v_lshlrev_b32_e32 v5, 16, v5
	s_delay_alu instid0(VALU_DEP_1)
	v_cvt_i32_f32_e32 v5, v5
	s_branch .LBB119_2424
.LBB119_2419:
	s_mov_b32 s18, -1
	s_branch .LBB119_2423
.LBB119_2420:
	s_and_not1_saveexec_b32 s18, s18
	s_cbranch_execz .LBB119_2401
.LBB119_2421:
	v_cmp_ne_u16_e32 vcc_lo, 0, v7
	s_and_not1_b32 s19, s19, exec_lo
	s_and_b32 s20, vcc_lo, exec_lo
	s_delay_alu instid0(SALU_CYCLE_1)
	s_or_b32 s19, s19, s20
	s_or_b32 exec_lo, exec_lo, s18
	v_mov_b32_e32 v5, 0
	s_and_saveexec_b32 s18, s19
	s_cbranch_execnz .LBB119_2402
	s_branch .LBB119_2403
.LBB119_2422:
	s_mov_b32 s17, -1
.LBB119_2423:
                                        ; implicit-def: $vgpr5
.LBB119_2424:
	s_and_b32 vcc_lo, exec_lo, s18
	s_mov_b32 s18, 0
	s_cbranch_vccz .LBB119_2426
; %bb.2425:
	s_cmp_lg_u32 s16, 11
	s_mov_b32 s18, -1
	s_cselect_b32 s17, -1, 0
.LBB119_2426:
	s_delay_alu instid0(SALU_CYCLE_1)
	s_and_b32 vcc_lo, exec_lo, s17
	s_cbranch_vccnz .LBB119_2489
; %bb.2427:
	s_and_not1_b32 vcc_lo, exec_lo, s18
	s_cbranch_vccnz .LBB119_2429
.LBB119_2428:
	s_wait_loadcnt 0x0
	global_load_u8 v5, v[26:27], off
	s_mov_b32 s19, -1
	s_wait_loadcnt 0x0
	v_cmp_ne_u16_e32 vcc_lo, 0, v5
	v_cndmask_b32_e64 v5, 0, 1, vcc_lo
.LBB119_2429:
	s_branch .LBB119_2360
.LBB119_2430:
	s_and_b32 s16, 0xffff, s15
	s_delay_alu instid0(SALU_CYCLE_1)
	s_cmp_lt_i32 s16, 5
	s_cbranch_scc1 .LBB119_2435
; %bb.2431:
	s_cmp_lt_i32 s16, 8
	s_cbranch_scc1 .LBB119_2436
; %bb.2432:
	;; [unrolled: 3-line block ×3, first 2 shown]
	s_cmp_gt_i32 s16, 9
	s_cbranch_scc0 .LBB119_2438
; %bb.2434:
	global_load_b64 v[28:29], v[26:27], off
	s_mov_b32 s17, 0
	s_wait_loadcnt 0x0
	v_cvt_i32_f64_e32 v5, v[28:29]
	s_branch .LBB119_2439
.LBB119_2435:
	s_mov_b32 s17, -1
                                        ; implicit-def: $vgpr5
	s_branch .LBB119_2457
.LBB119_2436:
	s_mov_b32 s17, -1
                                        ; implicit-def: $vgpr5
	s_branch .LBB119_2445
.LBB119_2437:
	s_mov_b32 s17, -1
                                        ; implicit-def: $vgpr5
	s_branch .LBB119_2442
.LBB119_2438:
	s_mov_b32 s17, -1
                                        ; implicit-def: $vgpr5
.LBB119_2439:
	s_delay_alu instid0(SALU_CYCLE_1)
	s_and_not1_b32 vcc_lo, exec_lo, s17
	s_cbranch_vccnz .LBB119_2441
; %bb.2440:
	s_wait_loadcnt 0x0
	global_load_b32 v5, v[26:27], off
	s_wait_loadcnt 0x0
	v_cvt_i32_f32_e32 v5, v5
.LBB119_2441:
	s_mov_b32 s17, 0
.LBB119_2442:
	s_delay_alu instid0(SALU_CYCLE_1)
	s_and_not1_b32 vcc_lo, exec_lo, s17
	s_cbranch_vccnz .LBB119_2444
; %bb.2443:
	s_wait_loadcnt 0x0
	global_load_b32 v5, v[26:27], off
	s_wait_loadcnt 0x0
	v_cvt_f32_f16_e32 v5, v5
	s_delay_alu instid0(VALU_DEP_1)
	v_cvt_i32_f32_e32 v5, v5
.LBB119_2444:
	s_mov_b32 s17, 0
.LBB119_2445:
	s_delay_alu instid0(SALU_CYCLE_1)
	s_and_not1_b32 vcc_lo, exec_lo, s17
	s_cbranch_vccnz .LBB119_2456
; %bb.2446:
	s_cmp_lt_i32 s16, 6
	s_cbranch_scc1 .LBB119_2449
; %bb.2447:
	s_cmp_gt_i32 s16, 6
	s_cbranch_scc0 .LBB119_2450
; %bb.2448:
	global_load_b64 v[28:29], v[26:27], off
	s_mov_b32 s17, 0
	s_wait_loadcnt 0x0
	v_cvt_i32_f64_e32 v5, v[28:29]
	s_branch .LBB119_2451
.LBB119_2449:
	s_mov_b32 s17, -1
                                        ; implicit-def: $vgpr5
	s_branch .LBB119_2454
.LBB119_2450:
	s_mov_b32 s17, -1
                                        ; implicit-def: $vgpr5
.LBB119_2451:
	s_delay_alu instid0(SALU_CYCLE_1)
	s_and_not1_b32 vcc_lo, exec_lo, s17
	s_cbranch_vccnz .LBB119_2453
; %bb.2452:
	s_wait_loadcnt 0x0
	global_load_b32 v5, v[26:27], off
	s_wait_loadcnt 0x0
	v_cvt_i32_f32_e32 v5, v5
.LBB119_2453:
	s_mov_b32 s17, 0
.LBB119_2454:
	s_delay_alu instid0(SALU_CYCLE_1)
	s_and_not1_b32 vcc_lo, exec_lo, s17
	s_cbranch_vccnz .LBB119_2456
; %bb.2455:
	s_wait_loadcnt 0x0
	global_load_u16 v5, v[26:27], off
	s_wait_loadcnt 0x0
	v_cvt_f32_f16_e32 v5, v5
	s_delay_alu instid0(VALU_DEP_1)
	v_cvt_i32_f32_e32 v5, v5
.LBB119_2456:
	s_mov_b32 s17, 0
.LBB119_2457:
	s_delay_alu instid0(SALU_CYCLE_1)
	s_and_not1_b32 vcc_lo, exec_lo, s17
	s_cbranch_vccnz .LBB119_2477
; %bb.2458:
	s_cmp_lt_i32 s16, 2
	s_cbranch_scc1 .LBB119_2462
; %bb.2459:
	s_cmp_lt_i32 s16, 3
	s_cbranch_scc1 .LBB119_2463
; %bb.2460:
	s_cmp_gt_i32 s16, 3
	s_cbranch_scc0 .LBB119_2464
; %bb.2461:
	s_wait_loadcnt 0x0
	global_load_b32 v5, v[26:27], off
	s_mov_b32 s17, 0
	s_branch .LBB119_2465
.LBB119_2462:
	s_mov_b32 s17, -1
                                        ; implicit-def: $vgpr5
	s_branch .LBB119_2471
.LBB119_2463:
	s_mov_b32 s17, -1
                                        ; implicit-def: $vgpr5
	s_branch .LBB119_2468
.LBB119_2464:
	s_mov_b32 s17, -1
                                        ; implicit-def: $vgpr5
.LBB119_2465:
	s_delay_alu instid0(SALU_CYCLE_1)
	s_and_not1_b32 vcc_lo, exec_lo, s17
	s_cbranch_vccnz .LBB119_2467
; %bb.2466:
	s_wait_loadcnt 0x0
	global_load_b32 v5, v[26:27], off
.LBB119_2467:
	s_mov_b32 s17, 0
.LBB119_2468:
	s_delay_alu instid0(SALU_CYCLE_1)
	s_and_not1_b32 vcc_lo, exec_lo, s17
	s_cbranch_vccnz .LBB119_2470
; %bb.2469:
	s_wait_loadcnt 0x0
	global_load_i16 v5, v[26:27], off
.LBB119_2470:
	s_mov_b32 s17, 0
.LBB119_2471:
	s_delay_alu instid0(SALU_CYCLE_1)
	s_and_not1_b32 vcc_lo, exec_lo, s17
	s_cbranch_vccnz .LBB119_2477
; %bb.2472:
	s_cmp_gt_i32 s16, 0
	s_mov_b32 s16, 0
	s_cbranch_scc0 .LBB119_2474
; %bb.2473:
	s_wait_loadcnt 0x0
	global_load_i8 v5, v[26:27], off
	s_branch .LBB119_2475
.LBB119_2474:
	s_mov_b32 s16, -1
                                        ; implicit-def: $vgpr5
.LBB119_2475:
	s_delay_alu instid0(SALU_CYCLE_1)
	s_and_not1_b32 vcc_lo, exec_lo, s16
	s_cbranch_vccnz .LBB119_2477
; %bb.2476:
	s_wait_loadcnt 0x0
	global_load_u8 v5, v[26:27], off
.LBB119_2477:
.LBB119_2478:
	v_mov_b32_e32 v25, 0
	s_and_b32 s13, 0xffff, s13
	s_delay_alu instid0(SALU_CYCLE_1) | instskip(NEXT) | instid1(VALU_DEP_1)
	s_cmp_lt_i32 s13, 11
	v_add_nc_u64_e32 v[24:25], s[6:7], v[24:25]
	s_cbranch_scc1 .LBB119_2485
; %bb.2479:
	s_cmp_gt_i32 s13, 25
	s_mov_b32 s17, 0
	s_cbranch_scc0 .LBB119_2486
; %bb.2480:
	s_cmp_gt_i32 s13, 28
	s_cbranch_scc0 .LBB119_2487
; %bb.2481:
	s_cmp_gt_i32 s13, 43
	;; [unrolled: 3-line block ×3, first 2 shown]
	s_cbranch_scc0 .LBB119_2490
; %bb.2483:
	s_cmp_eq_u32 s13, 46
	s_mov_b32 s19, 0
	s_cbranch_scc0 .LBB119_2491
; %bb.2484:
	global_load_b32 v7, v[24:25], off
	s_mov_b32 s16, 0
	s_mov_b32 s18, -1
	s_wait_loadcnt 0x0
	v_lshlrev_b32_e32 v7, 16, v7
	s_wait_xcnt 0x1
	s_delay_alu instid0(VALU_DEP_1)
	v_cvt_i32_f32_e32 v26, v7
	s_branch .LBB119_2493
.LBB119_2485:
	s_mov_b32 s16, -1
	s_mov_b32 s18, 0
                                        ; implicit-def: $vgpr26
	s_branch .LBB119_2555
.LBB119_2486:
	s_mov_b32 s19, -1
	s_mov_b32 s18, 0
	s_mov_b32 s16, 0
                                        ; implicit-def: $vgpr26
	s_branch .LBB119_2520
.LBB119_2487:
	s_mov_b32 s19, -1
	s_mov_b32 s18, 0
	s_mov_b32 s16, 0
                                        ; implicit-def: $vgpr26
	s_branch .LBB119_2503
.LBB119_2488:
	s_mov_b32 s19, -1
	s_mov_b32 s18, 0
	s_mov_b32 s16, 0
                                        ; implicit-def: $vgpr26
	s_branch .LBB119_2498
.LBB119_2489:
	s_or_b32 s12, s12, exec_lo
	s_trap 2
	s_cbranch_execz .LBB119_2428
	s_branch .LBB119_2429
.LBB119_2490:
	s_mov_b32 s19, -1
	s_mov_b32 s18, 0
	s_mov_b32 s16, 0
	s_branch .LBB119_2492
.LBB119_2491:
	s_mov_b32 s16, -1
	s_mov_b32 s18, 0
.LBB119_2492:
                                        ; implicit-def: $vgpr26
.LBB119_2493:
	s_and_b32 vcc_lo, exec_lo, s19
	s_cbranch_vccz .LBB119_2497
; %bb.2494:
	s_cmp_eq_u32 s13, 44
	s_cbranch_scc0 .LBB119_2496
; %bb.2495:
	global_load_u8 v7, v[24:25], off
	s_mov_b32 s16, 0
	s_mov_b32 s18, -1
	s_wait_loadcnt 0x0
	v_lshlrev_b32_e32 v9, 23, v7
	v_cmp_ne_u32_e32 vcc_lo, 0, v7
	s_delay_alu instid0(VALU_DEP_2) | instskip(SKIP_1) | instid1(VALU_DEP_1)
	v_cvt_i32_f32_e32 v9, v9
	s_wait_xcnt 0x1
	v_cndmask_b32_e32 v26, 0, v9, vcc_lo
	s_branch .LBB119_2497
.LBB119_2496:
	s_mov_b32 s16, -1
                                        ; implicit-def: $vgpr26
.LBB119_2497:
	s_mov_b32 s19, 0
.LBB119_2498:
	s_delay_alu instid0(SALU_CYCLE_1)
	s_and_b32 vcc_lo, exec_lo, s19
	s_cbranch_vccz .LBB119_2502
; %bb.2499:
	s_cmp_eq_u32 s13, 29
	s_cbranch_scc0 .LBB119_2501
; %bb.2500:
	global_load_b32 v26, v[24:25], off
	s_mov_b32 s16, 0
	s_mov_b32 s18, -1
	s_branch .LBB119_2502
.LBB119_2501:
	s_mov_b32 s16, -1
                                        ; implicit-def: $vgpr26
.LBB119_2502:
	s_mov_b32 s19, 0
.LBB119_2503:
	s_delay_alu instid0(SALU_CYCLE_1)
	s_and_b32 vcc_lo, exec_lo, s19
	s_cbranch_vccz .LBB119_2519
; %bb.2504:
	s_cmp_lt_i32 s13, 27
	s_cbranch_scc1 .LBB119_2507
; %bb.2505:
	s_cmp_gt_i32 s13, 27
	s_cbranch_scc0 .LBB119_2508
; %bb.2506:
	s_wait_loadcnt 0x0
	global_load_b32 v26, v[24:25], off
	s_mov_b32 s18, 0
	s_branch .LBB119_2509
.LBB119_2507:
	s_mov_b32 s18, -1
                                        ; implicit-def: $vgpr26
	s_branch .LBB119_2512
.LBB119_2508:
	s_mov_b32 s18, -1
                                        ; implicit-def: $vgpr26
.LBB119_2509:
	s_delay_alu instid0(SALU_CYCLE_1)
	s_and_not1_b32 vcc_lo, exec_lo, s18
	s_cbranch_vccnz .LBB119_2511
; %bb.2510:
	s_wait_loadcnt 0x0
	global_load_u16 v26, v[24:25], off
.LBB119_2511:
	s_mov_b32 s18, 0
.LBB119_2512:
	s_delay_alu instid0(SALU_CYCLE_1)
	s_and_not1_b32 vcc_lo, exec_lo, s18
	s_cbranch_vccnz .LBB119_2518
; %bb.2513:
	global_load_u8 v7, v[24:25], off
	s_mov_b32 s19, 0
	s_mov_b32 s18, exec_lo
	s_wait_loadcnt 0x0
	v_cmpx_lt_i16_e32 0x7f, v7
	s_xor_b32 s18, exec_lo, s18
	s_cbranch_execz .LBB119_2530
; %bb.2514:
	v_cmp_ne_u16_e32 vcc_lo, 0x80, v7
	s_and_b32 s19, vcc_lo, exec_lo
	s_and_not1_saveexec_b32 s18, s18
	s_cbranch_execnz .LBB119_2531
.LBB119_2515:
	s_or_b32 exec_lo, exec_lo, s18
	v_mov_b32_e32 v26, 0
	s_and_saveexec_b32 s18, s19
	s_cbranch_execz .LBB119_2517
.LBB119_2516:
	v_and_b32_e32 v9, 0xffff, v7
	s_delay_alu instid0(VALU_DEP_1) | instskip(SKIP_1) | instid1(VALU_DEP_2)
	v_dual_lshlrev_b32 v7, 24, v7 :: v_dual_bitop2_b32 v11, 7, v9 bitop3:0x40
	v_bfe_u32 v17, v9, 3, 4
	v_and_b32_e32 v7, 0x80000000, v7
	s_delay_alu instid0(VALU_DEP_3) | instskip(NEXT) | instid1(VALU_DEP_3)
	v_clz_i32_u32_e32 v13, v11
	v_cmp_eq_u32_e32 vcc_lo, 0, v17
	s_delay_alu instid0(VALU_DEP_2) | instskip(NEXT) | instid1(VALU_DEP_1)
	v_min_u32_e32 v13, 32, v13
	v_subrev_nc_u32_e32 v15, 28, v13
	v_sub_nc_u32_e32 v13, 29, v13
	s_delay_alu instid0(VALU_DEP_2) | instskip(NEXT) | instid1(VALU_DEP_2)
	v_lshlrev_b32_e32 v9, v15, v9
	v_cndmask_b32_e32 v13, v17, v13, vcc_lo
	s_delay_alu instid0(VALU_DEP_2) | instskip(NEXT) | instid1(VALU_DEP_1)
	v_and_b32_e32 v9, 7, v9
	v_cndmask_b32_e32 v9, v11, v9, vcc_lo
	s_delay_alu instid0(VALU_DEP_3) | instskip(NEXT) | instid1(VALU_DEP_2)
	v_lshl_add_u32 v11, v13, 23, 0x3b800000
	v_lshlrev_b32_e32 v9, 20, v9
	s_delay_alu instid0(VALU_DEP_1) | instskip(NEXT) | instid1(VALU_DEP_1)
	v_or3_b32 v7, v7, v11, v9
	v_cvt_i32_f32_e32 v26, v7
.LBB119_2517:
	s_or_b32 exec_lo, exec_lo, s18
.LBB119_2518:
	s_mov_b32 s18, -1
.LBB119_2519:
	s_mov_b32 s19, 0
.LBB119_2520:
	s_delay_alu instid0(SALU_CYCLE_1)
	s_and_b32 vcc_lo, exec_lo, s19
	s_cbranch_vccz .LBB119_2551
; %bb.2521:
	s_cmp_gt_i32 s13, 22
	s_cbranch_scc0 .LBB119_2529
; %bb.2522:
	s_cmp_lt_i32 s13, 24
	s_cbranch_scc1 .LBB119_2532
; %bb.2523:
	s_cmp_gt_i32 s13, 24
	s_cbranch_scc0 .LBB119_2533
; %bb.2524:
	global_load_u8 v7, v[24:25], off
	s_mov_b32 s18, 0
	s_mov_b32 s17, exec_lo
	s_wait_loadcnt 0x0
	v_cmpx_lt_i16_e32 0x7f, v7
	s_xor_b32 s17, exec_lo, s17
	s_cbranch_execz .LBB119_2545
; %bb.2525:
	v_cmp_ne_u16_e32 vcc_lo, 0x80, v7
	s_and_b32 s18, vcc_lo, exec_lo
	s_and_not1_saveexec_b32 s17, s17
	s_cbranch_execnz .LBB119_2546
.LBB119_2526:
	s_or_b32 exec_lo, exec_lo, s17
	v_mov_b32_e32 v26, 0
	s_and_saveexec_b32 s17, s18
	s_cbranch_execz .LBB119_2528
.LBB119_2527:
	v_and_b32_e32 v9, 0xffff, v7
	s_delay_alu instid0(VALU_DEP_1) | instskip(SKIP_1) | instid1(VALU_DEP_2)
	v_dual_lshlrev_b32 v7, 24, v7 :: v_dual_bitop2_b32 v11, 3, v9 bitop3:0x40
	v_bfe_u32 v17, v9, 2, 5
	v_and_b32_e32 v7, 0x80000000, v7
	s_delay_alu instid0(VALU_DEP_3) | instskip(NEXT) | instid1(VALU_DEP_3)
	v_clz_i32_u32_e32 v13, v11
	v_cmp_eq_u32_e32 vcc_lo, 0, v17
	s_delay_alu instid0(VALU_DEP_2) | instskip(NEXT) | instid1(VALU_DEP_1)
	v_min_u32_e32 v13, 32, v13
	v_subrev_nc_u32_e32 v15, 29, v13
	v_sub_nc_u32_e32 v13, 30, v13
	s_delay_alu instid0(VALU_DEP_2) | instskip(NEXT) | instid1(VALU_DEP_2)
	v_lshlrev_b32_e32 v9, v15, v9
	v_cndmask_b32_e32 v13, v17, v13, vcc_lo
	s_delay_alu instid0(VALU_DEP_2) | instskip(NEXT) | instid1(VALU_DEP_1)
	v_and_b32_e32 v9, 3, v9
	v_cndmask_b32_e32 v9, v11, v9, vcc_lo
	s_delay_alu instid0(VALU_DEP_3) | instskip(NEXT) | instid1(VALU_DEP_2)
	v_lshl_add_u32 v11, v13, 23, 0x37800000
	v_lshlrev_b32_e32 v9, 21, v9
	s_delay_alu instid0(VALU_DEP_1) | instskip(NEXT) | instid1(VALU_DEP_1)
	v_or3_b32 v7, v7, v11, v9
	v_cvt_i32_f32_e32 v26, v7
.LBB119_2528:
	s_or_b32 exec_lo, exec_lo, s17
	s_mov_b32 s17, 0
	s_branch .LBB119_2534
.LBB119_2529:
	s_mov_b32 s17, -1
                                        ; implicit-def: $vgpr26
	s_branch .LBB119_2540
.LBB119_2530:
	s_and_not1_saveexec_b32 s18, s18
	s_cbranch_execz .LBB119_2515
.LBB119_2531:
	v_cmp_ne_u16_e32 vcc_lo, 0, v7
	s_and_not1_b32 s19, s19, exec_lo
	s_and_b32 s20, vcc_lo, exec_lo
	s_delay_alu instid0(SALU_CYCLE_1)
	s_or_b32 s19, s19, s20
	s_or_b32 exec_lo, exec_lo, s18
	v_mov_b32_e32 v26, 0
	s_and_saveexec_b32 s18, s19
	s_cbranch_execnz .LBB119_2516
	s_branch .LBB119_2517
.LBB119_2532:
	s_mov_b32 s17, -1
                                        ; implicit-def: $vgpr26
	s_branch .LBB119_2537
.LBB119_2533:
	s_mov_b32 s17, -1
                                        ; implicit-def: $vgpr26
.LBB119_2534:
	s_delay_alu instid0(SALU_CYCLE_1)
	s_and_b32 vcc_lo, exec_lo, s17
	s_cbranch_vccz .LBB119_2536
; %bb.2535:
	global_load_u8 v7, v[24:25], off
	s_wait_loadcnt 0x0
	v_lshlrev_b32_e32 v7, 24, v7
	s_delay_alu instid0(VALU_DEP_1) | instskip(NEXT) | instid1(VALU_DEP_1)
	v_and_b32_e32 v9, 0x7f000000, v7
	v_clz_i32_u32_e32 v11, v9
	v_add_nc_u32_e32 v15, 0x1000000, v9
	v_cmp_ne_u32_e32 vcc_lo, 0, v9
	s_delay_alu instid0(VALU_DEP_3) | instskip(NEXT) | instid1(VALU_DEP_1)
	v_min_u32_e32 v11, 32, v11
	v_sub_nc_u32_e64 v11, v11, 4 clamp
	s_delay_alu instid0(VALU_DEP_1) | instskip(NEXT) | instid1(VALU_DEP_1)
	v_dual_lshlrev_b32 v13, v11, v9 :: v_dual_lshlrev_b32 v11, 23, v11
	v_lshrrev_b32_e32 v13, 4, v13
	s_delay_alu instid0(VALU_DEP_1) | instskip(SKIP_1) | instid1(VALU_DEP_2)
	v_sub_nc_u32_e32 v11, v13, v11
	v_ashrrev_i32_e32 v13, 8, v15
	v_add_nc_u32_e32 v11, 0x3c000000, v11
	s_delay_alu instid0(VALU_DEP_1) | instskip(NEXT) | instid1(VALU_DEP_1)
	v_and_or_b32 v11, 0x7f800000, v13, v11
	v_cndmask_b32_e32 v9, 0, v11, vcc_lo
	s_delay_alu instid0(VALU_DEP_1) | instskip(SKIP_1) | instid1(VALU_DEP_1)
	v_and_or_b32 v7, 0x80000000, v7, v9
	s_wait_xcnt 0x1
	v_cvt_i32_f32_e32 v26, v7
.LBB119_2536:
	s_mov_b32 s17, 0
.LBB119_2537:
	s_delay_alu instid0(SALU_CYCLE_1)
	s_and_not1_b32 vcc_lo, exec_lo, s17
	s_cbranch_vccnz .LBB119_2539
; %bb.2538:
	global_load_u8 v7, v[24:25], off
	s_wait_loadcnt 0x0
	v_lshlrev_b32_e32 v9, 25, v7
	v_lshlrev_b16 v7, 8, v7
	s_delay_alu instid0(VALU_DEP_1) | instskip(SKIP_1) | instid1(VALU_DEP_2)
	v_and_or_b32 v13, 0x7f00, v7, 0.5
	v_bfe_i32 v7, v7, 0, 16
	v_add_f32_e32 v13, -0.5, v13
	v_lshrrev_b32_e32 v11, 4, v9
	v_cmp_gt_u32_e32 vcc_lo, 0x8000000, v9
	s_delay_alu instid0(VALU_DEP_2) | instskip(NEXT) | instid1(VALU_DEP_1)
	v_or_b32_e32 v11, 0x70000000, v11
	v_mul_f32_e32 v11, 0x7800000, v11
	s_delay_alu instid0(VALU_DEP_1) | instskip(NEXT) | instid1(VALU_DEP_1)
	v_cndmask_b32_e32 v9, v11, v13, vcc_lo
	v_and_or_b32 v7, 0x80000000, v7, v9
	s_wait_xcnt 0x1
	s_delay_alu instid0(VALU_DEP_1)
	v_cvt_i32_f32_e32 v26, v7
.LBB119_2539:
	s_mov_b32 s17, 0
	s_mov_b32 s18, -1
.LBB119_2540:
	s_and_not1_b32 vcc_lo, exec_lo, s17
	s_mov_b32 s17, 0
	s_cbranch_vccnz .LBB119_2551
; %bb.2541:
	s_cmp_gt_i32 s13, 14
	s_cbranch_scc0 .LBB119_2544
; %bb.2542:
	s_cmp_eq_u32 s13, 15
	s_cbranch_scc0 .LBB119_2547
; %bb.2543:
	global_load_u16 v7, v[24:25], off
	s_mov_b32 s16, 0
	s_mov_b32 s18, -1
	s_wait_loadcnt 0x0
	v_lshlrev_b32_e32 v7, 16, v7
	s_wait_xcnt 0x1
	s_delay_alu instid0(VALU_DEP_1)
	v_cvt_i32_f32_e32 v26, v7
	s_branch .LBB119_2549
.LBB119_2544:
	s_mov_b32 s17, -1
	s_branch .LBB119_2548
.LBB119_2545:
	s_and_not1_saveexec_b32 s17, s17
	s_cbranch_execz .LBB119_2526
.LBB119_2546:
	v_cmp_ne_u16_e32 vcc_lo, 0, v7
	s_and_not1_b32 s18, s18, exec_lo
	s_and_b32 s19, vcc_lo, exec_lo
	s_delay_alu instid0(SALU_CYCLE_1)
	s_or_b32 s18, s18, s19
	s_or_b32 exec_lo, exec_lo, s17
	v_mov_b32_e32 v26, 0
	s_and_saveexec_b32 s17, s18
	s_cbranch_execnz .LBB119_2527
	s_branch .LBB119_2528
.LBB119_2547:
	s_mov_b32 s16, -1
.LBB119_2548:
                                        ; implicit-def: $vgpr26
.LBB119_2549:
	s_and_b32 vcc_lo, exec_lo, s17
	s_mov_b32 s17, 0
	s_cbranch_vccz .LBB119_2551
; %bb.2550:
	s_cmp_lg_u32 s13, 11
	s_mov_b32 s17, -1
	s_cselect_b32 s16, -1, 0
.LBB119_2551:
	s_delay_alu instid0(SALU_CYCLE_1)
	s_and_b32 vcc_lo, exec_lo, s16
	s_cbranch_vccnz .LBB119_2616
; %bb.2552:
	s_and_not1_b32 vcc_lo, exec_lo, s17
	s_cbranch_vccnz .LBB119_2554
.LBB119_2553:
	global_load_u8 v7, v[24:25], off
	s_mov_b32 s18, -1
	s_wait_loadcnt 0x0
	v_cmp_ne_u16_e32 vcc_lo, 0, v7
	s_wait_xcnt 0x1
	v_cndmask_b32_e64 v26, 0, 1, vcc_lo
.LBB119_2554:
	s_mov_b32 s16, 0
.LBB119_2555:
	s_delay_alu instid0(SALU_CYCLE_1)
	s_and_b32 vcc_lo, exec_lo, s16
	s_cbranch_vccz .LBB119_2604
; %bb.2556:
	s_cmp_lt_i32 s13, 5
	s_cbranch_scc1 .LBB119_2561
; %bb.2557:
	s_cmp_lt_i32 s13, 8
	s_cbranch_scc1 .LBB119_2562
; %bb.2558:
	s_cmp_lt_i32 s13, 9
	s_cbranch_scc1 .LBB119_2563
; %bb.2559:
	s_cmp_gt_i32 s13, 9
	s_cbranch_scc0 .LBB119_2564
; %bb.2560:
	s_wait_loadcnt 0x0
	global_load_b64 v[26:27], v[24:25], off
	s_mov_b32 s16, 0
	s_wait_loadcnt 0x0
	v_cvt_i32_f64_e32 v26, v[26:27]
	s_branch .LBB119_2565
.LBB119_2561:
	s_mov_b32 s16, -1
                                        ; implicit-def: $vgpr26
	s_branch .LBB119_2583
.LBB119_2562:
	s_mov_b32 s16, -1
                                        ; implicit-def: $vgpr26
	s_branch .LBB119_2571
.LBB119_2563:
	s_mov_b32 s16, -1
                                        ; implicit-def: $vgpr26
	s_branch .LBB119_2568
.LBB119_2564:
	s_mov_b32 s16, -1
                                        ; implicit-def: $vgpr26
.LBB119_2565:
	s_delay_alu instid0(SALU_CYCLE_1)
	s_and_not1_b32 vcc_lo, exec_lo, s16
	s_cbranch_vccnz .LBB119_2567
; %bb.2566:
	global_load_b32 v7, v[24:25], off
	s_wait_loadcnt 0x0
	s_wait_xcnt 0x1
	v_cvt_i32_f32_e32 v26, v7
.LBB119_2567:
	s_mov_b32 s16, 0
.LBB119_2568:
	s_delay_alu instid0(SALU_CYCLE_1)
	s_and_not1_b32 vcc_lo, exec_lo, s16
	s_cbranch_vccnz .LBB119_2570
; %bb.2569:
	global_load_b32 v7, v[24:25], off
	s_wait_loadcnt 0x0
	v_cvt_f32_f16_e32 v7, v7
	s_wait_xcnt 0x1
	s_delay_alu instid0(VALU_DEP_1)
	v_cvt_i32_f32_e32 v26, v7
.LBB119_2570:
	s_mov_b32 s16, 0
.LBB119_2571:
	s_delay_alu instid0(SALU_CYCLE_1)
	s_and_not1_b32 vcc_lo, exec_lo, s16
	s_cbranch_vccnz .LBB119_2582
; %bb.2572:
	s_cmp_lt_i32 s13, 6
	s_cbranch_scc1 .LBB119_2575
; %bb.2573:
	s_cmp_gt_i32 s13, 6
	s_cbranch_scc0 .LBB119_2576
; %bb.2574:
	s_wait_loadcnt 0x0
	global_load_b64 v[26:27], v[24:25], off
	s_mov_b32 s16, 0
	s_wait_loadcnt 0x0
	v_cvt_i32_f64_e32 v26, v[26:27]
	s_branch .LBB119_2577
.LBB119_2575:
	s_mov_b32 s16, -1
                                        ; implicit-def: $vgpr26
	s_branch .LBB119_2580
.LBB119_2576:
	s_mov_b32 s16, -1
                                        ; implicit-def: $vgpr26
.LBB119_2577:
	s_delay_alu instid0(SALU_CYCLE_1)
	s_and_not1_b32 vcc_lo, exec_lo, s16
	s_cbranch_vccnz .LBB119_2579
; %bb.2578:
	global_load_b32 v7, v[24:25], off
	s_wait_loadcnt 0x0
	s_wait_xcnt 0x1
	v_cvt_i32_f32_e32 v26, v7
.LBB119_2579:
	s_mov_b32 s16, 0
.LBB119_2580:
	s_delay_alu instid0(SALU_CYCLE_1)
	s_and_not1_b32 vcc_lo, exec_lo, s16
	s_cbranch_vccnz .LBB119_2582
; %bb.2581:
	global_load_u16 v7, v[24:25], off
	s_wait_loadcnt 0x0
	v_cvt_f32_f16_e32 v7, v7
	s_wait_xcnt 0x1
	s_delay_alu instid0(VALU_DEP_1)
	v_cvt_i32_f32_e32 v26, v7
.LBB119_2582:
	s_mov_b32 s16, 0
.LBB119_2583:
	s_delay_alu instid0(SALU_CYCLE_1)
	s_and_not1_b32 vcc_lo, exec_lo, s16
	s_cbranch_vccnz .LBB119_2603
; %bb.2584:
	s_cmp_lt_i32 s13, 2
	s_cbranch_scc1 .LBB119_2588
; %bb.2585:
	s_cmp_lt_i32 s13, 3
	s_cbranch_scc1 .LBB119_2589
; %bb.2586:
	s_cmp_gt_i32 s13, 3
	s_cbranch_scc0 .LBB119_2590
; %bb.2587:
	s_wait_loadcnt 0x0
	global_load_b32 v26, v[24:25], off
	s_mov_b32 s16, 0
	s_branch .LBB119_2591
.LBB119_2588:
	s_mov_b32 s16, -1
                                        ; implicit-def: $vgpr26
	s_branch .LBB119_2597
.LBB119_2589:
	s_mov_b32 s16, -1
                                        ; implicit-def: $vgpr26
	s_branch .LBB119_2594
.LBB119_2590:
	s_mov_b32 s16, -1
                                        ; implicit-def: $vgpr26
.LBB119_2591:
	s_delay_alu instid0(SALU_CYCLE_1)
	s_and_not1_b32 vcc_lo, exec_lo, s16
	s_cbranch_vccnz .LBB119_2593
; %bb.2592:
	s_wait_loadcnt 0x0
	global_load_b32 v26, v[24:25], off
.LBB119_2593:
	s_mov_b32 s16, 0
.LBB119_2594:
	s_delay_alu instid0(SALU_CYCLE_1)
	s_and_not1_b32 vcc_lo, exec_lo, s16
	s_cbranch_vccnz .LBB119_2596
; %bb.2595:
	s_wait_loadcnt 0x0
	global_load_i16 v26, v[24:25], off
.LBB119_2596:
	s_mov_b32 s16, 0
.LBB119_2597:
	s_delay_alu instid0(SALU_CYCLE_1)
	s_and_not1_b32 vcc_lo, exec_lo, s16
	s_cbranch_vccnz .LBB119_2603
; %bb.2598:
	s_cmp_gt_i32 s13, 0
	s_mov_b32 s16, 0
	s_cbranch_scc0 .LBB119_2600
; %bb.2599:
	s_wait_loadcnt 0x0
	global_load_i8 v26, v[24:25], off
	s_branch .LBB119_2601
.LBB119_2600:
	s_mov_b32 s16, -1
                                        ; implicit-def: $vgpr26
.LBB119_2601:
	s_delay_alu instid0(SALU_CYCLE_1)
	s_and_not1_b32 vcc_lo, exec_lo, s16
	s_cbranch_vccnz .LBB119_2603
; %bb.2602:
	s_wait_loadcnt 0x0
	global_load_u8 v26, v[24:25], off
.LBB119_2603:
	s_mov_b32 s18, -1
.LBB119_2604:
	s_delay_alu instid0(SALU_CYCLE_1)
	s_and_not1_b32 vcc_lo, exec_lo, s18
	s_cbranch_vccnz .LBB119_4058
; %bb.2605:
	v_mov_b32_e32 v23, 0
	s_and_b32 s14, 0xffff, s14
	s_delay_alu instid0(SALU_CYCLE_1) | instskip(NEXT) | instid1(VALU_DEP_1)
	s_cmp_lt_i32 s14, 11
	v_add_nc_u64_e32 v[22:23], s[0:1], v[22:23]
	s_cbranch_scc1 .LBB119_2612
; %bb.2606:
	s_cmp_gt_i32 s14, 25
	s_mov_b32 s17, 0
	s_cbranch_scc0 .LBB119_2613
; %bb.2607:
	s_cmp_gt_i32 s14, 28
	s_cbranch_scc0 .LBB119_2614
; %bb.2608:
	s_cmp_gt_i32 s14, 43
	;; [unrolled: 3-line block ×3, first 2 shown]
	s_cbranch_scc0 .LBB119_2617
; %bb.2610:
	s_cmp_eq_u32 s14, 46
	s_mov_b32 s19, 0
	s_cbranch_scc0 .LBB119_2618
; %bb.2611:
	global_load_b32 v7, v[22:23], off
	s_mov_b32 s16, 0
	s_mov_b32 s18, -1
	s_wait_loadcnt 0x0
	v_lshlrev_b32_e32 v7, 16, v7
	s_wait_xcnt 0x1
	s_delay_alu instid0(VALU_DEP_1)
	v_cvt_i32_f32_e32 v24, v7
	s_branch .LBB119_2620
.LBB119_2612:
	s_mov_b32 s16, -1
	s_mov_b32 s18, 0
                                        ; implicit-def: $vgpr24
	s_branch .LBB119_2682
.LBB119_2613:
	s_mov_b32 s19, -1
	s_mov_b32 s18, 0
	s_mov_b32 s16, 0
                                        ; implicit-def: $vgpr24
	s_branch .LBB119_2647
.LBB119_2614:
	s_mov_b32 s19, -1
	s_mov_b32 s18, 0
	s_mov_b32 s16, 0
                                        ; implicit-def: $vgpr24
	s_branch .LBB119_2630
.LBB119_2615:
	s_mov_b32 s19, -1
	s_mov_b32 s18, 0
	s_mov_b32 s16, 0
                                        ; implicit-def: $vgpr24
	s_branch .LBB119_2625
.LBB119_2616:
	s_or_b32 s12, s12, exec_lo
	s_trap 2
	s_cbranch_execz .LBB119_2553
	s_branch .LBB119_2554
.LBB119_2617:
	s_mov_b32 s19, -1
	s_mov_b32 s18, 0
	s_mov_b32 s16, 0
	s_branch .LBB119_2619
.LBB119_2618:
	s_mov_b32 s16, -1
	s_mov_b32 s18, 0
.LBB119_2619:
                                        ; implicit-def: $vgpr24
.LBB119_2620:
	s_and_b32 vcc_lo, exec_lo, s19
	s_cbranch_vccz .LBB119_2624
; %bb.2621:
	s_cmp_eq_u32 s14, 44
	s_cbranch_scc0 .LBB119_2623
; %bb.2622:
	global_load_u8 v7, v[22:23], off
	s_mov_b32 s16, 0
	s_mov_b32 s18, -1
	s_wait_loadcnt 0x0
	v_lshlrev_b32_e32 v9, 23, v7
	v_cmp_ne_u32_e32 vcc_lo, 0, v7
	s_delay_alu instid0(VALU_DEP_2) | instskip(SKIP_1) | instid1(VALU_DEP_1)
	v_cvt_i32_f32_e32 v9, v9
	s_wait_xcnt 0x1
	v_cndmask_b32_e32 v24, 0, v9, vcc_lo
	s_branch .LBB119_2624
.LBB119_2623:
	s_mov_b32 s16, -1
                                        ; implicit-def: $vgpr24
.LBB119_2624:
	s_mov_b32 s19, 0
.LBB119_2625:
	s_delay_alu instid0(SALU_CYCLE_1)
	s_and_b32 vcc_lo, exec_lo, s19
	s_cbranch_vccz .LBB119_2629
; %bb.2626:
	s_cmp_eq_u32 s14, 29
	s_cbranch_scc0 .LBB119_2628
; %bb.2627:
	global_load_b32 v24, v[22:23], off
	s_mov_b32 s16, 0
	s_mov_b32 s18, -1
	s_branch .LBB119_2629
.LBB119_2628:
	s_mov_b32 s16, -1
                                        ; implicit-def: $vgpr24
.LBB119_2629:
	s_mov_b32 s19, 0
.LBB119_2630:
	s_delay_alu instid0(SALU_CYCLE_1)
	s_and_b32 vcc_lo, exec_lo, s19
	s_cbranch_vccz .LBB119_2646
; %bb.2631:
	s_cmp_lt_i32 s14, 27
	s_cbranch_scc1 .LBB119_2634
; %bb.2632:
	s_cmp_gt_i32 s14, 27
	s_cbranch_scc0 .LBB119_2635
; %bb.2633:
	s_wait_loadcnt 0x0
	global_load_b32 v24, v[22:23], off
	s_mov_b32 s18, 0
	s_branch .LBB119_2636
.LBB119_2634:
	s_mov_b32 s18, -1
                                        ; implicit-def: $vgpr24
	s_branch .LBB119_2639
.LBB119_2635:
	s_mov_b32 s18, -1
                                        ; implicit-def: $vgpr24
.LBB119_2636:
	s_delay_alu instid0(SALU_CYCLE_1)
	s_and_not1_b32 vcc_lo, exec_lo, s18
	s_cbranch_vccnz .LBB119_2638
; %bb.2637:
	s_wait_loadcnt 0x0
	global_load_u16 v24, v[22:23], off
.LBB119_2638:
	s_mov_b32 s18, 0
.LBB119_2639:
	s_delay_alu instid0(SALU_CYCLE_1)
	s_and_not1_b32 vcc_lo, exec_lo, s18
	s_cbranch_vccnz .LBB119_2645
; %bb.2640:
	global_load_u8 v7, v[22:23], off
	s_mov_b32 s19, 0
	s_mov_b32 s18, exec_lo
	s_wait_loadcnt 0x0
	v_cmpx_lt_i16_e32 0x7f, v7
	s_xor_b32 s18, exec_lo, s18
	s_cbranch_execz .LBB119_2657
; %bb.2641:
	v_cmp_ne_u16_e32 vcc_lo, 0x80, v7
	s_and_b32 s19, vcc_lo, exec_lo
	s_and_not1_saveexec_b32 s18, s18
	s_cbranch_execnz .LBB119_2658
.LBB119_2642:
	s_or_b32 exec_lo, exec_lo, s18
	v_mov_b32_e32 v24, 0
	s_and_saveexec_b32 s18, s19
	s_cbranch_execz .LBB119_2644
.LBB119_2643:
	v_and_b32_e32 v9, 0xffff, v7
	s_delay_alu instid0(VALU_DEP_1) | instskip(SKIP_1) | instid1(VALU_DEP_2)
	v_dual_lshlrev_b32 v7, 24, v7 :: v_dual_bitop2_b32 v11, 7, v9 bitop3:0x40
	v_bfe_u32 v17, v9, 3, 4
	v_and_b32_e32 v7, 0x80000000, v7
	s_delay_alu instid0(VALU_DEP_3) | instskip(NEXT) | instid1(VALU_DEP_3)
	v_clz_i32_u32_e32 v13, v11
	v_cmp_eq_u32_e32 vcc_lo, 0, v17
	s_delay_alu instid0(VALU_DEP_2) | instskip(NEXT) | instid1(VALU_DEP_1)
	v_min_u32_e32 v13, 32, v13
	v_subrev_nc_u32_e32 v15, 28, v13
	v_sub_nc_u32_e32 v13, 29, v13
	s_delay_alu instid0(VALU_DEP_2) | instskip(NEXT) | instid1(VALU_DEP_2)
	v_lshlrev_b32_e32 v9, v15, v9
	v_cndmask_b32_e32 v13, v17, v13, vcc_lo
	s_delay_alu instid0(VALU_DEP_2) | instskip(NEXT) | instid1(VALU_DEP_1)
	v_and_b32_e32 v9, 7, v9
	v_cndmask_b32_e32 v9, v11, v9, vcc_lo
	s_delay_alu instid0(VALU_DEP_3) | instskip(NEXT) | instid1(VALU_DEP_2)
	v_lshl_add_u32 v11, v13, 23, 0x3b800000
	v_lshlrev_b32_e32 v9, 20, v9
	s_delay_alu instid0(VALU_DEP_1) | instskip(NEXT) | instid1(VALU_DEP_1)
	v_or3_b32 v7, v7, v11, v9
	v_cvt_i32_f32_e32 v24, v7
.LBB119_2644:
	s_or_b32 exec_lo, exec_lo, s18
.LBB119_2645:
	s_mov_b32 s18, -1
.LBB119_2646:
	s_mov_b32 s19, 0
.LBB119_2647:
	s_delay_alu instid0(SALU_CYCLE_1)
	s_and_b32 vcc_lo, exec_lo, s19
	s_cbranch_vccz .LBB119_2678
; %bb.2648:
	s_cmp_gt_i32 s14, 22
	s_cbranch_scc0 .LBB119_2656
; %bb.2649:
	s_cmp_lt_i32 s14, 24
	s_cbranch_scc1 .LBB119_2659
; %bb.2650:
	s_cmp_gt_i32 s14, 24
	s_cbranch_scc0 .LBB119_2660
; %bb.2651:
	global_load_u8 v7, v[22:23], off
	s_mov_b32 s18, 0
	s_mov_b32 s17, exec_lo
	s_wait_loadcnt 0x0
	v_cmpx_lt_i16_e32 0x7f, v7
	s_xor_b32 s17, exec_lo, s17
	s_cbranch_execz .LBB119_2672
; %bb.2652:
	v_cmp_ne_u16_e32 vcc_lo, 0x80, v7
	s_and_b32 s18, vcc_lo, exec_lo
	s_and_not1_saveexec_b32 s17, s17
	s_cbranch_execnz .LBB119_2673
.LBB119_2653:
	s_or_b32 exec_lo, exec_lo, s17
	v_mov_b32_e32 v24, 0
	s_and_saveexec_b32 s17, s18
	s_cbranch_execz .LBB119_2655
.LBB119_2654:
	v_and_b32_e32 v9, 0xffff, v7
	s_delay_alu instid0(VALU_DEP_1) | instskip(SKIP_1) | instid1(VALU_DEP_2)
	v_dual_lshlrev_b32 v7, 24, v7 :: v_dual_bitop2_b32 v11, 3, v9 bitop3:0x40
	v_bfe_u32 v17, v9, 2, 5
	v_and_b32_e32 v7, 0x80000000, v7
	s_delay_alu instid0(VALU_DEP_3) | instskip(NEXT) | instid1(VALU_DEP_3)
	v_clz_i32_u32_e32 v13, v11
	v_cmp_eq_u32_e32 vcc_lo, 0, v17
	s_delay_alu instid0(VALU_DEP_2) | instskip(NEXT) | instid1(VALU_DEP_1)
	v_min_u32_e32 v13, 32, v13
	v_subrev_nc_u32_e32 v15, 29, v13
	v_sub_nc_u32_e32 v13, 30, v13
	s_delay_alu instid0(VALU_DEP_2) | instskip(NEXT) | instid1(VALU_DEP_2)
	v_lshlrev_b32_e32 v9, v15, v9
	v_cndmask_b32_e32 v13, v17, v13, vcc_lo
	s_delay_alu instid0(VALU_DEP_2) | instskip(NEXT) | instid1(VALU_DEP_1)
	v_and_b32_e32 v9, 3, v9
	v_cndmask_b32_e32 v9, v11, v9, vcc_lo
	s_delay_alu instid0(VALU_DEP_3) | instskip(NEXT) | instid1(VALU_DEP_2)
	v_lshl_add_u32 v11, v13, 23, 0x37800000
	v_lshlrev_b32_e32 v9, 21, v9
	s_delay_alu instid0(VALU_DEP_1) | instskip(NEXT) | instid1(VALU_DEP_1)
	v_or3_b32 v7, v7, v11, v9
	v_cvt_i32_f32_e32 v24, v7
.LBB119_2655:
	s_or_b32 exec_lo, exec_lo, s17
	s_mov_b32 s17, 0
	s_branch .LBB119_2661
.LBB119_2656:
	s_mov_b32 s17, -1
                                        ; implicit-def: $vgpr24
	s_branch .LBB119_2667
.LBB119_2657:
	s_and_not1_saveexec_b32 s18, s18
	s_cbranch_execz .LBB119_2642
.LBB119_2658:
	v_cmp_ne_u16_e32 vcc_lo, 0, v7
	s_and_not1_b32 s19, s19, exec_lo
	s_and_b32 s20, vcc_lo, exec_lo
	s_delay_alu instid0(SALU_CYCLE_1)
	s_or_b32 s19, s19, s20
	s_or_b32 exec_lo, exec_lo, s18
	v_mov_b32_e32 v24, 0
	s_and_saveexec_b32 s18, s19
	s_cbranch_execnz .LBB119_2643
	s_branch .LBB119_2644
.LBB119_2659:
	s_mov_b32 s17, -1
                                        ; implicit-def: $vgpr24
	s_branch .LBB119_2664
.LBB119_2660:
	s_mov_b32 s17, -1
                                        ; implicit-def: $vgpr24
.LBB119_2661:
	s_delay_alu instid0(SALU_CYCLE_1)
	s_and_b32 vcc_lo, exec_lo, s17
	s_cbranch_vccz .LBB119_2663
; %bb.2662:
	global_load_u8 v7, v[22:23], off
	s_wait_loadcnt 0x0
	v_lshlrev_b32_e32 v7, 24, v7
	s_delay_alu instid0(VALU_DEP_1) | instskip(NEXT) | instid1(VALU_DEP_1)
	v_and_b32_e32 v9, 0x7f000000, v7
	v_clz_i32_u32_e32 v11, v9
	v_add_nc_u32_e32 v15, 0x1000000, v9
	v_cmp_ne_u32_e32 vcc_lo, 0, v9
	s_delay_alu instid0(VALU_DEP_3) | instskip(NEXT) | instid1(VALU_DEP_1)
	v_min_u32_e32 v11, 32, v11
	v_sub_nc_u32_e64 v11, v11, 4 clamp
	s_delay_alu instid0(VALU_DEP_1) | instskip(NEXT) | instid1(VALU_DEP_1)
	v_dual_lshlrev_b32 v13, v11, v9 :: v_dual_lshlrev_b32 v11, 23, v11
	v_lshrrev_b32_e32 v13, 4, v13
	s_delay_alu instid0(VALU_DEP_1) | instskip(SKIP_1) | instid1(VALU_DEP_2)
	v_sub_nc_u32_e32 v11, v13, v11
	v_ashrrev_i32_e32 v13, 8, v15
	v_add_nc_u32_e32 v11, 0x3c000000, v11
	s_delay_alu instid0(VALU_DEP_1) | instskip(NEXT) | instid1(VALU_DEP_1)
	v_and_or_b32 v11, 0x7f800000, v13, v11
	v_cndmask_b32_e32 v9, 0, v11, vcc_lo
	s_delay_alu instid0(VALU_DEP_1) | instskip(SKIP_1) | instid1(VALU_DEP_1)
	v_and_or_b32 v7, 0x80000000, v7, v9
	s_wait_xcnt 0x1
	v_cvt_i32_f32_e32 v24, v7
.LBB119_2663:
	s_mov_b32 s17, 0
.LBB119_2664:
	s_delay_alu instid0(SALU_CYCLE_1)
	s_and_not1_b32 vcc_lo, exec_lo, s17
	s_cbranch_vccnz .LBB119_2666
; %bb.2665:
	global_load_u8 v7, v[22:23], off
	s_wait_loadcnt 0x0
	v_lshlrev_b32_e32 v9, 25, v7
	v_lshlrev_b16 v7, 8, v7
	s_delay_alu instid0(VALU_DEP_1) | instskip(SKIP_1) | instid1(VALU_DEP_2)
	v_and_or_b32 v13, 0x7f00, v7, 0.5
	v_bfe_i32 v7, v7, 0, 16
	v_add_f32_e32 v13, -0.5, v13
	v_lshrrev_b32_e32 v11, 4, v9
	v_cmp_gt_u32_e32 vcc_lo, 0x8000000, v9
	s_delay_alu instid0(VALU_DEP_2) | instskip(NEXT) | instid1(VALU_DEP_1)
	v_or_b32_e32 v11, 0x70000000, v11
	v_mul_f32_e32 v11, 0x7800000, v11
	s_delay_alu instid0(VALU_DEP_1) | instskip(NEXT) | instid1(VALU_DEP_1)
	v_cndmask_b32_e32 v9, v11, v13, vcc_lo
	v_and_or_b32 v7, 0x80000000, v7, v9
	s_wait_xcnt 0x1
	s_delay_alu instid0(VALU_DEP_1)
	v_cvt_i32_f32_e32 v24, v7
.LBB119_2666:
	s_mov_b32 s17, 0
	s_mov_b32 s18, -1
.LBB119_2667:
	s_and_not1_b32 vcc_lo, exec_lo, s17
	s_mov_b32 s17, 0
	s_cbranch_vccnz .LBB119_2678
; %bb.2668:
	s_cmp_gt_i32 s14, 14
	s_cbranch_scc0 .LBB119_2671
; %bb.2669:
	s_cmp_eq_u32 s14, 15
	s_cbranch_scc0 .LBB119_2674
; %bb.2670:
	global_load_u16 v7, v[22:23], off
	s_mov_b32 s16, 0
	s_mov_b32 s18, -1
	s_wait_loadcnt 0x0
	v_lshlrev_b32_e32 v7, 16, v7
	s_wait_xcnt 0x1
	s_delay_alu instid0(VALU_DEP_1)
	v_cvt_i32_f32_e32 v24, v7
	s_branch .LBB119_2676
.LBB119_2671:
	s_mov_b32 s17, -1
	s_branch .LBB119_2675
.LBB119_2672:
	s_and_not1_saveexec_b32 s17, s17
	s_cbranch_execz .LBB119_2653
.LBB119_2673:
	v_cmp_ne_u16_e32 vcc_lo, 0, v7
	s_and_not1_b32 s18, s18, exec_lo
	s_and_b32 s19, vcc_lo, exec_lo
	s_delay_alu instid0(SALU_CYCLE_1)
	s_or_b32 s18, s18, s19
	s_or_b32 exec_lo, exec_lo, s17
	v_mov_b32_e32 v24, 0
	s_and_saveexec_b32 s17, s18
	s_cbranch_execnz .LBB119_2654
	s_branch .LBB119_2655
.LBB119_2674:
	s_mov_b32 s16, -1
.LBB119_2675:
                                        ; implicit-def: $vgpr24
.LBB119_2676:
	s_and_b32 vcc_lo, exec_lo, s17
	s_mov_b32 s17, 0
	s_cbranch_vccz .LBB119_2678
; %bb.2677:
	s_cmp_lg_u32 s14, 11
	s_mov_b32 s17, -1
	s_cselect_b32 s16, -1, 0
.LBB119_2678:
	s_delay_alu instid0(SALU_CYCLE_1)
	s_and_b32 vcc_lo, exec_lo, s16
	s_cbranch_vccnz .LBB119_2743
; %bb.2679:
	s_and_not1_b32 vcc_lo, exec_lo, s17
	s_cbranch_vccnz .LBB119_2681
.LBB119_2680:
	global_load_u8 v7, v[22:23], off
	s_mov_b32 s18, -1
	s_wait_loadcnt 0x0
	v_cmp_ne_u16_e32 vcc_lo, 0, v7
	s_wait_xcnt 0x1
	v_cndmask_b32_e64 v24, 0, 1, vcc_lo
.LBB119_2681:
	s_mov_b32 s16, 0
.LBB119_2682:
	s_delay_alu instid0(SALU_CYCLE_1)
	s_and_b32 vcc_lo, exec_lo, s16
	s_cbranch_vccz .LBB119_2731
; %bb.2683:
	s_cmp_lt_i32 s14, 5
	s_cbranch_scc1 .LBB119_2688
; %bb.2684:
	s_cmp_lt_i32 s14, 8
	s_cbranch_scc1 .LBB119_2689
	;; [unrolled: 3-line block ×3, first 2 shown]
; %bb.2686:
	s_cmp_gt_i32 s14, 9
	s_cbranch_scc0 .LBB119_2691
; %bb.2687:
	s_wait_loadcnt 0x0
	global_load_b64 v[24:25], v[22:23], off
	s_mov_b32 s16, 0
	s_wait_loadcnt 0x0
	v_cvt_i32_f64_e32 v24, v[24:25]
	s_branch .LBB119_2692
.LBB119_2688:
	s_mov_b32 s16, -1
                                        ; implicit-def: $vgpr24
	s_branch .LBB119_2710
.LBB119_2689:
	s_mov_b32 s16, -1
                                        ; implicit-def: $vgpr24
	s_branch .LBB119_2698
.LBB119_2690:
	s_mov_b32 s16, -1
                                        ; implicit-def: $vgpr24
	s_branch .LBB119_2695
.LBB119_2691:
	s_mov_b32 s16, -1
                                        ; implicit-def: $vgpr24
.LBB119_2692:
	s_delay_alu instid0(SALU_CYCLE_1)
	s_and_not1_b32 vcc_lo, exec_lo, s16
	s_cbranch_vccnz .LBB119_2694
; %bb.2693:
	global_load_b32 v7, v[22:23], off
	s_wait_loadcnt 0x0
	s_wait_xcnt 0x1
	v_cvt_i32_f32_e32 v24, v7
.LBB119_2694:
	s_mov_b32 s16, 0
.LBB119_2695:
	s_delay_alu instid0(SALU_CYCLE_1)
	s_and_not1_b32 vcc_lo, exec_lo, s16
	s_cbranch_vccnz .LBB119_2697
; %bb.2696:
	global_load_b32 v7, v[22:23], off
	s_wait_loadcnt 0x0
	v_cvt_f32_f16_e32 v7, v7
	s_wait_xcnt 0x1
	s_delay_alu instid0(VALU_DEP_1)
	v_cvt_i32_f32_e32 v24, v7
.LBB119_2697:
	s_mov_b32 s16, 0
.LBB119_2698:
	s_delay_alu instid0(SALU_CYCLE_1)
	s_and_not1_b32 vcc_lo, exec_lo, s16
	s_cbranch_vccnz .LBB119_2709
; %bb.2699:
	s_cmp_lt_i32 s14, 6
	s_cbranch_scc1 .LBB119_2702
; %bb.2700:
	s_cmp_gt_i32 s14, 6
	s_cbranch_scc0 .LBB119_2703
; %bb.2701:
	s_wait_loadcnt 0x0
	global_load_b64 v[24:25], v[22:23], off
	s_mov_b32 s16, 0
	s_wait_loadcnt 0x0
	v_cvt_i32_f64_e32 v24, v[24:25]
	s_branch .LBB119_2704
.LBB119_2702:
	s_mov_b32 s16, -1
                                        ; implicit-def: $vgpr24
	s_branch .LBB119_2707
.LBB119_2703:
	s_mov_b32 s16, -1
                                        ; implicit-def: $vgpr24
.LBB119_2704:
	s_delay_alu instid0(SALU_CYCLE_1)
	s_and_not1_b32 vcc_lo, exec_lo, s16
	s_cbranch_vccnz .LBB119_2706
; %bb.2705:
	global_load_b32 v7, v[22:23], off
	s_wait_loadcnt 0x0
	s_wait_xcnt 0x1
	v_cvt_i32_f32_e32 v24, v7
.LBB119_2706:
	s_mov_b32 s16, 0
.LBB119_2707:
	s_delay_alu instid0(SALU_CYCLE_1)
	s_and_not1_b32 vcc_lo, exec_lo, s16
	s_cbranch_vccnz .LBB119_2709
; %bb.2708:
	global_load_u16 v7, v[22:23], off
	s_wait_loadcnt 0x0
	v_cvt_f32_f16_e32 v7, v7
	s_wait_xcnt 0x1
	s_delay_alu instid0(VALU_DEP_1)
	v_cvt_i32_f32_e32 v24, v7
.LBB119_2709:
	s_mov_b32 s16, 0
.LBB119_2710:
	s_delay_alu instid0(SALU_CYCLE_1)
	s_and_not1_b32 vcc_lo, exec_lo, s16
	s_cbranch_vccnz .LBB119_2730
; %bb.2711:
	s_cmp_lt_i32 s14, 2
	s_cbranch_scc1 .LBB119_2715
; %bb.2712:
	s_cmp_lt_i32 s14, 3
	s_cbranch_scc1 .LBB119_2716
; %bb.2713:
	s_cmp_gt_i32 s14, 3
	s_cbranch_scc0 .LBB119_2717
; %bb.2714:
	s_wait_loadcnt 0x0
	global_load_b32 v24, v[22:23], off
	s_mov_b32 s16, 0
	s_branch .LBB119_2718
.LBB119_2715:
	s_mov_b32 s16, -1
                                        ; implicit-def: $vgpr24
	s_branch .LBB119_2724
.LBB119_2716:
	s_mov_b32 s16, -1
                                        ; implicit-def: $vgpr24
	s_branch .LBB119_2721
.LBB119_2717:
	s_mov_b32 s16, -1
                                        ; implicit-def: $vgpr24
.LBB119_2718:
	s_delay_alu instid0(SALU_CYCLE_1)
	s_and_not1_b32 vcc_lo, exec_lo, s16
	s_cbranch_vccnz .LBB119_2720
; %bb.2719:
	s_wait_loadcnt 0x0
	global_load_b32 v24, v[22:23], off
.LBB119_2720:
	s_mov_b32 s16, 0
.LBB119_2721:
	s_delay_alu instid0(SALU_CYCLE_1)
	s_and_not1_b32 vcc_lo, exec_lo, s16
	s_cbranch_vccnz .LBB119_2723
; %bb.2722:
	s_wait_loadcnt 0x0
	global_load_i16 v24, v[22:23], off
.LBB119_2723:
	s_mov_b32 s16, 0
.LBB119_2724:
	s_delay_alu instid0(SALU_CYCLE_1)
	s_and_not1_b32 vcc_lo, exec_lo, s16
	s_cbranch_vccnz .LBB119_2730
; %bb.2725:
	s_cmp_gt_i32 s14, 0
	s_mov_b32 s16, 0
	s_cbranch_scc0 .LBB119_2727
; %bb.2726:
	s_wait_loadcnt 0x0
	global_load_i8 v24, v[22:23], off
	s_branch .LBB119_2728
.LBB119_2727:
	s_mov_b32 s16, -1
                                        ; implicit-def: $vgpr24
.LBB119_2728:
	s_delay_alu instid0(SALU_CYCLE_1)
	s_and_not1_b32 vcc_lo, exec_lo, s16
	s_cbranch_vccnz .LBB119_2730
; %bb.2729:
	s_wait_loadcnt 0x0
	global_load_u8 v24, v[22:23], off
.LBB119_2730:
	s_mov_b32 s18, -1
.LBB119_2731:
	s_delay_alu instid0(SALU_CYCLE_1)
	s_and_not1_b32 vcc_lo, exec_lo, s18
	s_cbranch_vccnz .LBB119_4058
; %bb.2732:
	v_mov_b32_e32 v21, 0
	s_and_b32 s15, 0xffff, s15
	s_delay_alu instid0(SALU_CYCLE_1) | instskip(NEXT) | instid1(VALU_DEP_1)
	s_cmp_lt_i32 s15, 11
	v_add_nc_u64_e32 v[20:21], s[8:9], v[20:21]
	s_cbranch_scc1 .LBB119_2739
; %bb.2733:
	s_cmp_gt_i32 s15, 25
	s_mov_b32 s17, 0
	s_cbranch_scc0 .LBB119_2740
; %bb.2734:
	s_cmp_gt_i32 s15, 28
	s_cbranch_scc0 .LBB119_2741
; %bb.2735:
	s_cmp_gt_i32 s15, 43
	;; [unrolled: 3-line block ×3, first 2 shown]
	s_cbranch_scc0 .LBB119_2744
; %bb.2737:
	s_cmp_eq_u32 s15, 46
	s_mov_b32 s19, 0
	s_cbranch_scc0 .LBB119_2747
; %bb.2738:
	global_load_b32 v7, v[20:21], off
	s_mov_b32 s16, 0
	s_mov_b32 s18, -1
	s_wait_loadcnt 0x0
	v_lshlrev_b32_e32 v7, 16, v7
	s_wait_xcnt 0x1
	s_delay_alu instid0(VALU_DEP_1)
	v_cvt_i32_f32_e32 v22, v7
	s_branch .LBB119_2749
.LBB119_2739:
	s_mov_b32 s16, -1
	s_mov_b32 s18, 0
                                        ; implicit-def: $vgpr22
	s_branch .LBB119_2811
.LBB119_2740:
	s_mov_b32 s19, -1
	s_mov_b32 s18, 0
	s_mov_b32 s16, 0
                                        ; implicit-def: $vgpr22
	s_branch .LBB119_2776
.LBB119_2741:
	s_mov_b32 s19, -1
	s_mov_b32 s18, 0
	s_mov_b32 s16, 0
                                        ; implicit-def: $vgpr22
	s_branch .LBB119_2759
.LBB119_2742:
	s_mov_b32 s19, -1
	s_mov_b32 s18, 0
	s_mov_b32 s16, 0
                                        ; implicit-def: $vgpr22
	s_branch .LBB119_2754
.LBB119_2743:
	s_or_b32 s12, s12, exec_lo
	s_trap 2
	s_cbranch_execz .LBB119_2680
	s_branch .LBB119_2681
.LBB119_2744:
	s_mov_b32 s19, -1
	s_mov_b32 s18, 0
	s_mov_b32 s16, 0
	s_branch .LBB119_2748
.LBB119_2745:
	s_and_not1_saveexec_b32 s59, s59
	s_cbranch_execz .LBB119_1462
.LBB119_2746:
	v_add_f32_e64 v5, 0x46000000, |v1|
	s_and_not1_b32 s58, s58, exec_lo
	s_delay_alu instid0(VALU_DEP_1) | instskip(NEXT) | instid1(VALU_DEP_1)
	v_and_b32_e32 v5, 0xff, v5
	v_cmp_ne_u32_e32 vcc_lo, 0, v5
	s_and_b32 s60, vcc_lo, exec_lo
	s_delay_alu instid0(SALU_CYCLE_1)
	s_or_b32 s58, s58, s60
	s_or_b32 exec_lo, exec_lo, s59
	v_mov_b32_e32 v6, 0
	s_and_saveexec_b32 s59, s58
	s_cbranch_execnz .LBB119_1463
	s_branch .LBB119_1464
.LBB119_2747:
	s_mov_b32 s16, -1
	s_mov_b32 s18, 0
.LBB119_2748:
                                        ; implicit-def: $vgpr22
.LBB119_2749:
	s_and_b32 vcc_lo, exec_lo, s19
	s_cbranch_vccz .LBB119_2753
; %bb.2750:
	s_cmp_eq_u32 s15, 44
	s_cbranch_scc0 .LBB119_2752
; %bb.2751:
	global_load_u8 v7, v[20:21], off
	s_mov_b32 s16, 0
	s_mov_b32 s18, -1
	s_wait_loadcnt 0x0
	v_lshlrev_b32_e32 v9, 23, v7
	v_cmp_ne_u32_e32 vcc_lo, 0, v7
	s_delay_alu instid0(VALU_DEP_2) | instskip(SKIP_1) | instid1(VALU_DEP_1)
	v_cvt_i32_f32_e32 v9, v9
	s_wait_xcnt 0x1
	v_cndmask_b32_e32 v22, 0, v9, vcc_lo
	s_branch .LBB119_2753
.LBB119_2752:
	s_mov_b32 s16, -1
                                        ; implicit-def: $vgpr22
.LBB119_2753:
	s_mov_b32 s19, 0
.LBB119_2754:
	s_delay_alu instid0(SALU_CYCLE_1)
	s_and_b32 vcc_lo, exec_lo, s19
	s_cbranch_vccz .LBB119_2758
; %bb.2755:
	s_cmp_eq_u32 s15, 29
	s_cbranch_scc0 .LBB119_2757
; %bb.2756:
	global_load_b32 v22, v[20:21], off
	s_mov_b32 s16, 0
	s_mov_b32 s18, -1
	s_branch .LBB119_2758
.LBB119_2757:
	s_mov_b32 s16, -1
                                        ; implicit-def: $vgpr22
.LBB119_2758:
	s_mov_b32 s19, 0
.LBB119_2759:
	s_delay_alu instid0(SALU_CYCLE_1)
	s_and_b32 vcc_lo, exec_lo, s19
	s_cbranch_vccz .LBB119_2775
; %bb.2760:
	s_cmp_lt_i32 s15, 27
	s_cbranch_scc1 .LBB119_2763
; %bb.2761:
	s_cmp_gt_i32 s15, 27
	s_cbranch_scc0 .LBB119_2764
; %bb.2762:
	s_wait_loadcnt 0x0
	global_load_b32 v22, v[20:21], off
	s_mov_b32 s18, 0
	s_branch .LBB119_2765
.LBB119_2763:
	s_mov_b32 s18, -1
                                        ; implicit-def: $vgpr22
	s_branch .LBB119_2768
.LBB119_2764:
	s_mov_b32 s18, -1
                                        ; implicit-def: $vgpr22
.LBB119_2765:
	s_delay_alu instid0(SALU_CYCLE_1)
	s_and_not1_b32 vcc_lo, exec_lo, s18
	s_cbranch_vccnz .LBB119_2767
; %bb.2766:
	s_wait_loadcnt 0x0
	global_load_u16 v22, v[20:21], off
.LBB119_2767:
	s_mov_b32 s18, 0
.LBB119_2768:
	s_delay_alu instid0(SALU_CYCLE_1)
	s_and_not1_b32 vcc_lo, exec_lo, s18
	s_cbranch_vccnz .LBB119_2774
; %bb.2769:
	global_load_u8 v7, v[20:21], off
	s_mov_b32 s19, 0
	s_mov_b32 s18, exec_lo
	s_wait_loadcnt 0x0
	v_cmpx_lt_i16_e32 0x7f, v7
	s_xor_b32 s18, exec_lo, s18
	s_cbranch_execz .LBB119_2786
; %bb.2770:
	v_cmp_ne_u16_e32 vcc_lo, 0x80, v7
	s_and_b32 s19, vcc_lo, exec_lo
	s_and_not1_saveexec_b32 s18, s18
	s_cbranch_execnz .LBB119_2787
.LBB119_2771:
	s_or_b32 exec_lo, exec_lo, s18
	v_mov_b32_e32 v22, 0
	s_and_saveexec_b32 s18, s19
	s_cbranch_execz .LBB119_2773
.LBB119_2772:
	v_and_b32_e32 v9, 0xffff, v7
	s_delay_alu instid0(VALU_DEP_1) | instskip(SKIP_1) | instid1(VALU_DEP_2)
	v_dual_lshlrev_b32 v7, 24, v7 :: v_dual_bitop2_b32 v11, 7, v9 bitop3:0x40
	v_bfe_u32 v17, v9, 3, 4
	v_and_b32_e32 v7, 0x80000000, v7
	s_delay_alu instid0(VALU_DEP_3) | instskip(NEXT) | instid1(VALU_DEP_3)
	v_clz_i32_u32_e32 v13, v11
	v_cmp_eq_u32_e32 vcc_lo, 0, v17
	s_delay_alu instid0(VALU_DEP_2) | instskip(NEXT) | instid1(VALU_DEP_1)
	v_min_u32_e32 v13, 32, v13
	v_subrev_nc_u32_e32 v15, 28, v13
	v_sub_nc_u32_e32 v13, 29, v13
	s_delay_alu instid0(VALU_DEP_2) | instskip(NEXT) | instid1(VALU_DEP_2)
	v_lshlrev_b32_e32 v9, v15, v9
	v_cndmask_b32_e32 v13, v17, v13, vcc_lo
	s_delay_alu instid0(VALU_DEP_2) | instskip(NEXT) | instid1(VALU_DEP_1)
	v_and_b32_e32 v9, 7, v9
	v_cndmask_b32_e32 v9, v11, v9, vcc_lo
	s_delay_alu instid0(VALU_DEP_3) | instskip(NEXT) | instid1(VALU_DEP_2)
	v_lshl_add_u32 v11, v13, 23, 0x3b800000
	v_lshlrev_b32_e32 v9, 20, v9
	s_delay_alu instid0(VALU_DEP_1) | instskip(NEXT) | instid1(VALU_DEP_1)
	v_or3_b32 v7, v7, v11, v9
	v_cvt_i32_f32_e32 v22, v7
.LBB119_2773:
	s_or_b32 exec_lo, exec_lo, s18
.LBB119_2774:
	s_mov_b32 s18, -1
.LBB119_2775:
	s_mov_b32 s19, 0
.LBB119_2776:
	s_delay_alu instid0(SALU_CYCLE_1)
	s_and_b32 vcc_lo, exec_lo, s19
	s_cbranch_vccz .LBB119_2807
; %bb.2777:
	s_cmp_gt_i32 s15, 22
	s_cbranch_scc0 .LBB119_2785
; %bb.2778:
	s_cmp_lt_i32 s15, 24
	s_cbranch_scc1 .LBB119_2788
; %bb.2779:
	s_cmp_gt_i32 s15, 24
	s_cbranch_scc0 .LBB119_2789
; %bb.2780:
	global_load_u8 v7, v[20:21], off
	s_mov_b32 s18, 0
	s_mov_b32 s17, exec_lo
	s_wait_loadcnt 0x0
	v_cmpx_lt_i16_e32 0x7f, v7
	s_xor_b32 s17, exec_lo, s17
	s_cbranch_execz .LBB119_2801
; %bb.2781:
	v_cmp_ne_u16_e32 vcc_lo, 0x80, v7
	s_and_b32 s18, vcc_lo, exec_lo
	s_and_not1_saveexec_b32 s17, s17
	s_cbranch_execnz .LBB119_2802
.LBB119_2782:
	s_or_b32 exec_lo, exec_lo, s17
	v_mov_b32_e32 v22, 0
	s_and_saveexec_b32 s17, s18
	s_cbranch_execz .LBB119_2784
.LBB119_2783:
	v_and_b32_e32 v9, 0xffff, v7
	s_delay_alu instid0(VALU_DEP_1) | instskip(SKIP_1) | instid1(VALU_DEP_2)
	v_dual_lshlrev_b32 v7, 24, v7 :: v_dual_bitop2_b32 v11, 3, v9 bitop3:0x40
	v_bfe_u32 v17, v9, 2, 5
	v_and_b32_e32 v7, 0x80000000, v7
	s_delay_alu instid0(VALU_DEP_3) | instskip(NEXT) | instid1(VALU_DEP_3)
	v_clz_i32_u32_e32 v13, v11
	v_cmp_eq_u32_e32 vcc_lo, 0, v17
	s_delay_alu instid0(VALU_DEP_2) | instskip(NEXT) | instid1(VALU_DEP_1)
	v_min_u32_e32 v13, 32, v13
	v_subrev_nc_u32_e32 v15, 29, v13
	v_sub_nc_u32_e32 v13, 30, v13
	s_delay_alu instid0(VALU_DEP_2) | instskip(NEXT) | instid1(VALU_DEP_2)
	v_lshlrev_b32_e32 v9, v15, v9
	v_cndmask_b32_e32 v13, v17, v13, vcc_lo
	s_delay_alu instid0(VALU_DEP_2) | instskip(NEXT) | instid1(VALU_DEP_1)
	v_and_b32_e32 v9, 3, v9
	v_cndmask_b32_e32 v9, v11, v9, vcc_lo
	s_delay_alu instid0(VALU_DEP_3) | instskip(NEXT) | instid1(VALU_DEP_2)
	v_lshl_add_u32 v11, v13, 23, 0x37800000
	v_lshlrev_b32_e32 v9, 21, v9
	s_delay_alu instid0(VALU_DEP_1) | instskip(NEXT) | instid1(VALU_DEP_1)
	v_or3_b32 v7, v7, v11, v9
	v_cvt_i32_f32_e32 v22, v7
.LBB119_2784:
	s_or_b32 exec_lo, exec_lo, s17
	s_mov_b32 s17, 0
	s_branch .LBB119_2790
.LBB119_2785:
	s_mov_b32 s17, -1
                                        ; implicit-def: $vgpr22
	s_branch .LBB119_2796
.LBB119_2786:
	s_and_not1_saveexec_b32 s18, s18
	s_cbranch_execz .LBB119_2771
.LBB119_2787:
	v_cmp_ne_u16_e32 vcc_lo, 0, v7
	s_and_not1_b32 s19, s19, exec_lo
	s_and_b32 s20, vcc_lo, exec_lo
	s_delay_alu instid0(SALU_CYCLE_1)
	s_or_b32 s19, s19, s20
	s_or_b32 exec_lo, exec_lo, s18
	v_mov_b32_e32 v22, 0
	s_and_saveexec_b32 s18, s19
	s_cbranch_execnz .LBB119_2772
	s_branch .LBB119_2773
.LBB119_2788:
	s_mov_b32 s17, -1
                                        ; implicit-def: $vgpr22
	s_branch .LBB119_2793
.LBB119_2789:
	s_mov_b32 s17, -1
                                        ; implicit-def: $vgpr22
.LBB119_2790:
	s_delay_alu instid0(SALU_CYCLE_1)
	s_and_b32 vcc_lo, exec_lo, s17
	s_cbranch_vccz .LBB119_2792
; %bb.2791:
	global_load_u8 v7, v[20:21], off
	s_wait_loadcnt 0x0
	v_lshlrev_b32_e32 v7, 24, v7
	s_delay_alu instid0(VALU_DEP_1) | instskip(NEXT) | instid1(VALU_DEP_1)
	v_and_b32_e32 v9, 0x7f000000, v7
	v_clz_i32_u32_e32 v11, v9
	v_add_nc_u32_e32 v15, 0x1000000, v9
	v_cmp_ne_u32_e32 vcc_lo, 0, v9
	s_delay_alu instid0(VALU_DEP_3) | instskip(NEXT) | instid1(VALU_DEP_1)
	v_min_u32_e32 v11, 32, v11
	v_sub_nc_u32_e64 v11, v11, 4 clamp
	s_delay_alu instid0(VALU_DEP_1) | instskip(NEXT) | instid1(VALU_DEP_1)
	v_dual_lshlrev_b32 v13, v11, v9 :: v_dual_lshlrev_b32 v11, 23, v11
	v_lshrrev_b32_e32 v13, 4, v13
	s_delay_alu instid0(VALU_DEP_1) | instskip(SKIP_1) | instid1(VALU_DEP_2)
	v_sub_nc_u32_e32 v11, v13, v11
	v_ashrrev_i32_e32 v13, 8, v15
	v_add_nc_u32_e32 v11, 0x3c000000, v11
	s_delay_alu instid0(VALU_DEP_1) | instskip(NEXT) | instid1(VALU_DEP_1)
	v_and_or_b32 v11, 0x7f800000, v13, v11
	v_cndmask_b32_e32 v9, 0, v11, vcc_lo
	s_delay_alu instid0(VALU_DEP_1) | instskip(SKIP_1) | instid1(VALU_DEP_1)
	v_and_or_b32 v7, 0x80000000, v7, v9
	s_wait_xcnt 0x1
	v_cvt_i32_f32_e32 v22, v7
.LBB119_2792:
	s_mov_b32 s17, 0
.LBB119_2793:
	s_delay_alu instid0(SALU_CYCLE_1)
	s_and_not1_b32 vcc_lo, exec_lo, s17
	s_cbranch_vccnz .LBB119_2795
; %bb.2794:
	global_load_u8 v7, v[20:21], off
	s_wait_loadcnt 0x0
	v_lshlrev_b32_e32 v9, 25, v7
	v_lshlrev_b16 v7, 8, v7
	s_delay_alu instid0(VALU_DEP_1) | instskip(SKIP_1) | instid1(VALU_DEP_2)
	v_and_or_b32 v13, 0x7f00, v7, 0.5
	v_bfe_i32 v7, v7, 0, 16
	v_add_f32_e32 v13, -0.5, v13
	v_lshrrev_b32_e32 v11, 4, v9
	v_cmp_gt_u32_e32 vcc_lo, 0x8000000, v9
	s_delay_alu instid0(VALU_DEP_2) | instskip(NEXT) | instid1(VALU_DEP_1)
	v_or_b32_e32 v11, 0x70000000, v11
	v_mul_f32_e32 v11, 0x7800000, v11
	s_delay_alu instid0(VALU_DEP_1) | instskip(NEXT) | instid1(VALU_DEP_1)
	v_cndmask_b32_e32 v9, v11, v13, vcc_lo
	v_and_or_b32 v7, 0x80000000, v7, v9
	s_wait_xcnt 0x1
	s_delay_alu instid0(VALU_DEP_1)
	v_cvt_i32_f32_e32 v22, v7
.LBB119_2795:
	s_mov_b32 s17, 0
	s_mov_b32 s18, -1
.LBB119_2796:
	s_and_not1_b32 vcc_lo, exec_lo, s17
	s_mov_b32 s17, 0
	s_cbranch_vccnz .LBB119_2807
; %bb.2797:
	s_cmp_gt_i32 s15, 14
	s_cbranch_scc0 .LBB119_2800
; %bb.2798:
	s_cmp_eq_u32 s15, 15
	s_cbranch_scc0 .LBB119_2803
; %bb.2799:
	global_load_u16 v7, v[20:21], off
	s_mov_b32 s16, 0
	s_mov_b32 s18, -1
	s_wait_loadcnt 0x0
	v_lshlrev_b32_e32 v7, 16, v7
	s_wait_xcnt 0x1
	s_delay_alu instid0(VALU_DEP_1)
	v_cvt_i32_f32_e32 v22, v7
	s_branch .LBB119_2805
.LBB119_2800:
	s_mov_b32 s17, -1
	s_branch .LBB119_2804
.LBB119_2801:
	s_and_not1_saveexec_b32 s17, s17
	s_cbranch_execz .LBB119_2782
.LBB119_2802:
	v_cmp_ne_u16_e32 vcc_lo, 0, v7
	s_and_not1_b32 s18, s18, exec_lo
	s_and_b32 s19, vcc_lo, exec_lo
	s_delay_alu instid0(SALU_CYCLE_1)
	s_or_b32 s18, s18, s19
	s_or_b32 exec_lo, exec_lo, s17
	v_mov_b32_e32 v22, 0
	s_and_saveexec_b32 s17, s18
	s_cbranch_execnz .LBB119_2783
	s_branch .LBB119_2784
.LBB119_2803:
	s_mov_b32 s16, -1
.LBB119_2804:
                                        ; implicit-def: $vgpr22
.LBB119_2805:
	s_and_b32 vcc_lo, exec_lo, s17
	s_mov_b32 s17, 0
	s_cbranch_vccz .LBB119_2807
; %bb.2806:
	s_cmp_lg_u32 s15, 11
	s_mov_b32 s17, -1
	s_cselect_b32 s16, -1, 0
.LBB119_2807:
	s_delay_alu instid0(SALU_CYCLE_1)
	s_and_b32 vcc_lo, exec_lo, s16
	s_cbranch_vccnz .LBB119_2872
; %bb.2808:
	s_and_not1_b32 vcc_lo, exec_lo, s17
	s_cbranch_vccnz .LBB119_2810
.LBB119_2809:
	global_load_u8 v7, v[20:21], off
	s_mov_b32 s18, -1
	s_wait_loadcnt 0x0
	v_cmp_ne_u16_e32 vcc_lo, 0, v7
	s_wait_xcnt 0x1
	v_cndmask_b32_e64 v22, 0, 1, vcc_lo
.LBB119_2810:
	s_mov_b32 s16, 0
.LBB119_2811:
	s_delay_alu instid0(SALU_CYCLE_1)
	s_and_b32 vcc_lo, exec_lo, s16
	s_cbranch_vccz .LBB119_2860
; %bb.2812:
	s_cmp_lt_i32 s15, 5
	s_cbranch_scc1 .LBB119_2817
; %bb.2813:
	s_cmp_lt_i32 s15, 8
	s_cbranch_scc1 .LBB119_2818
	;; [unrolled: 3-line block ×3, first 2 shown]
; %bb.2815:
	s_cmp_gt_i32 s15, 9
	s_cbranch_scc0 .LBB119_2820
; %bb.2816:
	s_wait_loadcnt 0x0
	global_load_b64 v[22:23], v[20:21], off
	s_mov_b32 s16, 0
	s_wait_loadcnt 0x0
	v_cvt_i32_f64_e32 v22, v[22:23]
	s_branch .LBB119_2821
.LBB119_2817:
	s_mov_b32 s16, -1
                                        ; implicit-def: $vgpr22
	s_branch .LBB119_2839
.LBB119_2818:
	s_mov_b32 s16, -1
                                        ; implicit-def: $vgpr22
	s_branch .LBB119_2827
.LBB119_2819:
	s_mov_b32 s16, -1
                                        ; implicit-def: $vgpr22
	s_branch .LBB119_2824
.LBB119_2820:
	s_mov_b32 s16, -1
                                        ; implicit-def: $vgpr22
.LBB119_2821:
	s_delay_alu instid0(SALU_CYCLE_1)
	s_and_not1_b32 vcc_lo, exec_lo, s16
	s_cbranch_vccnz .LBB119_2823
; %bb.2822:
	global_load_b32 v7, v[20:21], off
	s_wait_loadcnt 0x0
	s_wait_xcnt 0x1
	v_cvt_i32_f32_e32 v22, v7
.LBB119_2823:
	s_mov_b32 s16, 0
.LBB119_2824:
	s_delay_alu instid0(SALU_CYCLE_1)
	s_and_not1_b32 vcc_lo, exec_lo, s16
	s_cbranch_vccnz .LBB119_2826
; %bb.2825:
	global_load_b32 v7, v[20:21], off
	s_wait_loadcnt 0x0
	v_cvt_f32_f16_e32 v7, v7
	s_wait_xcnt 0x1
	s_delay_alu instid0(VALU_DEP_1)
	v_cvt_i32_f32_e32 v22, v7
.LBB119_2826:
	s_mov_b32 s16, 0
.LBB119_2827:
	s_delay_alu instid0(SALU_CYCLE_1)
	s_and_not1_b32 vcc_lo, exec_lo, s16
	s_cbranch_vccnz .LBB119_2838
; %bb.2828:
	s_cmp_lt_i32 s15, 6
	s_cbranch_scc1 .LBB119_2831
; %bb.2829:
	s_cmp_gt_i32 s15, 6
	s_cbranch_scc0 .LBB119_2832
; %bb.2830:
	s_wait_loadcnt 0x0
	global_load_b64 v[22:23], v[20:21], off
	s_mov_b32 s16, 0
	s_wait_loadcnt 0x0
	v_cvt_i32_f64_e32 v22, v[22:23]
	s_branch .LBB119_2833
.LBB119_2831:
	s_mov_b32 s16, -1
                                        ; implicit-def: $vgpr22
	s_branch .LBB119_2836
.LBB119_2832:
	s_mov_b32 s16, -1
                                        ; implicit-def: $vgpr22
.LBB119_2833:
	s_delay_alu instid0(SALU_CYCLE_1)
	s_and_not1_b32 vcc_lo, exec_lo, s16
	s_cbranch_vccnz .LBB119_2835
; %bb.2834:
	global_load_b32 v7, v[20:21], off
	s_wait_loadcnt 0x0
	s_wait_xcnt 0x1
	v_cvt_i32_f32_e32 v22, v7
.LBB119_2835:
	s_mov_b32 s16, 0
.LBB119_2836:
	s_delay_alu instid0(SALU_CYCLE_1)
	s_and_not1_b32 vcc_lo, exec_lo, s16
	s_cbranch_vccnz .LBB119_2838
; %bb.2837:
	global_load_u16 v7, v[20:21], off
	s_wait_loadcnt 0x0
	v_cvt_f32_f16_e32 v7, v7
	s_wait_xcnt 0x1
	s_delay_alu instid0(VALU_DEP_1)
	v_cvt_i32_f32_e32 v22, v7
.LBB119_2838:
	s_mov_b32 s16, 0
.LBB119_2839:
	s_delay_alu instid0(SALU_CYCLE_1)
	s_and_not1_b32 vcc_lo, exec_lo, s16
	s_cbranch_vccnz .LBB119_2859
; %bb.2840:
	s_cmp_lt_i32 s15, 2
	s_cbranch_scc1 .LBB119_2844
; %bb.2841:
	s_cmp_lt_i32 s15, 3
	s_cbranch_scc1 .LBB119_2845
; %bb.2842:
	s_cmp_gt_i32 s15, 3
	s_cbranch_scc0 .LBB119_2846
; %bb.2843:
	s_wait_loadcnt 0x0
	global_load_b32 v22, v[20:21], off
	s_mov_b32 s16, 0
	s_branch .LBB119_2847
.LBB119_2844:
	s_mov_b32 s16, -1
                                        ; implicit-def: $vgpr22
	s_branch .LBB119_2853
.LBB119_2845:
	s_mov_b32 s16, -1
                                        ; implicit-def: $vgpr22
	s_branch .LBB119_2850
.LBB119_2846:
	s_mov_b32 s16, -1
                                        ; implicit-def: $vgpr22
.LBB119_2847:
	s_delay_alu instid0(SALU_CYCLE_1)
	s_and_not1_b32 vcc_lo, exec_lo, s16
	s_cbranch_vccnz .LBB119_2849
; %bb.2848:
	s_wait_loadcnt 0x0
	global_load_b32 v22, v[20:21], off
.LBB119_2849:
	s_mov_b32 s16, 0
.LBB119_2850:
	s_delay_alu instid0(SALU_CYCLE_1)
	s_and_not1_b32 vcc_lo, exec_lo, s16
	s_cbranch_vccnz .LBB119_2852
; %bb.2851:
	s_wait_loadcnt 0x0
	global_load_i16 v22, v[20:21], off
.LBB119_2852:
	s_mov_b32 s16, 0
.LBB119_2853:
	s_delay_alu instid0(SALU_CYCLE_1)
	s_and_not1_b32 vcc_lo, exec_lo, s16
	s_cbranch_vccnz .LBB119_2859
; %bb.2854:
	s_cmp_gt_i32 s15, 0
	s_mov_b32 s16, 0
	s_cbranch_scc0 .LBB119_2856
; %bb.2855:
	s_wait_loadcnt 0x0
	global_load_i8 v22, v[20:21], off
	s_branch .LBB119_2857
.LBB119_2856:
	s_mov_b32 s16, -1
                                        ; implicit-def: $vgpr22
.LBB119_2857:
	s_delay_alu instid0(SALU_CYCLE_1)
	s_and_not1_b32 vcc_lo, exec_lo, s16
	s_cbranch_vccnz .LBB119_2859
; %bb.2858:
	s_wait_loadcnt 0x0
	global_load_u8 v22, v[20:21], off
.LBB119_2859:
	s_mov_b32 s18, -1
.LBB119_2860:
	s_delay_alu instid0(SALU_CYCLE_1)
	s_and_not1_b32 vcc_lo, exec_lo, s18
	s_cbranch_vccnz .LBB119_4058
; %bb.2861:
	v_mov_b32_e32 v19, 0
	s_cmp_lt_i32 s13, 11
	s_delay_alu instid0(VALU_DEP_1)
	v_add_nc_u64_e32 v[18:19], s[6:7], v[18:19]
	s_cbranch_scc1 .LBB119_2868
; %bb.2862:
	s_cmp_gt_i32 s13, 25
	s_mov_b32 s17, 0
	s_cbranch_scc0 .LBB119_2869
; %bb.2863:
	s_cmp_gt_i32 s13, 28
	s_cbranch_scc0 .LBB119_2870
; %bb.2864:
	s_cmp_gt_i32 s13, 43
	;; [unrolled: 3-line block ×3, first 2 shown]
	s_cbranch_scc0 .LBB119_2873
; %bb.2866:
	s_cmp_eq_u32 s13, 46
	s_mov_b32 s19, 0
	s_cbranch_scc0 .LBB119_2876
; %bb.2867:
	global_load_b32 v7, v[18:19], off
	s_mov_b32 s16, 0
	s_mov_b32 s18, -1
	s_wait_loadcnt 0x0
	v_lshlrev_b32_e32 v7, 16, v7
	s_wait_xcnt 0x1
	s_delay_alu instid0(VALU_DEP_1)
	v_cvt_i32_f32_e32 v20, v7
	s_branch .LBB119_2878
.LBB119_2868:
	s_mov_b32 s16, -1
	s_mov_b32 s18, 0
                                        ; implicit-def: $vgpr20
	s_branch .LBB119_2940
.LBB119_2869:
	s_mov_b32 s19, -1
	s_mov_b32 s18, 0
	s_mov_b32 s16, 0
                                        ; implicit-def: $vgpr20
	s_branch .LBB119_2905
.LBB119_2870:
	s_mov_b32 s19, -1
	s_mov_b32 s18, 0
	s_mov_b32 s16, 0
                                        ; implicit-def: $vgpr20
	s_branch .LBB119_2888
.LBB119_2871:
	s_mov_b32 s19, -1
	s_mov_b32 s18, 0
	s_mov_b32 s16, 0
                                        ; implicit-def: $vgpr20
	s_branch .LBB119_2883
.LBB119_2872:
	s_or_b32 s12, s12, exec_lo
	s_trap 2
	s_cbranch_execz .LBB119_2809
	s_branch .LBB119_2810
.LBB119_2873:
	s_mov_b32 s19, -1
	s_mov_b32 s18, 0
	s_mov_b32 s16, 0
	s_branch .LBB119_2877
.LBB119_2874:
	s_and_not1_saveexec_b32 s59, s59
	s_cbranch_execz .LBB119_1475
.LBB119_2875:
	v_add_f32_e64 v5, 0x42800000, |v1|
	s_and_not1_b32 s58, s58, exec_lo
	s_delay_alu instid0(VALU_DEP_1) | instskip(NEXT) | instid1(VALU_DEP_1)
	v_and_b32_e32 v5, 0xff, v5
	v_cmp_ne_u32_e32 vcc_lo, 0, v5
	s_and_b32 s60, vcc_lo, exec_lo
	s_delay_alu instid0(SALU_CYCLE_1)
	s_or_b32 s58, s58, s60
	s_or_b32 exec_lo, exec_lo, s59
	v_mov_b32_e32 v6, 0
	s_and_saveexec_b32 s59, s58
	s_cbranch_execnz .LBB119_1476
	s_branch .LBB119_1477
.LBB119_2876:
	s_mov_b32 s16, -1
	s_mov_b32 s18, 0
.LBB119_2877:
                                        ; implicit-def: $vgpr20
.LBB119_2878:
	s_and_b32 vcc_lo, exec_lo, s19
	s_cbranch_vccz .LBB119_2882
; %bb.2879:
	s_cmp_eq_u32 s13, 44
	s_cbranch_scc0 .LBB119_2881
; %bb.2880:
	global_load_u8 v7, v[18:19], off
	s_mov_b32 s16, 0
	s_mov_b32 s18, -1
	s_wait_loadcnt 0x0
	v_lshlrev_b32_e32 v9, 23, v7
	v_cmp_ne_u32_e32 vcc_lo, 0, v7
	s_delay_alu instid0(VALU_DEP_2) | instskip(SKIP_1) | instid1(VALU_DEP_1)
	v_cvt_i32_f32_e32 v9, v9
	s_wait_xcnt 0x1
	v_cndmask_b32_e32 v20, 0, v9, vcc_lo
	s_branch .LBB119_2882
.LBB119_2881:
	s_mov_b32 s16, -1
                                        ; implicit-def: $vgpr20
.LBB119_2882:
	s_mov_b32 s19, 0
.LBB119_2883:
	s_delay_alu instid0(SALU_CYCLE_1)
	s_and_b32 vcc_lo, exec_lo, s19
	s_cbranch_vccz .LBB119_2887
; %bb.2884:
	s_cmp_eq_u32 s13, 29
	s_cbranch_scc0 .LBB119_2886
; %bb.2885:
	global_load_b32 v20, v[18:19], off
	s_mov_b32 s16, 0
	s_mov_b32 s18, -1
	s_branch .LBB119_2887
.LBB119_2886:
	s_mov_b32 s16, -1
                                        ; implicit-def: $vgpr20
.LBB119_2887:
	s_mov_b32 s19, 0
.LBB119_2888:
	s_delay_alu instid0(SALU_CYCLE_1)
	s_and_b32 vcc_lo, exec_lo, s19
	s_cbranch_vccz .LBB119_2904
; %bb.2889:
	s_cmp_lt_i32 s13, 27
	s_cbranch_scc1 .LBB119_2892
; %bb.2890:
	s_cmp_gt_i32 s13, 27
	s_cbranch_scc0 .LBB119_2893
; %bb.2891:
	s_wait_loadcnt 0x0
	global_load_b32 v20, v[18:19], off
	s_mov_b32 s18, 0
	s_branch .LBB119_2894
.LBB119_2892:
	s_mov_b32 s18, -1
                                        ; implicit-def: $vgpr20
	s_branch .LBB119_2897
.LBB119_2893:
	s_mov_b32 s18, -1
                                        ; implicit-def: $vgpr20
.LBB119_2894:
	s_delay_alu instid0(SALU_CYCLE_1)
	s_and_not1_b32 vcc_lo, exec_lo, s18
	s_cbranch_vccnz .LBB119_2896
; %bb.2895:
	s_wait_loadcnt 0x0
	global_load_u16 v20, v[18:19], off
.LBB119_2896:
	s_mov_b32 s18, 0
.LBB119_2897:
	s_delay_alu instid0(SALU_CYCLE_1)
	s_and_not1_b32 vcc_lo, exec_lo, s18
	s_cbranch_vccnz .LBB119_2903
; %bb.2898:
	global_load_u8 v7, v[18:19], off
	s_mov_b32 s19, 0
	s_mov_b32 s18, exec_lo
	s_wait_loadcnt 0x0
	v_cmpx_lt_i16_e32 0x7f, v7
	s_xor_b32 s18, exec_lo, s18
	s_cbranch_execz .LBB119_2915
; %bb.2899:
	v_cmp_ne_u16_e32 vcc_lo, 0x80, v7
	s_and_b32 s19, vcc_lo, exec_lo
	s_and_not1_saveexec_b32 s18, s18
	s_cbranch_execnz .LBB119_2916
.LBB119_2900:
	s_or_b32 exec_lo, exec_lo, s18
	v_mov_b32_e32 v20, 0
	s_and_saveexec_b32 s18, s19
	s_cbranch_execz .LBB119_2902
.LBB119_2901:
	v_and_b32_e32 v9, 0xffff, v7
	s_delay_alu instid0(VALU_DEP_1) | instskip(SKIP_1) | instid1(VALU_DEP_2)
	v_dual_lshlrev_b32 v7, 24, v7 :: v_dual_bitop2_b32 v11, 7, v9 bitop3:0x40
	v_bfe_u32 v17, v9, 3, 4
	v_and_b32_e32 v7, 0x80000000, v7
	s_delay_alu instid0(VALU_DEP_3) | instskip(NEXT) | instid1(VALU_DEP_3)
	v_clz_i32_u32_e32 v13, v11
	v_cmp_eq_u32_e32 vcc_lo, 0, v17
	s_delay_alu instid0(VALU_DEP_2) | instskip(NEXT) | instid1(VALU_DEP_1)
	v_min_u32_e32 v13, 32, v13
	v_subrev_nc_u32_e32 v15, 28, v13
	v_sub_nc_u32_e32 v13, 29, v13
	s_delay_alu instid0(VALU_DEP_2) | instskip(NEXT) | instid1(VALU_DEP_2)
	v_lshlrev_b32_e32 v9, v15, v9
	v_cndmask_b32_e32 v13, v17, v13, vcc_lo
	s_delay_alu instid0(VALU_DEP_2) | instskip(NEXT) | instid1(VALU_DEP_1)
	v_and_b32_e32 v9, 7, v9
	v_cndmask_b32_e32 v9, v11, v9, vcc_lo
	s_delay_alu instid0(VALU_DEP_3) | instskip(NEXT) | instid1(VALU_DEP_2)
	v_lshl_add_u32 v11, v13, 23, 0x3b800000
	v_lshlrev_b32_e32 v9, 20, v9
	s_delay_alu instid0(VALU_DEP_1) | instskip(NEXT) | instid1(VALU_DEP_1)
	v_or3_b32 v7, v7, v11, v9
	v_cvt_i32_f32_e32 v20, v7
.LBB119_2902:
	s_or_b32 exec_lo, exec_lo, s18
.LBB119_2903:
	s_mov_b32 s18, -1
.LBB119_2904:
	s_mov_b32 s19, 0
.LBB119_2905:
	s_delay_alu instid0(SALU_CYCLE_1)
	s_and_b32 vcc_lo, exec_lo, s19
	s_cbranch_vccz .LBB119_2936
; %bb.2906:
	s_cmp_gt_i32 s13, 22
	s_cbranch_scc0 .LBB119_2914
; %bb.2907:
	s_cmp_lt_i32 s13, 24
	s_cbranch_scc1 .LBB119_2917
; %bb.2908:
	s_cmp_gt_i32 s13, 24
	s_cbranch_scc0 .LBB119_2918
; %bb.2909:
	global_load_u8 v7, v[18:19], off
	s_mov_b32 s18, 0
	s_mov_b32 s17, exec_lo
	s_wait_loadcnt 0x0
	v_cmpx_lt_i16_e32 0x7f, v7
	s_xor_b32 s17, exec_lo, s17
	s_cbranch_execz .LBB119_2930
; %bb.2910:
	v_cmp_ne_u16_e32 vcc_lo, 0x80, v7
	s_and_b32 s18, vcc_lo, exec_lo
	s_and_not1_saveexec_b32 s17, s17
	s_cbranch_execnz .LBB119_2931
.LBB119_2911:
	s_or_b32 exec_lo, exec_lo, s17
	v_mov_b32_e32 v20, 0
	s_and_saveexec_b32 s17, s18
	s_cbranch_execz .LBB119_2913
.LBB119_2912:
	v_and_b32_e32 v9, 0xffff, v7
	s_delay_alu instid0(VALU_DEP_1) | instskip(SKIP_1) | instid1(VALU_DEP_2)
	v_dual_lshlrev_b32 v7, 24, v7 :: v_dual_bitop2_b32 v11, 3, v9 bitop3:0x40
	v_bfe_u32 v17, v9, 2, 5
	v_and_b32_e32 v7, 0x80000000, v7
	s_delay_alu instid0(VALU_DEP_3) | instskip(NEXT) | instid1(VALU_DEP_3)
	v_clz_i32_u32_e32 v13, v11
	v_cmp_eq_u32_e32 vcc_lo, 0, v17
	s_delay_alu instid0(VALU_DEP_2) | instskip(NEXT) | instid1(VALU_DEP_1)
	v_min_u32_e32 v13, 32, v13
	v_subrev_nc_u32_e32 v15, 29, v13
	v_sub_nc_u32_e32 v13, 30, v13
	s_delay_alu instid0(VALU_DEP_2) | instskip(NEXT) | instid1(VALU_DEP_2)
	v_lshlrev_b32_e32 v9, v15, v9
	v_cndmask_b32_e32 v13, v17, v13, vcc_lo
	s_delay_alu instid0(VALU_DEP_2) | instskip(NEXT) | instid1(VALU_DEP_1)
	v_and_b32_e32 v9, 3, v9
	v_cndmask_b32_e32 v9, v11, v9, vcc_lo
	s_delay_alu instid0(VALU_DEP_3) | instskip(NEXT) | instid1(VALU_DEP_2)
	v_lshl_add_u32 v11, v13, 23, 0x37800000
	v_lshlrev_b32_e32 v9, 21, v9
	s_delay_alu instid0(VALU_DEP_1) | instskip(NEXT) | instid1(VALU_DEP_1)
	v_or3_b32 v7, v7, v11, v9
	v_cvt_i32_f32_e32 v20, v7
.LBB119_2913:
	s_or_b32 exec_lo, exec_lo, s17
	s_mov_b32 s17, 0
	s_branch .LBB119_2919
.LBB119_2914:
	s_mov_b32 s17, -1
                                        ; implicit-def: $vgpr20
	s_branch .LBB119_2925
.LBB119_2915:
	s_and_not1_saveexec_b32 s18, s18
	s_cbranch_execz .LBB119_2900
.LBB119_2916:
	v_cmp_ne_u16_e32 vcc_lo, 0, v7
	s_and_not1_b32 s19, s19, exec_lo
	s_and_b32 s20, vcc_lo, exec_lo
	s_delay_alu instid0(SALU_CYCLE_1)
	s_or_b32 s19, s19, s20
	s_or_b32 exec_lo, exec_lo, s18
	v_mov_b32_e32 v20, 0
	s_and_saveexec_b32 s18, s19
	s_cbranch_execnz .LBB119_2901
	s_branch .LBB119_2902
.LBB119_2917:
	s_mov_b32 s17, -1
                                        ; implicit-def: $vgpr20
	s_branch .LBB119_2922
.LBB119_2918:
	s_mov_b32 s17, -1
                                        ; implicit-def: $vgpr20
.LBB119_2919:
	s_delay_alu instid0(SALU_CYCLE_1)
	s_and_b32 vcc_lo, exec_lo, s17
	s_cbranch_vccz .LBB119_2921
; %bb.2920:
	global_load_u8 v7, v[18:19], off
	s_wait_loadcnt 0x0
	v_lshlrev_b32_e32 v7, 24, v7
	s_delay_alu instid0(VALU_DEP_1) | instskip(NEXT) | instid1(VALU_DEP_1)
	v_and_b32_e32 v9, 0x7f000000, v7
	v_clz_i32_u32_e32 v11, v9
	v_add_nc_u32_e32 v15, 0x1000000, v9
	v_cmp_ne_u32_e32 vcc_lo, 0, v9
	s_delay_alu instid0(VALU_DEP_3) | instskip(NEXT) | instid1(VALU_DEP_1)
	v_min_u32_e32 v11, 32, v11
	v_sub_nc_u32_e64 v11, v11, 4 clamp
	s_delay_alu instid0(VALU_DEP_1) | instskip(NEXT) | instid1(VALU_DEP_1)
	v_dual_lshlrev_b32 v13, v11, v9 :: v_dual_lshlrev_b32 v11, 23, v11
	v_lshrrev_b32_e32 v13, 4, v13
	s_delay_alu instid0(VALU_DEP_1) | instskip(SKIP_1) | instid1(VALU_DEP_2)
	v_sub_nc_u32_e32 v11, v13, v11
	v_ashrrev_i32_e32 v13, 8, v15
	v_add_nc_u32_e32 v11, 0x3c000000, v11
	s_delay_alu instid0(VALU_DEP_1) | instskip(NEXT) | instid1(VALU_DEP_1)
	v_and_or_b32 v11, 0x7f800000, v13, v11
	v_cndmask_b32_e32 v9, 0, v11, vcc_lo
	s_delay_alu instid0(VALU_DEP_1) | instskip(SKIP_1) | instid1(VALU_DEP_1)
	v_and_or_b32 v7, 0x80000000, v7, v9
	s_wait_xcnt 0x1
	v_cvt_i32_f32_e32 v20, v7
.LBB119_2921:
	s_mov_b32 s17, 0
.LBB119_2922:
	s_delay_alu instid0(SALU_CYCLE_1)
	s_and_not1_b32 vcc_lo, exec_lo, s17
	s_cbranch_vccnz .LBB119_2924
; %bb.2923:
	global_load_u8 v7, v[18:19], off
	s_wait_loadcnt 0x0
	v_lshlrev_b32_e32 v9, 25, v7
	v_lshlrev_b16 v7, 8, v7
	s_delay_alu instid0(VALU_DEP_1) | instskip(SKIP_1) | instid1(VALU_DEP_2)
	v_and_or_b32 v13, 0x7f00, v7, 0.5
	v_bfe_i32 v7, v7, 0, 16
	v_add_f32_e32 v13, -0.5, v13
	v_lshrrev_b32_e32 v11, 4, v9
	v_cmp_gt_u32_e32 vcc_lo, 0x8000000, v9
	s_delay_alu instid0(VALU_DEP_2) | instskip(NEXT) | instid1(VALU_DEP_1)
	v_or_b32_e32 v11, 0x70000000, v11
	v_mul_f32_e32 v11, 0x7800000, v11
	s_delay_alu instid0(VALU_DEP_1) | instskip(NEXT) | instid1(VALU_DEP_1)
	v_cndmask_b32_e32 v9, v11, v13, vcc_lo
	v_and_or_b32 v7, 0x80000000, v7, v9
	s_wait_xcnt 0x1
	s_delay_alu instid0(VALU_DEP_1)
	v_cvt_i32_f32_e32 v20, v7
.LBB119_2924:
	s_mov_b32 s17, 0
	s_mov_b32 s18, -1
.LBB119_2925:
	s_and_not1_b32 vcc_lo, exec_lo, s17
	s_mov_b32 s17, 0
	s_cbranch_vccnz .LBB119_2936
; %bb.2926:
	s_cmp_gt_i32 s13, 14
	s_cbranch_scc0 .LBB119_2929
; %bb.2927:
	s_cmp_eq_u32 s13, 15
	s_cbranch_scc0 .LBB119_2932
; %bb.2928:
	global_load_u16 v7, v[18:19], off
	s_mov_b32 s16, 0
	s_mov_b32 s18, -1
	s_wait_loadcnt 0x0
	v_lshlrev_b32_e32 v7, 16, v7
	s_wait_xcnt 0x1
	s_delay_alu instid0(VALU_DEP_1)
	v_cvt_i32_f32_e32 v20, v7
	s_branch .LBB119_2934
.LBB119_2929:
	s_mov_b32 s17, -1
	s_branch .LBB119_2933
.LBB119_2930:
	s_and_not1_saveexec_b32 s17, s17
	s_cbranch_execz .LBB119_2911
.LBB119_2931:
	v_cmp_ne_u16_e32 vcc_lo, 0, v7
	s_and_not1_b32 s18, s18, exec_lo
	s_and_b32 s19, vcc_lo, exec_lo
	s_delay_alu instid0(SALU_CYCLE_1)
	s_or_b32 s18, s18, s19
	s_or_b32 exec_lo, exec_lo, s17
	v_mov_b32_e32 v20, 0
	s_and_saveexec_b32 s17, s18
	s_cbranch_execnz .LBB119_2912
	s_branch .LBB119_2913
.LBB119_2932:
	s_mov_b32 s16, -1
.LBB119_2933:
                                        ; implicit-def: $vgpr20
.LBB119_2934:
	s_and_b32 vcc_lo, exec_lo, s17
	s_mov_b32 s17, 0
	s_cbranch_vccz .LBB119_2936
; %bb.2935:
	s_cmp_lg_u32 s13, 11
	s_mov_b32 s17, -1
	s_cselect_b32 s16, -1, 0
.LBB119_2936:
	s_delay_alu instid0(SALU_CYCLE_1)
	s_and_b32 vcc_lo, exec_lo, s16
	s_cbranch_vccnz .LBB119_3001
; %bb.2937:
	s_and_not1_b32 vcc_lo, exec_lo, s17
	s_cbranch_vccnz .LBB119_2939
.LBB119_2938:
	global_load_u8 v7, v[18:19], off
	s_mov_b32 s18, -1
	s_wait_loadcnt 0x0
	v_cmp_ne_u16_e32 vcc_lo, 0, v7
	s_wait_xcnt 0x1
	v_cndmask_b32_e64 v20, 0, 1, vcc_lo
.LBB119_2939:
	s_mov_b32 s16, 0
.LBB119_2940:
	s_delay_alu instid0(SALU_CYCLE_1)
	s_and_b32 vcc_lo, exec_lo, s16
	s_cbranch_vccz .LBB119_2989
; %bb.2941:
	s_cmp_lt_i32 s13, 5
	s_cbranch_scc1 .LBB119_2946
; %bb.2942:
	s_cmp_lt_i32 s13, 8
	s_cbranch_scc1 .LBB119_2947
	;; [unrolled: 3-line block ×3, first 2 shown]
; %bb.2944:
	s_cmp_gt_i32 s13, 9
	s_cbranch_scc0 .LBB119_2949
; %bb.2945:
	s_wait_loadcnt 0x0
	global_load_b64 v[20:21], v[18:19], off
	s_mov_b32 s16, 0
	s_wait_loadcnt 0x0
	v_cvt_i32_f64_e32 v20, v[20:21]
	s_branch .LBB119_2950
.LBB119_2946:
	s_mov_b32 s16, -1
                                        ; implicit-def: $vgpr20
	s_branch .LBB119_2968
.LBB119_2947:
	s_mov_b32 s16, -1
                                        ; implicit-def: $vgpr20
	s_branch .LBB119_2956
.LBB119_2948:
	s_mov_b32 s16, -1
                                        ; implicit-def: $vgpr20
	s_branch .LBB119_2953
.LBB119_2949:
	s_mov_b32 s16, -1
                                        ; implicit-def: $vgpr20
.LBB119_2950:
	s_delay_alu instid0(SALU_CYCLE_1)
	s_and_not1_b32 vcc_lo, exec_lo, s16
	s_cbranch_vccnz .LBB119_2952
; %bb.2951:
	global_load_b32 v7, v[18:19], off
	s_wait_loadcnt 0x0
	s_wait_xcnt 0x1
	v_cvt_i32_f32_e32 v20, v7
.LBB119_2952:
	s_mov_b32 s16, 0
.LBB119_2953:
	s_delay_alu instid0(SALU_CYCLE_1)
	s_and_not1_b32 vcc_lo, exec_lo, s16
	s_cbranch_vccnz .LBB119_2955
; %bb.2954:
	global_load_b32 v7, v[18:19], off
	s_wait_loadcnt 0x0
	v_cvt_f32_f16_e32 v7, v7
	s_wait_xcnt 0x1
	s_delay_alu instid0(VALU_DEP_1)
	v_cvt_i32_f32_e32 v20, v7
.LBB119_2955:
	s_mov_b32 s16, 0
.LBB119_2956:
	s_delay_alu instid0(SALU_CYCLE_1)
	s_and_not1_b32 vcc_lo, exec_lo, s16
	s_cbranch_vccnz .LBB119_2967
; %bb.2957:
	s_cmp_lt_i32 s13, 6
	s_cbranch_scc1 .LBB119_2960
; %bb.2958:
	s_cmp_gt_i32 s13, 6
	s_cbranch_scc0 .LBB119_2961
; %bb.2959:
	s_wait_loadcnt 0x0
	global_load_b64 v[20:21], v[18:19], off
	s_mov_b32 s16, 0
	s_wait_loadcnt 0x0
	v_cvt_i32_f64_e32 v20, v[20:21]
	s_branch .LBB119_2962
.LBB119_2960:
	s_mov_b32 s16, -1
                                        ; implicit-def: $vgpr20
	s_branch .LBB119_2965
.LBB119_2961:
	s_mov_b32 s16, -1
                                        ; implicit-def: $vgpr20
.LBB119_2962:
	s_delay_alu instid0(SALU_CYCLE_1)
	s_and_not1_b32 vcc_lo, exec_lo, s16
	s_cbranch_vccnz .LBB119_2964
; %bb.2963:
	global_load_b32 v7, v[18:19], off
	s_wait_loadcnt 0x0
	s_wait_xcnt 0x1
	v_cvt_i32_f32_e32 v20, v7
.LBB119_2964:
	s_mov_b32 s16, 0
.LBB119_2965:
	s_delay_alu instid0(SALU_CYCLE_1)
	s_and_not1_b32 vcc_lo, exec_lo, s16
	s_cbranch_vccnz .LBB119_2967
; %bb.2966:
	global_load_u16 v7, v[18:19], off
	s_wait_loadcnt 0x0
	v_cvt_f32_f16_e32 v7, v7
	s_wait_xcnt 0x1
	s_delay_alu instid0(VALU_DEP_1)
	v_cvt_i32_f32_e32 v20, v7
.LBB119_2967:
	s_mov_b32 s16, 0
.LBB119_2968:
	s_delay_alu instid0(SALU_CYCLE_1)
	s_and_not1_b32 vcc_lo, exec_lo, s16
	s_cbranch_vccnz .LBB119_2988
; %bb.2969:
	s_cmp_lt_i32 s13, 2
	s_cbranch_scc1 .LBB119_2973
; %bb.2970:
	s_cmp_lt_i32 s13, 3
	s_cbranch_scc1 .LBB119_2974
; %bb.2971:
	s_cmp_gt_i32 s13, 3
	s_cbranch_scc0 .LBB119_2975
; %bb.2972:
	s_wait_loadcnt 0x0
	global_load_b32 v20, v[18:19], off
	s_mov_b32 s16, 0
	s_branch .LBB119_2976
.LBB119_2973:
	s_mov_b32 s16, -1
                                        ; implicit-def: $vgpr20
	s_branch .LBB119_2982
.LBB119_2974:
	s_mov_b32 s16, -1
                                        ; implicit-def: $vgpr20
	s_branch .LBB119_2979
.LBB119_2975:
	s_mov_b32 s16, -1
                                        ; implicit-def: $vgpr20
.LBB119_2976:
	s_delay_alu instid0(SALU_CYCLE_1)
	s_and_not1_b32 vcc_lo, exec_lo, s16
	s_cbranch_vccnz .LBB119_2978
; %bb.2977:
	s_wait_loadcnt 0x0
	global_load_b32 v20, v[18:19], off
.LBB119_2978:
	s_mov_b32 s16, 0
.LBB119_2979:
	s_delay_alu instid0(SALU_CYCLE_1)
	s_and_not1_b32 vcc_lo, exec_lo, s16
	s_cbranch_vccnz .LBB119_2981
; %bb.2980:
	s_wait_loadcnt 0x0
	global_load_i16 v20, v[18:19], off
.LBB119_2981:
	s_mov_b32 s16, 0
.LBB119_2982:
	s_delay_alu instid0(SALU_CYCLE_1)
	s_and_not1_b32 vcc_lo, exec_lo, s16
	s_cbranch_vccnz .LBB119_2988
; %bb.2983:
	s_cmp_gt_i32 s13, 0
	s_mov_b32 s16, 0
	s_cbranch_scc0 .LBB119_2985
; %bb.2984:
	s_wait_loadcnt 0x0
	global_load_i8 v20, v[18:19], off
	s_branch .LBB119_2986
.LBB119_2985:
	s_mov_b32 s16, -1
                                        ; implicit-def: $vgpr20
.LBB119_2986:
	s_delay_alu instid0(SALU_CYCLE_1)
	s_and_not1_b32 vcc_lo, exec_lo, s16
	s_cbranch_vccnz .LBB119_2988
; %bb.2987:
	s_wait_loadcnt 0x0
	global_load_u8 v20, v[18:19], off
.LBB119_2988:
	s_mov_b32 s18, -1
.LBB119_2989:
	s_delay_alu instid0(SALU_CYCLE_1)
	s_and_not1_b32 vcc_lo, exec_lo, s18
	s_cbranch_vccnz .LBB119_4058
; %bb.2990:
	v_mov_b32_e32 v17, 0
	s_cmp_lt_i32 s14, 11
	s_delay_alu instid0(VALU_DEP_1)
	v_add_nc_u64_e32 v[16:17], s[0:1], v[16:17]
	s_cbranch_scc1 .LBB119_2997
; %bb.2991:
	s_cmp_gt_i32 s14, 25
	s_mov_b32 s17, 0
	s_cbranch_scc0 .LBB119_2998
; %bb.2992:
	s_cmp_gt_i32 s14, 28
	s_cbranch_scc0 .LBB119_2999
; %bb.2993:
	s_cmp_gt_i32 s14, 43
	;; [unrolled: 3-line block ×3, first 2 shown]
	s_cbranch_scc0 .LBB119_3002
; %bb.2995:
	s_cmp_eq_u32 s14, 46
	s_mov_b32 s19, 0
	s_cbranch_scc0 .LBB119_3003
; %bb.2996:
	global_load_b32 v7, v[16:17], off
	s_mov_b32 s16, 0
	s_mov_b32 s18, -1
	s_wait_loadcnt 0x0
	v_lshlrev_b32_e32 v7, 16, v7
	s_wait_xcnt 0x1
	s_delay_alu instid0(VALU_DEP_1)
	v_cvt_i32_f32_e32 v18, v7
	s_branch .LBB119_3005
.LBB119_2997:
	s_mov_b32 s16, -1
	s_mov_b32 s18, 0
                                        ; implicit-def: $vgpr18
	s_branch .LBB119_3067
.LBB119_2998:
	s_mov_b32 s19, -1
	s_mov_b32 s18, 0
	s_mov_b32 s16, 0
                                        ; implicit-def: $vgpr18
	s_branch .LBB119_3032
.LBB119_2999:
	s_mov_b32 s19, -1
	s_mov_b32 s18, 0
	s_mov_b32 s16, 0
                                        ; implicit-def: $vgpr18
	s_branch .LBB119_3015
.LBB119_3000:
	s_mov_b32 s19, -1
	s_mov_b32 s18, 0
	s_mov_b32 s16, 0
                                        ; implicit-def: $vgpr18
	s_branch .LBB119_3010
.LBB119_3001:
	s_or_b32 s12, s12, exec_lo
	s_trap 2
	s_cbranch_execz .LBB119_2938
	s_branch .LBB119_2939
.LBB119_3002:
	s_mov_b32 s19, -1
	s_mov_b32 s18, 0
	s_mov_b32 s16, 0
	s_branch .LBB119_3004
.LBB119_3003:
	s_mov_b32 s16, -1
	s_mov_b32 s18, 0
.LBB119_3004:
                                        ; implicit-def: $vgpr18
.LBB119_3005:
	s_and_b32 vcc_lo, exec_lo, s19
	s_cbranch_vccz .LBB119_3009
; %bb.3006:
	s_cmp_eq_u32 s14, 44
	s_cbranch_scc0 .LBB119_3008
; %bb.3007:
	global_load_u8 v7, v[16:17], off
	s_mov_b32 s16, 0
	s_mov_b32 s18, -1
	s_wait_loadcnt 0x0
	v_lshlrev_b32_e32 v9, 23, v7
	v_cmp_ne_u32_e32 vcc_lo, 0, v7
	s_delay_alu instid0(VALU_DEP_2) | instskip(SKIP_1) | instid1(VALU_DEP_1)
	v_cvt_i32_f32_e32 v9, v9
	s_wait_xcnt 0x1
	v_cndmask_b32_e32 v18, 0, v9, vcc_lo
	s_branch .LBB119_3009
.LBB119_3008:
	s_mov_b32 s16, -1
                                        ; implicit-def: $vgpr18
.LBB119_3009:
	s_mov_b32 s19, 0
.LBB119_3010:
	s_delay_alu instid0(SALU_CYCLE_1)
	s_and_b32 vcc_lo, exec_lo, s19
	s_cbranch_vccz .LBB119_3014
; %bb.3011:
	s_cmp_eq_u32 s14, 29
	s_cbranch_scc0 .LBB119_3013
; %bb.3012:
	global_load_b32 v18, v[16:17], off
	s_mov_b32 s16, 0
	s_mov_b32 s18, -1
	s_branch .LBB119_3014
.LBB119_3013:
	s_mov_b32 s16, -1
                                        ; implicit-def: $vgpr18
.LBB119_3014:
	s_mov_b32 s19, 0
.LBB119_3015:
	s_delay_alu instid0(SALU_CYCLE_1)
	s_and_b32 vcc_lo, exec_lo, s19
	s_cbranch_vccz .LBB119_3031
; %bb.3016:
	s_cmp_lt_i32 s14, 27
	s_cbranch_scc1 .LBB119_3019
; %bb.3017:
	s_cmp_gt_i32 s14, 27
	s_cbranch_scc0 .LBB119_3020
; %bb.3018:
	s_wait_loadcnt 0x0
	global_load_b32 v18, v[16:17], off
	s_mov_b32 s18, 0
	s_branch .LBB119_3021
.LBB119_3019:
	s_mov_b32 s18, -1
                                        ; implicit-def: $vgpr18
	s_branch .LBB119_3024
.LBB119_3020:
	s_mov_b32 s18, -1
                                        ; implicit-def: $vgpr18
.LBB119_3021:
	s_delay_alu instid0(SALU_CYCLE_1)
	s_and_not1_b32 vcc_lo, exec_lo, s18
	s_cbranch_vccnz .LBB119_3023
; %bb.3022:
	s_wait_loadcnt 0x0
	global_load_u16 v18, v[16:17], off
.LBB119_3023:
	s_mov_b32 s18, 0
.LBB119_3024:
	s_delay_alu instid0(SALU_CYCLE_1)
	s_and_not1_b32 vcc_lo, exec_lo, s18
	s_cbranch_vccnz .LBB119_3030
; %bb.3025:
	global_load_u8 v7, v[16:17], off
	s_mov_b32 s19, 0
	s_mov_b32 s18, exec_lo
	s_wait_loadcnt 0x0
	v_cmpx_lt_i16_e32 0x7f, v7
	s_xor_b32 s18, exec_lo, s18
	s_cbranch_execz .LBB119_3042
; %bb.3026:
	v_cmp_ne_u16_e32 vcc_lo, 0x80, v7
	s_and_b32 s19, vcc_lo, exec_lo
	s_and_not1_saveexec_b32 s18, s18
	s_cbranch_execnz .LBB119_3043
.LBB119_3027:
	s_or_b32 exec_lo, exec_lo, s18
	v_mov_b32_e32 v18, 0
	s_and_saveexec_b32 s18, s19
	s_cbranch_execz .LBB119_3029
.LBB119_3028:
	v_and_b32_e32 v9, 0xffff, v7
	s_delay_alu instid0(VALU_DEP_1) | instskip(SKIP_1) | instid1(VALU_DEP_2)
	v_dual_lshlrev_b32 v7, 24, v7 :: v_dual_bitop2_b32 v11, 7, v9 bitop3:0x40
	v_bfe_u32 v18, v9, 3, 4
	v_and_b32_e32 v7, 0x80000000, v7
	s_delay_alu instid0(VALU_DEP_3) | instskip(NEXT) | instid1(VALU_DEP_3)
	v_clz_i32_u32_e32 v13, v11
	v_cmp_eq_u32_e32 vcc_lo, 0, v18
	s_delay_alu instid0(VALU_DEP_2) | instskip(NEXT) | instid1(VALU_DEP_1)
	v_min_u32_e32 v13, 32, v13
	v_subrev_nc_u32_e32 v15, 28, v13
	v_sub_nc_u32_e32 v13, 29, v13
	s_delay_alu instid0(VALU_DEP_2) | instskip(NEXT) | instid1(VALU_DEP_2)
	v_lshlrev_b32_e32 v9, v15, v9
	v_cndmask_b32_e32 v13, v18, v13, vcc_lo
	s_delay_alu instid0(VALU_DEP_2) | instskip(NEXT) | instid1(VALU_DEP_1)
	v_and_b32_e32 v9, 7, v9
	v_cndmask_b32_e32 v9, v11, v9, vcc_lo
	s_delay_alu instid0(VALU_DEP_3) | instskip(NEXT) | instid1(VALU_DEP_2)
	v_lshl_add_u32 v11, v13, 23, 0x3b800000
	v_lshlrev_b32_e32 v9, 20, v9
	s_delay_alu instid0(VALU_DEP_1) | instskip(NEXT) | instid1(VALU_DEP_1)
	v_or3_b32 v7, v7, v11, v9
	v_cvt_i32_f32_e32 v18, v7
.LBB119_3029:
	s_or_b32 exec_lo, exec_lo, s18
.LBB119_3030:
	s_mov_b32 s18, -1
.LBB119_3031:
	s_mov_b32 s19, 0
.LBB119_3032:
	s_delay_alu instid0(SALU_CYCLE_1)
	s_and_b32 vcc_lo, exec_lo, s19
	s_cbranch_vccz .LBB119_3063
; %bb.3033:
	s_cmp_gt_i32 s14, 22
	s_cbranch_scc0 .LBB119_3041
; %bb.3034:
	s_cmp_lt_i32 s14, 24
	s_cbranch_scc1 .LBB119_3044
; %bb.3035:
	s_cmp_gt_i32 s14, 24
	s_cbranch_scc0 .LBB119_3045
; %bb.3036:
	global_load_u8 v7, v[16:17], off
	s_mov_b32 s18, 0
	s_mov_b32 s17, exec_lo
	s_wait_loadcnt 0x0
	v_cmpx_lt_i16_e32 0x7f, v7
	s_xor_b32 s17, exec_lo, s17
	s_cbranch_execz .LBB119_3057
; %bb.3037:
	v_cmp_ne_u16_e32 vcc_lo, 0x80, v7
	s_and_b32 s18, vcc_lo, exec_lo
	s_and_not1_saveexec_b32 s17, s17
	s_cbranch_execnz .LBB119_3058
.LBB119_3038:
	s_or_b32 exec_lo, exec_lo, s17
	v_mov_b32_e32 v18, 0
	s_and_saveexec_b32 s17, s18
	s_cbranch_execz .LBB119_3040
.LBB119_3039:
	v_and_b32_e32 v9, 0xffff, v7
	s_delay_alu instid0(VALU_DEP_1) | instskip(SKIP_1) | instid1(VALU_DEP_2)
	v_dual_lshlrev_b32 v7, 24, v7 :: v_dual_bitop2_b32 v11, 3, v9 bitop3:0x40
	v_bfe_u32 v18, v9, 2, 5
	v_and_b32_e32 v7, 0x80000000, v7
	s_delay_alu instid0(VALU_DEP_3) | instskip(NEXT) | instid1(VALU_DEP_3)
	v_clz_i32_u32_e32 v13, v11
	v_cmp_eq_u32_e32 vcc_lo, 0, v18
	s_delay_alu instid0(VALU_DEP_2) | instskip(NEXT) | instid1(VALU_DEP_1)
	v_min_u32_e32 v13, 32, v13
	v_subrev_nc_u32_e32 v15, 29, v13
	v_sub_nc_u32_e32 v13, 30, v13
	s_delay_alu instid0(VALU_DEP_2) | instskip(NEXT) | instid1(VALU_DEP_2)
	v_lshlrev_b32_e32 v9, v15, v9
	v_cndmask_b32_e32 v13, v18, v13, vcc_lo
	s_delay_alu instid0(VALU_DEP_2) | instskip(NEXT) | instid1(VALU_DEP_1)
	v_and_b32_e32 v9, 3, v9
	v_cndmask_b32_e32 v9, v11, v9, vcc_lo
	s_delay_alu instid0(VALU_DEP_3) | instskip(NEXT) | instid1(VALU_DEP_2)
	v_lshl_add_u32 v11, v13, 23, 0x37800000
	v_lshlrev_b32_e32 v9, 21, v9
	s_delay_alu instid0(VALU_DEP_1) | instskip(NEXT) | instid1(VALU_DEP_1)
	v_or3_b32 v7, v7, v11, v9
	v_cvt_i32_f32_e32 v18, v7
.LBB119_3040:
	s_or_b32 exec_lo, exec_lo, s17
	s_mov_b32 s17, 0
	s_branch .LBB119_3046
.LBB119_3041:
	s_mov_b32 s17, -1
                                        ; implicit-def: $vgpr18
	s_branch .LBB119_3052
.LBB119_3042:
	s_and_not1_saveexec_b32 s18, s18
	s_cbranch_execz .LBB119_3027
.LBB119_3043:
	v_cmp_ne_u16_e32 vcc_lo, 0, v7
	s_and_not1_b32 s19, s19, exec_lo
	s_and_b32 s20, vcc_lo, exec_lo
	s_delay_alu instid0(SALU_CYCLE_1)
	s_or_b32 s19, s19, s20
	s_or_b32 exec_lo, exec_lo, s18
	v_mov_b32_e32 v18, 0
	s_and_saveexec_b32 s18, s19
	s_cbranch_execnz .LBB119_3028
	s_branch .LBB119_3029
.LBB119_3044:
	s_mov_b32 s17, -1
                                        ; implicit-def: $vgpr18
	s_branch .LBB119_3049
.LBB119_3045:
	s_mov_b32 s17, -1
                                        ; implicit-def: $vgpr18
.LBB119_3046:
	s_delay_alu instid0(SALU_CYCLE_1)
	s_and_b32 vcc_lo, exec_lo, s17
	s_cbranch_vccz .LBB119_3048
; %bb.3047:
	global_load_u8 v7, v[16:17], off
	s_wait_loadcnt 0x0
	v_lshlrev_b32_e32 v7, 24, v7
	s_delay_alu instid0(VALU_DEP_1) | instskip(NEXT) | instid1(VALU_DEP_1)
	v_and_b32_e32 v9, 0x7f000000, v7
	v_clz_i32_u32_e32 v11, v9
	v_add_nc_u32_e32 v15, 0x1000000, v9
	v_cmp_ne_u32_e32 vcc_lo, 0, v9
	s_delay_alu instid0(VALU_DEP_3) | instskip(NEXT) | instid1(VALU_DEP_1)
	v_min_u32_e32 v11, 32, v11
	v_sub_nc_u32_e64 v11, v11, 4 clamp
	s_delay_alu instid0(VALU_DEP_1) | instskip(NEXT) | instid1(VALU_DEP_1)
	v_dual_lshlrev_b32 v13, v11, v9 :: v_dual_lshlrev_b32 v11, 23, v11
	v_lshrrev_b32_e32 v13, 4, v13
	s_delay_alu instid0(VALU_DEP_1) | instskip(SKIP_1) | instid1(VALU_DEP_2)
	v_sub_nc_u32_e32 v11, v13, v11
	v_ashrrev_i32_e32 v13, 8, v15
	v_add_nc_u32_e32 v11, 0x3c000000, v11
	s_delay_alu instid0(VALU_DEP_1) | instskip(NEXT) | instid1(VALU_DEP_1)
	v_and_or_b32 v11, 0x7f800000, v13, v11
	v_cndmask_b32_e32 v9, 0, v11, vcc_lo
	s_delay_alu instid0(VALU_DEP_1) | instskip(SKIP_1) | instid1(VALU_DEP_1)
	v_and_or_b32 v7, 0x80000000, v7, v9
	s_wait_xcnt 0x1
	v_cvt_i32_f32_e32 v18, v7
.LBB119_3048:
	s_mov_b32 s17, 0
.LBB119_3049:
	s_delay_alu instid0(SALU_CYCLE_1)
	s_and_not1_b32 vcc_lo, exec_lo, s17
	s_cbranch_vccnz .LBB119_3051
; %bb.3050:
	global_load_u8 v7, v[16:17], off
	s_wait_loadcnt 0x0
	v_lshlrev_b32_e32 v9, 25, v7
	v_lshlrev_b16 v7, 8, v7
	s_delay_alu instid0(VALU_DEP_1) | instskip(SKIP_1) | instid1(VALU_DEP_2)
	v_and_or_b32 v13, 0x7f00, v7, 0.5
	v_bfe_i32 v7, v7, 0, 16
	v_add_f32_e32 v13, -0.5, v13
	v_lshrrev_b32_e32 v11, 4, v9
	v_cmp_gt_u32_e32 vcc_lo, 0x8000000, v9
	s_delay_alu instid0(VALU_DEP_2) | instskip(NEXT) | instid1(VALU_DEP_1)
	v_or_b32_e32 v11, 0x70000000, v11
	v_mul_f32_e32 v11, 0x7800000, v11
	s_delay_alu instid0(VALU_DEP_1) | instskip(NEXT) | instid1(VALU_DEP_1)
	v_cndmask_b32_e32 v9, v11, v13, vcc_lo
	v_and_or_b32 v7, 0x80000000, v7, v9
	s_wait_xcnt 0x1
	s_delay_alu instid0(VALU_DEP_1)
	v_cvt_i32_f32_e32 v18, v7
.LBB119_3051:
	s_mov_b32 s17, 0
	s_mov_b32 s18, -1
.LBB119_3052:
	s_and_not1_b32 vcc_lo, exec_lo, s17
	s_mov_b32 s17, 0
	s_cbranch_vccnz .LBB119_3063
; %bb.3053:
	s_cmp_gt_i32 s14, 14
	s_cbranch_scc0 .LBB119_3056
; %bb.3054:
	s_cmp_eq_u32 s14, 15
	s_cbranch_scc0 .LBB119_3059
; %bb.3055:
	global_load_u16 v7, v[16:17], off
	s_mov_b32 s16, 0
	s_mov_b32 s18, -1
	s_wait_loadcnt 0x0
	v_lshlrev_b32_e32 v7, 16, v7
	s_wait_xcnt 0x1
	s_delay_alu instid0(VALU_DEP_1)
	v_cvt_i32_f32_e32 v18, v7
	s_branch .LBB119_3061
.LBB119_3056:
	s_mov_b32 s17, -1
	s_branch .LBB119_3060
.LBB119_3057:
	s_and_not1_saveexec_b32 s17, s17
	s_cbranch_execz .LBB119_3038
.LBB119_3058:
	v_cmp_ne_u16_e32 vcc_lo, 0, v7
	s_and_not1_b32 s18, s18, exec_lo
	s_and_b32 s19, vcc_lo, exec_lo
	s_delay_alu instid0(SALU_CYCLE_1)
	s_or_b32 s18, s18, s19
	s_or_b32 exec_lo, exec_lo, s17
	v_mov_b32_e32 v18, 0
	s_and_saveexec_b32 s17, s18
	s_cbranch_execnz .LBB119_3039
	s_branch .LBB119_3040
.LBB119_3059:
	s_mov_b32 s16, -1
.LBB119_3060:
                                        ; implicit-def: $vgpr18
.LBB119_3061:
	s_and_b32 vcc_lo, exec_lo, s17
	s_mov_b32 s17, 0
	s_cbranch_vccz .LBB119_3063
; %bb.3062:
	s_cmp_lg_u32 s14, 11
	s_mov_b32 s17, -1
	s_cselect_b32 s16, -1, 0
.LBB119_3063:
	s_delay_alu instid0(SALU_CYCLE_1)
	s_and_b32 vcc_lo, exec_lo, s16
	s_cbranch_vccnz .LBB119_3128
; %bb.3064:
	s_and_not1_b32 vcc_lo, exec_lo, s17
	s_cbranch_vccnz .LBB119_3066
.LBB119_3065:
	global_load_u8 v7, v[16:17], off
	s_mov_b32 s18, -1
	s_wait_loadcnt 0x0
	v_cmp_ne_u16_e32 vcc_lo, 0, v7
	s_wait_xcnt 0x1
	v_cndmask_b32_e64 v18, 0, 1, vcc_lo
.LBB119_3066:
	s_mov_b32 s16, 0
.LBB119_3067:
	s_delay_alu instid0(SALU_CYCLE_1)
	s_and_b32 vcc_lo, exec_lo, s16
	s_cbranch_vccz .LBB119_3116
; %bb.3068:
	s_cmp_lt_i32 s14, 5
	s_cbranch_scc1 .LBB119_3073
; %bb.3069:
	s_cmp_lt_i32 s14, 8
	s_cbranch_scc1 .LBB119_3074
	;; [unrolled: 3-line block ×3, first 2 shown]
; %bb.3071:
	s_cmp_gt_i32 s14, 9
	s_cbranch_scc0 .LBB119_3076
; %bb.3072:
	s_wait_loadcnt 0x0
	global_load_b64 v[18:19], v[16:17], off
	s_mov_b32 s16, 0
	s_wait_loadcnt 0x0
	v_cvt_i32_f64_e32 v18, v[18:19]
	s_branch .LBB119_3077
.LBB119_3073:
	s_mov_b32 s16, -1
                                        ; implicit-def: $vgpr18
	s_branch .LBB119_3095
.LBB119_3074:
	s_mov_b32 s16, -1
                                        ; implicit-def: $vgpr18
	s_branch .LBB119_3083
.LBB119_3075:
	s_mov_b32 s16, -1
                                        ; implicit-def: $vgpr18
	s_branch .LBB119_3080
.LBB119_3076:
	s_mov_b32 s16, -1
                                        ; implicit-def: $vgpr18
.LBB119_3077:
	s_delay_alu instid0(SALU_CYCLE_1)
	s_and_not1_b32 vcc_lo, exec_lo, s16
	s_cbranch_vccnz .LBB119_3079
; %bb.3078:
	global_load_b32 v7, v[16:17], off
	s_wait_loadcnt 0x0
	s_wait_xcnt 0x1
	v_cvt_i32_f32_e32 v18, v7
.LBB119_3079:
	s_mov_b32 s16, 0
.LBB119_3080:
	s_delay_alu instid0(SALU_CYCLE_1)
	s_and_not1_b32 vcc_lo, exec_lo, s16
	s_cbranch_vccnz .LBB119_3082
; %bb.3081:
	global_load_b32 v7, v[16:17], off
	s_wait_loadcnt 0x0
	v_cvt_f32_f16_e32 v7, v7
	s_wait_xcnt 0x1
	s_delay_alu instid0(VALU_DEP_1)
	v_cvt_i32_f32_e32 v18, v7
.LBB119_3082:
	s_mov_b32 s16, 0
.LBB119_3083:
	s_delay_alu instid0(SALU_CYCLE_1)
	s_and_not1_b32 vcc_lo, exec_lo, s16
	s_cbranch_vccnz .LBB119_3094
; %bb.3084:
	s_cmp_lt_i32 s14, 6
	s_cbranch_scc1 .LBB119_3087
; %bb.3085:
	s_cmp_gt_i32 s14, 6
	s_cbranch_scc0 .LBB119_3088
; %bb.3086:
	s_wait_loadcnt 0x0
	global_load_b64 v[18:19], v[16:17], off
	s_mov_b32 s16, 0
	s_wait_loadcnt 0x0
	v_cvt_i32_f64_e32 v18, v[18:19]
	s_branch .LBB119_3089
.LBB119_3087:
	s_mov_b32 s16, -1
                                        ; implicit-def: $vgpr18
	s_branch .LBB119_3092
.LBB119_3088:
	s_mov_b32 s16, -1
                                        ; implicit-def: $vgpr18
.LBB119_3089:
	s_delay_alu instid0(SALU_CYCLE_1)
	s_and_not1_b32 vcc_lo, exec_lo, s16
	s_cbranch_vccnz .LBB119_3091
; %bb.3090:
	global_load_b32 v7, v[16:17], off
	s_wait_loadcnt 0x0
	s_wait_xcnt 0x1
	v_cvt_i32_f32_e32 v18, v7
.LBB119_3091:
	s_mov_b32 s16, 0
.LBB119_3092:
	s_delay_alu instid0(SALU_CYCLE_1)
	s_and_not1_b32 vcc_lo, exec_lo, s16
	s_cbranch_vccnz .LBB119_3094
; %bb.3093:
	global_load_u16 v7, v[16:17], off
	s_wait_loadcnt 0x0
	v_cvt_f32_f16_e32 v7, v7
	s_wait_xcnt 0x1
	s_delay_alu instid0(VALU_DEP_1)
	v_cvt_i32_f32_e32 v18, v7
.LBB119_3094:
	s_mov_b32 s16, 0
.LBB119_3095:
	s_delay_alu instid0(SALU_CYCLE_1)
	s_and_not1_b32 vcc_lo, exec_lo, s16
	s_cbranch_vccnz .LBB119_3115
; %bb.3096:
	s_cmp_lt_i32 s14, 2
	s_cbranch_scc1 .LBB119_3100
; %bb.3097:
	s_cmp_lt_i32 s14, 3
	s_cbranch_scc1 .LBB119_3101
; %bb.3098:
	s_cmp_gt_i32 s14, 3
	s_cbranch_scc0 .LBB119_3102
; %bb.3099:
	s_wait_loadcnt 0x0
	global_load_b32 v18, v[16:17], off
	s_mov_b32 s16, 0
	s_branch .LBB119_3103
.LBB119_3100:
	s_mov_b32 s16, -1
                                        ; implicit-def: $vgpr18
	s_branch .LBB119_3109
.LBB119_3101:
	s_mov_b32 s16, -1
                                        ; implicit-def: $vgpr18
	s_branch .LBB119_3106
.LBB119_3102:
	s_mov_b32 s16, -1
                                        ; implicit-def: $vgpr18
.LBB119_3103:
	s_delay_alu instid0(SALU_CYCLE_1)
	s_and_not1_b32 vcc_lo, exec_lo, s16
	s_cbranch_vccnz .LBB119_3105
; %bb.3104:
	s_wait_loadcnt 0x0
	global_load_b32 v18, v[16:17], off
.LBB119_3105:
	s_mov_b32 s16, 0
.LBB119_3106:
	s_delay_alu instid0(SALU_CYCLE_1)
	s_and_not1_b32 vcc_lo, exec_lo, s16
	s_cbranch_vccnz .LBB119_3108
; %bb.3107:
	s_wait_loadcnt 0x0
	global_load_i16 v18, v[16:17], off
.LBB119_3108:
	s_mov_b32 s16, 0
.LBB119_3109:
	s_delay_alu instid0(SALU_CYCLE_1)
	s_and_not1_b32 vcc_lo, exec_lo, s16
	s_cbranch_vccnz .LBB119_3115
; %bb.3110:
	s_cmp_gt_i32 s14, 0
	s_mov_b32 s16, 0
	s_cbranch_scc0 .LBB119_3112
; %bb.3111:
	s_wait_loadcnt 0x0
	global_load_i8 v18, v[16:17], off
	s_branch .LBB119_3113
.LBB119_3112:
	s_mov_b32 s16, -1
                                        ; implicit-def: $vgpr18
.LBB119_3113:
	s_delay_alu instid0(SALU_CYCLE_1)
	s_and_not1_b32 vcc_lo, exec_lo, s16
	s_cbranch_vccnz .LBB119_3115
; %bb.3114:
	s_wait_loadcnt 0x0
	global_load_u8 v18, v[16:17], off
.LBB119_3115:
	s_mov_b32 s18, -1
.LBB119_3116:
	s_delay_alu instid0(SALU_CYCLE_1)
	s_and_not1_b32 vcc_lo, exec_lo, s18
	s_cbranch_vccnz .LBB119_4058
; %bb.3117:
	v_mov_b32_e32 v15, 0
	s_cmp_lt_i32 s15, 11
	s_delay_alu instid0(VALU_DEP_1)
	v_add_nc_u64_e32 v[14:15], s[8:9], v[14:15]
	s_cbranch_scc1 .LBB119_3124
; %bb.3118:
	s_cmp_gt_i32 s15, 25
	s_mov_b32 s17, 0
	s_cbranch_scc0 .LBB119_3125
; %bb.3119:
	s_cmp_gt_i32 s15, 28
	s_cbranch_scc0 .LBB119_3126
; %bb.3120:
	s_cmp_gt_i32 s15, 43
	;; [unrolled: 3-line block ×3, first 2 shown]
	s_cbranch_scc0 .LBB119_3129
; %bb.3122:
	s_cmp_eq_u32 s15, 46
	s_mov_b32 s19, 0
	s_cbranch_scc0 .LBB119_3130
; %bb.3123:
	global_load_b32 v7, v[14:15], off
	s_mov_b32 s16, 0
	s_mov_b32 s18, -1
	s_wait_loadcnt 0x0
	v_lshlrev_b32_e32 v7, 16, v7
	s_wait_xcnt 0x1
	s_delay_alu instid0(VALU_DEP_1)
	v_cvt_i32_f32_e32 v16, v7
	s_branch .LBB119_3132
.LBB119_3124:
	s_mov_b32 s16, -1
	s_mov_b32 s18, 0
                                        ; implicit-def: $vgpr16
	s_branch .LBB119_3194
.LBB119_3125:
	s_mov_b32 s19, -1
	s_mov_b32 s18, 0
	s_mov_b32 s16, 0
                                        ; implicit-def: $vgpr16
	s_branch .LBB119_3159
.LBB119_3126:
	s_mov_b32 s19, -1
	s_mov_b32 s18, 0
	s_mov_b32 s16, 0
                                        ; implicit-def: $vgpr16
	s_branch .LBB119_3142
.LBB119_3127:
	s_mov_b32 s19, -1
	s_mov_b32 s18, 0
	s_mov_b32 s16, 0
                                        ; implicit-def: $vgpr16
	s_branch .LBB119_3137
.LBB119_3128:
	s_or_b32 s12, s12, exec_lo
	s_trap 2
	s_cbranch_execz .LBB119_3065
	s_branch .LBB119_3066
.LBB119_3129:
	s_mov_b32 s19, -1
	s_mov_b32 s18, 0
	s_mov_b32 s16, 0
	s_branch .LBB119_3131
.LBB119_3130:
	s_mov_b32 s16, -1
	s_mov_b32 s18, 0
.LBB119_3131:
                                        ; implicit-def: $vgpr16
.LBB119_3132:
	s_and_b32 vcc_lo, exec_lo, s19
	s_cbranch_vccz .LBB119_3136
; %bb.3133:
	s_cmp_eq_u32 s15, 44
	s_cbranch_scc0 .LBB119_3135
; %bb.3134:
	global_load_u8 v7, v[14:15], off
	s_mov_b32 s16, 0
	s_mov_b32 s18, -1
	s_wait_loadcnt 0x0
	v_lshlrev_b32_e32 v9, 23, v7
	v_cmp_ne_u32_e32 vcc_lo, 0, v7
	s_delay_alu instid0(VALU_DEP_2) | instskip(SKIP_1) | instid1(VALU_DEP_1)
	v_cvt_i32_f32_e32 v9, v9
	s_wait_xcnt 0x1
	v_cndmask_b32_e32 v16, 0, v9, vcc_lo
	s_branch .LBB119_3136
.LBB119_3135:
	s_mov_b32 s16, -1
                                        ; implicit-def: $vgpr16
.LBB119_3136:
	s_mov_b32 s19, 0
.LBB119_3137:
	s_delay_alu instid0(SALU_CYCLE_1)
	s_and_b32 vcc_lo, exec_lo, s19
	s_cbranch_vccz .LBB119_3141
; %bb.3138:
	s_cmp_eq_u32 s15, 29
	s_cbranch_scc0 .LBB119_3140
; %bb.3139:
	global_load_b32 v16, v[14:15], off
	s_mov_b32 s16, 0
	s_mov_b32 s18, -1
	s_branch .LBB119_3141
.LBB119_3140:
	s_mov_b32 s16, -1
                                        ; implicit-def: $vgpr16
.LBB119_3141:
	s_mov_b32 s19, 0
.LBB119_3142:
	s_delay_alu instid0(SALU_CYCLE_1)
	s_and_b32 vcc_lo, exec_lo, s19
	s_cbranch_vccz .LBB119_3158
; %bb.3143:
	s_cmp_lt_i32 s15, 27
	s_cbranch_scc1 .LBB119_3146
; %bb.3144:
	s_cmp_gt_i32 s15, 27
	s_cbranch_scc0 .LBB119_3147
; %bb.3145:
	s_wait_loadcnt 0x0
	global_load_b32 v16, v[14:15], off
	s_mov_b32 s18, 0
	s_branch .LBB119_3148
.LBB119_3146:
	s_mov_b32 s18, -1
                                        ; implicit-def: $vgpr16
	s_branch .LBB119_3151
.LBB119_3147:
	s_mov_b32 s18, -1
                                        ; implicit-def: $vgpr16
.LBB119_3148:
	s_delay_alu instid0(SALU_CYCLE_1)
	s_and_not1_b32 vcc_lo, exec_lo, s18
	s_cbranch_vccnz .LBB119_3150
; %bb.3149:
	s_wait_loadcnt 0x0
	global_load_u16 v16, v[14:15], off
.LBB119_3150:
	s_mov_b32 s18, 0
.LBB119_3151:
	s_delay_alu instid0(SALU_CYCLE_1)
	s_and_not1_b32 vcc_lo, exec_lo, s18
	s_cbranch_vccnz .LBB119_3157
; %bb.3152:
	global_load_u8 v7, v[14:15], off
	s_mov_b32 s19, 0
	s_mov_b32 s18, exec_lo
	s_wait_loadcnt 0x0
	v_cmpx_lt_i16_e32 0x7f, v7
	s_xor_b32 s18, exec_lo, s18
	s_cbranch_execz .LBB119_3169
; %bb.3153:
	v_cmp_ne_u16_e32 vcc_lo, 0x80, v7
	s_and_b32 s19, vcc_lo, exec_lo
	s_and_not1_saveexec_b32 s18, s18
	s_cbranch_execnz .LBB119_3170
.LBB119_3154:
	s_or_b32 exec_lo, exec_lo, s18
	v_mov_b32_e32 v16, 0
	s_and_saveexec_b32 s18, s19
	s_cbranch_execz .LBB119_3156
.LBB119_3155:
	v_and_b32_e32 v9, 0xffff, v7
	s_delay_alu instid0(VALU_DEP_1) | instskip(SKIP_1) | instid1(VALU_DEP_2)
	v_dual_lshlrev_b32 v7, 24, v7 :: v_dual_bitop2_b32 v11, 7, v9 bitop3:0x40
	v_bfe_u32 v17, v9, 3, 4
	v_and_b32_e32 v7, 0x80000000, v7
	s_delay_alu instid0(VALU_DEP_3) | instskip(NEXT) | instid1(VALU_DEP_3)
	v_clz_i32_u32_e32 v13, v11
	v_cmp_eq_u32_e32 vcc_lo, 0, v17
	s_delay_alu instid0(VALU_DEP_2) | instskip(NEXT) | instid1(VALU_DEP_1)
	v_min_u32_e32 v13, 32, v13
	v_subrev_nc_u32_e32 v16, 28, v13
	v_sub_nc_u32_e32 v13, 29, v13
	s_delay_alu instid0(VALU_DEP_2) | instskip(NEXT) | instid1(VALU_DEP_2)
	v_lshlrev_b32_e32 v9, v16, v9
	v_cndmask_b32_e32 v13, v17, v13, vcc_lo
	s_delay_alu instid0(VALU_DEP_2) | instskip(NEXT) | instid1(VALU_DEP_1)
	v_and_b32_e32 v9, 7, v9
	v_cndmask_b32_e32 v9, v11, v9, vcc_lo
	s_delay_alu instid0(VALU_DEP_3) | instskip(NEXT) | instid1(VALU_DEP_2)
	v_lshl_add_u32 v11, v13, 23, 0x3b800000
	v_lshlrev_b32_e32 v9, 20, v9
	s_delay_alu instid0(VALU_DEP_1) | instskip(NEXT) | instid1(VALU_DEP_1)
	v_or3_b32 v7, v7, v11, v9
	v_cvt_i32_f32_e32 v16, v7
.LBB119_3156:
	s_or_b32 exec_lo, exec_lo, s18
.LBB119_3157:
	s_mov_b32 s18, -1
.LBB119_3158:
	s_mov_b32 s19, 0
.LBB119_3159:
	s_delay_alu instid0(SALU_CYCLE_1)
	s_and_b32 vcc_lo, exec_lo, s19
	s_cbranch_vccz .LBB119_3190
; %bb.3160:
	s_cmp_gt_i32 s15, 22
	s_cbranch_scc0 .LBB119_3168
; %bb.3161:
	s_cmp_lt_i32 s15, 24
	s_cbranch_scc1 .LBB119_3171
; %bb.3162:
	s_cmp_gt_i32 s15, 24
	s_cbranch_scc0 .LBB119_3172
; %bb.3163:
	global_load_u8 v7, v[14:15], off
	s_mov_b32 s18, 0
	s_mov_b32 s17, exec_lo
	s_wait_loadcnt 0x0
	v_cmpx_lt_i16_e32 0x7f, v7
	s_xor_b32 s17, exec_lo, s17
	s_cbranch_execz .LBB119_3184
; %bb.3164:
	v_cmp_ne_u16_e32 vcc_lo, 0x80, v7
	s_and_b32 s18, vcc_lo, exec_lo
	s_and_not1_saveexec_b32 s17, s17
	s_cbranch_execnz .LBB119_3185
.LBB119_3165:
	s_or_b32 exec_lo, exec_lo, s17
	v_mov_b32_e32 v16, 0
	s_and_saveexec_b32 s17, s18
	s_cbranch_execz .LBB119_3167
.LBB119_3166:
	v_and_b32_e32 v9, 0xffff, v7
	s_delay_alu instid0(VALU_DEP_1) | instskip(SKIP_1) | instid1(VALU_DEP_2)
	v_dual_lshlrev_b32 v7, 24, v7 :: v_dual_bitop2_b32 v11, 3, v9 bitop3:0x40
	v_bfe_u32 v17, v9, 2, 5
	v_and_b32_e32 v7, 0x80000000, v7
	s_delay_alu instid0(VALU_DEP_3) | instskip(NEXT) | instid1(VALU_DEP_3)
	v_clz_i32_u32_e32 v13, v11
	v_cmp_eq_u32_e32 vcc_lo, 0, v17
	s_delay_alu instid0(VALU_DEP_2) | instskip(NEXT) | instid1(VALU_DEP_1)
	v_min_u32_e32 v13, 32, v13
	v_subrev_nc_u32_e32 v16, 29, v13
	v_sub_nc_u32_e32 v13, 30, v13
	s_delay_alu instid0(VALU_DEP_2) | instskip(NEXT) | instid1(VALU_DEP_2)
	v_lshlrev_b32_e32 v9, v16, v9
	v_cndmask_b32_e32 v13, v17, v13, vcc_lo
	s_delay_alu instid0(VALU_DEP_2) | instskip(NEXT) | instid1(VALU_DEP_1)
	v_and_b32_e32 v9, 3, v9
	v_cndmask_b32_e32 v9, v11, v9, vcc_lo
	s_delay_alu instid0(VALU_DEP_3) | instskip(NEXT) | instid1(VALU_DEP_2)
	v_lshl_add_u32 v11, v13, 23, 0x37800000
	v_lshlrev_b32_e32 v9, 21, v9
	s_delay_alu instid0(VALU_DEP_1) | instskip(NEXT) | instid1(VALU_DEP_1)
	v_or3_b32 v7, v7, v11, v9
	v_cvt_i32_f32_e32 v16, v7
.LBB119_3167:
	s_or_b32 exec_lo, exec_lo, s17
	s_mov_b32 s17, 0
	s_branch .LBB119_3173
.LBB119_3168:
	s_mov_b32 s17, -1
                                        ; implicit-def: $vgpr16
	s_branch .LBB119_3179
.LBB119_3169:
	s_and_not1_saveexec_b32 s18, s18
	s_cbranch_execz .LBB119_3154
.LBB119_3170:
	v_cmp_ne_u16_e32 vcc_lo, 0, v7
	s_and_not1_b32 s19, s19, exec_lo
	s_and_b32 s20, vcc_lo, exec_lo
	s_delay_alu instid0(SALU_CYCLE_1)
	s_or_b32 s19, s19, s20
	s_or_b32 exec_lo, exec_lo, s18
	v_mov_b32_e32 v16, 0
	s_and_saveexec_b32 s18, s19
	s_cbranch_execnz .LBB119_3155
	s_branch .LBB119_3156
.LBB119_3171:
	s_mov_b32 s17, -1
                                        ; implicit-def: $vgpr16
	s_branch .LBB119_3176
.LBB119_3172:
	s_mov_b32 s17, -1
                                        ; implicit-def: $vgpr16
.LBB119_3173:
	s_delay_alu instid0(SALU_CYCLE_1)
	s_and_b32 vcc_lo, exec_lo, s17
	s_cbranch_vccz .LBB119_3175
; %bb.3174:
	global_load_u8 v7, v[14:15], off
	s_wait_loadcnt 0x0
	v_lshlrev_b32_e32 v7, 24, v7
	s_delay_alu instid0(VALU_DEP_1) | instskip(NEXT) | instid1(VALU_DEP_1)
	v_and_b32_e32 v9, 0x7f000000, v7
	v_clz_i32_u32_e32 v11, v9
	v_cmp_ne_u32_e32 vcc_lo, 0, v9
	s_wait_xcnt 0x1
	v_add_nc_u32_e32 v16, 0x1000000, v9
	s_delay_alu instid0(VALU_DEP_3) | instskip(NEXT) | instid1(VALU_DEP_1)
	v_min_u32_e32 v11, 32, v11
	v_sub_nc_u32_e64 v11, v11, 4 clamp
	s_delay_alu instid0(VALU_DEP_1) | instskip(NEXT) | instid1(VALU_DEP_1)
	v_dual_lshlrev_b32 v13, v11, v9 :: v_dual_lshlrev_b32 v11, 23, v11
	v_lshrrev_b32_e32 v13, 4, v13
	s_delay_alu instid0(VALU_DEP_1) | instskip(NEXT) | instid1(VALU_DEP_1)
	v_dual_sub_nc_u32 v11, v13, v11 :: v_dual_ashrrev_i32 v13, 8, v16
	v_add_nc_u32_e32 v11, 0x3c000000, v11
	s_delay_alu instid0(VALU_DEP_1) | instskip(NEXT) | instid1(VALU_DEP_1)
	v_and_or_b32 v11, 0x7f800000, v13, v11
	v_cndmask_b32_e32 v9, 0, v11, vcc_lo
	s_delay_alu instid0(VALU_DEP_1) | instskip(NEXT) | instid1(VALU_DEP_1)
	v_and_or_b32 v7, 0x80000000, v7, v9
	v_cvt_i32_f32_e32 v16, v7
.LBB119_3175:
	s_mov_b32 s17, 0
.LBB119_3176:
	s_delay_alu instid0(SALU_CYCLE_1)
	s_and_not1_b32 vcc_lo, exec_lo, s17
	s_cbranch_vccnz .LBB119_3178
; %bb.3177:
	global_load_u8 v7, v[14:15], off
	s_wait_loadcnt 0x0
	v_lshlrev_b32_e32 v9, 25, v7
	v_lshlrev_b16 v7, 8, v7
	s_delay_alu instid0(VALU_DEP_1) | instskip(SKIP_1) | instid1(VALU_DEP_2)
	v_and_or_b32 v13, 0x7f00, v7, 0.5
	v_bfe_i32 v7, v7, 0, 16
	v_add_f32_e32 v13, -0.5, v13
	v_lshrrev_b32_e32 v11, 4, v9
	v_cmp_gt_u32_e32 vcc_lo, 0x8000000, v9
	s_delay_alu instid0(VALU_DEP_2) | instskip(NEXT) | instid1(VALU_DEP_1)
	v_or_b32_e32 v11, 0x70000000, v11
	v_mul_f32_e32 v11, 0x7800000, v11
	s_delay_alu instid0(VALU_DEP_1) | instskip(NEXT) | instid1(VALU_DEP_1)
	v_cndmask_b32_e32 v9, v11, v13, vcc_lo
	v_and_or_b32 v7, 0x80000000, v7, v9
	s_wait_xcnt 0x1
	s_delay_alu instid0(VALU_DEP_1)
	v_cvt_i32_f32_e32 v16, v7
.LBB119_3178:
	s_mov_b32 s17, 0
	s_mov_b32 s18, -1
.LBB119_3179:
	s_and_not1_b32 vcc_lo, exec_lo, s17
	s_mov_b32 s17, 0
	s_cbranch_vccnz .LBB119_3190
; %bb.3180:
	s_cmp_gt_i32 s15, 14
	s_cbranch_scc0 .LBB119_3183
; %bb.3181:
	s_cmp_eq_u32 s15, 15
	s_cbranch_scc0 .LBB119_3186
; %bb.3182:
	global_load_u16 v7, v[14:15], off
	s_mov_b32 s16, 0
	s_mov_b32 s18, -1
	s_wait_loadcnt 0x0
	v_lshlrev_b32_e32 v7, 16, v7
	s_wait_xcnt 0x1
	s_delay_alu instid0(VALU_DEP_1)
	v_cvt_i32_f32_e32 v16, v7
	s_branch .LBB119_3188
.LBB119_3183:
	s_mov_b32 s17, -1
	s_branch .LBB119_3187
.LBB119_3184:
	s_and_not1_saveexec_b32 s17, s17
	s_cbranch_execz .LBB119_3165
.LBB119_3185:
	v_cmp_ne_u16_e32 vcc_lo, 0, v7
	s_and_not1_b32 s18, s18, exec_lo
	s_and_b32 s19, vcc_lo, exec_lo
	s_delay_alu instid0(SALU_CYCLE_1)
	s_or_b32 s18, s18, s19
	s_or_b32 exec_lo, exec_lo, s17
	v_mov_b32_e32 v16, 0
	s_and_saveexec_b32 s17, s18
	s_cbranch_execnz .LBB119_3166
	s_branch .LBB119_3167
.LBB119_3186:
	s_mov_b32 s16, -1
.LBB119_3187:
                                        ; implicit-def: $vgpr16
.LBB119_3188:
	s_and_b32 vcc_lo, exec_lo, s17
	s_mov_b32 s17, 0
	s_cbranch_vccz .LBB119_3190
; %bb.3189:
	s_cmp_lg_u32 s15, 11
	s_mov_b32 s17, -1
	s_cselect_b32 s16, -1, 0
.LBB119_3190:
	s_delay_alu instid0(SALU_CYCLE_1)
	s_and_b32 vcc_lo, exec_lo, s16
	s_cbranch_vccnz .LBB119_3255
; %bb.3191:
	s_and_not1_b32 vcc_lo, exec_lo, s17
	s_cbranch_vccnz .LBB119_3193
.LBB119_3192:
	global_load_u8 v7, v[14:15], off
	s_mov_b32 s18, -1
	s_wait_loadcnt 0x0
	v_cmp_ne_u16_e32 vcc_lo, 0, v7
	s_wait_xcnt 0x1
	v_cndmask_b32_e64 v16, 0, 1, vcc_lo
.LBB119_3193:
	s_mov_b32 s16, 0
.LBB119_3194:
	s_delay_alu instid0(SALU_CYCLE_1)
	s_and_b32 vcc_lo, exec_lo, s16
	s_cbranch_vccz .LBB119_3243
; %bb.3195:
	s_cmp_lt_i32 s15, 5
	s_cbranch_scc1 .LBB119_3200
; %bb.3196:
	s_cmp_lt_i32 s15, 8
	s_cbranch_scc1 .LBB119_3201
	;; [unrolled: 3-line block ×3, first 2 shown]
; %bb.3198:
	s_cmp_gt_i32 s15, 9
	s_cbranch_scc0 .LBB119_3203
; %bb.3199:
	s_wait_loadcnt 0x0
	global_load_b64 v[16:17], v[14:15], off
	s_mov_b32 s16, 0
	s_wait_loadcnt 0x0
	v_cvt_i32_f64_e32 v16, v[16:17]
	s_branch .LBB119_3204
.LBB119_3200:
	s_mov_b32 s16, -1
                                        ; implicit-def: $vgpr16
	s_branch .LBB119_3222
.LBB119_3201:
	s_mov_b32 s16, -1
                                        ; implicit-def: $vgpr16
	s_branch .LBB119_3210
.LBB119_3202:
	s_mov_b32 s16, -1
                                        ; implicit-def: $vgpr16
	s_branch .LBB119_3207
.LBB119_3203:
	s_mov_b32 s16, -1
                                        ; implicit-def: $vgpr16
.LBB119_3204:
	s_delay_alu instid0(SALU_CYCLE_1)
	s_and_not1_b32 vcc_lo, exec_lo, s16
	s_cbranch_vccnz .LBB119_3206
; %bb.3205:
	global_load_b32 v7, v[14:15], off
	s_wait_loadcnt 0x0
	s_wait_xcnt 0x1
	v_cvt_i32_f32_e32 v16, v7
.LBB119_3206:
	s_mov_b32 s16, 0
.LBB119_3207:
	s_delay_alu instid0(SALU_CYCLE_1)
	s_and_not1_b32 vcc_lo, exec_lo, s16
	s_cbranch_vccnz .LBB119_3209
; %bb.3208:
	global_load_b32 v7, v[14:15], off
	s_wait_loadcnt 0x0
	v_cvt_f32_f16_e32 v7, v7
	s_wait_xcnt 0x1
	s_delay_alu instid0(VALU_DEP_1)
	v_cvt_i32_f32_e32 v16, v7
.LBB119_3209:
	s_mov_b32 s16, 0
.LBB119_3210:
	s_delay_alu instid0(SALU_CYCLE_1)
	s_and_not1_b32 vcc_lo, exec_lo, s16
	s_cbranch_vccnz .LBB119_3221
; %bb.3211:
	s_cmp_lt_i32 s15, 6
	s_cbranch_scc1 .LBB119_3214
; %bb.3212:
	s_cmp_gt_i32 s15, 6
	s_cbranch_scc0 .LBB119_3215
; %bb.3213:
	s_wait_loadcnt 0x0
	global_load_b64 v[16:17], v[14:15], off
	s_mov_b32 s16, 0
	s_wait_loadcnt 0x0
	v_cvt_i32_f64_e32 v16, v[16:17]
	s_branch .LBB119_3216
.LBB119_3214:
	s_mov_b32 s16, -1
                                        ; implicit-def: $vgpr16
	s_branch .LBB119_3219
.LBB119_3215:
	s_mov_b32 s16, -1
                                        ; implicit-def: $vgpr16
.LBB119_3216:
	s_delay_alu instid0(SALU_CYCLE_1)
	s_and_not1_b32 vcc_lo, exec_lo, s16
	s_cbranch_vccnz .LBB119_3218
; %bb.3217:
	global_load_b32 v7, v[14:15], off
	s_wait_loadcnt 0x0
	s_wait_xcnt 0x1
	v_cvt_i32_f32_e32 v16, v7
.LBB119_3218:
	s_mov_b32 s16, 0
.LBB119_3219:
	s_delay_alu instid0(SALU_CYCLE_1)
	s_and_not1_b32 vcc_lo, exec_lo, s16
	s_cbranch_vccnz .LBB119_3221
; %bb.3220:
	global_load_u16 v7, v[14:15], off
	s_wait_loadcnt 0x0
	v_cvt_f32_f16_e32 v7, v7
	s_wait_xcnt 0x1
	s_delay_alu instid0(VALU_DEP_1)
	v_cvt_i32_f32_e32 v16, v7
.LBB119_3221:
	s_mov_b32 s16, 0
.LBB119_3222:
	s_delay_alu instid0(SALU_CYCLE_1)
	s_and_not1_b32 vcc_lo, exec_lo, s16
	s_cbranch_vccnz .LBB119_3242
; %bb.3223:
	s_cmp_lt_i32 s15, 2
	s_cbranch_scc1 .LBB119_3227
; %bb.3224:
	s_cmp_lt_i32 s15, 3
	s_cbranch_scc1 .LBB119_3228
; %bb.3225:
	s_cmp_gt_i32 s15, 3
	s_cbranch_scc0 .LBB119_3229
; %bb.3226:
	s_wait_loadcnt 0x0
	global_load_b32 v16, v[14:15], off
	s_mov_b32 s16, 0
	s_branch .LBB119_3230
.LBB119_3227:
	s_mov_b32 s16, -1
                                        ; implicit-def: $vgpr16
	s_branch .LBB119_3236
.LBB119_3228:
	s_mov_b32 s16, -1
                                        ; implicit-def: $vgpr16
	s_branch .LBB119_3233
.LBB119_3229:
	s_mov_b32 s16, -1
                                        ; implicit-def: $vgpr16
.LBB119_3230:
	s_delay_alu instid0(SALU_CYCLE_1)
	s_and_not1_b32 vcc_lo, exec_lo, s16
	s_cbranch_vccnz .LBB119_3232
; %bb.3231:
	s_wait_loadcnt 0x0
	global_load_b32 v16, v[14:15], off
.LBB119_3232:
	s_mov_b32 s16, 0
.LBB119_3233:
	s_delay_alu instid0(SALU_CYCLE_1)
	s_and_not1_b32 vcc_lo, exec_lo, s16
	s_cbranch_vccnz .LBB119_3235
; %bb.3234:
	s_wait_loadcnt 0x0
	global_load_i16 v16, v[14:15], off
.LBB119_3235:
	s_mov_b32 s16, 0
.LBB119_3236:
	s_delay_alu instid0(SALU_CYCLE_1)
	s_and_not1_b32 vcc_lo, exec_lo, s16
	s_cbranch_vccnz .LBB119_3242
; %bb.3237:
	s_cmp_gt_i32 s15, 0
	s_mov_b32 s16, 0
	s_cbranch_scc0 .LBB119_3239
; %bb.3238:
	s_wait_loadcnt 0x0
	global_load_i8 v16, v[14:15], off
	s_branch .LBB119_3240
.LBB119_3239:
	s_mov_b32 s16, -1
                                        ; implicit-def: $vgpr16
.LBB119_3240:
	s_delay_alu instid0(SALU_CYCLE_1)
	s_and_not1_b32 vcc_lo, exec_lo, s16
	s_cbranch_vccnz .LBB119_3242
; %bb.3241:
	s_wait_loadcnt 0x0
	global_load_u8 v16, v[14:15], off
.LBB119_3242:
	s_mov_b32 s18, -1
.LBB119_3243:
	s_delay_alu instid0(SALU_CYCLE_1)
	s_and_not1_b32 vcc_lo, exec_lo, s18
	s_cbranch_vccnz .LBB119_4058
; %bb.3244:
	v_mov_b32_e32 v13, 0
	s_cmp_lt_i32 s13, 11
	s_delay_alu instid0(VALU_DEP_1)
	v_add_nc_u64_e32 v[12:13], s[6:7], v[12:13]
	s_cbranch_scc1 .LBB119_3251
; %bb.3245:
	s_cmp_gt_i32 s13, 25
	s_mov_b32 s7, 0
	s_cbranch_scc0 .LBB119_3252
; %bb.3246:
	s_cmp_gt_i32 s13, 28
	s_cbranch_scc0 .LBB119_3253
; %bb.3247:
	s_cmp_gt_i32 s13, 43
	;; [unrolled: 3-line block ×3, first 2 shown]
	s_cbranch_scc0 .LBB119_3256
; %bb.3249:
	s_cmp_eq_u32 s13, 46
	s_mov_b32 s17, 0
	s_cbranch_scc0 .LBB119_3257
; %bb.3250:
	global_load_b32 v7, v[12:13], off
	s_mov_b32 s6, 0
	s_mov_b32 s16, -1
	s_wait_loadcnt 0x0
	v_lshlrev_b32_e32 v7, 16, v7
	s_wait_xcnt 0x1
	s_delay_alu instid0(VALU_DEP_1)
	v_cvt_i32_f32_e32 v14, v7
	s_branch .LBB119_3259
.LBB119_3251:
	s_mov_b32 s6, -1
	s_mov_b32 s16, 0
                                        ; implicit-def: $vgpr14
	s_branch .LBB119_3321
.LBB119_3252:
	s_mov_b32 s17, -1
	s_mov_b32 s16, 0
	s_mov_b32 s6, 0
                                        ; implicit-def: $vgpr14
	s_branch .LBB119_3286
.LBB119_3253:
	s_mov_b32 s17, -1
	s_mov_b32 s16, 0
	s_mov_b32 s6, 0
                                        ; implicit-def: $vgpr14
	s_branch .LBB119_3269
.LBB119_3254:
	s_mov_b32 s17, -1
	s_mov_b32 s16, 0
	s_mov_b32 s6, 0
                                        ; implicit-def: $vgpr14
	s_branch .LBB119_3264
.LBB119_3255:
	s_or_b32 s12, s12, exec_lo
	s_trap 2
	s_cbranch_execz .LBB119_3192
	s_branch .LBB119_3193
.LBB119_3256:
	s_mov_b32 s17, -1
	s_mov_b32 s16, 0
	s_mov_b32 s6, 0
	s_branch .LBB119_3258
.LBB119_3257:
	s_mov_b32 s6, -1
	s_mov_b32 s16, 0
.LBB119_3258:
                                        ; implicit-def: $vgpr14
.LBB119_3259:
	s_and_b32 vcc_lo, exec_lo, s17
	s_cbranch_vccz .LBB119_3263
; %bb.3260:
	s_cmp_eq_u32 s13, 44
	s_cbranch_scc0 .LBB119_3262
; %bb.3261:
	global_load_u8 v7, v[12:13], off
	s_mov_b32 s6, 0
	s_mov_b32 s16, -1
	s_wait_loadcnt 0x0
	v_lshlrev_b32_e32 v9, 23, v7
	v_cmp_ne_u32_e32 vcc_lo, 0, v7
	s_delay_alu instid0(VALU_DEP_2) | instskip(SKIP_1) | instid1(VALU_DEP_1)
	v_cvt_i32_f32_e32 v9, v9
	s_wait_xcnt 0x1
	v_cndmask_b32_e32 v14, 0, v9, vcc_lo
	s_branch .LBB119_3263
.LBB119_3262:
	s_mov_b32 s6, -1
                                        ; implicit-def: $vgpr14
.LBB119_3263:
	s_mov_b32 s17, 0
.LBB119_3264:
	s_delay_alu instid0(SALU_CYCLE_1)
	s_and_b32 vcc_lo, exec_lo, s17
	s_cbranch_vccz .LBB119_3268
; %bb.3265:
	s_cmp_eq_u32 s13, 29
	s_cbranch_scc0 .LBB119_3267
; %bb.3266:
	global_load_b32 v14, v[12:13], off
	s_mov_b32 s6, 0
	s_mov_b32 s16, -1
	s_branch .LBB119_3268
.LBB119_3267:
	s_mov_b32 s6, -1
                                        ; implicit-def: $vgpr14
.LBB119_3268:
	s_mov_b32 s17, 0
.LBB119_3269:
	s_delay_alu instid0(SALU_CYCLE_1)
	s_and_b32 vcc_lo, exec_lo, s17
	s_cbranch_vccz .LBB119_3285
; %bb.3270:
	s_cmp_lt_i32 s13, 27
	s_cbranch_scc1 .LBB119_3273
; %bb.3271:
	s_cmp_gt_i32 s13, 27
	s_cbranch_scc0 .LBB119_3274
; %bb.3272:
	s_wait_loadcnt 0x0
	global_load_b32 v14, v[12:13], off
	s_mov_b32 s16, 0
	s_branch .LBB119_3275
.LBB119_3273:
	s_mov_b32 s16, -1
                                        ; implicit-def: $vgpr14
	s_branch .LBB119_3278
.LBB119_3274:
	s_mov_b32 s16, -1
                                        ; implicit-def: $vgpr14
.LBB119_3275:
	s_delay_alu instid0(SALU_CYCLE_1)
	s_and_not1_b32 vcc_lo, exec_lo, s16
	s_cbranch_vccnz .LBB119_3277
; %bb.3276:
	s_wait_loadcnt 0x0
	global_load_u16 v14, v[12:13], off
.LBB119_3277:
	s_mov_b32 s16, 0
.LBB119_3278:
	s_delay_alu instid0(SALU_CYCLE_1)
	s_and_not1_b32 vcc_lo, exec_lo, s16
	s_cbranch_vccnz .LBB119_3284
; %bb.3279:
	global_load_u8 v7, v[12:13], off
	s_mov_b32 s17, 0
	s_mov_b32 s16, exec_lo
	s_wait_loadcnt 0x0
	v_cmpx_lt_i16_e32 0x7f, v7
	s_xor_b32 s16, exec_lo, s16
	s_cbranch_execz .LBB119_3296
; %bb.3280:
	v_cmp_ne_u16_e32 vcc_lo, 0x80, v7
	s_and_b32 s17, vcc_lo, exec_lo
	s_and_not1_saveexec_b32 s16, s16
	s_cbranch_execnz .LBB119_3297
.LBB119_3281:
	s_or_b32 exec_lo, exec_lo, s16
	v_mov_b32_e32 v14, 0
	s_and_saveexec_b32 s16, s17
	s_cbranch_execz .LBB119_3283
.LBB119_3282:
	v_and_b32_e32 v9, 0xffff, v7
	s_delay_alu instid0(VALU_DEP_1) | instskip(SKIP_1) | instid1(VALU_DEP_2)
	v_and_b32_e32 v11, 7, v9
	v_bfe_u32 v17, v9, 3, 4
	v_clz_i32_u32_e32 v14, v11
	s_delay_alu instid0(VALU_DEP_2) | instskip(NEXT) | instid1(VALU_DEP_2)
	v_cmp_eq_u32_e32 vcc_lo, 0, v17
	v_min_u32_e32 v14, 32, v14
	s_delay_alu instid0(VALU_DEP_1) | instskip(NEXT) | instid1(VALU_DEP_1)
	v_subrev_nc_u32_e32 v15, 28, v14
	v_dual_lshlrev_b32 v9, v15, v9 :: v_dual_sub_nc_u32 v14, 29, v14
	s_delay_alu instid0(VALU_DEP_1) | instskip(NEXT) | instid1(VALU_DEP_1)
	v_dual_lshlrev_b32 v7, 24, v7 :: v_dual_bitop2_b32 v9, 7, v9 bitop3:0x40
	v_dual_cndmask_b32 v14, v17, v14 :: v_dual_cndmask_b32 v9, v11, v9
	s_delay_alu instid0(VALU_DEP_2) | instskip(NEXT) | instid1(VALU_DEP_2)
	v_and_b32_e32 v7, 0x80000000, v7
	v_lshl_add_u32 v11, v14, 23, 0x3b800000
	s_delay_alu instid0(VALU_DEP_3) | instskip(NEXT) | instid1(VALU_DEP_1)
	v_lshlrev_b32_e32 v9, 20, v9
	v_or3_b32 v7, v7, v11, v9
	s_delay_alu instid0(VALU_DEP_1)
	v_cvt_i32_f32_e32 v14, v7
.LBB119_3283:
	s_or_b32 exec_lo, exec_lo, s16
.LBB119_3284:
	s_mov_b32 s16, -1
.LBB119_3285:
	s_mov_b32 s17, 0
.LBB119_3286:
	s_delay_alu instid0(SALU_CYCLE_1)
	s_and_b32 vcc_lo, exec_lo, s17
	s_cbranch_vccz .LBB119_3317
; %bb.3287:
	s_cmp_gt_i32 s13, 22
	s_cbranch_scc0 .LBB119_3295
; %bb.3288:
	s_cmp_lt_i32 s13, 24
	s_cbranch_scc1 .LBB119_3298
; %bb.3289:
	s_cmp_gt_i32 s13, 24
	s_cbranch_scc0 .LBB119_3299
; %bb.3290:
	global_load_u8 v7, v[12:13], off
	s_mov_b32 s16, 0
	s_mov_b32 s7, exec_lo
	s_wait_loadcnt 0x0
	v_cmpx_lt_i16_e32 0x7f, v7
	s_xor_b32 s7, exec_lo, s7
	s_cbranch_execz .LBB119_3311
; %bb.3291:
	v_cmp_ne_u16_e32 vcc_lo, 0x80, v7
	s_and_b32 s16, vcc_lo, exec_lo
	s_and_not1_saveexec_b32 s7, s7
	s_cbranch_execnz .LBB119_3312
.LBB119_3292:
	s_or_b32 exec_lo, exec_lo, s7
	v_mov_b32_e32 v14, 0
	s_and_saveexec_b32 s7, s16
	s_cbranch_execz .LBB119_3294
.LBB119_3293:
	v_and_b32_e32 v9, 0xffff, v7
	s_delay_alu instid0(VALU_DEP_1) | instskip(SKIP_1) | instid1(VALU_DEP_2)
	v_and_b32_e32 v11, 3, v9
	v_bfe_u32 v17, v9, 2, 5
	v_clz_i32_u32_e32 v14, v11
	s_delay_alu instid0(VALU_DEP_2) | instskip(NEXT) | instid1(VALU_DEP_2)
	v_cmp_eq_u32_e32 vcc_lo, 0, v17
	v_min_u32_e32 v14, 32, v14
	s_delay_alu instid0(VALU_DEP_1) | instskip(NEXT) | instid1(VALU_DEP_1)
	v_subrev_nc_u32_e32 v15, 29, v14
	v_dual_lshlrev_b32 v9, v15, v9 :: v_dual_sub_nc_u32 v14, 30, v14
	s_delay_alu instid0(VALU_DEP_1) | instskip(NEXT) | instid1(VALU_DEP_1)
	v_dual_lshlrev_b32 v7, 24, v7 :: v_dual_bitop2_b32 v9, 3, v9 bitop3:0x40
	v_dual_cndmask_b32 v14, v17, v14 :: v_dual_cndmask_b32 v9, v11, v9
	s_delay_alu instid0(VALU_DEP_2) | instskip(NEXT) | instid1(VALU_DEP_2)
	v_and_b32_e32 v7, 0x80000000, v7
	v_lshl_add_u32 v11, v14, 23, 0x37800000
	s_delay_alu instid0(VALU_DEP_3) | instskip(NEXT) | instid1(VALU_DEP_1)
	v_lshlrev_b32_e32 v9, 21, v9
	v_or3_b32 v7, v7, v11, v9
	s_delay_alu instid0(VALU_DEP_1)
	v_cvt_i32_f32_e32 v14, v7
.LBB119_3294:
	s_or_b32 exec_lo, exec_lo, s7
	s_mov_b32 s7, 0
	s_branch .LBB119_3300
.LBB119_3295:
	s_mov_b32 s7, -1
                                        ; implicit-def: $vgpr14
	s_branch .LBB119_3306
.LBB119_3296:
	s_and_not1_saveexec_b32 s16, s16
	s_cbranch_execz .LBB119_3281
.LBB119_3297:
	v_cmp_ne_u16_e32 vcc_lo, 0, v7
	s_and_not1_b32 s17, s17, exec_lo
	s_and_b32 s18, vcc_lo, exec_lo
	s_delay_alu instid0(SALU_CYCLE_1)
	s_or_b32 s17, s17, s18
	s_or_b32 exec_lo, exec_lo, s16
	v_mov_b32_e32 v14, 0
	s_and_saveexec_b32 s16, s17
	s_cbranch_execnz .LBB119_3282
	s_branch .LBB119_3283
.LBB119_3298:
	s_mov_b32 s7, -1
                                        ; implicit-def: $vgpr14
	s_branch .LBB119_3303
.LBB119_3299:
	s_mov_b32 s7, -1
                                        ; implicit-def: $vgpr14
.LBB119_3300:
	s_delay_alu instid0(SALU_CYCLE_1)
	s_and_b32 vcc_lo, exec_lo, s7
	s_cbranch_vccz .LBB119_3302
; %bb.3301:
	global_load_u8 v7, v[12:13], off
	s_wait_loadcnt 0x0
	v_lshlrev_b32_e32 v7, 24, v7
	s_delay_alu instid0(VALU_DEP_1) | instskip(NEXT) | instid1(VALU_DEP_1)
	v_and_b32_e32 v9, 0x7f000000, v7
	v_clz_i32_u32_e32 v11, v9
	s_wait_xcnt 0x1
	v_add_nc_u32_e32 v15, 0x1000000, v9
	v_cmp_ne_u32_e32 vcc_lo, 0, v9
	s_delay_alu instid0(VALU_DEP_3) | instskip(NEXT) | instid1(VALU_DEP_1)
	v_min_u32_e32 v11, 32, v11
	v_sub_nc_u32_e64 v11, v11, 4 clamp
	s_delay_alu instid0(VALU_DEP_1) | instskip(NEXT) | instid1(VALU_DEP_1)
	v_dual_lshlrev_b32 v14, v11, v9 :: v_dual_lshlrev_b32 v11, 23, v11
	v_lshrrev_b32_e32 v14, 4, v14
	s_delay_alu instid0(VALU_DEP_1) | instskip(SKIP_1) | instid1(VALU_DEP_2)
	v_sub_nc_u32_e32 v11, v14, v11
	v_ashrrev_i32_e32 v14, 8, v15
	v_add_nc_u32_e32 v11, 0x3c000000, v11
	s_delay_alu instid0(VALU_DEP_1) | instskip(NEXT) | instid1(VALU_DEP_1)
	v_and_or_b32 v11, 0x7f800000, v14, v11
	v_cndmask_b32_e32 v9, 0, v11, vcc_lo
	s_delay_alu instid0(VALU_DEP_1) | instskip(NEXT) | instid1(VALU_DEP_1)
	v_and_or_b32 v7, 0x80000000, v7, v9
	v_cvt_i32_f32_e32 v14, v7
.LBB119_3302:
	s_mov_b32 s7, 0
.LBB119_3303:
	s_delay_alu instid0(SALU_CYCLE_1)
	s_and_not1_b32 vcc_lo, exec_lo, s7
	s_cbranch_vccnz .LBB119_3305
; %bb.3304:
	global_load_u8 v7, v[12:13], off
	s_wait_loadcnt 0x0
	v_lshlrev_b32_e32 v9, 25, v7
	v_lshlrev_b16 v7, 8, v7
	s_wait_xcnt 0x1
	s_delay_alu instid0(VALU_DEP_1) | instskip(SKIP_1) | instid1(VALU_DEP_2)
	v_and_or_b32 v14, 0x7f00, v7, 0.5
	v_bfe_i32 v7, v7, 0, 16
	v_dual_add_f32 v14, -0.5, v14 :: v_dual_lshrrev_b32 v11, 4, v9
	v_cmp_gt_u32_e32 vcc_lo, 0x8000000, v9
	s_delay_alu instid0(VALU_DEP_2) | instskip(NEXT) | instid1(VALU_DEP_1)
	v_or_b32_e32 v11, 0x70000000, v11
	v_mul_f32_e32 v11, 0x7800000, v11
	s_delay_alu instid0(VALU_DEP_1) | instskip(NEXT) | instid1(VALU_DEP_1)
	v_cndmask_b32_e32 v9, v11, v14, vcc_lo
	v_and_or_b32 v7, 0x80000000, v7, v9
	s_delay_alu instid0(VALU_DEP_1)
	v_cvt_i32_f32_e32 v14, v7
.LBB119_3305:
	s_mov_b32 s7, 0
	s_mov_b32 s16, -1
.LBB119_3306:
	s_and_not1_b32 vcc_lo, exec_lo, s7
	s_mov_b32 s7, 0
	s_cbranch_vccnz .LBB119_3317
; %bb.3307:
	s_cmp_gt_i32 s13, 14
	s_cbranch_scc0 .LBB119_3310
; %bb.3308:
	s_cmp_eq_u32 s13, 15
	s_cbranch_scc0 .LBB119_3313
; %bb.3309:
	global_load_u16 v7, v[12:13], off
	s_mov_b32 s6, 0
	s_mov_b32 s16, -1
	s_wait_loadcnt 0x0
	v_lshlrev_b32_e32 v7, 16, v7
	s_wait_xcnt 0x1
	s_delay_alu instid0(VALU_DEP_1)
	v_cvt_i32_f32_e32 v14, v7
	s_branch .LBB119_3315
.LBB119_3310:
	s_mov_b32 s7, -1
	s_branch .LBB119_3314
.LBB119_3311:
	s_and_not1_saveexec_b32 s7, s7
	s_cbranch_execz .LBB119_3292
.LBB119_3312:
	v_cmp_ne_u16_e32 vcc_lo, 0, v7
	s_and_not1_b32 s16, s16, exec_lo
	s_and_b32 s17, vcc_lo, exec_lo
	s_delay_alu instid0(SALU_CYCLE_1)
	s_or_b32 s16, s16, s17
	s_or_b32 exec_lo, exec_lo, s7
	v_mov_b32_e32 v14, 0
	s_and_saveexec_b32 s7, s16
	s_cbranch_execnz .LBB119_3293
	s_branch .LBB119_3294
.LBB119_3313:
	s_mov_b32 s6, -1
.LBB119_3314:
                                        ; implicit-def: $vgpr14
.LBB119_3315:
	s_and_b32 vcc_lo, exec_lo, s7
	s_mov_b32 s7, 0
	s_cbranch_vccz .LBB119_3317
; %bb.3316:
	s_cmp_lg_u32 s13, 11
	s_mov_b32 s7, -1
	s_cselect_b32 s6, -1, 0
.LBB119_3317:
	s_delay_alu instid0(SALU_CYCLE_1)
	s_and_b32 vcc_lo, exec_lo, s6
	s_cbranch_vccnz .LBB119_3382
; %bb.3318:
	s_and_not1_b32 vcc_lo, exec_lo, s7
	s_cbranch_vccnz .LBB119_3320
.LBB119_3319:
	global_load_u8 v7, v[12:13], off
	s_mov_b32 s16, -1
	s_wait_loadcnt 0x0
	v_cmp_ne_u16_e32 vcc_lo, 0, v7
	s_wait_xcnt 0x1
	v_cndmask_b32_e64 v14, 0, 1, vcc_lo
.LBB119_3320:
	s_mov_b32 s6, 0
.LBB119_3321:
	s_delay_alu instid0(SALU_CYCLE_1)
	s_and_b32 vcc_lo, exec_lo, s6
	s_cbranch_vccz .LBB119_3370
; %bb.3322:
	s_cmp_lt_i32 s13, 5
	s_cbranch_scc1 .LBB119_3327
; %bb.3323:
	s_cmp_lt_i32 s13, 8
	s_cbranch_scc1 .LBB119_3328
	;; [unrolled: 3-line block ×3, first 2 shown]
; %bb.3325:
	s_cmp_gt_i32 s13, 9
	s_cbranch_scc0 .LBB119_3330
; %bb.3326:
	s_wait_loadcnt 0x0
	global_load_b64 v[14:15], v[12:13], off
	s_mov_b32 s6, 0
	s_wait_loadcnt 0x0
	v_cvt_i32_f64_e32 v14, v[14:15]
	s_branch .LBB119_3331
.LBB119_3327:
	s_mov_b32 s6, -1
                                        ; implicit-def: $vgpr14
	s_branch .LBB119_3349
.LBB119_3328:
	s_mov_b32 s6, -1
                                        ; implicit-def: $vgpr14
	s_branch .LBB119_3337
.LBB119_3329:
	s_mov_b32 s6, -1
                                        ; implicit-def: $vgpr14
	s_branch .LBB119_3334
.LBB119_3330:
	s_mov_b32 s6, -1
                                        ; implicit-def: $vgpr14
.LBB119_3331:
	s_delay_alu instid0(SALU_CYCLE_1)
	s_and_not1_b32 vcc_lo, exec_lo, s6
	s_cbranch_vccnz .LBB119_3333
; %bb.3332:
	global_load_b32 v7, v[12:13], off
	s_wait_loadcnt 0x0
	s_wait_xcnt 0x1
	v_cvt_i32_f32_e32 v14, v7
.LBB119_3333:
	s_mov_b32 s6, 0
.LBB119_3334:
	s_delay_alu instid0(SALU_CYCLE_1)
	s_and_not1_b32 vcc_lo, exec_lo, s6
	s_cbranch_vccnz .LBB119_3336
; %bb.3335:
	global_load_b32 v7, v[12:13], off
	s_wait_loadcnt 0x0
	v_cvt_f32_f16_e32 v7, v7
	s_wait_xcnt 0x1
	s_delay_alu instid0(VALU_DEP_1)
	v_cvt_i32_f32_e32 v14, v7
.LBB119_3336:
	s_mov_b32 s6, 0
.LBB119_3337:
	s_delay_alu instid0(SALU_CYCLE_1)
	s_and_not1_b32 vcc_lo, exec_lo, s6
	s_cbranch_vccnz .LBB119_3348
; %bb.3338:
	s_cmp_lt_i32 s13, 6
	s_cbranch_scc1 .LBB119_3341
; %bb.3339:
	s_cmp_gt_i32 s13, 6
	s_cbranch_scc0 .LBB119_3342
; %bb.3340:
	s_wait_loadcnt 0x0
	global_load_b64 v[14:15], v[12:13], off
	s_mov_b32 s6, 0
	s_wait_loadcnt 0x0
	v_cvt_i32_f64_e32 v14, v[14:15]
	s_branch .LBB119_3343
.LBB119_3341:
	s_mov_b32 s6, -1
                                        ; implicit-def: $vgpr14
	s_branch .LBB119_3346
.LBB119_3342:
	s_mov_b32 s6, -1
                                        ; implicit-def: $vgpr14
.LBB119_3343:
	s_delay_alu instid0(SALU_CYCLE_1)
	s_and_not1_b32 vcc_lo, exec_lo, s6
	s_cbranch_vccnz .LBB119_3345
; %bb.3344:
	global_load_b32 v7, v[12:13], off
	s_wait_loadcnt 0x0
	s_wait_xcnt 0x1
	v_cvt_i32_f32_e32 v14, v7
.LBB119_3345:
	s_mov_b32 s6, 0
.LBB119_3346:
	s_delay_alu instid0(SALU_CYCLE_1)
	s_and_not1_b32 vcc_lo, exec_lo, s6
	s_cbranch_vccnz .LBB119_3348
; %bb.3347:
	global_load_u16 v7, v[12:13], off
	s_wait_loadcnt 0x0
	v_cvt_f32_f16_e32 v7, v7
	s_wait_xcnt 0x1
	s_delay_alu instid0(VALU_DEP_1)
	v_cvt_i32_f32_e32 v14, v7
.LBB119_3348:
	s_mov_b32 s6, 0
.LBB119_3349:
	s_delay_alu instid0(SALU_CYCLE_1)
	s_and_not1_b32 vcc_lo, exec_lo, s6
	s_cbranch_vccnz .LBB119_3369
; %bb.3350:
	s_cmp_lt_i32 s13, 2
	s_cbranch_scc1 .LBB119_3354
; %bb.3351:
	s_cmp_lt_i32 s13, 3
	s_cbranch_scc1 .LBB119_3355
; %bb.3352:
	s_cmp_gt_i32 s13, 3
	s_cbranch_scc0 .LBB119_3356
; %bb.3353:
	s_wait_loadcnt 0x0
	global_load_b32 v14, v[12:13], off
	s_mov_b32 s6, 0
	s_branch .LBB119_3357
.LBB119_3354:
	s_mov_b32 s6, -1
                                        ; implicit-def: $vgpr14
	s_branch .LBB119_3363
.LBB119_3355:
	s_mov_b32 s6, -1
                                        ; implicit-def: $vgpr14
	s_branch .LBB119_3360
.LBB119_3356:
	s_mov_b32 s6, -1
                                        ; implicit-def: $vgpr14
.LBB119_3357:
	s_delay_alu instid0(SALU_CYCLE_1)
	s_and_not1_b32 vcc_lo, exec_lo, s6
	s_cbranch_vccnz .LBB119_3359
; %bb.3358:
	s_wait_loadcnt 0x0
	global_load_b32 v14, v[12:13], off
.LBB119_3359:
	s_mov_b32 s6, 0
.LBB119_3360:
	s_delay_alu instid0(SALU_CYCLE_1)
	s_and_not1_b32 vcc_lo, exec_lo, s6
	s_cbranch_vccnz .LBB119_3362
; %bb.3361:
	s_wait_loadcnt 0x0
	global_load_i16 v14, v[12:13], off
.LBB119_3362:
	s_mov_b32 s6, 0
.LBB119_3363:
	s_delay_alu instid0(SALU_CYCLE_1)
	s_and_not1_b32 vcc_lo, exec_lo, s6
	s_cbranch_vccnz .LBB119_3369
; %bb.3364:
	s_cmp_gt_i32 s13, 0
	s_mov_b32 s6, 0
	s_cbranch_scc0 .LBB119_3366
; %bb.3365:
	s_wait_loadcnt 0x0
	global_load_i8 v14, v[12:13], off
	s_branch .LBB119_3367
.LBB119_3366:
	s_mov_b32 s6, -1
                                        ; implicit-def: $vgpr14
.LBB119_3367:
	s_delay_alu instid0(SALU_CYCLE_1)
	s_and_not1_b32 vcc_lo, exec_lo, s6
	s_cbranch_vccnz .LBB119_3369
; %bb.3368:
	s_wait_loadcnt 0x0
	global_load_u8 v14, v[12:13], off
.LBB119_3369:
	s_mov_b32 s16, -1
.LBB119_3370:
	s_delay_alu instid0(SALU_CYCLE_1)
	s_and_not1_b32 vcc_lo, exec_lo, s16
	s_cbranch_vccnz .LBB119_4058
; %bb.3371:
	v_mov_b32_e32 v11, 0
	s_cmp_lt_i32 s14, 11
	s_delay_alu instid0(VALU_DEP_1)
	v_add_nc_u64_e32 v[10:11], s[0:1], v[10:11]
	s_cbranch_scc1 .LBB119_3378
; %bb.3372:
	s_cmp_gt_i32 s14, 25
	s_mov_b32 s1, 0
	s_cbranch_scc0 .LBB119_3379
; %bb.3373:
	s_cmp_gt_i32 s14, 28
	s_cbranch_scc0 .LBB119_3380
; %bb.3374:
	s_cmp_gt_i32 s14, 43
	;; [unrolled: 3-line block ×3, first 2 shown]
	s_cbranch_scc0 .LBB119_3383
; %bb.3376:
	s_cmp_eq_u32 s14, 46
	s_mov_b32 s7, 0
	s_cbranch_scc0 .LBB119_3384
; %bb.3377:
	global_load_b32 v7, v[10:11], off
	s_mov_b32 s0, 0
	s_mov_b32 s6, -1
	s_wait_loadcnt 0x0
	v_lshlrev_b32_e32 v7, 16, v7
	s_wait_xcnt 0x1
	s_delay_alu instid0(VALU_DEP_1)
	v_cvt_i32_f32_e32 v12, v7
	s_branch .LBB119_3386
.LBB119_3378:
	s_mov_b32 s0, -1
	s_mov_b32 s6, 0
                                        ; implicit-def: $vgpr12
	s_branch .LBB119_3448
.LBB119_3379:
	s_mov_b32 s7, -1
	s_mov_b32 s6, 0
	s_mov_b32 s0, 0
                                        ; implicit-def: $vgpr12
	s_branch .LBB119_3413
.LBB119_3380:
	s_mov_b32 s7, -1
	s_mov_b32 s6, 0
	s_mov_b32 s0, 0
                                        ; implicit-def: $vgpr12
	s_branch .LBB119_3396
.LBB119_3381:
	s_mov_b32 s7, -1
	s_mov_b32 s6, 0
	s_mov_b32 s0, 0
                                        ; implicit-def: $vgpr12
	s_branch .LBB119_3391
.LBB119_3382:
	s_or_b32 s12, s12, exec_lo
	s_trap 2
	s_cbranch_execz .LBB119_3319
	s_branch .LBB119_3320
.LBB119_3383:
	s_mov_b32 s7, -1
	s_mov_b32 s6, 0
	s_mov_b32 s0, 0
	s_branch .LBB119_3385
.LBB119_3384:
	s_mov_b32 s0, -1
	s_mov_b32 s6, 0
.LBB119_3385:
                                        ; implicit-def: $vgpr12
.LBB119_3386:
	s_and_b32 vcc_lo, exec_lo, s7
	s_cbranch_vccz .LBB119_3390
; %bb.3387:
	s_cmp_eq_u32 s14, 44
	s_cbranch_scc0 .LBB119_3389
; %bb.3388:
	global_load_u8 v7, v[10:11], off
	s_mov_b32 s0, 0
	s_mov_b32 s6, -1
	s_wait_loadcnt 0x0
	v_lshlrev_b32_e32 v9, 23, v7
	v_cmp_ne_u32_e32 vcc_lo, 0, v7
	s_delay_alu instid0(VALU_DEP_2) | instskip(SKIP_1) | instid1(VALU_DEP_1)
	v_cvt_i32_f32_e32 v9, v9
	s_wait_xcnt 0x1
	v_cndmask_b32_e32 v12, 0, v9, vcc_lo
	s_branch .LBB119_3390
.LBB119_3389:
	s_mov_b32 s0, -1
                                        ; implicit-def: $vgpr12
.LBB119_3390:
	s_mov_b32 s7, 0
.LBB119_3391:
	s_delay_alu instid0(SALU_CYCLE_1)
	s_and_b32 vcc_lo, exec_lo, s7
	s_cbranch_vccz .LBB119_3395
; %bb.3392:
	s_cmp_eq_u32 s14, 29
	s_cbranch_scc0 .LBB119_3394
; %bb.3393:
	global_load_b32 v12, v[10:11], off
	s_mov_b32 s0, 0
	s_mov_b32 s6, -1
	s_branch .LBB119_3395
.LBB119_3394:
	s_mov_b32 s0, -1
                                        ; implicit-def: $vgpr12
.LBB119_3395:
	s_mov_b32 s7, 0
.LBB119_3396:
	s_delay_alu instid0(SALU_CYCLE_1)
	s_and_b32 vcc_lo, exec_lo, s7
	s_cbranch_vccz .LBB119_3412
; %bb.3397:
	s_cmp_lt_i32 s14, 27
	s_cbranch_scc1 .LBB119_3400
; %bb.3398:
	s_cmp_gt_i32 s14, 27
	s_cbranch_scc0 .LBB119_3401
; %bb.3399:
	s_wait_loadcnt 0x0
	global_load_b32 v12, v[10:11], off
	s_mov_b32 s6, 0
	s_branch .LBB119_3402
.LBB119_3400:
	s_mov_b32 s6, -1
                                        ; implicit-def: $vgpr12
	s_branch .LBB119_3405
.LBB119_3401:
	s_mov_b32 s6, -1
                                        ; implicit-def: $vgpr12
.LBB119_3402:
	s_delay_alu instid0(SALU_CYCLE_1)
	s_and_not1_b32 vcc_lo, exec_lo, s6
	s_cbranch_vccnz .LBB119_3404
; %bb.3403:
	s_wait_loadcnt 0x0
	global_load_u16 v12, v[10:11], off
.LBB119_3404:
	s_mov_b32 s6, 0
.LBB119_3405:
	s_delay_alu instid0(SALU_CYCLE_1)
	s_and_not1_b32 vcc_lo, exec_lo, s6
	s_cbranch_vccnz .LBB119_3411
; %bb.3406:
	global_load_u8 v7, v[10:11], off
	s_mov_b32 s7, 0
	s_mov_b32 s6, exec_lo
	s_wait_loadcnt 0x0
	v_cmpx_lt_i16_e32 0x7f, v7
	s_xor_b32 s6, exec_lo, s6
	s_cbranch_execz .LBB119_3423
; %bb.3407:
	v_cmp_ne_u16_e32 vcc_lo, 0x80, v7
	s_and_b32 s7, vcc_lo, exec_lo
	s_and_not1_saveexec_b32 s6, s6
	s_cbranch_execnz .LBB119_3424
.LBB119_3408:
	s_or_b32 exec_lo, exec_lo, s6
	v_mov_b32_e32 v12, 0
	s_and_saveexec_b32 s6, s7
	s_cbranch_execz .LBB119_3410
.LBB119_3409:
	v_and_b32_e32 v9, 0xffff, v7
	s_delay_alu instid0(VALU_DEP_1) | instskip(SKIP_1) | instid1(VALU_DEP_2)
	v_dual_lshlrev_b32 v7, 24, v7 :: v_dual_bitop2_b32 v12, 7, v9 bitop3:0x40
	v_bfe_u32 v17, v9, 3, 4
	v_and_b32_e32 v7, 0x80000000, v7
	s_delay_alu instid0(VALU_DEP_3) | instskip(NEXT) | instid1(VALU_DEP_3)
	v_clz_i32_u32_e32 v13, v12
	v_cmp_eq_u32_e32 vcc_lo, 0, v17
	s_delay_alu instid0(VALU_DEP_2) | instskip(NEXT) | instid1(VALU_DEP_1)
	v_min_u32_e32 v13, 32, v13
	v_subrev_nc_u32_e32 v15, 28, v13
	v_sub_nc_u32_e32 v13, 29, v13
	s_delay_alu instid0(VALU_DEP_2) | instskip(NEXT) | instid1(VALU_DEP_2)
	v_lshlrev_b32_e32 v9, v15, v9
	v_cndmask_b32_e32 v13, v17, v13, vcc_lo
	s_delay_alu instid0(VALU_DEP_2) | instskip(NEXT) | instid1(VALU_DEP_1)
	v_and_b32_e32 v9, 7, v9
	v_cndmask_b32_e32 v9, v12, v9, vcc_lo
	s_delay_alu instid0(VALU_DEP_3) | instskip(NEXT) | instid1(VALU_DEP_2)
	v_lshl_add_u32 v12, v13, 23, 0x3b800000
	v_lshlrev_b32_e32 v9, 20, v9
	s_delay_alu instid0(VALU_DEP_1) | instskip(NEXT) | instid1(VALU_DEP_1)
	v_or3_b32 v7, v7, v12, v9
	v_cvt_i32_f32_e32 v12, v7
.LBB119_3410:
	s_or_b32 exec_lo, exec_lo, s6
.LBB119_3411:
	s_mov_b32 s6, -1
.LBB119_3412:
	s_mov_b32 s7, 0
.LBB119_3413:
	s_delay_alu instid0(SALU_CYCLE_1)
	s_and_b32 vcc_lo, exec_lo, s7
	s_cbranch_vccz .LBB119_3444
; %bb.3414:
	s_cmp_gt_i32 s14, 22
	s_cbranch_scc0 .LBB119_3422
; %bb.3415:
	s_cmp_lt_i32 s14, 24
	s_cbranch_scc1 .LBB119_3425
; %bb.3416:
	s_cmp_gt_i32 s14, 24
	s_cbranch_scc0 .LBB119_3426
; %bb.3417:
	global_load_u8 v7, v[10:11], off
	s_mov_b32 s6, 0
	s_mov_b32 s1, exec_lo
	s_wait_loadcnt 0x0
	v_cmpx_lt_i16_e32 0x7f, v7
	s_xor_b32 s1, exec_lo, s1
	s_cbranch_execz .LBB119_3438
; %bb.3418:
	v_cmp_ne_u16_e32 vcc_lo, 0x80, v7
	s_and_b32 s6, vcc_lo, exec_lo
	s_and_not1_saveexec_b32 s1, s1
	s_cbranch_execnz .LBB119_3439
.LBB119_3419:
	s_or_b32 exec_lo, exec_lo, s1
	v_mov_b32_e32 v12, 0
	s_and_saveexec_b32 s1, s6
	s_cbranch_execz .LBB119_3421
.LBB119_3420:
	v_and_b32_e32 v9, 0xffff, v7
	s_delay_alu instid0(VALU_DEP_1) | instskip(SKIP_1) | instid1(VALU_DEP_2)
	v_dual_lshlrev_b32 v7, 24, v7 :: v_dual_bitop2_b32 v12, 3, v9 bitop3:0x40
	v_bfe_u32 v17, v9, 2, 5
	v_and_b32_e32 v7, 0x80000000, v7
	s_delay_alu instid0(VALU_DEP_3) | instskip(NEXT) | instid1(VALU_DEP_3)
	v_clz_i32_u32_e32 v13, v12
	v_cmp_eq_u32_e32 vcc_lo, 0, v17
	s_delay_alu instid0(VALU_DEP_2) | instskip(NEXT) | instid1(VALU_DEP_1)
	v_min_u32_e32 v13, 32, v13
	v_subrev_nc_u32_e32 v15, 29, v13
	v_sub_nc_u32_e32 v13, 30, v13
	s_delay_alu instid0(VALU_DEP_2) | instskip(NEXT) | instid1(VALU_DEP_2)
	v_lshlrev_b32_e32 v9, v15, v9
	v_cndmask_b32_e32 v13, v17, v13, vcc_lo
	s_delay_alu instid0(VALU_DEP_2) | instskip(NEXT) | instid1(VALU_DEP_1)
	v_and_b32_e32 v9, 3, v9
	v_cndmask_b32_e32 v9, v12, v9, vcc_lo
	s_delay_alu instid0(VALU_DEP_3) | instskip(NEXT) | instid1(VALU_DEP_2)
	v_lshl_add_u32 v12, v13, 23, 0x37800000
	v_lshlrev_b32_e32 v9, 21, v9
	s_delay_alu instid0(VALU_DEP_1) | instskip(NEXT) | instid1(VALU_DEP_1)
	v_or3_b32 v7, v7, v12, v9
	v_cvt_i32_f32_e32 v12, v7
.LBB119_3421:
	s_or_b32 exec_lo, exec_lo, s1
	s_mov_b32 s1, 0
	s_branch .LBB119_3427
.LBB119_3422:
	s_mov_b32 s1, -1
                                        ; implicit-def: $vgpr12
	s_branch .LBB119_3433
.LBB119_3423:
	s_and_not1_saveexec_b32 s6, s6
	s_cbranch_execz .LBB119_3408
.LBB119_3424:
	v_cmp_ne_u16_e32 vcc_lo, 0, v7
	s_and_not1_b32 s7, s7, exec_lo
	s_and_b32 s13, vcc_lo, exec_lo
	s_delay_alu instid0(SALU_CYCLE_1)
	s_or_b32 s7, s7, s13
	s_or_b32 exec_lo, exec_lo, s6
	v_mov_b32_e32 v12, 0
	s_and_saveexec_b32 s6, s7
	s_cbranch_execnz .LBB119_3409
	s_branch .LBB119_3410
.LBB119_3425:
	s_mov_b32 s1, -1
                                        ; implicit-def: $vgpr12
	s_branch .LBB119_3430
.LBB119_3426:
	s_mov_b32 s1, -1
                                        ; implicit-def: $vgpr12
.LBB119_3427:
	s_delay_alu instid0(SALU_CYCLE_1)
	s_and_b32 vcc_lo, exec_lo, s1
	s_cbranch_vccz .LBB119_3429
; %bb.3428:
	global_load_u8 v7, v[10:11], off
	s_wait_loadcnt 0x0
	v_lshlrev_b32_e32 v7, 24, v7
	s_delay_alu instid0(VALU_DEP_1) | instskip(SKIP_1) | instid1(VALU_DEP_1)
	v_and_b32_e32 v9, 0x7f000000, v7
	s_wait_xcnt 0x1
	v_clz_i32_u32_e32 v12, v9
	v_add_nc_u32_e32 v15, 0x1000000, v9
	v_cmp_ne_u32_e32 vcc_lo, 0, v9
	s_delay_alu instid0(VALU_DEP_3) | instskip(NEXT) | instid1(VALU_DEP_1)
	v_min_u32_e32 v12, 32, v12
	v_sub_nc_u32_e64 v12, v12, 4 clamp
	s_delay_alu instid0(VALU_DEP_1) | instskip(NEXT) | instid1(VALU_DEP_1)
	v_dual_lshlrev_b32 v13, v12, v9 :: v_dual_lshlrev_b32 v12, 23, v12
	v_lshrrev_b32_e32 v13, 4, v13
	s_delay_alu instid0(VALU_DEP_1) | instskip(NEXT) | instid1(VALU_DEP_1)
	v_dual_sub_nc_u32 v12, v13, v12 :: v_dual_ashrrev_i32 v13, 8, v15
	v_add_nc_u32_e32 v12, 0x3c000000, v12
	s_delay_alu instid0(VALU_DEP_1) | instskip(NEXT) | instid1(VALU_DEP_1)
	v_and_or_b32 v12, 0x7f800000, v13, v12
	v_cndmask_b32_e32 v9, 0, v12, vcc_lo
	s_delay_alu instid0(VALU_DEP_1) | instskip(NEXT) | instid1(VALU_DEP_1)
	v_and_or_b32 v7, 0x80000000, v7, v9
	v_cvt_i32_f32_e32 v12, v7
.LBB119_3429:
	s_mov_b32 s1, 0
.LBB119_3430:
	s_delay_alu instid0(SALU_CYCLE_1)
	s_and_not1_b32 vcc_lo, exec_lo, s1
	s_cbranch_vccnz .LBB119_3432
; %bb.3431:
	global_load_u8 v7, v[10:11], off
	s_wait_loadcnt 0x0
	v_lshlrev_b32_e32 v9, 25, v7
	v_lshlrev_b16 v7, 8, v7
	s_wait_xcnt 0x1
	s_delay_alu instid0(VALU_DEP_1) | instskip(SKIP_1) | instid1(VALU_DEP_2)
	v_and_or_b32 v13, 0x7f00, v7, 0.5
	v_bfe_i32 v7, v7, 0, 16
	v_add_f32_e32 v13, -0.5, v13
	v_lshrrev_b32_e32 v12, 4, v9
	v_cmp_gt_u32_e32 vcc_lo, 0x8000000, v9
	s_delay_alu instid0(VALU_DEP_2) | instskip(NEXT) | instid1(VALU_DEP_1)
	v_or_b32_e32 v12, 0x70000000, v12
	v_mul_f32_e32 v12, 0x7800000, v12
	s_delay_alu instid0(VALU_DEP_1) | instskip(NEXT) | instid1(VALU_DEP_1)
	v_cndmask_b32_e32 v9, v12, v13, vcc_lo
	v_and_or_b32 v7, 0x80000000, v7, v9
	s_delay_alu instid0(VALU_DEP_1)
	v_cvt_i32_f32_e32 v12, v7
.LBB119_3432:
	s_mov_b32 s1, 0
	s_mov_b32 s6, -1
.LBB119_3433:
	s_and_not1_b32 vcc_lo, exec_lo, s1
	s_mov_b32 s1, 0
	s_cbranch_vccnz .LBB119_3444
; %bb.3434:
	s_cmp_gt_i32 s14, 14
	s_cbranch_scc0 .LBB119_3437
; %bb.3435:
	s_cmp_eq_u32 s14, 15
	s_cbranch_scc0 .LBB119_3440
; %bb.3436:
	global_load_u16 v7, v[10:11], off
	s_mov_b32 s0, 0
	s_mov_b32 s6, -1
	s_wait_loadcnt 0x0
	v_lshlrev_b32_e32 v7, 16, v7
	s_wait_xcnt 0x1
	s_delay_alu instid0(VALU_DEP_1)
	v_cvt_i32_f32_e32 v12, v7
	s_branch .LBB119_3442
.LBB119_3437:
	s_mov_b32 s1, -1
	s_branch .LBB119_3441
.LBB119_3438:
	s_and_not1_saveexec_b32 s1, s1
	s_cbranch_execz .LBB119_3419
.LBB119_3439:
	v_cmp_ne_u16_e32 vcc_lo, 0, v7
	s_and_not1_b32 s6, s6, exec_lo
	s_and_b32 s7, vcc_lo, exec_lo
	s_delay_alu instid0(SALU_CYCLE_1)
	s_or_b32 s6, s6, s7
	s_or_b32 exec_lo, exec_lo, s1
	v_mov_b32_e32 v12, 0
	s_and_saveexec_b32 s1, s6
	s_cbranch_execnz .LBB119_3420
	s_branch .LBB119_3421
.LBB119_3440:
	s_mov_b32 s0, -1
.LBB119_3441:
                                        ; implicit-def: $vgpr12
.LBB119_3442:
	s_and_b32 vcc_lo, exec_lo, s1
	s_mov_b32 s1, 0
	s_cbranch_vccz .LBB119_3444
; %bb.3443:
	s_cmp_lg_u32 s14, 11
	s_mov_b32 s1, -1
	s_cselect_b32 s0, -1, 0
.LBB119_3444:
	s_delay_alu instid0(SALU_CYCLE_1)
	s_and_b32 vcc_lo, exec_lo, s0
	s_cbranch_vccnz .LBB119_3509
; %bb.3445:
	s_and_not1_b32 vcc_lo, exec_lo, s1
	s_cbranch_vccnz .LBB119_3447
.LBB119_3446:
	global_load_u8 v7, v[10:11], off
	s_mov_b32 s6, -1
	s_wait_loadcnt 0x0
	v_cmp_ne_u16_e32 vcc_lo, 0, v7
	s_wait_xcnt 0x1
	v_cndmask_b32_e64 v12, 0, 1, vcc_lo
.LBB119_3447:
	s_mov_b32 s0, 0
.LBB119_3448:
	s_delay_alu instid0(SALU_CYCLE_1)
	s_and_b32 vcc_lo, exec_lo, s0
	s_cbranch_vccz .LBB119_3497
; %bb.3449:
	s_cmp_lt_i32 s14, 5
	s_cbranch_scc1 .LBB119_3454
; %bb.3450:
	s_cmp_lt_i32 s14, 8
	s_cbranch_scc1 .LBB119_3455
	;; [unrolled: 3-line block ×3, first 2 shown]
; %bb.3452:
	s_cmp_gt_i32 s14, 9
	s_cbranch_scc0 .LBB119_3457
; %bb.3453:
	s_wait_loadcnt 0x0
	global_load_b64 v[12:13], v[10:11], off
	s_mov_b32 s0, 0
	s_wait_loadcnt 0x0
	v_cvt_i32_f64_e32 v12, v[12:13]
	s_branch .LBB119_3458
.LBB119_3454:
	s_mov_b32 s0, -1
                                        ; implicit-def: $vgpr12
	s_branch .LBB119_3476
.LBB119_3455:
	s_mov_b32 s0, -1
                                        ; implicit-def: $vgpr12
	s_branch .LBB119_3464
.LBB119_3456:
	s_mov_b32 s0, -1
                                        ; implicit-def: $vgpr12
	s_branch .LBB119_3461
.LBB119_3457:
	s_mov_b32 s0, -1
                                        ; implicit-def: $vgpr12
.LBB119_3458:
	s_delay_alu instid0(SALU_CYCLE_1)
	s_and_not1_b32 vcc_lo, exec_lo, s0
	s_cbranch_vccnz .LBB119_3460
; %bb.3459:
	global_load_b32 v7, v[10:11], off
	s_wait_loadcnt 0x0
	s_wait_xcnt 0x1
	v_cvt_i32_f32_e32 v12, v7
.LBB119_3460:
	s_mov_b32 s0, 0
.LBB119_3461:
	s_delay_alu instid0(SALU_CYCLE_1)
	s_and_not1_b32 vcc_lo, exec_lo, s0
	s_cbranch_vccnz .LBB119_3463
; %bb.3462:
	global_load_b32 v7, v[10:11], off
	s_wait_loadcnt 0x0
	v_cvt_f32_f16_e32 v7, v7
	s_wait_xcnt 0x1
	s_delay_alu instid0(VALU_DEP_1)
	v_cvt_i32_f32_e32 v12, v7
.LBB119_3463:
	s_mov_b32 s0, 0
.LBB119_3464:
	s_delay_alu instid0(SALU_CYCLE_1)
	s_and_not1_b32 vcc_lo, exec_lo, s0
	s_cbranch_vccnz .LBB119_3475
; %bb.3465:
	s_cmp_lt_i32 s14, 6
	s_cbranch_scc1 .LBB119_3468
; %bb.3466:
	s_cmp_gt_i32 s14, 6
	s_cbranch_scc0 .LBB119_3469
; %bb.3467:
	s_wait_loadcnt 0x0
	global_load_b64 v[12:13], v[10:11], off
	s_mov_b32 s0, 0
	s_wait_loadcnt 0x0
	v_cvt_i32_f64_e32 v12, v[12:13]
	s_branch .LBB119_3470
.LBB119_3468:
	s_mov_b32 s0, -1
                                        ; implicit-def: $vgpr12
	s_branch .LBB119_3473
.LBB119_3469:
	s_mov_b32 s0, -1
                                        ; implicit-def: $vgpr12
.LBB119_3470:
	s_delay_alu instid0(SALU_CYCLE_1)
	s_and_not1_b32 vcc_lo, exec_lo, s0
	s_cbranch_vccnz .LBB119_3472
; %bb.3471:
	global_load_b32 v7, v[10:11], off
	s_wait_loadcnt 0x0
	s_wait_xcnt 0x1
	v_cvt_i32_f32_e32 v12, v7
.LBB119_3472:
	s_mov_b32 s0, 0
.LBB119_3473:
	s_delay_alu instid0(SALU_CYCLE_1)
	s_and_not1_b32 vcc_lo, exec_lo, s0
	s_cbranch_vccnz .LBB119_3475
; %bb.3474:
	global_load_u16 v7, v[10:11], off
	s_wait_loadcnt 0x0
	v_cvt_f32_f16_e32 v7, v7
	s_wait_xcnt 0x1
	s_delay_alu instid0(VALU_DEP_1)
	v_cvt_i32_f32_e32 v12, v7
.LBB119_3475:
	s_mov_b32 s0, 0
.LBB119_3476:
	s_delay_alu instid0(SALU_CYCLE_1)
	s_and_not1_b32 vcc_lo, exec_lo, s0
	s_cbranch_vccnz .LBB119_3496
; %bb.3477:
	s_cmp_lt_i32 s14, 2
	s_cbranch_scc1 .LBB119_3481
; %bb.3478:
	s_cmp_lt_i32 s14, 3
	s_cbranch_scc1 .LBB119_3482
; %bb.3479:
	s_cmp_gt_i32 s14, 3
	s_cbranch_scc0 .LBB119_3483
; %bb.3480:
	s_wait_loadcnt 0x0
	global_load_b32 v12, v[10:11], off
	s_mov_b32 s0, 0
	s_branch .LBB119_3484
.LBB119_3481:
	s_mov_b32 s0, -1
                                        ; implicit-def: $vgpr12
	s_branch .LBB119_3490
.LBB119_3482:
	s_mov_b32 s0, -1
                                        ; implicit-def: $vgpr12
	s_branch .LBB119_3487
.LBB119_3483:
	s_mov_b32 s0, -1
                                        ; implicit-def: $vgpr12
.LBB119_3484:
	s_delay_alu instid0(SALU_CYCLE_1)
	s_and_not1_b32 vcc_lo, exec_lo, s0
	s_cbranch_vccnz .LBB119_3486
; %bb.3485:
	s_wait_loadcnt 0x0
	global_load_b32 v12, v[10:11], off
.LBB119_3486:
	s_mov_b32 s0, 0
.LBB119_3487:
	s_delay_alu instid0(SALU_CYCLE_1)
	s_and_not1_b32 vcc_lo, exec_lo, s0
	s_cbranch_vccnz .LBB119_3489
; %bb.3488:
	s_wait_loadcnt 0x0
	global_load_i16 v12, v[10:11], off
.LBB119_3489:
	s_mov_b32 s0, 0
.LBB119_3490:
	s_delay_alu instid0(SALU_CYCLE_1)
	s_and_not1_b32 vcc_lo, exec_lo, s0
	s_cbranch_vccnz .LBB119_3496
; %bb.3491:
	s_cmp_gt_i32 s14, 0
	s_mov_b32 s0, 0
	s_cbranch_scc0 .LBB119_3493
; %bb.3492:
	s_wait_loadcnt 0x0
	global_load_i8 v12, v[10:11], off
	s_branch .LBB119_3494
.LBB119_3493:
	s_mov_b32 s0, -1
                                        ; implicit-def: $vgpr12
.LBB119_3494:
	s_delay_alu instid0(SALU_CYCLE_1)
	s_and_not1_b32 vcc_lo, exec_lo, s0
	s_cbranch_vccnz .LBB119_3496
; %bb.3495:
	s_wait_loadcnt 0x0
	global_load_u8 v12, v[10:11], off
.LBB119_3496:
	s_mov_b32 s6, -1
.LBB119_3497:
	s_delay_alu instid0(SALU_CYCLE_1)
	s_and_not1_b32 vcc_lo, exec_lo, s6
	s_cbranch_vccnz .LBB119_4058
; %bb.3498:
	v_mov_b32_e32 v9, 0
	s_cmp_lt_i32 s15, 11
	s_delay_alu instid0(VALU_DEP_1)
	v_add_nc_u64_e32 v[8:9], s[8:9], v[8:9]
	s_cbranch_scc1 .LBB119_3505
; %bb.3499:
	s_cmp_gt_i32 s15, 25
	s_mov_b32 s1, 0
	s_cbranch_scc0 .LBB119_3506
; %bb.3500:
	s_cmp_gt_i32 s15, 28
	s_cbranch_scc0 .LBB119_3507
; %bb.3501:
	s_cmp_gt_i32 s15, 43
	;; [unrolled: 3-line block ×3, first 2 shown]
	s_cbranch_scc0 .LBB119_3510
; %bb.3503:
	s_cmp_eq_u32 s15, 46
	s_mov_b32 s7, 0
	s_cbranch_scc0 .LBB119_3511
; %bb.3504:
	global_load_b32 v7, v[8:9], off
	s_mov_b32 s0, 0
	s_mov_b32 s6, -1
	s_wait_loadcnt 0x0
	v_lshlrev_b32_e32 v7, 16, v7
	s_wait_xcnt 0x1
	s_delay_alu instid0(VALU_DEP_1)
	v_cvt_i32_f32_e32 v10, v7
	s_branch .LBB119_3513
.LBB119_3505:
	s_mov_b32 s0, -1
	s_mov_b32 s6, 0
                                        ; implicit-def: $vgpr10
	s_branch .LBB119_3575
.LBB119_3506:
	s_mov_b32 s7, -1
	s_mov_b32 s6, 0
	s_mov_b32 s0, 0
                                        ; implicit-def: $vgpr10
	s_branch .LBB119_3540
.LBB119_3507:
	s_mov_b32 s7, -1
	s_mov_b32 s6, 0
	s_mov_b32 s0, 0
                                        ; implicit-def: $vgpr10
	s_branch .LBB119_3523
.LBB119_3508:
	s_mov_b32 s7, -1
	s_mov_b32 s6, 0
	s_mov_b32 s0, 0
                                        ; implicit-def: $vgpr10
	s_branch .LBB119_3518
.LBB119_3509:
	s_or_b32 s12, s12, exec_lo
	s_trap 2
	s_cbranch_execz .LBB119_3446
	s_branch .LBB119_3447
.LBB119_3510:
	s_mov_b32 s7, -1
	s_mov_b32 s6, 0
	s_mov_b32 s0, 0
	s_branch .LBB119_3512
.LBB119_3511:
	s_mov_b32 s0, -1
	s_mov_b32 s6, 0
.LBB119_3512:
                                        ; implicit-def: $vgpr10
.LBB119_3513:
	s_and_b32 vcc_lo, exec_lo, s7
	s_cbranch_vccz .LBB119_3517
; %bb.3514:
	s_cmp_eq_u32 s15, 44
	s_cbranch_scc0 .LBB119_3516
; %bb.3515:
	global_load_u8 v7, v[8:9], off
	s_mov_b32 s0, 0
	s_mov_b32 s6, -1
	s_wait_loadcnt 0x0
	s_wait_xcnt 0x1
	v_lshlrev_b32_e32 v10, 23, v7
	v_cmp_ne_u32_e32 vcc_lo, 0, v7
	s_delay_alu instid0(VALU_DEP_2) | instskip(NEXT) | instid1(VALU_DEP_1)
	v_cvt_i32_f32_e32 v10, v10
	v_cndmask_b32_e32 v10, 0, v10, vcc_lo
	s_branch .LBB119_3517
.LBB119_3516:
	s_mov_b32 s0, -1
                                        ; implicit-def: $vgpr10
.LBB119_3517:
	s_mov_b32 s7, 0
.LBB119_3518:
	s_delay_alu instid0(SALU_CYCLE_1)
	s_and_b32 vcc_lo, exec_lo, s7
	s_cbranch_vccz .LBB119_3522
; %bb.3519:
	s_cmp_eq_u32 s15, 29
	s_cbranch_scc0 .LBB119_3521
; %bb.3520:
	global_load_b32 v10, v[8:9], off
	s_mov_b32 s0, 0
	s_mov_b32 s6, -1
	s_branch .LBB119_3522
.LBB119_3521:
	s_mov_b32 s0, -1
                                        ; implicit-def: $vgpr10
.LBB119_3522:
	s_mov_b32 s7, 0
.LBB119_3523:
	s_delay_alu instid0(SALU_CYCLE_1)
	s_and_b32 vcc_lo, exec_lo, s7
	s_cbranch_vccz .LBB119_3539
; %bb.3524:
	s_cmp_lt_i32 s15, 27
	s_cbranch_scc1 .LBB119_3527
; %bb.3525:
	s_cmp_gt_i32 s15, 27
	s_cbranch_scc0 .LBB119_3528
; %bb.3526:
	s_wait_loadcnt 0x0
	global_load_b32 v10, v[8:9], off
	s_mov_b32 s6, 0
	s_branch .LBB119_3529
.LBB119_3527:
	s_mov_b32 s6, -1
                                        ; implicit-def: $vgpr10
	s_branch .LBB119_3532
.LBB119_3528:
	s_mov_b32 s6, -1
                                        ; implicit-def: $vgpr10
.LBB119_3529:
	s_delay_alu instid0(SALU_CYCLE_1)
	s_and_not1_b32 vcc_lo, exec_lo, s6
	s_cbranch_vccnz .LBB119_3531
; %bb.3530:
	s_wait_loadcnt 0x0
	global_load_u16 v10, v[8:9], off
.LBB119_3531:
	s_mov_b32 s6, 0
.LBB119_3532:
	s_delay_alu instid0(SALU_CYCLE_1)
	s_and_not1_b32 vcc_lo, exec_lo, s6
	s_cbranch_vccnz .LBB119_3538
; %bb.3533:
	global_load_u8 v7, v[8:9], off
	s_mov_b32 s7, 0
	s_mov_b32 s6, exec_lo
	s_wait_loadcnt 0x0
	v_cmpx_lt_i16_e32 0x7f, v7
	s_xor_b32 s6, exec_lo, s6
	s_cbranch_execz .LBB119_3550
; %bb.3534:
	v_cmp_ne_u16_e32 vcc_lo, 0x80, v7
	s_and_b32 s7, vcc_lo, exec_lo
	s_and_not1_saveexec_b32 s6, s6
	s_cbranch_execnz .LBB119_3551
.LBB119_3535:
	s_or_b32 exec_lo, exec_lo, s6
	v_mov_b32_e32 v10, 0
	s_and_saveexec_b32 s6, s7
	s_cbranch_execz .LBB119_3537
.LBB119_3536:
	v_and_b32_e32 v10, 0xffff, v7
	s_delay_alu instid0(VALU_DEP_1) | instskip(SKIP_1) | instid1(VALU_DEP_2)
	v_and_b32_e32 v11, 7, v10
	v_bfe_u32 v17, v10, 3, 4
	v_clz_i32_u32_e32 v13, v11
	s_delay_alu instid0(VALU_DEP_2) | instskip(NEXT) | instid1(VALU_DEP_2)
	v_cmp_eq_u32_e32 vcc_lo, 0, v17
	v_min_u32_e32 v13, 32, v13
	s_delay_alu instid0(VALU_DEP_1) | instskip(NEXT) | instid1(VALU_DEP_1)
	v_subrev_nc_u32_e32 v15, 28, v13
	v_dual_lshlrev_b32 v10, v15, v10 :: v_dual_sub_nc_u32 v13, 29, v13
	s_delay_alu instid0(VALU_DEP_1) | instskip(NEXT) | instid1(VALU_DEP_1)
	v_dual_lshlrev_b32 v7, 24, v7 :: v_dual_bitop2_b32 v10, 7, v10 bitop3:0x40
	v_dual_cndmask_b32 v13, v17, v13 :: v_dual_cndmask_b32 v10, v11, v10
	s_delay_alu instid0(VALU_DEP_2) | instskip(NEXT) | instid1(VALU_DEP_2)
	v_and_b32_e32 v7, 0x80000000, v7
	v_lshl_add_u32 v11, v13, 23, 0x3b800000
	s_delay_alu instid0(VALU_DEP_3) | instskip(NEXT) | instid1(VALU_DEP_1)
	v_lshlrev_b32_e32 v10, 20, v10
	v_or3_b32 v7, v7, v11, v10
	s_delay_alu instid0(VALU_DEP_1)
	v_cvt_i32_f32_e32 v10, v7
.LBB119_3537:
	s_or_b32 exec_lo, exec_lo, s6
.LBB119_3538:
	s_mov_b32 s6, -1
.LBB119_3539:
	s_mov_b32 s7, 0
.LBB119_3540:
	s_delay_alu instid0(SALU_CYCLE_1)
	s_and_b32 vcc_lo, exec_lo, s7
	s_cbranch_vccz .LBB119_3571
; %bb.3541:
	s_cmp_gt_i32 s15, 22
	s_cbranch_scc0 .LBB119_3549
; %bb.3542:
	s_cmp_lt_i32 s15, 24
	s_cbranch_scc1 .LBB119_3552
; %bb.3543:
	s_cmp_gt_i32 s15, 24
	s_cbranch_scc0 .LBB119_3553
; %bb.3544:
	global_load_u8 v7, v[8:9], off
	s_mov_b32 s6, 0
	s_mov_b32 s1, exec_lo
	s_wait_loadcnt 0x0
	v_cmpx_lt_i16_e32 0x7f, v7
	s_xor_b32 s1, exec_lo, s1
	s_cbranch_execz .LBB119_3565
; %bb.3545:
	v_cmp_ne_u16_e32 vcc_lo, 0x80, v7
	s_and_b32 s6, vcc_lo, exec_lo
	s_and_not1_saveexec_b32 s1, s1
	s_cbranch_execnz .LBB119_3566
.LBB119_3546:
	s_or_b32 exec_lo, exec_lo, s1
	v_mov_b32_e32 v10, 0
	s_and_saveexec_b32 s1, s6
	s_cbranch_execz .LBB119_3548
.LBB119_3547:
	v_and_b32_e32 v10, 0xffff, v7
	s_delay_alu instid0(VALU_DEP_1) | instskip(SKIP_1) | instid1(VALU_DEP_2)
	v_and_b32_e32 v11, 3, v10
	v_bfe_u32 v17, v10, 2, 5
	v_clz_i32_u32_e32 v13, v11
	s_delay_alu instid0(VALU_DEP_2) | instskip(NEXT) | instid1(VALU_DEP_2)
	v_cmp_eq_u32_e32 vcc_lo, 0, v17
	v_min_u32_e32 v13, 32, v13
	s_delay_alu instid0(VALU_DEP_1) | instskip(NEXT) | instid1(VALU_DEP_1)
	v_subrev_nc_u32_e32 v15, 29, v13
	v_dual_lshlrev_b32 v10, v15, v10 :: v_dual_sub_nc_u32 v13, 30, v13
	s_delay_alu instid0(VALU_DEP_1) | instskip(NEXT) | instid1(VALU_DEP_1)
	v_dual_lshlrev_b32 v7, 24, v7 :: v_dual_bitop2_b32 v10, 3, v10 bitop3:0x40
	v_dual_cndmask_b32 v13, v17, v13 :: v_dual_cndmask_b32 v10, v11, v10
	s_delay_alu instid0(VALU_DEP_2) | instskip(NEXT) | instid1(VALU_DEP_2)
	v_and_b32_e32 v7, 0x80000000, v7
	v_lshl_add_u32 v11, v13, 23, 0x37800000
	s_delay_alu instid0(VALU_DEP_3) | instskip(NEXT) | instid1(VALU_DEP_1)
	v_lshlrev_b32_e32 v10, 21, v10
	v_or3_b32 v7, v7, v11, v10
	s_delay_alu instid0(VALU_DEP_1)
	v_cvt_i32_f32_e32 v10, v7
.LBB119_3548:
	s_or_b32 exec_lo, exec_lo, s1
	s_mov_b32 s1, 0
	s_branch .LBB119_3554
.LBB119_3549:
	s_mov_b32 s1, -1
                                        ; implicit-def: $vgpr10
	s_branch .LBB119_3560
.LBB119_3550:
	s_and_not1_saveexec_b32 s6, s6
	s_cbranch_execz .LBB119_3535
.LBB119_3551:
	v_cmp_ne_u16_e32 vcc_lo, 0, v7
	s_and_not1_b32 s7, s7, exec_lo
	s_and_b32 s8, vcc_lo, exec_lo
	s_delay_alu instid0(SALU_CYCLE_1)
	s_or_b32 s7, s7, s8
	s_or_b32 exec_lo, exec_lo, s6
	v_mov_b32_e32 v10, 0
	s_and_saveexec_b32 s6, s7
	s_cbranch_execnz .LBB119_3536
	s_branch .LBB119_3537
.LBB119_3552:
	s_mov_b32 s1, -1
                                        ; implicit-def: $vgpr10
	s_branch .LBB119_3557
.LBB119_3553:
	s_mov_b32 s1, -1
                                        ; implicit-def: $vgpr10
.LBB119_3554:
	s_delay_alu instid0(SALU_CYCLE_1)
	s_and_b32 vcc_lo, exec_lo, s1
	s_cbranch_vccz .LBB119_3556
; %bb.3555:
	global_load_u8 v7, v[8:9], off
	s_wait_loadcnt 0x0
	v_lshlrev_b32_e32 v7, 24, v7
	s_wait_xcnt 0x1
	s_delay_alu instid0(VALU_DEP_1) | instskip(NEXT) | instid1(VALU_DEP_1)
	v_and_b32_e32 v10, 0x7f000000, v7
	v_clz_i32_u32_e32 v11, v10
	v_cmp_ne_u32_e32 vcc_lo, 0, v10
	v_add_nc_u32_e32 v15, 0x1000000, v10
	s_delay_alu instid0(VALU_DEP_3) | instskip(NEXT) | instid1(VALU_DEP_1)
	v_min_u32_e32 v11, 32, v11
	v_sub_nc_u32_e64 v11, v11, 4 clamp
	s_delay_alu instid0(VALU_DEP_1) | instskip(NEXT) | instid1(VALU_DEP_1)
	v_dual_lshlrev_b32 v13, v11, v10 :: v_dual_lshlrev_b32 v11, 23, v11
	v_lshrrev_b32_e32 v13, 4, v13
	s_delay_alu instid0(VALU_DEP_1) | instskip(SKIP_1) | instid1(VALU_DEP_2)
	v_sub_nc_u32_e32 v11, v13, v11
	v_ashrrev_i32_e32 v13, 8, v15
	v_add_nc_u32_e32 v11, 0x3c000000, v11
	s_delay_alu instid0(VALU_DEP_1) | instskip(NEXT) | instid1(VALU_DEP_1)
	v_and_or_b32 v11, 0x7f800000, v13, v11
	v_cndmask_b32_e32 v10, 0, v11, vcc_lo
	s_delay_alu instid0(VALU_DEP_1) | instskip(NEXT) | instid1(VALU_DEP_1)
	v_and_or_b32 v7, 0x80000000, v7, v10
	v_cvt_i32_f32_e32 v10, v7
.LBB119_3556:
	s_mov_b32 s1, 0
.LBB119_3557:
	s_delay_alu instid0(SALU_CYCLE_1)
	s_and_not1_b32 vcc_lo, exec_lo, s1
	s_cbranch_vccnz .LBB119_3559
; %bb.3558:
	global_load_u8 v7, v[8:9], off
	s_wait_loadcnt 0x0
	s_wait_xcnt 0x1
	v_lshlrev_b32_e32 v10, 25, v7
	v_lshlrev_b16 v7, 8, v7
	s_delay_alu instid0(VALU_DEP_1) | instskip(SKIP_1) | instid1(VALU_DEP_2)
	v_and_or_b32 v13, 0x7f00, v7, 0.5
	v_bfe_i32 v7, v7, 0, 16
	v_dual_add_f32 v13, -0.5, v13 :: v_dual_lshrrev_b32 v11, 4, v10
	v_cmp_gt_u32_e32 vcc_lo, 0x8000000, v10
	s_delay_alu instid0(VALU_DEP_2) | instskip(NEXT) | instid1(VALU_DEP_1)
	v_or_b32_e32 v11, 0x70000000, v11
	v_mul_f32_e32 v11, 0x7800000, v11
	s_delay_alu instid0(VALU_DEP_1) | instskip(NEXT) | instid1(VALU_DEP_1)
	v_cndmask_b32_e32 v10, v11, v13, vcc_lo
	v_and_or_b32 v7, 0x80000000, v7, v10
	s_delay_alu instid0(VALU_DEP_1)
	v_cvt_i32_f32_e32 v10, v7
.LBB119_3559:
	s_mov_b32 s1, 0
	s_mov_b32 s6, -1
.LBB119_3560:
	s_and_not1_b32 vcc_lo, exec_lo, s1
	s_mov_b32 s1, 0
	s_cbranch_vccnz .LBB119_3571
; %bb.3561:
	s_cmp_gt_i32 s15, 14
	s_cbranch_scc0 .LBB119_3564
; %bb.3562:
	s_cmp_eq_u32 s15, 15
	s_cbranch_scc0 .LBB119_3567
; %bb.3563:
	global_load_u16 v7, v[8:9], off
	s_mov_b32 s0, 0
	s_mov_b32 s6, -1
	s_wait_loadcnt 0x0
	v_lshlrev_b32_e32 v7, 16, v7
	s_wait_xcnt 0x1
	s_delay_alu instid0(VALU_DEP_1)
	v_cvt_i32_f32_e32 v10, v7
	s_branch .LBB119_3569
.LBB119_3564:
	s_mov_b32 s1, -1
	s_branch .LBB119_3568
.LBB119_3565:
	s_and_not1_saveexec_b32 s1, s1
	s_cbranch_execz .LBB119_3546
.LBB119_3566:
	v_cmp_ne_u16_e32 vcc_lo, 0, v7
	s_and_not1_b32 s6, s6, exec_lo
	s_and_b32 s7, vcc_lo, exec_lo
	s_delay_alu instid0(SALU_CYCLE_1)
	s_or_b32 s6, s6, s7
	s_or_b32 exec_lo, exec_lo, s1
	v_mov_b32_e32 v10, 0
	s_and_saveexec_b32 s1, s6
	s_cbranch_execnz .LBB119_3547
	s_branch .LBB119_3548
.LBB119_3567:
	s_mov_b32 s0, -1
.LBB119_3568:
                                        ; implicit-def: $vgpr10
.LBB119_3569:
	s_and_b32 vcc_lo, exec_lo, s1
	s_mov_b32 s1, 0
	s_cbranch_vccz .LBB119_3571
; %bb.3570:
	s_cmp_lg_u32 s15, 11
	s_mov_b32 s1, -1
	s_cselect_b32 s0, -1, 0
.LBB119_3571:
	s_delay_alu instid0(SALU_CYCLE_1)
	s_and_b32 vcc_lo, exec_lo, s0
	s_cbranch_vccnz .LBB119_4104
; %bb.3572:
	s_and_not1_b32 vcc_lo, exec_lo, s1
	s_cbranch_vccnz .LBB119_3574
.LBB119_3573:
	global_load_u8 v7, v[8:9], off
	s_mov_b32 s6, -1
	s_wait_loadcnt 0x0
	v_cmp_ne_u16_e32 vcc_lo, 0, v7
	s_wait_xcnt 0x1
	v_cndmask_b32_e64 v10, 0, 1, vcc_lo
.LBB119_3574:
	s_mov_b32 s0, 0
.LBB119_3575:
	s_delay_alu instid0(SALU_CYCLE_1)
	s_and_b32 vcc_lo, exec_lo, s0
	s_cbranch_vccz .LBB119_3624
; %bb.3576:
	s_cmp_lt_i32 s15, 5
	s_cbranch_scc1 .LBB119_3581
; %bb.3577:
	s_cmp_lt_i32 s15, 8
	s_cbranch_scc1 .LBB119_3582
	;; [unrolled: 3-line block ×3, first 2 shown]
; %bb.3579:
	s_cmp_gt_i32 s15, 9
	s_cbranch_scc0 .LBB119_3584
; %bb.3580:
	s_wait_loadcnt 0x0
	global_load_b64 v[10:11], v[8:9], off
	s_mov_b32 s0, 0
	s_wait_loadcnt 0x0
	v_cvt_i32_f64_e32 v10, v[10:11]
	s_branch .LBB119_3585
.LBB119_3581:
	s_mov_b32 s0, -1
                                        ; implicit-def: $vgpr10
	s_branch .LBB119_3603
.LBB119_3582:
	s_mov_b32 s0, -1
                                        ; implicit-def: $vgpr10
	s_branch .LBB119_3591
.LBB119_3583:
	s_mov_b32 s0, -1
                                        ; implicit-def: $vgpr10
	s_branch .LBB119_3588
.LBB119_3584:
	s_mov_b32 s0, -1
                                        ; implicit-def: $vgpr10
.LBB119_3585:
	s_delay_alu instid0(SALU_CYCLE_1)
	s_and_not1_b32 vcc_lo, exec_lo, s0
	s_cbranch_vccnz .LBB119_3587
; %bb.3586:
	global_load_b32 v7, v[8:9], off
	s_wait_loadcnt 0x0
	s_wait_xcnt 0x1
	v_cvt_i32_f32_e32 v10, v7
.LBB119_3587:
	s_mov_b32 s0, 0
.LBB119_3588:
	s_delay_alu instid0(SALU_CYCLE_1)
	s_and_not1_b32 vcc_lo, exec_lo, s0
	s_cbranch_vccnz .LBB119_3590
; %bb.3589:
	global_load_b32 v7, v[8:9], off
	s_wait_loadcnt 0x0
	v_cvt_f32_f16_e32 v7, v7
	s_wait_xcnt 0x1
	s_delay_alu instid0(VALU_DEP_1)
	v_cvt_i32_f32_e32 v10, v7
.LBB119_3590:
	s_mov_b32 s0, 0
.LBB119_3591:
	s_delay_alu instid0(SALU_CYCLE_1)
	s_and_not1_b32 vcc_lo, exec_lo, s0
	s_cbranch_vccnz .LBB119_3602
; %bb.3592:
	s_cmp_lt_i32 s15, 6
	s_cbranch_scc1 .LBB119_3595
; %bb.3593:
	s_cmp_gt_i32 s15, 6
	s_cbranch_scc0 .LBB119_3596
; %bb.3594:
	s_wait_loadcnt 0x0
	global_load_b64 v[10:11], v[8:9], off
	s_mov_b32 s0, 0
	s_wait_loadcnt 0x0
	v_cvt_i32_f64_e32 v10, v[10:11]
	s_branch .LBB119_3597
.LBB119_3595:
	s_mov_b32 s0, -1
                                        ; implicit-def: $vgpr10
	s_branch .LBB119_3600
.LBB119_3596:
	s_mov_b32 s0, -1
                                        ; implicit-def: $vgpr10
.LBB119_3597:
	s_delay_alu instid0(SALU_CYCLE_1)
	s_and_not1_b32 vcc_lo, exec_lo, s0
	s_cbranch_vccnz .LBB119_3599
; %bb.3598:
	global_load_b32 v7, v[8:9], off
	s_wait_loadcnt 0x0
	s_wait_xcnt 0x1
	v_cvt_i32_f32_e32 v10, v7
.LBB119_3599:
	s_mov_b32 s0, 0
.LBB119_3600:
	s_delay_alu instid0(SALU_CYCLE_1)
	s_and_not1_b32 vcc_lo, exec_lo, s0
	s_cbranch_vccnz .LBB119_3602
; %bb.3601:
	global_load_u16 v7, v[8:9], off
	s_wait_loadcnt 0x0
	v_cvt_f32_f16_e32 v7, v7
	s_wait_xcnt 0x1
	s_delay_alu instid0(VALU_DEP_1)
	v_cvt_i32_f32_e32 v10, v7
.LBB119_3602:
	s_mov_b32 s0, 0
.LBB119_3603:
	s_delay_alu instid0(SALU_CYCLE_1)
	s_and_not1_b32 vcc_lo, exec_lo, s0
	s_cbranch_vccnz .LBB119_3623
; %bb.3604:
	s_cmp_lt_i32 s15, 2
	s_cbranch_scc1 .LBB119_3608
; %bb.3605:
	s_cmp_lt_i32 s15, 3
	s_cbranch_scc1 .LBB119_3609
; %bb.3606:
	s_cmp_gt_i32 s15, 3
	s_cbranch_scc0 .LBB119_3610
; %bb.3607:
	s_wait_loadcnt 0x0
	global_load_b32 v10, v[8:9], off
	s_mov_b32 s0, 0
	s_branch .LBB119_3611
.LBB119_3608:
	s_mov_b32 s0, -1
                                        ; implicit-def: $vgpr10
	s_branch .LBB119_3617
.LBB119_3609:
	s_mov_b32 s0, -1
                                        ; implicit-def: $vgpr10
	s_branch .LBB119_3614
.LBB119_3610:
	s_mov_b32 s0, -1
                                        ; implicit-def: $vgpr10
.LBB119_3611:
	s_delay_alu instid0(SALU_CYCLE_1)
	s_and_not1_b32 vcc_lo, exec_lo, s0
	s_cbranch_vccnz .LBB119_3613
; %bb.3612:
	s_wait_loadcnt 0x0
	global_load_b32 v10, v[8:9], off
.LBB119_3613:
	s_mov_b32 s0, 0
.LBB119_3614:
	s_delay_alu instid0(SALU_CYCLE_1)
	s_and_not1_b32 vcc_lo, exec_lo, s0
	s_cbranch_vccnz .LBB119_3616
; %bb.3615:
	s_wait_loadcnt 0x0
	global_load_i16 v10, v[8:9], off
.LBB119_3616:
	s_mov_b32 s0, 0
.LBB119_3617:
	s_delay_alu instid0(SALU_CYCLE_1)
	s_and_not1_b32 vcc_lo, exec_lo, s0
	s_cbranch_vccnz .LBB119_3623
; %bb.3618:
	s_cmp_gt_i32 s15, 0
	s_mov_b32 s0, 0
	s_cbranch_scc0 .LBB119_3620
; %bb.3619:
	s_wait_loadcnt 0x0
	global_load_i8 v10, v[8:9], off
	s_branch .LBB119_3621
.LBB119_3620:
	s_mov_b32 s0, -1
                                        ; implicit-def: $vgpr10
.LBB119_3621:
	s_delay_alu instid0(SALU_CYCLE_1)
	s_and_not1_b32 vcc_lo, exec_lo, s0
	s_cbranch_vccnz .LBB119_3623
; %bb.3622:
	s_wait_loadcnt 0x0
	global_load_u8 v10, v[8:9], off
.LBB119_3623:
	s_mov_b32 s6, -1
.LBB119_3624:
	s_delay_alu instid0(SALU_CYCLE_1)
	s_and_not1_b32 vcc_lo, exec_lo, s6
	s_cbranch_vccnz .LBB119_4058
; %bb.3625:
	v_mov_b32_e32 v7, 0
	global_load_u8 v8, v7, s[2:3] offset:489
	s_wait_xcnt 0x0
	v_add_nc_u64_e32 v[6:7], s[4:5], v[6:7]
	s_wait_loadcnt 0x0
	v_and_b32_e32 v9, 0xffff, v8
	v_readfirstlane_b32 s1, v8
	v_maxmin_i32 v8, v1, v3, v5
	s_delay_alu instid0(VALU_DEP_3)
	v_cmp_gt_i32_e32 vcc_lo, 11, v9
	s_cbranch_vccnz .LBB119_3703
; %bb.3626:
	s_and_b32 s2, 0xffff, s1
	s_mov_b32 s7, -1
	s_mov_b32 s3, 0
	s_cmp_gt_i32 s2, 25
	s_mov_b32 s6, 0
	s_mov_b32 s0, 0
	s_cbranch_scc0 .LBB119_3659
; %bb.3627:
	s_cmp_gt_i32 s2, 28
	s_cbranch_scc0 .LBB119_3642
; %bb.3628:
	s_cmp_gt_i32 s2, 43
	;; [unrolled: 3-line block ×3, first 2 shown]
	s_cbranch_scc0 .LBB119_3632
; %bb.3630:
	s_mov_b32 s0, -1
	s_mov_b32 s7, 0
	s_cmp_eq_u32 s2, 46
	s_cbranch_scc0 .LBB119_3632
; %bb.3631:
	v_cvt_f32_i32_e32 v1, v8
	s_mov_b32 s0, 0
	s_mov_b32 s6, -1
	s_delay_alu instid0(VALU_DEP_1) | instskip(NEXT) | instid1(VALU_DEP_1)
	v_bfe_u32 v3, v1, 16, 1
	v_add3_u32 v1, v1, v3, 0x7fff
	s_delay_alu instid0(VALU_DEP_1)
	v_lshrrev_b32_e32 v1, 16, v1
	global_store_b32 v[6:7], v1, off
.LBB119_3632:
	s_and_b32 vcc_lo, exec_lo, s7
	s_cbranch_vccz .LBB119_3637
; %bb.3633:
	s_cmp_eq_u32 s2, 44
	s_mov_b32 s0, -1
	s_cbranch_scc0 .LBB119_3637
; %bb.3634:
	s_wait_xcnt 0x0
	v_cvt_f32_i32_e32 v1, v8
	v_mov_b32_e32 v3, 0xff
	s_mov_b32 s6, exec_lo
	s_delay_alu instid0(VALU_DEP_2) | instskip(NEXT) | instid1(VALU_DEP_1)
	v_bfe_u32 v5, v1, 23, 8
	v_cmpx_ne_u32_e32 0xff, v5
	s_cbranch_execz .LBB119_3636
; %bb.3635:
	v_and_b32_e32 v3, 0x400000, v1
	v_and_or_b32 v5, 0x3fffff, v1, v5
	v_lshrrev_b32_e32 v1, 23, v1
	s_delay_alu instid0(VALU_DEP_3) | instskip(NEXT) | instid1(VALU_DEP_3)
	v_cmp_ne_u32_e32 vcc_lo, 0, v3
	v_cmp_ne_u32_e64 s0, 0, v5
	s_and_b32 s0, vcc_lo, s0
	s_delay_alu instid0(SALU_CYCLE_1) | instskip(NEXT) | instid1(VALU_DEP_1)
	v_cndmask_b32_e64 v3, 0, 1, s0
	v_add_nc_u32_e32 v3, v1, v3
.LBB119_3636:
	s_or_b32 exec_lo, exec_lo, s6
	s_mov_b32 s0, 0
	s_mov_b32 s6, -1
	global_store_b8 v[6:7], v3, off
.LBB119_3637:
	s_mov_b32 s7, 0
.LBB119_3638:
	s_delay_alu instid0(SALU_CYCLE_1)
	s_and_b32 vcc_lo, exec_lo, s7
	s_cbranch_vccz .LBB119_3641
; %bb.3639:
	s_cmp_eq_u32 s2, 29
	s_mov_b32 s0, -1
	s_cbranch_scc0 .LBB119_3641
; %bb.3640:
	v_ashrrev_i32_e32 v9, 31, v8
	s_mov_b32 s0, 0
	s_mov_b32 s6, -1
	global_store_b64 v[6:7], v[8:9], off
.LBB119_3641:
	s_mov_b32 s7, 0
.LBB119_3642:
	s_delay_alu instid0(SALU_CYCLE_1)
	s_and_b32 vcc_lo, exec_lo, s7
	s_cbranch_vccz .LBB119_3658
; %bb.3643:
	s_cmp_lt_i32 s2, 27
	s_mov_b32 s6, -1
	s_cbranch_scc1 .LBB119_3649
; %bb.3644:
	s_cmp_gt_i32 s2, 27
	s_cbranch_scc0 .LBB119_3646
; %bb.3645:
	s_mov_b32 s6, 0
	global_store_b32 v[6:7], v8, off
.LBB119_3646:
	s_and_not1_b32 vcc_lo, exec_lo, s6
	s_cbranch_vccnz .LBB119_3648
; %bb.3647:
	global_store_b16 v[6:7], v8, off
.LBB119_3648:
	s_mov_b32 s6, 0
.LBB119_3649:
	s_delay_alu instid0(SALU_CYCLE_1)
	s_and_not1_b32 vcc_lo, exec_lo, s6
	s_cbranch_vccnz .LBB119_3657
; %bb.3650:
	s_wait_xcnt 0x0
	v_cvt_f32_i32_e32 v1, v8
	v_mov_b32_e32 v5, 0x80
	s_mov_b32 s6, exec_lo
	s_delay_alu instid0(VALU_DEP_2) | instskip(NEXT) | instid1(VALU_DEP_1)
	v_and_b32_e32 v3, 0x7fffffff, v1
	v_cmpx_gt_u32_e32 0x43800000, v3
	s_cbranch_execz .LBB119_3656
; %bb.3651:
	v_cmp_lt_u32_e32 vcc_lo, 0x3bffffff, v3
	s_mov_b32 s7, 0
                                        ; implicit-def: $vgpr3
	s_and_saveexec_b32 s8, vcc_lo
	s_delay_alu instid0(SALU_CYCLE_1)
	s_xor_b32 s8, exec_lo, s8
	s_cbranch_execz .LBB119_4105
; %bb.3652:
	v_bfe_u32 v3, v1, 20, 1
	s_mov_b32 s7, exec_lo
	s_delay_alu instid0(VALU_DEP_1) | instskip(NEXT) | instid1(VALU_DEP_1)
	v_add3_u32 v3, v1, v3, 0x487ffff
	v_lshrrev_b32_e32 v3, 20, v3
	s_and_not1_saveexec_b32 s8, s8
	s_cbranch_execnz .LBB119_4106
.LBB119_3653:
	s_or_b32 exec_lo, exec_lo, s8
	v_mov_b32_e32 v5, 0
	s_and_saveexec_b32 s8, s7
.LBB119_3654:
	v_lshrrev_b32_e32 v1, 24, v1
	s_delay_alu instid0(VALU_DEP_1)
	v_and_or_b32 v5, 0x80, v1, v3
.LBB119_3655:
	s_or_b32 exec_lo, exec_lo, s8
.LBB119_3656:
	s_delay_alu instid0(SALU_CYCLE_1)
	s_or_b32 exec_lo, exec_lo, s6
	global_store_b8 v[6:7], v5, off
.LBB119_3657:
	s_mov_b32 s6, -1
.LBB119_3658:
	s_mov_b32 s7, 0
.LBB119_3659:
	s_delay_alu instid0(SALU_CYCLE_1)
	s_and_b32 vcc_lo, exec_lo, s7
	s_cbranch_vccz .LBB119_3699
; %bb.3660:
	s_cmp_gt_i32 s2, 22
	s_mov_b32 s3, -1
	s_cbranch_scc0 .LBB119_3692
; %bb.3661:
	s_cmp_lt_i32 s2, 24
	s_cbranch_scc1 .LBB119_3681
; %bb.3662:
	s_cmp_gt_i32 s2, 24
	s_cbranch_scc0 .LBB119_3670
; %bb.3663:
	s_wait_xcnt 0x0
	v_cvt_f32_i32_e32 v1, v8
	v_mov_b32_e32 v5, 0x80
	s_mov_b32 s3, exec_lo
	s_delay_alu instid0(VALU_DEP_2) | instskip(NEXT) | instid1(VALU_DEP_1)
	v_and_b32_e32 v3, 0x7fffffff, v1
	v_cmpx_gt_u32_e32 0x47800000, v3
	s_cbranch_execz .LBB119_3669
; %bb.3664:
	v_cmp_lt_u32_e32 vcc_lo, 0x37ffffff, v3
	s_mov_b32 s6, 0
                                        ; implicit-def: $vgpr3
	s_and_saveexec_b32 s7, vcc_lo
	s_delay_alu instid0(SALU_CYCLE_1)
	s_xor_b32 s7, exec_lo, s7
	s_cbranch_execz .LBB119_4108
; %bb.3665:
	v_bfe_u32 v3, v1, 21, 1
	s_mov_b32 s6, exec_lo
	s_delay_alu instid0(VALU_DEP_1) | instskip(NEXT) | instid1(VALU_DEP_1)
	v_add3_u32 v3, v1, v3, 0x88fffff
	v_lshrrev_b32_e32 v3, 21, v3
	s_and_not1_saveexec_b32 s7, s7
	s_cbranch_execnz .LBB119_4109
.LBB119_3666:
	s_or_b32 exec_lo, exec_lo, s7
	v_mov_b32_e32 v5, 0
	s_and_saveexec_b32 s7, s6
.LBB119_3667:
	v_lshrrev_b32_e32 v1, 24, v1
	s_delay_alu instid0(VALU_DEP_1)
	v_and_or_b32 v5, 0x80, v1, v3
.LBB119_3668:
	s_or_b32 exec_lo, exec_lo, s7
.LBB119_3669:
	s_delay_alu instid0(SALU_CYCLE_1)
	s_or_b32 exec_lo, exec_lo, s3
	s_mov_b32 s3, 0
	global_store_b8 v[6:7], v5, off
.LBB119_3670:
	s_and_b32 vcc_lo, exec_lo, s3
	s_cbranch_vccz .LBB119_3680
; %bb.3671:
	s_wait_xcnt 0x0
	v_cvt_f32_i32_e32 v1, v8
	s_mov_b32 s3, exec_lo
                                        ; implicit-def: $vgpr3
	s_delay_alu instid0(VALU_DEP_1) | instskip(NEXT) | instid1(VALU_DEP_1)
	v_and_b32_e32 v5, 0x7fffffff, v1
	v_cmpx_gt_u32_e32 0x43f00000, v5
	s_xor_b32 s3, exec_lo, s3
	s_cbranch_execz .LBB119_3677
; %bb.3672:
	s_mov_b32 s6, exec_lo
                                        ; implicit-def: $vgpr3
	v_cmpx_lt_u32_e32 0x3c7fffff, v5
	s_xor_b32 s6, exec_lo, s6
; %bb.3673:
	v_bfe_u32 v3, v1, 20, 1
	s_delay_alu instid0(VALU_DEP_1) | instskip(NEXT) | instid1(VALU_DEP_1)
	v_add3_u32 v3, v1, v3, 0x407ffff
	v_and_b32_e32 v5, 0xff00000, v3
	v_lshrrev_b32_e32 v3, 20, v3
	s_delay_alu instid0(VALU_DEP_2) | instskip(NEXT) | instid1(VALU_DEP_2)
	v_cmp_ne_u32_e32 vcc_lo, 0x7f00000, v5
	v_cndmask_b32_e32 v3, 0x7e, v3, vcc_lo
; %bb.3674:
	s_and_not1_saveexec_b32 s6, s6
; %bb.3675:
	v_add_f32_e64 v3, 0x46800000, |v1|
; %bb.3676:
	s_or_b32 exec_lo, exec_lo, s6
                                        ; implicit-def: $vgpr5
.LBB119_3677:
	s_and_not1_saveexec_b32 s3, s3
; %bb.3678:
	v_mov_b32_e32 v3, 0x7f
	v_cmp_lt_u32_e32 vcc_lo, 0x7f800000, v5
	s_delay_alu instid0(VALU_DEP_2)
	v_cndmask_b32_e32 v3, 0x7e, v3, vcc_lo
; %bb.3679:
	s_or_b32 exec_lo, exec_lo, s3
	v_lshrrev_b32_e32 v1, 24, v1
	s_delay_alu instid0(VALU_DEP_1)
	v_and_or_b32 v1, 0x80, v1, v3
	global_store_b8 v[6:7], v1, off
.LBB119_3680:
	s_mov_b32 s3, 0
.LBB119_3681:
	s_delay_alu instid0(SALU_CYCLE_1)
	s_and_not1_b32 vcc_lo, exec_lo, s3
	s_cbranch_vccnz .LBB119_3691
; %bb.3682:
	s_wait_xcnt 0x0
	v_cvt_f32_i32_e32 v1, v8
	s_mov_b32 s3, exec_lo
                                        ; implicit-def: $vgpr3
	s_delay_alu instid0(VALU_DEP_1) | instskip(NEXT) | instid1(VALU_DEP_1)
	v_and_b32_e32 v5, 0x7fffffff, v1
	v_cmpx_gt_u32_e32 0x47800000, v5
	s_xor_b32 s3, exec_lo, s3
	s_cbranch_execz .LBB119_3688
; %bb.3683:
	s_mov_b32 s6, exec_lo
                                        ; implicit-def: $vgpr3
	v_cmpx_lt_u32_e32 0x387fffff, v5
	s_xor_b32 s6, exec_lo, s6
; %bb.3684:
	v_bfe_u32 v3, v1, 21, 1
	s_delay_alu instid0(VALU_DEP_1) | instskip(NEXT) | instid1(VALU_DEP_1)
	v_add3_u32 v3, v1, v3, 0x80fffff
	v_lshrrev_b32_e32 v3, 21, v3
; %bb.3685:
	s_and_not1_saveexec_b32 s6, s6
; %bb.3686:
	v_add_f32_e64 v3, 0x43000000, |v1|
; %bb.3687:
	s_or_b32 exec_lo, exec_lo, s6
                                        ; implicit-def: $vgpr5
.LBB119_3688:
	s_and_not1_saveexec_b32 s3, s3
; %bb.3689:
	v_mov_b32_e32 v3, 0x7f
	v_cmp_lt_u32_e32 vcc_lo, 0x7f800000, v5
	s_delay_alu instid0(VALU_DEP_2)
	v_cndmask_b32_e32 v3, 0x7c, v3, vcc_lo
; %bb.3690:
	s_or_b32 exec_lo, exec_lo, s3
	v_lshrrev_b32_e32 v1, 24, v1
	s_delay_alu instid0(VALU_DEP_1)
	v_and_or_b32 v1, 0x80, v1, v3
	global_store_b8 v[6:7], v1, off
.LBB119_3691:
	s_mov_b32 s3, 0
	s_mov_b32 s6, -1
.LBB119_3692:
	s_and_not1_b32 vcc_lo, exec_lo, s3
	s_mov_b32 s3, 0
	s_cbranch_vccnz .LBB119_3699
; %bb.3693:
	s_cmp_gt_i32 s2, 14
	s_mov_b32 s3, -1
	s_cbranch_scc0 .LBB119_3697
; %bb.3694:
	s_cmp_eq_u32 s2, 15
	s_mov_b32 s0, -1
	s_cbranch_scc0 .LBB119_3696
; %bb.3695:
	s_wait_xcnt 0x0
	v_cvt_f32_i32_e32 v1, v8
	s_mov_b32 s0, 0
	s_mov_b32 s6, -1
	s_delay_alu instid0(VALU_DEP_1) | instskip(NEXT) | instid1(VALU_DEP_1)
	v_bfe_u32 v3, v1, 16, 1
	v_add3_u32 v1, v1, v3, 0x7fff
	global_store_d16_hi_b16 v[6:7], v1, off
.LBB119_3696:
	s_mov_b32 s3, 0
.LBB119_3697:
	s_delay_alu instid0(SALU_CYCLE_1)
	s_and_b32 vcc_lo, exec_lo, s3
	s_mov_b32 s3, 0
	s_cbranch_vccz .LBB119_3699
; %bb.3698:
	s_cmp_lg_u32 s2, 11
	s_mov_b32 s3, -1
	s_cselect_b32 s0, -1, 0
.LBB119_3699:
	s_delay_alu instid0(SALU_CYCLE_1)
	s_and_b32 vcc_lo, exec_lo, s0
	s_cbranch_vccnz .LBB119_4107
; %bb.3700:
	s_and_not1_b32 vcc_lo, exec_lo, s3
	s_cbranch_vccnz .LBB119_3702
.LBB119_3701:
	v_cmp_ne_u32_e32 vcc_lo, 0, v8
	s_mov_b32 s6, -1
	s_wait_xcnt 0x0
	v_cndmask_b32_e64 v1, 0, 1, vcc_lo
	global_store_b8 v[6:7], v1, off
.LBB119_3702:
	s_mov_b32 s0, 0
	s_branch .LBB119_3704
.LBB119_3703:
	s_mov_b32 s0, -1
	s_mov_b32 s6, 0
.LBB119_3704:
	s_and_b32 vcc_lo, exec_lo, s0
	s_cbranch_vccz .LBB119_3743
; %bb.3705:
	s_and_b32 s0, 0xffff, s1
	s_mov_b32 s2, -1
	s_cmp_lt_i32 s0, 5
	s_cbranch_scc1 .LBB119_3726
; %bb.3706:
	s_cmp_lt_i32 s0, 8
	s_cbranch_scc1 .LBB119_3716
; %bb.3707:
	;; [unrolled: 3-line block ×3, first 2 shown]
	s_cmp_gt_i32 s0, 9
	s_cbranch_scc0 .LBB119_3710
; %bb.3709:
	v_cvt_f64_i32_e32 v[28:29], v8
	v_mov_b32_e32 v30, 0
	s_mov_b32 s2, 0
	s_delay_alu instid0(VALU_DEP_1)
	v_mov_b32_e32 v31, v30
	global_store_b128 v[6:7], v[28:31], off
.LBB119_3710:
	s_and_not1_b32 vcc_lo, exec_lo, s2
	s_cbranch_vccnz .LBB119_3712
; %bb.3711:
	s_wait_xcnt 0x0
	v_cvt_f32_i32_e32 v28, v8
	v_mov_b32_e32 v29, 0
	global_store_b64 v[6:7], v[28:29], off
.LBB119_3712:
	s_mov_b32 s2, 0
.LBB119_3713:
	s_delay_alu instid0(SALU_CYCLE_1)
	s_and_not1_b32 vcc_lo, exec_lo, s2
	s_cbranch_vccnz .LBB119_3715
; %bb.3714:
	s_wait_xcnt 0x0
	v_cvt_f32_i32_e32 v1, v8
	s_delay_alu instid0(VALU_DEP_1) | instskip(NEXT) | instid1(VALU_DEP_1)
	v_cvt_f16_f32_e32 v1, v1
	v_and_b32_e32 v1, 0xffff, v1
	global_store_b32 v[6:7], v1, off
.LBB119_3715:
	s_mov_b32 s2, 0
.LBB119_3716:
	s_delay_alu instid0(SALU_CYCLE_1)
	s_and_not1_b32 vcc_lo, exec_lo, s2
	s_cbranch_vccnz .LBB119_3725
; %bb.3717:
	s_cmp_lt_i32 s0, 6
	s_mov_b32 s2, -1
	s_cbranch_scc1 .LBB119_3723
; %bb.3718:
	s_cmp_gt_i32 s0, 6
	s_cbranch_scc0 .LBB119_3720
; %bb.3719:
	s_wait_xcnt 0x0
	v_cvt_f64_i32_e32 v[28:29], v8
	s_mov_b32 s2, 0
	global_store_b64 v[6:7], v[28:29], off
.LBB119_3720:
	s_and_not1_b32 vcc_lo, exec_lo, s2
	s_cbranch_vccnz .LBB119_3722
; %bb.3721:
	s_wait_xcnt 0x0
	v_cvt_f32_i32_e32 v1, v8
	global_store_b32 v[6:7], v1, off
.LBB119_3722:
	s_mov_b32 s2, 0
.LBB119_3723:
	s_delay_alu instid0(SALU_CYCLE_1)
	s_and_not1_b32 vcc_lo, exec_lo, s2
	s_cbranch_vccnz .LBB119_3725
; %bb.3724:
	s_wait_xcnt 0x0
	v_cvt_f32_i32_e32 v1, v8
	s_delay_alu instid0(VALU_DEP_1)
	v_cvt_f16_f32_e32 v1, v1
	global_store_b16 v[6:7], v1, off
.LBB119_3725:
	s_mov_b32 s2, 0
.LBB119_3726:
	s_delay_alu instid0(SALU_CYCLE_1)
	s_and_not1_b32 vcc_lo, exec_lo, s2
	s_cbranch_vccnz .LBB119_3742
; %bb.3727:
	s_cmp_lt_i32 s0, 2
	s_mov_b32 s2, -1
	s_cbranch_scc1 .LBB119_3737
; %bb.3728:
	s_cmp_lt_i32 s0, 3
	s_cbranch_scc1 .LBB119_3734
; %bb.3729:
	s_cmp_gt_i32 s0, 3
	s_cbranch_scc0 .LBB119_3731
; %bb.3730:
	s_wait_xcnt 0x0
	v_ashrrev_i32_e32 v9, 31, v8
	s_mov_b32 s2, 0
	global_store_b64 v[6:7], v[8:9], off
.LBB119_3731:
	s_and_not1_b32 vcc_lo, exec_lo, s2
	s_cbranch_vccnz .LBB119_3733
; %bb.3732:
	global_store_b32 v[6:7], v8, off
.LBB119_3733:
	s_mov_b32 s2, 0
.LBB119_3734:
	s_delay_alu instid0(SALU_CYCLE_1)
	s_and_not1_b32 vcc_lo, exec_lo, s2
	s_cbranch_vccnz .LBB119_3736
; %bb.3735:
	global_store_b16 v[6:7], v8, off
.LBB119_3736:
	s_mov_b32 s2, 0
.LBB119_3737:
	s_delay_alu instid0(SALU_CYCLE_1)
	s_and_not1_b32 vcc_lo, exec_lo, s2
	s_cbranch_vccnz .LBB119_3742
; %bb.3738:
	s_cmp_gt_i32 s0, 0
	s_mov_b32 s0, -1
	s_cbranch_scc0 .LBB119_3740
; %bb.3739:
	s_mov_b32 s0, 0
	global_store_b8 v[6:7], v8, off
.LBB119_3740:
	s_and_not1_b32 vcc_lo, exec_lo, s0
	s_cbranch_vccnz .LBB119_3742
; %bb.3741:
	global_store_b8 v[6:7], v8, off
.LBB119_3742:
	s_mov_b32 s6, -1
.LBB119_3743:
	s_delay_alu instid0(SALU_CYCLE_1)
	s_and_not1_b32 vcc_lo, exec_lo, s6
	s_cbranch_vccnz .LBB119_4058
; %bb.3744:
	s_wait_xcnt 0x0
	v_mov_b32_e32 v5, 0
	v_maxmin_i32 v6, v26, v24, v22
	s_and_b32 s2, 0xffff, s1
	s_delay_alu instid0(SALU_CYCLE_1) | instskip(NEXT) | instid1(VALU_DEP_2)
	s_cmp_lt_i32 s2, 11
	v_add_nc_u64_e32 v[4:5], s[4:5], v[4:5]
	s_cbranch_scc1 .LBB119_3822
; %bb.3745:
	s_mov_b32 s7, -1
	s_mov_b32 s3, 0
	s_cmp_gt_i32 s2, 25
	s_mov_b32 s6, 0
	s_mov_b32 s0, 0
	s_cbranch_scc0 .LBB119_3778
; %bb.3746:
	s_cmp_gt_i32 s2, 28
	s_cbranch_scc0 .LBB119_3761
; %bb.3747:
	s_cmp_gt_i32 s2, 43
	;; [unrolled: 3-line block ×3, first 2 shown]
	s_cbranch_scc0 .LBB119_3751
; %bb.3749:
	s_mov_b32 s0, -1
	s_mov_b32 s7, 0
	s_cmp_eq_u32 s2, 46
	s_cbranch_scc0 .LBB119_3751
; %bb.3750:
	v_cvt_f32_i32_e32 v1, v6
	s_mov_b32 s0, 0
	s_mov_b32 s6, -1
	s_delay_alu instid0(VALU_DEP_1) | instskip(NEXT) | instid1(VALU_DEP_1)
	v_bfe_u32 v3, v1, 16, 1
	v_add3_u32 v1, v1, v3, 0x7fff
	s_delay_alu instid0(VALU_DEP_1)
	v_lshrrev_b32_e32 v1, 16, v1
	global_store_b32 v[4:5], v1, off
.LBB119_3751:
	s_and_b32 vcc_lo, exec_lo, s7
	s_cbranch_vccz .LBB119_3756
; %bb.3752:
	s_cmp_eq_u32 s2, 44
	s_mov_b32 s0, -1
	s_cbranch_scc0 .LBB119_3756
; %bb.3753:
	s_wait_xcnt 0x0
	v_cvt_f32_i32_e32 v1, v6
	v_mov_b32_e32 v3, 0xff
	s_mov_b32 s6, exec_lo
	s_delay_alu instid0(VALU_DEP_2) | instskip(NEXT) | instid1(VALU_DEP_1)
	v_bfe_u32 v7, v1, 23, 8
	v_cmpx_ne_u32_e32 0xff, v7
	s_cbranch_execz .LBB119_3755
; %bb.3754:
	v_and_b32_e32 v3, 0x400000, v1
	v_and_or_b32 v7, 0x3fffff, v1, v7
	v_lshrrev_b32_e32 v1, 23, v1
	s_delay_alu instid0(VALU_DEP_3) | instskip(NEXT) | instid1(VALU_DEP_3)
	v_cmp_ne_u32_e32 vcc_lo, 0, v3
	v_cmp_ne_u32_e64 s0, 0, v7
	s_and_b32 s0, vcc_lo, s0
	s_delay_alu instid0(SALU_CYCLE_1) | instskip(NEXT) | instid1(VALU_DEP_1)
	v_cndmask_b32_e64 v3, 0, 1, s0
	v_add_nc_u32_e32 v3, v1, v3
.LBB119_3755:
	s_or_b32 exec_lo, exec_lo, s6
	s_mov_b32 s0, 0
	s_mov_b32 s6, -1
	global_store_b8 v[4:5], v3, off
.LBB119_3756:
	s_mov_b32 s7, 0
.LBB119_3757:
	s_delay_alu instid0(SALU_CYCLE_1)
	s_and_b32 vcc_lo, exec_lo, s7
	s_cbranch_vccz .LBB119_3760
; %bb.3758:
	s_cmp_eq_u32 s2, 29
	s_mov_b32 s0, -1
	s_cbranch_scc0 .LBB119_3760
; %bb.3759:
	v_ashrrev_i32_e32 v7, 31, v6
	s_mov_b32 s0, 0
	s_mov_b32 s6, -1
	global_store_b64 v[4:5], v[6:7], off
.LBB119_3760:
	s_mov_b32 s7, 0
.LBB119_3761:
	s_delay_alu instid0(SALU_CYCLE_1)
	s_and_b32 vcc_lo, exec_lo, s7
	s_cbranch_vccz .LBB119_3777
; %bb.3762:
	s_cmp_lt_i32 s2, 27
	s_mov_b32 s6, -1
	s_cbranch_scc1 .LBB119_3768
; %bb.3763:
	s_cmp_gt_i32 s2, 27
	s_cbranch_scc0 .LBB119_3765
; %bb.3764:
	s_mov_b32 s6, 0
	global_store_b32 v[4:5], v6, off
.LBB119_3765:
	s_and_not1_b32 vcc_lo, exec_lo, s6
	s_cbranch_vccnz .LBB119_3767
; %bb.3766:
	global_store_b16 v[4:5], v6, off
.LBB119_3767:
	s_mov_b32 s6, 0
.LBB119_3768:
	s_delay_alu instid0(SALU_CYCLE_1)
	s_and_not1_b32 vcc_lo, exec_lo, s6
	s_cbranch_vccnz .LBB119_3776
; %bb.3769:
	s_wait_xcnt 0x0
	v_cvt_f32_i32_e32 v1, v6
	v_mov_b32_e32 v7, 0x80
	s_mov_b32 s6, exec_lo
	s_delay_alu instid0(VALU_DEP_2) | instskip(NEXT) | instid1(VALU_DEP_1)
	v_and_b32_e32 v3, 0x7fffffff, v1
	v_cmpx_gt_u32_e32 0x43800000, v3
	s_cbranch_execz .LBB119_3775
; %bb.3770:
	v_cmp_lt_u32_e32 vcc_lo, 0x3bffffff, v3
	s_mov_b32 s7, 0
                                        ; implicit-def: $vgpr3
	s_and_saveexec_b32 s8, vcc_lo
	s_delay_alu instid0(SALU_CYCLE_1)
	s_xor_b32 s8, exec_lo, s8
	s_cbranch_execz .LBB119_4110
; %bb.3771:
	v_bfe_u32 v3, v1, 20, 1
	s_mov_b32 s7, exec_lo
	s_delay_alu instid0(VALU_DEP_1) | instskip(NEXT) | instid1(VALU_DEP_1)
	v_add3_u32 v3, v1, v3, 0x487ffff
	v_lshrrev_b32_e32 v3, 20, v3
	s_and_not1_saveexec_b32 s8, s8
	s_cbranch_execnz .LBB119_4111
.LBB119_3772:
	s_or_b32 exec_lo, exec_lo, s8
	v_mov_b32_e32 v7, 0
	s_and_saveexec_b32 s8, s7
.LBB119_3773:
	v_lshrrev_b32_e32 v1, 24, v1
	s_delay_alu instid0(VALU_DEP_1)
	v_and_or_b32 v7, 0x80, v1, v3
.LBB119_3774:
	s_or_b32 exec_lo, exec_lo, s8
.LBB119_3775:
	s_delay_alu instid0(SALU_CYCLE_1)
	s_or_b32 exec_lo, exec_lo, s6
	global_store_b8 v[4:5], v7, off
.LBB119_3776:
	s_mov_b32 s6, -1
.LBB119_3777:
	s_mov_b32 s7, 0
.LBB119_3778:
	s_delay_alu instid0(SALU_CYCLE_1)
	s_and_b32 vcc_lo, exec_lo, s7
	s_cbranch_vccz .LBB119_3818
; %bb.3779:
	s_cmp_gt_i32 s2, 22
	s_mov_b32 s3, -1
	s_cbranch_scc0 .LBB119_3811
; %bb.3780:
	s_cmp_lt_i32 s2, 24
	s_cbranch_scc1 .LBB119_3800
; %bb.3781:
	s_cmp_gt_i32 s2, 24
	s_cbranch_scc0 .LBB119_3789
; %bb.3782:
	s_wait_xcnt 0x0
	v_cvt_f32_i32_e32 v1, v6
	v_mov_b32_e32 v7, 0x80
	s_mov_b32 s3, exec_lo
	s_delay_alu instid0(VALU_DEP_2) | instskip(NEXT) | instid1(VALU_DEP_1)
	v_and_b32_e32 v3, 0x7fffffff, v1
	v_cmpx_gt_u32_e32 0x47800000, v3
	s_cbranch_execz .LBB119_3788
; %bb.3783:
	v_cmp_lt_u32_e32 vcc_lo, 0x37ffffff, v3
	s_mov_b32 s6, 0
                                        ; implicit-def: $vgpr3
	s_and_saveexec_b32 s7, vcc_lo
	s_delay_alu instid0(SALU_CYCLE_1)
	s_xor_b32 s7, exec_lo, s7
	s_cbranch_execz .LBB119_4113
; %bb.3784:
	v_bfe_u32 v3, v1, 21, 1
	s_mov_b32 s6, exec_lo
	s_delay_alu instid0(VALU_DEP_1) | instskip(NEXT) | instid1(VALU_DEP_1)
	v_add3_u32 v3, v1, v3, 0x88fffff
	v_lshrrev_b32_e32 v3, 21, v3
	s_and_not1_saveexec_b32 s7, s7
	s_cbranch_execnz .LBB119_4114
.LBB119_3785:
	s_or_b32 exec_lo, exec_lo, s7
	v_mov_b32_e32 v7, 0
	s_and_saveexec_b32 s7, s6
.LBB119_3786:
	v_lshrrev_b32_e32 v1, 24, v1
	s_delay_alu instid0(VALU_DEP_1)
	v_and_or_b32 v7, 0x80, v1, v3
.LBB119_3787:
	s_or_b32 exec_lo, exec_lo, s7
.LBB119_3788:
	s_delay_alu instid0(SALU_CYCLE_1)
	s_or_b32 exec_lo, exec_lo, s3
	s_mov_b32 s3, 0
	global_store_b8 v[4:5], v7, off
.LBB119_3789:
	s_and_b32 vcc_lo, exec_lo, s3
	s_cbranch_vccz .LBB119_3799
; %bb.3790:
	s_wait_xcnt 0x0
	v_cvt_f32_i32_e32 v1, v6
	s_mov_b32 s3, exec_lo
                                        ; implicit-def: $vgpr3
	s_delay_alu instid0(VALU_DEP_1) | instskip(NEXT) | instid1(VALU_DEP_1)
	v_and_b32_e32 v7, 0x7fffffff, v1
	v_cmpx_gt_u32_e32 0x43f00000, v7
	s_xor_b32 s3, exec_lo, s3
	s_cbranch_execz .LBB119_3796
; %bb.3791:
	s_mov_b32 s6, exec_lo
                                        ; implicit-def: $vgpr3
	v_cmpx_lt_u32_e32 0x3c7fffff, v7
	s_xor_b32 s6, exec_lo, s6
; %bb.3792:
	v_bfe_u32 v3, v1, 20, 1
	s_delay_alu instid0(VALU_DEP_1) | instskip(NEXT) | instid1(VALU_DEP_1)
	v_add3_u32 v3, v1, v3, 0x407ffff
	v_and_b32_e32 v7, 0xff00000, v3
	v_lshrrev_b32_e32 v3, 20, v3
	s_delay_alu instid0(VALU_DEP_2) | instskip(NEXT) | instid1(VALU_DEP_2)
	v_cmp_ne_u32_e32 vcc_lo, 0x7f00000, v7
	v_cndmask_b32_e32 v3, 0x7e, v3, vcc_lo
; %bb.3793:
	s_and_not1_saveexec_b32 s6, s6
; %bb.3794:
	v_add_f32_e64 v3, 0x46800000, |v1|
; %bb.3795:
	s_or_b32 exec_lo, exec_lo, s6
                                        ; implicit-def: $vgpr7
.LBB119_3796:
	s_and_not1_saveexec_b32 s3, s3
; %bb.3797:
	v_mov_b32_e32 v3, 0x7f
	v_cmp_lt_u32_e32 vcc_lo, 0x7f800000, v7
	s_delay_alu instid0(VALU_DEP_2)
	v_cndmask_b32_e32 v3, 0x7e, v3, vcc_lo
; %bb.3798:
	s_or_b32 exec_lo, exec_lo, s3
	v_lshrrev_b32_e32 v1, 24, v1
	s_delay_alu instid0(VALU_DEP_1)
	v_and_or_b32 v1, 0x80, v1, v3
	global_store_b8 v[4:5], v1, off
.LBB119_3799:
	s_mov_b32 s3, 0
.LBB119_3800:
	s_delay_alu instid0(SALU_CYCLE_1)
	s_and_not1_b32 vcc_lo, exec_lo, s3
	s_cbranch_vccnz .LBB119_3810
; %bb.3801:
	s_wait_xcnt 0x0
	v_cvt_f32_i32_e32 v1, v6
	s_mov_b32 s3, exec_lo
                                        ; implicit-def: $vgpr3
	s_delay_alu instid0(VALU_DEP_1) | instskip(NEXT) | instid1(VALU_DEP_1)
	v_and_b32_e32 v7, 0x7fffffff, v1
	v_cmpx_gt_u32_e32 0x47800000, v7
	s_xor_b32 s3, exec_lo, s3
	s_cbranch_execz .LBB119_3807
; %bb.3802:
	s_mov_b32 s6, exec_lo
                                        ; implicit-def: $vgpr3
	v_cmpx_lt_u32_e32 0x387fffff, v7
	s_xor_b32 s6, exec_lo, s6
; %bb.3803:
	v_bfe_u32 v3, v1, 21, 1
	s_delay_alu instid0(VALU_DEP_1) | instskip(NEXT) | instid1(VALU_DEP_1)
	v_add3_u32 v3, v1, v3, 0x80fffff
	v_lshrrev_b32_e32 v3, 21, v3
; %bb.3804:
	s_and_not1_saveexec_b32 s6, s6
; %bb.3805:
	v_add_f32_e64 v3, 0x43000000, |v1|
; %bb.3806:
	s_or_b32 exec_lo, exec_lo, s6
                                        ; implicit-def: $vgpr7
.LBB119_3807:
	s_and_not1_saveexec_b32 s3, s3
; %bb.3808:
	v_mov_b32_e32 v3, 0x7f
	v_cmp_lt_u32_e32 vcc_lo, 0x7f800000, v7
	s_delay_alu instid0(VALU_DEP_2)
	v_cndmask_b32_e32 v3, 0x7c, v3, vcc_lo
; %bb.3809:
	s_or_b32 exec_lo, exec_lo, s3
	v_lshrrev_b32_e32 v1, 24, v1
	s_delay_alu instid0(VALU_DEP_1)
	v_and_or_b32 v1, 0x80, v1, v3
	global_store_b8 v[4:5], v1, off
.LBB119_3810:
	s_mov_b32 s3, 0
	s_mov_b32 s6, -1
.LBB119_3811:
	s_and_not1_b32 vcc_lo, exec_lo, s3
	s_mov_b32 s3, 0
	s_cbranch_vccnz .LBB119_3818
; %bb.3812:
	s_cmp_gt_i32 s2, 14
	s_mov_b32 s3, -1
	s_cbranch_scc0 .LBB119_3816
; %bb.3813:
	s_cmp_eq_u32 s2, 15
	s_mov_b32 s0, -1
	s_cbranch_scc0 .LBB119_3815
; %bb.3814:
	s_wait_xcnt 0x0
	v_cvt_f32_i32_e32 v1, v6
	s_mov_b32 s0, 0
	s_mov_b32 s6, -1
	s_delay_alu instid0(VALU_DEP_1) | instskip(NEXT) | instid1(VALU_DEP_1)
	v_bfe_u32 v3, v1, 16, 1
	v_add3_u32 v1, v1, v3, 0x7fff
	global_store_d16_hi_b16 v[4:5], v1, off
.LBB119_3815:
	s_mov_b32 s3, 0
.LBB119_3816:
	s_delay_alu instid0(SALU_CYCLE_1)
	s_and_b32 vcc_lo, exec_lo, s3
	s_mov_b32 s3, 0
	s_cbranch_vccz .LBB119_3818
; %bb.3817:
	s_cmp_lg_u32 s2, 11
	s_mov_b32 s3, -1
	s_cselect_b32 s0, -1, 0
.LBB119_3818:
	s_delay_alu instid0(SALU_CYCLE_1)
	s_and_b32 vcc_lo, exec_lo, s0
	s_cbranch_vccnz .LBB119_4112
; %bb.3819:
	s_and_not1_b32 vcc_lo, exec_lo, s3
	s_cbranch_vccnz .LBB119_3821
.LBB119_3820:
	v_cmp_ne_u32_e32 vcc_lo, 0, v6
	s_mov_b32 s6, -1
	s_wait_xcnt 0x0
	v_cndmask_b32_e64 v1, 0, 1, vcc_lo
	global_store_b8 v[4:5], v1, off
.LBB119_3821:
	s_mov_b32 s0, 0
	s_branch .LBB119_3823
.LBB119_3822:
	s_mov_b32 s0, -1
	s_mov_b32 s6, 0
.LBB119_3823:
	s_and_b32 vcc_lo, exec_lo, s0
	s_cbranch_vccz .LBB119_3862
; %bb.3824:
	s_cmp_lt_i32 s2, 5
	s_mov_b32 s0, -1
	s_cbranch_scc1 .LBB119_3845
; %bb.3825:
	s_cmp_lt_i32 s2, 8
	s_cbranch_scc1 .LBB119_3835
; %bb.3826:
	s_cmp_lt_i32 s2, 9
	s_cbranch_scc1 .LBB119_3832
; %bb.3827:
	s_cmp_gt_i32 s2, 9
	s_cbranch_scc0 .LBB119_3829
; %bb.3828:
	v_cvt_f64_i32_e32 v[22:23], v6
	v_mov_b32_e32 v24, 0
	s_mov_b32 s0, 0
	s_delay_alu instid0(VALU_DEP_1)
	v_mov_b32_e32 v25, v24
	global_store_b128 v[4:5], v[22:25], off
.LBB119_3829:
	s_and_not1_b32 vcc_lo, exec_lo, s0
	s_cbranch_vccnz .LBB119_3831
; %bb.3830:
	v_cvt_f32_i32_e32 v8, v6
	v_mov_b32_e32 v9, 0
	global_store_b64 v[4:5], v[8:9], off
.LBB119_3831:
	s_mov_b32 s0, 0
.LBB119_3832:
	s_delay_alu instid0(SALU_CYCLE_1)
	s_and_not1_b32 vcc_lo, exec_lo, s0
	s_cbranch_vccnz .LBB119_3834
; %bb.3833:
	s_wait_xcnt 0x0
	v_cvt_f32_i32_e32 v1, v6
	s_delay_alu instid0(VALU_DEP_1) | instskip(NEXT) | instid1(VALU_DEP_1)
	v_cvt_f16_f32_e32 v1, v1
	v_and_b32_e32 v1, 0xffff, v1
	global_store_b32 v[4:5], v1, off
.LBB119_3834:
	s_mov_b32 s0, 0
.LBB119_3835:
	s_delay_alu instid0(SALU_CYCLE_1)
	s_and_not1_b32 vcc_lo, exec_lo, s0
	s_cbranch_vccnz .LBB119_3844
; %bb.3836:
	s_cmp_lt_i32 s2, 6
	s_mov_b32 s0, -1
	s_cbranch_scc1 .LBB119_3842
; %bb.3837:
	s_cmp_gt_i32 s2, 6
	s_cbranch_scc0 .LBB119_3839
; %bb.3838:
	s_wait_xcnt 0x0
	v_cvt_f64_i32_e32 v[8:9], v6
	s_mov_b32 s0, 0
	global_store_b64 v[4:5], v[8:9], off
.LBB119_3839:
	s_and_not1_b32 vcc_lo, exec_lo, s0
	s_cbranch_vccnz .LBB119_3841
; %bb.3840:
	s_wait_xcnt 0x0
	v_cvt_f32_i32_e32 v1, v6
	global_store_b32 v[4:5], v1, off
.LBB119_3841:
	s_mov_b32 s0, 0
.LBB119_3842:
	s_delay_alu instid0(SALU_CYCLE_1)
	s_and_not1_b32 vcc_lo, exec_lo, s0
	s_cbranch_vccnz .LBB119_3844
; %bb.3843:
	s_wait_xcnt 0x0
	v_cvt_f32_i32_e32 v1, v6
	s_delay_alu instid0(VALU_DEP_1)
	v_cvt_f16_f32_e32 v1, v1
	global_store_b16 v[4:5], v1, off
.LBB119_3844:
	s_mov_b32 s0, 0
.LBB119_3845:
	s_delay_alu instid0(SALU_CYCLE_1)
	s_and_not1_b32 vcc_lo, exec_lo, s0
	s_cbranch_vccnz .LBB119_3861
; %bb.3846:
	s_cmp_lt_i32 s2, 2
	s_mov_b32 s0, -1
	s_cbranch_scc1 .LBB119_3856
; %bb.3847:
	s_cmp_lt_i32 s2, 3
	s_cbranch_scc1 .LBB119_3853
; %bb.3848:
	s_cmp_gt_i32 s2, 3
	s_cbranch_scc0 .LBB119_3850
; %bb.3849:
	s_wait_xcnt 0x0
	v_ashrrev_i32_e32 v7, 31, v6
	s_mov_b32 s0, 0
	global_store_b64 v[4:5], v[6:7], off
.LBB119_3850:
	s_and_not1_b32 vcc_lo, exec_lo, s0
	s_cbranch_vccnz .LBB119_3852
; %bb.3851:
	global_store_b32 v[4:5], v6, off
.LBB119_3852:
	s_mov_b32 s0, 0
.LBB119_3853:
	s_delay_alu instid0(SALU_CYCLE_1)
	s_and_not1_b32 vcc_lo, exec_lo, s0
	s_cbranch_vccnz .LBB119_3855
; %bb.3854:
	global_store_b16 v[4:5], v6, off
.LBB119_3855:
	s_mov_b32 s0, 0
.LBB119_3856:
	s_delay_alu instid0(SALU_CYCLE_1)
	s_and_not1_b32 vcc_lo, exec_lo, s0
	s_cbranch_vccnz .LBB119_3861
; %bb.3857:
	s_cmp_gt_i32 s2, 0
	s_mov_b32 s0, -1
	s_cbranch_scc0 .LBB119_3859
; %bb.3858:
	s_mov_b32 s0, 0
	global_store_b8 v[4:5], v6, off
.LBB119_3859:
	s_and_not1_b32 vcc_lo, exec_lo, s0
	s_cbranch_vccnz .LBB119_3861
; %bb.3860:
	global_store_b8 v[4:5], v6, off
.LBB119_3861:
	s_mov_b32 s6, -1
.LBB119_3862:
	s_delay_alu instid0(SALU_CYCLE_1)
	s_and_not1_b32 vcc_lo, exec_lo, s6
	s_cbranch_vccnz .LBB119_4058
; %bb.3863:
	s_wait_xcnt 0x0
	v_mov_b32_e32 v3, 0
	v_maxmin_i32 v4, v20, v18, v16
	s_cmp_lt_i32 s2, 11
	s_delay_alu instid0(VALU_DEP_2)
	v_add_nc_u64_e32 v[2:3], s[4:5], v[2:3]
	s_cbranch_scc1 .LBB119_3941
; %bb.3864:
	s_mov_b32 s7, -1
	s_mov_b32 s3, 0
	s_cmp_gt_i32 s2, 25
	s_mov_b32 s6, 0
	s_mov_b32 s0, 0
	s_cbranch_scc0 .LBB119_3897
; %bb.3865:
	s_cmp_gt_i32 s2, 28
	s_cbranch_scc0 .LBB119_3880
; %bb.3866:
	s_cmp_gt_i32 s2, 43
	;; [unrolled: 3-line block ×3, first 2 shown]
	s_cbranch_scc0 .LBB119_3870
; %bb.3868:
	s_mov_b32 s0, -1
	s_mov_b32 s7, 0
	s_cmp_eq_u32 s2, 46
	s_cbranch_scc0 .LBB119_3870
; %bb.3869:
	v_cvt_f32_i32_e32 v1, v4
	s_mov_b32 s0, 0
	s_mov_b32 s6, -1
	s_delay_alu instid0(VALU_DEP_1) | instskip(NEXT) | instid1(VALU_DEP_1)
	v_bfe_u32 v5, v1, 16, 1
	v_add3_u32 v1, v1, v5, 0x7fff
	s_delay_alu instid0(VALU_DEP_1)
	v_lshrrev_b32_e32 v1, 16, v1
	global_store_b32 v[2:3], v1, off
.LBB119_3870:
	s_and_b32 vcc_lo, exec_lo, s7
	s_cbranch_vccz .LBB119_3875
; %bb.3871:
	s_cmp_eq_u32 s2, 44
	s_mov_b32 s0, -1
	s_cbranch_scc0 .LBB119_3875
; %bb.3872:
	s_wait_xcnt 0x0
	v_cvt_f32_i32_e32 v1, v4
	v_mov_b32_e32 v5, 0xff
	s_mov_b32 s6, exec_lo
	s_delay_alu instid0(VALU_DEP_2) | instskip(NEXT) | instid1(VALU_DEP_1)
	v_bfe_u32 v6, v1, 23, 8
	v_cmpx_ne_u32_e32 0xff, v6
	s_cbranch_execz .LBB119_3874
; %bb.3873:
	v_and_b32_e32 v5, 0x400000, v1
	v_and_or_b32 v6, 0x3fffff, v1, v6
	v_lshrrev_b32_e32 v1, 23, v1
	s_delay_alu instid0(VALU_DEP_3) | instskip(NEXT) | instid1(VALU_DEP_3)
	v_cmp_ne_u32_e32 vcc_lo, 0, v5
	v_cmp_ne_u32_e64 s0, 0, v6
	s_and_b32 s0, vcc_lo, s0
	s_delay_alu instid0(SALU_CYCLE_1) | instskip(NEXT) | instid1(VALU_DEP_1)
	v_cndmask_b32_e64 v5, 0, 1, s0
	v_add_nc_u32_e32 v5, v1, v5
.LBB119_3874:
	s_or_b32 exec_lo, exec_lo, s6
	s_mov_b32 s0, 0
	s_mov_b32 s6, -1
	global_store_b8 v[2:3], v5, off
.LBB119_3875:
	s_mov_b32 s7, 0
.LBB119_3876:
	s_delay_alu instid0(SALU_CYCLE_1)
	s_and_b32 vcc_lo, exec_lo, s7
	s_cbranch_vccz .LBB119_3879
; %bb.3877:
	s_cmp_eq_u32 s2, 29
	s_mov_b32 s0, -1
	s_cbranch_scc0 .LBB119_3879
; %bb.3878:
	s_wait_xcnt 0x0
	v_ashrrev_i32_e32 v5, 31, v4
	s_mov_b32 s0, 0
	s_mov_b32 s6, -1
	global_store_b64 v[2:3], v[4:5], off
.LBB119_3879:
	s_mov_b32 s7, 0
.LBB119_3880:
	s_delay_alu instid0(SALU_CYCLE_1)
	s_and_b32 vcc_lo, exec_lo, s7
	s_cbranch_vccz .LBB119_3896
; %bb.3881:
	s_cmp_lt_i32 s2, 27
	s_mov_b32 s6, -1
	s_cbranch_scc1 .LBB119_3887
; %bb.3882:
	s_cmp_gt_i32 s2, 27
	s_cbranch_scc0 .LBB119_3884
; %bb.3883:
	s_mov_b32 s6, 0
	global_store_b32 v[2:3], v4, off
.LBB119_3884:
	s_and_not1_b32 vcc_lo, exec_lo, s6
	s_cbranch_vccnz .LBB119_3886
; %bb.3885:
	global_store_b16 v[2:3], v4, off
.LBB119_3886:
	s_mov_b32 s6, 0
.LBB119_3887:
	s_delay_alu instid0(SALU_CYCLE_1)
	s_and_not1_b32 vcc_lo, exec_lo, s6
	s_cbranch_vccnz .LBB119_3895
; %bb.3888:
	s_wait_xcnt 0x0
	v_cvt_f32_i32_e32 v1, v4
	v_mov_b32_e32 v6, 0x80
	s_mov_b32 s6, exec_lo
	s_delay_alu instid0(VALU_DEP_2) | instskip(NEXT) | instid1(VALU_DEP_1)
	v_and_b32_e32 v5, 0x7fffffff, v1
	v_cmpx_gt_u32_e32 0x43800000, v5
	s_cbranch_execz .LBB119_3894
; %bb.3889:
	v_cmp_lt_u32_e32 vcc_lo, 0x3bffffff, v5
	s_mov_b32 s7, 0
                                        ; implicit-def: $vgpr5
	s_and_saveexec_b32 s8, vcc_lo
	s_delay_alu instid0(SALU_CYCLE_1)
	s_xor_b32 s8, exec_lo, s8
	s_cbranch_execz .LBB119_4115
; %bb.3890:
	v_bfe_u32 v5, v1, 20, 1
	s_mov_b32 s7, exec_lo
	s_delay_alu instid0(VALU_DEP_1) | instskip(NEXT) | instid1(VALU_DEP_1)
	v_add3_u32 v5, v1, v5, 0x487ffff
	v_lshrrev_b32_e32 v5, 20, v5
	s_and_not1_saveexec_b32 s8, s8
	s_cbranch_execnz .LBB119_4116
.LBB119_3891:
	s_or_b32 exec_lo, exec_lo, s8
	v_mov_b32_e32 v6, 0
	s_and_saveexec_b32 s8, s7
.LBB119_3892:
	v_lshrrev_b32_e32 v1, 24, v1
	s_delay_alu instid0(VALU_DEP_1)
	v_and_or_b32 v6, 0x80, v1, v5
.LBB119_3893:
	s_or_b32 exec_lo, exec_lo, s8
.LBB119_3894:
	s_delay_alu instid0(SALU_CYCLE_1)
	s_or_b32 exec_lo, exec_lo, s6
	global_store_b8 v[2:3], v6, off
.LBB119_3895:
	s_mov_b32 s6, -1
.LBB119_3896:
	s_mov_b32 s7, 0
.LBB119_3897:
	s_delay_alu instid0(SALU_CYCLE_1)
	s_and_b32 vcc_lo, exec_lo, s7
	s_cbranch_vccz .LBB119_3937
; %bb.3898:
	s_cmp_gt_i32 s2, 22
	s_mov_b32 s3, -1
	s_cbranch_scc0 .LBB119_3930
; %bb.3899:
	s_cmp_lt_i32 s2, 24
	s_cbranch_scc1 .LBB119_3919
; %bb.3900:
	s_cmp_gt_i32 s2, 24
	s_cbranch_scc0 .LBB119_3908
; %bb.3901:
	s_wait_xcnt 0x0
	v_cvt_f32_i32_e32 v1, v4
	v_mov_b32_e32 v6, 0x80
	s_mov_b32 s3, exec_lo
	s_delay_alu instid0(VALU_DEP_2) | instskip(NEXT) | instid1(VALU_DEP_1)
	v_and_b32_e32 v5, 0x7fffffff, v1
	v_cmpx_gt_u32_e32 0x47800000, v5
	s_cbranch_execz .LBB119_3907
; %bb.3902:
	v_cmp_lt_u32_e32 vcc_lo, 0x37ffffff, v5
	s_mov_b32 s6, 0
                                        ; implicit-def: $vgpr5
	s_and_saveexec_b32 s7, vcc_lo
	s_delay_alu instid0(SALU_CYCLE_1)
	s_xor_b32 s7, exec_lo, s7
	s_cbranch_execz .LBB119_4118
; %bb.3903:
	v_bfe_u32 v5, v1, 21, 1
	s_mov_b32 s6, exec_lo
	s_delay_alu instid0(VALU_DEP_1) | instskip(NEXT) | instid1(VALU_DEP_1)
	v_add3_u32 v5, v1, v5, 0x88fffff
	v_lshrrev_b32_e32 v5, 21, v5
	s_and_not1_saveexec_b32 s7, s7
	s_cbranch_execnz .LBB119_4119
.LBB119_3904:
	s_or_b32 exec_lo, exec_lo, s7
	v_mov_b32_e32 v6, 0
	s_and_saveexec_b32 s7, s6
.LBB119_3905:
	v_lshrrev_b32_e32 v1, 24, v1
	s_delay_alu instid0(VALU_DEP_1)
	v_and_or_b32 v6, 0x80, v1, v5
.LBB119_3906:
	s_or_b32 exec_lo, exec_lo, s7
.LBB119_3907:
	s_delay_alu instid0(SALU_CYCLE_1)
	s_or_b32 exec_lo, exec_lo, s3
	s_mov_b32 s3, 0
	global_store_b8 v[2:3], v6, off
.LBB119_3908:
	s_and_b32 vcc_lo, exec_lo, s3
	s_cbranch_vccz .LBB119_3918
; %bb.3909:
	s_wait_xcnt 0x0
	v_cvt_f32_i32_e32 v1, v4
	s_mov_b32 s3, exec_lo
                                        ; implicit-def: $vgpr5
	s_delay_alu instid0(VALU_DEP_1) | instskip(NEXT) | instid1(VALU_DEP_1)
	v_and_b32_e32 v6, 0x7fffffff, v1
	v_cmpx_gt_u32_e32 0x43f00000, v6
	s_xor_b32 s3, exec_lo, s3
	s_cbranch_execz .LBB119_3915
; %bb.3910:
	s_mov_b32 s6, exec_lo
                                        ; implicit-def: $vgpr5
	v_cmpx_lt_u32_e32 0x3c7fffff, v6
	s_xor_b32 s6, exec_lo, s6
; %bb.3911:
	v_bfe_u32 v5, v1, 20, 1
	s_delay_alu instid0(VALU_DEP_1) | instskip(NEXT) | instid1(VALU_DEP_1)
	v_add3_u32 v5, v1, v5, 0x407ffff
	v_and_b32_e32 v6, 0xff00000, v5
	v_lshrrev_b32_e32 v5, 20, v5
	s_delay_alu instid0(VALU_DEP_2) | instskip(NEXT) | instid1(VALU_DEP_2)
	v_cmp_ne_u32_e32 vcc_lo, 0x7f00000, v6
	v_cndmask_b32_e32 v5, 0x7e, v5, vcc_lo
; %bb.3912:
	s_and_not1_saveexec_b32 s6, s6
; %bb.3913:
	v_add_f32_e64 v5, 0x46800000, |v1|
; %bb.3914:
	s_or_b32 exec_lo, exec_lo, s6
                                        ; implicit-def: $vgpr6
.LBB119_3915:
	s_and_not1_saveexec_b32 s3, s3
; %bb.3916:
	v_mov_b32_e32 v5, 0x7f
	v_cmp_lt_u32_e32 vcc_lo, 0x7f800000, v6
	s_delay_alu instid0(VALU_DEP_2)
	v_cndmask_b32_e32 v5, 0x7e, v5, vcc_lo
; %bb.3917:
	s_or_b32 exec_lo, exec_lo, s3
	v_lshrrev_b32_e32 v1, 24, v1
	s_delay_alu instid0(VALU_DEP_1)
	v_and_or_b32 v1, 0x80, v1, v5
	global_store_b8 v[2:3], v1, off
.LBB119_3918:
	s_mov_b32 s3, 0
.LBB119_3919:
	s_delay_alu instid0(SALU_CYCLE_1)
	s_and_not1_b32 vcc_lo, exec_lo, s3
	s_cbranch_vccnz .LBB119_3929
; %bb.3920:
	s_wait_xcnt 0x0
	v_cvt_f32_i32_e32 v1, v4
	s_mov_b32 s3, exec_lo
                                        ; implicit-def: $vgpr5
	s_delay_alu instid0(VALU_DEP_1) | instskip(NEXT) | instid1(VALU_DEP_1)
	v_and_b32_e32 v6, 0x7fffffff, v1
	v_cmpx_gt_u32_e32 0x47800000, v6
	s_xor_b32 s3, exec_lo, s3
	s_cbranch_execz .LBB119_3926
; %bb.3921:
	s_mov_b32 s6, exec_lo
                                        ; implicit-def: $vgpr5
	v_cmpx_lt_u32_e32 0x387fffff, v6
	s_xor_b32 s6, exec_lo, s6
; %bb.3922:
	v_bfe_u32 v5, v1, 21, 1
	s_delay_alu instid0(VALU_DEP_1) | instskip(NEXT) | instid1(VALU_DEP_1)
	v_add3_u32 v5, v1, v5, 0x80fffff
	v_lshrrev_b32_e32 v5, 21, v5
; %bb.3923:
	s_and_not1_saveexec_b32 s6, s6
; %bb.3924:
	v_add_f32_e64 v5, 0x43000000, |v1|
; %bb.3925:
	s_or_b32 exec_lo, exec_lo, s6
                                        ; implicit-def: $vgpr6
.LBB119_3926:
	s_and_not1_saveexec_b32 s3, s3
; %bb.3927:
	v_mov_b32_e32 v5, 0x7f
	v_cmp_lt_u32_e32 vcc_lo, 0x7f800000, v6
	s_delay_alu instid0(VALU_DEP_2)
	v_cndmask_b32_e32 v5, 0x7c, v5, vcc_lo
; %bb.3928:
	s_or_b32 exec_lo, exec_lo, s3
	v_lshrrev_b32_e32 v1, 24, v1
	s_delay_alu instid0(VALU_DEP_1)
	v_and_or_b32 v1, 0x80, v1, v5
	global_store_b8 v[2:3], v1, off
.LBB119_3929:
	s_mov_b32 s3, 0
	s_mov_b32 s6, -1
.LBB119_3930:
	s_and_not1_b32 vcc_lo, exec_lo, s3
	s_mov_b32 s3, 0
	s_cbranch_vccnz .LBB119_3937
; %bb.3931:
	s_cmp_gt_i32 s2, 14
	s_mov_b32 s3, -1
	s_cbranch_scc0 .LBB119_3935
; %bb.3932:
	s_cmp_eq_u32 s2, 15
	s_mov_b32 s0, -1
	s_cbranch_scc0 .LBB119_3934
; %bb.3933:
	s_wait_xcnt 0x0
	v_cvt_f32_i32_e32 v1, v4
	s_mov_b32 s0, 0
	s_mov_b32 s6, -1
	s_delay_alu instid0(VALU_DEP_1) | instskip(NEXT) | instid1(VALU_DEP_1)
	v_bfe_u32 v5, v1, 16, 1
	v_add3_u32 v1, v1, v5, 0x7fff
	global_store_d16_hi_b16 v[2:3], v1, off
.LBB119_3934:
	s_mov_b32 s3, 0
.LBB119_3935:
	s_delay_alu instid0(SALU_CYCLE_1)
	s_and_b32 vcc_lo, exec_lo, s3
	s_mov_b32 s3, 0
	s_cbranch_vccz .LBB119_3937
; %bb.3936:
	s_cmp_lg_u32 s2, 11
	s_mov_b32 s3, -1
	s_cselect_b32 s0, -1, 0
.LBB119_3937:
	s_delay_alu instid0(SALU_CYCLE_1)
	s_and_b32 vcc_lo, exec_lo, s0
	s_cbranch_vccnz .LBB119_4117
; %bb.3938:
	s_and_not1_b32 vcc_lo, exec_lo, s3
	s_cbranch_vccnz .LBB119_3940
.LBB119_3939:
	v_cmp_ne_u32_e32 vcc_lo, 0, v4
	s_mov_b32 s6, -1
	s_wait_xcnt 0x0
	v_cndmask_b32_e64 v1, 0, 1, vcc_lo
	global_store_b8 v[2:3], v1, off
.LBB119_3940:
	s_mov_b32 s0, 0
	s_branch .LBB119_3942
.LBB119_3941:
	s_mov_b32 s0, -1
	s_mov_b32 s6, 0
.LBB119_3942:
	s_and_b32 vcc_lo, exec_lo, s0
	s_cbranch_vccz .LBB119_3981
; %bb.3943:
	s_cmp_lt_i32 s2, 5
	s_mov_b32 s0, -1
	s_cbranch_scc1 .LBB119_3964
; %bb.3944:
	s_cmp_lt_i32 s2, 8
	s_cbranch_scc1 .LBB119_3954
; %bb.3945:
	s_cmp_lt_i32 s2, 9
	s_cbranch_scc1 .LBB119_3951
; %bb.3946:
	s_cmp_gt_i32 s2, 9
	s_cbranch_scc0 .LBB119_3948
; %bb.3947:
	s_wait_xcnt 0x0
	v_cvt_f64_i32_e32 v[6:7], v4
	v_mov_b32_e32 v8, 0
	s_mov_b32 s0, 0
	s_delay_alu instid0(VALU_DEP_1)
	v_mov_b32_e32 v9, v8
	global_store_b128 v[2:3], v[6:9], off
.LBB119_3948:
	s_and_not1_b32 vcc_lo, exec_lo, s0
	s_cbranch_vccnz .LBB119_3950
; %bb.3949:
	s_wait_xcnt 0x0
	v_cvt_f32_i32_e32 v6, v4
	v_mov_b32_e32 v7, 0
	global_store_b64 v[2:3], v[6:7], off
.LBB119_3950:
	s_mov_b32 s0, 0
.LBB119_3951:
	s_delay_alu instid0(SALU_CYCLE_1)
	s_and_not1_b32 vcc_lo, exec_lo, s0
	s_cbranch_vccnz .LBB119_3953
; %bb.3952:
	s_wait_xcnt 0x0
	v_cvt_f32_i32_e32 v1, v4
	s_delay_alu instid0(VALU_DEP_1) | instskip(NEXT) | instid1(VALU_DEP_1)
	v_cvt_f16_f32_e32 v1, v1
	v_and_b32_e32 v1, 0xffff, v1
	global_store_b32 v[2:3], v1, off
.LBB119_3953:
	s_mov_b32 s0, 0
.LBB119_3954:
	s_delay_alu instid0(SALU_CYCLE_1)
	s_and_not1_b32 vcc_lo, exec_lo, s0
	s_cbranch_vccnz .LBB119_3963
; %bb.3955:
	s_cmp_lt_i32 s2, 6
	s_mov_b32 s0, -1
	s_cbranch_scc1 .LBB119_3961
; %bb.3956:
	s_cmp_gt_i32 s2, 6
	s_cbranch_scc0 .LBB119_3958
; %bb.3957:
	s_wait_xcnt 0x0
	v_cvt_f64_i32_e32 v[6:7], v4
	s_mov_b32 s0, 0
	global_store_b64 v[2:3], v[6:7], off
.LBB119_3958:
	s_and_not1_b32 vcc_lo, exec_lo, s0
	s_cbranch_vccnz .LBB119_3960
; %bb.3959:
	s_wait_xcnt 0x0
	v_cvt_f32_i32_e32 v1, v4
	global_store_b32 v[2:3], v1, off
.LBB119_3960:
	s_mov_b32 s0, 0
.LBB119_3961:
	s_delay_alu instid0(SALU_CYCLE_1)
	s_and_not1_b32 vcc_lo, exec_lo, s0
	s_cbranch_vccnz .LBB119_3963
; %bb.3962:
	s_wait_xcnt 0x0
	v_cvt_f32_i32_e32 v1, v4
	s_delay_alu instid0(VALU_DEP_1)
	v_cvt_f16_f32_e32 v1, v1
	global_store_b16 v[2:3], v1, off
.LBB119_3963:
	s_mov_b32 s0, 0
.LBB119_3964:
	s_delay_alu instid0(SALU_CYCLE_1)
	s_and_not1_b32 vcc_lo, exec_lo, s0
	s_cbranch_vccnz .LBB119_3980
; %bb.3965:
	s_cmp_lt_i32 s2, 2
	s_mov_b32 s0, -1
	s_cbranch_scc1 .LBB119_3975
; %bb.3966:
	s_cmp_lt_i32 s2, 3
	s_cbranch_scc1 .LBB119_3972
; %bb.3967:
	s_cmp_gt_i32 s2, 3
	s_cbranch_scc0 .LBB119_3969
; %bb.3968:
	s_wait_xcnt 0x0
	v_ashrrev_i32_e32 v5, 31, v4
	s_mov_b32 s0, 0
	global_store_b64 v[2:3], v[4:5], off
.LBB119_3969:
	s_and_not1_b32 vcc_lo, exec_lo, s0
	s_cbranch_vccnz .LBB119_3971
; %bb.3970:
	global_store_b32 v[2:3], v4, off
.LBB119_3971:
	s_mov_b32 s0, 0
.LBB119_3972:
	s_delay_alu instid0(SALU_CYCLE_1)
	s_and_not1_b32 vcc_lo, exec_lo, s0
	s_cbranch_vccnz .LBB119_3974
; %bb.3973:
	global_store_b16 v[2:3], v4, off
.LBB119_3974:
	s_mov_b32 s0, 0
.LBB119_3975:
	s_delay_alu instid0(SALU_CYCLE_1)
	s_and_not1_b32 vcc_lo, exec_lo, s0
	s_cbranch_vccnz .LBB119_3980
; %bb.3976:
	s_cmp_gt_i32 s2, 0
	s_mov_b32 s0, -1
	s_cbranch_scc0 .LBB119_3978
; %bb.3977:
	s_mov_b32 s0, 0
	global_store_b8 v[2:3], v4, off
.LBB119_3978:
	s_and_not1_b32 vcc_lo, exec_lo, s0
	s_cbranch_vccnz .LBB119_3980
; %bb.3979:
	global_store_b8 v[2:3], v4, off
.LBB119_3980:
	s_mov_b32 s6, -1
.LBB119_3981:
	s_delay_alu instid0(SALU_CYCLE_1)
	s_and_not1_b32 vcc_lo, exec_lo, s6
	s_cbranch_vccnz .LBB119_4058
; %bb.3982:
	s_wait_xcnt 0x0
	v_mov_b32_e32 v1, 0
	v_maxmin_i32 v4, v14, v12, v10
	s_cmp_lt_i32 s2, 11
	s_delay_alu instid0(VALU_DEP_2)
	v_add_nc_u64_e32 v[2:3], s[4:5], v[0:1]
	s_cbranch_scc1 .LBB119_4103
; %bb.3983:
	s_mov_b32 s4, -1
	s_mov_b32 s3, 0
	s_cmp_gt_i32 s2, 25
	s_mov_b32 s0, 0
	s_cbranch_scc0 .LBB119_4016
; %bb.3984:
	s_cmp_gt_i32 s2, 28
	s_cbranch_scc0 .LBB119_4000
; %bb.3985:
	s_cmp_gt_i32 s2, 43
	;; [unrolled: 3-line block ×3, first 2 shown]
	s_cbranch_scc0 .LBB119_3990
; %bb.3987:
	s_cmp_eq_u32 s2, 46
	s_mov_b32 s0, -1
	s_cbranch_scc0 .LBB119_3989
; %bb.3988:
	v_cvt_f32_i32_e32 v0, v4
	s_mov_b32 s0, 0
	s_delay_alu instid0(VALU_DEP_1) | instskip(NEXT) | instid1(VALU_DEP_1)
	v_bfe_u32 v1, v0, 16, 1
	v_add3_u32 v0, v0, v1, 0x7fff
	s_delay_alu instid0(VALU_DEP_1)
	v_lshrrev_b32_e32 v0, 16, v0
	global_store_b32 v[2:3], v0, off
.LBB119_3989:
	s_mov_b32 s4, 0
.LBB119_3990:
	s_delay_alu instid0(SALU_CYCLE_1)
	s_and_b32 vcc_lo, exec_lo, s4
	s_cbranch_vccz .LBB119_3995
; %bb.3991:
	s_cmp_eq_u32 s2, 44
	s_mov_b32 s0, -1
	s_cbranch_scc0 .LBB119_3995
; %bb.3992:
	s_wait_xcnt 0x0
	v_cvt_f32_i32_e32 v0, v4
	v_mov_b32_e32 v1, 0xff
	s_mov_b32 s4, exec_lo
	s_delay_alu instid0(VALU_DEP_2) | instskip(NEXT) | instid1(VALU_DEP_1)
	v_bfe_u32 v5, v0, 23, 8
	v_cmpx_ne_u32_e32 0xff, v5
	s_cbranch_execz .LBB119_3994
; %bb.3993:
	v_and_b32_e32 v1, 0x400000, v0
	v_and_or_b32 v5, 0x3fffff, v0, v5
	v_lshrrev_b32_e32 v0, 23, v0
	s_delay_alu instid0(VALU_DEP_3) | instskip(NEXT) | instid1(VALU_DEP_3)
	v_cmp_ne_u32_e32 vcc_lo, 0, v1
	v_cmp_ne_u32_e64 s0, 0, v5
	s_and_b32 s0, vcc_lo, s0
	s_delay_alu instid0(SALU_CYCLE_1) | instskip(NEXT) | instid1(VALU_DEP_1)
	v_cndmask_b32_e64 v1, 0, 1, s0
	v_add_nc_u32_e32 v1, v0, v1
.LBB119_3994:
	s_or_b32 exec_lo, exec_lo, s4
	s_mov_b32 s0, 0
	global_store_b8 v[2:3], v1, off
.LBB119_3995:
	s_mov_b32 s4, 0
.LBB119_3996:
	s_delay_alu instid0(SALU_CYCLE_1)
	s_and_b32 vcc_lo, exec_lo, s4
	s_cbranch_vccz .LBB119_3999
; %bb.3997:
	s_cmp_eq_u32 s2, 29
	s_mov_b32 s0, -1
	s_cbranch_scc0 .LBB119_3999
; %bb.3998:
	v_ashrrev_i32_e32 v5, 31, v4
	s_mov_b32 s0, 0
	global_store_b64 v[2:3], v[4:5], off
.LBB119_3999:
	s_mov_b32 s4, 0
.LBB119_4000:
	s_delay_alu instid0(SALU_CYCLE_1)
	s_and_b32 vcc_lo, exec_lo, s4
	s_cbranch_vccz .LBB119_4015
; %bb.4001:
	s_cmp_lt_i32 s2, 27
	s_mov_b32 s4, -1
	s_cbranch_scc1 .LBB119_4007
; %bb.4002:
	s_cmp_gt_i32 s2, 27
	s_cbranch_scc0 .LBB119_4004
; %bb.4003:
	s_mov_b32 s4, 0
	global_store_b32 v[2:3], v4, off
.LBB119_4004:
	s_and_not1_b32 vcc_lo, exec_lo, s4
	s_cbranch_vccnz .LBB119_4006
; %bb.4005:
	global_store_b16 v[2:3], v4, off
.LBB119_4006:
	s_mov_b32 s4, 0
.LBB119_4007:
	s_delay_alu instid0(SALU_CYCLE_1)
	s_and_not1_b32 vcc_lo, exec_lo, s4
	s_cbranch_vccnz .LBB119_4015
; %bb.4008:
	s_wait_xcnt 0x0
	v_cvt_f32_i32_e32 v0, v4
	v_mov_b32_e32 v5, 0x80
	s_mov_b32 s4, exec_lo
	s_delay_alu instid0(VALU_DEP_2) | instskip(NEXT) | instid1(VALU_DEP_1)
	v_and_b32_e32 v1, 0x7fffffff, v0
	v_cmpx_gt_u32_e32 0x43800000, v1
	s_cbranch_execz .LBB119_4014
; %bb.4009:
	v_cmp_lt_u32_e32 vcc_lo, 0x3bffffff, v1
	s_mov_b32 s5, 0
                                        ; implicit-def: $vgpr1
	s_and_saveexec_b32 s6, vcc_lo
	s_delay_alu instid0(SALU_CYCLE_1)
	s_xor_b32 s6, exec_lo, s6
	s_cbranch_execz .LBB119_4120
; %bb.4010:
	v_bfe_u32 v1, v0, 20, 1
	s_mov_b32 s5, exec_lo
	s_delay_alu instid0(VALU_DEP_1) | instskip(NEXT) | instid1(VALU_DEP_1)
	v_add3_u32 v1, v0, v1, 0x487ffff
	v_lshrrev_b32_e32 v1, 20, v1
	s_and_not1_saveexec_b32 s6, s6
	s_cbranch_execnz .LBB119_4121
.LBB119_4011:
	s_or_b32 exec_lo, exec_lo, s6
	v_mov_b32_e32 v5, 0
	s_and_saveexec_b32 s6, s5
.LBB119_4012:
	v_lshrrev_b32_e32 v0, 24, v0
	s_delay_alu instid0(VALU_DEP_1)
	v_and_or_b32 v5, 0x80, v0, v1
.LBB119_4013:
	s_or_b32 exec_lo, exec_lo, s6
.LBB119_4014:
	s_delay_alu instid0(SALU_CYCLE_1)
	s_or_b32 exec_lo, exec_lo, s4
	global_store_b8 v[2:3], v5, off
.LBB119_4015:
	s_mov_b32 s4, 0
.LBB119_4016:
	s_delay_alu instid0(SALU_CYCLE_1)
	s_and_b32 vcc_lo, exec_lo, s4
	s_cbranch_vccz .LBB119_4056
; %bb.4017:
	s_cmp_gt_i32 s2, 22
	s_mov_b32 s3, -1
	s_cbranch_scc0 .LBB119_4049
; %bb.4018:
	s_cmp_lt_i32 s2, 24
	s_cbranch_scc1 .LBB119_4038
; %bb.4019:
	s_cmp_gt_i32 s2, 24
	s_cbranch_scc0 .LBB119_4027
; %bb.4020:
	s_wait_xcnt 0x0
	v_cvt_f32_i32_e32 v0, v4
	v_mov_b32_e32 v5, 0x80
	s_mov_b32 s3, exec_lo
	s_delay_alu instid0(VALU_DEP_2) | instskip(NEXT) | instid1(VALU_DEP_1)
	v_and_b32_e32 v1, 0x7fffffff, v0
	v_cmpx_gt_u32_e32 0x47800000, v1
	s_cbranch_execz .LBB119_4026
; %bb.4021:
	v_cmp_lt_u32_e32 vcc_lo, 0x37ffffff, v1
	s_mov_b32 s4, 0
                                        ; implicit-def: $vgpr1
	s_and_saveexec_b32 s5, vcc_lo
	s_delay_alu instid0(SALU_CYCLE_1)
	s_xor_b32 s5, exec_lo, s5
	s_cbranch_execz .LBB119_4123
; %bb.4022:
	v_bfe_u32 v1, v0, 21, 1
	s_mov_b32 s4, exec_lo
	s_delay_alu instid0(VALU_DEP_1) | instskip(NEXT) | instid1(VALU_DEP_1)
	v_add3_u32 v1, v0, v1, 0x88fffff
	v_lshrrev_b32_e32 v1, 21, v1
	s_and_not1_saveexec_b32 s5, s5
	s_cbranch_execnz .LBB119_4124
.LBB119_4023:
	s_or_b32 exec_lo, exec_lo, s5
	v_mov_b32_e32 v5, 0
	s_and_saveexec_b32 s5, s4
.LBB119_4024:
	v_lshrrev_b32_e32 v0, 24, v0
	s_delay_alu instid0(VALU_DEP_1)
	v_and_or_b32 v5, 0x80, v0, v1
.LBB119_4025:
	s_or_b32 exec_lo, exec_lo, s5
.LBB119_4026:
	s_delay_alu instid0(SALU_CYCLE_1)
	s_or_b32 exec_lo, exec_lo, s3
	s_mov_b32 s3, 0
	global_store_b8 v[2:3], v5, off
.LBB119_4027:
	s_and_b32 vcc_lo, exec_lo, s3
	s_cbranch_vccz .LBB119_4037
; %bb.4028:
	s_wait_xcnt 0x0
	v_cvt_f32_i32_e32 v0, v4
	s_mov_b32 s3, exec_lo
                                        ; implicit-def: $vgpr1
	s_delay_alu instid0(VALU_DEP_1) | instskip(NEXT) | instid1(VALU_DEP_1)
	v_and_b32_e32 v5, 0x7fffffff, v0
	v_cmpx_gt_u32_e32 0x43f00000, v5
	s_xor_b32 s3, exec_lo, s3
	s_cbranch_execz .LBB119_4034
; %bb.4029:
	s_mov_b32 s4, exec_lo
                                        ; implicit-def: $vgpr1
	v_cmpx_lt_u32_e32 0x3c7fffff, v5
	s_xor_b32 s4, exec_lo, s4
; %bb.4030:
	v_bfe_u32 v1, v0, 20, 1
	s_delay_alu instid0(VALU_DEP_1) | instskip(NEXT) | instid1(VALU_DEP_1)
	v_add3_u32 v1, v0, v1, 0x407ffff
	v_and_b32_e32 v5, 0xff00000, v1
	v_lshrrev_b32_e32 v1, 20, v1
	s_delay_alu instid0(VALU_DEP_2) | instskip(NEXT) | instid1(VALU_DEP_2)
	v_cmp_ne_u32_e32 vcc_lo, 0x7f00000, v5
	v_cndmask_b32_e32 v1, 0x7e, v1, vcc_lo
; %bb.4031:
	s_and_not1_saveexec_b32 s4, s4
; %bb.4032:
	v_add_f32_e64 v1, 0x46800000, |v0|
; %bb.4033:
	s_or_b32 exec_lo, exec_lo, s4
                                        ; implicit-def: $vgpr5
.LBB119_4034:
	s_and_not1_saveexec_b32 s3, s3
; %bb.4035:
	v_mov_b32_e32 v1, 0x7f
	v_cmp_lt_u32_e32 vcc_lo, 0x7f800000, v5
	s_delay_alu instid0(VALU_DEP_2)
	v_cndmask_b32_e32 v1, 0x7e, v1, vcc_lo
; %bb.4036:
	s_or_b32 exec_lo, exec_lo, s3
	v_lshrrev_b32_e32 v0, 24, v0
	s_delay_alu instid0(VALU_DEP_1)
	v_and_or_b32 v0, 0x80, v0, v1
	global_store_b8 v[2:3], v0, off
.LBB119_4037:
	s_mov_b32 s3, 0
.LBB119_4038:
	s_delay_alu instid0(SALU_CYCLE_1)
	s_and_not1_b32 vcc_lo, exec_lo, s3
	s_cbranch_vccnz .LBB119_4048
; %bb.4039:
	s_wait_xcnt 0x0
	v_cvt_f32_i32_e32 v0, v4
	s_mov_b32 s3, exec_lo
                                        ; implicit-def: $vgpr1
	s_delay_alu instid0(VALU_DEP_1) | instskip(NEXT) | instid1(VALU_DEP_1)
	v_and_b32_e32 v5, 0x7fffffff, v0
	v_cmpx_gt_u32_e32 0x47800000, v5
	s_xor_b32 s3, exec_lo, s3
	s_cbranch_execz .LBB119_4045
; %bb.4040:
	s_mov_b32 s4, exec_lo
                                        ; implicit-def: $vgpr1
	v_cmpx_lt_u32_e32 0x387fffff, v5
	s_xor_b32 s4, exec_lo, s4
; %bb.4041:
	v_bfe_u32 v1, v0, 21, 1
	s_delay_alu instid0(VALU_DEP_1) | instskip(NEXT) | instid1(VALU_DEP_1)
	v_add3_u32 v1, v0, v1, 0x80fffff
	v_lshrrev_b32_e32 v1, 21, v1
; %bb.4042:
	s_and_not1_saveexec_b32 s4, s4
; %bb.4043:
	v_add_f32_e64 v1, 0x43000000, |v0|
; %bb.4044:
	s_or_b32 exec_lo, exec_lo, s4
                                        ; implicit-def: $vgpr5
.LBB119_4045:
	s_and_not1_saveexec_b32 s3, s3
; %bb.4046:
	v_mov_b32_e32 v1, 0x7f
	v_cmp_lt_u32_e32 vcc_lo, 0x7f800000, v5
	s_delay_alu instid0(VALU_DEP_2)
	v_cndmask_b32_e32 v1, 0x7c, v1, vcc_lo
; %bb.4047:
	s_or_b32 exec_lo, exec_lo, s3
	v_lshrrev_b32_e32 v0, 24, v0
	s_delay_alu instid0(VALU_DEP_1)
	v_and_or_b32 v0, 0x80, v0, v1
	global_store_b8 v[2:3], v0, off
.LBB119_4048:
	s_mov_b32 s3, 0
.LBB119_4049:
	s_delay_alu instid0(SALU_CYCLE_1)
	s_and_not1_b32 vcc_lo, exec_lo, s3
	s_mov_b32 s3, 0
	s_cbranch_vccnz .LBB119_4056
; %bb.4050:
	s_cmp_gt_i32 s2, 14
	s_mov_b32 s3, -1
	s_cbranch_scc0 .LBB119_4054
; %bb.4051:
	s_cmp_eq_u32 s2, 15
	s_mov_b32 s0, -1
	s_cbranch_scc0 .LBB119_4053
; %bb.4052:
	s_wait_xcnt 0x0
	v_cvt_f32_i32_e32 v0, v4
	s_mov_b32 s0, 0
	s_delay_alu instid0(VALU_DEP_1) | instskip(NEXT) | instid1(VALU_DEP_1)
	v_bfe_u32 v1, v0, 16, 1
	v_add3_u32 v0, v0, v1, 0x7fff
	global_store_d16_hi_b16 v[2:3], v0, off
.LBB119_4053:
	s_mov_b32 s3, 0
.LBB119_4054:
	s_delay_alu instid0(SALU_CYCLE_1)
	s_and_b32 vcc_lo, exec_lo, s3
	s_mov_b32 s3, 0
	s_cbranch_vccz .LBB119_4056
; %bb.4055:
	s_cmp_lg_u32 s2, 11
	s_mov_b32 s3, -1
	s_cselect_b32 s0, -1, 0
.LBB119_4056:
	s_delay_alu instid0(SALU_CYCLE_1)
	s_and_b32 vcc_lo, exec_lo, s0
	s_cbranch_vccnz .LBB119_4122
.LBB119_4057:
	s_mov_b32 s0, 0
	s_branch .LBB119_4059
.LBB119_4058:
	s_mov_b32 s0, 0
	s_mov_b32 s3, 0
                                        ; implicit-def: $vgpr2_vgpr3
                                        ; implicit-def: $sgpr1
                                        ; implicit-def: $vgpr4
.LBB119_4059:
	s_and_not1_b32 s2, s10, exec_lo
	s_and_b32 s4, s12, exec_lo
	s_and_b32 s0, s0, exec_lo
	;; [unrolled: 1-line block ×3, first 2 shown]
	s_or_b32 s10, s2, s4
.LBB119_4060:
	s_wait_xcnt 0x0
	s_or_b32 exec_lo, exec_lo, s11
	s_and_saveexec_b32 s2, s10
	s_cbranch_execz .LBB119_4063
; %bb.4061:
	; divergent unreachable
	s_or_b32 exec_lo, exec_lo, s2
	s_and_saveexec_b32 s2, s35
	s_delay_alu instid0(SALU_CYCLE_1)
	s_xor_b32 s2, exec_lo, s2
	s_cbranch_execnz .LBB119_4064
.LBB119_4062:
	s_or_b32 exec_lo, exec_lo, s2
	s_and_saveexec_b32 s2, s0
	s_cbranch_execnz .LBB119_4065
	s_branch .LBB119_4102
.LBB119_4063:
	s_or_b32 exec_lo, exec_lo, s2
	s_and_saveexec_b32 s2, s35
	s_delay_alu instid0(SALU_CYCLE_1)
	s_xor_b32 s2, exec_lo, s2
	s_cbranch_execz .LBB119_4062
.LBB119_4064:
	v_cmp_ne_u32_e32 vcc_lo, 0, v4
	v_cndmask_b32_e64 v0, 0, 1, vcc_lo
	s_wait_loadcnt 0x0
	global_store_b8 v[2:3], v0, off
	s_wait_xcnt 0x0
	s_or_b32 exec_lo, exec_lo, s2
	s_and_saveexec_b32 s2, s0
	s_cbranch_execz .LBB119_4102
.LBB119_4065:
	s_sext_i32_i16 s2, s1
	s_mov_b32 s0, -1
	s_cmp_lt_i32 s2, 5
	s_cbranch_scc1 .LBB119_4086
; %bb.4066:
	s_cmp_lt_i32 s2, 8
	s_cbranch_scc1 .LBB119_4076
; %bb.4067:
	;; [unrolled: 3-line block ×3, first 2 shown]
	s_cmp_gt_i32 s2, 9
	s_cbranch_scc0 .LBB119_4070
; %bb.4069:
	s_wait_loadcnt 0x0
	v_cvt_f64_i32_e32 v[6:7], v4
	v_mov_b32_e32 v8, 0
	s_mov_b32 s0, 0
	s_delay_alu instid0(VALU_DEP_1)
	v_mov_b32_e32 v9, v8
	global_store_b128 v[2:3], v[6:9], off
.LBB119_4070:
	s_and_not1_b32 vcc_lo, exec_lo, s0
	s_cbranch_vccnz .LBB119_4072
; %bb.4071:
	v_cvt_f32_i32_e32 v0, v4
	s_wait_loadcnt 0x0
	v_mov_b32_e32 v1, 0
	global_store_b64 v[2:3], v[0:1], off
.LBB119_4072:
	s_mov_b32 s0, 0
.LBB119_4073:
	s_delay_alu instid0(SALU_CYCLE_1)
	s_and_not1_b32 vcc_lo, exec_lo, s0
	s_cbranch_vccnz .LBB119_4075
; %bb.4074:
	s_wait_xcnt 0x0
	v_cvt_f32_i32_e32 v0, v4
	s_delay_alu instid0(VALU_DEP_1) | instskip(NEXT) | instid1(VALU_DEP_1)
	v_cvt_f16_f32_e32 v0, v0
	v_and_b32_e32 v0, 0xffff, v0
	s_wait_loadcnt 0x0
	global_store_b32 v[2:3], v0, off
.LBB119_4075:
	s_mov_b32 s0, 0
.LBB119_4076:
	s_delay_alu instid0(SALU_CYCLE_1)
	s_and_not1_b32 vcc_lo, exec_lo, s0
	s_cbranch_vccnz .LBB119_4085
; %bb.4077:
	s_sext_i32_i16 s2, s1
	s_mov_b32 s0, -1
	s_cmp_lt_i32 s2, 6
	s_cbranch_scc1 .LBB119_4083
; %bb.4078:
	s_cmp_gt_i32 s2, 6
	s_cbranch_scc0 .LBB119_4080
; %bb.4079:
	s_wait_loadcnt 0x0
	v_cvt_f64_i32_e32 v[0:1], v4
	s_mov_b32 s0, 0
	global_store_b64 v[2:3], v[0:1], off
.LBB119_4080:
	s_and_not1_b32 vcc_lo, exec_lo, s0
	s_cbranch_vccnz .LBB119_4082
; %bb.4081:
	s_wait_xcnt 0x0
	v_cvt_f32_i32_e32 v0, v4
	s_wait_loadcnt 0x0
	global_store_b32 v[2:3], v0, off
.LBB119_4082:
	s_mov_b32 s0, 0
.LBB119_4083:
	s_delay_alu instid0(SALU_CYCLE_1)
	s_and_not1_b32 vcc_lo, exec_lo, s0
	s_cbranch_vccnz .LBB119_4085
; %bb.4084:
	s_wait_xcnt 0x0
	v_cvt_f32_i32_e32 v0, v4
	s_delay_alu instid0(VALU_DEP_1)
	v_cvt_f16_f32_e32 v0, v0
	s_wait_loadcnt 0x0
	global_store_b16 v[2:3], v0, off
.LBB119_4085:
	s_mov_b32 s0, 0
.LBB119_4086:
	s_delay_alu instid0(SALU_CYCLE_1)
	s_and_not1_b32 vcc_lo, exec_lo, s0
	s_cbranch_vccnz .LBB119_4102
; %bb.4087:
	s_sext_i32_i16 s2, s1
	s_mov_b32 s0, -1
	s_cmp_lt_i32 s2, 2
	s_cbranch_scc1 .LBB119_4097
; %bb.4088:
	s_cmp_lt_i32 s2, 3
	s_cbranch_scc1 .LBB119_4094
; %bb.4089:
	s_cmp_gt_i32 s2, 3
	s_cbranch_scc0 .LBB119_4091
; %bb.4090:
	s_wait_loadcnt 0x0
	v_ashrrev_i32_e32 v5, 31, v4
	s_mov_b32 s0, 0
	global_store_b64 v[2:3], v[4:5], off
.LBB119_4091:
	s_and_not1_b32 vcc_lo, exec_lo, s0
	s_cbranch_vccnz .LBB119_4093
; %bb.4092:
	s_wait_loadcnt 0x0
	global_store_b32 v[2:3], v4, off
.LBB119_4093:
	s_mov_b32 s0, 0
.LBB119_4094:
	s_delay_alu instid0(SALU_CYCLE_1)
	s_and_not1_b32 vcc_lo, exec_lo, s0
	s_cbranch_vccnz .LBB119_4096
; %bb.4095:
	s_wait_loadcnt 0x0
	global_store_b16 v[2:3], v4, off
.LBB119_4096:
	s_mov_b32 s0, 0
.LBB119_4097:
	s_delay_alu instid0(SALU_CYCLE_1)
	s_and_not1_b32 vcc_lo, exec_lo, s0
	s_cbranch_vccnz .LBB119_4102
; %bb.4098:
	s_sext_i32_i16 s0, s1
	s_delay_alu instid0(SALU_CYCLE_1)
	s_cmp_gt_i32 s0, 0
	s_mov_b32 s0, -1
	s_cbranch_scc0 .LBB119_4100
; %bb.4099:
	s_mov_b32 s0, 0
	s_wait_loadcnt 0x0
	global_store_b8 v[2:3], v4, off
.LBB119_4100:
	s_and_not1_b32 vcc_lo, exec_lo, s0
	s_cbranch_vccnz .LBB119_4102
; %bb.4101:
	s_wait_loadcnt 0x0
	global_store_b8 v[2:3], v4, off
	s_endpgm
.LBB119_4102:
	s_endpgm
.LBB119_4103:
	s_mov_b32 s3, 0
	s_mov_b32 s0, -1
	s_branch .LBB119_4059
.LBB119_4104:
	s_or_b32 s12, s12, exec_lo
	s_trap 2
	s_cbranch_execz .LBB119_3573
	s_branch .LBB119_3574
.LBB119_4105:
	s_and_not1_saveexec_b32 s8, s8
	s_cbranch_execz .LBB119_3653
.LBB119_4106:
	v_add_f32_e64 v3, 0x46000000, |v1|
	s_and_not1_b32 s7, s7, exec_lo
	s_delay_alu instid0(VALU_DEP_1) | instskip(NEXT) | instid1(VALU_DEP_1)
	v_and_b32_e32 v3, 0xff, v3
	v_cmp_ne_u32_e32 vcc_lo, 0, v3
	s_and_b32 s9, vcc_lo, exec_lo
	s_delay_alu instid0(SALU_CYCLE_1)
	s_or_b32 s7, s7, s9
	s_or_b32 exec_lo, exec_lo, s8
	v_mov_b32_e32 v5, 0
	s_and_saveexec_b32 s8, s7
	s_cbranch_execnz .LBB119_3654
	s_branch .LBB119_3655
.LBB119_4107:
	s_or_b32 s12, s12, exec_lo
	s_trap 2
	s_cbranch_execz .LBB119_3701
	s_branch .LBB119_3702
.LBB119_4108:
	s_and_not1_saveexec_b32 s7, s7
	s_cbranch_execz .LBB119_3666
.LBB119_4109:
	v_add_f32_e64 v3, 0x42800000, |v1|
	s_and_not1_b32 s6, s6, exec_lo
	s_delay_alu instid0(VALU_DEP_1) | instskip(NEXT) | instid1(VALU_DEP_1)
	v_and_b32_e32 v3, 0xff, v3
	v_cmp_ne_u32_e32 vcc_lo, 0, v3
	s_and_b32 s8, vcc_lo, exec_lo
	s_delay_alu instid0(SALU_CYCLE_1)
	s_or_b32 s6, s6, s8
	s_or_b32 exec_lo, exec_lo, s7
	v_mov_b32_e32 v5, 0
	s_and_saveexec_b32 s7, s6
	s_cbranch_execnz .LBB119_3667
	s_branch .LBB119_3668
.LBB119_4110:
	s_and_not1_saveexec_b32 s8, s8
	s_cbranch_execz .LBB119_3772
.LBB119_4111:
	v_add_f32_e64 v3, 0x46000000, |v1|
	s_and_not1_b32 s7, s7, exec_lo
	s_delay_alu instid0(VALU_DEP_1) | instskip(NEXT) | instid1(VALU_DEP_1)
	v_and_b32_e32 v3, 0xff, v3
	v_cmp_ne_u32_e32 vcc_lo, 0, v3
	s_and_b32 s9, vcc_lo, exec_lo
	s_delay_alu instid0(SALU_CYCLE_1)
	s_or_b32 s7, s7, s9
	s_or_b32 exec_lo, exec_lo, s8
	v_mov_b32_e32 v7, 0
	s_and_saveexec_b32 s8, s7
	s_cbranch_execnz .LBB119_3773
	s_branch .LBB119_3774
.LBB119_4112:
	s_or_b32 s12, s12, exec_lo
	s_trap 2
	s_cbranch_execz .LBB119_3820
	s_branch .LBB119_3821
.LBB119_4113:
	s_and_not1_saveexec_b32 s7, s7
	s_cbranch_execz .LBB119_3785
.LBB119_4114:
	v_add_f32_e64 v3, 0x42800000, |v1|
	s_and_not1_b32 s6, s6, exec_lo
	s_delay_alu instid0(VALU_DEP_1) | instskip(NEXT) | instid1(VALU_DEP_1)
	v_and_b32_e32 v3, 0xff, v3
	v_cmp_ne_u32_e32 vcc_lo, 0, v3
	s_and_b32 s8, vcc_lo, exec_lo
	s_delay_alu instid0(SALU_CYCLE_1)
	s_or_b32 s6, s6, s8
	s_or_b32 exec_lo, exec_lo, s7
	v_mov_b32_e32 v7, 0
	s_and_saveexec_b32 s7, s6
	s_cbranch_execnz .LBB119_3786
	s_branch .LBB119_3787
.LBB119_4115:
	s_and_not1_saveexec_b32 s8, s8
	s_cbranch_execz .LBB119_3891
.LBB119_4116:
	v_add_f32_e64 v5, 0x46000000, |v1|
	s_and_not1_b32 s7, s7, exec_lo
	s_delay_alu instid0(VALU_DEP_1) | instskip(NEXT) | instid1(VALU_DEP_1)
	v_and_b32_e32 v5, 0xff, v5
	v_cmp_ne_u32_e32 vcc_lo, 0, v5
	s_and_b32 s9, vcc_lo, exec_lo
	s_delay_alu instid0(SALU_CYCLE_1)
	s_or_b32 s7, s7, s9
	s_or_b32 exec_lo, exec_lo, s8
	v_mov_b32_e32 v6, 0
	s_and_saveexec_b32 s8, s7
	s_cbranch_execnz .LBB119_3892
	s_branch .LBB119_3893
.LBB119_4117:
	s_or_b32 s12, s12, exec_lo
	s_trap 2
	s_cbranch_execz .LBB119_3939
	s_branch .LBB119_3940
.LBB119_4118:
	s_and_not1_saveexec_b32 s7, s7
	s_cbranch_execz .LBB119_3904
.LBB119_4119:
	v_add_f32_e64 v5, 0x42800000, |v1|
	s_and_not1_b32 s6, s6, exec_lo
	s_delay_alu instid0(VALU_DEP_1) | instskip(NEXT) | instid1(VALU_DEP_1)
	v_and_b32_e32 v5, 0xff, v5
	v_cmp_ne_u32_e32 vcc_lo, 0, v5
	s_and_b32 s8, vcc_lo, exec_lo
	s_delay_alu instid0(SALU_CYCLE_1)
	s_or_b32 s6, s6, s8
	s_or_b32 exec_lo, exec_lo, s7
	v_mov_b32_e32 v6, 0
	s_and_saveexec_b32 s7, s6
	s_cbranch_execnz .LBB119_3905
	s_branch .LBB119_3906
.LBB119_4120:
	s_and_not1_saveexec_b32 s6, s6
	s_cbranch_execz .LBB119_4011
.LBB119_4121:
	v_add_f32_e64 v1, 0x46000000, |v0|
	s_and_not1_b32 s5, s5, exec_lo
	s_delay_alu instid0(VALU_DEP_1) | instskip(NEXT) | instid1(VALU_DEP_1)
	v_and_b32_e32 v1, 0xff, v1
	v_cmp_ne_u32_e32 vcc_lo, 0, v1
	s_and_b32 s7, vcc_lo, exec_lo
	s_delay_alu instid0(SALU_CYCLE_1)
	s_or_b32 s5, s5, s7
	s_or_b32 exec_lo, exec_lo, s6
	v_mov_b32_e32 v5, 0
	s_and_saveexec_b32 s6, s5
	s_cbranch_execnz .LBB119_4012
	s_branch .LBB119_4013
.LBB119_4122:
	s_mov_b32 s3, 0
	s_or_b32 s12, s12, exec_lo
	s_trap 2
	s_branch .LBB119_4057
.LBB119_4123:
	s_and_not1_saveexec_b32 s5, s5
	s_cbranch_execz .LBB119_4023
.LBB119_4124:
	v_add_f32_e64 v1, 0x42800000, |v0|
	s_and_not1_b32 s4, s4, exec_lo
	s_delay_alu instid0(VALU_DEP_1) | instskip(NEXT) | instid1(VALU_DEP_1)
	v_and_b32_e32 v1, 0xff, v1
	v_cmp_ne_u32_e32 vcc_lo, 0, v1
	s_and_b32 s6, vcc_lo, exec_lo
	s_delay_alu instid0(SALU_CYCLE_1)
	s_or_b32 s4, s4, s6
	s_or_b32 exec_lo, exec_lo, s5
	v_mov_b32_e32 v5, 0
	s_and_saveexec_b32 s5, s4
	s_cbranch_execnz .LBB119_4024
	s_branch .LBB119_4025
	.section	.rodata,"a",@progbits
	.p2align	6, 0x0
	.amdhsa_kernel _ZN2at6native32elementwise_kernel_manual_unrollILi128ELi4EZNS0_15gpu_kernel_implIZZZNS0_12_GLOBAL__N_117clamp_kernel_implERNS_18TensorIteratorBaseEENKUlvE_clEvENKUlvE1_clEvEUliiiE_EEvS5_RKT_EUlibE0_EEviT1_
		.amdhsa_group_segment_fixed_size 0
		.amdhsa_private_segment_fixed_size 0
		.amdhsa_kernarg_size 504
		.amdhsa_user_sgpr_count 2
		.amdhsa_user_sgpr_dispatch_ptr 0
		.amdhsa_user_sgpr_queue_ptr 0
		.amdhsa_user_sgpr_kernarg_segment_ptr 1
		.amdhsa_user_sgpr_dispatch_id 0
		.amdhsa_user_sgpr_kernarg_preload_length 0
		.amdhsa_user_sgpr_kernarg_preload_offset 0
		.amdhsa_user_sgpr_private_segment_size 0
		.amdhsa_wavefront_size32 1
		.amdhsa_uses_dynamic_stack 0
		.amdhsa_enable_private_segment 0
		.amdhsa_system_sgpr_workgroup_id_x 1
		.amdhsa_system_sgpr_workgroup_id_y 0
		.amdhsa_system_sgpr_workgroup_id_z 0
		.amdhsa_system_sgpr_workgroup_info 0
		.amdhsa_system_vgpr_workitem_id 0
		.amdhsa_next_free_vgpr 34
		.amdhsa_next_free_sgpr 74
		.amdhsa_named_barrier_count 0
		.amdhsa_reserve_vcc 1
		.amdhsa_float_round_mode_32 0
		.amdhsa_float_round_mode_16_64 0
		.amdhsa_float_denorm_mode_32 3
		.amdhsa_float_denorm_mode_16_64 3
		.amdhsa_fp16_overflow 0
		.amdhsa_memory_ordered 1
		.amdhsa_forward_progress 1
		.amdhsa_inst_pref_size 255
		.amdhsa_round_robin_scheduling 0
		.amdhsa_exception_fp_ieee_invalid_op 0
		.amdhsa_exception_fp_denorm_src 0
		.amdhsa_exception_fp_ieee_div_zero 0
		.amdhsa_exception_fp_ieee_overflow 0
		.amdhsa_exception_fp_ieee_underflow 0
		.amdhsa_exception_fp_ieee_inexact 0
		.amdhsa_exception_int_div_zero 0
	.end_amdhsa_kernel
	.section	.text._ZN2at6native32elementwise_kernel_manual_unrollILi128ELi4EZNS0_15gpu_kernel_implIZZZNS0_12_GLOBAL__N_117clamp_kernel_implERNS_18TensorIteratorBaseEENKUlvE_clEvENKUlvE1_clEvEUliiiE_EEvS5_RKT_EUlibE0_EEviT1_,"axG",@progbits,_ZN2at6native32elementwise_kernel_manual_unrollILi128ELi4EZNS0_15gpu_kernel_implIZZZNS0_12_GLOBAL__N_117clamp_kernel_implERNS_18TensorIteratorBaseEENKUlvE_clEvENKUlvE1_clEvEUliiiE_EEvS5_RKT_EUlibE0_EEviT1_,comdat
.Lfunc_end119:
	.size	_ZN2at6native32elementwise_kernel_manual_unrollILi128ELi4EZNS0_15gpu_kernel_implIZZZNS0_12_GLOBAL__N_117clamp_kernel_implERNS_18TensorIteratorBaseEENKUlvE_clEvENKUlvE1_clEvEUliiiE_EEvS5_RKT_EUlibE0_EEviT1_, .Lfunc_end119-_ZN2at6native32elementwise_kernel_manual_unrollILi128ELi4EZNS0_15gpu_kernel_implIZZZNS0_12_GLOBAL__N_117clamp_kernel_implERNS_18TensorIteratorBaseEENKUlvE_clEvENKUlvE1_clEvEUliiiE_EEvS5_RKT_EUlibE0_EEviT1_
                                        ; -- End function
	.set _ZN2at6native32elementwise_kernel_manual_unrollILi128ELi4EZNS0_15gpu_kernel_implIZZZNS0_12_GLOBAL__N_117clamp_kernel_implERNS_18TensorIteratorBaseEENKUlvE_clEvENKUlvE1_clEvEUliiiE_EEvS5_RKT_EUlibE0_EEviT1_.num_vgpr, 34
	.set _ZN2at6native32elementwise_kernel_manual_unrollILi128ELi4EZNS0_15gpu_kernel_implIZZZNS0_12_GLOBAL__N_117clamp_kernel_implERNS_18TensorIteratorBaseEENKUlvE_clEvENKUlvE1_clEvEUliiiE_EEvS5_RKT_EUlibE0_EEviT1_.num_agpr, 0
	.set _ZN2at6native32elementwise_kernel_manual_unrollILi128ELi4EZNS0_15gpu_kernel_implIZZZNS0_12_GLOBAL__N_117clamp_kernel_implERNS_18TensorIteratorBaseEENKUlvE_clEvENKUlvE1_clEvEUliiiE_EEvS5_RKT_EUlibE0_EEviT1_.numbered_sgpr, 74
	.set _ZN2at6native32elementwise_kernel_manual_unrollILi128ELi4EZNS0_15gpu_kernel_implIZZZNS0_12_GLOBAL__N_117clamp_kernel_implERNS_18TensorIteratorBaseEENKUlvE_clEvENKUlvE1_clEvEUliiiE_EEvS5_RKT_EUlibE0_EEviT1_.num_named_barrier, 0
	.set _ZN2at6native32elementwise_kernel_manual_unrollILi128ELi4EZNS0_15gpu_kernel_implIZZZNS0_12_GLOBAL__N_117clamp_kernel_implERNS_18TensorIteratorBaseEENKUlvE_clEvENKUlvE1_clEvEUliiiE_EEvS5_RKT_EUlibE0_EEviT1_.private_seg_size, 0
	.set _ZN2at6native32elementwise_kernel_manual_unrollILi128ELi4EZNS0_15gpu_kernel_implIZZZNS0_12_GLOBAL__N_117clamp_kernel_implERNS_18TensorIteratorBaseEENKUlvE_clEvENKUlvE1_clEvEUliiiE_EEvS5_RKT_EUlibE0_EEviT1_.uses_vcc, 1
	.set _ZN2at6native32elementwise_kernel_manual_unrollILi128ELi4EZNS0_15gpu_kernel_implIZZZNS0_12_GLOBAL__N_117clamp_kernel_implERNS_18TensorIteratorBaseEENKUlvE_clEvENKUlvE1_clEvEUliiiE_EEvS5_RKT_EUlibE0_EEviT1_.uses_flat_scratch, 0
	.set _ZN2at6native32elementwise_kernel_manual_unrollILi128ELi4EZNS0_15gpu_kernel_implIZZZNS0_12_GLOBAL__N_117clamp_kernel_implERNS_18TensorIteratorBaseEENKUlvE_clEvENKUlvE1_clEvEUliiiE_EEvS5_RKT_EUlibE0_EEviT1_.has_dyn_sized_stack, 0
	.set _ZN2at6native32elementwise_kernel_manual_unrollILi128ELi4EZNS0_15gpu_kernel_implIZZZNS0_12_GLOBAL__N_117clamp_kernel_implERNS_18TensorIteratorBaseEENKUlvE_clEvENKUlvE1_clEvEUliiiE_EEvS5_RKT_EUlibE0_EEviT1_.has_recursion, 0
	.set _ZN2at6native32elementwise_kernel_manual_unrollILi128ELi4EZNS0_15gpu_kernel_implIZZZNS0_12_GLOBAL__N_117clamp_kernel_implERNS_18TensorIteratorBaseEENKUlvE_clEvENKUlvE1_clEvEUliiiE_EEvS5_RKT_EUlibE0_EEviT1_.has_indirect_call, 0
	.section	.AMDGPU.csdata,"",@progbits
; Kernel info:
; codeLenInByte = 73444
; TotalNumSgprs: 76
; NumVgprs: 34
; ScratchSize: 0
; MemoryBound: 1
; FloatMode: 240
; IeeeMode: 1
; LDSByteSize: 0 bytes/workgroup (compile time only)
; SGPRBlocks: 0
; VGPRBlocks: 2
; NumSGPRsForWavesPerEU: 76
; NumVGPRsForWavesPerEU: 34
; NamedBarCnt: 0
; Occupancy: 16
; WaveLimiterHint : 1
; COMPUTE_PGM_RSRC2:SCRATCH_EN: 0
; COMPUTE_PGM_RSRC2:USER_SGPR: 2
; COMPUTE_PGM_RSRC2:TRAP_HANDLER: 0
; COMPUTE_PGM_RSRC2:TGID_X_EN: 1
; COMPUTE_PGM_RSRC2:TGID_Y_EN: 0
; COMPUTE_PGM_RSRC2:TGID_Z_EN: 0
; COMPUTE_PGM_RSRC2:TIDIG_COMP_CNT: 0
	.section	.text._ZN2at6native29vectorized_elementwise_kernelILi16EZZZNS0_12_GLOBAL__N_117clamp_kernel_implERNS_18TensorIteratorBaseEENKUlvE_clEvENKUlvE2_clEvEUllllE_St5arrayIPcLm4EEEEviT0_T1_,"axG",@progbits,_ZN2at6native29vectorized_elementwise_kernelILi16EZZZNS0_12_GLOBAL__N_117clamp_kernel_implERNS_18TensorIteratorBaseEENKUlvE_clEvENKUlvE2_clEvEUllllE_St5arrayIPcLm4EEEEviT0_T1_,comdat
	.globl	_ZN2at6native29vectorized_elementwise_kernelILi16EZZZNS0_12_GLOBAL__N_117clamp_kernel_implERNS_18TensorIteratorBaseEENKUlvE_clEvENKUlvE2_clEvEUllllE_St5arrayIPcLm4EEEEviT0_T1_ ; -- Begin function _ZN2at6native29vectorized_elementwise_kernelILi16EZZZNS0_12_GLOBAL__N_117clamp_kernel_implERNS_18TensorIteratorBaseEENKUlvE_clEvENKUlvE2_clEvEUllllE_St5arrayIPcLm4EEEEviT0_T1_
	.p2align	8
	.type	_ZN2at6native29vectorized_elementwise_kernelILi16EZZZNS0_12_GLOBAL__N_117clamp_kernel_implERNS_18TensorIteratorBaseEENKUlvE_clEvENKUlvE2_clEvEUllllE_St5arrayIPcLm4EEEEviT0_T1_,@function
_ZN2at6native29vectorized_elementwise_kernelILi16EZZZNS0_12_GLOBAL__N_117clamp_kernel_implERNS_18TensorIteratorBaseEENKUlvE_clEvENKUlvE2_clEvEUllllE_St5arrayIPcLm4EEEEviT0_T1_: ; @_ZN2at6native29vectorized_elementwise_kernelILi16EZZZNS0_12_GLOBAL__N_117clamp_kernel_implERNS_18TensorIteratorBaseEENKUlvE_clEvENKUlvE2_clEvEUllllE_St5arrayIPcLm4EEEEviT0_T1_
; %bb.0:
	s_clause 0x1
	s_load_b32 s3, s[0:1], 0x0
	s_load_b256 s[4:11], s[0:1], 0x8
	s_wait_xcnt 0x0
	s_bfe_u32 s0, ttmp6, 0x4000c
	s_and_b32 s1, ttmp6, 15
	s_add_co_i32 s0, s0, 1
	s_getreg_b32 s2, hwreg(HW_REG_IB_STS2, 6, 4)
	s_mul_i32 s0, ttmp9, s0
	s_delay_alu instid0(SALU_CYCLE_1) | instskip(SKIP_2) | instid1(SALU_CYCLE_1)
	s_add_co_i32 s1, s1, s0
	s_cmp_eq_u32 s2, 0
	s_cselect_b32 s0, ttmp9, s1
	s_lshl_b32 s2, s0, 10
	s_mov_b32 s0, -1
	s_wait_kmcnt 0x0
	s_sub_co_i32 s1, s3, s2
	s_delay_alu instid0(SALU_CYCLE_1)
	s_cmp_gt_i32 s1, 0x3ff
	s_cbranch_scc0 .LBB120_2
; %bb.1:
	s_ashr_i32 s3, s2, 31
	v_lshlrev_b32_e32 v1, 5, v0
	s_lshl_b64 s[12:13], s[2:3], 3
	s_mov_b32 s0, 0
	s_add_nc_u64 s[14:15], s[8:9], s[12:13]
	s_add_nc_u64 s[16:17], s[6:7], s[12:13]
	s_clause 0x3
	global_load_b128 v[2:5], v1, s[14:15]
	global_load_b128 v[6:9], v1, s[16:17]
	global_load_b128 v[10:13], v1, s[16:17] offset:16
	global_load_b128 v[14:17], v1, s[14:15] offset:16
	s_wait_xcnt 0x0
	s_add_nc_u64 s[14:15], s[10:11], s[12:13]
	s_clause 0x1
	global_load_b128 v[18:21], v1, s[14:15]
	global_load_b128 v[22:25], v1, s[14:15] offset:16
	s_add_nc_u64 s[12:13], s[4:5], s[12:13]
	s_wait_loadcnt 0x4
	v_max_i64 v[2:3], v[6:7], v[2:3]
	v_max_i64 v[4:5], v[8:9], v[4:5]
	s_wait_loadcnt 0x2
	v_max_i64 v[6:7], v[10:11], v[14:15]
	v_max_i64 v[8:9], v[12:13], v[16:17]
	s_wait_loadcnt 0x1
	s_delay_alu instid0(VALU_DEP_4) | instskip(NEXT) | instid1(VALU_DEP_4)
	v_min_i64 v[2:3], v[2:3], v[18:19]
	v_min_i64 v[4:5], v[4:5], v[20:21]
	s_wait_loadcnt 0x0
	s_delay_alu instid0(VALU_DEP_4) | instskip(NEXT) | instid1(VALU_DEP_4)
	v_min_i64 v[6:7], v[6:7], v[22:23]
	v_min_i64 v[8:9], v[8:9], v[24:25]
	s_clause 0x1
	global_store_b128 v1, v[2:5], s[12:13]
	global_store_b128 v1, v[6:9], s[12:13] offset:16
.LBB120_2:
	s_and_not1_b32 vcc_lo, exec_lo, s0
	s_cbranch_vccnz .LBB120_14
; %bb.3:
	s_wait_xcnt 0x1
	v_mov_b64_e32 v[2:3], 0
	v_mov_b64_e32 v[4:5], 0
	v_cmp_gt_i32_e32 vcc_lo, s1, v0
	s_wait_xcnt 0x0
	v_dual_mov_b32 v11, v0 :: v_dual_bitop2_b32 v1, s2, v0 bitop3:0x54
	v_or_b32_e32 v10, 0x100, v0
	s_and_saveexec_b32 s0, vcc_lo
	s_cbranch_execz .LBB120_5
; %bb.4:
	s_clause 0x2
	global_load_b64 v[4:5], v1, s[6:7] scale_offset
	global_load_b64 v[6:7], v1, s[8:9] scale_offset
	;; [unrolled: 1-line block ×3, first 2 shown]
	v_or_b32_e32 v11, 0x100, v0
	s_wait_loadcnt 0x1
	v_max_i64 v[4:5], v[4:5], v[6:7]
	s_wait_loadcnt 0x0
	s_delay_alu instid0(VALU_DEP_1)
	v_min_i64 v[4:5], v[4:5], v[8:9]
.LBB120_5:
	s_wait_xcnt 0x0
	s_or_b32 exec_lo, exec_lo, s0
	s_delay_alu instid0(SALU_CYCLE_1)
	s_mov_b32 s3, exec_lo
	v_cmpx_gt_i32_e64 s1, v11
	s_cbranch_execz .LBB120_7
; %bb.6:
	v_add_nc_u32_e32 v12, s2, v11
	v_add_nc_u32_e32 v11, 0x100, v11
	s_clause 0x2
	global_load_b64 v[2:3], v12, s[6:7] scale_offset
	global_load_b64 v[6:7], v12, s[8:9] scale_offset
	;; [unrolled: 1-line block ×3, first 2 shown]
	s_wait_loadcnt 0x1
	v_max_i64 v[2:3], v[2:3], v[6:7]
	s_wait_loadcnt 0x0
	s_delay_alu instid0(VALU_DEP_1)
	v_min_i64 v[2:3], v[2:3], v[8:9]
.LBB120_7:
	s_wait_xcnt 0x0
	s_or_b32 exec_lo, exec_lo, s3
	v_mov_b64_e32 v[6:7], 0
	v_mov_b64_e32 v[8:9], 0
	s_mov_b32 s3, exec_lo
	v_cmpx_gt_i32_e64 s1, v11
	s_cbranch_execnz .LBB120_15
; %bb.8:
	s_or_b32 exec_lo, exec_lo, s3
	s_delay_alu instid0(SALU_CYCLE_1)
	s_mov_b32 s3, exec_lo
	v_cmpx_gt_i32_e64 s1, v11
	s_cbranch_execnz .LBB120_16
.LBB120_9:
	s_or_b32 exec_lo, exec_lo, s3
	s_and_saveexec_b32 s0, vcc_lo
	s_cbranch_execnz .LBB120_17
.LBB120_10:
	s_or_b32 exec_lo, exec_lo, s0
	s_delay_alu instid0(SALU_CYCLE_1)
	s_mov_b32 s0, exec_lo
	v_cmpx_gt_i32_e64 s1, v0
	s_cbranch_execnz .LBB120_18
.LBB120_11:
	s_or_b32 exec_lo, exec_lo, s0
	s_delay_alu instid0(SALU_CYCLE_1)
	s_mov_b32 s0, exec_lo
	v_cmpx_gt_i32_e64 s1, v0
	s_cbranch_execnz .LBB120_19
.LBB120_12:
	s_or_b32 exec_lo, exec_lo, s0
	s_delay_alu instid0(SALU_CYCLE_1)
	s_mov_b32 s0, exec_lo
	v_cmpx_gt_i32_e64 s1, v0
	s_cbranch_execz .LBB120_14
.LBB120_13:
	v_add_nc_u32_e32 v0, s2, v0
	global_store_b64 v0, v[6:7], s[4:5] scale_offset
.LBB120_14:
	s_endpgm
.LBB120_15:
	v_add_nc_u32_e32 v16, s2, v11
	v_add_nc_u32_e32 v11, 0x100, v11
	s_clause 0x2
	global_load_b64 v[8:9], v16, s[6:7] scale_offset
	global_load_b64 v[12:13], v16, s[8:9] scale_offset
	;; [unrolled: 1-line block ×3, first 2 shown]
	s_wait_loadcnt 0x1
	v_max_i64 v[8:9], v[8:9], v[12:13]
	s_wait_loadcnt 0x0
	s_delay_alu instid0(VALU_DEP_1) | instskip(SKIP_2) | instid1(SALU_CYCLE_1)
	v_min_i64 v[8:9], v[8:9], v[14:15]
	s_wait_xcnt 0x0
	s_or_b32 exec_lo, exec_lo, s3
	s_mov_b32 s3, exec_lo
	v_cmpx_gt_i32_e64 s1, v11
	s_cbranch_execz .LBB120_9
.LBB120_16:
	v_add_nc_u32_e32 v11, s2, v11
	s_clause 0x2
	global_load_b64 v[6:7], v11, s[6:7] scale_offset
	global_load_b64 v[12:13], v11, s[8:9] scale_offset
	;; [unrolled: 1-line block ×3, first 2 shown]
	s_wait_loadcnt 0x1
	v_max_i64 v[6:7], v[6:7], v[12:13]
	s_wait_loadcnt 0x0
	s_delay_alu instid0(VALU_DEP_1)
	v_min_i64 v[6:7], v[6:7], v[14:15]
	s_wait_xcnt 0x0
	s_or_b32 exec_lo, exec_lo, s3
	s_and_saveexec_b32 s0, vcc_lo
	s_cbranch_execz .LBB120_10
.LBB120_17:
	v_mov_b32_e32 v0, v10
	global_store_b64 v1, v[4:5], s[4:5] scale_offset
	s_wait_xcnt 0x0
	s_or_b32 exec_lo, exec_lo, s0
	s_delay_alu instid0(SALU_CYCLE_1)
	s_mov_b32 s0, exec_lo
	v_cmpx_gt_i32_e64 s1, v0
	s_cbranch_execz .LBB120_11
.LBB120_18:
	v_add_nc_u32_e32 v1, s2, v0
	v_add_nc_u32_e32 v0, 0x100, v0
	global_store_b64 v1, v[2:3], s[4:5] scale_offset
	s_wait_xcnt 0x0
	s_or_b32 exec_lo, exec_lo, s0
	s_delay_alu instid0(SALU_CYCLE_1)
	s_mov_b32 s0, exec_lo
	v_cmpx_gt_i32_e64 s1, v0
	s_cbranch_execz .LBB120_12
.LBB120_19:
	v_add_nc_u32_e32 v1, s2, v0
	v_add_nc_u32_e32 v0, 0x100, v0
	global_store_b64 v1, v[8:9], s[4:5] scale_offset
	s_wait_xcnt 0x0
	s_or_b32 exec_lo, exec_lo, s0
	s_delay_alu instid0(SALU_CYCLE_1)
	s_mov_b32 s0, exec_lo
	v_cmpx_gt_i32_e64 s1, v0
	s_cbranch_execnz .LBB120_13
	s_branch .LBB120_14
	.section	.rodata,"a",@progbits
	.p2align	6, 0x0
	.amdhsa_kernel _ZN2at6native29vectorized_elementwise_kernelILi16EZZZNS0_12_GLOBAL__N_117clamp_kernel_implERNS_18TensorIteratorBaseEENKUlvE_clEvENKUlvE2_clEvEUllllE_St5arrayIPcLm4EEEEviT0_T1_
		.amdhsa_group_segment_fixed_size 0
		.amdhsa_private_segment_fixed_size 0
		.amdhsa_kernarg_size 40
		.amdhsa_user_sgpr_count 2
		.amdhsa_user_sgpr_dispatch_ptr 0
		.amdhsa_user_sgpr_queue_ptr 0
		.amdhsa_user_sgpr_kernarg_segment_ptr 1
		.amdhsa_user_sgpr_dispatch_id 0
		.amdhsa_user_sgpr_kernarg_preload_length 0
		.amdhsa_user_sgpr_kernarg_preload_offset 0
		.amdhsa_user_sgpr_private_segment_size 0
		.amdhsa_wavefront_size32 1
		.amdhsa_uses_dynamic_stack 0
		.amdhsa_enable_private_segment 0
		.amdhsa_system_sgpr_workgroup_id_x 1
		.amdhsa_system_sgpr_workgroup_id_y 0
		.amdhsa_system_sgpr_workgroup_id_z 0
		.amdhsa_system_sgpr_workgroup_info 0
		.amdhsa_system_vgpr_workitem_id 0
		.amdhsa_next_free_vgpr 26
		.amdhsa_next_free_sgpr 18
		.amdhsa_named_barrier_count 0
		.amdhsa_reserve_vcc 1
		.amdhsa_float_round_mode_32 0
		.amdhsa_float_round_mode_16_64 0
		.amdhsa_float_denorm_mode_32 3
		.amdhsa_float_denorm_mode_16_64 3
		.amdhsa_fp16_overflow 0
		.amdhsa_memory_ordered 1
		.amdhsa_forward_progress 1
		.amdhsa_inst_pref_size 9
		.amdhsa_round_robin_scheduling 0
		.amdhsa_exception_fp_ieee_invalid_op 0
		.amdhsa_exception_fp_denorm_src 0
		.amdhsa_exception_fp_ieee_div_zero 0
		.amdhsa_exception_fp_ieee_overflow 0
		.amdhsa_exception_fp_ieee_underflow 0
		.amdhsa_exception_fp_ieee_inexact 0
		.amdhsa_exception_int_div_zero 0
	.end_amdhsa_kernel
	.section	.text._ZN2at6native29vectorized_elementwise_kernelILi16EZZZNS0_12_GLOBAL__N_117clamp_kernel_implERNS_18TensorIteratorBaseEENKUlvE_clEvENKUlvE2_clEvEUllllE_St5arrayIPcLm4EEEEviT0_T1_,"axG",@progbits,_ZN2at6native29vectorized_elementwise_kernelILi16EZZZNS0_12_GLOBAL__N_117clamp_kernel_implERNS_18TensorIteratorBaseEENKUlvE_clEvENKUlvE2_clEvEUllllE_St5arrayIPcLm4EEEEviT0_T1_,comdat
.Lfunc_end120:
	.size	_ZN2at6native29vectorized_elementwise_kernelILi16EZZZNS0_12_GLOBAL__N_117clamp_kernel_implERNS_18TensorIteratorBaseEENKUlvE_clEvENKUlvE2_clEvEUllllE_St5arrayIPcLm4EEEEviT0_T1_, .Lfunc_end120-_ZN2at6native29vectorized_elementwise_kernelILi16EZZZNS0_12_GLOBAL__N_117clamp_kernel_implERNS_18TensorIteratorBaseEENKUlvE_clEvENKUlvE2_clEvEUllllE_St5arrayIPcLm4EEEEviT0_T1_
                                        ; -- End function
	.set _ZN2at6native29vectorized_elementwise_kernelILi16EZZZNS0_12_GLOBAL__N_117clamp_kernel_implERNS_18TensorIteratorBaseEENKUlvE_clEvENKUlvE2_clEvEUllllE_St5arrayIPcLm4EEEEviT0_T1_.num_vgpr, 26
	.set _ZN2at6native29vectorized_elementwise_kernelILi16EZZZNS0_12_GLOBAL__N_117clamp_kernel_implERNS_18TensorIteratorBaseEENKUlvE_clEvENKUlvE2_clEvEUllllE_St5arrayIPcLm4EEEEviT0_T1_.num_agpr, 0
	.set _ZN2at6native29vectorized_elementwise_kernelILi16EZZZNS0_12_GLOBAL__N_117clamp_kernel_implERNS_18TensorIteratorBaseEENKUlvE_clEvENKUlvE2_clEvEUllllE_St5arrayIPcLm4EEEEviT0_T1_.numbered_sgpr, 18
	.set _ZN2at6native29vectorized_elementwise_kernelILi16EZZZNS0_12_GLOBAL__N_117clamp_kernel_implERNS_18TensorIteratorBaseEENKUlvE_clEvENKUlvE2_clEvEUllllE_St5arrayIPcLm4EEEEviT0_T1_.num_named_barrier, 0
	.set _ZN2at6native29vectorized_elementwise_kernelILi16EZZZNS0_12_GLOBAL__N_117clamp_kernel_implERNS_18TensorIteratorBaseEENKUlvE_clEvENKUlvE2_clEvEUllllE_St5arrayIPcLm4EEEEviT0_T1_.private_seg_size, 0
	.set _ZN2at6native29vectorized_elementwise_kernelILi16EZZZNS0_12_GLOBAL__N_117clamp_kernel_implERNS_18TensorIteratorBaseEENKUlvE_clEvENKUlvE2_clEvEUllllE_St5arrayIPcLm4EEEEviT0_T1_.uses_vcc, 1
	.set _ZN2at6native29vectorized_elementwise_kernelILi16EZZZNS0_12_GLOBAL__N_117clamp_kernel_implERNS_18TensorIteratorBaseEENKUlvE_clEvENKUlvE2_clEvEUllllE_St5arrayIPcLm4EEEEviT0_T1_.uses_flat_scratch, 0
	.set _ZN2at6native29vectorized_elementwise_kernelILi16EZZZNS0_12_GLOBAL__N_117clamp_kernel_implERNS_18TensorIteratorBaseEENKUlvE_clEvENKUlvE2_clEvEUllllE_St5arrayIPcLm4EEEEviT0_T1_.has_dyn_sized_stack, 0
	.set _ZN2at6native29vectorized_elementwise_kernelILi16EZZZNS0_12_GLOBAL__N_117clamp_kernel_implERNS_18TensorIteratorBaseEENKUlvE_clEvENKUlvE2_clEvEUllllE_St5arrayIPcLm4EEEEviT0_T1_.has_recursion, 0
	.set _ZN2at6native29vectorized_elementwise_kernelILi16EZZZNS0_12_GLOBAL__N_117clamp_kernel_implERNS_18TensorIteratorBaseEENKUlvE_clEvENKUlvE2_clEvEUllllE_St5arrayIPcLm4EEEEviT0_T1_.has_indirect_call, 0
	.section	.AMDGPU.csdata,"",@progbits
; Kernel info:
; codeLenInByte = 1072
; TotalNumSgprs: 20
; NumVgprs: 26
; ScratchSize: 0
; MemoryBound: 1
; FloatMode: 240
; IeeeMode: 1
; LDSByteSize: 0 bytes/workgroup (compile time only)
; SGPRBlocks: 0
; VGPRBlocks: 1
; NumSGPRsForWavesPerEU: 20
; NumVGPRsForWavesPerEU: 26
; NamedBarCnt: 0
; Occupancy: 16
; WaveLimiterHint : 0
; COMPUTE_PGM_RSRC2:SCRATCH_EN: 0
; COMPUTE_PGM_RSRC2:USER_SGPR: 2
; COMPUTE_PGM_RSRC2:TRAP_HANDLER: 0
; COMPUTE_PGM_RSRC2:TGID_X_EN: 1
; COMPUTE_PGM_RSRC2:TGID_Y_EN: 0
; COMPUTE_PGM_RSRC2:TGID_Z_EN: 0
; COMPUTE_PGM_RSRC2:TIDIG_COMP_CNT: 0
	.section	.text._ZN2at6native29vectorized_elementwise_kernelILi8EZZZNS0_12_GLOBAL__N_117clamp_kernel_implERNS_18TensorIteratorBaseEENKUlvE_clEvENKUlvE2_clEvEUllllE_St5arrayIPcLm4EEEEviT0_T1_,"axG",@progbits,_ZN2at6native29vectorized_elementwise_kernelILi8EZZZNS0_12_GLOBAL__N_117clamp_kernel_implERNS_18TensorIteratorBaseEENKUlvE_clEvENKUlvE2_clEvEUllllE_St5arrayIPcLm4EEEEviT0_T1_,comdat
	.globl	_ZN2at6native29vectorized_elementwise_kernelILi8EZZZNS0_12_GLOBAL__N_117clamp_kernel_implERNS_18TensorIteratorBaseEENKUlvE_clEvENKUlvE2_clEvEUllllE_St5arrayIPcLm4EEEEviT0_T1_ ; -- Begin function _ZN2at6native29vectorized_elementwise_kernelILi8EZZZNS0_12_GLOBAL__N_117clamp_kernel_implERNS_18TensorIteratorBaseEENKUlvE_clEvENKUlvE2_clEvEUllllE_St5arrayIPcLm4EEEEviT0_T1_
	.p2align	8
	.type	_ZN2at6native29vectorized_elementwise_kernelILi8EZZZNS0_12_GLOBAL__N_117clamp_kernel_implERNS_18TensorIteratorBaseEENKUlvE_clEvENKUlvE2_clEvEUllllE_St5arrayIPcLm4EEEEviT0_T1_,@function
_ZN2at6native29vectorized_elementwise_kernelILi8EZZZNS0_12_GLOBAL__N_117clamp_kernel_implERNS_18TensorIteratorBaseEENKUlvE_clEvENKUlvE2_clEvEUllllE_St5arrayIPcLm4EEEEviT0_T1_: ; @_ZN2at6native29vectorized_elementwise_kernelILi8EZZZNS0_12_GLOBAL__N_117clamp_kernel_implERNS_18TensorIteratorBaseEENKUlvE_clEvENKUlvE2_clEvEUllllE_St5arrayIPcLm4EEEEviT0_T1_
; %bb.0:
	s_clause 0x1
	s_load_b32 s3, s[0:1], 0x0
	s_load_b256 s[4:11], s[0:1], 0x8
	s_wait_xcnt 0x0
	s_bfe_u32 s0, ttmp6, 0x4000c
	s_and_b32 s1, ttmp6, 15
	s_add_co_i32 s0, s0, 1
	s_getreg_b32 s2, hwreg(HW_REG_IB_STS2, 6, 4)
	s_mul_i32 s0, ttmp9, s0
	s_delay_alu instid0(SALU_CYCLE_1) | instskip(SKIP_2) | instid1(SALU_CYCLE_1)
	s_add_co_i32 s1, s1, s0
	s_cmp_eq_u32 s2, 0
	s_cselect_b32 s0, ttmp9, s1
	s_lshl_b32 s2, s0, 10
	s_mov_b32 s0, -1
	s_wait_kmcnt 0x0
	s_sub_co_i32 s1, s3, s2
	s_delay_alu instid0(SALU_CYCLE_1)
	s_cmp_gt_i32 s1, 0x3ff
	s_cbranch_scc0 .LBB121_2
; %bb.1:
	s_ashr_i32 s3, s2, 31
	v_lshlrev_b32_e32 v1, 5, v0
	s_lshl_b64 s[12:13], s[2:3], 3
	s_mov_b32 s0, 0
	s_add_nc_u64 s[14:15], s[8:9], s[12:13]
	s_add_nc_u64 s[16:17], s[6:7], s[12:13]
	s_clause 0x3
	global_load_b128 v[2:5], v1, s[14:15]
	global_load_b128 v[6:9], v1, s[16:17]
	global_load_b128 v[10:13], v1, s[16:17] offset:16
	global_load_b128 v[14:17], v1, s[14:15] offset:16
	s_wait_xcnt 0x0
	s_add_nc_u64 s[14:15], s[10:11], s[12:13]
	s_clause 0x1
	global_load_b128 v[18:21], v1, s[14:15]
	global_load_b128 v[22:25], v1, s[14:15] offset:16
	s_add_nc_u64 s[12:13], s[4:5], s[12:13]
	s_wait_loadcnt 0x4
	v_max_i64 v[2:3], v[6:7], v[2:3]
	v_max_i64 v[4:5], v[8:9], v[4:5]
	s_wait_loadcnt 0x2
	v_max_i64 v[6:7], v[10:11], v[14:15]
	v_max_i64 v[8:9], v[12:13], v[16:17]
	s_wait_loadcnt 0x1
	s_delay_alu instid0(VALU_DEP_4) | instskip(NEXT) | instid1(VALU_DEP_4)
	v_min_i64 v[2:3], v[2:3], v[18:19]
	v_min_i64 v[4:5], v[4:5], v[20:21]
	s_wait_loadcnt 0x0
	s_delay_alu instid0(VALU_DEP_4) | instskip(NEXT) | instid1(VALU_DEP_4)
	v_min_i64 v[6:7], v[6:7], v[22:23]
	v_min_i64 v[8:9], v[8:9], v[24:25]
	s_clause 0x1
	global_store_b128 v1, v[2:5], s[12:13]
	global_store_b128 v1, v[6:9], s[12:13] offset:16
.LBB121_2:
	s_and_not1_b32 vcc_lo, exec_lo, s0
	s_cbranch_vccnz .LBB121_14
; %bb.3:
	s_wait_xcnt 0x1
	v_mov_b64_e32 v[2:3], 0
	v_mov_b64_e32 v[4:5], 0
	v_cmp_gt_i32_e32 vcc_lo, s1, v0
	s_wait_xcnt 0x0
	v_dual_mov_b32 v11, v0 :: v_dual_bitop2_b32 v1, s2, v0 bitop3:0x54
	v_or_b32_e32 v10, 0x100, v0
	s_and_saveexec_b32 s0, vcc_lo
	s_cbranch_execz .LBB121_5
; %bb.4:
	s_clause 0x2
	global_load_b64 v[4:5], v1, s[6:7] scale_offset
	global_load_b64 v[6:7], v1, s[8:9] scale_offset
	;; [unrolled: 1-line block ×3, first 2 shown]
	v_or_b32_e32 v11, 0x100, v0
	s_wait_loadcnt 0x1
	v_max_i64 v[4:5], v[4:5], v[6:7]
	s_wait_loadcnt 0x0
	s_delay_alu instid0(VALU_DEP_1)
	v_min_i64 v[4:5], v[4:5], v[8:9]
.LBB121_5:
	s_wait_xcnt 0x0
	s_or_b32 exec_lo, exec_lo, s0
	s_delay_alu instid0(SALU_CYCLE_1)
	s_mov_b32 s3, exec_lo
	v_cmpx_gt_i32_e64 s1, v11
	s_cbranch_execz .LBB121_7
; %bb.6:
	v_add_nc_u32_e32 v12, s2, v11
	v_add_nc_u32_e32 v11, 0x100, v11
	s_clause 0x2
	global_load_b64 v[2:3], v12, s[6:7] scale_offset
	global_load_b64 v[6:7], v12, s[8:9] scale_offset
	;; [unrolled: 1-line block ×3, first 2 shown]
	s_wait_loadcnt 0x1
	v_max_i64 v[2:3], v[2:3], v[6:7]
	s_wait_loadcnt 0x0
	s_delay_alu instid0(VALU_DEP_1)
	v_min_i64 v[2:3], v[2:3], v[8:9]
.LBB121_7:
	s_wait_xcnt 0x0
	s_or_b32 exec_lo, exec_lo, s3
	v_mov_b64_e32 v[6:7], 0
	v_mov_b64_e32 v[8:9], 0
	s_mov_b32 s3, exec_lo
	v_cmpx_gt_i32_e64 s1, v11
	s_cbranch_execnz .LBB121_15
; %bb.8:
	s_or_b32 exec_lo, exec_lo, s3
	s_delay_alu instid0(SALU_CYCLE_1)
	s_mov_b32 s3, exec_lo
	v_cmpx_gt_i32_e64 s1, v11
	s_cbranch_execnz .LBB121_16
.LBB121_9:
	s_or_b32 exec_lo, exec_lo, s3
	s_and_saveexec_b32 s0, vcc_lo
	s_cbranch_execnz .LBB121_17
.LBB121_10:
	s_or_b32 exec_lo, exec_lo, s0
	s_delay_alu instid0(SALU_CYCLE_1)
	s_mov_b32 s0, exec_lo
	v_cmpx_gt_i32_e64 s1, v0
	s_cbranch_execnz .LBB121_18
.LBB121_11:
	s_or_b32 exec_lo, exec_lo, s0
	s_delay_alu instid0(SALU_CYCLE_1)
	s_mov_b32 s0, exec_lo
	v_cmpx_gt_i32_e64 s1, v0
	s_cbranch_execnz .LBB121_19
.LBB121_12:
	s_or_b32 exec_lo, exec_lo, s0
	s_delay_alu instid0(SALU_CYCLE_1)
	s_mov_b32 s0, exec_lo
	v_cmpx_gt_i32_e64 s1, v0
	s_cbranch_execz .LBB121_14
.LBB121_13:
	v_add_nc_u32_e32 v0, s2, v0
	global_store_b64 v0, v[6:7], s[4:5] scale_offset
.LBB121_14:
	s_endpgm
.LBB121_15:
	v_add_nc_u32_e32 v16, s2, v11
	v_add_nc_u32_e32 v11, 0x100, v11
	s_clause 0x2
	global_load_b64 v[8:9], v16, s[6:7] scale_offset
	global_load_b64 v[12:13], v16, s[8:9] scale_offset
	;; [unrolled: 1-line block ×3, first 2 shown]
	s_wait_loadcnt 0x1
	v_max_i64 v[8:9], v[8:9], v[12:13]
	s_wait_loadcnt 0x0
	s_delay_alu instid0(VALU_DEP_1) | instskip(SKIP_2) | instid1(SALU_CYCLE_1)
	v_min_i64 v[8:9], v[8:9], v[14:15]
	s_wait_xcnt 0x0
	s_or_b32 exec_lo, exec_lo, s3
	s_mov_b32 s3, exec_lo
	v_cmpx_gt_i32_e64 s1, v11
	s_cbranch_execz .LBB121_9
.LBB121_16:
	v_add_nc_u32_e32 v11, s2, v11
	s_clause 0x2
	global_load_b64 v[6:7], v11, s[6:7] scale_offset
	global_load_b64 v[12:13], v11, s[8:9] scale_offset
	;; [unrolled: 1-line block ×3, first 2 shown]
	s_wait_loadcnt 0x1
	v_max_i64 v[6:7], v[6:7], v[12:13]
	s_wait_loadcnt 0x0
	s_delay_alu instid0(VALU_DEP_1)
	v_min_i64 v[6:7], v[6:7], v[14:15]
	s_wait_xcnt 0x0
	s_or_b32 exec_lo, exec_lo, s3
	s_and_saveexec_b32 s0, vcc_lo
	s_cbranch_execz .LBB121_10
.LBB121_17:
	v_mov_b32_e32 v0, v10
	global_store_b64 v1, v[4:5], s[4:5] scale_offset
	s_wait_xcnt 0x0
	s_or_b32 exec_lo, exec_lo, s0
	s_delay_alu instid0(SALU_CYCLE_1)
	s_mov_b32 s0, exec_lo
	v_cmpx_gt_i32_e64 s1, v0
	s_cbranch_execz .LBB121_11
.LBB121_18:
	v_add_nc_u32_e32 v1, s2, v0
	v_add_nc_u32_e32 v0, 0x100, v0
	global_store_b64 v1, v[2:3], s[4:5] scale_offset
	s_wait_xcnt 0x0
	s_or_b32 exec_lo, exec_lo, s0
	s_delay_alu instid0(SALU_CYCLE_1)
	s_mov_b32 s0, exec_lo
	v_cmpx_gt_i32_e64 s1, v0
	s_cbranch_execz .LBB121_12
.LBB121_19:
	v_add_nc_u32_e32 v1, s2, v0
	v_add_nc_u32_e32 v0, 0x100, v0
	global_store_b64 v1, v[8:9], s[4:5] scale_offset
	s_wait_xcnt 0x0
	s_or_b32 exec_lo, exec_lo, s0
	s_delay_alu instid0(SALU_CYCLE_1)
	s_mov_b32 s0, exec_lo
	v_cmpx_gt_i32_e64 s1, v0
	s_cbranch_execnz .LBB121_13
	s_branch .LBB121_14
	.section	.rodata,"a",@progbits
	.p2align	6, 0x0
	.amdhsa_kernel _ZN2at6native29vectorized_elementwise_kernelILi8EZZZNS0_12_GLOBAL__N_117clamp_kernel_implERNS_18TensorIteratorBaseEENKUlvE_clEvENKUlvE2_clEvEUllllE_St5arrayIPcLm4EEEEviT0_T1_
		.amdhsa_group_segment_fixed_size 0
		.amdhsa_private_segment_fixed_size 0
		.amdhsa_kernarg_size 40
		.amdhsa_user_sgpr_count 2
		.amdhsa_user_sgpr_dispatch_ptr 0
		.amdhsa_user_sgpr_queue_ptr 0
		.amdhsa_user_sgpr_kernarg_segment_ptr 1
		.amdhsa_user_sgpr_dispatch_id 0
		.amdhsa_user_sgpr_kernarg_preload_length 0
		.amdhsa_user_sgpr_kernarg_preload_offset 0
		.amdhsa_user_sgpr_private_segment_size 0
		.amdhsa_wavefront_size32 1
		.amdhsa_uses_dynamic_stack 0
		.amdhsa_enable_private_segment 0
		.amdhsa_system_sgpr_workgroup_id_x 1
		.amdhsa_system_sgpr_workgroup_id_y 0
		.amdhsa_system_sgpr_workgroup_id_z 0
		.amdhsa_system_sgpr_workgroup_info 0
		.amdhsa_system_vgpr_workitem_id 0
		.amdhsa_next_free_vgpr 26
		.amdhsa_next_free_sgpr 18
		.amdhsa_named_barrier_count 0
		.amdhsa_reserve_vcc 1
		.amdhsa_float_round_mode_32 0
		.amdhsa_float_round_mode_16_64 0
		.amdhsa_float_denorm_mode_32 3
		.amdhsa_float_denorm_mode_16_64 3
		.amdhsa_fp16_overflow 0
		.amdhsa_memory_ordered 1
		.amdhsa_forward_progress 1
		.amdhsa_inst_pref_size 9
		.amdhsa_round_robin_scheduling 0
		.amdhsa_exception_fp_ieee_invalid_op 0
		.amdhsa_exception_fp_denorm_src 0
		.amdhsa_exception_fp_ieee_div_zero 0
		.amdhsa_exception_fp_ieee_overflow 0
		.amdhsa_exception_fp_ieee_underflow 0
		.amdhsa_exception_fp_ieee_inexact 0
		.amdhsa_exception_int_div_zero 0
	.end_amdhsa_kernel
	.section	.text._ZN2at6native29vectorized_elementwise_kernelILi8EZZZNS0_12_GLOBAL__N_117clamp_kernel_implERNS_18TensorIteratorBaseEENKUlvE_clEvENKUlvE2_clEvEUllllE_St5arrayIPcLm4EEEEviT0_T1_,"axG",@progbits,_ZN2at6native29vectorized_elementwise_kernelILi8EZZZNS0_12_GLOBAL__N_117clamp_kernel_implERNS_18TensorIteratorBaseEENKUlvE_clEvENKUlvE2_clEvEUllllE_St5arrayIPcLm4EEEEviT0_T1_,comdat
.Lfunc_end121:
	.size	_ZN2at6native29vectorized_elementwise_kernelILi8EZZZNS0_12_GLOBAL__N_117clamp_kernel_implERNS_18TensorIteratorBaseEENKUlvE_clEvENKUlvE2_clEvEUllllE_St5arrayIPcLm4EEEEviT0_T1_, .Lfunc_end121-_ZN2at6native29vectorized_elementwise_kernelILi8EZZZNS0_12_GLOBAL__N_117clamp_kernel_implERNS_18TensorIteratorBaseEENKUlvE_clEvENKUlvE2_clEvEUllllE_St5arrayIPcLm4EEEEviT0_T1_
                                        ; -- End function
	.set _ZN2at6native29vectorized_elementwise_kernelILi8EZZZNS0_12_GLOBAL__N_117clamp_kernel_implERNS_18TensorIteratorBaseEENKUlvE_clEvENKUlvE2_clEvEUllllE_St5arrayIPcLm4EEEEviT0_T1_.num_vgpr, 26
	.set _ZN2at6native29vectorized_elementwise_kernelILi8EZZZNS0_12_GLOBAL__N_117clamp_kernel_implERNS_18TensorIteratorBaseEENKUlvE_clEvENKUlvE2_clEvEUllllE_St5arrayIPcLm4EEEEviT0_T1_.num_agpr, 0
	.set _ZN2at6native29vectorized_elementwise_kernelILi8EZZZNS0_12_GLOBAL__N_117clamp_kernel_implERNS_18TensorIteratorBaseEENKUlvE_clEvENKUlvE2_clEvEUllllE_St5arrayIPcLm4EEEEviT0_T1_.numbered_sgpr, 18
	.set _ZN2at6native29vectorized_elementwise_kernelILi8EZZZNS0_12_GLOBAL__N_117clamp_kernel_implERNS_18TensorIteratorBaseEENKUlvE_clEvENKUlvE2_clEvEUllllE_St5arrayIPcLm4EEEEviT0_T1_.num_named_barrier, 0
	.set _ZN2at6native29vectorized_elementwise_kernelILi8EZZZNS0_12_GLOBAL__N_117clamp_kernel_implERNS_18TensorIteratorBaseEENKUlvE_clEvENKUlvE2_clEvEUllllE_St5arrayIPcLm4EEEEviT0_T1_.private_seg_size, 0
	.set _ZN2at6native29vectorized_elementwise_kernelILi8EZZZNS0_12_GLOBAL__N_117clamp_kernel_implERNS_18TensorIteratorBaseEENKUlvE_clEvENKUlvE2_clEvEUllllE_St5arrayIPcLm4EEEEviT0_T1_.uses_vcc, 1
	.set _ZN2at6native29vectorized_elementwise_kernelILi8EZZZNS0_12_GLOBAL__N_117clamp_kernel_implERNS_18TensorIteratorBaseEENKUlvE_clEvENKUlvE2_clEvEUllllE_St5arrayIPcLm4EEEEviT0_T1_.uses_flat_scratch, 0
	.set _ZN2at6native29vectorized_elementwise_kernelILi8EZZZNS0_12_GLOBAL__N_117clamp_kernel_implERNS_18TensorIteratorBaseEENKUlvE_clEvENKUlvE2_clEvEUllllE_St5arrayIPcLm4EEEEviT0_T1_.has_dyn_sized_stack, 0
	.set _ZN2at6native29vectorized_elementwise_kernelILi8EZZZNS0_12_GLOBAL__N_117clamp_kernel_implERNS_18TensorIteratorBaseEENKUlvE_clEvENKUlvE2_clEvEUllllE_St5arrayIPcLm4EEEEviT0_T1_.has_recursion, 0
	.set _ZN2at6native29vectorized_elementwise_kernelILi8EZZZNS0_12_GLOBAL__N_117clamp_kernel_implERNS_18TensorIteratorBaseEENKUlvE_clEvENKUlvE2_clEvEUllllE_St5arrayIPcLm4EEEEviT0_T1_.has_indirect_call, 0
	.section	.AMDGPU.csdata,"",@progbits
; Kernel info:
; codeLenInByte = 1072
; TotalNumSgprs: 20
; NumVgprs: 26
; ScratchSize: 0
; MemoryBound: 1
; FloatMode: 240
; IeeeMode: 1
; LDSByteSize: 0 bytes/workgroup (compile time only)
; SGPRBlocks: 0
; VGPRBlocks: 1
; NumSGPRsForWavesPerEU: 20
; NumVGPRsForWavesPerEU: 26
; NamedBarCnt: 0
; Occupancy: 16
; WaveLimiterHint : 0
; COMPUTE_PGM_RSRC2:SCRATCH_EN: 0
; COMPUTE_PGM_RSRC2:USER_SGPR: 2
; COMPUTE_PGM_RSRC2:TRAP_HANDLER: 0
; COMPUTE_PGM_RSRC2:TGID_X_EN: 1
; COMPUTE_PGM_RSRC2:TGID_Y_EN: 0
; COMPUTE_PGM_RSRC2:TGID_Z_EN: 0
; COMPUTE_PGM_RSRC2:TIDIG_COMP_CNT: 0
	.section	.text._ZN2at6native29vectorized_elementwise_kernelILi4EZZZNS0_12_GLOBAL__N_117clamp_kernel_implERNS_18TensorIteratorBaseEENKUlvE_clEvENKUlvE2_clEvEUllllE_St5arrayIPcLm4EEEEviT0_T1_,"axG",@progbits,_ZN2at6native29vectorized_elementwise_kernelILi4EZZZNS0_12_GLOBAL__N_117clamp_kernel_implERNS_18TensorIteratorBaseEENKUlvE_clEvENKUlvE2_clEvEUllllE_St5arrayIPcLm4EEEEviT0_T1_,comdat
	.globl	_ZN2at6native29vectorized_elementwise_kernelILi4EZZZNS0_12_GLOBAL__N_117clamp_kernel_implERNS_18TensorIteratorBaseEENKUlvE_clEvENKUlvE2_clEvEUllllE_St5arrayIPcLm4EEEEviT0_T1_ ; -- Begin function _ZN2at6native29vectorized_elementwise_kernelILi4EZZZNS0_12_GLOBAL__N_117clamp_kernel_implERNS_18TensorIteratorBaseEENKUlvE_clEvENKUlvE2_clEvEUllllE_St5arrayIPcLm4EEEEviT0_T1_
	.p2align	8
	.type	_ZN2at6native29vectorized_elementwise_kernelILi4EZZZNS0_12_GLOBAL__N_117clamp_kernel_implERNS_18TensorIteratorBaseEENKUlvE_clEvENKUlvE2_clEvEUllllE_St5arrayIPcLm4EEEEviT0_T1_,@function
_ZN2at6native29vectorized_elementwise_kernelILi4EZZZNS0_12_GLOBAL__N_117clamp_kernel_implERNS_18TensorIteratorBaseEENKUlvE_clEvENKUlvE2_clEvEUllllE_St5arrayIPcLm4EEEEviT0_T1_: ; @_ZN2at6native29vectorized_elementwise_kernelILi4EZZZNS0_12_GLOBAL__N_117clamp_kernel_implERNS_18TensorIteratorBaseEENKUlvE_clEvENKUlvE2_clEvEUllllE_St5arrayIPcLm4EEEEviT0_T1_
; %bb.0:
	s_clause 0x1
	s_load_b32 s3, s[0:1], 0x0
	s_load_b256 s[4:11], s[0:1], 0x8
	s_wait_xcnt 0x0
	s_bfe_u32 s0, ttmp6, 0x4000c
	s_and_b32 s1, ttmp6, 15
	s_add_co_i32 s0, s0, 1
	s_getreg_b32 s2, hwreg(HW_REG_IB_STS2, 6, 4)
	s_mul_i32 s0, ttmp9, s0
	s_delay_alu instid0(SALU_CYCLE_1) | instskip(SKIP_2) | instid1(SALU_CYCLE_1)
	s_add_co_i32 s1, s1, s0
	s_cmp_eq_u32 s2, 0
	s_cselect_b32 s0, ttmp9, s1
	s_lshl_b32 s2, s0, 10
	s_mov_b32 s0, -1
	s_wait_kmcnt 0x0
	s_sub_co_i32 s1, s3, s2
	s_delay_alu instid0(SALU_CYCLE_1)
	s_cmp_gt_i32 s1, 0x3ff
	s_cbranch_scc0 .LBB122_2
; %bb.1:
	s_ashr_i32 s3, s2, 31
	v_lshlrev_b32_e32 v1, 5, v0
	s_lshl_b64 s[12:13], s[2:3], 3
	s_mov_b32 s0, 0
	s_add_nc_u64 s[14:15], s[8:9], s[12:13]
	s_add_nc_u64 s[16:17], s[6:7], s[12:13]
	s_clause 0x3
	global_load_b128 v[2:5], v1, s[14:15]
	global_load_b128 v[6:9], v1, s[16:17]
	global_load_b128 v[10:13], v1, s[16:17] offset:16
	global_load_b128 v[14:17], v1, s[14:15] offset:16
	s_wait_xcnt 0x0
	s_add_nc_u64 s[14:15], s[10:11], s[12:13]
	s_clause 0x1
	global_load_b128 v[18:21], v1, s[14:15]
	global_load_b128 v[22:25], v1, s[14:15] offset:16
	s_add_nc_u64 s[12:13], s[4:5], s[12:13]
	s_wait_loadcnt 0x4
	v_max_i64 v[2:3], v[6:7], v[2:3]
	v_max_i64 v[4:5], v[8:9], v[4:5]
	s_wait_loadcnt 0x2
	v_max_i64 v[6:7], v[10:11], v[14:15]
	v_max_i64 v[8:9], v[12:13], v[16:17]
	s_wait_loadcnt 0x1
	s_delay_alu instid0(VALU_DEP_4) | instskip(NEXT) | instid1(VALU_DEP_4)
	v_min_i64 v[2:3], v[2:3], v[18:19]
	v_min_i64 v[4:5], v[4:5], v[20:21]
	s_wait_loadcnt 0x0
	s_delay_alu instid0(VALU_DEP_4) | instskip(NEXT) | instid1(VALU_DEP_4)
	v_min_i64 v[6:7], v[6:7], v[22:23]
	v_min_i64 v[8:9], v[8:9], v[24:25]
	s_clause 0x1
	global_store_b128 v1, v[2:5], s[12:13]
	global_store_b128 v1, v[6:9], s[12:13] offset:16
.LBB122_2:
	s_and_not1_b32 vcc_lo, exec_lo, s0
	s_cbranch_vccnz .LBB122_14
; %bb.3:
	s_wait_xcnt 0x1
	v_mov_b64_e32 v[2:3], 0
	v_mov_b64_e32 v[4:5], 0
	v_cmp_gt_i32_e32 vcc_lo, s1, v0
	s_wait_xcnt 0x0
	v_dual_mov_b32 v11, v0 :: v_dual_bitop2_b32 v1, s2, v0 bitop3:0x54
	v_or_b32_e32 v10, 0x100, v0
	s_and_saveexec_b32 s0, vcc_lo
	s_cbranch_execz .LBB122_5
; %bb.4:
	s_clause 0x2
	global_load_b64 v[4:5], v1, s[6:7] scale_offset
	global_load_b64 v[6:7], v1, s[8:9] scale_offset
	;; [unrolled: 1-line block ×3, first 2 shown]
	v_or_b32_e32 v11, 0x100, v0
	s_wait_loadcnt 0x1
	v_max_i64 v[4:5], v[4:5], v[6:7]
	s_wait_loadcnt 0x0
	s_delay_alu instid0(VALU_DEP_1)
	v_min_i64 v[4:5], v[4:5], v[8:9]
.LBB122_5:
	s_wait_xcnt 0x0
	s_or_b32 exec_lo, exec_lo, s0
	s_delay_alu instid0(SALU_CYCLE_1)
	s_mov_b32 s3, exec_lo
	v_cmpx_gt_i32_e64 s1, v11
	s_cbranch_execz .LBB122_7
; %bb.6:
	v_add_nc_u32_e32 v12, s2, v11
	v_add_nc_u32_e32 v11, 0x100, v11
	s_clause 0x2
	global_load_b64 v[2:3], v12, s[6:7] scale_offset
	global_load_b64 v[6:7], v12, s[8:9] scale_offset
	;; [unrolled: 1-line block ×3, first 2 shown]
	s_wait_loadcnt 0x1
	v_max_i64 v[2:3], v[2:3], v[6:7]
	s_wait_loadcnt 0x0
	s_delay_alu instid0(VALU_DEP_1)
	v_min_i64 v[2:3], v[2:3], v[8:9]
.LBB122_7:
	s_wait_xcnt 0x0
	s_or_b32 exec_lo, exec_lo, s3
	v_mov_b64_e32 v[6:7], 0
	v_mov_b64_e32 v[8:9], 0
	s_mov_b32 s3, exec_lo
	v_cmpx_gt_i32_e64 s1, v11
	s_cbranch_execnz .LBB122_15
; %bb.8:
	s_or_b32 exec_lo, exec_lo, s3
	s_delay_alu instid0(SALU_CYCLE_1)
	s_mov_b32 s3, exec_lo
	v_cmpx_gt_i32_e64 s1, v11
	s_cbranch_execnz .LBB122_16
.LBB122_9:
	s_or_b32 exec_lo, exec_lo, s3
	s_and_saveexec_b32 s0, vcc_lo
	s_cbranch_execnz .LBB122_17
.LBB122_10:
	s_or_b32 exec_lo, exec_lo, s0
	s_delay_alu instid0(SALU_CYCLE_1)
	s_mov_b32 s0, exec_lo
	v_cmpx_gt_i32_e64 s1, v0
	s_cbranch_execnz .LBB122_18
.LBB122_11:
	s_or_b32 exec_lo, exec_lo, s0
	s_delay_alu instid0(SALU_CYCLE_1)
	s_mov_b32 s0, exec_lo
	v_cmpx_gt_i32_e64 s1, v0
	s_cbranch_execnz .LBB122_19
.LBB122_12:
	s_or_b32 exec_lo, exec_lo, s0
	s_delay_alu instid0(SALU_CYCLE_1)
	s_mov_b32 s0, exec_lo
	v_cmpx_gt_i32_e64 s1, v0
	s_cbranch_execz .LBB122_14
.LBB122_13:
	v_add_nc_u32_e32 v0, s2, v0
	global_store_b64 v0, v[6:7], s[4:5] scale_offset
.LBB122_14:
	s_endpgm
.LBB122_15:
	v_add_nc_u32_e32 v16, s2, v11
	v_add_nc_u32_e32 v11, 0x100, v11
	s_clause 0x2
	global_load_b64 v[8:9], v16, s[6:7] scale_offset
	global_load_b64 v[12:13], v16, s[8:9] scale_offset
	global_load_b64 v[14:15], v16, s[10:11] scale_offset
	s_wait_loadcnt 0x1
	v_max_i64 v[8:9], v[8:9], v[12:13]
	s_wait_loadcnt 0x0
	s_delay_alu instid0(VALU_DEP_1) | instskip(SKIP_2) | instid1(SALU_CYCLE_1)
	v_min_i64 v[8:9], v[8:9], v[14:15]
	s_wait_xcnt 0x0
	s_or_b32 exec_lo, exec_lo, s3
	s_mov_b32 s3, exec_lo
	v_cmpx_gt_i32_e64 s1, v11
	s_cbranch_execz .LBB122_9
.LBB122_16:
	v_add_nc_u32_e32 v11, s2, v11
	s_clause 0x2
	global_load_b64 v[6:7], v11, s[6:7] scale_offset
	global_load_b64 v[12:13], v11, s[8:9] scale_offset
	;; [unrolled: 1-line block ×3, first 2 shown]
	s_wait_loadcnt 0x1
	v_max_i64 v[6:7], v[6:7], v[12:13]
	s_wait_loadcnt 0x0
	s_delay_alu instid0(VALU_DEP_1)
	v_min_i64 v[6:7], v[6:7], v[14:15]
	s_wait_xcnt 0x0
	s_or_b32 exec_lo, exec_lo, s3
	s_and_saveexec_b32 s0, vcc_lo
	s_cbranch_execz .LBB122_10
.LBB122_17:
	v_mov_b32_e32 v0, v10
	global_store_b64 v1, v[4:5], s[4:5] scale_offset
	s_wait_xcnt 0x0
	s_or_b32 exec_lo, exec_lo, s0
	s_delay_alu instid0(SALU_CYCLE_1)
	s_mov_b32 s0, exec_lo
	v_cmpx_gt_i32_e64 s1, v0
	s_cbranch_execz .LBB122_11
.LBB122_18:
	v_add_nc_u32_e32 v1, s2, v0
	v_add_nc_u32_e32 v0, 0x100, v0
	global_store_b64 v1, v[2:3], s[4:5] scale_offset
	s_wait_xcnt 0x0
	s_or_b32 exec_lo, exec_lo, s0
	s_delay_alu instid0(SALU_CYCLE_1)
	s_mov_b32 s0, exec_lo
	v_cmpx_gt_i32_e64 s1, v0
	s_cbranch_execz .LBB122_12
.LBB122_19:
	v_add_nc_u32_e32 v1, s2, v0
	v_add_nc_u32_e32 v0, 0x100, v0
	global_store_b64 v1, v[8:9], s[4:5] scale_offset
	s_wait_xcnt 0x0
	s_or_b32 exec_lo, exec_lo, s0
	s_delay_alu instid0(SALU_CYCLE_1)
	s_mov_b32 s0, exec_lo
	v_cmpx_gt_i32_e64 s1, v0
	s_cbranch_execnz .LBB122_13
	s_branch .LBB122_14
	.section	.rodata,"a",@progbits
	.p2align	6, 0x0
	.amdhsa_kernel _ZN2at6native29vectorized_elementwise_kernelILi4EZZZNS0_12_GLOBAL__N_117clamp_kernel_implERNS_18TensorIteratorBaseEENKUlvE_clEvENKUlvE2_clEvEUllllE_St5arrayIPcLm4EEEEviT0_T1_
		.amdhsa_group_segment_fixed_size 0
		.amdhsa_private_segment_fixed_size 0
		.amdhsa_kernarg_size 40
		.amdhsa_user_sgpr_count 2
		.amdhsa_user_sgpr_dispatch_ptr 0
		.amdhsa_user_sgpr_queue_ptr 0
		.amdhsa_user_sgpr_kernarg_segment_ptr 1
		.amdhsa_user_sgpr_dispatch_id 0
		.amdhsa_user_sgpr_kernarg_preload_length 0
		.amdhsa_user_sgpr_kernarg_preload_offset 0
		.amdhsa_user_sgpr_private_segment_size 0
		.amdhsa_wavefront_size32 1
		.amdhsa_uses_dynamic_stack 0
		.amdhsa_enable_private_segment 0
		.amdhsa_system_sgpr_workgroup_id_x 1
		.amdhsa_system_sgpr_workgroup_id_y 0
		.amdhsa_system_sgpr_workgroup_id_z 0
		.amdhsa_system_sgpr_workgroup_info 0
		.amdhsa_system_vgpr_workitem_id 0
		.amdhsa_next_free_vgpr 26
		.amdhsa_next_free_sgpr 18
		.amdhsa_named_barrier_count 0
		.amdhsa_reserve_vcc 1
		.amdhsa_float_round_mode_32 0
		.amdhsa_float_round_mode_16_64 0
		.amdhsa_float_denorm_mode_32 3
		.amdhsa_float_denorm_mode_16_64 3
		.amdhsa_fp16_overflow 0
		.amdhsa_memory_ordered 1
		.amdhsa_forward_progress 1
		.amdhsa_inst_pref_size 9
		.amdhsa_round_robin_scheduling 0
		.amdhsa_exception_fp_ieee_invalid_op 0
		.amdhsa_exception_fp_denorm_src 0
		.amdhsa_exception_fp_ieee_div_zero 0
		.amdhsa_exception_fp_ieee_overflow 0
		.amdhsa_exception_fp_ieee_underflow 0
		.amdhsa_exception_fp_ieee_inexact 0
		.amdhsa_exception_int_div_zero 0
	.end_amdhsa_kernel
	.section	.text._ZN2at6native29vectorized_elementwise_kernelILi4EZZZNS0_12_GLOBAL__N_117clamp_kernel_implERNS_18TensorIteratorBaseEENKUlvE_clEvENKUlvE2_clEvEUllllE_St5arrayIPcLm4EEEEviT0_T1_,"axG",@progbits,_ZN2at6native29vectorized_elementwise_kernelILi4EZZZNS0_12_GLOBAL__N_117clamp_kernel_implERNS_18TensorIteratorBaseEENKUlvE_clEvENKUlvE2_clEvEUllllE_St5arrayIPcLm4EEEEviT0_T1_,comdat
.Lfunc_end122:
	.size	_ZN2at6native29vectorized_elementwise_kernelILi4EZZZNS0_12_GLOBAL__N_117clamp_kernel_implERNS_18TensorIteratorBaseEENKUlvE_clEvENKUlvE2_clEvEUllllE_St5arrayIPcLm4EEEEviT0_T1_, .Lfunc_end122-_ZN2at6native29vectorized_elementwise_kernelILi4EZZZNS0_12_GLOBAL__N_117clamp_kernel_implERNS_18TensorIteratorBaseEENKUlvE_clEvENKUlvE2_clEvEUllllE_St5arrayIPcLm4EEEEviT0_T1_
                                        ; -- End function
	.set _ZN2at6native29vectorized_elementwise_kernelILi4EZZZNS0_12_GLOBAL__N_117clamp_kernel_implERNS_18TensorIteratorBaseEENKUlvE_clEvENKUlvE2_clEvEUllllE_St5arrayIPcLm4EEEEviT0_T1_.num_vgpr, 26
	.set _ZN2at6native29vectorized_elementwise_kernelILi4EZZZNS0_12_GLOBAL__N_117clamp_kernel_implERNS_18TensorIteratorBaseEENKUlvE_clEvENKUlvE2_clEvEUllllE_St5arrayIPcLm4EEEEviT0_T1_.num_agpr, 0
	.set _ZN2at6native29vectorized_elementwise_kernelILi4EZZZNS0_12_GLOBAL__N_117clamp_kernel_implERNS_18TensorIteratorBaseEENKUlvE_clEvENKUlvE2_clEvEUllllE_St5arrayIPcLm4EEEEviT0_T1_.numbered_sgpr, 18
	.set _ZN2at6native29vectorized_elementwise_kernelILi4EZZZNS0_12_GLOBAL__N_117clamp_kernel_implERNS_18TensorIteratorBaseEENKUlvE_clEvENKUlvE2_clEvEUllllE_St5arrayIPcLm4EEEEviT0_T1_.num_named_barrier, 0
	.set _ZN2at6native29vectorized_elementwise_kernelILi4EZZZNS0_12_GLOBAL__N_117clamp_kernel_implERNS_18TensorIteratorBaseEENKUlvE_clEvENKUlvE2_clEvEUllllE_St5arrayIPcLm4EEEEviT0_T1_.private_seg_size, 0
	.set _ZN2at6native29vectorized_elementwise_kernelILi4EZZZNS0_12_GLOBAL__N_117clamp_kernel_implERNS_18TensorIteratorBaseEENKUlvE_clEvENKUlvE2_clEvEUllllE_St5arrayIPcLm4EEEEviT0_T1_.uses_vcc, 1
	.set _ZN2at6native29vectorized_elementwise_kernelILi4EZZZNS0_12_GLOBAL__N_117clamp_kernel_implERNS_18TensorIteratorBaseEENKUlvE_clEvENKUlvE2_clEvEUllllE_St5arrayIPcLm4EEEEviT0_T1_.uses_flat_scratch, 0
	.set _ZN2at6native29vectorized_elementwise_kernelILi4EZZZNS0_12_GLOBAL__N_117clamp_kernel_implERNS_18TensorIteratorBaseEENKUlvE_clEvENKUlvE2_clEvEUllllE_St5arrayIPcLm4EEEEviT0_T1_.has_dyn_sized_stack, 0
	.set _ZN2at6native29vectorized_elementwise_kernelILi4EZZZNS0_12_GLOBAL__N_117clamp_kernel_implERNS_18TensorIteratorBaseEENKUlvE_clEvENKUlvE2_clEvEUllllE_St5arrayIPcLm4EEEEviT0_T1_.has_recursion, 0
	.set _ZN2at6native29vectorized_elementwise_kernelILi4EZZZNS0_12_GLOBAL__N_117clamp_kernel_implERNS_18TensorIteratorBaseEENKUlvE_clEvENKUlvE2_clEvEUllllE_St5arrayIPcLm4EEEEviT0_T1_.has_indirect_call, 0
	.section	.AMDGPU.csdata,"",@progbits
; Kernel info:
; codeLenInByte = 1072
; TotalNumSgprs: 20
; NumVgprs: 26
; ScratchSize: 0
; MemoryBound: 1
; FloatMode: 240
; IeeeMode: 1
; LDSByteSize: 0 bytes/workgroup (compile time only)
; SGPRBlocks: 0
; VGPRBlocks: 1
; NumSGPRsForWavesPerEU: 20
; NumVGPRsForWavesPerEU: 26
; NamedBarCnt: 0
; Occupancy: 16
; WaveLimiterHint : 0
; COMPUTE_PGM_RSRC2:SCRATCH_EN: 0
; COMPUTE_PGM_RSRC2:USER_SGPR: 2
; COMPUTE_PGM_RSRC2:TRAP_HANDLER: 0
; COMPUTE_PGM_RSRC2:TGID_X_EN: 1
; COMPUTE_PGM_RSRC2:TGID_Y_EN: 0
; COMPUTE_PGM_RSRC2:TGID_Z_EN: 0
; COMPUTE_PGM_RSRC2:TIDIG_COMP_CNT: 0
	.section	.text._ZN2at6native29vectorized_elementwise_kernelILi2EZZZNS0_12_GLOBAL__N_117clamp_kernel_implERNS_18TensorIteratorBaseEENKUlvE_clEvENKUlvE2_clEvEUllllE_St5arrayIPcLm4EEEEviT0_T1_,"axG",@progbits,_ZN2at6native29vectorized_elementwise_kernelILi2EZZZNS0_12_GLOBAL__N_117clamp_kernel_implERNS_18TensorIteratorBaseEENKUlvE_clEvENKUlvE2_clEvEUllllE_St5arrayIPcLm4EEEEviT0_T1_,comdat
	.globl	_ZN2at6native29vectorized_elementwise_kernelILi2EZZZNS0_12_GLOBAL__N_117clamp_kernel_implERNS_18TensorIteratorBaseEENKUlvE_clEvENKUlvE2_clEvEUllllE_St5arrayIPcLm4EEEEviT0_T1_ ; -- Begin function _ZN2at6native29vectorized_elementwise_kernelILi2EZZZNS0_12_GLOBAL__N_117clamp_kernel_implERNS_18TensorIteratorBaseEENKUlvE_clEvENKUlvE2_clEvEUllllE_St5arrayIPcLm4EEEEviT0_T1_
	.p2align	8
	.type	_ZN2at6native29vectorized_elementwise_kernelILi2EZZZNS0_12_GLOBAL__N_117clamp_kernel_implERNS_18TensorIteratorBaseEENKUlvE_clEvENKUlvE2_clEvEUllllE_St5arrayIPcLm4EEEEviT0_T1_,@function
_ZN2at6native29vectorized_elementwise_kernelILi2EZZZNS0_12_GLOBAL__N_117clamp_kernel_implERNS_18TensorIteratorBaseEENKUlvE_clEvENKUlvE2_clEvEUllllE_St5arrayIPcLm4EEEEviT0_T1_: ; @_ZN2at6native29vectorized_elementwise_kernelILi2EZZZNS0_12_GLOBAL__N_117clamp_kernel_implERNS_18TensorIteratorBaseEENKUlvE_clEvENKUlvE2_clEvEUllllE_St5arrayIPcLm4EEEEviT0_T1_
; %bb.0:
	s_clause 0x1
	s_load_b32 s3, s[0:1], 0x0
	s_load_b256 s[4:11], s[0:1], 0x8
	s_wait_xcnt 0x0
	s_bfe_u32 s0, ttmp6, 0x4000c
	s_and_b32 s1, ttmp6, 15
	s_add_co_i32 s0, s0, 1
	s_getreg_b32 s2, hwreg(HW_REG_IB_STS2, 6, 4)
	s_mul_i32 s0, ttmp9, s0
	s_delay_alu instid0(SALU_CYCLE_1) | instskip(SKIP_2) | instid1(SALU_CYCLE_1)
	s_add_co_i32 s1, s1, s0
	s_cmp_eq_u32 s2, 0
	s_cselect_b32 s0, ttmp9, s1
	s_lshl_b32 s2, s0, 10
	s_mov_b32 s0, -1
	s_wait_kmcnt 0x0
	s_sub_co_i32 s1, s3, s2
	s_delay_alu instid0(SALU_CYCLE_1)
	s_cmp_gt_i32 s1, 0x3ff
	s_cbranch_scc0 .LBB123_2
; %bb.1:
	s_ashr_i32 s3, s2, 31
	s_mov_b32 s0, 0
	s_lshl_b64 s[12:13], s[2:3], 3
	s_delay_alu instid0(SALU_CYCLE_1)
	s_add_nc_u64 s[14:15], s[8:9], s[12:13]
	s_add_nc_u64 s[16:17], s[6:7], s[12:13]
	s_clause 0x3
	global_load_b128 v[2:5], v0, s[14:15] scale_offset
	global_load_b128 v[6:9], v0, s[16:17] scale_offset
	global_load_b128 v[10:13], v0, s[16:17] offset:4096 scale_offset
	global_load_b128 v[14:17], v0, s[14:15] offset:4096 scale_offset
	s_wait_xcnt 0x0
	s_add_nc_u64 s[14:15], s[10:11], s[12:13]
	s_clause 0x1
	global_load_b128 v[18:21], v0, s[14:15] scale_offset
	global_load_b128 v[22:25], v0, s[14:15] offset:4096 scale_offset
	s_add_nc_u64 s[12:13], s[4:5], s[12:13]
	s_wait_loadcnt 0x4
	v_max_i64 v[2:3], v[6:7], v[2:3]
	v_max_i64 v[4:5], v[8:9], v[4:5]
	s_wait_loadcnt 0x2
	v_max_i64 v[6:7], v[10:11], v[14:15]
	v_max_i64 v[8:9], v[12:13], v[16:17]
	s_wait_loadcnt 0x1
	s_delay_alu instid0(VALU_DEP_4) | instskip(NEXT) | instid1(VALU_DEP_4)
	v_min_i64 v[2:3], v[2:3], v[18:19]
	v_min_i64 v[4:5], v[4:5], v[20:21]
	s_wait_loadcnt 0x0
	s_delay_alu instid0(VALU_DEP_4) | instskip(NEXT) | instid1(VALU_DEP_4)
	v_min_i64 v[6:7], v[6:7], v[22:23]
	v_min_i64 v[8:9], v[8:9], v[24:25]
	s_clause 0x1
	global_store_b128 v0, v[2:5], s[12:13] scale_offset
	global_store_b128 v0, v[6:9], s[12:13] offset:4096 scale_offset
.LBB123_2:
	s_and_not1_b32 vcc_lo, exec_lo, s0
	s_cbranch_vccnz .LBB123_14
; %bb.3:
	s_wait_xcnt 0x1
	v_mov_b64_e32 v[2:3], 0
	v_mov_b64_e32 v[4:5], 0
	v_cmp_gt_i32_e32 vcc_lo, s1, v0
	v_dual_mov_b32 v11, v0 :: v_dual_bitop2_b32 v1, s2, v0 bitop3:0x54
	v_or_b32_e32 v10, 0x100, v0
	s_wait_xcnt 0x0
	s_and_saveexec_b32 s0, vcc_lo
	s_cbranch_execz .LBB123_5
; %bb.4:
	s_clause 0x2
	global_load_b64 v[4:5], v1, s[6:7] scale_offset
	global_load_b64 v[6:7], v1, s[8:9] scale_offset
	;; [unrolled: 1-line block ×3, first 2 shown]
	v_or_b32_e32 v11, 0x100, v0
	s_wait_loadcnt 0x1
	v_max_i64 v[4:5], v[4:5], v[6:7]
	s_wait_loadcnt 0x0
	s_delay_alu instid0(VALU_DEP_1)
	v_min_i64 v[4:5], v[4:5], v[8:9]
.LBB123_5:
	s_wait_xcnt 0x0
	s_or_b32 exec_lo, exec_lo, s0
	s_delay_alu instid0(SALU_CYCLE_1)
	s_mov_b32 s3, exec_lo
	v_cmpx_gt_i32_e64 s1, v11
	s_cbranch_execz .LBB123_7
; %bb.6:
	v_add_nc_u32_e32 v12, s2, v11
	v_add_nc_u32_e32 v11, 0x100, v11
	s_clause 0x2
	global_load_b64 v[2:3], v12, s[6:7] scale_offset
	global_load_b64 v[6:7], v12, s[8:9] scale_offset
	;; [unrolled: 1-line block ×3, first 2 shown]
	s_wait_loadcnt 0x1
	v_max_i64 v[2:3], v[2:3], v[6:7]
	s_wait_loadcnt 0x0
	s_delay_alu instid0(VALU_DEP_1)
	v_min_i64 v[2:3], v[2:3], v[8:9]
.LBB123_7:
	s_wait_xcnt 0x0
	s_or_b32 exec_lo, exec_lo, s3
	v_mov_b64_e32 v[6:7], 0
	v_mov_b64_e32 v[8:9], 0
	s_mov_b32 s3, exec_lo
	v_cmpx_gt_i32_e64 s1, v11
	s_cbranch_execnz .LBB123_15
; %bb.8:
	s_or_b32 exec_lo, exec_lo, s3
	s_delay_alu instid0(SALU_CYCLE_1)
	s_mov_b32 s3, exec_lo
	v_cmpx_gt_i32_e64 s1, v11
	s_cbranch_execnz .LBB123_16
.LBB123_9:
	s_or_b32 exec_lo, exec_lo, s3
	s_and_saveexec_b32 s0, vcc_lo
	s_cbranch_execnz .LBB123_17
.LBB123_10:
	s_or_b32 exec_lo, exec_lo, s0
	s_delay_alu instid0(SALU_CYCLE_1)
	s_mov_b32 s0, exec_lo
	v_cmpx_gt_i32_e64 s1, v0
	s_cbranch_execnz .LBB123_18
.LBB123_11:
	s_or_b32 exec_lo, exec_lo, s0
	s_delay_alu instid0(SALU_CYCLE_1)
	s_mov_b32 s0, exec_lo
	v_cmpx_gt_i32_e64 s1, v0
	s_cbranch_execnz .LBB123_19
.LBB123_12:
	s_or_b32 exec_lo, exec_lo, s0
	s_delay_alu instid0(SALU_CYCLE_1)
	s_mov_b32 s0, exec_lo
	v_cmpx_gt_i32_e64 s1, v0
	s_cbranch_execz .LBB123_14
.LBB123_13:
	v_add_nc_u32_e32 v0, s2, v0
	global_store_b64 v0, v[6:7], s[4:5] scale_offset
.LBB123_14:
	s_endpgm
.LBB123_15:
	v_add_nc_u32_e32 v16, s2, v11
	v_add_nc_u32_e32 v11, 0x100, v11
	s_clause 0x2
	global_load_b64 v[8:9], v16, s[6:7] scale_offset
	global_load_b64 v[12:13], v16, s[8:9] scale_offset
	;; [unrolled: 1-line block ×3, first 2 shown]
	s_wait_loadcnt 0x1
	v_max_i64 v[8:9], v[8:9], v[12:13]
	s_wait_loadcnt 0x0
	s_delay_alu instid0(VALU_DEP_1) | instskip(SKIP_2) | instid1(SALU_CYCLE_1)
	v_min_i64 v[8:9], v[8:9], v[14:15]
	s_wait_xcnt 0x0
	s_or_b32 exec_lo, exec_lo, s3
	s_mov_b32 s3, exec_lo
	v_cmpx_gt_i32_e64 s1, v11
	s_cbranch_execz .LBB123_9
.LBB123_16:
	v_add_nc_u32_e32 v11, s2, v11
	s_clause 0x2
	global_load_b64 v[6:7], v11, s[6:7] scale_offset
	global_load_b64 v[12:13], v11, s[8:9] scale_offset
	;; [unrolled: 1-line block ×3, first 2 shown]
	s_wait_loadcnt 0x1
	v_max_i64 v[6:7], v[6:7], v[12:13]
	s_wait_loadcnt 0x0
	s_delay_alu instid0(VALU_DEP_1)
	v_min_i64 v[6:7], v[6:7], v[14:15]
	s_wait_xcnt 0x0
	s_or_b32 exec_lo, exec_lo, s3
	s_and_saveexec_b32 s0, vcc_lo
	s_cbranch_execz .LBB123_10
.LBB123_17:
	v_mov_b32_e32 v0, v10
	global_store_b64 v1, v[4:5], s[4:5] scale_offset
	s_wait_xcnt 0x0
	s_or_b32 exec_lo, exec_lo, s0
	s_delay_alu instid0(SALU_CYCLE_1)
	s_mov_b32 s0, exec_lo
	v_cmpx_gt_i32_e64 s1, v0
	s_cbranch_execz .LBB123_11
.LBB123_18:
	v_add_nc_u32_e32 v1, s2, v0
	v_add_nc_u32_e32 v0, 0x100, v0
	global_store_b64 v1, v[2:3], s[4:5] scale_offset
	s_wait_xcnt 0x0
	s_or_b32 exec_lo, exec_lo, s0
	s_delay_alu instid0(SALU_CYCLE_1)
	s_mov_b32 s0, exec_lo
	v_cmpx_gt_i32_e64 s1, v0
	s_cbranch_execz .LBB123_12
.LBB123_19:
	v_add_nc_u32_e32 v1, s2, v0
	v_add_nc_u32_e32 v0, 0x100, v0
	global_store_b64 v1, v[8:9], s[4:5] scale_offset
	s_wait_xcnt 0x0
	s_or_b32 exec_lo, exec_lo, s0
	s_delay_alu instid0(SALU_CYCLE_1)
	s_mov_b32 s0, exec_lo
	v_cmpx_gt_i32_e64 s1, v0
	s_cbranch_execnz .LBB123_13
	s_branch .LBB123_14
	.section	.rodata,"a",@progbits
	.p2align	6, 0x0
	.amdhsa_kernel _ZN2at6native29vectorized_elementwise_kernelILi2EZZZNS0_12_GLOBAL__N_117clamp_kernel_implERNS_18TensorIteratorBaseEENKUlvE_clEvENKUlvE2_clEvEUllllE_St5arrayIPcLm4EEEEviT0_T1_
		.amdhsa_group_segment_fixed_size 0
		.amdhsa_private_segment_fixed_size 0
		.amdhsa_kernarg_size 40
		.amdhsa_user_sgpr_count 2
		.amdhsa_user_sgpr_dispatch_ptr 0
		.amdhsa_user_sgpr_queue_ptr 0
		.amdhsa_user_sgpr_kernarg_segment_ptr 1
		.amdhsa_user_sgpr_dispatch_id 0
		.amdhsa_user_sgpr_kernarg_preload_length 0
		.amdhsa_user_sgpr_kernarg_preload_offset 0
		.amdhsa_user_sgpr_private_segment_size 0
		.amdhsa_wavefront_size32 1
		.amdhsa_uses_dynamic_stack 0
		.amdhsa_enable_private_segment 0
		.amdhsa_system_sgpr_workgroup_id_x 1
		.amdhsa_system_sgpr_workgroup_id_y 0
		.amdhsa_system_sgpr_workgroup_id_z 0
		.amdhsa_system_sgpr_workgroup_info 0
		.amdhsa_system_vgpr_workitem_id 0
		.amdhsa_next_free_vgpr 26
		.amdhsa_next_free_sgpr 18
		.amdhsa_named_barrier_count 0
		.amdhsa_reserve_vcc 1
		.amdhsa_float_round_mode_32 0
		.amdhsa_float_round_mode_16_64 0
		.amdhsa_float_denorm_mode_32 3
		.amdhsa_float_denorm_mode_16_64 3
		.amdhsa_fp16_overflow 0
		.amdhsa_memory_ordered 1
		.amdhsa_forward_progress 1
		.amdhsa_inst_pref_size 9
		.amdhsa_round_robin_scheduling 0
		.amdhsa_exception_fp_ieee_invalid_op 0
		.amdhsa_exception_fp_denorm_src 0
		.amdhsa_exception_fp_ieee_div_zero 0
		.amdhsa_exception_fp_ieee_overflow 0
		.amdhsa_exception_fp_ieee_underflow 0
		.amdhsa_exception_fp_ieee_inexact 0
		.amdhsa_exception_int_div_zero 0
	.end_amdhsa_kernel
	.section	.text._ZN2at6native29vectorized_elementwise_kernelILi2EZZZNS0_12_GLOBAL__N_117clamp_kernel_implERNS_18TensorIteratorBaseEENKUlvE_clEvENKUlvE2_clEvEUllllE_St5arrayIPcLm4EEEEviT0_T1_,"axG",@progbits,_ZN2at6native29vectorized_elementwise_kernelILi2EZZZNS0_12_GLOBAL__N_117clamp_kernel_implERNS_18TensorIteratorBaseEENKUlvE_clEvENKUlvE2_clEvEUllllE_St5arrayIPcLm4EEEEviT0_T1_,comdat
.Lfunc_end123:
	.size	_ZN2at6native29vectorized_elementwise_kernelILi2EZZZNS0_12_GLOBAL__N_117clamp_kernel_implERNS_18TensorIteratorBaseEENKUlvE_clEvENKUlvE2_clEvEUllllE_St5arrayIPcLm4EEEEviT0_T1_, .Lfunc_end123-_ZN2at6native29vectorized_elementwise_kernelILi2EZZZNS0_12_GLOBAL__N_117clamp_kernel_implERNS_18TensorIteratorBaseEENKUlvE_clEvENKUlvE2_clEvEUllllE_St5arrayIPcLm4EEEEviT0_T1_
                                        ; -- End function
	.set _ZN2at6native29vectorized_elementwise_kernelILi2EZZZNS0_12_GLOBAL__N_117clamp_kernel_implERNS_18TensorIteratorBaseEENKUlvE_clEvENKUlvE2_clEvEUllllE_St5arrayIPcLm4EEEEviT0_T1_.num_vgpr, 26
	.set _ZN2at6native29vectorized_elementwise_kernelILi2EZZZNS0_12_GLOBAL__N_117clamp_kernel_implERNS_18TensorIteratorBaseEENKUlvE_clEvENKUlvE2_clEvEUllllE_St5arrayIPcLm4EEEEviT0_T1_.num_agpr, 0
	.set _ZN2at6native29vectorized_elementwise_kernelILi2EZZZNS0_12_GLOBAL__N_117clamp_kernel_implERNS_18TensorIteratorBaseEENKUlvE_clEvENKUlvE2_clEvEUllllE_St5arrayIPcLm4EEEEviT0_T1_.numbered_sgpr, 18
	.set _ZN2at6native29vectorized_elementwise_kernelILi2EZZZNS0_12_GLOBAL__N_117clamp_kernel_implERNS_18TensorIteratorBaseEENKUlvE_clEvENKUlvE2_clEvEUllllE_St5arrayIPcLm4EEEEviT0_T1_.num_named_barrier, 0
	.set _ZN2at6native29vectorized_elementwise_kernelILi2EZZZNS0_12_GLOBAL__N_117clamp_kernel_implERNS_18TensorIteratorBaseEENKUlvE_clEvENKUlvE2_clEvEUllllE_St5arrayIPcLm4EEEEviT0_T1_.private_seg_size, 0
	.set _ZN2at6native29vectorized_elementwise_kernelILi2EZZZNS0_12_GLOBAL__N_117clamp_kernel_implERNS_18TensorIteratorBaseEENKUlvE_clEvENKUlvE2_clEvEUllllE_St5arrayIPcLm4EEEEviT0_T1_.uses_vcc, 1
	.set _ZN2at6native29vectorized_elementwise_kernelILi2EZZZNS0_12_GLOBAL__N_117clamp_kernel_implERNS_18TensorIteratorBaseEENKUlvE_clEvENKUlvE2_clEvEUllllE_St5arrayIPcLm4EEEEviT0_T1_.uses_flat_scratch, 0
	.set _ZN2at6native29vectorized_elementwise_kernelILi2EZZZNS0_12_GLOBAL__N_117clamp_kernel_implERNS_18TensorIteratorBaseEENKUlvE_clEvENKUlvE2_clEvEUllllE_St5arrayIPcLm4EEEEviT0_T1_.has_dyn_sized_stack, 0
	.set _ZN2at6native29vectorized_elementwise_kernelILi2EZZZNS0_12_GLOBAL__N_117clamp_kernel_implERNS_18TensorIteratorBaseEENKUlvE_clEvENKUlvE2_clEvEUllllE_St5arrayIPcLm4EEEEviT0_T1_.has_recursion, 0
	.set _ZN2at6native29vectorized_elementwise_kernelILi2EZZZNS0_12_GLOBAL__N_117clamp_kernel_implERNS_18TensorIteratorBaseEENKUlvE_clEvENKUlvE2_clEvEUllllE_St5arrayIPcLm4EEEEviT0_T1_.has_indirect_call, 0
	.section	.AMDGPU.csdata,"",@progbits
; Kernel info:
; codeLenInByte = 1072
; TotalNumSgprs: 20
; NumVgprs: 26
; ScratchSize: 0
; MemoryBound: 0
; FloatMode: 240
; IeeeMode: 1
; LDSByteSize: 0 bytes/workgroup (compile time only)
; SGPRBlocks: 0
; VGPRBlocks: 1
; NumSGPRsForWavesPerEU: 20
; NumVGPRsForWavesPerEU: 26
; NamedBarCnt: 0
; Occupancy: 16
; WaveLimiterHint : 1
; COMPUTE_PGM_RSRC2:SCRATCH_EN: 0
; COMPUTE_PGM_RSRC2:USER_SGPR: 2
; COMPUTE_PGM_RSRC2:TRAP_HANDLER: 0
; COMPUTE_PGM_RSRC2:TGID_X_EN: 1
; COMPUTE_PGM_RSRC2:TGID_Y_EN: 0
; COMPUTE_PGM_RSRC2:TGID_Z_EN: 0
; COMPUTE_PGM_RSRC2:TIDIG_COMP_CNT: 0
	.section	.text._ZN2at6native27unrolled_elementwise_kernelIZZZNS0_12_GLOBAL__N_117clamp_kernel_implERNS_18TensorIteratorBaseEENKUlvE_clEvENKUlvE2_clEvEUllllE_St5arrayIPcLm4EELi4E23TrivialOffsetCalculatorILi3EjESB_ILi1EjENS0_6memory15LoadWithoutCastENSE_16StoreWithoutCastEEEviT_T0_T2_T3_T4_T5_,"axG",@progbits,_ZN2at6native27unrolled_elementwise_kernelIZZZNS0_12_GLOBAL__N_117clamp_kernel_implERNS_18TensorIteratorBaseEENKUlvE_clEvENKUlvE2_clEvEUllllE_St5arrayIPcLm4EELi4E23TrivialOffsetCalculatorILi3EjESB_ILi1EjENS0_6memory15LoadWithoutCastENSE_16StoreWithoutCastEEEviT_T0_T2_T3_T4_T5_,comdat
	.globl	_ZN2at6native27unrolled_elementwise_kernelIZZZNS0_12_GLOBAL__N_117clamp_kernel_implERNS_18TensorIteratorBaseEENKUlvE_clEvENKUlvE2_clEvEUllllE_St5arrayIPcLm4EELi4E23TrivialOffsetCalculatorILi3EjESB_ILi1EjENS0_6memory15LoadWithoutCastENSE_16StoreWithoutCastEEEviT_T0_T2_T3_T4_T5_ ; -- Begin function _ZN2at6native27unrolled_elementwise_kernelIZZZNS0_12_GLOBAL__N_117clamp_kernel_implERNS_18TensorIteratorBaseEENKUlvE_clEvENKUlvE2_clEvEUllllE_St5arrayIPcLm4EELi4E23TrivialOffsetCalculatorILi3EjESB_ILi1EjENS0_6memory15LoadWithoutCastENSE_16StoreWithoutCastEEEviT_T0_T2_T3_T4_T5_
	.p2align	8
	.type	_ZN2at6native27unrolled_elementwise_kernelIZZZNS0_12_GLOBAL__N_117clamp_kernel_implERNS_18TensorIteratorBaseEENKUlvE_clEvENKUlvE2_clEvEUllllE_St5arrayIPcLm4EELi4E23TrivialOffsetCalculatorILi3EjESB_ILi1EjENS0_6memory15LoadWithoutCastENSE_16StoreWithoutCastEEEviT_T0_T2_T3_T4_T5_,@function
_ZN2at6native27unrolled_elementwise_kernelIZZZNS0_12_GLOBAL__N_117clamp_kernel_implERNS_18TensorIteratorBaseEENKUlvE_clEvENKUlvE2_clEvEUllllE_St5arrayIPcLm4EELi4E23TrivialOffsetCalculatorILi3EjESB_ILi1EjENS0_6memory15LoadWithoutCastENSE_16StoreWithoutCastEEEviT_T0_T2_T3_T4_T5_: ; @_ZN2at6native27unrolled_elementwise_kernelIZZZNS0_12_GLOBAL__N_117clamp_kernel_implERNS_18TensorIteratorBaseEENKUlvE_clEvENKUlvE2_clEvEUllllE_St5arrayIPcLm4EELi4E23TrivialOffsetCalculatorILi3EjESB_ILi1EjENS0_6memory15LoadWithoutCastENSE_16StoreWithoutCastEEEviT_T0_T2_T3_T4_T5_
; %bb.0:
	s_load_b32 s2, s[0:1], 0x0
	s_bfe_u32 s3, ttmp6, 0x4000c
	s_load_b256 s[4:11], s[0:1], 0x8
	s_add_co_i32 s3, s3, 1
	s_wait_xcnt 0x0
	s_and_b32 s0, ttmp6, 15
	s_mul_i32 s1, ttmp9, s3
	s_getreg_b32 s3, hwreg(HW_REG_IB_STS2, 6, 4)
	s_add_co_i32 s0, s0, s1
	s_cmp_eq_u32 s3, 0
	v_mov_b64_e32 v[2:3], 0
	s_cselect_b32 s0, ttmp9, s0
	v_mov_b64_e32 v[4:5], 0
	s_lshl_b32 s1, s0, 10
	v_or_b32_e32 v1, 0x100, v0
	v_dual_mov_b32 v11, v0 :: v_dual_bitop2_b32 v10, s1, v0 bitop3:0x54
	s_wait_kmcnt 0x0
	s_sub_co_i32 s2, s2, s1
	s_delay_alu instid0(SALU_CYCLE_1)
	v_cmp_gt_i32_e32 vcc_lo, s2, v0
	s_and_saveexec_b32 s0, vcc_lo
	s_cbranch_execz .LBB124_2
; %bb.1:
	s_clause 0x2
	global_load_b64 v[4:5], v10, s[6:7] scale_offset
	global_load_b64 v[6:7], v10, s[8:9] scale_offset
	;; [unrolled: 1-line block ×3, first 2 shown]
	v_or_b32_e32 v11, 0x100, v0
	s_wait_loadcnt 0x1
	v_max_i64 v[4:5], v[4:5], v[6:7]
	s_wait_loadcnt 0x0
	s_delay_alu instid0(VALU_DEP_1)
	v_min_i64 v[4:5], v[4:5], v[8:9]
.LBB124_2:
	s_or_b32 exec_lo, exec_lo, s0
	s_delay_alu instid0(SALU_CYCLE_1)
	s_mov_b32 s3, exec_lo
	v_cmpx_gt_i32_e64 s2, v11
	s_cbranch_execz .LBB124_4
; %bb.3:
	v_add_nc_u32_e32 v12, s1, v11
	v_add_nc_u32_e32 v11, 0x100, v11
	s_clause 0x2
	global_load_b64 v[2:3], v12, s[6:7] scale_offset
	global_load_b64 v[6:7], v12, s[8:9] scale_offset
	;; [unrolled: 1-line block ×3, first 2 shown]
	s_wait_loadcnt 0x1
	v_max_i64 v[2:3], v[2:3], v[6:7]
	s_wait_loadcnt 0x0
	s_delay_alu instid0(VALU_DEP_1)
	v_min_i64 v[2:3], v[2:3], v[8:9]
.LBB124_4:
	s_or_b32 exec_lo, exec_lo, s3
	v_mov_b64_e32 v[6:7], 0
	v_mov_b64_e32 v[8:9], 0
	s_mov_b32 s3, exec_lo
	v_cmpx_gt_i32_e64 s2, v11
	s_cbranch_execnz .LBB124_11
; %bb.5:
	s_or_b32 exec_lo, exec_lo, s3
	s_delay_alu instid0(SALU_CYCLE_1)
	s_mov_b32 s3, exec_lo
	v_cmpx_gt_i32_e64 s2, v11
	s_cbranch_execnz .LBB124_12
.LBB124_6:
	s_or_b32 exec_lo, exec_lo, s3
	s_and_saveexec_b32 s0, vcc_lo
	s_cbranch_execnz .LBB124_13
.LBB124_7:
	s_or_b32 exec_lo, exec_lo, s0
	s_delay_alu instid0(SALU_CYCLE_1)
	s_mov_b32 s0, exec_lo
	v_cmpx_gt_i32_e64 s2, v0
	s_cbranch_execnz .LBB124_14
.LBB124_8:
	s_or_b32 exec_lo, exec_lo, s0
	s_delay_alu instid0(SALU_CYCLE_1)
	s_mov_b32 s0, exec_lo
	v_cmpx_gt_i32_e64 s2, v0
	s_cbranch_execnz .LBB124_15
.LBB124_9:
	s_or_b32 exec_lo, exec_lo, s0
	s_delay_alu instid0(SALU_CYCLE_1)
	s_mov_b32 s0, exec_lo
	v_cmpx_gt_i32_e64 s2, v0
	s_cbranch_execnz .LBB124_16
.LBB124_10:
	s_endpgm
.LBB124_11:
	v_add_nc_u32_e32 v16, s1, v11
	v_add_nc_u32_e32 v11, 0x100, v11
	s_clause 0x2
	global_load_b64 v[8:9], v16, s[6:7] scale_offset
	global_load_b64 v[12:13], v16, s[8:9] scale_offset
	;; [unrolled: 1-line block ×3, first 2 shown]
	s_wait_loadcnt 0x1
	v_max_i64 v[8:9], v[8:9], v[12:13]
	s_wait_loadcnt 0x0
	s_delay_alu instid0(VALU_DEP_1) | instskip(SKIP_1) | instid1(SALU_CYCLE_1)
	v_min_i64 v[8:9], v[8:9], v[14:15]
	s_or_b32 exec_lo, exec_lo, s3
	s_mov_b32 s3, exec_lo
	v_cmpx_gt_i32_e64 s2, v11
	s_cbranch_execz .LBB124_6
.LBB124_12:
	v_add_nc_u32_e32 v11, s1, v11
	s_clause 0x2
	global_load_b64 v[6:7], v11, s[6:7] scale_offset
	global_load_b64 v[12:13], v11, s[8:9] scale_offset
	;; [unrolled: 1-line block ×3, first 2 shown]
	s_wait_loadcnt 0x1
	v_max_i64 v[6:7], v[6:7], v[12:13]
	s_wait_loadcnt 0x0
	s_delay_alu instid0(VALU_DEP_1)
	v_min_i64 v[6:7], v[6:7], v[14:15]
	s_or_b32 exec_lo, exec_lo, s3
	s_and_saveexec_b32 s0, vcc_lo
	s_cbranch_execz .LBB124_7
.LBB124_13:
	v_mov_b32_e32 v0, v1
	global_store_b64 v10, v[4:5], s[4:5] scale_offset
	s_wait_xcnt 0x0
	s_or_b32 exec_lo, exec_lo, s0
	s_delay_alu instid0(SALU_CYCLE_1)
	s_mov_b32 s0, exec_lo
	v_cmpx_gt_i32_e64 s2, v0
	s_cbranch_execz .LBB124_8
.LBB124_14:
	v_add_nc_u32_e32 v1, 0x100, v0
	s_delay_alu instid0(VALU_DEP_1) | instskip(SKIP_3) | instid1(SALU_CYCLE_1)
	v_dual_add_nc_u32 v4, s1, v0 :: v_dual_mov_b32 v0, v1
	global_store_b64 v4, v[2:3], s[4:5] scale_offset
	s_wait_xcnt 0x0
	s_or_b32 exec_lo, exec_lo, s0
	s_mov_b32 s0, exec_lo
	v_cmpx_gt_i32_e64 s2, v0
	s_cbranch_execz .LBB124_9
.LBB124_15:
	v_add_nc_u32_e32 v1, 0x100, v0
	s_delay_alu instid0(VALU_DEP_1) | instskip(SKIP_3) | instid1(SALU_CYCLE_1)
	v_dual_add_nc_u32 v2, s1, v0 :: v_dual_mov_b32 v0, v1
	global_store_b64 v2, v[8:9], s[4:5] scale_offset
	s_wait_xcnt 0x0
	s_or_b32 exec_lo, exec_lo, s0
	s_mov_b32 s0, exec_lo
	v_cmpx_gt_i32_e64 s2, v0
	s_cbranch_execz .LBB124_10
.LBB124_16:
	v_add_nc_u32_e32 v0, s1, v0
	global_store_b64 v0, v[6:7], s[4:5] scale_offset
	s_endpgm
	.section	.rodata,"a",@progbits
	.p2align	6, 0x0
	.amdhsa_kernel _ZN2at6native27unrolled_elementwise_kernelIZZZNS0_12_GLOBAL__N_117clamp_kernel_implERNS_18TensorIteratorBaseEENKUlvE_clEvENKUlvE2_clEvEUllllE_St5arrayIPcLm4EELi4E23TrivialOffsetCalculatorILi3EjESB_ILi1EjENS0_6memory15LoadWithoutCastENSE_16StoreWithoutCastEEEviT_T0_T2_T3_T4_T5_
		.amdhsa_group_segment_fixed_size 0
		.amdhsa_private_segment_fixed_size 0
		.amdhsa_kernarg_size 44
		.amdhsa_user_sgpr_count 2
		.amdhsa_user_sgpr_dispatch_ptr 0
		.amdhsa_user_sgpr_queue_ptr 0
		.amdhsa_user_sgpr_kernarg_segment_ptr 1
		.amdhsa_user_sgpr_dispatch_id 0
		.amdhsa_user_sgpr_kernarg_preload_length 0
		.amdhsa_user_sgpr_kernarg_preload_offset 0
		.amdhsa_user_sgpr_private_segment_size 0
		.amdhsa_wavefront_size32 1
		.amdhsa_uses_dynamic_stack 0
		.amdhsa_enable_private_segment 0
		.amdhsa_system_sgpr_workgroup_id_x 1
		.amdhsa_system_sgpr_workgroup_id_y 0
		.amdhsa_system_sgpr_workgroup_id_z 0
		.amdhsa_system_sgpr_workgroup_info 0
		.amdhsa_system_vgpr_workitem_id 0
		.amdhsa_next_free_vgpr 17
		.amdhsa_next_free_sgpr 12
		.amdhsa_named_barrier_count 0
		.amdhsa_reserve_vcc 1
		.amdhsa_float_round_mode_32 0
		.amdhsa_float_round_mode_16_64 0
		.amdhsa_float_denorm_mode_32 3
		.amdhsa_float_denorm_mode_16_64 3
		.amdhsa_fp16_overflow 0
		.amdhsa_memory_ordered 1
		.amdhsa_forward_progress 1
		.amdhsa_inst_pref_size 7
		.amdhsa_round_robin_scheduling 0
		.amdhsa_exception_fp_ieee_invalid_op 0
		.amdhsa_exception_fp_denorm_src 0
		.amdhsa_exception_fp_ieee_div_zero 0
		.amdhsa_exception_fp_ieee_overflow 0
		.amdhsa_exception_fp_ieee_underflow 0
		.amdhsa_exception_fp_ieee_inexact 0
		.amdhsa_exception_int_div_zero 0
	.end_amdhsa_kernel
	.section	.text._ZN2at6native27unrolled_elementwise_kernelIZZZNS0_12_GLOBAL__N_117clamp_kernel_implERNS_18TensorIteratorBaseEENKUlvE_clEvENKUlvE2_clEvEUllllE_St5arrayIPcLm4EELi4E23TrivialOffsetCalculatorILi3EjESB_ILi1EjENS0_6memory15LoadWithoutCastENSE_16StoreWithoutCastEEEviT_T0_T2_T3_T4_T5_,"axG",@progbits,_ZN2at6native27unrolled_elementwise_kernelIZZZNS0_12_GLOBAL__N_117clamp_kernel_implERNS_18TensorIteratorBaseEENKUlvE_clEvENKUlvE2_clEvEUllllE_St5arrayIPcLm4EELi4E23TrivialOffsetCalculatorILi3EjESB_ILi1EjENS0_6memory15LoadWithoutCastENSE_16StoreWithoutCastEEEviT_T0_T2_T3_T4_T5_,comdat
.Lfunc_end124:
	.size	_ZN2at6native27unrolled_elementwise_kernelIZZZNS0_12_GLOBAL__N_117clamp_kernel_implERNS_18TensorIteratorBaseEENKUlvE_clEvENKUlvE2_clEvEUllllE_St5arrayIPcLm4EELi4E23TrivialOffsetCalculatorILi3EjESB_ILi1EjENS0_6memory15LoadWithoutCastENSE_16StoreWithoutCastEEEviT_T0_T2_T3_T4_T5_, .Lfunc_end124-_ZN2at6native27unrolled_elementwise_kernelIZZZNS0_12_GLOBAL__N_117clamp_kernel_implERNS_18TensorIteratorBaseEENKUlvE_clEvENKUlvE2_clEvEUllllE_St5arrayIPcLm4EELi4E23TrivialOffsetCalculatorILi3EjESB_ILi1EjENS0_6memory15LoadWithoutCastENSE_16StoreWithoutCastEEEviT_T0_T2_T3_T4_T5_
                                        ; -- End function
	.set _ZN2at6native27unrolled_elementwise_kernelIZZZNS0_12_GLOBAL__N_117clamp_kernel_implERNS_18TensorIteratorBaseEENKUlvE_clEvENKUlvE2_clEvEUllllE_St5arrayIPcLm4EELi4E23TrivialOffsetCalculatorILi3EjESB_ILi1EjENS0_6memory15LoadWithoutCastENSE_16StoreWithoutCastEEEviT_T0_T2_T3_T4_T5_.num_vgpr, 17
	.set _ZN2at6native27unrolled_elementwise_kernelIZZZNS0_12_GLOBAL__N_117clamp_kernel_implERNS_18TensorIteratorBaseEENKUlvE_clEvENKUlvE2_clEvEUllllE_St5arrayIPcLm4EELi4E23TrivialOffsetCalculatorILi3EjESB_ILi1EjENS0_6memory15LoadWithoutCastENSE_16StoreWithoutCastEEEviT_T0_T2_T3_T4_T5_.num_agpr, 0
	.set _ZN2at6native27unrolled_elementwise_kernelIZZZNS0_12_GLOBAL__N_117clamp_kernel_implERNS_18TensorIteratorBaseEENKUlvE_clEvENKUlvE2_clEvEUllllE_St5arrayIPcLm4EELi4E23TrivialOffsetCalculatorILi3EjESB_ILi1EjENS0_6memory15LoadWithoutCastENSE_16StoreWithoutCastEEEviT_T0_T2_T3_T4_T5_.numbered_sgpr, 12
	.set _ZN2at6native27unrolled_elementwise_kernelIZZZNS0_12_GLOBAL__N_117clamp_kernel_implERNS_18TensorIteratorBaseEENKUlvE_clEvENKUlvE2_clEvEUllllE_St5arrayIPcLm4EELi4E23TrivialOffsetCalculatorILi3EjESB_ILi1EjENS0_6memory15LoadWithoutCastENSE_16StoreWithoutCastEEEviT_T0_T2_T3_T4_T5_.num_named_barrier, 0
	.set _ZN2at6native27unrolled_elementwise_kernelIZZZNS0_12_GLOBAL__N_117clamp_kernel_implERNS_18TensorIteratorBaseEENKUlvE_clEvENKUlvE2_clEvEUllllE_St5arrayIPcLm4EELi4E23TrivialOffsetCalculatorILi3EjESB_ILi1EjENS0_6memory15LoadWithoutCastENSE_16StoreWithoutCastEEEviT_T0_T2_T3_T4_T5_.private_seg_size, 0
	.set _ZN2at6native27unrolled_elementwise_kernelIZZZNS0_12_GLOBAL__N_117clamp_kernel_implERNS_18TensorIteratorBaseEENKUlvE_clEvENKUlvE2_clEvEUllllE_St5arrayIPcLm4EELi4E23TrivialOffsetCalculatorILi3EjESB_ILi1EjENS0_6memory15LoadWithoutCastENSE_16StoreWithoutCastEEEviT_T0_T2_T3_T4_T5_.uses_vcc, 1
	.set _ZN2at6native27unrolled_elementwise_kernelIZZZNS0_12_GLOBAL__N_117clamp_kernel_implERNS_18TensorIteratorBaseEENKUlvE_clEvENKUlvE2_clEvEUllllE_St5arrayIPcLm4EELi4E23TrivialOffsetCalculatorILi3EjESB_ILi1EjENS0_6memory15LoadWithoutCastENSE_16StoreWithoutCastEEEviT_T0_T2_T3_T4_T5_.uses_flat_scratch, 0
	.set _ZN2at6native27unrolled_elementwise_kernelIZZZNS0_12_GLOBAL__N_117clamp_kernel_implERNS_18TensorIteratorBaseEENKUlvE_clEvENKUlvE2_clEvEUllllE_St5arrayIPcLm4EELi4E23TrivialOffsetCalculatorILi3EjESB_ILi1EjENS0_6memory15LoadWithoutCastENSE_16StoreWithoutCastEEEviT_T0_T2_T3_T4_T5_.has_dyn_sized_stack, 0
	.set _ZN2at6native27unrolled_elementwise_kernelIZZZNS0_12_GLOBAL__N_117clamp_kernel_implERNS_18TensorIteratorBaseEENKUlvE_clEvENKUlvE2_clEvEUllllE_St5arrayIPcLm4EELi4E23TrivialOffsetCalculatorILi3EjESB_ILi1EjENS0_6memory15LoadWithoutCastENSE_16StoreWithoutCastEEEviT_T0_T2_T3_T4_T5_.has_recursion, 0
	.set _ZN2at6native27unrolled_elementwise_kernelIZZZNS0_12_GLOBAL__N_117clamp_kernel_implERNS_18TensorIteratorBaseEENKUlvE_clEvENKUlvE2_clEvEUllllE_St5arrayIPcLm4EELi4E23TrivialOffsetCalculatorILi3EjESB_ILi1EjENS0_6memory15LoadWithoutCastENSE_16StoreWithoutCastEEEviT_T0_T2_T3_T4_T5_.has_indirect_call, 0
	.section	.AMDGPU.csdata,"",@progbits
; Kernel info:
; codeLenInByte = 800
; TotalNumSgprs: 14
; NumVgprs: 17
; ScratchSize: 0
; MemoryBound: 0
; FloatMode: 240
; IeeeMode: 1
; LDSByteSize: 0 bytes/workgroup (compile time only)
; SGPRBlocks: 0
; VGPRBlocks: 1
; NumSGPRsForWavesPerEU: 14
; NumVGPRsForWavesPerEU: 17
; NamedBarCnt: 0
; Occupancy: 16
; WaveLimiterHint : 0
; COMPUTE_PGM_RSRC2:SCRATCH_EN: 0
; COMPUTE_PGM_RSRC2:USER_SGPR: 2
; COMPUTE_PGM_RSRC2:TRAP_HANDLER: 0
; COMPUTE_PGM_RSRC2:TGID_X_EN: 1
; COMPUTE_PGM_RSRC2:TGID_Y_EN: 0
; COMPUTE_PGM_RSRC2:TGID_Z_EN: 0
; COMPUTE_PGM_RSRC2:TIDIG_COMP_CNT: 0
	.section	.text._ZN2at6native32elementwise_kernel_manual_unrollILi128ELi4EZNS0_22gpu_kernel_impl_nocastIZZZNS0_12_GLOBAL__N_117clamp_kernel_implERNS_18TensorIteratorBaseEENKUlvE_clEvENKUlvE2_clEvEUllllE_EEvS5_RKT_EUlibE_EEviT1_,"axG",@progbits,_ZN2at6native32elementwise_kernel_manual_unrollILi128ELi4EZNS0_22gpu_kernel_impl_nocastIZZZNS0_12_GLOBAL__N_117clamp_kernel_implERNS_18TensorIteratorBaseEENKUlvE_clEvENKUlvE2_clEvEUllllE_EEvS5_RKT_EUlibE_EEviT1_,comdat
	.globl	_ZN2at6native32elementwise_kernel_manual_unrollILi128ELi4EZNS0_22gpu_kernel_impl_nocastIZZZNS0_12_GLOBAL__N_117clamp_kernel_implERNS_18TensorIteratorBaseEENKUlvE_clEvENKUlvE2_clEvEUllllE_EEvS5_RKT_EUlibE_EEviT1_ ; -- Begin function _ZN2at6native32elementwise_kernel_manual_unrollILi128ELi4EZNS0_22gpu_kernel_impl_nocastIZZZNS0_12_GLOBAL__N_117clamp_kernel_implERNS_18TensorIteratorBaseEENKUlvE_clEvENKUlvE2_clEvEUllllE_EEvS5_RKT_EUlibE_EEviT1_
	.p2align	8
	.type	_ZN2at6native32elementwise_kernel_manual_unrollILi128ELi4EZNS0_22gpu_kernel_impl_nocastIZZZNS0_12_GLOBAL__N_117clamp_kernel_implERNS_18TensorIteratorBaseEENKUlvE_clEvENKUlvE2_clEvEUllllE_EEvS5_RKT_EUlibE_EEviT1_,@function
_ZN2at6native32elementwise_kernel_manual_unrollILi128ELi4EZNS0_22gpu_kernel_impl_nocastIZZZNS0_12_GLOBAL__N_117clamp_kernel_implERNS_18TensorIteratorBaseEENKUlvE_clEvENKUlvE2_clEvEUllllE_EEvS5_RKT_EUlibE_EEviT1_: ; @_ZN2at6native32elementwise_kernel_manual_unrollILi128ELi4EZNS0_22gpu_kernel_impl_nocastIZZZNS0_12_GLOBAL__N_117clamp_kernel_implERNS_18TensorIteratorBaseEENKUlvE_clEvENKUlvE2_clEvEUllllE_EEvS5_RKT_EUlibE_EEviT1_
; %bb.0:
	s_clause 0x1
	s_load_b32 s33, s[0:1], 0x8
	s_load_b32 s39, s[0:1], 0x0
	s_bfe_u32 s2, ttmp6, 0x4000c
	s_and_b32 s3, ttmp6, 15
	s_add_co_i32 s2, s2, 1
	s_getreg_b32 s4, hwreg(HW_REG_IB_STS2, 6, 4)
	s_mul_i32 s2, ttmp9, s2
	s_add_nc_u64 s[20:21], s[0:1], 8
	s_add_co_i32 s3, s3, s2
	s_cmp_eq_u32 s4, 0
	s_mov_b32 s25, 0
	s_cselect_b32 s2, ttmp9, s3
	s_wait_xcnt 0x0
	s_mov_b32 s0, exec_lo
	v_lshl_or_b32 v0, s2, 9, v0
	s_delay_alu instid0(VALU_DEP_1) | instskip(SKIP_2) | instid1(SALU_CYCLE_1)
	v_or_b32_e32 v5, 0x180, v0
	s_wait_kmcnt 0x0
	s_add_co_i32 s34, s33, -1
	s_cmp_gt_u32 s34, 1
	s_cselect_b32 s35, -1, 0
	v_cmpx_le_i32_e64 s39, v5
	s_xor_b32 s36, exec_lo, s0
	s_cbranch_execz .LBB125_54
; %bb.1:
	s_clause 0x3
	s_load_b128 s[16:19], s[20:21], 0x4
	s_load_b64 s[22:23], s[20:21], 0x14
	s_load_b256 s[8:15], s[20:21], 0xc4
	s_load_b256 s[0:7], s[20:21], 0x1c8
	s_cmp_lg_u32 s33, 0
	s_mov_b32 s27, s25
	s_cselect_b32 s40, -1, 0
	s_min_u32 s38, s34, 15
	s_cmp_gt_u32 s33, 1
	s_cselect_b32 s37, -1, 0
	s_wait_kmcnt 0x0
	s_mov_b32 s24, s17
	s_mov_b32 s26, s22
	s_mov_b32 s17, exec_lo
	v_cmpx_gt_i32_e64 s39, v0
	s_cbranch_execnz .LBB125_5
; %bb.2:
	s_or_b32 exec_lo, exec_lo, s17
	s_delay_alu instid0(SALU_CYCLE_1)
	s_mov_b32 s17, exec_lo
	v_cmpx_gt_i32_e64 s39, v0
	s_cbranch_execnz .LBB125_17
.LBB125_3:
	s_or_b32 exec_lo, exec_lo, s17
	s_delay_alu instid0(SALU_CYCLE_1)
	s_mov_b32 s17, exec_lo
	v_cmpx_gt_i32_e64 s39, v0
	s_cbranch_execnz .LBB125_29
.LBB125_4:
	s_or_b32 exec_lo, exec_lo, s17
	s_delay_alu instid0(SALU_CYCLE_1)
	s_mov_b32 s17, exec_lo
	v_cmpx_gt_i32_e64 s39, v0
	s_cbranch_execnz .LBB125_41
	s_branch .LBB125_53
.LBB125_5:
	s_and_not1_b32 vcc_lo, exec_lo, s35
	s_cbranch_vccnz .LBB125_11
; %bb.6:
	s_and_not1_b32 vcc_lo, exec_lo, s40
	s_cbranch_vccnz .LBB125_12
; %bb.7:
	v_dual_mov_b32 v6, 0 :: v_dual_mov_b32 v1, v0
	v_dual_mov_b32 v7, 0 :: v_dual_mov_b32 v4, 0
	v_mov_b32_e32 v5, 0
	s_add_co_i32 s22, s38, 1
	s_mov_b64 s[28:29], 0xffffffffffffffe0
	s_and_b32 s22, s22, 30
	s_add_nc_u64 s[28:29], s[20:21], s[28:29]
	s_mov_b64 s[30:31], s[20:21]
.LBB125_8:                              ; =>This Inner Loop Header: Depth=1
	s_clause 0x1
	s_load_b128 s[52:55], s[30:31], 0x4
	s_load_b64 s[42:43], s[30:31], 0x14
	s_load_b256 s[44:51], s[28:29], 0xe4
	s_add_co_i32 s22, s22, -2
	s_wait_xcnt 0x0
	s_add_nc_u64 s[30:31], s[30:31], 24
	s_cmp_lg_u32 s22, 0
	s_add_nc_u64 s[28:29], s[28:29], 32
	s_wait_kmcnt 0x0
	v_mul_hi_u32 v2, s53, v1
	s_delay_alu instid0(VALU_DEP_1) | instskip(NEXT) | instid1(VALU_DEP_1)
	v_add_nc_u32_e32 v2, v1, v2
	v_lshrrev_b32_e32 v2, s54, v2
	s_delay_alu instid0(VALU_DEP_1) | instskip(SKIP_1) | instid1(VALU_DEP_1)
	v_mul_hi_u32 v3, s42, v2
	v_mul_lo_u32 v8, v2, s52
	v_dual_add_nc_u32 v3, v2, v3 :: v_dual_sub_nc_u32 v8, v1, v8
	s_delay_alu instid0(VALU_DEP_1) | instskip(NEXT) | instid1(VALU_DEP_2)
	v_lshrrev_b32_e32 v1, s43, v3
	v_mad_u32 v5, v8, s45, v5
	v_mad_u32 v4, v8, s44, v4
	;; [unrolled: 1-line block ×4, first 2 shown]
	v_mul_lo_u32 v3, v1, s55
	s_delay_alu instid0(VALU_DEP_1) | instskip(NEXT) | instid1(VALU_DEP_1)
	v_sub_nc_u32_e32 v2, v2, v3
	v_mad_u32 v5, v2, s49, v5
	v_mad_u32 v4, v2, s48, v4
	;; [unrolled: 1-line block ×4, first 2 shown]
	s_cbranch_scc1 .LBB125_8
; %bb.9:
	s_bitcmp1_b32 s38, 0
	s_cselect_b32 s22, -1, 0
	s_delay_alu instid0(SALU_CYCLE_1)
	s_and_b32 vcc_lo, exec_lo, s22
	s_cbranch_vccnz .LBB125_13
; %bb.10:
	s_load_b96 s[48:50], s[30:31], 0x4
	s_load_b128 s[44:47], s[28:29], 0xe4
	s_wait_kmcnt 0x0
	v_mul_hi_u32 v2, s49, v1
	s_delay_alu instid0(VALU_DEP_1) | instskip(NEXT) | instid1(VALU_DEP_1)
	v_add_nc_u32_e32 v2, v1, v2
	v_lshrrev_b32_e32 v2, s50, v2
	s_delay_alu instid0(VALU_DEP_1) | instskip(NEXT) | instid1(VALU_DEP_1)
	v_mul_lo_u32 v2, v2, s48
	v_sub_nc_u32_e32 v1, v1, v2
	s_delay_alu instid0(VALU_DEP_1)
	v_mad_u32 v4, v1, s44, v4
	v_mad_u32 v5, v1, s45, v5
	;; [unrolled: 1-line block ×4, first 2 shown]
	s_cbranch_execz .LBB125_14
	s_branch .LBB125_16
.LBB125_11:
                                        ; implicit-def: $vgpr5
                                        ; implicit-def: $vgpr4
                                        ; implicit-def: $vgpr7
                                        ; implicit-def: $vgpr6
	s_branch .LBB125_14
.LBB125_12:
	v_dual_mov_b32 v5, 0 :: v_dual_mov_b32 v4, 0
	v_dual_mov_b32 v7, 0 :: v_dual_mov_b32 v6, 0
.LBB125_13:
	s_cbranch_execnz .LBB125_16
.LBB125_14:
	v_mov_b32_e32 v1, 0
	s_and_not1_b32 vcc_lo, exec_lo, s37
	s_delay_alu instid0(VALU_DEP_1) | instskip(NEXT) | instid1(VALU_DEP_1)
	v_mul_u64_e32 v[2:3], s[24:25], v[0:1]
	v_add_nc_u32_e32 v2, v0, v3
	s_delay_alu instid0(VALU_DEP_1) | instskip(NEXT) | instid1(VALU_DEP_1)
	v_lshrrev_b32_e32 v2, s18, v2
	v_mul_lo_u32 v3, v2, s16
	s_delay_alu instid0(VALU_DEP_1) | instskip(NEXT) | instid1(VALU_DEP_1)
	v_sub_nc_u32_e32 v3, v0, v3
	v_mul_lo_u32 v5, v3, s9
	v_mul_lo_u32 v4, v3, s8
	;; [unrolled: 1-line block ×4, first 2 shown]
	s_cbranch_vccnz .LBB125_16
; %bb.15:
	v_mov_b32_e32 v3, v1
	s_delay_alu instid0(VALU_DEP_1) | instskip(NEXT) | instid1(VALU_DEP_1)
	v_mul_u64_e32 v[8:9], s[26:27], v[2:3]
	v_add_nc_u32_e32 v1, v2, v9
	s_delay_alu instid0(VALU_DEP_1) | instskip(NEXT) | instid1(VALU_DEP_1)
	v_lshrrev_b32_e32 v1, s23, v1
	v_mul_lo_u32 v1, v1, s19
	s_delay_alu instid0(VALU_DEP_1) | instskip(NEXT) | instid1(VALU_DEP_1)
	v_sub_nc_u32_e32 v1, v2, v1
	v_mad_u32 v4, v1, s12, v4
	v_mad_u32 v5, v1, s13, v5
	;; [unrolled: 1-line block ×4, first 2 shown]
.LBB125_16:
	global_load_b64 v[2:3], v5, s[2:3]
	global_load_b64 v[8:9], v6, s[4:5]
	;; [unrolled: 1-line block ×3, first 2 shown]
	v_add_nc_u32_e32 v0, 0x80, v0
	s_wait_loadcnt 0x1
	v_max_i64 v[2:3], v[2:3], v[8:9]
	s_wait_loadcnt 0x0
	s_delay_alu instid0(VALU_DEP_1) | instskip(SKIP_3) | instid1(SALU_CYCLE_1)
	v_min_i64 v[2:3], v[2:3], v[10:11]
	global_store_b64 v4, v[2:3], s[0:1]
	s_wait_xcnt 0x0
	s_or_b32 exec_lo, exec_lo, s17
	s_mov_b32 s17, exec_lo
	v_cmpx_gt_i32_e64 s39, v0
	s_cbranch_execz .LBB125_3
.LBB125_17:
	s_and_not1_b32 vcc_lo, exec_lo, s35
	s_cbranch_vccnz .LBB125_23
; %bb.18:
	s_and_not1_b32 vcc_lo, exec_lo, s40
	s_cbranch_vccnz .LBB125_24
; %bb.19:
	v_dual_mov_b32 v5, 0 :: v_dual_mov_b32 v1, v0
	v_dual_mov_b32 v7, 0 :: v_dual_mov_b32 v4, 0
	v_mov_b32_e32 v6, 0
	s_add_co_i32 s22, s38, 1
	s_mov_b64 s[28:29], 0xffffffffffffffe0
	s_and_b32 s22, s22, 30
	s_add_nc_u64 s[28:29], s[20:21], s[28:29]
	s_mov_b64 s[30:31], s[20:21]
.LBB125_20:                             ; =>This Inner Loop Header: Depth=1
	s_clause 0x1
	s_load_b128 s[52:55], s[30:31], 0x4
	s_load_b64 s[42:43], s[30:31], 0x14
	s_load_b256 s[44:51], s[28:29], 0xe4
	s_add_co_i32 s22, s22, -2
	s_wait_xcnt 0x0
	s_add_nc_u64 s[30:31], s[30:31], 24
	s_cmp_eq_u32 s22, 0
	s_add_nc_u64 s[28:29], s[28:29], 32
	s_wait_kmcnt 0x0
	v_mul_hi_u32 v2, s53, v1
	s_delay_alu instid0(VALU_DEP_1) | instskip(NEXT) | instid1(VALU_DEP_1)
	v_add_nc_u32_e32 v2, v1, v2
	v_lshrrev_b32_e32 v2, s54, v2
	s_delay_alu instid0(VALU_DEP_1) | instskip(SKIP_1) | instid1(VALU_DEP_1)
	v_mul_hi_u32 v3, s42, v2
	v_mul_lo_u32 v8, v2, s52
	v_dual_add_nc_u32 v3, v2, v3 :: v_dual_sub_nc_u32 v8, v1, v8
	s_delay_alu instid0(VALU_DEP_1) | instskip(NEXT) | instid1(VALU_DEP_2)
	v_lshrrev_b32_e32 v1, s43, v3
	v_mad_u32 v6, v8, s45, v6
	v_mad_u32 v4, v8, s44, v4
	v_mad_u32 v7, v8, s47, v7
	v_mad_u32 v5, v8, s46, v5
	v_mul_lo_u32 v3, v1, s55
	s_delay_alu instid0(VALU_DEP_1) | instskip(NEXT) | instid1(VALU_DEP_1)
	v_sub_nc_u32_e32 v2, v2, v3
	v_mad_u32 v6, v2, s49, v6
	v_mad_u32 v4, v2, s48, v4
	;; [unrolled: 1-line block ×4, first 2 shown]
	s_cbranch_scc0 .LBB125_20
; %bb.21:
	s_bitcmp1_b32 s38, 0
	s_cselect_b32 s22, -1, 0
	s_delay_alu instid0(SALU_CYCLE_1)
	s_and_b32 vcc_lo, exec_lo, s22
	s_cbranch_vccnz .LBB125_25
; %bb.22:
	s_load_b96 s[48:50], s[30:31], 0x4
	s_load_b128 s[44:47], s[28:29], 0xe4
	s_wait_kmcnt 0x0
	v_mul_hi_u32 v2, s49, v1
	s_delay_alu instid0(VALU_DEP_1) | instskip(NEXT) | instid1(VALU_DEP_1)
	v_add_nc_u32_e32 v2, v1, v2
	v_lshrrev_b32_e32 v2, s50, v2
	s_delay_alu instid0(VALU_DEP_1) | instskip(NEXT) | instid1(VALU_DEP_1)
	v_mul_lo_u32 v2, v2, s48
	v_sub_nc_u32_e32 v1, v1, v2
	s_delay_alu instid0(VALU_DEP_1)
	v_mad_u32 v4, v1, s44, v4
	v_mad_u32 v6, v1, s45, v6
	;; [unrolled: 1-line block ×4, first 2 shown]
	s_branch .LBB125_25
.LBB125_23:
                                        ; implicit-def: $vgpr6
                                        ; implicit-def: $vgpr4
                                        ; implicit-def: $vgpr7
                                        ; implicit-def: $vgpr5
	s_branch .LBB125_26
.LBB125_24:
	v_dual_mov_b32 v6, 0 :: v_dual_mov_b32 v4, 0
	v_dual_mov_b32 v7, 0 :: v_dual_mov_b32 v5, 0
.LBB125_25:
	s_cbranch_execnz .LBB125_28
.LBB125_26:
	v_mov_b32_e32 v1, 0
	s_and_not1_b32 vcc_lo, exec_lo, s37
	s_delay_alu instid0(VALU_DEP_1) | instskip(NEXT) | instid1(VALU_DEP_1)
	v_mul_u64_e32 v[2:3], s[24:25], v[0:1]
	v_add_nc_u32_e32 v2, v0, v3
	s_delay_alu instid0(VALU_DEP_1) | instskip(NEXT) | instid1(VALU_DEP_1)
	v_lshrrev_b32_e32 v2, s18, v2
	v_mul_lo_u32 v3, v2, s16
	s_delay_alu instid0(VALU_DEP_1) | instskip(NEXT) | instid1(VALU_DEP_1)
	v_sub_nc_u32_e32 v3, v0, v3
	v_mul_lo_u32 v6, v3, s9
	v_mul_lo_u32 v4, v3, s8
	;; [unrolled: 1-line block ×4, first 2 shown]
	s_cbranch_vccnz .LBB125_28
; %bb.27:
	v_mov_b32_e32 v3, v1
	s_delay_alu instid0(VALU_DEP_1) | instskip(NEXT) | instid1(VALU_DEP_1)
	v_mul_u64_e32 v[8:9], s[26:27], v[2:3]
	v_add_nc_u32_e32 v1, v2, v9
	s_delay_alu instid0(VALU_DEP_1) | instskip(NEXT) | instid1(VALU_DEP_1)
	v_lshrrev_b32_e32 v1, s23, v1
	v_mul_lo_u32 v1, v1, s19
	s_delay_alu instid0(VALU_DEP_1) | instskip(NEXT) | instid1(VALU_DEP_1)
	v_sub_nc_u32_e32 v1, v2, v1
	v_mad_u32 v4, v1, s12, v4
	v_mad_u32 v6, v1, s13, v6
	;; [unrolled: 1-line block ×4, first 2 shown]
.LBB125_28:
	global_load_b64 v[2:3], v6, s[2:3]
	global_load_b64 v[8:9], v5, s[4:5]
	;; [unrolled: 1-line block ×3, first 2 shown]
	v_add_nc_u32_e32 v0, 0x80, v0
	s_wait_loadcnt 0x1
	v_max_i64 v[2:3], v[2:3], v[8:9]
	s_wait_loadcnt 0x0
	s_delay_alu instid0(VALU_DEP_1) | instskip(SKIP_3) | instid1(SALU_CYCLE_1)
	v_min_i64 v[2:3], v[2:3], v[10:11]
	global_store_b64 v4, v[2:3], s[0:1]
	s_wait_xcnt 0x0
	s_or_b32 exec_lo, exec_lo, s17
	s_mov_b32 s17, exec_lo
	v_cmpx_gt_i32_e64 s39, v0
	s_cbranch_execz .LBB125_4
.LBB125_29:
	s_and_not1_b32 vcc_lo, exec_lo, s35
	s_cbranch_vccnz .LBB125_35
; %bb.30:
	s_and_not1_b32 vcc_lo, exec_lo, s40
	s_cbranch_vccnz .LBB125_36
; %bb.31:
	v_dual_mov_b32 v6, 0 :: v_dual_mov_b32 v1, v0
	v_dual_mov_b32 v7, 0 :: v_dual_mov_b32 v4, 0
	v_mov_b32_e32 v5, 0
	s_add_co_i32 s22, s38, 1
	s_mov_b64 s[28:29], 0xffffffffffffffe0
	s_and_b32 s22, s22, 30
	s_add_nc_u64 s[28:29], s[20:21], s[28:29]
	s_mov_b64 s[30:31], s[20:21]
.LBB125_32:                             ; =>This Inner Loop Header: Depth=1
	s_clause 0x1
	s_load_b128 s[52:55], s[30:31], 0x4
	s_load_b64 s[42:43], s[30:31], 0x14
	s_load_b256 s[44:51], s[28:29], 0xe4
	s_add_co_i32 s22, s22, -2
	s_wait_xcnt 0x0
	s_add_nc_u64 s[30:31], s[30:31], 24
	s_cmp_eq_u32 s22, 0
	s_add_nc_u64 s[28:29], s[28:29], 32
	s_wait_kmcnt 0x0
	v_mul_hi_u32 v2, s53, v1
	s_delay_alu instid0(VALU_DEP_1) | instskip(NEXT) | instid1(VALU_DEP_1)
	v_add_nc_u32_e32 v2, v1, v2
	v_lshrrev_b32_e32 v2, s54, v2
	s_delay_alu instid0(VALU_DEP_1) | instskip(SKIP_1) | instid1(VALU_DEP_1)
	v_mul_hi_u32 v3, s42, v2
	v_mul_lo_u32 v8, v2, s52
	v_dual_add_nc_u32 v3, v2, v3 :: v_dual_sub_nc_u32 v8, v1, v8
	s_delay_alu instid0(VALU_DEP_1) | instskip(NEXT) | instid1(VALU_DEP_2)
	v_lshrrev_b32_e32 v1, s43, v3
	v_mad_u32 v5, v8, s45, v5
	v_mad_u32 v4, v8, s44, v4
	;; [unrolled: 1-line block ×4, first 2 shown]
	v_mul_lo_u32 v3, v1, s55
	s_delay_alu instid0(VALU_DEP_1) | instskip(NEXT) | instid1(VALU_DEP_1)
	v_sub_nc_u32_e32 v2, v2, v3
	v_mad_u32 v5, v2, s49, v5
	v_mad_u32 v4, v2, s48, v4
	;; [unrolled: 1-line block ×4, first 2 shown]
	s_cbranch_scc0 .LBB125_32
; %bb.33:
	s_bitcmp1_b32 s38, 0
	s_cselect_b32 s22, -1, 0
	s_delay_alu instid0(SALU_CYCLE_1)
	s_and_b32 vcc_lo, exec_lo, s22
	s_cbranch_vccnz .LBB125_37
; %bb.34:
	s_load_b96 s[48:50], s[30:31], 0x4
	s_load_b128 s[44:47], s[28:29], 0xe4
	s_wait_kmcnt 0x0
	v_mul_hi_u32 v2, s49, v1
	s_delay_alu instid0(VALU_DEP_1) | instskip(NEXT) | instid1(VALU_DEP_1)
	v_add_nc_u32_e32 v2, v1, v2
	v_lshrrev_b32_e32 v2, s50, v2
	s_delay_alu instid0(VALU_DEP_1) | instskip(NEXT) | instid1(VALU_DEP_1)
	v_mul_lo_u32 v2, v2, s48
	v_sub_nc_u32_e32 v1, v1, v2
	s_delay_alu instid0(VALU_DEP_1)
	v_mad_u32 v4, v1, s44, v4
	v_mad_u32 v5, v1, s45, v5
	;; [unrolled: 1-line block ×4, first 2 shown]
	s_branch .LBB125_37
.LBB125_35:
                                        ; implicit-def: $vgpr5
                                        ; implicit-def: $vgpr4
                                        ; implicit-def: $vgpr7
                                        ; implicit-def: $vgpr6
	s_branch .LBB125_38
.LBB125_36:
	v_dual_mov_b32 v5, 0 :: v_dual_mov_b32 v4, 0
	v_dual_mov_b32 v7, 0 :: v_dual_mov_b32 v6, 0
.LBB125_37:
	s_cbranch_execnz .LBB125_40
.LBB125_38:
	v_mov_b32_e32 v1, 0
	s_and_not1_b32 vcc_lo, exec_lo, s37
	s_delay_alu instid0(VALU_DEP_1) | instskip(NEXT) | instid1(VALU_DEP_1)
	v_mul_u64_e32 v[2:3], s[24:25], v[0:1]
	v_add_nc_u32_e32 v2, v0, v3
	s_delay_alu instid0(VALU_DEP_1) | instskip(NEXT) | instid1(VALU_DEP_1)
	v_lshrrev_b32_e32 v2, s18, v2
	v_mul_lo_u32 v3, v2, s16
	s_delay_alu instid0(VALU_DEP_1) | instskip(NEXT) | instid1(VALU_DEP_1)
	v_sub_nc_u32_e32 v3, v0, v3
	v_mul_lo_u32 v5, v3, s9
	v_mul_lo_u32 v4, v3, s8
	;; [unrolled: 1-line block ×4, first 2 shown]
	s_cbranch_vccnz .LBB125_40
; %bb.39:
	v_mov_b32_e32 v3, v1
	s_delay_alu instid0(VALU_DEP_1) | instskip(NEXT) | instid1(VALU_DEP_1)
	v_mul_u64_e32 v[8:9], s[26:27], v[2:3]
	v_add_nc_u32_e32 v1, v2, v9
	s_delay_alu instid0(VALU_DEP_1) | instskip(NEXT) | instid1(VALU_DEP_1)
	v_lshrrev_b32_e32 v1, s23, v1
	v_mul_lo_u32 v1, v1, s19
	s_delay_alu instid0(VALU_DEP_1) | instskip(NEXT) | instid1(VALU_DEP_1)
	v_sub_nc_u32_e32 v1, v2, v1
	v_mad_u32 v4, v1, s12, v4
	v_mad_u32 v5, v1, s13, v5
	;; [unrolled: 1-line block ×4, first 2 shown]
.LBB125_40:
	global_load_b64 v[2:3], v5, s[2:3]
	global_load_b64 v[8:9], v6, s[4:5]
	;; [unrolled: 1-line block ×3, first 2 shown]
	v_add_nc_u32_e32 v0, 0x80, v0
	s_wait_loadcnt 0x1
	v_max_i64 v[2:3], v[2:3], v[8:9]
	s_wait_loadcnt 0x0
	s_delay_alu instid0(VALU_DEP_1) | instskip(SKIP_3) | instid1(SALU_CYCLE_1)
	v_min_i64 v[2:3], v[2:3], v[10:11]
	global_store_b64 v4, v[2:3], s[0:1]
	s_wait_xcnt 0x0
	s_or_b32 exec_lo, exec_lo, s17
	s_mov_b32 s17, exec_lo
	v_cmpx_gt_i32_e64 s39, v0
	s_cbranch_execz .LBB125_53
.LBB125_41:
	s_and_not1_b32 vcc_lo, exec_lo, s35
	s_cbranch_vccnz .LBB125_47
; %bb.42:
	s_and_not1_b32 vcc_lo, exec_lo, s40
	s_cbranch_vccnz .LBB125_48
; %bb.43:
	v_dual_mov_b32 v5, 0 :: v_dual_mov_b32 v1, v0
	v_dual_mov_b32 v7, 0 :: v_dual_mov_b32 v4, 0
	v_mov_b32_e32 v6, 0
	s_add_co_i32 s22, s38, 1
	s_mov_b64 s[28:29], 0xffffffffffffffe0
	s_and_b32 s22, s22, 30
	s_add_nc_u64 s[28:29], s[20:21], s[28:29]
	s_mov_b64 s[30:31], s[20:21]
.LBB125_44:                             ; =>This Inner Loop Header: Depth=1
	s_clause 0x1
	s_load_b128 s[48:51], s[30:31], 0x4
	s_load_b64 s[52:53], s[30:31], 0x14
	s_load_b256 s[40:47], s[28:29], 0xe4
	s_add_co_i32 s22, s22, -2
	s_wait_xcnt 0x0
	s_add_nc_u64 s[30:31], s[30:31], 24
	s_cmp_eq_u32 s22, 0
	s_add_nc_u64 s[28:29], s[28:29], 32
	s_wait_kmcnt 0x0
	v_mul_hi_u32 v2, s49, v1
	s_delay_alu instid0(VALU_DEP_1) | instskip(NEXT) | instid1(VALU_DEP_1)
	v_add_nc_u32_e32 v2, v1, v2
	v_lshrrev_b32_e32 v2, s50, v2
	s_delay_alu instid0(VALU_DEP_1) | instskip(SKIP_1) | instid1(VALU_DEP_1)
	v_mul_hi_u32 v3, s52, v2
	v_mul_lo_u32 v8, v2, s48
	v_dual_add_nc_u32 v3, v2, v3 :: v_dual_sub_nc_u32 v8, v1, v8
	s_delay_alu instid0(VALU_DEP_1) | instskip(NEXT) | instid1(VALU_DEP_2)
	v_lshrrev_b32_e32 v1, s53, v3
	v_mad_u32 v6, v8, s41, v6
	v_mad_u32 v4, v8, s40, v4
	;; [unrolled: 1-line block ×4, first 2 shown]
	v_mul_lo_u32 v3, v1, s51
	s_delay_alu instid0(VALU_DEP_1) | instskip(NEXT) | instid1(VALU_DEP_1)
	v_sub_nc_u32_e32 v2, v2, v3
	v_mad_u32 v6, v2, s45, v6
	v_mad_u32 v4, v2, s44, v4
	v_mad_u32 v7, v2, s47, v7
	v_mad_u32 v5, v2, s46, v5
	s_cbranch_scc0 .LBB125_44
; %bb.45:
	s_bitcmp1_b32 s38, 0
	s_cselect_b32 s22, -1, 0
	s_delay_alu instid0(SALU_CYCLE_1)
	s_and_b32 vcc_lo, exec_lo, s22
	s_cbranch_vccnz .LBB125_49
; %bb.46:
	s_load_b96 s[44:46], s[30:31], 0x4
	s_load_b128 s[40:43], s[28:29], 0xe4
	s_wait_kmcnt 0x0
	v_mul_hi_u32 v2, s45, v1
	s_delay_alu instid0(VALU_DEP_1) | instskip(NEXT) | instid1(VALU_DEP_1)
	v_add_nc_u32_e32 v2, v1, v2
	v_lshrrev_b32_e32 v2, s46, v2
	s_delay_alu instid0(VALU_DEP_1) | instskip(NEXT) | instid1(VALU_DEP_1)
	v_mul_lo_u32 v2, v2, s44
	v_sub_nc_u32_e32 v1, v1, v2
	s_delay_alu instid0(VALU_DEP_1)
	v_mad_u32 v4, v1, s40, v4
	v_mad_u32 v6, v1, s41, v6
	;; [unrolled: 1-line block ×4, first 2 shown]
	s_branch .LBB125_49
.LBB125_47:
                                        ; implicit-def: $vgpr6
                                        ; implicit-def: $vgpr4
                                        ; implicit-def: $vgpr7
                                        ; implicit-def: $vgpr5
	s_branch .LBB125_50
.LBB125_48:
	v_dual_mov_b32 v6, 0 :: v_dual_mov_b32 v4, 0
	v_dual_mov_b32 v7, 0 :: v_dual_mov_b32 v5, 0
.LBB125_49:
	s_cbranch_execnz .LBB125_52
.LBB125_50:
	v_mov_b32_e32 v1, 0
	s_and_not1_b32 vcc_lo, exec_lo, s37
	s_delay_alu instid0(VALU_DEP_1) | instskip(NEXT) | instid1(VALU_DEP_1)
	v_mul_u64_e32 v[2:3], s[24:25], v[0:1]
	v_add_nc_u32_e32 v2, v0, v3
	s_delay_alu instid0(VALU_DEP_1) | instskip(NEXT) | instid1(VALU_DEP_1)
	v_lshrrev_b32_e32 v2, s18, v2
	v_mul_lo_u32 v3, v2, s16
	s_delay_alu instid0(VALU_DEP_1) | instskip(NEXT) | instid1(VALU_DEP_1)
	v_sub_nc_u32_e32 v0, v0, v3
	v_mul_lo_u32 v6, v0, s9
	v_mul_lo_u32 v4, v0, s8
	;; [unrolled: 1-line block ×4, first 2 shown]
	s_cbranch_vccnz .LBB125_52
; %bb.51:
	v_mov_b32_e32 v3, v1
	s_delay_alu instid0(VALU_DEP_1) | instskip(NEXT) | instid1(VALU_DEP_1)
	v_mul_u64_e32 v[0:1], s[26:27], v[2:3]
	v_add_nc_u32_e32 v0, v2, v1
	s_delay_alu instid0(VALU_DEP_1) | instskip(NEXT) | instid1(VALU_DEP_1)
	v_lshrrev_b32_e32 v0, s23, v0
	v_mul_lo_u32 v0, v0, s19
	s_delay_alu instid0(VALU_DEP_1) | instskip(NEXT) | instid1(VALU_DEP_1)
	v_sub_nc_u32_e32 v0, v2, v0
	v_mad_u32 v4, v0, s12, v4
	v_mad_u32 v6, v0, s13, v6
	;; [unrolled: 1-line block ×4, first 2 shown]
.LBB125_52:
	global_load_b64 v[0:1], v6, s[2:3]
	global_load_b64 v[2:3], v5, s[4:5]
	;; [unrolled: 1-line block ×3, first 2 shown]
	s_wait_loadcnt 0x1
	v_max_i64 v[0:1], v[0:1], v[2:3]
	s_wait_loadcnt 0x0
	s_delay_alu instid0(VALU_DEP_1)
	v_min_i64 v[0:1], v[0:1], v[8:9]
	global_store_b64 v4, v[0:1], s[0:1]
.LBB125_53:
	s_wait_xcnt 0x0
	s_or_b32 exec_lo, exec_lo, s17
                                        ; implicit-def: $vgpr5
                                        ; implicit-def: $vgpr0
.LBB125_54:
	s_and_not1_saveexec_b32 s0, s36
	s_cbranch_execz .LBB125_61
; %bb.55:
	v_cndmask_b32_e64 v7, 0, 1, s35
	s_and_not1_b32 vcc_lo, exec_lo, s35
	s_cbranch_vccnz .LBB125_62
; %bb.56:
	s_cmp_lg_u32 s33, 0
	s_mov_b32 s4, 0
	s_cbranch_scc0 .LBB125_66
; %bb.57:
	s_min_u32 s5, s34, 15
	v_dual_mov_b32 v2, 0 :: v_dual_mov_b32 v6, v0
	v_dual_mov_b32 v4, 0 :: v_dual_mov_b32 v1, 0
	v_mov_b32_e32 v3, 0
	s_add_co_i32 s2, s5, 1
	s_mov_b64 s[0:1], 0xffffffffffffffe0
	s_and_b32 s6, s2, 30
	s_add_nc_u64 s[0:1], s[20:21], s[0:1]
	s_mov_b64 s[2:3], s[20:21]
.LBB125_58:                             ; =>This Inner Loop Header: Depth=1
	s_clause 0x1
	s_load_b128 s[16:19], s[2:3], 0x4
	s_load_b64 s[22:23], s[2:3], 0x14
	s_load_b256 s[8:15], s[0:1], 0xe4
	s_add_co_i32 s6, s6, -2
	s_wait_xcnt 0x0
	s_add_nc_u64 s[2:3], s[2:3], 24
	s_cmp_lg_u32 s6, 0
	s_add_nc_u64 s[0:1], s[0:1], 32
	s_wait_kmcnt 0x0
	v_mul_hi_u32 v8, s17, v6
	s_delay_alu instid0(VALU_DEP_1) | instskip(NEXT) | instid1(VALU_DEP_1)
	v_add_nc_u32_e32 v8, v6, v8
	v_lshrrev_b32_e32 v8, s18, v8
	s_delay_alu instid0(VALU_DEP_1) | instskip(SKIP_1) | instid1(VALU_DEP_1)
	v_mul_hi_u32 v9, s22, v8
	v_mul_lo_u32 v10, v8, s16
	v_dual_add_nc_u32 v9, v8, v9 :: v_dual_sub_nc_u32 v10, v6, v10
	s_delay_alu instid0(VALU_DEP_1) | instskip(NEXT) | instid1(VALU_DEP_2)
	v_lshrrev_b32_e32 v6, s23, v9
	v_mad_u32 v3, v10, s9, v3
	v_mad_u32 v1, v10, s8, v1
	;; [unrolled: 1-line block ×4, first 2 shown]
	v_mul_lo_u32 v9, v6, s19
	s_delay_alu instid0(VALU_DEP_1) | instskip(NEXT) | instid1(VALU_DEP_1)
	v_sub_nc_u32_e32 v8, v8, v9
	v_mad_u32 v3, v8, s13, v3
	v_mad_u32 v1, v8, s12, v1
	;; [unrolled: 1-line block ×4, first 2 shown]
	s_cbranch_scc1 .LBB125_58
; %bb.59:
	s_bitcmp1_b32 s5, 0
	s_cselect_b32 s5, -1, 0
	s_delay_alu instid0(SALU_CYCLE_1)
	s_and_b32 vcc_lo, exec_lo, s5
	s_cbranch_vccnz .LBB125_63
; %bb.60:
	s_load_b96 s[12:14], s[2:3], 0x4
	s_load_b128 s[8:11], s[0:1], 0xe4
	s_wait_kmcnt 0x0
	v_mul_hi_u32 v8, s13, v6
	s_delay_alu instid0(VALU_DEP_1) | instskip(NEXT) | instid1(VALU_DEP_1)
	v_add_nc_u32_e32 v8, v6, v8
	v_lshrrev_b32_e32 v8, s14, v8
	s_delay_alu instid0(VALU_DEP_1) | instskip(NEXT) | instid1(VALU_DEP_1)
	v_mul_lo_u32 v8, v8, s12
	v_sub_nc_u32_e32 v6, v6, v8
	s_delay_alu instid0(VALU_DEP_1)
	v_mad_u32 v1, v6, s8, v1
	v_mad_u32 v3, v6, s9, v3
	;; [unrolled: 1-line block ×4, first 2 shown]
	s_and_not1_b32 vcc_lo, exec_lo, s4
	s_cbranch_vccz .LBB125_64
	s_branch .LBB125_67
.LBB125_61:
	s_endpgm
.LBB125_62:
	s_mov_b32 s4, -1
                                        ; implicit-def: $vgpr3
                                        ; implicit-def: $vgpr1
                                        ; implicit-def: $vgpr4
                                        ; implicit-def: $vgpr2
.LBB125_63:
	s_delay_alu instid0(SALU_CYCLE_1)
	s_and_not1_b32 vcc_lo, exec_lo, s4
	s_cbranch_vccnz .LBB125_67
.LBB125_64:
	s_clause 0x1
	s_load_b96 s[4:6], s[20:21], 0x4
	s_load_b128 s[0:3], s[20:21], 0xc4
	s_cmp_lt_u32 s33, 2
	s_wait_kmcnt 0x0
	v_mul_hi_u32 v1, s5, v0
	s_delay_alu instid0(VALU_DEP_1) | instskip(NEXT) | instid1(VALU_DEP_1)
	v_add_nc_u32_e32 v1, v0, v1
	v_lshrrev_b32_e32 v6, s6, v1
	s_delay_alu instid0(VALU_DEP_1) | instskip(NEXT) | instid1(VALU_DEP_1)
	v_mul_lo_u32 v1, v6, s4
	v_sub_nc_u32_e32 v2, v0, v1
	s_delay_alu instid0(VALU_DEP_1)
	v_mul_lo_u32 v3, v2, s1
	v_mul_lo_u32 v1, v2, s0
	;; [unrolled: 1-line block ×4, first 2 shown]
	s_cbranch_scc1 .LBB125_67
; %bb.65:
	s_clause 0x1
	s_load_b96 s[4:6], s[20:21], 0x10
	s_load_b128 s[0:3], s[20:21], 0xd4
	s_wait_kmcnt 0x0
	v_mul_hi_u32 v8, s5, v6
	s_delay_alu instid0(VALU_DEP_1) | instskip(NEXT) | instid1(VALU_DEP_1)
	v_add_nc_u32_e32 v8, v6, v8
	v_lshrrev_b32_e32 v8, s6, v8
	s_delay_alu instid0(VALU_DEP_1) | instskip(NEXT) | instid1(VALU_DEP_1)
	v_mul_lo_u32 v8, v8, s4
	v_sub_nc_u32_e32 v6, v6, v8
	s_delay_alu instid0(VALU_DEP_1)
	v_mad_u32 v1, v6, s0, v1
	v_mad_u32 v3, v6, s1, v3
	v_mad_u32 v2, v6, s2, v2
	v_mad_u32 v4, v6, s3, v4
	s_branch .LBB125_67
.LBB125_66:
	v_dual_mov_b32 v3, 0 :: v_dual_mov_b32 v1, 0
	v_dual_mov_b32 v4, 0 :: v_dual_mov_b32 v2, 0
	s_and_not1_b32 vcc_lo, exec_lo, s4
	s_cbranch_vccz .LBB125_64
.LBB125_67:
	v_cmp_ne_u32_e32 vcc_lo, 1, v7
	v_add_nc_u32_e32 v11, 0x80, v0
	s_cbranch_vccnz .LBB125_73
; %bb.68:
	s_cmp_lg_u32 s33, 0
	s_mov_b32 s4, 0
	s_cbranch_scc0 .LBB125_77
; %bb.69:
	s_min_u32 s5, s34, 15
	v_dual_mov_b32 v10, 0 :: v_dual_mov_b32 v12, v11
	v_dual_mov_b32 v9, 0 :: v_dual_mov_b32 v6, 0
	v_mov_b32_e32 v8, 0
	s_add_co_i32 s2, s5, 1
	s_mov_b64 s[0:1], 0xffffffffffffffe0
	s_and_b32 s6, s2, 30
	s_add_nc_u64 s[0:1], s[20:21], s[0:1]
	s_mov_b64 s[2:3], s[20:21]
.LBB125_70:                             ; =>This Inner Loop Header: Depth=1
	s_clause 0x1
	s_load_b128 s[16:19], s[2:3], 0x4
	s_load_b64 s[22:23], s[2:3], 0x14
	s_load_b256 s[8:15], s[0:1], 0xe4
	s_add_co_i32 s6, s6, -2
	s_wait_xcnt 0x0
	s_add_nc_u64 s[2:3], s[2:3], 24
	s_cmp_lg_u32 s6, 0
	s_add_nc_u64 s[0:1], s[0:1], 32
	s_wait_kmcnt 0x0
	v_mul_hi_u32 v13, s17, v12
	s_delay_alu instid0(VALU_DEP_1) | instskip(NEXT) | instid1(VALU_DEP_1)
	v_add_nc_u32_e32 v13, v12, v13
	v_lshrrev_b32_e32 v13, s18, v13
	s_delay_alu instid0(VALU_DEP_1) | instskip(SKIP_1) | instid1(VALU_DEP_1)
	v_mul_hi_u32 v14, s22, v13
	v_mul_lo_u32 v15, v13, s16
	v_dual_add_nc_u32 v14, v13, v14 :: v_dual_sub_nc_u32 v15, v12, v15
	s_delay_alu instid0(VALU_DEP_1) | instskip(NEXT) | instid1(VALU_DEP_2)
	v_lshrrev_b32_e32 v12, s23, v14
	v_mad_u32 v8, v15, s9, v8
	v_mad_u32 v6, v15, s8, v6
	;; [unrolled: 1-line block ×4, first 2 shown]
	v_mul_lo_u32 v14, v12, s19
	s_delay_alu instid0(VALU_DEP_1) | instskip(NEXT) | instid1(VALU_DEP_1)
	v_sub_nc_u32_e32 v13, v13, v14
	v_mad_u32 v8, v13, s13, v8
	v_mad_u32 v6, v13, s12, v6
	;; [unrolled: 1-line block ×4, first 2 shown]
	s_cbranch_scc1 .LBB125_70
; %bb.71:
	s_bitcmp1_b32 s5, 0
	s_cselect_b32 s5, -1, 0
	s_delay_alu instid0(SALU_CYCLE_1)
	s_and_b32 vcc_lo, exec_lo, s5
	s_cbranch_vccnz .LBB125_74
; %bb.72:
	s_load_b96 s[12:14], s[2:3], 0x4
	s_load_b128 s[8:11], s[0:1], 0xe4
	s_wait_kmcnt 0x0
	v_mul_hi_u32 v13, s13, v12
	s_delay_alu instid0(VALU_DEP_1) | instskip(NEXT) | instid1(VALU_DEP_1)
	v_add_nc_u32_e32 v13, v12, v13
	v_lshrrev_b32_e32 v13, s14, v13
	s_delay_alu instid0(VALU_DEP_1) | instskip(NEXT) | instid1(VALU_DEP_1)
	v_mul_lo_u32 v13, v13, s12
	v_sub_nc_u32_e32 v12, v12, v13
	s_delay_alu instid0(VALU_DEP_1)
	v_mad_u32 v6, v12, s8, v6
	v_mad_u32 v8, v12, s9, v8
	;; [unrolled: 1-line block ×4, first 2 shown]
	s_and_not1_b32 vcc_lo, exec_lo, s4
	s_cbranch_vccz .LBB125_75
	s_branch .LBB125_78
.LBB125_73:
	s_mov_b32 s4, -1
                                        ; implicit-def: $vgpr8
                                        ; implicit-def: $vgpr6
                                        ; implicit-def: $vgpr9
                                        ; implicit-def: $vgpr10
.LBB125_74:
	s_delay_alu instid0(SALU_CYCLE_1)
	s_and_not1_b32 vcc_lo, exec_lo, s4
	s_cbranch_vccnz .LBB125_78
.LBB125_75:
	s_clause 0x1
	s_load_b96 s[4:6], s[20:21], 0x4
	s_load_b128 s[0:3], s[20:21], 0xc4
	s_cmp_lt_u32 s33, 2
	s_wait_kmcnt 0x0
	v_mul_hi_u32 v6, s5, v11
	s_delay_alu instid0(VALU_DEP_1) | instskip(NEXT) | instid1(VALU_DEP_1)
	v_add_nc_u32_e32 v6, v11, v6
	v_lshrrev_b32_e32 v12, s6, v6
	s_delay_alu instid0(VALU_DEP_1) | instskip(NEXT) | instid1(VALU_DEP_1)
	v_mul_lo_u32 v6, v12, s4
	v_sub_nc_u32_e32 v10, v11, v6
	s_delay_alu instid0(VALU_DEP_1)
	v_mul_lo_u32 v8, v10, s1
	v_mul_lo_u32 v6, v10, s0
	v_mul_lo_u32 v9, v10, s3
	v_mul_lo_u32 v10, v10, s2
	s_cbranch_scc1 .LBB125_78
; %bb.76:
	s_clause 0x1
	s_load_b96 s[4:6], s[20:21], 0x10
	s_load_b128 s[0:3], s[20:21], 0xd4
	s_wait_kmcnt 0x0
	v_mul_hi_u32 v11, s5, v12
	s_delay_alu instid0(VALU_DEP_1) | instskip(NEXT) | instid1(VALU_DEP_1)
	v_add_nc_u32_e32 v11, v12, v11
	v_lshrrev_b32_e32 v11, s6, v11
	s_delay_alu instid0(VALU_DEP_1) | instskip(NEXT) | instid1(VALU_DEP_1)
	v_mul_lo_u32 v11, v11, s4
	v_sub_nc_u32_e32 v11, v12, v11
	s_delay_alu instid0(VALU_DEP_1)
	v_mad_u32 v6, v11, s0, v6
	v_mad_u32 v8, v11, s1, v8
	;; [unrolled: 1-line block ×4, first 2 shown]
	s_branch .LBB125_78
.LBB125_77:
	v_dual_mov_b32 v8, 0 :: v_dual_mov_b32 v6, 0
	v_dual_mov_b32 v9, 0 :: v_dual_mov_b32 v10, 0
	s_and_not1_b32 vcc_lo, exec_lo, s4
	s_cbranch_vccz .LBB125_75
.LBB125_78:
	v_cmp_ne_u32_e32 vcc_lo, 1, v7
	v_add_nc_u32_e32 v14, 0x100, v0
	s_cbranch_vccnz .LBB125_84
; %bb.79:
	s_cmp_lg_u32 s33, 0
	s_mov_b32 s4, 0
	s_cbranch_scc0 .LBB125_88
; %bb.80:
	s_min_u32 s5, s34, 15
	v_dual_mov_b32 v13, 0 :: v_dual_mov_b32 v15, v14
	v_dual_mov_b32 v12, 0 :: v_dual_mov_b32 v0, 0
	v_mov_b32_e32 v11, 0
	s_add_co_i32 s2, s5, 1
	s_mov_b64 s[0:1], 0xffffffffffffffe0
	s_and_b32 s6, s2, 30
	s_add_nc_u64 s[0:1], s[20:21], s[0:1]
	s_mov_b64 s[2:3], s[20:21]
.LBB125_81:                             ; =>This Inner Loop Header: Depth=1
	s_clause 0x1
	s_load_b128 s[16:19], s[2:3], 0x4
	s_load_b64 s[22:23], s[2:3], 0x14
	s_load_b256 s[8:15], s[0:1], 0xe4
	s_add_co_i32 s6, s6, -2
	s_wait_xcnt 0x0
	s_add_nc_u64 s[2:3], s[2:3], 24
	s_cmp_lg_u32 s6, 0
	s_add_nc_u64 s[0:1], s[0:1], 32
	s_wait_kmcnt 0x0
	v_mul_hi_u32 v16, s17, v15
	s_delay_alu instid0(VALU_DEP_1) | instskip(NEXT) | instid1(VALU_DEP_1)
	v_add_nc_u32_e32 v16, v15, v16
	v_lshrrev_b32_e32 v16, s18, v16
	s_delay_alu instid0(VALU_DEP_1) | instskip(SKIP_1) | instid1(VALU_DEP_1)
	v_mul_hi_u32 v17, s22, v16
	v_mul_lo_u32 v18, v16, s16
	v_dual_add_nc_u32 v17, v16, v17 :: v_dual_sub_nc_u32 v18, v15, v18
	s_delay_alu instid0(VALU_DEP_1) | instskip(NEXT) | instid1(VALU_DEP_2)
	v_lshrrev_b32_e32 v15, s23, v17
	v_mad_u32 v11, v18, s9, v11
	v_mad_u32 v0, v18, s8, v0
	;; [unrolled: 1-line block ×4, first 2 shown]
	v_mul_lo_u32 v17, v15, s19
	s_delay_alu instid0(VALU_DEP_1) | instskip(NEXT) | instid1(VALU_DEP_1)
	v_sub_nc_u32_e32 v16, v16, v17
	v_mad_u32 v11, v16, s13, v11
	v_mad_u32 v0, v16, s12, v0
	v_mad_u32 v12, v16, s15, v12
	v_mad_u32 v13, v16, s14, v13
	s_cbranch_scc1 .LBB125_81
; %bb.82:
	s_bitcmp1_b32 s5, 0
	s_cselect_b32 s5, -1, 0
	s_delay_alu instid0(SALU_CYCLE_1)
	s_and_b32 vcc_lo, exec_lo, s5
	s_cbranch_vccnz .LBB125_85
; %bb.83:
	s_load_b96 s[12:14], s[2:3], 0x4
	s_load_b128 s[8:11], s[0:1], 0xe4
	s_wait_kmcnt 0x0
	v_mul_hi_u32 v16, s13, v15
	s_delay_alu instid0(VALU_DEP_1) | instskip(NEXT) | instid1(VALU_DEP_1)
	v_add_nc_u32_e32 v16, v15, v16
	v_lshrrev_b32_e32 v16, s14, v16
	s_delay_alu instid0(VALU_DEP_1) | instskip(NEXT) | instid1(VALU_DEP_1)
	v_mul_lo_u32 v16, v16, s12
	v_sub_nc_u32_e32 v15, v15, v16
	s_delay_alu instid0(VALU_DEP_1)
	v_mad_u32 v0, v15, s8, v0
	v_mad_u32 v11, v15, s9, v11
	;; [unrolled: 1-line block ×4, first 2 shown]
	s_and_not1_b32 vcc_lo, exec_lo, s4
	s_cbranch_vccz .LBB125_86
	s_branch .LBB125_89
.LBB125_84:
	s_mov_b32 s4, -1
                                        ; implicit-def: $vgpr11
                                        ; implicit-def: $vgpr0
                                        ; implicit-def: $vgpr12
                                        ; implicit-def: $vgpr13
.LBB125_85:
	s_delay_alu instid0(SALU_CYCLE_1)
	s_and_not1_b32 vcc_lo, exec_lo, s4
	s_cbranch_vccnz .LBB125_89
.LBB125_86:
	s_clause 0x1
	s_load_b96 s[4:6], s[20:21], 0x4
	s_load_b128 s[0:3], s[20:21], 0xc4
	s_cmp_lt_u32 s33, 2
	s_wait_kmcnt 0x0
	v_mul_hi_u32 v0, s5, v14
	s_delay_alu instid0(VALU_DEP_1) | instskip(NEXT) | instid1(VALU_DEP_1)
	v_add_nc_u32_e32 v0, v14, v0
	v_lshrrev_b32_e32 v15, s6, v0
	s_delay_alu instid0(VALU_DEP_1) | instskip(NEXT) | instid1(VALU_DEP_1)
	v_mul_lo_u32 v0, v15, s4
	v_sub_nc_u32_e32 v13, v14, v0
	s_delay_alu instid0(VALU_DEP_1)
	v_mul_lo_u32 v11, v13, s1
	v_mul_lo_u32 v0, v13, s0
	;; [unrolled: 1-line block ×4, first 2 shown]
	s_cbranch_scc1 .LBB125_89
; %bb.87:
	s_clause 0x1
	s_load_b96 s[4:6], s[20:21], 0x10
	s_load_b128 s[0:3], s[20:21], 0xd4
	s_wait_kmcnt 0x0
	v_mul_hi_u32 v14, s5, v15
	s_delay_alu instid0(VALU_DEP_1) | instskip(NEXT) | instid1(VALU_DEP_1)
	v_add_nc_u32_e32 v14, v15, v14
	v_lshrrev_b32_e32 v14, s6, v14
	s_delay_alu instid0(VALU_DEP_1) | instskip(NEXT) | instid1(VALU_DEP_1)
	v_mul_lo_u32 v14, v14, s4
	v_sub_nc_u32_e32 v14, v15, v14
	s_delay_alu instid0(VALU_DEP_1)
	v_mad_u32 v0, v14, s0, v0
	v_mad_u32 v11, v14, s1, v11
	;; [unrolled: 1-line block ×4, first 2 shown]
	s_branch .LBB125_89
.LBB125_88:
	v_dual_mov_b32 v11, 0 :: v_dual_mov_b32 v0, 0
	v_dual_mov_b32 v12, 0 :: v_dual_mov_b32 v13, 0
	s_and_not1_b32 vcc_lo, exec_lo, s4
	s_cbranch_vccz .LBB125_86
.LBB125_89:
	v_cmp_ne_u32_e32 vcc_lo, 1, v7
	s_cbranch_vccnz .LBB125_95
; %bb.90:
	s_cmp_lg_u32 s33, 0
	s_mov_b32 s4, 0
	s_cbranch_scc0 .LBB125_99
; %bb.91:
	s_min_u32 s5, s34, 15
	v_dual_mov_b32 v15, 0 :: v_dual_mov_b32 v17, v5
	v_dual_mov_b32 v16, 0 :: v_dual_mov_b32 v7, 0
	v_mov_b32_e32 v14, 0
	s_add_co_i32 s2, s5, 1
	s_mov_b64 s[0:1], 0xffffffffffffffe0
	s_and_b32 s6, s2, 30
	s_add_nc_u64 s[0:1], s[20:21], s[0:1]
	s_mov_b64 s[2:3], s[20:21]
.LBB125_92:                             ; =>This Inner Loop Header: Depth=1
	s_clause 0x1
	s_load_b128 s[16:19], s[2:3], 0x4
	s_load_b64 s[22:23], s[2:3], 0x14
	s_load_b256 s[8:15], s[0:1], 0xe4
	s_add_co_i32 s6, s6, -2
	s_wait_xcnt 0x0
	s_add_nc_u64 s[2:3], s[2:3], 24
	s_cmp_lg_u32 s6, 0
	s_add_nc_u64 s[0:1], s[0:1], 32
	s_wait_kmcnt 0x0
	v_mul_hi_u32 v18, s17, v17
	s_delay_alu instid0(VALU_DEP_1) | instskip(NEXT) | instid1(VALU_DEP_1)
	v_add_nc_u32_e32 v18, v17, v18
	v_lshrrev_b32_e32 v18, s18, v18
	s_delay_alu instid0(VALU_DEP_1) | instskip(SKIP_1) | instid1(VALU_DEP_1)
	v_mul_hi_u32 v19, s22, v18
	v_mul_lo_u32 v20, v18, s16
	v_dual_add_nc_u32 v19, v18, v19 :: v_dual_sub_nc_u32 v20, v17, v20
	s_delay_alu instid0(VALU_DEP_1) | instskip(NEXT) | instid1(VALU_DEP_2)
	v_lshrrev_b32_e32 v17, s23, v19
	v_mad_u32 v14, v20, s9, v14
	v_mad_u32 v7, v20, s8, v7
	;; [unrolled: 1-line block ×4, first 2 shown]
	v_mul_lo_u32 v19, v17, s19
	s_delay_alu instid0(VALU_DEP_1) | instskip(NEXT) | instid1(VALU_DEP_1)
	v_sub_nc_u32_e32 v18, v18, v19
	v_mad_u32 v14, v18, s13, v14
	v_mad_u32 v7, v18, s12, v7
	;; [unrolled: 1-line block ×4, first 2 shown]
	s_cbranch_scc1 .LBB125_92
; %bb.93:
	s_bitcmp1_b32 s5, 0
	s_cselect_b32 s5, -1, 0
	s_delay_alu instid0(SALU_CYCLE_1)
	s_and_b32 vcc_lo, exec_lo, s5
	s_cbranch_vccnz .LBB125_96
; %bb.94:
	s_load_b96 s[12:14], s[2:3], 0x4
	s_load_b128 s[8:11], s[0:1], 0xe4
	s_wait_kmcnt 0x0
	v_mul_hi_u32 v18, s13, v17
	s_delay_alu instid0(VALU_DEP_1) | instskip(NEXT) | instid1(VALU_DEP_1)
	v_add_nc_u32_e32 v18, v17, v18
	v_lshrrev_b32_e32 v18, s14, v18
	s_delay_alu instid0(VALU_DEP_1) | instskip(NEXT) | instid1(VALU_DEP_1)
	v_mul_lo_u32 v18, v18, s12
	v_sub_nc_u32_e32 v17, v17, v18
	s_delay_alu instid0(VALU_DEP_1)
	v_mad_u32 v7, v17, s8, v7
	v_mad_u32 v14, v17, s9, v14
	v_mad_u32 v15, v17, s10, v15
	v_mad_u32 v16, v17, s11, v16
	s_and_not1_b32 vcc_lo, exec_lo, s4
	s_cbranch_vccz .LBB125_97
	s_branch .LBB125_100
.LBB125_95:
	s_mov_b32 s4, -1
                                        ; implicit-def: $vgpr14
                                        ; implicit-def: $vgpr7
                                        ; implicit-def: $vgpr16
                                        ; implicit-def: $vgpr15
.LBB125_96:
	s_delay_alu instid0(SALU_CYCLE_1)
	s_and_not1_b32 vcc_lo, exec_lo, s4
	s_cbranch_vccnz .LBB125_100
.LBB125_97:
	s_clause 0x1
	s_load_b96 s[4:6], s[20:21], 0x4
	s_load_b128 s[0:3], s[20:21], 0xc4
	s_cmp_lt_u32 s33, 2
	s_wait_kmcnt 0x0
	v_mul_hi_u32 v7, s5, v5
	s_delay_alu instid0(VALU_DEP_1) | instskip(NEXT) | instid1(VALU_DEP_1)
	v_add_nc_u32_e32 v7, v5, v7
	v_lshrrev_b32_e32 v17, s6, v7
	s_delay_alu instid0(VALU_DEP_1) | instskip(NEXT) | instid1(VALU_DEP_1)
	v_mul_lo_u32 v7, v17, s4
	v_sub_nc_u32_e32 v5, v5, v7
	s_delay_alu instid0(VALU_DEP_1)
	v_mul_lo_u32 v14, v5, s1
	v_mul_lo_u32 v7, v5, s0
	;; [unrolled: 1-line block ×4, first 2 shown]
	s_cbranch_scc1 .LBB125_100
; %bb.98:
	s_clause 0x1
	s_load_b96 s[4:6], s[20:21], 0x10
	s_load_b128 s[0:3], s[20:21], 0xd4
	s_wait_kmcnt 0x0
	v_mul_hi_u32 v5, s5, v17
	s_delay_alu instid0(VALU_DEP_1) | instskip(NEXT) | instid1(VALU_DEP_1)
	v_add_nc_u32_e32 v5, v17, v5
	v_lshrrev_b32_e32 v5, s6, v5
	s_delay_alu instid0(VALU_DEP_1) | instskip(NEXT) | instid1(VALU_DEP_1)
	v_mul_lo_u32 v5, v5, s4
	v_sub_nc_u32_e32 v5, v17, v5
	s_delay_alu instid0(VALU_DEP_1)
	v_mad_u32 v7, v5, s0, v7
	v_mad_u32 v14, v5, s1, v14
	;; [unrolled: 1-line block ×4, first 2 shown]
	s_branch .LBB125_100
.LBB125_99:
	v_dual_mov_b32 v14, 0 :: v_dual_mov_b32 v7, 0
	v_dual_mov_b32 v16, 0 :: v_dual_mov_b32 v15, 0
	s_and_not1_b32 vcc_lo, exec_lo, s4
	s_cbranch_vccz .LBB125_97
.LBB125_100:
	s_load_b256 s[0:7], s[20:21], 0x1c8
	s_wait_kmcnt 0x0
	global_load_b64 v[18:19], v3, s[2:3]
	global_load_b64 v[20:21], v2, s[4:5]
	;; [unrolled: 1-line block ×8, first 2 shown]
	s_clause 0x3
	global_load_b64 v[34:35], v4, s[6:7]
	global_load_b64 v[36:37], v9, s[6:7]
	;; [unrolled: 1-line block ×4, first 2 shown]
	s_wait_loadcnt 0xa
	s_wait_xcnt 0xa
	v_max_i64 v[2:3], v[18:19], v[20:21]
	s_wait_loadcnt 0x8
	s_wait_xcnt 0x3
	v_max_i64 v[4:5], v[22:23], v[24:25]
	;; [unrolled: 3-line block ×3, first 2 shown]
	s_wait_loadcnt 0x4
	v_max_i64 v[10:11], v[30:31], v[32:33]
	s_wait_loadcnt 0x3
	s_delay_alu instid0(VALU_DEP_4) | instskip(SKIP_1) | instid1(VALU_DEP_4)
	v_min_i64 v[2:3], v[2:3], v[34:35]
	s_wait_loadcnt 0x2
	v_min_i64 v[4:5], v[4:5], v[36:37]
	s_wait_loadcnt 0x1
	s_delay_alu instid0(VALU_DEP_4) | instskip(SKIP_1) | instid1(VALU_DEP_4)
	v_min_i64 v[8:9], v[8:9], v[38:39]
	s_wait_loadcnt 0x0
	v_min_i64 v[10:11], v[10:11], v[40:41]
	s_clause 0x3
	global_store_b64 v1, v[2:3], s[0:1]
	global_store_b64 v6, v[4:5], s[0:1]
	;; [unrolled: 1-line block ×4, first 2 shown]
	s_endpgm
	.section	.rodata,"a",@progbits
	.p2align	6, 0x0
	.amdhsa_kernel _ZN2at6native32elementwise_kernel_manual_unrollILi128ELi4EZNS0_22gpu_kernel_impl_nocastIZZZNS0_12_GLOBAL__N_117clamp_kernel_implERNS_18TensorIteratorBaseEENKUlvE_clEvENKUlvE2_clEvEUllllE_EEvS5_RKT_EUlibE_EEviT1_
		.amdhsa_group_segment_fixed_size 0
		.amdhsa_private_segment_fixed_size 0
		.amdhsa_kernarg_size 504
		.amdhsa_user_sgpr_count 2
		.amdhsa_user_sgpr_dispatch_ptr 0
		.amdhsa_user_sgpr_queue_ptr 0
		.amdhsa_user_sgpr_kernarg_segment_ptr 1
		.amdhsa_user_sgpr_dispatch_id 0
		.amdhsa_user_sgpr_kernarg_preload_length 0
		.amdhsa_user_sgpr_kernarg_preload_offset 0
		.amdhsa_user_sgpr_private_segment_size 0
		.amdhsa_wavefront_size32 1
		.amdhsa_uses_dynamic_stack 0
		.amdhsa_enable_private_segment 0
		.amdhsa_system_sgpr_workgroup_id_x 1
		.amdhsa_system_sgpr_workgroup_id_y 0
		.amdhsa_system_sgpr_workgroup_id_z 0
		.amdhsa_system_sgpr_workgroup_info 0
		.amdhsa_system_vgpr_workitem_id 0
		.amdhsa_next_free_vgpr 42
		.amdhsa_next_free_sgpr 56
		.amdhsa_named_barrier_count 0
		.amdhsa_reserve_vcc 1
		.amdhsa_float_round_mode_32 0
		.amdhsa_float_round_mode_16_64 0
		.amdhsa_float_denorm_mode_32 3
		.amdhsa_float_denorm_mode_16_64 3
		.amdhsa_fp16_overflow 0
		.amdhsa_memory_ordered 1
		.amdhsa_forward_progress 1
		.amdhsa_inst_pref_size 46
		.amdhsa_round_robin_scheduling 0
		.amdhsa_exception_fp_ieee_invalid_op 0
		.amdhsa_exception_fp_denorm_src 0
		.amdhsa_exception_fp_ieee_div_zero 0
		.amdhsa_exception_fp_ieee_overflow 0
		.amdhsa_exception_fp_ieee_underflow 0
		.amdhsa_exception_fp_ieee_inexact 0
		.amdhsa_exception_int_div_zero 0
	.end_amdhsa_kernel
	.section	.text._ZN2at6native32elementwise_kernel_manual_unrollILi128ELi4EZNS0_22gpu_kernel_impl_nocastIZZZNS0_12_GLOBAL__N_117clamp_kernel_implERNS_18TensorIteratorBaseEENKUlvE_clEvENKUlvE2_clEvEUllllE_EEvS5_RKT_EUlibE_EEviT1_,"axG",@progbits,_ZN2at6native32elementwise_kernel_manual_unrollILi128ELi4EZNS0_22gpu_kernel_impl_nocastIZZZNS0_12_GLOBAL__N_117clamp_kernel_implERNS_18TensorIteratorBaseEENKUlvE_clEvENKUlvE2_clEvEUllllE_EEvS5_RKT_EUlibE_EEviT1_,comdat
.Lfunc_end125:
	.size	_ZN2at6native32elementwise_kernel_manual_unrollILi128ELi4EZNS0_22gpu_kernel_impl_nocastIZZZNS0_12_GLOBAL__N_117clamp_kernel_implERNS_18TensorIteratorBaseEENKUlvE_clEvENKUlvE2_clEvEUllllE_EEvS5_RKT_EUlibE_EEviT1_, .Lfunc_end125-_ZN2at6native32elementwise_kernel_manual_unrollILi128ELi4EZNS0_22gpu_kernel_impl_nocastIZZZNS0_12_GLOBAL__N_117clamp_kernel_implERNS_18TensorIteratorBaseEENKUlvE_clEvENKUlvE2_clEvEUllllE_EEvS5_RKT_EUlibE_EEviT1_
                                        ; -- End function
	.set _ZN2at6native32elementwise_kernel_manual_unrollILi128ELi4EZNS0_22gpu_kernel_impl_nocastIZZZNS0_12_GLOBAL__N_117clamp_kernel_implERNS_18TensorIteratorBaseEENKUlvE_clEvENKUlvE2_clEvEUllllE_EEvS5_RKT_EUlibE_EEviT1_.num_vgpr, 42
	.set _ZN2at6native32elementwise_kernel_manual_unrollILi128ELi4EZNS0_22gpu_kernel_impl_nocastIZZZNS0_12_GLOBAL__N_117clamp_kernel_implERNS_18TensorIteratorBaseEENKUlvE_clEvENKUlvE2_clEvEUllllE_EEvS5_RKT_EUlibE_EEviT1_.num_agpr, 0
	.set _ZN2at6native32elementwise_kernel_manual_unrollILi128ELi4EZNS0_22gpu_kernel_impl_nocastIZZZNS0_12_GLOBAL__N_117clamp_kernel_implERNS_18TensorIteratorBaseEENKUlvE_clEvENKUlvE2_clEvEUllllE_EEvS5_RKT_EUlibE_EEviT1_.numbered_sgpr, 56
	.set _ZN2at6native32elementwise_kernel_manual_unrollILi128ELi4EZNS0_22gpu_kernel_impl_nocastIZZZNS0_12_GLOBAL__N_117clamp_kernel_implERNS_18TensorIteratorBaseEENKUlvE_clEvENKUlvE2_clEvEUllllE_EEvS5_RKT_EUlibE_EEviT1_.num_named_barrier, 0
	.set _ZN2at6native32elementwise_kernel_manual_unrollILi128ELi4EZNS0_22gpu_kernel_impl_nocastIZZZNS0_12_GLOBAL__N_117clamp_kernel_implERNS_18TensorIteratorBaseEENKUlvE_clEvENKUlvE2_clEvEUllllE_EEvS5_RKT_EUlibE_EEviT1_.private_seg_size, 0
	.set _ZN2at6native32elementwise_kernel_manual_unrollILi128ELi4EZNS0_22gpu_kernel_impl_nocastIZZZNS0_12_GLOBAL__N_117clamp_kernel_implERNS_18TensorIteratorBaseEENKUlvE_clEvENKUlvE2_clEvEUllllE_EEvS5_RKT_EUlibE_EEviT1_.uses_vcc, 1
	.set _ZN2at6native32elementwise_kernel_manual_unrollILi128ELi4EZNS0_22gpu_kernel_impl_nocastIZZZNS0_12_GLOBAL__N_117clamp_kernel_implERNS_18TensorIteratorBaseEENKUlvE_clEvENKUlvE2_clEvEUllllE_EEvS5_RKT_EUlibE_EEviT1_.uses_flat_scratch, 0
	.set _ZN2at6native32elementwise_kernel_manual_unrollILi128ELi4EZNS0_22gpu_kernel_impl_nocastIZZZNS0_12_GLOBAL__N_117clamp_kernel_implERNS_18TensorIteratorBaseEENKUlvE_clEvENKUlvE2_clEvEUllllE_EEvS5_RKT_EUlibE_EEviT1_.has_dyn_sized_stack, 0
	.set _ZN2at6native32elementwise_kernel_manual_unrollILi128ELi4EZNS0_22gpu_kernel_impl_nocastIZZZNS0_12_GLOBAL__N_117clamp_kernel_implERNS_18TensorIteratorBaseEENKUlvE_clEvENKUlvE2_clEvEUllllE_EEvS5_RKT_EUlibE_EEviT1_.has_recursion, 0
	.set _ZN2at6native32elementwise_kernel_manual_unrollILi128ELi4EZNS0_22gpu_kernel_impl_nocastIZZZNS0_12_GLOBAL__N_117clamp_kernel_implERNS_18TensorIteratorBaseEENKUlvE_clEvENKUlvE2_clEvEUllllE_EEvS5_RKT_EUlibE_EEviT1_.has_indirect_call, 0
	.section	.AMDGPU.csdata,"",@progbits
; Kernel info:
; codeLenInByte = 5844
; TotalNumSgprs: 58
; NumVgprs: 42
; ScratchSize: 0
; MemoryBound: 0
; FloatMode: 240
; IeeeMode: 1
; LDSByteSize: 0 bytes/workgroup (compile time only)
; SGPRBlocks: 0
; VGPRBlocks: 2
; NumSGPRsForWavesPerEU: 58
; NumVGPRsForWavesPerEU: 42
; NamedBarCnt: 0
; Occupancy: 16
; WaveLimiterHint : 1
; COMPUTE_PGM_RSRC2:SCRATCH_EN: 0
; COMPUTE_PGM_RSRC2:USER_SGPR: 2
; COMPUTE_PGM_RSRC2:TRAP_HANDLER: 0
; COMPUTE_PGM_RSRC2:TGID_X_EN: 1
; COMPUTE_PGM_RSRC2:TGID_Y_EN: 0
; COMPUTE_PGM_RSRC2:TGID_Z_EN: 0
; COMPUTE_PGM_RSRC2:TIDIG_COMP_CNT: 0
	.section	.text._ZN2at6native32elementwise_kernel_manual_unrollILi128ELi4EZNS0_15gpu_kernel_implIZZZNS0_12_GLOBAL__N_117clamp_kernel_implERNS_18TensorIteratorBaseEENKUlvE_clEvENKUlvE2_clEvEUllllE_EEvS5_RKT_EUlibE_EEviT1_,"axG",@progbits,_ZN2at6native32elementwise_kernel_manual_unrollILi128ELi4EZNS0_15gpu_kernel_implIZZZNS0_12_GLOBAL__N_117clamp_kernel_implERNS_18TensorIteratorBaseEENKUlvE_clEvENKUlvE2_clEvEUllllE_EEvS5_RKT_EUlibE_EEviT1_,comdat
	.globl	_ZN2at6native32elementwise_kernel_manual_unrollILi128ELi4EZNS0_15gpu_kernel_implIZZZNS0_12_GLOBAL__N_117clamp_kernel_implERNS_18TensorIteratorBaseEENKUlvE_clEvENKUlvE2_clEvEUllllE_EEvS5_RKT_EUlibE_EEviT1_ ; -- Begin function _ZN2at6native32elementwise_kernel_manual_unrollILi128ELi4EZNS0_15gpu_kernel_implIZZZNS0_12_GLOBAL__N_117clamp_kernel_implERNS_18TensorIteratorBaseEENKUlvE_clEvENKUlvE2_clEvEUllllE_EEvS5_RKT_EUlibE_EEviT1_
	.p2align	8
	.type	_ZN2at6native32elementwise_kernel_manual_unrollILi128ELi4EZNS0_15gpu_kernel_implIZZZNS0_12_GLOBAL__N_117clamp_kernel_implERNS_18TensorIteratorBaseEENKUlvE_clEvENKUlvE2_clEvEUllllE_EEvS5_RKT_EUlibE_EEviT1_,@function
_ZN2at6native32elementwise_kernel_manual_unrollILi128ELi4EZNS0_15gpu_kernel_implIZZZNS0_12_GLOBAL__N_117clamp_kernel_implERNS_18TensorIteratorBaseEENKUlvE_clEvENKUlvE2_clEvEUllllE_EEvS5_RKT_EUlibE_EEviT1_: ; @_ZN2at6native32elementwise_kernel_manual_unrollILi128ELi4EZNS0_15gpu_kernel_implIZZZNS0_12_GLOBAL__N_117clamp_kernel_implERNS_18TensorIteratorBaseEENKUlvE_clEvENKUlvE2_clEvEUllllE_EEvS5_RKT_EUlibE_EEviT1_
; %bb.0:
	v_mov_b32_e32 v1, 0
	s_bfe_u32 s3, ttmp6, 0x4000c
	s_clause 0x1
	s_load_b128 s[12:15], s[0:1], 0x28
	s_load_b256 s[4:11], s[0:1], 0x8
	s_add_co_i32 s3, s3, 1
	global_load_b32 v1, v1, s[0:1] offset:57
	s_load_b32 s20, s[0:1], 0x0
	s_and_b32 s16, ttmp6, 15
	s_wait_xcnt 0x0
	s_mul_i32 s0, ttmp9, s3
	s_getreg_b32 s18, hwreg(HW_REG_IB_STS2, 6, 4)
	s_add_co_i32 s16, s16, s0
	s_mov_b32 s19, 0
	s_wait_loadcnt 0x0
	v_readfirstlane_b32 s2, v1
	s_lshr_b32 s3, s2, 16
	s_lshr_b32 s17, s2, 8
	;; [unrolled: 1-line block ×3, first 2 shown]
	s_cmp_eq_u32 s18, 0
	s_cselect_b32 s0, ttmp9, s16
	s_mov_b32 s16, 0
	v_lshl_or_b32 v26, s0, 9, v0
	s_mov_b32 s0, exec_lo
	s_delay_alu instid0(VALU_DEP_1) | instskip(SKIP_1) | instid1(VALU_DEP_1)
	v_or_b32_e32 v0, 0x180, v26
	s_wait_kmcnt 0x0
	v_cmpx_le_i32_e64 s20, v0
	s_xor_b32 s18, exec_lo, s0
	s_cbranch_execz .LBB126_2015
; %bb.1:
	s_mov_b32 s28, -1
	s_mov_b32 s25, 0
	s_mov_b32 s23, 0
	;; [unrolled: 1-line block ×4, first 2 shown]
	s_mov_b32 s24, exec_lo
	v_cmpx_gt_i32_e64 s20, v26
	s_cbranch_execz .LBB126_500
; %bb.2:
	v_mul_lo_u32 v0, v26, s13
	s_and_b32 s0, s17, 0xff
	s_delay_alu instid0(SALU_CYCLE_1) | instskip(NEXT) | instid1(VALU_DEP_1)
	s_cmp_lt_i32 s0, 11
	v_ashrrev_i32_e32 v1, 31, v0
	s_delay_alu instid0(VALU_DEP_1)
	v_add_nc_u64_e32 v[2:3], s[6:7], v[0:1]
	s_cbranch_scc1 .LBB126_9
; %bb.3:
	s_and_b32 s19, 0xffff, s0
	s_delay_alu instid0(SALU_CYCLE_1)
	s_cmp_gt_i32 s19, 25
	s_cbranch_scc0 .LBB126_18
; %bb.4:
	s_cmp_gt_i32 s19, 28
	s_cbranch_scc0 .LBB126_28
; %bb.5:
	;; [unrolled: 3-line block ×4, first 2 shown]
	s_cmp_eq_u32 s19, 46
	s_cbranch_scc0 .LBB126_37
; %bb.8:
	global_load_b32 v0, v[2:3], off
	s_mov_b32 s21, -1
	s_wait_loadcnt 0x0
	v_lshlrev_b32_e32 v0, 16, v0
	s_delay_alu instid0(VALU_DEP_1) | instskip(NEXT) | instid1(VALU_DEP_1)
	v_trunc_f32_e32 v0, v0
	v_mul_f32_e64 v1, 0x2f800000, |v0|
	s_delay_alu instid0(VALU_DEP_1) | instskip(NEXT) | instid1(VALU_DEP_1)
	v_floor_f32_e32 v1, v1
	v_fma_f32 v4, 0xcf800000, v1, |v0|
	v_ashrrev_i32_e32 v0, 31, v0
	v_cvt_u32_f32_e32 v5, v1
	s_delay_alu instid0(VALU_DEP_3) | instskip(NEXT) | instid1(VALU_DEP_2)
	v_cvt_u32_f32_e32 v4, v4
	v_dual_mov_b32 v1, v0 :: v_dual_bitop2_b32 v5, v5, v0 bitop3:0x14
	s_delay_alu instid0(VALU_DEP_2) | instskip(NEXT) | instid1(VALU_DEP_1)
	v_xor_b32_e32 v4, v4, v0
	v_sub_nc_u64_e32 v[0:1], v[4:5], v[0:1]
	s_branch .LBB126_39
.LBB126_9:
                                        ; implicit-def: $vgpr0_vgpr1
	s_cbranch_execnz .LBB126_101
.LBB126_10:
	s_and_not1_b32 vcc_lo, exec_lo, s21
	s_cbranch_vccnz .LBB126_148
.LBB126_11:
	s_wait_xcnt 0x0
	v_mul_lo_u32 v2, v26, s14
	s_and_b32 s0, s3, 0xff
	s_delay_alu instid0(SALU_CYCLE_1) | instskip(NEXT) | instid1(VALU_DEP_1)
	s_cmp_lt_i32 s0, 11
	v_ashrrev_i32_e32 v3, 31, v2
	s_delay_alu instid0(VALU_DEP_1)
	v_add_nc_u64_e32 v[4:5], s[8:9], v[2:3]
	s_cbranch_scc1 .LBB126_19
; %bb.12:
	s_and_b32 s19, 0xffff, s0
	s_delay_alu instid0(SALU_CYCLE_1)
	s_cmp_gt_i32 s19, 25
	s_cbranch_scc0 .LBB126_29
; %bb.13:
	s_cmp_gt_i32 s19, 28
	s_cbranch_scc0 .LBB126_32
; %bb.14:
	;; [unrolled: 3-line block ×4, first 2 shown]
	s_cmp_eq_u32 s19, 46
	s_mov_b32 s26, 0
	s_cbranch_scc0 .LBB126_149
; %bb.17:
	global_load_b32 v2, v[4:5], off
	s_mov_b32 s21, -1
	s_mov_b32 s22, 0
	s_wait_loadcnt 0x0
	v_lshlrev_b32_e32 v2, 16, v2
	s_delay_alu instid0(VALU_DEP_1) | instskip(NEXT) | instid1(VALU_DEP_1)
	v_trunc_f32_e32 v2, v2
	v_mul_f32_e64 v3, 0x2f800000, |v2|
	s_delay_alu instid0(VALU_DEP_1) | instskip(NEXT) | instid1(VALU_DEP_1)
	v_floor_f32_e32 v3, v3
	v_fma_f32 v6, 0xcf800000, v3, |v2|
	v_ashrrev_i32_e32 v2, 31, v2
	v_cvt_u32_f32_e32 v7, v3
	s_delay_alu instid0(VALU_DEP_3) | instskip(NEXT) | instid1(VALU_DEP_2)
	v_cvt_u32_f32_e32 v6, v6
	v_dual_mov_b32 v3, v2 :: v_dual_bitop2_b32 v7, v7, v2 bitop3:0x14
	s_delay_alu instid0(VALU_DEP_2) | instskip(NEXT) | instid1(VALU_DEP_1)
	v_xor_b32_e32 v6, v6, v2
	v_sub_nc_u64_e32 v[2:3], v[6:7], v[2:3]
	s_branch .LBB126_151
.LBB126_18:
                                        ; implicit-def: $vgpr0_vgpr1
	s_cbranch_execnz .LBB126_68
	s_branch .LBB126_100
.LBB126_19:
	s_mov_b32 s22, 0
	s_mov_b32 s21, 0
                                        ; implicit-def: $vgpr2_vgpr3
	s_cbranch_execnz .LBB126_213
.LBB126_20:
	s_and_not1_b32 vcc_lo, exec_lo, s21
	s_cbranch_vccnz .LBB126_261
.LBB126_21:
	s_wait_xcnt 0x0
	v_mul_lo_u32 v4, v26, s15
	s_and_b32 s0, 0xffff, s1
	s_delay_alu instid0(SALU_CYCLE_1) | instskip(NEXT) | instid1(VALU_DEP_1)
	s_cmp_lt_i32 s0, 11
	v_ashrrev_i32_e32 v5, 31, v4
	s_delay_alu instid0(VALU_DEP_1)
	v_add_nc_u64_e32 v[4:5], s[10:11], v[4:5]
	s_cbranch_scc1 .LBB126_30
; %bb.22:
	s_cmp_gt_i32 s0, 25
	s_cbranch_scc0 .LBB126_33
; %bb.23:
	s_cmp_gt_i32 s0, 28
	s_cbranch_scc0 .LBB126_36
	;; [unrolled: 3-line block ×4, first 2 shown]
; %bb.26:
	s_cmp_eq_u32 s0, 46
	s_mov_b32 s26, 0
	s_cbranch_scc0 .LBB126_262
; %bb.27:
	global_load_b32 v6, v[4:5], off
	s_mov_b32 s19, -1
	s_mov_b32 s21, 0
	s_wait_loadcnt 0x0
	v_lshlrev_b32_e32 v6, 16, v6
	s_delay_alu instid0(VALU_DEP_1) | instskip(NEXT) | instid1(VALU_DEP_1)
	v_trunc_f32_e32 v6, v6
	v_mul_f32_e64 v7, 0x2f800000, |v6|
	s_delay_alu instid0(VALU_DEP_1) | instskip(NEXT) | instid1(VALU_DEP_1)
	v_floor_f32_e32 v7, v7
	v_fma_f32 v8, 0xcf800000, v7, |v6|
	v_ashrrev_i32_e32 v6, 31, v6
	v_cvt_u32_f32_e32 v9, v7
	s_delay_alu instid0(VALU_DEP_3) | instskip(NEXT) | instid1(VALU_DEP_2)
	v_cvt_u32_f32_e32 v8, v8
	v_dual_mov_b32 v7, v6 :: v_dual_bitop2_b32 v9, v9, v6 bitop3:0x14
	s_delay_alu instid0(VALU_DEP_2) | instskip(NEXT) | instid1(VALU_DEP_1)
	v_xor_b32_e32 v8, v8, v6
	v_sub_nc_u64_e32 v[6:7], v[8:9], v[6:7]
	s_branch .LBB126_264
.LBB126_28:
	s_mov_b32 s22, -1
                                        ; implicit-def: $vgpr0_vgpr1
	s_branch .LBB126_51
.LBB126_29:
	s_mov_b32 s26, -1
	s_mov_b32 s22, 0
	s_mov_b32 s21, 0
                                        ; implicit-def: $vgpr2_vgpr3
	s_branch .LBB126_179
.LBB126_30:
	s_mov_b32 s26, -1
	s_mov_b32 s21, 0
	s_mov_b32 s19, 0
                                        ; implicit-def: $vgpr6_vgpr7
	s_branch .LBB126_325
.LBB126_31:
	s_mov_b32 s22, -1
                                        ; implicit-def: $vgpr0_vgpr1
	s_branch .LBB126_46
.LBB126_32:
	s_mov_b32 s26, -1
	s_mov_b32 s22, 0
	s_mov_b32 s21, 0
                                        ; implicit-def: $vgpr2_vgpr3
	s_branch .LBB126_162
.LBB126_33:
	s_mov_b32 s26, -1
	s_mov_b32 s21, 0
	s_mov_b32 s19, 0
                                        ; implicit-def: $vgpr6_vgpr7
	s_branch .LBB126_291
.LBB126_34:
	s_mov_b32 s22, -1
	s_branch .LBB126_38
.LBB126_35:
	s_mov_b32 s26, -1
	s_mov_b32 s22, 0
	s_mov_b32 s21, 0
                                        ; implicit-def: $vgpr2_vgpr3
	s_branch .LBB126_157
.LBB126_36:
	s_mov_b32 s26, -1
	s_mov_b32 s21, 0
	s_mov_b32 s19, 0
                                        ; implicit-def: $vgpr6_vgpr7
	s_branch .LBB126_274
.LBB126_37:
	s_mov_b32 s23, -1
.LBB126_38:
                                        ; implicit-def: $vgpr0_vgpr1
.LBB126_39:
	s_and_b32 vcc_lo, exec_lo, s22
	s_cbranch_vccz .LBB126_45
; %bb.40:
	s_cmp_eq_u32 s19, 44
	s_cbranch_scc0 .LBB126_44
; %bb.41:
	global_load_u8 v6, v[2:3], off
	s_mov_b32 s23, 0
	s_mov_b32 s21, -1
	s_wait_loadcnt 0x0
	v_cmp_ne_u32_e32 vcc_lo, 0, v6
	v_lshlrev_b32_e32 v0, 23, v6
	s_delay_alu instid0(VALU_DEP_1) | instskip(NEXT) | instid1(VALU_DEP_1)
	v_trunc_f32_e32 v0, v0
	v_mul_f32_e64 v1, 0x2f800000, |v0|
	s_delay_alu instid0(VALU_DEP_1) | instskip(NEXT) | instid1(VALU_DEP_1)
	v_floor_f32_e32 v1, v1
	v_fma_f32 v4, 0xcf800000, v1, |v0|
	v_ashrrev_i32_e32 v0, 31, v0
	v_cvt_u32_f32_e32 v5, v1
	s_delay_alu instid0(VALU_DEP_3) | instskip(NEXT) | instid1(VALU_DEP_2)
	v_cvt_u32_f32_e32 v4, v4
	v_dual_mov_b32 v1, v0 :: v_dual_bitop2_b32 v5, v5, v0 bitop3:0x14
	s_delay_alu instid0(VALU_DEP_2) | instskip(NEXT) | instid1(VALU_DEP_1)
	v_xor_b32_e32 v4, v4, v0
	v_sub_nc_u64_e32 v[0:1], v[4:5], v[0:1]
	s_delay_alu instid0(VALU_DEP_1)
	v_dual_cndmask_b32 v1, 0, v1 :: v_dual_cndmask_b32 v0, 0, v0
	s_branch .LBB126_45
.LBB126_42:
	s_mov_b32 s26, -1
	s_mov_b32 s22, 0
	s_branch .LBB126_150
.LBB126_43:
	s_mov_b32 s26, -1
	s_mov_b32 s21, 0
	s_mov_b32 s19, 0
                                        ; implicit-def: $vgpr6_vgpr7
	s_branch .LBB126_269
.LBB126_44:
	s_mov_b32 s23, -1
                                        ; implicit-def: $vgpr0_vgpr1
.LBB126_45:
	s_mov_b32 s22, 0
.LBB126_46:
	s_delay_alu instid0(SALU_CYCLE_1)
	s_and_b32 vcc_lo, exec_lo, s22
	s_cbranch_vccz .LBB126_50
; %bb.47:
	s_cmp_eq_u32 s19, 29
	s_cbranch_scc0 .LBB126_49
; %bb.48:
	global_load_b64 v[0:1], v[2:3], off
	s_mov_b32 s21, -1
	s_mov_b32 s23, 0
	s_branch .LBB126_50
.LBB126_49:
	s_mov_b32 s23, -1
                                        ; implicit-def: $vgpr0_vgpr1
.LBB126_50:
	s_mov_b32 s22, 0
.LBB126_51:
	s_delay_alu instid0(SALU_CYCLE_1)
	s_and_b32 vcc_lo, exec_lo, s22
	s_cbranch_vccz .LBB126_67
; %bb.52:
	s_cmp_lt_i32 s19, 27
	s_cbranch_scc1 .LBB126_55
; %bb.53:
	s_cmp_gt_i32 s19, 27
	s_cbranch_scc0 .LBB126_56
; %bb.54:
	s_wait_loadcnt 0x0
	global_load_b32 v0, v[2:3], off
	v_mov_b32_e32 v1, 0
	s_mov_b32 s21, 0
	s_branch .LBB126_57
.LBB126_55:
	s_mov_b32 s21, -1
                                        ; implicit-def: $vgpr0_vgpr1
	s_branch .LBB126_60
.LBB126_56:
	s_mov_b32 s21, -1
                                        ; implicit-def: $vgpr0_vgpr1
.LBB126_57:
	s_delay_alu instid0(SALU_CYCLE_1)
	s_and_not1_b32 vcc_lo, exec_lo, s21
	s_cbranch_vccnz .LBB126_59
; %bb.58:
	s_wait_loadcnt 0x0
	global_load_u16 v0, v[2:3], off
	s_mov_b32 s21, 0
	s_delay_alu instid0(SALU_CYCLE_1)
	v_mov_b32_e32 v1, s21
	s_wait_loadcnt 0x0
	v_and_b32_e32 v0, 0xffff, v0
.LBB126_59:
	s_mov_b32 s21, 0
.LBB126_60:
	s_delay_alu instid0(SALU_CYCLE_1)
	s_and_not1_b32 vcc_lo, exec_lo, s21
	s_cbranch_vccnz .LBB126_66
; %bb.61:
	global_load_u8 v4, v[2:3], off
	s_mov_b32 s22, 0
	s_mov_b32 s21, exec_lo
	s_wait_loadcnt 0x0
	v_cmpx_lt_i16_e32 0x7f, v4
	s_xor_b32 s21, exec_lo, s21
	s_cbranch_execz .LBB126_77
; %bb.62:
	v_cmp_ne_u16_e32 vcc_lo, 0x80, v4
	s_and_b32 s22, vcc_lo, exec_lo
	s_and_not1_saveexec_b32 s21, s21
	s_cbranch_execnz .LBB126_78
.LBB126_63:
	s_or_b32 exec_lo, exec_lo, s21
	v_mov_b64_e32 v[0:1], 0
	s_and_saveexec_b32 s21, s22
	s_cbranch_execz .LBB126_65
.LBB126_64:
	v_and_b32_e32 v0, 0xffff, v4
	s_delay_alu instid0(VALU_DEP_1) | instskip(SKIP_1) | instid1(VALU_DEP_2)
	v_and_b32_e32 v1, 7, v0
	v_bfe_u32 v7, v0, 3, 4
	v_clz_i32_u32_e32 v5, v1
	s_delay_alu instid0(VALU_DEP_2) | instskip(NEXT) | instid1(VALU_DEP_2)
	v_cmp_eq_u32_e32 vcc_lo, 0, v7
	v_min_u32_e32 v5, 32, v5
	s_delay_alu instid0(VALU_DEP_1) | instskip(NEXT) | instid1(VALU_DEP_1)
	v_subrev_nc_u32_e32 v6, 28, v5
	v_dual_lshlrev_b32 v0, v6, v0 :: v_dual_sub_nc_u32 v5, 29, v5
	s_delay_alu instid0(VALU_DEP_1) | instskip(NEXT) | instid1(VALU_DEP_2)
	v_and_b32_e32 v0, 7, v0
	v_dual_cndmask_b32 v5, v7, v5 :: v_dual_lshlrev_b32 v4, 24, v4
	s_delay_alu instid0(VALU_DEP_2) | instskip(NEXT) | instid1(VALU_DEP_2)
	v_cndmask_b32_e32 v0, v1, v0, vcc_lo
	v_and_b32_e32 v1, 0x80000000, v4
	s_delay_alu instid0(VALU_DEP_3) | instskip(NEXT) | instid1(VALU_DEP_3)
	v_lshl_add_u32 v4, v5, 23, 0x3b800000
	v_lshlrev_b32_e32 v0, 20, v0
	s_delay_alu instid0(VALU_DEP_1) | instskip(NEXT) | instid1(VALU_DEP_1)
	v_or3_b32 v0, v1, v4, v0
	v_trunc_f32_e32 v0, v0
	s_delay_alu instid0(VALU_DEP_1) | instskip(NEXT) | instid1(VALU_DEP_1)
	v_mul_f32_e64 v1, 0x2f800000, |v0|
	v_floor_f32_e32 v1, v1
	s_delay_alu instid0(VALU_DEP_1) | instskip(SKIP_2) | instid1(VALU_DEP_3)
	v_fma_f32 v4, 0xcf800000, v1, |v0|
	v_ashrrev_i32_e32 v0, 31, v0
	v_cvt_u32_f32_e32 v5, v1
	v_cvt_u32_f32_e32 v4, v4
	s_delay_alu instid0(VALU_DEP_2) | instskip(NEXT) | instid1(VALU_DEP_2)
	v_dual_mov_b32 v1, v0 :: v_dual_bitop2_b32 v5, v5, v0 bitop3:0x14
	v_xor_b32_e32 v4, v4, v0
	s_delay_alu instid0(VALU_DEP_1)
	v_sub_nc_u64_e32 v[0:1], v[4:5], v[0:1]
.LBB126_65:
	s_or_b32 exec_lo, exec_lo, s21
.LBB126_66:
	s_mov_b32 s21, -1
.LBB126_67:
	s_branch .LBB126_100
.LBB126_68:
	s_cmp_gt_i32 s19, 22
	s_cbranch_scc0 .LBB126_76
; %bb.69:
	s_cmp_lt_i32 s19, 24
	s_cbranch_scc1 .LBB126_79
; %bb.70:
	s_cmp_gt_i32 s19, 24
	s_cbranch_scc0 .LBB126_80
; %bb.71:
	global_load_u8 v4, v[2:3], off
	s_mov_b32 s22, 0
	s_mov_b32 s21, exec_lo
	s_wait_loadcnt 0x0
	v_cmpx_lt_i16_e32 0x7f, v4
	s_xor_b32 s21, exec_lo, s21
	s_cbranch_execz .LBB126_92
; %bb.72:
	v_cmp_ne_u16_e32 vcc_lo, 0x80, v4
	s_and_b32 s22, vcc_lo, exec_lo
	s_and_not1_saveexec_b32 s21, s21
	s_cbranch_execnz .LBB126_93
.LBB126_73:
	s_or_b32 exec_lo, exec_lo, s21
	v_mov_b64_e32 v[0:1], 0
	s_and_saveexec_b32 s21, s22
	s_cbranch_execz .LBB126_75
.LBB126_74:
	v_and_b32_e32 v0, 0xffff, v4
	s_delay_alu instid0(VALU_DEP_1) | instskip(SKIP_1) | instid1(VALU_DEP_2)
	v_and_b32_e32 v1, 3, v0
	v_bfe_u32 v7, v0, 2, 5
	v_clz_i32_u32_e32 v5, v1
	s_delay_alu instid0(VALU_DEP_2) | instskip(NEXT) | instid1(VALU_DEP_2)
	v_cmp_eq_u32_e32 vcc_lo, 0, v7
	v_min_u32_e32 v5, 32, v5
	s_delay_alu instid0(VALU_DEP_1) | instskip(NEXT) | instid1(VALU_DEP_1)
	v_subrev_nc_u32_e32 v6, 29, v5
	v_dual_lshlrev_b32 v0, v6, v0 :: v_dual_sub_nc_u32 v5, 30, v5
	s_delay_alu instid0(VALU_DEP_1) | instskip(NEXT) | instid1(VALU_DEP_2)
	v_and_b32_e32 v0, 3, v0
	v_dual_cndmask_b32 v5, v7, v5 :: v_dual_lshlrev_b32 v4, 24, v4
	s_delay_alu instid0(VALU_DEP_2) | instskip(NEXT) | instid1(VALU_DEP_2)
	v_cndmask_b32_e32 v0, v1, v0, vcc_lo
	v_and_b32_e32 v1, 0x80000000, v4
	s_delay_alu instid0(VALU_DEP_3) | instskip(NEXT) | instid1(VALU_DEP_3)
	v_lshl_add_u32 v4, v5, 23, 0x37800000
	v_lshlrev_b32_e32 v0, 21, v0
	s_delay_alu instid0(VALU_DEP_1) | instskip(NEXT) | instid1(VALU_DEP_1)
	v_or3_b32 v0, v1, v4, v0
	v_trunc_f32_e32 v0, v0
	s_delay_alu instid0(VALU_DEP_1) | instskip(NEXT) | instid1(VALU_DEP_1)
	v_mul_f32_e64 v1, 0x2f800000, |v0|
	v_floor_f32_e32 v1, v1
	s_delay_alu instid0(VALU_DEP_1) | instskip(SKIP_2) | instid1(VALU_DEP_3)
	v_fma_f32 v4, 0xcf800000, v1, |v0|
	v_ashrrev_i32_e32 v0, 31, v0
	v_cvt_u32_f32_e32 v5, v1
	v_cvt_u32_f32_e32 v4, v4
	s_delay_alu instid0(VALU_DEP_2) | instskip(NEXT) | instid1(VALU_DEP_2)
	v_dual_mov_b32 v1, v0 :: v_dual_bitop2_b32 v5, v5, v0 bitop3:0x14
	v_xor_b32_e32 v4, v4, v0
	s_delay_alu instid0(VALU_DEP_1)
	v_sub_nc_u64_e32 v[0:1], v[4:5], v[0:1]
.LBB126_75:
	s_or_b32 exec_lo, exec_lo, s21
	s_mov_b32 s21, 0
	s_branch .LBB126_81
.LBB126_76:
	s_mov_b32 s22, -1
                                        ; implicit-def: $vgpr0_vgpr1
	s_branch .LBB126_87
.LBB126_77:
	s_and_not1_saveexec_b32 s21, s21
	s_cbranch_execz .LBB126_63
.LBB126_78:
	v_cmp_ne_u16_e32 vcc_lo, 0, v4
	s_and_not1_b32 s22, s22, exec_lo
	s_and_b32 s26, vcc_lo, exec_lo
	s_delay_alu instid0(SALU_CYCLE_1)
	s_or_b32 s22, s22, s26
	s_or_b32 exec_lo, exec_lo, s21
	v_mov_b64_e32 v[0:1], 0
	s_and_saveexec_b32 s21, s22
	s_cbranch_execnz .LBB126_64
	s_branch .LBB126_65
.LBB126_79:
	s_mov_b32 s21, -1
                                        ; implicit-def: $vgpr0_vgpr1
	s_branch .LBB126_84
.LBB126_80:
	s_mov_b32 s21, -1
                                        ; implicit-def: $vgpr0_vgpr1
.LBB126_81:
	s_delay_alu instid0(SALU_CYCLE_1)
	s_and_b32 vcc_lo, exec_lo, s21
	s_cbranch_vccz .LBB126_83
; %bb.82:
	s_wait_loadcnt 0x0
	global_load_u8 v0, v[2:3], off
	s_wait_loadcnt 0x0
	v_lshlrev_b32_e32 v0, 24, v0
	s_delay_alu instid0(VALU_DEP_1) | instskip(NEXT) | instid1(VALU_DEP_1)
	v_and_b32_e32 v1, 0x7f000000, v0
	v_clz_i32_u32_e32 v4, v1
	v_cmp_ne_u32_e32 vcc_lo, 0, v1
	v_add_nc_u32_e32 v6, 0x1000000, v1
	s_delay_alu instid0(VALU_DEP_3) | instskip(NEXT) | instid1(VALU_DEP_1)
	v_min_u32_e32 v4, 32, v4
	v_sub_nc_u32_e64 v4, v4, 4 clamp
	s_delay_alu instid0(VALU_DEP_1) | instskip(NEXT) | instid1(VALU_DEP_1)
	v_dual_lshlrev_b32 v5, v4, v1 :: v_dual_lshlrev_b32 v4, 23, v4
	v_lshrrev_b32_e32 v5, 4, v5
	s_delay_alu instid0(VALU_DEP_1) | instskip(NEXT) | instid1(VALU_DEP_1)
	v_dual_sub_nc_u32 v4, v5, v4 :: v_dual_ashrrev_i32 v5, 8, v6
	v_add_nc_u32_e32 v4, 0x3c000000, v4
	s_delay_alu instid0(VALU_DEP_1) | instskip(NEXT) | instid1(VALU_DEP_1)
	v_and_or_b32 v4, 0x7f800000, v5, v4
	v_cndmask_b32_e32 v1, 0, v4, vcc_lo
	s_delay_alu instid0(VALU_DEP_1) | instskip(NEXT) | instid1(VALU_DEP_1)
	v_and_or_b32 v0, 0x80000000, v0, v1
	v_trunc_f32_e32 v0, v0
	s_delay_alu instid0(VALU_DEP_1) | instskip(NEXT) | instid1(VALU_DEP_1)
	v_mul_f32_e64 v1, 0x2f800000, |v0|
	v_floor_f32_e32 v1, v1
	s_delay_alu instid0(VALU_DEP_1) | instskip(SKIP_2) | instid1(VALU_DEP_3)
	v_fma_f32 v4, 0xcf800000, v1, |v0|
	v_ashrrev_i32_e32 v0, 31, v0
	v_cvt_u32_f32_e32 v5, v1
	v_cvt_u32_f32_e32 v4, v4
	s_delay_alu instid0(VALU_DEP_2) | instskip(NEXT) | instid1(VALU_DEP_2)
	v_dual_mov_b32 v1, v0 :: v_dual_bitop2_b32 v5, v5, v0 bitop3:0x14
	v_xor_b32_e32 v4, v4, v0
	s_delay_alu instid0(VALU_DEP_1)
	v_sub_nc_u64_e32 v[0:1], v[4:5], v[0:1]
.LBB126_83:
	s_mov_b32 s21, 0
.LBB126_84:
	s_delay_alu instid0(SALU_CYCLE_1)
	s_and_not1_b32 vcc_lo, exec_lo, s21
	s_cbranch_vccnz .LBB126_86
; %bb.85:
	s_wait_loadcnt 0x0
	global_load_u8 v0, v[2:3], off
	s_wait_loadcnt 0x0
	v_lshlrev_b32_e32 v1, 25, v0
	v_lshlrev_b16 v0, 8, v0
	s_delay_alu instid0(VALU_DEP_1) | instskip(SKIP_1) | instid1(VALU_DEP_2)
	v_and_or_b32 v5, 0x7f00, v0, 0.5
	v_bfe_i32 v0, v0, 0, 16
	v_add_f32_e32 v5, -0.5, v5
	v_lshrrev_b32_e32 v4, 4, v1
	v_cmp_gt_u32_e32 vcc_lo, 0x8000000, v1
	s_delay_alu instid0(VALU_DEP_2) | instskip(NEXT) | instid1(VALU_DEP_1)
	v_or_b32_e32 v4, 0x70000000, v4
	v_mul_f32_e32 v4, 0x7800000, v4
	s_delay_alu instid0(VALU_DEP_1) | instskip(NEXT) | instid1(VALU_DEP_1)
	v_cndmask_b32_e32 v1, v4, v5, vcc_lo
	v_and_or_b32 v0, 0x80000000, v0, v1
	s_delay_alu instid0(VALU_DEP_1) | instskip(NEXT) | instid1(VALU_DEP_1)
	v_trunc_f32_e32 v0, v0
	v_mul_f32_e64 v1, 0x2f800000, |v0|
	s_delay_alu instid0(VALU_DEP_1) | instskip(NEXT) | instid1(VALU_DEP_1)
	v_floor_f32_e32 v1, v1
	v_fma_f32 v4, 0xcf800000, v1, |v0|
	v_ashrrev_i32_e32 v0, 31, v0
	v_cvt_u32_f32_e32 v5, v1
	s_delay_alu instid0(VALU_DEP_3) | instskip(NEXT) | instid1(VALU_DEP_2)
	v_cvt_u32_f32_e32 v4, v4
	v_dual_mov_b32 v1, v0 :: v_dual_bitop2_b32 v5, v5, v0 bitop3:0x14
	s_delay_alu instid0(VALU_DEP_2) | instskip(NEXT) | instid1(VALU_DEP_1)
	v_xor_b32_e32 v4, v4, v0
	v_sub_nc_u64_e32 v[0:1], v[4:5], v[0:1]
.LBB126_86:
	s_mov_b32 s22, 0
	s_mov_b32 s21, -1
.LBB126_87:
	s_and_not1_b32 vcc_lo, exec_lo, s22
	s_cbranch_vccnz .LBB126_100
; %bb.88:
	s_cmp_gt_i32 s19, 14
	s_cbranch_scc0 .LBB126_91
; %bb.89:
	s_cmp_eq_u32 s19, 15
	s_cbranch_scc0 .LBB126_94
; %bb.90:
	s_wait_loadcnt 0x0
	global_load_u16 v0, v[2:3], off
	s_mov_b32 s21, -1
	s_mov_b32 s23, 0
	s_wait_loadcnt 0x0
	v_lshlrev_b32_e32 v0, 16, v0
	s_delay_alu instid0(VALU_DEP_1) | instskip(NEXT) | instid1(VALU_DEP_1)
	v_trunc_f32_e32 v0, v0
	v_mul_f32_e64 v1, 0x2f800000, |v0|
	s_delay_alu instid0(VALU_DEP_1) | instskip(NEXT) | instid1(VALU_DEP_1)
	v_floor_f32_e32 v1, v1
	v_fma_f32 v4, 0xcf800000, v1, |v0|
	v_ashrrev_i32_e32 v0, 31, v0
	v_cvt_u32_f32_e32 v5, v1
	s_delay_alu instid0(VALU_DEP_3) | instskip(NEXT) | instid1(VALU_DEP_2)
	v_cvt_u32_f32_e32 v4, v4
	v_dual_mov_b32 v1, v0 :: v_dual_bitop2_b32 v5, v5, v0 bitop3:0x14
	s_delay_alu instid0(VALU_DEP_2) | instskip(NEXT) | instid1(VALU_DEP_1)
	v_xor_b32_e32 v4, v4, v0
	v_sub_nc_u64_e32 v[0:1], v[4:5], v[0:1]
	s_branch .LBB126_95
.LBB126_91:
	s_mov_b32 s22, -1
                                        ; implicit-def: $vgpr0_vgpr1
	s_branch .LBB126_96
.LBB126_92:
	s_and_not1_saveexec_b32 s21, s21
	s_cbranch_execz .LBB126_73
.LBB126_93:
	v_cmp_ne_u16_e32 vcc_lo, 0, v4
	s_and_not1_b32 s22, s22, exec_lo
	s_and_b32 s26, vcc_lo, exec_lo
	s_delay_alu instid0(SALU_CYCLE_1)
	s_or_b32 s22, s22, s26
	s_or_b32 exec_lo, exec_lo, s21
	v_mov_b64_e32 v[0:1], 0
	s_and_saveexec_b32 s21, s22
	s_cbranch_execnz .LBB126_74
	s_branch .LBB126_75
.LBB126_94:
	s_mov_b32 s23, -1
                                        ; implicit-def: $vgpr0_vgpr1
.LBB126_95:
	s_mov_b32 s22, 0
.LBB126_96:
	s_delay_alu instid0(SALU_CYCLE_1)
	s_and_b32 vcc_lo, exec_lo, s22
	s_cbranch_vccz .LBB126_100
; %bb.97:
	s_cmp_eq_u32 s19, 11
	s_cbranch_scc0 .LBB126_99
; %bb.98:
	s_wait_loadcnt 0x0
	global_load_u8 v0, v[2:3], off
	s_mov_b32 s23, 0
	s_mov_b32 s21, -1
	v_mov_b32_e32 v1, s23
	s_wait_loadcnt 0x0
	v_cmp_ne_u16_e32 vcc_lo, 0, v0
	v_cndmask_b32_e64 v0, 0, 1, vcc_lo
	s_branch .LBB126_100
.LBB126_99:
	s_mov_b32 s23, -1
                                        ; implicit-def: $vgpr0_vgpr1
.LBB126_100:
	s_branch .LBB126_10
.LBB126_101:
	s_and_b32 s0, 0xffff, s0
	s_delay_alu instid0(SALU_CYCLE_1)
	s_cmp_lt_i32 s0, 5
	s_cbranch_scc1 .LBB126_106
; %bb.102:
	s_cmp_lt_i32 s0, 8
	s_cbranch_scc1 .LBB126_107
; %bb.103:
	;; [unrolled: 3-line block ×3, first 2 shown]
	s_cmp_gt_i32 s0, 9
	s_cbranch_scc0 .LBB126_109
; %bb.105:
	s_wait_loadcnt 0x0
	global_load_b64 v[0:1], v[2:3], off
	s_mov_b32 s19, 0
	s_wait_loadcnt 0x0
	v_trunc_f64_e32 v[0:1], v[0:1]
	s_delay_alu instid0(VALU_DEP_1) | instskip(NEXT) | instid1(VALU_DEP_1)
	v_ldexp_f64 v[4:5], v[0:1], 0xffffffe0
	v_floor_f64_e32 v[4:5], v[4:5]
	s_delay_alu instid0(VALU_DEP_1) | instskip(SKIP_1) | instid1(VALU_DEP_2)
	v_fmamk_f64 v[6:7], v[4:5], 0xc1f00000, v[0:1]
	v_cvt_i32_f64_e32 v1, v[4:5]
	v_cvt_u32_f64_e32 v0, v[6:7]
	s_branch .LBB126_110
.LBB126_106:
                                        ; implicit-def: $vgpr0_vgpr1
	s_branch .LBB126_128
.LBB126_107:
	s_mov_b32 s19, -1
                                        ; implicit-def: $vgpr0_vgpr1
	s_branch .LBB126_116
.LBB126_108:
	s_mov_b32 s19, -1
                                        ; implicit-def: $vgpr0_vgpr1
	s_branch .LBB126_113
.LBB126_109:
	s_mov_b32 s19, -1
                                        ; implicit-def: $vgpr0_vgpr1
.LBB126_110:
	s_delay_alu instid0(SALU_CYCLE_1)
	s_and_not1_b32 vcc_lo, exec_lo, s19
	s_cbranch_vccnz .LBB126_112
; %bb.111:
	s_wait_loadcnt 0x0
	global_load_b32 v0, v[2:3], off
	s_wait_loadcnt 0x0
	v_trunc_f32_e32 v0, v0
	s_delay_alu instid0(VALU_DEP_1) | instskip(NEXT) | instid1(VALU_DEP_1)
	v_mul_f32_e64 v1, 0x2f800000, |v0|
	v_floor_f32_e32 v1, v1
	s_delay_alu instid0(VALU_DEP_1) | instskip(SKIP_2) | instid1(VALU_DEP_3)
	v_fma_f32 v4, 0xcf800000, v1, |v0|
	v_ashrrev_i32_e32 v0, 31, v0
	v_cvt_u32_f32_e32 v5, v1
	v_cvt_u32_f32_e32 v4, v4
	s_delay_alu instid0(VALU_DEP_2) | instskip(NEXT) | instid1(VALU_DEP_2)
	v_dual_mov_b32 v1, v0 :: v_dual_bitop2_b32 v5, v5, v0 bitop3:0x14
	v_xor_b32_e32 v4, v4, v0
	s_delay_alu instid0(VALU_DEP_1)
	v_sub_nc_u64_e32 v[0:1], v[4:5], v[0:1]
.LBB126_112:
	s_mov_b32 s19, 0
.LBB126_113:
	s_delay_alu instid0(SALU_CYCLE_1)
	s_and_not1_b32 vcc_lo, exec_lo, s19
	s_cbranch_vccnz .LBB126_115
; %bb.114:
	s_wait_loadcnt 0x0
	global_load_b32 v0, v[2:3], off
	s_wait_loadcnt 0x0
	v_cvt_f32_f16_e32 v0, v0
	s_delay_alu instid0(VALU_DEP_1) | instskip(NEXT) | instid1(VALU_DEP_1)
	v_cvt_i32_f32_e32 v0, v0
	v_ashrrev_i32_e32 v1, 31, v0
.LBB126_115:
	s_mov_b32 s19, 0
.LBB126_116:
	s_delay_alu instid0(SALU_CYCLE_1)
	s_and_not1_b32 vcc_lo, exec_lo, s19
	s_cbranch_vccnz .LBB126_127
; %bb.117:
	s_cmp_lt_i32 s0, 6
	s_cbranch_scc1 .LBB126_120
; %bb.118:
	s_cmp_gt_i32 s0, 6
	s_cbranch_scc0 .LBB126_121
; %bb.119:
	s_wait_loadcnt 0x0
	global_load_b64 v[0:1], v[2:3], off
	s_mov_b32 s19, 0
	s_wait_loadcnt 0x0
	v_trunc_f64_e32 v[0:1], v[0:1]
	s_delay_alu instid0(VALU_DEP_1) | instskip(NEXT) | instid1(VALU_DEP_1)
	v_ldexp_f64 v[4:5], v[0:1], 0xffffffe0
	v_floor_f64_e32 v[4:5], v[4:5]
	s_delay_alu instid0(VALU_DEP_1) | instskip(SKIP_1) | instid1(VALU_DEP_2)
	v_fmamk_f64 v[6:7], v[4:5], 0xc1f00000, v[0:1]
	v_cvt_i32_f64_e32 v1, v[4:5]
	v_cvt_u32_f64_e32 v0, v[6:7]
	s_branch .LBB126_122
.LBB126_120:
	s_mov_b32 s19, -1
                                        ; implicit-def: $vgpr0_vgpr1
	s_branch .LBB126_125
.LBB126_121:
	s_mov_b32 s19, -1
                                        ; implicit-def: $vgpr0_vgpr1
.LBB126_122:
	s_delay_alu instid0(SALU_CYCLE_1)
	s_and_not1_b32 vcc_lo, exec_lo, s19
	s_cbranch_vccnz .LBB126_124
; %bb.123:
	s_wait_loadcnt 0x0
	global_load_b32 v0, v[2:3], off
	s_wait_loadcnt 0x0
	v_trunc_f32_e32 v0, v0
	s_delay_alu instid0(VALU_DEP_1) | instskip(NEXT) | instid1(VALU_DEP_1)
	v_mul_f32_e64 v1, 0x2f800000, |v0|
	v_floor_f32_e32 v1, v1
	s_delay_alu instid0(VALU_DEP_1) | instskip(SKIP_2) | instid1(VALU_DEP_3)
	v_fma_f32 v4, 0xcf800000, v1, |v0|
	v_ashrrev_i32_e32 v0, 31, v0
	v_cvt_u32_f32_e32 v5, v1
	v_cvt_u32_f32_e32 v4, v4
	s_delay_alu instid0(VALU_DEP_2) | instskip(NEXT) | instid1(VALU_DEP_2)
	v_dual_mov_b32 v1, v0 :: v_dual_bitop2_b32 v5, v5, v0 bitop3:0x14
	v_xor_b32_e32 v4, v4, v0
	s_delay_alu instid0(VALU_DEP_1)
	v_sub_nc_u64_e32 v[0:1], v[4:5], v[0:1]
.LBB126_124:
	s_mov_b32 s19, 0
.LBB126_125:
	s_delay_alu instid0(SALU_CYCLE_1)
	s_and_not1_b32 vcc_lo, exec_lo, s19
	s_cbranch_vccnz .LBB126_127
; %bb.126:
	s_wait_loadcnt 0x0
	global_load_u16 v0, v[2:3], off
	s_wait_loadcnt 0x0
	v_cvt_f32_f16_e32 v0, v0
	s_delay_alu instid0(VALU_DEP_1) | instskip(NEXT) | instid1(VALU_DEP_1)
	v_cvt_i32_f32_e32 v0, v0
	v_ashrrev_i32_e32 v1, 31, v0
.LBB126_127:
	s_cbranch_execnz .LBB126_147
.LBB126_128:
	s_cmp_lt_i32 s0, 2
	s_cbranch_scc1 .LBB126_132
; %bb.129:
	s_cmp_lt_i32 s0, 3
	s_cbranch_scc1 .LBB126_133
; %bb.130:
	s_cmp_gt_i32 s0, 3
	s_cbranch_scc0 .LBB126_134
; %bb.131:
	s_wait_loadcnt 0x0
	global_load_b64 v[0:1], v[2:3], off
	s_mov_b32 s19, 0
	s_branch .LBB126_135
.LBB126_132:
	s_mov_b32 s19, -1
                                        ; implicit-def: $vgpr0_vgpr1
	s_branch .LBB126_141
.LBB126_133:
	s_mov_b32 s19, -1
                                        ; implicit-def: $vgpr0_vgpr1
	s_branch .LBB126_138
.LBB126_134:
	s_mov_b32 s19, -1
                                        ; implicit-def: $vgpr0_vgpr1
.LBB126_135:
	s_delay_alu instid0(SALU_CYCLE_1)
	s_and_not1_b32 vcc_lo, exec_lo, s19
	s_cbranch_vccnz .LBB126_137
; %bb.136:
	s_wait_loadcnt 0x0
	global_load_b32 v0, v[2:3], off
	s_wait_loadcnt 0x0
	v_ashrrev_i32_e32 v1, 31, v0
.LBB126_137:
	s_mov_b32 s19, 0
.LBB126_138:
	s_delay_alu instid0(SALU_CYCLE_1)
	s_and_not1_b32 vcc_lo, exec_lo, s19
	s_cbranch_vccnz .LBB126_140
; %bb.139:
	s_wait_loadcnt 0x0
	global_load_u16 v0, v[2:3], off
	s_wait_loadcnt 0x0
	v_bfe_i32 v0, v0, 0, 16
	s_delay_alu instid0(VALU_DEP_1)
	v_ashrrev_i32_e32 v1, 31, v0
.LBB126_140:
	s_mov_b32 s19, 0
.LBB126_141:
	s_delay_alu instid0(SALU_CYCLE_1)
	s_and_not1_b32 vcc_lo, exec_lo, s19
	s_cbranch_vccnz .LBB126_147
; %bb.142:
	s_cmp_gt_i32 s0, 0
	s_mov_b32 s0, 0
	s_cbranch_scc0 .LBB126_144
; %bb.143:
	s_wait_loadcnt 0x0
	global_load_i8 v0, v[2:3], off
	s_wait_loadcnt 0x0
	v_bfe_i32 v0, v0, 0, 16
	s_delay_alu instid0(VALU_DEP_1)
	v_ashrrev_i32_e32 v1, 31, v0
	s_branch .LBB126_145
.LBB126_144:
	s_mov_b32 s0, -1
                                        ; implicit-def: $vgpr0_vgpr1
.LBB126_145:
	s_delay_alu instid0(SALU_CYCLE_1)
	s_and_not1_b32 vcc_lo, exec_lo, s0
	s_cbranch_vccnz .LBB126_147
; %bb.146:
	s_wait_loadcnt 0x0
	global_load_u8 v0, v[2:3], off
	s_mov_b32 s0, 0
	s_delay_alu instid0(SALU_CYCLE_1)
	v_mov_b32_e32 v1, s0
	s_wait_loadcnt 0x0
	v_and_b32_e32 v0, 0xffff, v0
.LBB126_147:
	s_branch .LBB126_11
.LBB126_148:
	s_mov_b32 s0, 0
	s_mov_b32 s21, 0
	;; [unrolled: 1-line block ×3, first 2 shown]
	s_branch .LBB126_498
.LBB126_149:
	s_mov_b32 s22, -1
.LBB126_150:
	s_mov_b32 s21, 0
                                        ; implicit-def: $vgpr2_vgpr3
.LBB126_151:
	s_and_b32 vcc_lo, exec_lo, s26
	s_cbranch_vccz .LBB126_156
; %bb.152:
	s_cmp_eq_u32 s19, 44
	s_cbranch_scc0 .LBB126_155
; %bb.153:
	global_load_u8 v8, v[4:5], off
	s_mov_b32 s22, 0
	s_mov_b32 s21, -1
	s_wait_loadcnt 0x0
	v_cmp_ne_u32_e32 vcc_lo, 0, v8
	v_lshlrev_b32_e32 v2, 23, v8
	s_delay_alu instid0(VALU_DEP_1) | instskip(NEXT) | instid1(VALU_DEP_1)
	v_trunc_f32_e32 v2, v2
	v_mul_f32_e64 v3, 0x2f800000, |v2|
	s_delay_alu instid0(VALU_DEP_1) | instskip(NEXT) | instid1(VALU_DEP_1)
	v_floor_f32_e32 v3, v3
	v_fma_f32 v6, 0xcf800000, v3, |v2|
	v_ashrrev_i32_e32 v2, 31, v2
	v_cvt_u32_f32_e32 v7, v3
	s_delay_alu instid0(VALU_DEP_3) | instskip(NEXT) | instid1(VALU_DEP_2)
	v_cvt_u32_f32_e32 v6, v6
	v_dual_mov_b32 v3, v2 :: v_dual_bitop2_b32 v7, v7, v2 bitop3:0x14
	s_delay_alu instid0(VALU_DEP_2) | instskip(NEXT) | instid1(VALU_DEP_1)
	v_xor_b32_e32 v6, v6, v2
	v_sub_nc_u64_e32 v[2:3], v[6:7], v[2:3]
	s_delay_alu instid0(VALU_DEP_1)
	v_dual_cndmask_b32 v3, 0, v3 :: v_dual_cndmask_b32 v2, 0, v2
	s_branch .LBB126_156
.LBB126_154:
	s_mov_b32 s26, -1
	s_mov_b32 s21, 0
	s_branch .LBB126_263
.LBB126_155:
	s_mov_b32 s22, -1
                                        ; implicit-def: $vgpr2_vgpr3
.LBB126_156:
	s_mov_b32 s26, 0
.LBB126_157:
	s_delay_alu instid0(SALU_CYCLE_1)
	s_and_b32 vcc_lo, exec_lo, s26
	s_cbranch_vccz .LBB126_161
; %bb.158:
	s_cmp_eq_u32 s19, 29
	s_cbranch_scc0 .LBB126_160
; %bb.159:
	global_load_b64 v[2:3], v[4:5], off
	s_mov_b32 s21, -1
	s_mov_b32 s22, 0
	s_branch .LBB126_161
.LBB126_160:
	s_mov_b32 s22, -1
                                        ; implicit-def: $vgpr2_vgpr3
.LBB126_161:
	s_mov_b32 s26, 0
.LBB126_162:
	s_delay_alu instid0(SALU_CYCLE_1)
	s_and_b32 vcc_lo, exec_lo, s26
	s_cbranch_vccz .LBB126_178
; %bb.163:
	s_cmp_lt_i32 s19, 27
	s_cbranch_scc1 .LBB126_166
; %bb.164:
	s_cmp_gt_i32 s19, 27
	s_cbranch_scc0 .LBB126_167
; %bb.165:
	s_wait_loadcnt 0x0
	global_load_b32 v2, v[4:5], off
	v_mov_b32_e32 v3, 0
	s_mov_b32 s21, 0
	s_branch .LBB126_168
.LBB126_166:
	s_mov_b32 s21, -1
                                        ; implicit-def: $vgpr2_vgpr3
	s_branch .LBB126_171
.LBB126_167:
	s_mov_b32 s21, -1
                                        ; implicit-def: $vgpr2_vgpr3
.LBB126_168:
	s_delay_alu instid0(SALU_CYCLE_1)
	s_and_not1_b32 vcc_lo, exec_lo, s21
	s_cbranch_vccnz .LBB126_170
; %bb.169:
	s_wait_loadcnt 0x0
	global_load_u16 v2, v[4:5], off
	s_mov_b32 s21, 0
	s_delay_alu instid0(SALU_CYCLE_1)
	v_mov_b32_e32 v3, s21
	s_wait_loadcnt 0x0
	v_and_b32_e32 v2, 0xffff, v2
.LBB126_170:
	s_mov_b32 s21, 0
.LBB126_171:
	s_delay_alu instid0(SALU_CYCLE_1)
	s_and_not1_b32 vcc_lo, exec_lo, s21
	s_cbranch_vccnz .LBB126_177
; %bb.172:
	global_load_u8 v6, v[4:5], off
	s_mov_b32 s26, 0
	s_mov_b32 s21, exec_lo
	s_wait_loadcnt 0x0
	v_cmpx_lt_i16_e32 0x7f, v6
	s_xor_b32 s21, exec_lo, s21
	s_cbranch_execz .LBB126_189
; %bb.173:
	v_cmp_ne_u16_e32 vcc_lo, 0x80, v6
	s_and_b32 s26, vcc_lo, exec_lo
	s_and_not1_saveexec_b32 s21, s21
	s_cbranch_execnz .LBB126_190
.LBB126_174:
	s_or_b32 exec_lo, exec_lo, s21
	v_mov_b64_e32 v[2:3], 0
	s_and_saveexec_b32 s21, s26
	s_cbranch_execz .LBB126_176
.LBB126_175:
	v_and_b32_e32 v2, 0xffff, v6
	s_delay_alu instid0(VALU_DEP_1) | instskip(SKIP_1) | instid1(VALU_DEP_2)
	v_and_b32_e32 v3, 7, v2
	v_bfe_u32 v9, v2, 3, 4
	v_clz_i32_u32_e32 v7, v3
	s_delay_alu instid0(VALU_DEP_2) | instskip(NEXT) | instid1(VALU_DEP_2)
	v_cmp_eq_u32_e32 vcc_lo, 0, v9
	v_min_u32_e32 v7, 32, v7
	s_delay_alu instid0(VALU_DEP_1) | instskip(NEXT) | instid1(VALU_DEP_1)
	v_subrev_nc_u32_e32 v8, 28, v7
	v_dual_lshlrev_b32 v2, v8, v2 :: v_dual_sub_nc_u32 v7, 29, v7
	s_delay_alu instid0(VALU_DEP_1) | instskip(NEXT) | instid1(VALU_DEP_2)
	v_and_b32_e32 v2, 7, v2
	v_dual_cndmask_b32 v7, v9, v7 :: v_dual_lshlrev_b32 v6, 24, v6
	s_delay_alu instid0(VALU_DEP_2) | instskip(NEXT) | instid1(VALU_DEP_2)
	v_cndmask_b32_e32 v2, v3, v2, vcc_lo
	v_and_b32_e32 v3, 0x80000000, v6
	s_delay_alu instid0(VALU_DEP_3) | instskip(NEXT) | instid1(VALU_DEP_3)
	v_lshl_add_u32 v6, v7, 23, 0x3b800000
	v_lshlrev_b32_e32 v2, 20, v2
	s_delay_alu instid0(VALU_DEP_1) | instskip(NEXT) | instid1(VALU_DEP_1)
	v_or3_b32 v2, v3, v6, v2
	v_trunc_f32_e32 v2, v2
	s_delay_alu instid0(VALU_DEP_1) | instskip(NEXT) | instid1(VALU_DEP_1)
	v_mul_f32_e64 v3, 0x2f800000, |v2|
	v_floor_f32_e32 v3, v3
	s_delay_alu instid0(VALU_DEP_1) | instskip(SKIP_2) | instid1(VALU_DEP_3)
	v_fma_f32 v6, 0xcf800000, v3, |v2|
	v_ashrrev_i32_e32 v2, 31, v2
	v_cvt_u32_f32_e32 v7, v3
	v_cvt_u32_f32_e32 v6, v6
	s_delay_alu instid0(VALU_DEP_2) | instskip(NEXT) | instid1(VALU_DEP_2)
	v_dual_mov_b32 v3, v2 :: v_dual_bitop2_b32 v7, v7, v2 bitop3:0x14
	v_xor_b32_e32 v6, v6, v2
	s_delay_alu instid0(VALU_DEP_1)
	v_sub_nc_u64_e32 v[2:3], v[6:7], v[2:3]
.LBB126_176:
	s_or_b32 exec_lo, exec_lo, s21
.LBB126_177:
	s_mov_b32 s21, -1
.LBB126_178:
	s_mov_b32 s26, 0
.LBB126_179:
	s_delay_alu instid0(SALU_CYCLE_1)
	s_and_b32 vcc_lo, exec_lo, s26
	s_cbranch_vccz .LBB126_212
; %bb.180:
	s_cmp_gt_i32 s19, 22
	s_cbranch_scc0 .LBB126_188
; %bb.181:
	s_cmp_lt_i32 s19, 24
	s_cbranch_scc1 .LBB126_191
; %bb.182:
	s_cmp_gt_i32 s19, 24
	s_cbranch_scc0 .LBB126_192
; %bb.183:
	global_load_u8 v6, v[4:5], off
	s_mov_b32 s26, 0
	s_mov_b32 s21, exec_lo
	s_wait_loadcnt 0x0
	v_cmpx_lt_i16_e32 0x7f, v6
	s_xor_b32 s21, exec_lo, s21
	s_cbranch_execz .LBB126_204
; %bb.184:
	v_cmp_ne_u16_e32 vcc_lo, 0x80, v6
	s_and_b32 s26, vcc_lo, exec_lo
	s_and_not1_saveexec_b32 s21, s21
	s_cbranch_execnz .LBB126_205
.LBB126_185:
	s_or_b32 exec_lo, exec_lo, s21
	v_mov_b64_e32 v[2:3], 0
	s_and_saveexec_b32 s21, s26
	s_cbranch_execz .LBB126_187
.LBB126_186:
	v_and_b32_e32 v2, 0xffff, v6
	s_delay_alu instid0(VALU_DEP_1) | instskip(SKIP_1) | instid1(VALU_DEP_2)
	v_and_b32_e32 v3, 3, v2
	v_bfe_u32 v9, v2, 2, 5
	v_clz_i32_u32_e32 v7, v3
	s_delay_alu instid0(VALU_DEP_2) | instskip(NEXT) | instid1(VALU_DEP_2)
	v_cmp_eq_u32_e32 vcc_lo, 0, v9
	v_min_u32_e32 v7, 32, v7
	s_delay_alu instid0(VALU_DEP_1) | instskip(NEXT) | instid1(VALU_DEP_1)
	v_subrev_nc_u32_e32 v8, 29, v7
	v_dual_lshlrev_b32 v2, v8, v2 :: v_dual_sub_nc_u32 v7, 30, v7
	s_delay_alu instid0(VALU_DEP_1) | instskip(NEXT) | instid1(VALU_DEP_2)
	v_and_b32_e32 v2, 3, v2
	v_dual_cndmask_b32 v7, v9, v7 :: v_dual_lshlrev_b32 v6, 24, v6
	s_delay_alu instid0(VALU_DEP_2) | instskip(NEXT) | instid1(VALU_DEP_2)
	v_cndmask_b32_e32 v2, v3, v2, vcc_lo
	v_and_b32_e32 v3, 0x80000000, v6
	s_delay_alu instid0(VALU_DEP_3) | instskip(NEXT) | instid1(VALU_DEP_3)
	v_lshl_add_u32 v6, v7, 23, 0x37800000
	v_lshlrev_b32_e32 v2, 21, v2
	s_delay_alu instid0(VALU_DEP_1) | instskip(NEXT) | instid1(VALU_DEP_1)
	v_or3_b32 v2, v3, v6, v2
	v_trunc_f32_e32 v2, v2
	s_delay_alu instid0(VALU_DEP_1) | instskip(NEXT) | instid1(VALU_DEP_1)
	v_mul_f32_e64 v3, 0x2f800000, |v2|
	v_floor_f32_e32 v3, v3
	s_delay_alu instid0(VALU_DEP_1) | instskip(SKIP_2) | instid1(VALU_DEP_3)
	v_fma_f32 v6, 0xcf800000, v3, |v2|
	v_ashrrev_i32_e32 v2, 31, v2
	v_cvt_u32_f32_e32 v7, v3
	v_cvt_u32_f32_e32 v6, v6
	s_delay_alu instid0(VALU_DEP_2) | instskip(NEXT) | instid1(VALU_DEP_2)
	v_dual_mov_b32 v3, v2 :: v_dual_bitop2_b32 v7, v7, v2 bitop3:0x14
	v_xor_b32_e32 v6, v6, v2
	s_delay_alu instid0(VALU_DEP_1)
	v_sub_nc_u64_e32 v[2:3], v[6:7], v[2:3]
.LBB126_187:
	s_or_b32 exec_lo, exec_lo, s21
	s_mov_b32 s21, 0
	s_branch .LBB126_193
.LBB126_188:
	s_mov_b32 s26, -1
                                        ; implicit-def: $vgpr2_vgpr3
	s_branch .LBB126_199
.LBB126_189:
	s_and_not1_saveexec_b32 s21, s21
	s_cbranch_execz .LBB126_174
.LBB126_190:
	v_cmp_ne_u16_e32 vcc_lo, 0, v6
	s_and_not1_b32 s26, s26, exec_lo
	s_and_b32 s27, vcc_lo, exec_lo
	s_delay_alu instid0(SALU_CYCLE_1)
	s_or_b32 s26, s26, s27
	s_or_b32 exec_lo, exec_lo, s21
	v_mov_b64_e32 v[2:3], 0
	s_and_saveexec_b32 s21, s26
	s_cbranch_execnz .LBB126_175
	s_branch .LBB126_176
.LBB126_191:
	s_mov_b32 s21, -1
                                        ; implicit-def: $vgpr2_vgpr3
	s_branch .LBB126_196
.LBB126_192:
	s_mov_b32 s21, -1
                                        ; implicit-def: $vgpr2_vgpr3
.LBB126_193:
	s_delay_alu instid0(SALU_CYCLE_1)
	s_and_b32 vcc_lo, exec_lo, s21
	s_cbranch_vccz .LBB126_195
; %bb.194:
	s_wait_loadcnt 0x0
	global_load_u8 v2, v[4:5], off
	s_wait_loadcnt 0x0
	v_lshlrev_b32_e32 v2, 24, v2
	s_delay_alu instid0(VALU_DEP_1) | instskip(NEXT) | instid1(VALU_DEP_1)
	v_and_b32_e32 v3, 0x7f000000, v2
	v_clz_i32_u32_e32 v6, v3
	v_cmp_ne_u32_e32 vcc_lo, 0, v3
	v_add_nc_u32_e32 v8, 0x1000000, v3
	s_delay_alu instid0(VALU_DEP_3) | instskip(NEXT) | instid1(VALU_DEP_1)
	v_min_u32_e32 v6, 32, v6
	v_sub_nc_u32_e64 v6, v6, 4 clamp
	s_delay_alu instid0(VALU_DEP_1) | instskip(NEXT) | instid1(VALU_DEP_1)
	v_dual_lshlrev_b32 v7, v6, v3 :: v_dual_lshlrev_b32 v6, 23, v6
	v_lshrrev_b32_e32 v7, 4, v7
	s_delay_alu instid0(VALU_DEP_1) | instskip(NEXT) | instid1(VALU_DEP_1)
	v_dual_sub_nc_u32 v6, v7, v6 :: v_dual_ashrrev_i32 v7, 8, v8
	v_add_nc_u32_e32 v6, 0x3c000000, v6
	s_delay_alu instid0(VALU_DEP_1) | instskip(NEXT) | instid1(VALU_DEP_1)
	v_and_or_b32 v6, 0x7f800000, v7, v6
	v_cndmask_b32_e32 v3, 0, v6, vcc_lo
	s_delay_alu instid0(VALU_DEP_1) | instskip(NEXT) | instid1(VALU_DEP_1)
	v_and_or_b32 v2, 0x80000000, v2, v3
	v_trunc_f32_e32 v2, v2
	s_delay_alu instid0(VALU_DEP_1) | instskip(NEXT) | instid1(VALU_DEP_1)
	v_mul_f32_e64 v3, 0x2f800000, |v2|
	v_floor_f32_e32 v3, v3
	s_delay_alu instid0(VALU_DEP_1) | instskip(SKIP_2) | instid1(VALU_DEP_3)
	v_fma_f32 v6, 0xcf800000, v3, |v2|
	v_ashrrev_i32_e32 v2, 31, v2
	v_cvt_u32_f32_e32 v7, v3
	v_cvt_u32_f32_e32 v6, v6
	s_delay_alu instid0(VALU_DEP_2) | instskip(NEXT) | instid1(VALU_DEP_2)
	v_dual_mov_b32 v3, v2 :: v_dual_bitop2_b32 v7, v7, v2 bitop3:0x14
	v_xor_b32_e32 v6, v6, v2
	s_delay_alu instid0(VALU_DEP_1)
	v_sub_nc_u64_e32 v[2:3], v[6:7], v[2:3]
.LBB126_195:
	s_mov_b32 s21, 0
.LBB126_196:
	s_delay_alu instid0(SALU_CYCLE_1)
	s_and_not1_b32 vcc_lo, exec_lo, s21
	s_cbranch_vccnz .LBB126_198
; %bb.197:
	s_wait_loadcnt 0x0
	global_load_u8 v2, v[4:5], off
	s_wait_loadcnt 0x0
	v_lshlrev_b32_e32 v3, 25, v2
	v_lshlrev_b16 v2, 8, v2
	s_delay_alu instid0(VALU_DEP_1) | instskip(SKIP_1) | instid1(VALU_DEP_2)
	v_and_or_b32 v7, 0x7f00, v2, 0.5
	v_bfe_i32 v2, v2, 0, 16
	v_add_f32_e32 v7, -0.5, v7
	v_lshrrev_b32_e32 v6, 4, v3
	v_cmp_gt_u32_e32 vcc_lo, 0x8000000, v3
	s_delay_alu instid0(VALU_DEP_2) | instskip(NEXT) | instid1(VALU_DEP_1)
	v_or_b32_e32 v6, 0x70000000, v6
	v_mul_f32_e32 v6, 0x7800000, v6
	s_delay_alu instid0(VALU_DEP_1) | instskip(NEXT) | instid1(VALU_DEP_1)
	v_cndmask_b32_e32 v3, v6, v7, vcc_lo
	v_and_or_b32 v2, 0x80000000, v2, v3
	s_delay_alu instid0(VALU_DEP_1) | instskip(NEXT) | instid1(VALU_DEP_1)
	v_trunc_f32_e32 v2, v2
	v_mul_f32_e64 v3, 0x2f800000, |v2|
	s_delay_alu instid0(VALU_DEP_1) | instskip(NEXT) | instid1(VALU_DEP_1)
	v_floor_f32_e32 v3, v3
	v_fma_f32 v6, 0xcf800000, v3, |v2|
	v_ashrrev_i32_e32 v2, 31, v2
	v_cvt_u32_f32_e32 v7, v3
	s_delay_alu instid0(VALU_DEP_3) | instskip(NEXT) | instid1(VALU_DEP_2)
	v_cvt_u32_f32_e32 v6, v6
	v_dual_mov_b32 v3, v2 :: v_dual_bitop2_b32 v7, v7, v2 bitop3:0x14
	s_delay_alu instid0(VALU_DEP_2) | instskip(NEXT) | instid1(VALU_DEP_1)
	v_xor_b32_e32 v6, v6, v2
	v_sub_nc_u64_e32 v[2:3], v[6:7], v[2:3]
.LBB126_198:
	s_mov_b32 s26, 0
	s_mov_b32 s21, -1
.LBB126_199:
	s_and_not1_b32 vcc_lo, exec_lo, s26
	s_cbranch_vccnz .LBB126_212
; %bb.200:
	s_cmp_gt_i32 s19, 14
	s_cbranch_scc0 .LBB126_203
; %bb.201:
	s_cmp_eq_u32 s19, 15
	s_cbranch_scc0 .LBB126_206
; %bb.202:
	s_wait_loadcnt 0x0
	global_load_u16 v2, v[4:5], off
	s_mov_b32 s21, -1
	s_mov_b32 s22, 0
	s_wait_loadcnt 0x0
	v_lshlrev_b32_e32 v2, 16, v2
	s_delay_alu instid0(VALU_DEP_1) | instskip(NEXT) | instid1(VALU_DEP_1)
	v_trunc_f32_e32 v2, v2
	v_mul_f32_e64 v3, 0x2f800000, |v2|
	s_delay_alu instid0(VALU_DEP_1) | instskip(NEXT) | instid1(VALU_DEP_1)
	v_floor_f32_e32 v3, v3
	v_fma_f32 v6, 0xcf800000, v3, |v2|
	v_ashrrev_i32_e32 v2, 31, v2
	v_cvt_u32_f32_e32 v7, v3
	s_delay_alu instid0(VALU_DEP_3) | instskip(NEXT) | instid1(VALU_DEP_2)
	v_cvt_u32_f32_e32 v6, v6
	v_dual_mov_b32 v3, v2 :: v_dual_bitop2_b32 v7, v7, v2 bitop3:0x14
	s_delay_alu instid0(VALU_DEP_2) | instskip(NEXT) | instid1(VALU_DEP_1)
	v_xor_b32_e32 v6, v6, v2
	v_sub_nc_u64_e32 v[2:3], v[6:7], v[2:3]
	s_branch .LBB126_207
.LBB126_203:
	s_mov_b32 s26, -1
                                        ; implicit-def: $vgpr2_vgpr3
	s_branch .LBB126_208
.LBB126_204:
	s_and_not1_saveexec_b32 s21, s21
	s_cbranch_execz .LBB126_185
.LBB126_205:
	v_cmp_ne_u16_e32 vcc_lo, 0, v6
	s_and_not1_b32 s26, s26, exec_lo
	s_and_b32 s27, vcc_lo, exec_lo
	s_delay_alu instid0(SALU_CYCLE_1)
	s_or_b32 s26, s26, s27
	s_or_b32 exec_lo, exec_lo, s21
	v_mov_b64_e32 v[2:3], 0
	s_and_saveexec_b32 s21, s26
	s_cbranch_execnz .LBB126_186
	s_branch .LBB126_187
.LBB126_206:
	s_mov_b32 s22, -1
                                        ; implicit-def: $vgpr2_vgpr3
.LBB126_207:
	s_mov_b32 s26, 0
.LBB126_208:
	s_delay_alu instid0(SALU_CYCLE_1)
	s_and_b32 vcc_lo, exec_lo, s26
	s_cbranch_vccz .LBB126_212
; %bb.209:
	s_cmp_eq_u32 s19, 11
	s_cbranch_scc0 .LBB126_211
; %bb.210:
	s_wait_loadcnt 0x0
	global_load_u8 v2, v[4:5], off
	s_mov_b32 s22, 0
	s_mov_b32 s21, -1
	v_mov_b32_e32 v3, s22
	s_wait_loadcnt 0x0
	v_cmp_ne_u16_e32 vcc_lo, 0, v2
	v_cndmask_b32_e64 v2, 0, 1, vcc_lo
	s_branch .LBB126_212
.LBB126_211:
	s_mov_b32 s22, -1
                                        ; implicit-def: $vgpr2_vgpr3
.LBB126_212:
	s_branch .LBB126_20
.LBB126_213:
	s_and_b32 s0, 0xffff, s0
	s_delay_alu instid0(SALU_CYCLE_1)
	s_cmp_lt_i32 s0, 5
	s_cbranch_scc1 .LBB126_218
; %bb.214:
	s_cmp_lt_i32 s0, 8
	s_cbranch_scc1 .LBB126_219
; %bb.215:
	s_cmp_lt_i32 s0, 9
	s_cbranch_scc1 .LBB126_220
; %bb.216:
	s_cmp_gt_i32 s0, 9
	s_cbranch_scc0 .LBB126_221
; %bb.217:
	s_wait_loadcnt 0x0
	global_load_b64 v[2:3], v[4:5], off
	s_mov_b32 s19, 0
	s_wait_loadcnt 0x0
	v_trunc_f64_e32 v[2:3], v[2:3]
	s_delay_alu instid0(VALU_DEP_1) | instskip(NEXT) | instid1(VALU_DEP_1)
	v_ldexp_f64 v[6:7], v[2:3], 0xffffffe0
	v_floor_f64_e32 v[6:7], v[6:7]
	s_delay_alu instid0(VALU_DEP_1) | instskip(SKIP_1) | instid1(VALU_DEP_2)
	v_fmamk_f64 v[8:9], v[6:7], 0xc1f00000, v[2:3]
	v_cvt_i32_f64_e32 v3, v[6:7]
	v_cvt_u32_f64_e32 v2, v[8:9]
	s_branch .LBB126_222
.LBB126_218:
	s_mov_b32 s19, -1
                                        ; implicit-def: $vgpr2_vgpr3
	s_branch .LBB126_240
.LBB126_219:
	s_mov_b32 s19, -1
                                        ; implicit-def: $vgpr2_vgpr3
	s_branch .LBB126_228
.LBB126_220:
	s_mov_b32 s19, -1
                                        ; implicit-def: $vgpr2_vgpr3
	s_branch .LBB126_225
.LBB126_221:
	s_mov_b32 s19, -1
                                        ; implicit-def: $vgpr2_vgpr3
.LBB126_222:
	s_delay_alu instid0(SALU_CYCLE_1)
	s_and_not1_b32 vcc_lo, exec_lo, s19
	s_cbranch_vccnz .LBB126_224
; %bb.223:
	s_wait_loadcnt 0x0
	global_load_b32 v2, v[4:5], off
	s_wait_loadcnt 0x0
	v_trunc_f32_e32 v2, v2
	s_delay_alu instid0(VALU_DEP_1) | instskip(NEXT) | instid1(VALU_DEP_1)
	v_mul_f32_e64 v3, 0x2f800000, |v2|
	v_floor_f32_e32 v3, v3
	s_delay_alu instid0(VALU_DEP_1) | instskip(SKIP_2) | instid1(VALU_DEP_3)
	v_fma_f32 v6, 0xcf800000, v3, |v2|
	v_ashrrev_i32_e32 v2, 31, v2
	v_cvt_u32_f32_e32 v7, v3
	v_cvt_u32_f32_e32 v6, v6
	s_delay_alu instid0(VALU_DEP_2) | instskip(NEXT) | instid1(VALU_DEP_2)
	v_dual_mov_b32 v3, v2 :: v_dual_bitop2_b32 v7, v7, v2 bitop3:0x14
	v_xor_b32_e32 v6, v6, v2
	s_delay_alu instid0(VALU_DEP_1)
	v_sub_nc_u64_e32 v[2:3], v[6:7], v[2:3]
.LBB126_224:
	s_mov_b32 s19, 0
.LBB126_225:
	s_delay_alu instid0(SALU_CYCLE_1)
	s_and_not1_b32 vcc_lo, exec_lo, s19
	s_cbranch_vccnz .LBB126_227
; %bb.226:
	s_wait_loadcnt 0x0
	global_load_b32 v2, v[4:5], off
	s_wait_loadcnt 0x0
	v_cvt_f32_f16_e32 v2, v2
	s_delay_alu instid0(VALU_DEP_1) | instskip(NEXT) | instid1(VALU_DEP_1)
	v_cvt_i32_f32_e32 v2, v2
	v_ashrrev_i32_e32 v3, 31, v2
.LBB126_227:
	s_mov_b32 s19, 0
.LBB126_228:
	s_delay_alu instid0(SALU_CYCLE_1)
	s_and_not1_b32 vcc_lo, exec_lo, s19
	s_cbranch_vccnz .LBB126_239
; %bb.229:
	s_cmp_lt_i32 s0, 6
	s_cbranch_scc1 .LBB126_232
; %bb.230:
	s_cmp_gt_i32 s0, 6
	s_cbranch_scc0 .LBB126_233
; %bb.231:
	s_wait_loadcnt 0x0
	global_load_b64 v[2:3], v[4:5], off
	s_mov_b32 s19, 0
	s_wait_loadcnt 0x0
	v_trunc_f64_e32 v[2:3], v[2:3]
	s_delay_alu instid0(VALU_DEP_1) | instskip(NEXT) | instid1(VALU_DEP_1)
	v_ldexp_f64 v[6:7], v[2:3], 0xffffffe0
	v_floor_f64_e32 v[6:7], v[6:7]
	s_delay_alu instid0(VALU_DEP_1) | instskip(SKIP_1) | instid1(VALU_DEP_2)
	v_fmamk_f64 v[8:9], v[6:7], 0xc1f00000, v[2:3]
	v_cvt_i32_f64_e32 v3, v[6:7]
	v_cvt_u32_f64_e32 v2, v[8:9]
	s_branch .LBB126_234
.LBB126_232:
	s_mov_b32 s19, -1
                                        ; implicit-def: $vgpr2_vgpr3
	s_branch .LBB126_237
.LBB126_233:
	s_mov_b32 s19, -1
                                        ; implicit-def: $vgpr2_vgpr3
.LBB126_234:
	s_delay_alu instid0(SALU_CYCLE_1)
	s_and_not1_b32 vcc_lo, exec_lo, s19
	s_cbranch_vccnz .LBB126_236
; %bb.235:
	s_wait_loadcnt 0x0
	global_load_b32 v2, v[4:5], off
	s_wait_loadcnt 0x0
	v_trunc_f32_e32 v2, v2
	s_delay_alu instid0(VALU_DEP_1) | instskip(NEXT) | instid1(VALU_DEP_1)
	v_mul_f32_e64 v3, 0x2f800000, |v2|
	v_floor_f32_e32 v3, v3
	s_delay_alu instid0(VALU_DEP_1) | instskip(SKIP_2) | instid1(VALU_DEP_3)
	v_fma_f32 v6, 0xcf800000, v3, |v2|
	v_ashrrev_i32_e32 v2, 31, v2
	v_cvt_u32_f32_e32 v7, v3
	v_cvt_u32_f32_e32 v6, v6
	s_delay_alu instid0(VALU_DEP_2) | instskip(NEXT) | instid1(VALU_DEP_2)
	v_dual_mov_b32 v3, v2 :: v_dual_bitop2_b32 v7, v7, v2 bitop3:0x14
	v_xor_b32_e32 v6, v6, v2
	s_delay_alu instid0(VALU_DEP_1)
	v_sub_nc_u64_e32 v[2:3], v[6:7], v[2:3]
.LBB126_236:
	s_mov_b32 s19, 0
.LBB126_237:
	s_delay_alu instid0(SALU_CYCLE_1)
	s_and_not1_b32 vcc_lo, exec_lo, s19
	s_cbranch_vccnz .LBB126_239
; %bb.238:
	s_wait_loadcnt 0x0
	global_load_u16 v2, v[4:5], off
	s_wait_loadcnt 0x0
	v_cvt_f32_f16_e32 v2, v2
	s_delay_alu instid0(VALU_DEP_1) | instskip(NEXT) | instid1(VALU_DEP_1)
	v_cvt_i32_f32_e32 v2, v2
	v_ashrrev_i32_e32 v3, 31, v2
.LBB126_239:
	s_mov_b32 s19, 0
.LBB126_240:
	s_delay_alu instid0(SALU_CYCLE_1)
	s_and_not1_b32 vcc_lo, exec_lo, s19
	s_cbranch_vccnz .LBB126_260
; %bb.241:
	s_cmp_lt_i32 s0, 2
	s_cbranch_scc1 .LBB126_245
; %bb.242:
	s_cmp_lt_i32 s0, 3
	s_cbranch_scc1 .LBB126_246
; %bb.243:
	s_cmp_gt_i32 s0, 3
	s_cbranch_scc0 .LBB126_247
; %bb.244:
	s_wait_loadcnt 0x0
	global_load_b64 v[2:3], v[4:5], off
	s_mov_b32 s19, 0
	s_branch .LBB126_248
.LBB126_245:
	s_mov_b32 s19, -1
                                        ; implicit-def: $vgpr2_vgpr3
	s_branch .LBB126_254
.LBB126_246:
	s_mov_b32 s19, -1
                                        ; implicit-def: $vgpr2_vgpr3
	s_branch .LBB126_251
.LBB126_247:
	s_mov_b32 s19, -1
                                        ; implicit-def: $vgpr2_vgpr3
.LBB126_248:
	s_delay_alu instid0(SALU_CYCLE_1)
	s_and_not1_b32 vcc_lo, exec_lo, s19
	s_cbranch_vccnz .LBB126_250
; %bb.249:
	s_wait_loadcnt 0x0
	global_load_b32 v2, v[4:5], off
	s_wait_loadcnt 0x0
	v_ashrrev_i32_e32 v3, 31, v2
.LBB126_250:
	s_mov_b32 s19, 0
.LBB126_251:
	s_delay_alu instid0(SALU_CYCLE_1)
	s_and_not1_b32 vcc_lo, exec_lo, s19
	s_cbranch_vccnz .LBB126_253
; %bb.252:
	s_wait_loadcnt 0x0
	global_load_u16 v2, v[4:5], off
	s_wait_loadcnt 0x0
	v_bfe_i32 v2, v2, 0, 16
	s_delay_alu instid0(VALU_DEP_1)
	v_ashrrev_i32_e32 v3, 31, v2
.LBB126_253:
	s_mov_b32 s19, 0
.LBB126_254:
	s_delay_alu instid0(SALU_CYCLE_1)
	s_and_not1_b32 vcc_lo, exec_lo, s19
	s_cbranch_vccnz .LBB126_260
; %bb.255:
	s_cmp_gt_i32 s0, 0
	s_mov_b32 s0, 0
	s_cbranch_scc0 .LBB126_257
; %bb.256:
	s_wait_loadcnt 0x0
	global_load_i8 v2, v[4:5], off
	s_wait_loadcnt 0x0
	v_bfe_i32 v2, v2, 0, 16
	s_delay_alu instid0(VALU_DEP_1)
	v_ashrrev_i32_e32 v3, 31, v2
	s_branch .LBB126_258
.LBB126_257:
	s_mov_b32 s0, -1
                                        ; implicit-def: $vgpr2_vgpr3
.LBB126_258:
	s_delay_alu instid0(SALU_CYCLE_1)
	s_and_not1_b32 vcc_lo, exec_lo, s0
	s_cbranch_vccnz .LBB126_260
; %bb.259:
	s_wait_loadcnt 0x0
	global_load_u8 v2, v[4:5], off
	s_mov_b32 s0, 0
	s_delay_alu instid0(SALU_CYCLE_1)
	v_mov_b32_e32 v3, s0
	s_wait_loadcnt 0x0
	v_and_b32_e32 v2, 0xffff, v2
.LBB126_260:
	s_branch .LBB126_21
.LBB126_261:
	s_mov_b32 s0, 0
	s_mov_b32 s21, 0
	s_branch .LBB126_498
.LBB126_262:
	s_mov_b32 s21, -1
.LBB126_263:
	s_mov_b32 s19, 0
                                        ; implicit-def: $vgpr6_vgpr7
.LBB126_264:
	s_and_b32 vcc_lo, exec_lo, s26
	s_cbranch_vccz .LBB126_268
; %bb.265:
	s_cmp_eq_u32 s0, 44
	s_cbranch_scc0 .LBB126_267
; %bb.266:
	global_load_u8 v10, v[4:5], off
	s_mov_b32 s21, 0
	s_mov_b32 s19, -1
	s_wait_loadcnt 0x0
	v_cmp_ne_u32_e32 vcc_lo, 0, v10
	v_lshlrev_b32_e32 v6, 23, v10
	s_delay_alu instid0(VALU_DEP_1) | instskip(NEXT) | instid1(VALU_DEP_1)
	v_trunc_f32_e32 v6, v6
	v_mul_f32_e64 v7, 0x2f800000, |v6|
	s_delay_alu instid0(VALU_DEP_1) | instskip(NEXT) | instid1(VALU_DEP_1)
	v_floor_f32_e32 v7, v7
	v_fma_f32 v8, 0xcf800000, v7, |v6|
	v_ashrrev_i32_e32 v6, 31, v6
	v_cvt_u32_f32_e32 v9, v7
	s_delay_alu instid0(VALU_DEP_3) | instskip(NEXT) | instid1(VALU_DEP_2)
	v_cvt_u32_f32_e32 v8, v8
	v_dual_mov_b32 v7, v6 :: v_dual_bitop2_b32 v9, v9, v6 bitop3:0x14
	s_delay_alu instid0(VALU_DEP_2) | instskip(NEXT) | instid1(VALU_DEP_1)
	v_xor_b32_e32 v8, v8, v6
	v_sub_nc_u64_e32 v[6:7], v[8:9], v[6:7]
	s_delay_alu instid0(VALU_DEP_1)
	v_dual_cndmask_b32 v7, 0, v7 :: v_dual_cndmask_b32 v6, 0, v6
	s_branch .LBB126_268
.LBB126_267:
	s_mov_b32 s21, -1
                                        ; implicit-def: $vgpr6_vgpr7
.LBB126_268:
	s_mov_b32 s26, 0
.LBB126_269:
	s_delay_alu instid0(SALU_CYCLE_1)
	s_and_b32 vcc_lo, exec_lo, s26
	s_cbranch_vccz .LBB126_273
; %bb.270:
	s_cmp_eq_u32 s0, 29
	s_cbranch_scc0 .LBB126_272
; %bb.271:
	global_load_b64 v[6:7], v[4:5], off
	s_mov_b32 s19, -1
	s_mov_b32 s21, 0
	s_branch .LBB126_273
.LBB126_272:
	s_mov_b32 s21, -1
                                        ; implicit-def: $vgpr6_vgpr7
.LBB126_273:
	s_mov_b32 s26, 0
.LBB126_274:
	s_delay_alu instid0(SALU_CYCLE_1)
	s_and_b32 vcc_lo, exec_lo, s26
	s_cbranch_vccz .LBB126_290
; %bb.275:
	s_cmp_lt_i32 s0, 27
	s_cbranch_scc1 .LBB126_278
; %bb.276:
	s_cmp_gt_i32 s0, 27
	s_cbranch_scc0 .LBB126_279
; %bb.277:
	s_wait_loadcnt 0x0
	global_load_b32 v6, v[4:5], off
	v_mov_b32_e32 v7, 0
	s_mov_b32 s19, 0
	s_branch .LBB126_280
.LBB126_278:
	s_mov_b32 s19, -1
                                        ; implicit-def: $vgpr6_vgpr7
	s_branch .LBB126_283
.LBB126_279:
	s_mov_b32 s19, -1
                                        ; implicit-def: $vgpr6_vgpr7
.LBB126_280:
	s_delay_alu instid0(SALU_CYCLE_1)
	s_and_not1_b32 vcc_lo, exec_lo, s19
	s_cbranch_vccnz .LBB126_282
; %bb.281:
	s_wait_loadcnt 0x0
	global_load_u16 v6, v[4:5], off
	s_mov_b32 s19, 0
	s_delay_alu instid0(SALU_CYCLE_1)
	v_mov_b32_e32 v7, s19
	s_wait_loadcnt 0x0
	v_and_b32_e32 v6, 0xffff, v6
.LBB126_282:
	s_mov_b32 s19, 0
.LBB126_283:
	s_delay_alu instid0(SALU_CYCLE_1)
	s_and_not1_b32 vcc_lo, exec_lo, s19
	s_cbranch_vccnz .LBB126_289
; %bb.284:
	global_load_u8 v8, v[4:5], off
	s_mov_b32 s26, 0
	s_mov_b32 s19, exec_lo
	s_wait_loadcnt 0x0
	v_cmpx_lt_i16_e32 0x7f, v8
	s_xor_b32 s19, exec_lo, s19
	s_cbranch_execz .LBB126_301
; %bb.285:
	v_cmp_ne_u16_e32 vcc_lo, 0x80, v8
	s_and_b32 s26, vcc_lo, exec_lo
	s_and_not1_saveexec_b32 s19, s19
	s_cbranch_execnz .LBB126_302
.LBB126_286:
	s_or_b32 exec_lo, exec_lo, s19
	v_mov_b64_e32 v[6:7], 0
	s_and_saveexec_b32 s19, s26
	s_cbranch_execz .LBB126_288
.LBB126_287:
	v_and_b32_e32 v6, 0xffff, v8
	s_delay_alu instid0(VALU_DEP_1) | instskip(SKIP_1) | instid1(VALU_DEP_2)
	v_and_b32_e32 v7, 7, v6
	v_bfe_u32 v11, v6, 3, 4
	v_clz_i32_u32_e32 v9, v7
	s_delay_alu instid0(VALU_DEP_2) | instskip(NEXT) | instid1(VALU_DEP_2)
	v_cmp_eq_u32_e32 vcc_lo, 0, v11
	v_min_u32_e32 v9, 32, v9
	s_delay_alu instid0(VALU_DEP_1) | instskip(NEXT) | instid1(VALU_DEP_1)
	v_subrev_nc_u32_e32 v10, 28, v9
	v_dual_lshlrev_b32 v6, v10, v6 :: v_dual_sub_nc_u32 v9, 29, v9
	s_delay_alu instid0(VALU_DEP_1) | instskip(NEXT) | instid1(VALU_DEP_2)
	v_dual_lshlrev_b32 v8, 24, v8 :: v_dual_bitop2_b32 v6, 7, v6 bitop3:0x40
	v_cndmask_b32_e32 v9, v11, v9, vcc_lo
	s_delay_alu instid0(VALU_DEP_2) | instskip(NEXT) | instid1(VALU_DEP_3)
	v_cndmask_b32_e32 v6, v7, v6, vcc_lo
	v_and_b32_e32 v7, 0x80000000, v8
	s_delay_alu instid0(VALU_DEP_3) | instskip(NEXT) | instid1(VALU_DEP_3)
	v_lshl_add_u32 v8, v9, 23, 0x3b800000
	v_lshlrev_b32_e32 v6, 20, v6
	s_delay_alu instid0(VALU_DEP_1) | instskip(NEXT) | instid1(VALU_DEP_1)
	v_or3_b32 v6, v7, v8, v6
	v_trunc_f32_e32 v6, v6
	s_delay_alu instid0(VALU_DEP_1) | instskip(NEXT) | instid1(VALU_DEP_1)
	v_mul_f32_e64 v7, 0x2f800000, |v6|
	v_floor_f32_e32 v7, v7
	s_delay_alu instid0(VALU_DEP_1) | instskip(SKIP_2) | instid1(VALU_DEP_3)
	v_fma_f32 v8, 0xcf800000, v7, |v6|
	v_ashrrev_i32_e32 v6, 31, v6
	v_cvt_u32_f32_e32 v9, v7
	v_cvt_u32_f32_e32 v8, v8
	s_delay_alu instid0(VALU_DEP_2) | instskip(NEXT) | instid1(VALU_DEP_2)
	v_dual_mov_b32 v7, v6 :: v_dual_bitop2_b32 v9, v9, v6 bitop3:0x14
	v_xor_b32_e32 v8, v8, v6
	s_delay_alu instid0(VALU_DEP_1)
	v_sub_nc_u64_e32 v[6:7], v[8:9], v[6:7]
.LBB126_288:
	s_or_b32 exec_lo, exec_lo, s19
.LBB126_289:
	s_mov_b32 s19, -1
.LBB126_290:
	s_mov_b32 s26, 0
.LBB126_291:
	s_delay_alu instid0(SALU_CYCLE_1)
	s_and_b32 vcc_lo, exec_lo, s26
	s_cbranch_vccz .LBB126_324
; %bb.292:
	s_cmp_gt_i32 s0, 22
	s_cbranch_scc0 .LBB126_300
; %bb.293:
	s_cmp_lt_i32 s0, 24
	s_cbranch_scc1 .LBB126_303
; %bb.294:
	s_cmp_gt_i32 s0, 24
	s_cbranch_scc0 .LBB126_304
; %bb.295:
	global_load_u8 v8, v[4:5], off
	s_mov_b32 s26, 0
	s_mov_b32 s19, exec_lo
	s_wait_loadcnt 0x0
	v_cmpx_lt_i16_e32 0x7f, v8
	s_xor_b32 s19, exec_lo, s19
	s_cbranch_execz .LBB126_316
; %bb.296:
	v_cmp_ne_u16_e32 vcc_lo, 0x80, v8
	s_and_b32 s26, vcc_lo, exec_lo
	s_and_not1_saveexec_b32 s19, s19
	s_cbranch_execnz .LBB126_317
.LBB126_297:
	s_or_b32 exec_lo, exec_lo, s19
	v_mov_b64_e32 v[6:7], 0
	s_and_saveexec_b32 s19, s26
	s_cbranch_execz .LBB126_299
.LBB126_298:
	v_and_b32_e32 v6, 0xffff, v8
	s_delay_alu instid0(VALU_DEP_1) | instskip(SKIP_1) | instid1(VALU_DEP_2)
	v_and_b32_e32 v7, 3, v6
	v_bfe_u32 v11, v6, 2, 5
	v_clz_i32_u32_e32 v9, v7
	s_delay_alu instid0(VALU_DEP_2) | instskip(NEXT) | instid1(VALU_DEP_2)
	v_cmp_eq_u32_e32 vcc_lo, 0, v11
	v_min_u32_e32 v9, 32, v9
	s_delay_alu instid0(VALU_DEP_1) | instskip(NEXT) | instid1(VALU_DEP_1)
	v_subrev_nc_u32_e32 v10, 29, v9
	v_dual_lshlrev_b32 v6, v10, v6 :: v_dual_sub_nc_u32 v9, 30, v9
	s_delay_alu instid0(VALU_DEP_1) | instskip(NEXT) | instid1(VALU_DEP_2)
	v_dual_lshlrev_b32 v8, 24, v8 :: v_dual_bitop2_b32 v6, 3, v6 bitop3:0x40
	v_cndmask_b32_e32 v9, v11, v9, vcc_lo
	s_delay_alu instid0(VALU_DEP_2) | instskip(NEXT) | instid1(VALU_DEP_3)
	v_cndmask_b32_e32 v6, v7, v6, vcc_lo
	v_and_b32_e32 v7, 0x80000000, v8
	s_delay_alu instid0(VALU_DEP_3) | instskip(NEXT) | instid1(VALU_DEP_3)
	v_lshl_add_u32 v8, v9, 23, 0x37800000
	v_lshlrev_b32_e32 v6, 21, v6
	s_delay_alu instid0(VALU_DEP_1) | instskip(NEXT) | instid1(VALU_DEP_1)
	v_or3_b32 v6, v7, v8, v6
	v_trunc_f32_e32 v6, v6
	s_delay_alu instid0(VALU_DEP_1) | instskip(NEXT) | instid1(VALU_DEP_1)
	v_mul_f32_e64 v7, 0x2f800000, |v6|
	v_floor_f32_e32 v7, v7
	s_delay_alu instid0(VALU_DEP_1) | instskip(SKIP_2) | instid1(VALU_DEP_3)
	v_fma_f32 v8, 0xcf800000, v7, |v6|
	v_ashrrev_i32_e32 v6, 31, v6
	v_cvt_u32_f32_e32 v9, v7
	v_cvt_u32_f32_e32 v8, v8
	s_delay_alu instid0(VALU_DEP_2) | instskip(NEXT) | instid1(VALU_DEP_2)
	v_dual_mov_b32 v7, v6 :: v_dual_bitop2_b32 v9, v9, v6 bitop3:0x14
	v_xor_b32_e32 v8, v8, v6
	s_delay_alu instid0(VALU_DEP_1)
	v_sub_nc_u64_e32 v[6:7], v[8:9], v[6:7]
.LBB126_299:
	s_or_b32 exec_lo, exec_lo, s19
	s_mov_b32 s19, 0
	s_branch .LBB126_305
.LBB126_300:
	s_mov_b32 s26, -1
                                        ; implicit-def: $vgpr6_vgpr7
	s_branch .LBB126_311
.LBB126_301:
	s_and_not1_saveexec_b32 s19, s19
	s_cbranch_execz .LBB126_286
.LBB126_302:
	v_cmp_ne_u16_e32 vcc_lo, 0, v8
	s_and_not1_b32 s26, s26, exec_lo
	s_and_b32 s27, vcc_lo, exec_lo
	s_delay_alu instid0(SALU_CYCLE_1)
	s_or_b32 s26, s26, s27
	s_or_b32 exec_lo, exec_lo, s19
	v_mov_b64_e32 v[6:7], 0
	s_and_saveexec_b32 s19, s26
	s_cbranch_execnz .LBB126_287
	s_branch .LBB126_288
.LBB126_303:
	s_mov_b32 s19, -1
                                        ; implicit-def: $vgpr6_vgpr7
	s_branch .LBB126_308
.LBB126_304:
	s_mov_b32 s19, -1
                                        ; implicit-def: $vgpr6_vgpr7
.LBB126_305:
	s_delay_alu instid0(SALU_CYCLE_1)
	s_and_b32 vcc_lo, exec_lo, s19
	s_cbranch_vccz .LBB126_307
; %bb.306:
	s_wait_loadcnt 0x0
	global_load_u8 v6, v[4:5], off
	s_wait_loadcnt 0x0
	v_lshlrev_b32_e32 v6, 24, v6
	s_delay_alu instid0(VALU_DEP_1) | instskip(NEXT) | instid1(VALU_DEP_1)
	v_and_b32_e32 v7, 0x7f000000, v6
	v_clz_i32_u32_e32 v8, v7
	v_cmp_ne_u32_e32 vcc_lo, 0, v7
	v_add_nc_u32_e32 v10, 0x1000000, v7
	s_delay_alu instid0(VALU_DEP_3) | instskip(NEXT) | instid1(VALU_DEP_1)
	v_min_u32_e32 v8, 32, v8
	v_sub_nc_u32_e64 v8, v8, 4 clamp
	s_delay_alu instid0(VALU_DEP_1) | instskip(NEXT) | instid1(VALU_DEP_1)
	v_dual_lshlrev_b32 v9, v8, v7 :: v_dual_lshlrev_b32 v8, 23, v8
	v_lshrrev_b32_e32 v9, 4, v9
	s_delay_alu instid0(VALU_DEP_1) | instskip(NEXT) | instid1(VALU_DEP_1)
	v_dual_sub_nc_u32 v8, v9, v8 :: v_dual_ashrrev_i32 v9, 8, v10
	v_add_nc_u32_e32 v8, 0x3c000000, v8
	s_delay_alu instid0(VALU_DEP_1) | instskip(NEXT) | instid1(VALU_DEP_1)
	v_and_or_b32 v8, 0x7f800000, v9, v8
	v_cndmask_b32_e32 v7, 0, v8, vcc_lo
	s_delay_alu instid0(VALU_DEP_1) | instskip(NEXT) | instid1(VALU_DEP_1)
	v_and_or_b32 v6, 0x80000000, v6, v7
	v_trunc_f32_e32 v6, v6
	s_delay_alu instid0(VALU_DEP_1) | instskip(NEXT) | instid1(VALU_DEP_1)
	v_mul_f32_e64 v7, 0x2f800000, |v6|
	v_floor_f32_e32 v7, v7
	s_delay_alu instid0(VALU_DEP_1) | instskip(SKIP_2) | instid1(VALU_DEP_3)
	v_fma_f32 v8, 0xcf800000, v7, |v6|
	v_ashrrev_i32_e32 v6, 31, v6
	v_cvt_u32_f32_e32 v9, v7
	v_cvt_u32_f32_e32 v8, v8
	s_delay_alu instid0(VALU_DEP_2) | instskip(NEXT) | instid1(VALU_DEP_2)
	v_dual_mov_b32 v7, v6 :: v_dual_bitop2_b32 v9, v9, v6 bitop3:0x14
	v_xor_b32_e32 v8, v8, v6
	s_delay_alu instid0(VALU_DEP_1)
	v_sub_nc_u64_e32 v[6:7], v[8:9], v[6:7]
.LBB126_307:
	s_mov_b32 s19, 0
.LBB126_308:
	s_delay_alu instid0(SALU_CYCLE_1)
	s_and_not1_b32 vcc_lo, exec_lo, s19
	s_cbranch_vccnz .LBB126_310
; %bb.309:
	s_wait_loadcnt 0x0
	global_load_u8 v6, v[4:5], off
	s_wait_loadcnt 0x0
	v_lshlrev_b32_e32 v7, 25, v6
	v_lshlrev_b16 v6, 8, v6
	s_delay_alu instid0(VALU_DEP_1) | instskip(SKIP_1) | instid1(VALU_DEP_2)
	v_and_or_b32 v9, 0x7f00, v6, 0.5
	v_bfe_i32 v6, v6, 0, 16
	v_dual_add_f32 v9, -0.5, v9 :: v_dual_lshrrev_b32 v8, 4, v7
	v_cmp_gt_u32_e32 vcc_lo, 0x8000000, v7
	s_delay_alu instid0(VALU_DEP_2) | instskip(NEXT) | instid1(VALU_DEP_1)
	v_or_b32_e32 v8, 0x70000000, v8
	v_mul_f32_e32 v8, 0x7800000, v8
	s_delay_alu instid0(VALU_DEP_1) | instskip(NEXT) | instid1(VALU_DEP_1)
	v_cndmask_b32_e32 v7, v8, v9, vcc_lo
	v_and_or_b32 v6, 0x80000000, v6, v7
	s_delay_alu instid0(VALU_DEP_1) | instskip(NEXT) | instid1(VALU_DEP_1)
	v_trunc_f32_e32 v6, v6
	v_mul_f32_e64 v7, 0x2f800000, |v6|
	s_delay_alu instid0(VALU_DEP_1) | instskip(NEXT) | instid1(VALU_DEP_1)
	v_floor_f32_e32 v7, v7
	v_fma_f32 v8, 0xcf800000, v7, |v6|
	v_ashrrev_i32_e32 v6, 31, v6
	v_cvt_u32_f32_e32 v9, v7
	s_delay_alu instid0(VALU_DEP_3) | instskip(NEXT) | instid1(VALU_DEP_2)
	v_cvt_u32_f32_e32 v8, v8
	v_dual_mov_b32 v7, v6 :: v_dual_bitop2_b32 v9, v9, v6 bitop3:0x14
	s_delay_alu instid0(VALU_DEP_2) | instskip(NEXT) | instid1(VALU_DEP_1)
	v_xor_b32_e32 v8, v8, v6
	v_sub_nc_u64_e32 v[6:7], v[8:9], v[6:7]
.LBB126_310:
	s_mov_b32 s26, 0
	s_mov_b32 s19, -1
.LBB126_311:
	s_and_not1_b32 vcc_lo, exec_lo, s26
	s_cbranch_vccnz .LBB126_324
; %bb.312:
	s_cmp_gt_i32 s0, 14
	s_cbranch_scc0 .LBB126_315
; %bb.313:
	s_cmp_eq_u32 s0, 15
	s_cbranch_scc0 .LBB126_318
; %bb.314:
	s_wait_loadcnt 0x0
	global_load_u16 v6, v[4:5], off
	s_mov_b32 s19, -1
	s_mov_b32 s21, 0
	s_wait_loadcnt 0x0
	v_lshlrev_b32_e32 v6, 16, v6
	s_delay_alu instid0(VALU_DEP_1) | instskip(NEXT) | instid1(VALU_DEP_1)
	v_trunc_f32_e32 v6, v6
	v_mul_f32_e64 v7, 0x2f800000, |v6|
	s_delay_alu instid0(VALU_DEP_1) | instskip(NEXT) | instid1(VALU_DEP_1)
	v_floor_f32_e32 v7, v7
	v_fma_f32 v8, 0xcf800000, v7, |v6|
	v_ashrrev_i32_e32 v6, 31, v6
	v_cvt_u32_f32_e32 v9, v7
	s_delay_alu instid0(VALU_DEP_3) | instskip(NEXT) | instid1(VALU_DEP_2)
	v_cvt_u32_f32_e32 v8, v8
	v_dual_mov_b32 v7, v6 :: v_dual_bitop2_b32 v9, v9, v6 bitop3:0x14
	s_delay_alu instid0(VALU_DEP_2) | instskip(NEXT) | instid1(VALU_DEP_1)
	v_xor_b32_e32 v8, v8, v6
	v_sub_nc_u64_e32 v[6:7], v[8:9], v[6:7]
	s_branch .LBB126_319
.LBB126_315:
	s_mov_b32 s26, -1
                                        ; implicit-def: $vgpr6_vgpr7
	s_branch .LBB126_320
.LBB126_316:
	s_and_not1_saveexec_b32 s19, s19
	s_cbranch_execz .LBB126_297
.LBB126_317:
	v_cmp_ne_u16_e32 vcc_lo, 0, v8
	s_and_not1_b32 s26, s26, exec_lo
	s_and_b32 s27, vcc_lo, exec_lo
	s_delay_alu instid0(SALU_CYCLE_1)
	s_or_b32 s26, s26, s27
	s_or_b32 exec_lo, exec_lo, s19
	v_mov_b64_e32 v[6:7], 0
	s_and_saveexec_b32 s19, s26
	s_cbranch_execnz .LBB126_298
	s_branch .LBB126_299
.LBB126_318:
	s_mov_b32 s21, -1
                                        ; implicit-def: $vgpr6_vgpr7
.LBB126_319:
	s_mov_b32 s26, 0
.LBB126_320:
	s_delay_alu instid0(SALU_CYCLE_1)
	s_and_b32 vcc_lo, exec_lo, s26
	s_cbranch_vccz .LBB126_324
; %bb.321:
	s_cmp_eq_u32 s0, 11
	s_cbranch_scc0 .LBB126_323
; %bb.322:
	s_wait_loadcnt 0x0
	global_load_u8 v6, v[4:5], off
	s_mov_b32 s21, 0
	s_mov_b32 s19, -1
	v_mov_b32_e32 v7, s21
	s_wait_loadcnt 0x0
	v_cmp_ne_u16_e32 vcc_lo, 0, v6
	v_cndmask_b32_e64 v6, 0, 1, vcc_lo
	s_branch .LBB126_324
.LBB126_323:
	s_mov_b32 s21, -1
                                        ; implicit-def: $vgpr6_vgpr7
.LBB126_324:
	s_mov_b32 s26, 0
.LBB126_325:
	s_delay_alu instid0(SALU_CYCLE_1)
	s_and_b32 vcc_lo, exec_lo, s26
	s_cbranch_vccz .LBB126_374
; %bb.326:
	s_cmp_lt_i32 s0, 5
	s_cbranch_scc1 .LBB126_331
; %bb.327:
	s_cmp_lt_i32 s0, 8
	s_cbranch_scc1 .LBB126_332
	;; [unrolled: 3-line block ×3, first 2 shown]
; %bb.329:
	s_cmp_gt_i32 s0, 9
	s_cbranch_scc0 .LBB126_334
; %bb.330:
	s_wait_loadcnt 0x0
	global_load_b64 v[6:7], v[4:5], off
	s_mov_b32 s19, 0
	s_wait_loadcnt 0x0
	v_trunc_f64_e32 v[6:7], v[6:7]
	s_delay_alu instid0(VALU_DEP_1) | instskip(NEXT) | instid1(VALU_DEP_1)
	v_ldexp_f64 v[8:9], v[6:7], 0xffffffe0
	v_floor_f64_e32 v[8:9], v[8:9]
	s_delay_alu instid0(VALU_DEP_1) | instskip(SKIP_1) | instid1(VALU_DEP_2)
	v_fmamk_f64 v[10:11], v[8:9], 0xc1f00000, v[6:7]
	v_cvt_i32_f64_e32 v7, v[8:9]
	v_cvt_u32_f64_e32 v6, v[10:11]
	s_branch .LBB126_335
.LBB126_331:
	s_mov_b32 s19, -1
                                        ; implicit-def: $vgpr6_vgpr7
	s_branch .LBB126_353
.LBB126_332:
	s_mov_b32 s19, -1
                                        ; implicit-def: $vgpr6_vgpr7
	s_branch .LBB126_341
.LBB126_333:
	s_mov_b32 s19, -1
                                        ; implicit-def: $vgpr6_vgpr7
	s_branch .LBB126_338
.LBB126_334:
	s_mov_b32 s19, -1
                                        ; implicit-def: $vgpr6_vgpr7
.LBB126_335:
	s_delay_alu instid0(SALU_CYCLE_1)
	s_and_not1_b32 vcc_lo, exec_lo, s19
	s_cbranch_vccnz .LBB126_337
; %bb.336:
	s_wait_loadcnt 0x0
	global_load_b32 v6, v[4:5], off
	s_wait_loadcnt 0x0
	v_trunc_f32_e32 v6, v6
	s_delay_alu instid0(VALU_DEP_1) | instskip(NEXT) | instid1(VALU_DEP_1)
	v_mul_f32_e64 v7, 0x2f800000, |v6|
	v_floor_f32_e32 v7, v7
	s_delay_alu instid0(VALU_DEP_1) | instskip(SKIP_2) | instid1(VALU_DEP_3)
	v_fma_f32 v8, 0xcf800000, v7, |v6|
	v_ashrrev_i32_e32 v6, 31, v6
	v_cvt_u32_f32_e32 v9, v7
	v_cvt_u32_f32_e32 v8, v8
	s_delay_alu instid0(VALU_DEP_2) | instskip(NEXT) | instid1(VALU_DEP_2)
	v_dual_mov_b32 v7, v6 :: v_dual_bitop2_b32 v9, v9, v6 bitop3:0x14
	v_xor_b32_e32 v8, v8, v6
	s_delay_alu instid0(VALU_DEP_1)
	v_sub_nc_u64_e32 v[6:7], v[8:9], v[6:7]
.LBB126_337:
	s_mov_b32 s19, 0
.LBB126_338:
	s_delay_alu instid0(SALU_CYCLE_1)
	s_and_not1_b32 vcc_lo, exec_lo, s19
	s_cbranch_vccnz .LBB126_340
; %bb.339:
	s_wait_loadcnt 0x0
	global_load_b32 v6, v[4:5], off
	s_wait_loadcnt 0x0
	v_cvt_f32_f16_e32 v6, v6
	s_delay_alu instid0(VALU_DEP_1) | instskip(NEXT) | instid1(VALU_DEP_1)
	v_cvt_i32_f32_e32 v6, v6
	v_ashrrev_i32_e32 v7, 31, v6
.LBB126_340:
	s_mov_b32 s19, 0
.LBB126_341:
	s_delay_alu instid0(SALU_CYCLE_1)
	s_and_not1_b32 vcc_lo, exec_lo, s19
	s_cbranch_vccnz .LBB126_352
; %bb.342:
	s_cmp_lt_i32 s0, 6
	s_cbranch_scc1 .LBB126_345
; %bb.343:
	s_cmp_gt_i32 s0, 6
	s_cbranch_scc0 .LBB126_346
; %bb.344:
	s_wait_loadcnt 0x0
	global_load_b64 v[6:7], v[4:5], off
	s_mov_b32 s19, 0
	s_wait_loadcnt 0x0
	v_trunc_f64_e32 v[6:7], v[6:7]
	s_delay_alu instid0(VALU_DEP_1) | instskip(NEXT) | instid1(VALU_DEP_1)
	v_ldexp_f64 v[8:9], v[6:7], 0xffffffe0
	v_floor_f64_e32 v[8:9], v[8:9]
	s_delay_alu instid0(VALU_DEP_1) | instskip(SKIP_1) | instid1(VALU_DEP_2)
	v_fmamk_f64 v[10:11], v[8:9], 0xc1f00000, v[6:7]
	v_cvt_i32_f64_e32 v7, v[8:9]
	v_cvt_u32_f64_e32 v6, v[10:11]
	s_branch .LBB126_347
.LBB126_345:
	s_mov_b32 s19, -1
                                        ; implicit-def: $vgpr6_vgpr7
	s_branch .LBB126_350
.LBB126_346:
	s_mov_b32 s19, -1
                                        ; implicit-def: $vgpr6_vgpr7
.LBB126_347:
	s_delay_alu instid0(SALU_CYCLE_1)
	s_and_not1_b32 vcc_lo, exec_lo, s19
	s_cbranch_vccnz .LBB126_349
; %bb.348:
	s_wait_loadcnt 0x0
	global_load_b32 v6, v[4:5], off
	s_wait_loadcnt 0x0
	v_trunc_f32_e32 v6, v6
	s_delay_alu instid0(VALU_DEP_1) | instskip(NEXT) | instid1(VALU_DEP_1)
	v_mul_f32_e64 v7, 0x2f800000, |v6|
	v_floor_f32_e32 v7, v7
	s_delay_alu instid0(VALU_DEP_1) | instskip(SKIP_2) | instid1(VALU_DEP_3)
	v_fma_f32 v8, 0xcf800000, v7, |v6|
	v_ashrrev_i32_e32 v6, 31, v6
	v_cvt_u32_f32_e32 v9, v7
	v_cvt_u32_f32_e32 v8, v8
	s_delay_alu instid0(VALU_DEP_2) | instskip(NEXT) | instid1(VALU_DEP_2)
	v_dual_mov_b32 v7, v6 :: v_dual_bitop2_b32 v9, v9, v6 bitop3:0x14
	v_xor_b32_e32 v8, v8, v6
	s_delay_alu instid0(VALU_DEP_1)
	v_sub_nc_u64_e32 v[6:7], v[8:9], v[6:7]
.LBB126_349:
	s_mov_b32 s19, 0
.LBB126_350:
	s_delay_alu instid0(SALU_CYCLE_1)
	s_and_not1_b32 vcc_lo, exec_lo, s19
	s_cbranch_vccnz .LBB126_352
; %bb.351:
	s_wait_loadcnt 0x0
	global_load_u16 v6, v[4:5], off
	s_wait_loadcnt 0x0
	v_cvt_f32_f16_e32 v6, v6
	s_delay_alu instid0(VALU_DEP_1) | instskip(NEXT) | instid1(VALU_DEP_1)
	v_cvt_i32_f32_e32 v6, v6
	v_ashrrev_i32_e32 v7, 31, v6
.LBB126_352:
	s_mov_b32 s19, 0
.LBB126_353:
	s_delay_alu instid0(SALU_CYCLE_1)
	s_and_not1_b32 vcc_lo, exec_lo, s19
	s_cbranch_vccnz .LBB126_373
; %bb.354:
	s_cmp_lt_i32 s0, 2
	s_cbranch_scc1 .LBB126_358
; %bb.355:
	s_cmp_lt_i32 s0, 3
	s_cbranch_scc1 .LBB126_359
; %bb.356:
	s_cmp_gt_i32 s0, 3
	s_cbranch_scc0 .LBB126_360
; %bb.357:
	s_wait_loadcnt 0x0
	global_load_b64 v[6:7], v[4:5], off
	s_mov_b32 s19, 0
	s_branch .LBB126_361
.LBB126_358:
	s_mov_b32 s19, -1
                                        ; implicit-def: $vgpr6_vgpr7
	s_branch .LBB126_367
.LBB126_359:
	s_mov_b32 s19, -1
                                        ; implicit-def: $vgpr6_vgpr7
	s_branch .LBB126_364
.LBB126_360:
	s_mov_b32 s19, -1
                                        ; implicit-def: $vgpr6_vgpr7
.LBB126_361:
	s_delay_alu instid0(SALU_CYCLE_1)
	s_and_not1_b32 vcc_lo, exec_lo, s19
	s_cbranch_vccnz .LBB126_363
; %bb.362:
	s_wait_loadcnt 0x0
	global_load_b32 v6, v[4:5], off
	s_wait_loadcnt 0x0
	v_ashrrev_i32_e32 v7, 31, v6
.LBB126_363:
	s_mov_b32 s19, 0
.LBB126_364:
	s_delay_alu instid0(SALU_CYCLE_1)
	s_and_not1_b32 vcc_lo, exec_lo, s19
	s_cbranch_vccnz .LBB126_366
; %bb.365:
	s_wait_loadcnt 0x0
	global_load_u16 v6, v[4:5], off
	s_wait_loadcnt 0x0
	v_bfe_i32 v6, v6, 0, 16
	s_delay_alu instid0(VALU_DEP_1)
	v_ashrrev_i32_e32 v7, 31, v6
.LBB126_366:
	s_mov_b32 s19, 0
.LBB126_367:
	s_delay_alu instid0(SALU_CYCLE_1)
	s_and_not1_b32 vcc_lo, exec_lo, s19
	s_cbranch_vccnz .LBB126_373
; %bb.368:
	s_cmp_gt_i32 s0, 0
	s_mov_b32 s0, 0
	s_cbranch_scc0 .LBB126_370
; %bb.369:
	s_wait_loadcnt 0x0
	global_load_i8 v6, v[4:5], off
	s_wait_loadcnt 0x0
	v_bfe_i32 v6, v6, 0, 16
	s_delay_alu instid0(VALU_DEP_1)
	v_ashrrev_i32_e32 v7, 31, v6
	s_branch .LBB126_371
.LBB126_370:
	s_mov_b32 s0, -1
                                        ; implicit-def: $vgpr6_vgpr7
.LBB126_371:
	s_delay_alu instid0(SALU_CYCLE_1)
	s_and_not1_b32 vcc_lo, exec_lo, s0
	s_cbranch_vccnz .LBB126_373
; %bb.372:
	global_load_u8 v4, v[4:5], off
	s_mov_b32 s0, 0
	s_wait_loadcnt 0x1
	v_mov_b32_e32 v7, s0
	s_wait_loadcnt 0x0
	v_and_b32_e32 v6, 0xffff, v4
.LBB126_373:
	s_mov_b32 s19, -1
.LBB126_374:
	s_delay_alu instid0(SALU_CYCLE_1)
	s_and_not1_b32 vcc_lo, exec_lo, s19
	s_cbranch_vccnz .LBB126_382
; %bb.375:
	s_wait_loadcnt 0x0
	s_delay_alu instid0(VALU_DEP_4) | instskip(SKIP_2) | instid1(SALU_CYCLE_1)
	v_max_i64 v[0:1], v[0:1], v[2:3]
	v_mul_lo_u32 v2, v26, s12
	s_and_b32 s19, s2, 0xff
	s_cmp_lt_i32 s19, 11
	s_delay_alu instid0(VALU_DEP_1) | instskip(NEXT) | instid1(VALU_DEP_1)
	v_ashrrev_i32_e32 v3, 31, v2
	v_add_nc_u64_e32 v[2:3], s[4:5], v[2:3]
	s_delay_alu instid0(VALU_DEP_4)
	v_min_i64 v[0:1], v[0:1], v[6:7]
	s_cbranch_scc1 .LBB126_383
; %bb.376:
	s_and_b32 s26, 0xffff, s19
	s_delay_alu instid0(SALU_CYCLE_1)
	s_cmp_gt_i32 s26, 25
	s_cbranch_scc0 .LBB126_384
; %bb.377:
	s_cmp_gt_i32 s26, 28
	s_cbranch_scc0 .LBB126_385
; %bb.378:
	s_cmp_gt_i32 s26, 43
	s_cbranch_scc0 .LBB126_386
; %bb.379:
	s_cmp_gt_i32 s26, 45
	s_cbranch_scc0 .LBB126_387
; %bb.380:
	s_mov_b32 s28, 0
	s_mov_b32 s0, -1
	s_cmp_eq_u32 s26, 46
	s_mov_b32 s27, 0
	s_cbranch_scc0 .LBB126_388
; %bb.381:
	s_delay_alu instid0(VALU_DEP_1) | instskip(SKIP_3) | instid1(VALU_DEP_2)
	v_xor_b32_e32 v4, v0, v1
	v_cls_i32_e32 v5, v1
	s_mov_b32 s27, -1
	s_mov_b32 s0, 0
	v_ashrrev_i32_e32 v4, 31, v4
	s_delay_alu instid0(VALU_DEP_1) | instskip(NEXT) | instid1(VALU_DEP_1)
	v_add_nc_u32_e32 v4, 32, v4
	v_add_min_u32_e64 v6, v5, -1, v4
	s_delay_alu instid0(VALU_DEP_1) | instskip(NEXT) | instid1(VALU_DEP_1)
	v_lshlrev_b64_e32 v[4:5], v6, v[0:1]
	v_min_u32_e32 v4, 1, v4
	s_delay_alu instid0(VALU_DEP_1) | instskip(NEXT) | instid1(VALU_DEP_1)
	v_dual_sub_nc_u32 v5, 32, v6 :: v_dual_bitop2_b32 v4, v5, v4 bitop3:0x54
	v_cvt_f32_i32_e32 v4, v4
	s_delay_alu instid0(VALU_DEP_1) | instskip(NEXT) | instid1(VALU_DEP_1)
	v_ldexp_f32 v4, v4, v5
	v_bfe_u32 v5, v4, 16, 1
	s_delay_alu instid0(VALU_DEP_1) | instskip(NEXT) | instid1(VALU_DEP_1)
	v_add3_u32 v4, v4, v5, 0x7fff
	v_lshrrev_b32_e32 v4, 16, v4
	global_store_b32 v[2:3], v4, off
	s_branch .LBB126_388
.LBB126_382:
	s_mov_b32 s0, 0
	s_branch .LBB126_498
.LBB126_383:
	s_mov_b32 s26, -1
	s_mov_b32 s0, 0
	s_mov_b32 s27, 0
	s_branch .LBB126_457
.LBB126_384:
	s_mov_b32 s0, 0
	s_mov_b32 s27, 0
	s_branch .LBB126_415
.LBB126_385:
	s_mov_b32 s0, 0
	s_mov_b32 s27, 0
	s_branch .LBB126_398
.LBB126_386:
	s_mov_b32 s0, 0
	s_mov_b32 s27, 0
	s_branch .LBB126_394
.LBB126_387:
	s_mov_b32 s0, 0
	s_mov_b32 s27, 0
.LBB126_388:
	s_and_b32 vcc_lo, exec_lo, s28
	s_cbranch_vccz .LBB126_393
; %bb.389:
	s_cmp_eq_u32 s26, 44
	s_mov_b32 s0, -1
	s_cbranch_scc0 .LBB126_393
; %bb.390:
	s_wait_xcnt 0x0
	s_delay_alu instid0(VALU_DEP_1) | instskip(SKIP_3) | instid1(VALU_DEP_2)
	v_xor_b32_e32 v4, v0, v1
	v_cls_i32_e32 v5, v1
	s_mov_b32 s27, -1
	s_mov_b32 s28, exec_lo
	v_ashrrev_i32_e32 v4, 31, v4
	s_delay_alu instid0(VALU_DEP_1) | instskip(NEXT) | instid1(VALU_DEP_1)
	v_add_nc_u32_e32 v4, 32, v4
	v_add_min_u32_e64 v6, v5, -1, v4
	s_delay_alu instid0(VALU_DEP_1) | instskip(NEXT) | instid1(VALU_DEP_1)
	v_lshlrev_b64_e32 v[4:5], v6, v[0:1]
	v_min_u32_e32 v4, 1, v4
	s_delay_alu instid0(VALU_DEP_1) | instskip(NEXT) | instid1(VALU_DEP_1)
	v_dual_sub_nc_u32 v5, 32, v6 :: v_dual_bitop2_b32 v4, v5, v4 bitop3:0x54
	v_cvt_f32_i32_e32 v4, v4
	s_delay_alu instid0(VALU_DEP_1) | instskip(SKIP_1) | instid1(VALU_DEP_2)
	v_ldexp_f32 v4, v4, v5
	v_mov_b32_e32 v5, 0xff
	v_bfe_u32 v6, v4, 23, 8
	s_delay_alu instid0(VALU_DEP_1)
	v_cmpx_ne_u32_e32 0xff, v6
	s_cbranch_execz .LBB126_392
; %bb.391:
	v_and_b32_e32 v5, 0x400000, v4
	v_and_or_b32 v6, 0x3fffff, v4, v6
	v_lshrrev_b32_e32 v4, 23, v4
	s_delay_alu instid0(VALU_DEP_3) | instskip(NEXT) | instid1(VALU_DEP_3)
	v_cmp_ne_u32_e32 vcc_lo, 0, v5
	v_cmp_ne_u32_e64 s0, 0, v6
	s_and_b32 s0, vcc_lo, s0
	s_delay_alu instid0(SALU_CYCLE_1) | instskip(NEXT) | instid1(VALU_DEP_1)
	v_cndmask_b32_e64 v5, 0, 1, s0
	v_add_nc_u32_e32 v5, v4, v5
.LBB126_392:
	s_or_b32 exec_lo, exec_lo, s28
	s_mov_b32 s0, 0
	global_store_b8 v[2:3], v5, off
.LBB126_393:
	s_mov_b32 s28, 0
.LBB126_394:
	s_delay_alu instid0(SALU_CYCLE_1)
	s_and_b32 vcc_lo, exec_lo, s28
	s_cbranch_vccz .LBB126_397
; %bb.395:
	s_cmp_eq_u32 s26, 29
	s_mov_b32 s0, -1
	s_cbranch_scc0 .LBB126_397
; %bb.396:
	s_mov_b32 s27, -1
	s_mov_b32 s0, 0
	global_store_b64 v[2:3], v[0:1], off
.LBB126_397:
	s_mov_b32 s28, 0
.LBB126_398:
	s_delay_alu instid0(SALU_CYCLE_1)
	s_and_b32 vcc_lo, exec_lo, s28
	s_cbranch_vccz .LBB126_414
; %bb.399:
	s_cmp_lt_i32 s26, 27
	s_mov_b32 s27, -1
	s_cbranch_scc1 .LBB126_405
; %bb.400:
	s_cmp_gt_i32 s26, 27
	s_cbranch_scc0 .LBB126_402
; %bb.401:
	s_mov_b32 s27, 0
	global_store_b32 v[2:3], v0, off
.LBB126_402:
	s_and_not1_b32 vcc_lo, exec_lo, s27
	s_cbranch_vccnz .LBB126_404
; %bb.403:
	global_store_b16 v[2:3], v0, off
.LBB126_404:
	s_mov_b32 s27, 0
.LBB126_405:
	s_delay_alu instid0(SALU_CYCLE_1)
	s_and_not1_b32 vcc_lo, exec_lo, s27
	s_cbranch_vccnz .LBB126_413
; %bb.406:
	s_wait_xcnt 0x0
	s_delay_alu instid0(VALU_DEP_1) | instskip(SKIP_2) | instid1(VALU_DEP_2)
	v_xor_b32_e32 v4, v0, v1
	v_cls_i32_e32 v5, v1
	s_mov_b32 s27, exec_lo
	v_ashrrev_i32_e32 v4, 31, v4
	s_delay_alu instid0(VALU_DEP_1) | instskip(NEXT) | instid1(VALU_DEP_1)
	v_add_nc_u32_e32 v4, 32, v4
	v_add_min_u32_e64 v6, v5, -1, v4
	s_delay_alu instid0(VALU_DEP_1) | instskip(NEXT) | instid1(VALU_DEP_1)
	v_lshlrev_b64_e32 v[4:5], v6, v[0:1]
	v_min_u32_e32 v4, 1, v4
	s_delay_alu instid0(VALU_DEP_1) | instskip(SKIP_1) | instid1(VALU_DEP_2)
	v_dual_sub_nc_u32 v5, 32, v6 :: v_dual_bitop2_b32 v4, v5, v4 bitop3:0x54
	v_mov_b32_e32 v6, 0x80
	v_cvt_f32_i32_e32 v4, v4
	s_delay_alu instid0(VALU_DEP_1) | instskip(NEXT) | instid1(VALU_DEP_1)
	v_ldexp_f32 v4, v4, v5
	v_and_b32_e32 v5, 0x7fffffff, v4
	s_delay_alu instid0(VALU_DEP_1)
	v_cmpx_gt_u32_e32 0x43800000, v5
	s_cbranch_execz .LBB126_412
; %bb.407:
	v_cmp_lt_u32_e32 vcc_lo, 0x3bffffff, v5
	s_mov_b32 s28, 0
                                        ; implicit-def: $vgpr5
	s_and_saveexec_b32 s29, vcc_lo
	s_delay_alu instid0(SALU_CYCLE_1)
	s_xor_b32 s29, exec_lo, s29
	s_cbranch_execz .LBB126_642
; %bb.408:
	v_bfe_u32 v5, v4, 20, 1
	s_mov_b32 s28, exec_lo
	s_delay_alu instid0(VALU_DEP_1) | instskip(NEXT) | instid1(VALU_DEP_1)
	v_add3_u32 v5, v4, v5, 0x487ffff
	v_lshrrev_b32_e32 v5, 20, v5
	s_and_not1_saveexec_b32 s29, s29
	s_cbranch_execnz .LBB126_643
.LBB126_409:
	s_or_b32 exec_lo, exec_lo, s29
	v_mov_b32_e32 v6, 0
	s_and_saveexec_b32 s29, s28
.LBB126_410:
	v_lshrrev_b32_e32 v4, 24, v4
	s_delay_alu instid0(VALU_DEP_1)
	v_and_or_b32 v6, 0x80, v4, v5
.LBB126_411:
	s_or_b32 exec_lo, exec_lo, s29
.LBB126_412:
	s_delay_alu instid0(SALU_CYCLE_1)
	s_or_b32 exec_lo, exec_lo, s27
	global_store_b8 v[2:3], v6, off
.LBB126_413:
	s_mov_b32 s27, -1
.LBB126_414:
	s_mov_b32 s28, 0
.LBB126_415:
	s_delay_alu instid0(SALU_CYCLE_1)
	s_and_b32 vcc_lo, exec_lo, s28
	s_cbranch_vccz .LBB126_456
; %bb.416:
	s_cmp_gt_i32 s26, 22
	s_mov_b32 s28, -1
	s_cbranch_scc0 .LBB126_448
; %bb.417:
	s_cmp_lt_i32 s26, 24
	s_mov_b32 s27, -1
	s_cbranch_scc1 .LBB126_437
; %bb.418:
	s_cmp_gt_i32 s26, 24
	s_cbranch_scc0 .LBB126_426
; %bb.419:
	s_wait_xcnt 0x0
	s_delay_alu instid0(VALU_DEP_1) | instskip(SKIP_2) | instid1(VALU_DEP_2)
	v_xor_b32_e32 v4, v0, v1
	v_cls_i32_e32 v5, v1
	s_mov_b32 s27, exec_lo
	v_ashrrev_i32_e32 v4, 31, v4
	s_delay_alu instid0(VALU_DEP_1) | instskip(NEXT) | instid1(VALU_DEP_1)
	v_add_nc_u32_e32 v4, 32, v4
	v_add_min_u32_e64 v6, v5, -1, v4
	s_delay_alu instid0(VALU_DEP_1) | instskip(NEXT) | instid1(VALU_DEP_1)
	v_lshlrev_b64_e32 v[4:5], v6, v[0:1]
	v_min_u32_e32 v4, 1, v4
	s_delay_alu instid0(VALU_DEP_1) | instskip(SKIP_1) | instid1(VALU_DEP_2)
	v_dual_sub_nc_u32 v5, 32, v6 :: v_dual_bitop2_b32 v4, v5, v4 bitop3:0x54
	v_mov_b32_e32 v6, 0x80
	v_cvt_f32_i32_e32 v4, v4
	s_delay_alu instid0(VALU_DEP_1) | instskip(NEXT) | instid1(VALU_DEP_1)
	v_ldexp_f32 v4, v4, v5
	v_and_b32_e32 v5, 0x7fffffff, v4
	s_delay_alu instid0(VALU_DEP_1)
	v_cmpx_gt_u32_e32 0x47800000, v5
	s_cbranch_execz .LBB126_425
; %bb.420:
	v_cmp_lt_u32_e32 vcc_lo, 0x37ffffff, v5
	s_mov_b32 s28, 0
                                        ; implicit-def: $vgpr5
	s_and_saveexec_b32 s29, vcc_lo
	s_delay_alu instid0(SALU_CYCLE_1)
	s_xor_b32 s29, exec_lo, s29
	s_cbranch_execz .LBB126_770
; %bb.421:
	v_bfe_u32 v5, v4, 21, 1
	s_mov_b32 s28, exec_lo
	s_delay_alu instid0(VALU_DEP_1) | instskip(NEXT) | instid1(VALU_DEP_1)
	v_add3_u32 v5, v4, v5, 0x88fffff
	v_lshrrev_b32_e32 v5, 21, v5
	s_and_not1_saveexec_b32 s29, s29
	s_cbranch_execnz .LBB126_771
.LBB126_422:
	s_or_b32 exec_lo, exec_lo, s29
	v_mov_b32_e32 v6, 0
	s_and_saveexec_b32 s29, s28
.LBB126_423:
	v_lshrrev_b32_e32 v4, 24, v4
	s_delay_alu instid0(VALU_DEP_1)
	v_and_or_b32 v6, 0x80, v4, v5
.LBB126_424:
	s_or_b32 exec_lo, exec_lo, s29
.LBB126_425:
	s_delay_alu instid0(SALU_CYCLE_1)
	s_or_b32 exec_lo, exec_lo, s27
	s_mov_b32 s27, 0
	global_store_b8 v[2:3], v6, off
.LBB126_426:
	s_and_b32 vcc_lo, exec_lo, s27
	s_cbranch_vccz .LBB126_436
; %bb.427:
	s_wait_xcnt 0x0
	s_delay_alu instid0(VALU_DEP_1) | instskip(SKIP_2) | instid1(VALU_DEP_2)
	v_xor_b32_e32 v4, v0, v1
	v_cls_i32_e32 v5, v1
	s_mov_b32 s27, exec_lo
	v_ashrrev_i32_e32 v4, 31, v4
	s_delay_alu instid0(VALU_DEP_1) | instskip(NEXT) | instid1(VALU_DEP_1)
	v_add_nc_u32_e32 v4, 32, v4
	v_add_min_u32_e64 v6, v5, -1, v4
	s_delay_alu instid0(VALU_DEP_1) | instskip(NEXT) | instid1(VALU_DEP_1)
	v_lshlrev_b64_e32 v[4:5], v6, v[0:1]
	v_min_u32_e32 v4, 1, v4
	s_delay_alu instid0(VALU_DEP_1) | instskip(NEXT) | instid1(VALU_DEP_1)
	v_dual_sub_nc_u32 v5, 32, v6 :: v_dual_bitop2_b32 v4, v5, v4 bitop3:0x54
	v_cvt_f32_i32_e32 v4, v4
	s_delay_alu instid0(VALU_DEP_1) | instskip(NEXT) | instid1(VALU_DEP_1)
	v_ldexp_f32 v4, v4, v5
                                        ; implicit-def: $vgpr5
	v_and_b32_e32 v6, 0x7fffffff, v4
	s_delay_alu instid0(VALU_DEP_1)
	v_cmpx_gt_u32_e32 0x43f00000, v6
	s_xor_b32 s27, exec_lo, s27
	s_cbranch_execz .LBB126_433
; %bb.428:
	s_mov_b32 s28, exec_lo
                                        ; implicit-def: $vgpr5
	v_cmpx_lt_u32_e32 0x3c7fffff, v6
	s_xor_b32 s28, exec_lo, s28
; %bb.429:
	v_bfe_u32 v5, v4, 20, 1
	s_delay_alu instid0(VALU_DEP_1) | instskip(NEXT) | instid1(VALU_DEP_1)
	v_add3_u32 v5, v4, v5, 0x407ffff
	v_and_b32_e32 v6, 0xff00000, v5
	v_lshrrev_b32_e32 v5, 20, v5
	s_delay_alu instid0(VALU_DEP_2) | instskip(NEXT) | instid1(VALU_DEP_2)
	v_cmp_ne_u32_e32 vcc_lo, 0x7f00000, v6
	v_cndmask_b32_e32 v5, 0x7e, v5, vcc_lo
; %bb.430:
	s_and_not1_saveexec_b32 s28, s28
; %bb.431:
	v_add_f32_e64 v5, 0x46800000, |v4|
; %bb.432:
	s_or_b32 exec_lo, exec_lo, s28
                                        ; implicit-def: $vgpr6
.LBB126_433:
	s_and_not1_saveexec_b32 s27, s27
; %bb.434:
	v_mov_b32_e32 v5, 0x7f
	v_cmp_lt_u32_e32 vcc_lo, 0x7f800000, v6
	s_delay_alu instid0(VALU_DEP_2)
	v_cndmask_b32_e32 v5, 0x7e, v5, vcc_lo
; %bb.435:
	s_or_b32 exec_lo, exec_lo, s27
	v_lshrrev_b32_e32 v4, 24, v4
	s_delay_alu instid0(VALU_DEP_1)
	v_and_or_b32 v4, 0x80, v4, v5
	global_store_b8 v[2:3], v4, off
.LBB126_436:
	s_mov_b32 s27, 0
.LBB126_437:
	s_delay_alu instid0(SALU_CYCLE_1)
	s_and_not1_b32 vcc_lo, exec_lo, s27
	s_cbranch_vccnz .LBB126_447
; %bb.438:
	s_wait_xcnt 0x0
	s_delay_alu instid0(VALU_DEP_1) | instskip(SKIP_2) | instid1(VALU_DEP_2)
	v_xor_b32_e32 v4, v0, v1
	v_cls_i32_e32 v5, v1
	s_mov_b32 s27, exec_lo
	v_ashrrev_i32_e32 v4, 31, v4
	s_delay_alu instid0(VALU_DEP_1) | instskip(NEXT) | instid1(VALU_DEP_1)
	v_add_nc_u32_e32 v4, 32, v4
	v_add_min_u32_e64 v6, v5, -1, v4
	s_delay_alu instid0(VALU_DEP_1) | instskip(NEXT) | instid1(VALU_DEP_1)
	v_lshlrev_b64_e32 v[4:5], v6, v[0:1]
	v_min_u32_e32 v4, 1, v4
	s_delay_alu instid0(VALU_DEP_1) | instskip(NEXT) | instid1(VALU_DEP_1)
	v_dual_sub_nc_u32 v5, 32, v6 :: v_dual_bitop2_b32 v4, v5, v4 bitop3:0x54
	v_cvt_f32_i32_e32 v4, v4
	s_delay_alu instid0(VALU_DEP_1) | instskip(NEXT) | instid1(VALU_DEP_1)
	v_ldexp_f32 v4, v4, v5
                                        ; implicit-def: $vgpr5
	v_and_b32_e32 v6, 0x7fffffff, v4
	s_delay_alu instid0(VALU_DEP_1)
	v_cmpx_gt_u32_e32 0x47800000, v6
	s_xor_b32 s27, exec_lo, s27
	s_cbranch_execz .LBB126_444
; %bb.439:
	s_mov_b32 s28, exec_lo
                                        ; implicit-def: $vgpr5
	v_cmpx_lt_u32_e32 0x387fffff, v6
	s_xor_b32 s28, exec_lo, s28
; %bb.440:
	v_bfe_u32 v5, v4, 21, 1
	s_delay_alu instid0(VALU_DEP_1) | instskip(NEXT) | instid1(VALU_DEP_1)
	v_add3_u32 v5, v4, v5, 0x80fffff
	v_lshrrev_b32_e32 v5, 21, v5
; %bb.441:
	s_and_not1_saveexec_b32 s28, s28
; %bb.442:
	v_add_f32_e64 v5, 0x43000000, |v4|
; %bb.443:
	s_or_b32 exec_lo, exec_lo, s28
                                        ; implicit-def: $vgpr6
.LBB126_444:
	s_and_not1_saveexec_b32 s27, s27
; %bb.445:
	v_mov_b32_e32 v5, 0x7f
	v_cmp_lt_u32_e32 vcc_lo, 0x7f800000, v6
	s_delay_alu instid0(VALU_DEP_2)
	v_cndmask_b32_e32 v5, 0x7c, v5, vcc_lo
; %bb.446:
	s_or_b32 exec_lo, exec_lo, s27
	v_lshrrev_b32_e32 v4, 24, v4
	s_delay_alu instid0(VALU_DEP_1)
	v_and_or_b32 v4, 0x80, v4, v5
	global_store_b8 v[2:3], v4, off
.LBB126_447:
	s_mov_b32 s28, 0
	s_mov_b32 s27, -1
.LBB126_448:
	s_and_not1_b32 vcc_lo, exec_lo, s28
	s_cbranch_vccnz .LBB126_456
; %bb.449:
	s_cmp_gt_i32 s26, 14
	s_mov_b32 s28, -1
	s_cbranch_scc0 .LBB126_453
; %bb.450:
	s_cmp_eq_u32 s26, 15
	s_mov_b32 s0, -1
	s_cbranch_scc0 .LBB126_452
; %bb.451:
	s_wait_xcnt 0x0
	s_delay_alu instid0(VALU_DEP_1) | instskip(SKIP_3) | instid1(VALU_DEP_2)
	v_xor_b32_e32 v4, v0, v1
	v_cls_i32_e32 v5, v1
	s_mov_b32 s27, -1
	s_mov_b32 s0, 0
	v_ashrrev_i32_e32 v4, 31, v4
	s_delay_alu instid0(VALU_DEP_1) | instskip(NEXT) | instid1(VALU_DEP_1)
	v_add_nc_u32_e32 v4, 32, v4
	v_add_min_u32_e64 v6, v5, -1, v4
	s_delay_alu instid0(VALU_DEP_1) | instskip(NEXT) | instid1(VALU_DEP_1)
	v_lshlrev_b64_e32 v[4:5], v6, v[0:1]
	v_min_u32_e32 v4, 1, v4
	s_delay_alu instid0(VALU_DEP_1) | instskip(NEXT) | instid1(VALU_DEP_1)
	v_dual_sub_nc_u32 v5, 32, v6 :: v_dual_bitop2_b32 v4, v5, v4 bitop3:0x54
	v_cvt_f32_i32_e32 v4, v4
	s_delay_alu instid0(VALU_DEP_1) | instskip(NEXT) | instid1(VALU_DEP_1)
	v_ldexp_f32 v4, v4, v5
	v_bfe_u32 v5, v4, 16, 1
	s_delay_alu instid0(VALU_DEP_1)
	v_add3_u32 v4, v4, v5, 0x7fff
	global_store_d16_hi_b16 v[2:3], v4, off
.LBB126_452:
	s_mov_b32 s28, 0
.LBB126_453:
	s_delay_alu instid0(SALU_CYCLE_1)
	s_and_b32 vcc_lo, exec_lo, s28
	s_cbranch_vccz .LBB126_456
; %bb.454:
	s_cmp_eq_u32 s26, 11
	s_mov_b32 s0, -1
	s_cbranch_scc0 .LBB126_456
; %bb.455:
	s_delay_alu instid0(VALU_DEP_1)
	v_cmp_ne_u64_e32 vcc_lo, 0, v[0:1]
	s_mov_b32 s27, -1
	s_mov_b32 s0, 0
	s_wait_xcnt 0x0
	v_cndmask_b32_e64 v4, 0, 1, vcc_lo
	global_store_b8 v[2:3], v4, off
.LBB126_456:
	s_mov_b32 s26, 0
.LBB126_457:
	s_delay_alu instid0(SALU_CYCLE_1)
	s_and_b32 vcc_lo, exec_lo, s26
	s_cbranch_vccz .LBB126_496
; %bb.458:
	s_and_b32 s19, 0xffff, s19
	s_mov_b32 s26, -1
	s_cmp_lt_i32 s19, 5
	s_cbranch_scc1 .LBB126_479
; %bb.459:
	s_cmp_lt_i32 s19, 8
	s_cbranch_scc1 .LBB126_469
; %bb.460:
	;; [unrolled: 3-line block ×3, first 2 shown]
	s_cmp_gt_i32 s19, 9
	s_cbranch_scc0 .LBB126_463
; %bb.462:
	s_wait_xcnt 0x0
	s_delay_alu instid0(VALU_DEP_1) | instskip(NEXT) | instid1(VALU_DEP_2)
	v_cvt_f64_i32_e32 v[4:5], v1
	v_cvt_f64_u32_e32 v[6:7], v0
	s_mov_b32 s26, 0
	s_delay_alu instid0(VALU_DEP_2) | instskip(NEXT) | instid1(VALU_DEP_1)
	v_ldexp_f64 v[4:5], v[4:5], 32
	v_dual_add_f64 v[4:5], v[4:5], v[6:7] :: v_dual_mov_b32 v6, 0
	s_delay_alu instid0(VALU_DEP_1)
	v_mov_b32_e32 v7, v6
	global_store_b128 v[2:3], v[4:7], off
.LBB126_463:
	s_and_not1_b32 vcc_lo, exec_lo, s26
	s_cbranch_vccnz .LBB126_465
; %bb.464:
	s_wait_xcnt 0x0
	s_delay_alu instid0(VALU_DEP_1) | instskip(SKIP_1) | instid1(VALU_DEP_2)
	v_xor_b32_e32 v4, v0, v1
	v_cls_i32_e32 v5, v1
	v_ashrrev_i32_e32 v4, 31, v4
	s_delay_alu instid0(VALU_DEP_1) | instskip(NEXT) | instid1(VALU_DEP_1)
	v_add_nc_u32_e32 v4, 32, v4
	v_add_min_u32_e64 v6, v5, -1, v4
	s_delay_alu instid0(VALU_DEP_1) | instskip(NEXT) | instid1(VALU_DEP_1)
	v_lshlrev_b64_e32 v[4:5], v6, v[0:1]
	v_min_u32_e32 v4, 1, v4
	s_delay_alu instid0(VALU_DEP_1) | instskip(NEXT) | instid1(VALU_DEP_1)
	v_dual_sub_nc_u32 v5, 32, v6 :: v_dual_bitop2_b32 v4, v5, v4 bitop3:0x54
	v_cvt_f32_i32_e32 v4, v4
	s_delay_alu instid0(VALU_DEP_1)
	v_ldexp_f32 v4, v4, v5
	v_mov_b32_e32 v5, 0
	global_store_b64 v[2:3], v[4:5], off
.LBB126_465:
	s_mov_b32 s26, 0
.LBB126_466:
	s_delay_alu instid0(SALU_CYCLE_1)
	s_and_not1_b32 vcc_lo, exec_lo, s26
	s_cbranch_vccnz .LBB126_468
; %bb.467:
	s_wait_xcnt 0x0
	s_delay_alu instid0(VALU_DEP_1) | instskip(SKIP_1) | instid1(VALU_DEP_2)
	v_xor_b32_e32 v4, v0, v1
	v_cls_i32_e32 v5, v1
	v_ashrrev_i32_e32 v4, 31, v4
	s_delay_alu instid0(VALU_DEP_1) | instskip(NEXT) | instid1(VALU_DEP_1)
	v_add_nc_u32_e32 v4, 32, v4
	v_add_min_u32_e64 v6, v5, -1, v4
	s_delay_alu instid0(VALU_DEP_1) | instskip(NEXT) | instid1(VALU_DEP_1)
	v_lshlrev_b64_e32 v[4:5], v6, v[0:1]
	v_min_u32_e32 v4, 1, v4
	s_delay_alu instid0(VALU_DEP_1) | instskip(NEXT) | instid1(VALU_DEP_1)
	v_dual_sub_nc_u32 v5, 32, v6 :: v_dual_bitop2_b32 v4, v5, v4 bitop3:0x54
	v_cvt_f32_i32_e32 v4, v4
	s_delay_alu instid0(VALU_DEP_1) | instskip(NEXT) | instid1(VALU_DEP_1)
	v_ldexp_f32 v4, v4, v5
	v_cvt_f16_f32_e32 v4, v4
	s_delay_alu instid0(VALU_DEP_1)
	v_and_b32_e32 v4, 0xffff, v4
	global_store_b32 v[2:3], v4, off
.LBB126_468:
	s_mov_b32 s26, 0
.LBB126_469:
	s_delay_alu instid0(SALU_CYCLE_1)
	s_and_not1_b32 vcc_lo, exec_lo, s26
	s_cbranch_vccnz .LBB126_478
; %bb.470:
	s_cmp_lt_i32 s19, 6
	s_mov_b32 s26, -1
	s_cbranch_scc1 .LBB126_476
; %bb.471:
	s_cmp_gt_i32 s19, 6
	s_cbranch_scc0 .LBB126_473
; %bb.472:
	s_wait_xcnt 0x0
	s_delay_alu instid0(VALU_DEP_1) | instskip(NEXT) | instid1(VALU_DEP_2)
	v_cvt_f64_i32_e32 v[4:5], v1
	v_cvt_f64_u32_e32 v[6:7], v0
	s_mov_b32 s26, 0
	s_delay_alu instid0(VALU_DEP_2) | instskip(NEXT) | instid1(VALU_DEP_1)
	v_ldexp_f64 v[4:5], v[4:5], 32
	v_add_f64_e32 v[4:5], v[4:5], v[6:7]
	global_store_b64 v[2:3], v[4:5], off
.LBB126_473:
	s_and_not1_b32 vcc_lo, exec_lo, s26
	s_cbranch_vccnz .LBB126_475
; %bb.474:
	s_wait_xcnt 0x0
	s_delay_alu instid0(VALU_DEP_1) | instskip(SKIP_1) | instid1(VALU_DEP_2)
	v_xor_b32_e32 v4, v0, v1
	v_cls_i32_e32 v5, v1
	v_ashrrev_i32_e32 v4, 31, v4
	s_delay_alu instid0(VALU_DEP_1) | instskip(NEXT) | instid1(VALU_DEP_1)
	v_add_nc_u32_e32 v4, 32, v4
	v_add_min_u32_e64 v6, v5, -1, v4
	s_delay_alu instid0(VALU_DEP_1) | instskip(NEXT) | instid1(VALU_DEP_1)
	v_lshlrev_b64_e32 v[4:5], v6, v[0:1]
	v_min_u32_e32 v4, 1, v4
	s_delay_alu instid0(VALU_DEP_1) | instskip(NEXT) | instid1(VALU_DEP_1)
	v_dual_sub_nc_u32 v5, 32, v6 :: v_dual_bitop2_b32 v4, v5, v4 bitop3:0x54
	v_cvt_f32_i32_e32 v4, v4
	s_delay_alu instid0(VALU_DEP_1)
	v_ldexp_f32 v4, v4, v5
	global_store_b32 v[2:3], v4, off
.LBB126_475:
	s_mov_b32 s26, 0
.LBB126_476:
	s_delay_alu instid0(SALU_CYCLE_1)
	s_and_not1_b32 vcc_lo, exec_lo, s26
	s_cbranch_vccnz .LBB126_478
; %bb.477:
	s_wait_xcnt 0x0
	s_delay_alu instid0(VALU_DEP_1) | instskip(SKIP_1) | instid1(VALU_DEP_2)
	v_xor_b32_e32 v4, v0, v1
	v_cls_i32_e32 v5, v1
	v_ashrrev_i32_e32 v4, 31, v4
	s_delay_alu instid0(VALU_DEP_1) | instskip(NEXT) | instid1(VALU_DEP_1)
	v_add_nc_u32_e32 v4, 32, v4
	v_add_min_u32_e64 v6, v5, -1, v4
	s_delay_alu instid0(VALU_DEP_1) | instskip(NEXT) | instid1(VALU_DEP_1)
	v_lshlrev_b64_e32 v[4:5], v6, v[0:1]
	v_min_u32_e32 v4, 1, v4
	s_delay_alu instid0(VALU_DEP_1) | instskip(NEXT) | instid1(VALU_DEP_1)
	v_dual_sub_nc_u32 v5, 32, v6 :: v_dual_bitop2_b32 v4, v5, v4 bitop3:0x54
	v_cvt_f32_i32_e32 v4, v4
	s_delay_alu instid0(VALU_DEP_1) | instskip(NEXT) | instid1(VALU_DEP_1)
	v_ldexp_f32 v4, v4, v5
	v_cvt_f16_f32_e32 v4, v4
	global_store_b16 v[2:3], v4, off
.LBB126_478:
	s_mov_b32 s26, 0
.LBB126_479:
	s_delay_alu instid0(SALU_CYCLE_1)
	s_and_not1_b32 vcc_lo, exec_lo, s26
	s_cbranch_vccnz .LBB126_495
; %bb.480:
	s_cmp_lt_i32 s19, 2
	s_mov_b32 s26, -1
	s_cbranch_scc1 .LBB126_490
; %bb.481:
	s_cmp_lt_i32 s19, 3
	s_cbranch_scc1 .LBB126_487
; %bb.482:
	s_cmp_gt_i32 s19, 3
	s_cbranch_scc0 .LBB126_484
; %bb.483:
	s_mov_b32 s26, 0
	global_store_b64 v[2:3], v[0:1], off
.LBB126_484:
	s_and_not1_b32 vcc_lo, exec_lo, s26
	s_cbranch_vccnz .LBB126_486
; %bb.485:
	global_store_b32 v[2:3], v0, off
.LBB126_486:
	s_mov_b32 s26, 0
.LBB126_487:
	s_delay_alu instid0(SALU_CYCLE_1)
	s_and_not1_b32 vcc_lo, exec_lo, s26
	s_cbranch_vccnz .LBB126_489
; %bb.488:
	global_store_b16 v[2:3], v0, off
.LBB126_489:
	s_mov_b32 s26, 0
.LBB126_490:
	s_delay_alu instid0(SALU_CYCLE_1)
	s_and_not1_b32 vcc_lo, exec_lo, s26
	s_cbranch_vccnz .LBB126_495
; %bb.491:
	s_cmp_gt_i32 s19, 0
	s_mov_b32 s19, -1
	s_cbranch_scc0 .LBB126_493
; %bb.492:
	s_mov_b32 s19, 0
	global_store_b8 v[2:3], v0, off
.LBB126_493:
	s_and_not1_b32 vcc_lo, exec_lo, s19
	s_cbranch_vccnz .LBB126_495
; %bb.494:
	global_store_b8 v[2:3], v0, off
.LBB126_495:
	s_mov_b32 s27, -1
.LBB126_496:
	s_delay_alu instid0(SALU_CYCLE_1)
	s_and_not1_b32 vcc_lo, exec_lo, s27
	s_cbranch_vccnz .LBB126_498
; %bb.497:
	v_add_nc_u32_e32 v26, 0x80, v26
	s_mov_b32 s26, -1
	s_branch .LBB126_499
.LBB126_498:
	s_mov_b32 s26, 0
                                        ; implicit-def: $vgpr26
.LBB126_499:
	s_and_b32 s19, s0, exec_lo
	s_and_b32 s21, s21, exec_lo
	;; [unrolled: 1-line block ×4, first 2 shown]
	s_or_not1_b32 s28, s26, exec_lo
.LBB126_500:
	s_wait_xcnt 0x0
	s_or_b32 exec_lo, exec_lo, s24
	s_mov_b32 s27, 0
	s_mov_b32 s26, 0
                                        ; implicit-def: $sgpr0
                                        ; implicit-def: $vgpr2_vgpr3
                                        ; implicit-def: $vgpr0_vgpr1
	s_and_saveexec_b32 s24, s28
	s_cbranch_execz .LBB126_509
; %bb.501:
	s_mov_b32 s31, -1
	s_mov_b32 s25, s23
	s_mov_b32 s28, s22
	;; [unrolled: 1-line block ×4, first 2 shown]
	s_mov_b32 s29, exec_lo
	v_cmpx_gt_i32_e64 s20, v26
	s_cbranch_execz .LBB126_1011
; %bb.502:
	s_wait_loadcnt 0x0
	v_mul_lo_u32 v0, v26, s13
	s_and_b32 s0, s17, 0xff
	s_delay_alu instid0(SALU_CYCLE_1) | instskip(NEXT) | instid1(VALU_DEP_1)
	s_cmp_lt_i32 s0, 11
	v_ashrrev_i32_e32 v1, 31, v0
	s_delay_alu instid0(VALU_DEP_1)
	v_add_nc_u64_e32 v[2:3], s[6:7], v[0:1]
	s_cbranch_scc1 .LBB126_512
; %bb.503:
	s_and_b32 s26, 0xffff, s0
	s_delay_alu instid0(SALU_CYCLE_1)
	s_cmp_gt_i32 s26, 25
	s_cbranch_scc0 .LBB126_521
; %bb.504:
	s_cmp_gt_i32 s26, 28
	s_cbranch_scc0 .LBB126_523
; %bb.505:
	;; [unrolled: 3-line block ×4, first 2 shown]
	s_cmp_eq_u32 s26, 46
	s_mov_b32 s28, 0
	s_cbranch_scc0 .LBB126_529
; %bb.508:
	global_load_b32 v0, v[2:3], off
	s_mov_b32 s27, -1
	s_mov_b32 s25, 0
	s_wait_loadcnt 0x0
	v_lshlrev_b32_e32 v0, 16, v0
	s_delay_alu instid0(VALU_DEP_1) | instskip(NEXT) | instid1(VALU_DEP_1)
	v_trunc_f32_e32 v0, v0
	v_mul_f32_e64 v1, 0x2f800000, |v0|
	s_delay_alu instid0(VALU_DEP_1) | instskip(NEXT) | instid1(VALU_DEP_1)
	v_floor_f32_e32 v1, v1
	v_fma_f32 v4, 0xcf800000, v1, |v0|
	v_ashrrev_i32_e32 v0, 31, v0
	v_cvt_u32_f32_e32 v5, v1
	s_delay_alu instid0(VALU_DEP_3) | instskip(NEXT) | instid1(VALU_DEP_2)
	v_cvt_u32_f32_e32 v4, v4
	v_dual_mov_b32 v1, v0 :: v_dual_bitop2_b32 v5, v5, v0 bitop3:0x14
	s_delay_alu instid0(VALU_DEP_2) | instskip(NEXT) | instid1(VALU_DEP_1)
	v_xor_b32_e32 v4, v4, v0
	v_sub_nc_u64_e32 v[0:1], v[4:5], v[0:1]
	s_branch .LBB126_531
.LBB126_509:
	s_or_b32 exec_lo, exec_lo, s24
	s_mov_b32 s20, 0
	s_and_saveexec_b32 s24, s23
	s_cbranch_execnz .LBB126_1599
.LBB126_510:
	s_or_b32 exec_lo, exec_lo, s24
	s_and_saveexec_b32 s23, s25
	s_delay_alu instid0(SALU_CYCLE_1)
	s_xor_b32 s23, exec_lo, s23
	s_cbranch_execz .LBB126_1600
.LBB126_511:
	s_wait_loadcnt 0x0
	global_load_u8 v0, v[2:3], off
	s_mov_b32 s24, 0
	s_or_b32 s26, s26, exec_lo
	v_mov_b32_e32 v1, s24
	s_wait_loadcnt 0x0
	v_cmp_ne_u16_e32 vcc_lo, 0, v0
	v_cndmask_b32_e64 v0, 0, 1, vcc_lo
	s_wait_xcnt 0x0
	s_or_b32 exec_lo, exec_lo, s23
	s_and_saveexec_b32 s23, s27
	s_cbranch_execz .LBB126_1646
	s_branch .LBB126_1601
.LBB126_512:
	s_mov_b32 s27, 0
	s_mov_b32 s25, s23
                                        ; implicit-def: $vgpr0_vgpr1
	s_cbranch_execnz .LBB126_593
.LBB126_513:
	s_and_not1_b32 vcc_lo, exec_lo, s27
	s_cbranch_vccnz .LBB126_641
.LBB126_514:
	s_wait_xcnt 0x0
	v_mul_lo_u32 v2, v26, s14
	s_and_b32 s0, s3, 0xff
	s_delay_alu instid0(SALU_CYCLE_1) | instskip(NEXT) | instid1(VALU_DEP_1)
	s_cmp_lt_i32 s0, 11
	v_ashrrev_i32_e32 v3, 31, v2
	s_delay_alu instid0(VALU_DEP_1)
	v_add_nc_u64_e32 v[4:5], s[8:9], v[2:3]
	s_cbranch_scc1 .LBB126_522
; %bb.515:
	s_and_b32 s26, 0xffff, s0
	s_delay_alu instid0(SALU_CYCLE_1)
	s_cmp_gt_i32 s26, 25
	s_cbranch_scc0 .LBB126_524
; %bb.516:
	s_cmp_gt_i32 s26, 28
	s_cbranch_scc0 .LBB126_526
; %bb.517:
	;; [unrolled: 3-line block ×4, first 2 shown]
	s_cmp_eq_u32 s26, 46
	s_mov_b32 s30, 0
	s_cbranch_scc0 .LBB126_644
; %bb.520:
	global_load_b32 v2, v[4:5], off
	s_mov_b32 s27, -1
	s_mov_b32 s28, 0
	s_wait_loadcnt 0x0
	v_lshlrev_b32_e32 v2, 16, v2
	s_delay_alu instid0(VALU_DEP_1) | instskip(NEXT) | instid1(VALU_DEP_1)
	v_trunc_f32_e32 v2, v2
	v_mul_f32_e64 v3, 0x2f800000, |v2|
	s_delay_alu instid0(VALU_DEP_1) | instskip(NEXT) | instid1(VALU_DEP_1)
	v_floor_f32_e32 v3, v3
	v_fma_f32 v6, 0xcf800000, v3, |v2|
	v_ashrrev_i32_e32 v2, 31, v2
	v_cvt_u32_f32_e32 v7, v3
	s_delay_alu instid0(VALU_DEP_3) | instskip(NEXT) | instid1(VALU_DEP_2)
	v_cvt_u32_f32_e32 v6, v6
	v_dual_mov_b32 v3, v2 :: v_dual_bitop2_b32 v7, v7, v2 bitop3:0x14
	s_delay_alu instid0(VALU_DEP_2) | instskip(NEXT) | instid1(VALU_DEP_1)
	v_xor_b32_e32 v6, v6, v2
	v_sub_nc_u64_e32 v[2:3], v[6:7], v[2:3]
	s_branch .LBB126_646
.LBB126_521:
	s_mov_b32 s28, -1
	s_mov_b32 s27, 0
	s_mov_b32 s25, s23
                                        ; implicit-def: $vgpr0_vgpr1
	s_branch .LBB126_559
.LBB126_522:
	s_mov_b32 s26, -1
	s_mov_b32 s27, 0
	s_mov_b32 s28, s22
                                        ; implicit-def: $vgpr2_vgpr3
	s_branch .LBB126_707
.LBB126_523:
	s_mov_b32 s28, -1
	s_mov_b32 s27, 0
	s_mov_b32 s25, s23
                                        ; implicit-def: $vgpr0_vgpr1
	s_branch .LBB126_542
.LBB126_524:
	s_mov_b32 s30, -1
	s_mov_b32 s27, 0
	s_mov_b32 s28, s22
                                        ; implicit-def: $vgpr2_vgpr3
	s_branch .LBB126_673
.LBB126_525:
	s_mov_b32 s28, -1
	s_mov_b32 s27, 0
	s_mov_b32 s25, s23
                                        ; implicit-def: $vgpr0_vgpr1
	s_branch .LBB126_537
.LBB126_526:
	s_mov_b32 s30, -1
	s_mov_b32 s27, 0
	s_mov_b32 s28, s22
                                        ; implicit-def: $vgpr2_vgpr3
	s_branch .LBB126_656
.LBB126_527:
	s_mov_b32 s28, -1
	s_mov_b32 s27, 0
	s_mov_b32 s25, s23
	s_branch .LBB126_530
.LBB126_528:
	s_mov_b32 s30, -1
	s_mov_b32 s27, 0
	s_mov_b32 s28, s22
                                        ; implicit-def: $vgpr2_vgpr3
	s_branch .LBB126_651
.LBB126_529:
	s_mov_b32 s25, -1
	s_mov_b32 s27, 0
.LBB126_530:
                                        ; implicit-def: $vgpr0_vgpr1
.LBB126_531:
	s_and_b32 vcc_lo, exec_lo, s28
	s_cbranch_vccz .LBB126_536
; %bb.532:
	s_cmp_eq_u32 s26, 44
	s_cbranch_scc0 .LBB126_535
; %bb.533:
	global_load_u8 v6, v[2:3], off
	s_mov_b32 s25, 0
	s_mov_b32 s27, -1
	s_wait_loadcnt 0x0
	v_cmp_ne_u32_e32 vcc_lo, 0, v6
	v_lshlrev_b32_e32 v0, 23, v6
	s_delay_alu instid0(VALU_DEP_1) | instskip(NEXT) | instid1(VALU_DEP_1)
	v_trunc_f32_e32 v0, v0
	v_mul_f32_e64 v1, 0x2f800000, |v0|
	s_delay_alu instid0(VALU_DEP_1) | instskip(NEXT) | instid1(VALU_DEP_1)
	v_floor_f32_e32 v1, v1
	v_fma_f32 v4, 0xcf800000, v1, |v0|
	v_ashrrev_i32_e32 v0, 31, v0
	v_cvt_u32_f32_e32 v5, v1
	s_delay_alu instid0(VALU_DEP_3) | instskip(NEXT) | instid1(VALU_DEP_2)
	v_cvt_u32_f32_e32 v4, v4
	v_dual_mov_b32 v1, v0 :: v_dual_bitop2_b32 v5, v5, v0 bitop3:0x14
	s_delay_alu instid0(VALU_DEP_2) | instskip(NEXT) | instid1(VALU_DEP_1)
	v_xor_b32_e32 v4, v4, v0
	v_sub_nc_u64_e32 v[0:1], v[4:5], v[0:1]
	s_delay_alu instid0(VALU_DEP_1)
	v_dual_cndmask_b32 v1, 0, v1 :: v_dual_cndmask_b32 v0, 0, v0
	s_branch .LBB126_536
.LBB126_534:
	s_mov_b32 s30, -1
	s_mov_b32 s27, 0
	s_mov_b32 s28, s22
	s_branch .LBB126_645
.LBB126_535:
	s_mov_b32 s25, -1
                                        ; implicit-def: $vgpr0_vgpr1
.LBB126_536:
	s_mov_b32 s28, 0
.LBB126_537:
	s_delay_alu instid0(SALU_CYCLE_1)
	s_and_b32 vcc_lo, exec_lo, s28
	s_cbranch_vccz .LBB126_541
; %bb.538:
	s_cmp_eq_u32 s26, 29
	s_cbranch_scc0 .LBB126_540
; %bb.539:
	global_load_b64 v[0:1], v[2:3], off
	s_mov_b32 s27, -1
	s_mov_b32 s25, 0
	s_branch .LBB126_541
.LBB126_540:
	s_mov_b32 s25, -1
                                        ; implicit-def: $vgpr0_vgpr1
.LBB126_541:
	s_mov_b32 s28, 0
.LBB126_542:
	s_delay_alu instid0(SALU_CYCLE_1)
	s_and_b32 vcc_lo, exec_lo, s28
	s_cbranch_vccz .LBB126_558
; %bb.543:
	s_cmp_lt_i32 s26, 27
	s_cbranch_scc1 .LBB126_546
; %bb.544:
	s_cmp_gt_i32 s26, 27
	s_cbranch_scc0 .LBB126_547
; %bb.545:
	s_wait_loadcnt 0x0
	global_load_b32 v0, v[2:3], off
	v_mov_b32_e32 v1, 0
	s_mov_b32 s27, 0
	s_branch .LBB126_548
.LBB126_546:
	s_mov_b32 s27, -1
                                        ; implicit-def: $vgpr0_vgpr1
	s_branch .LBB126_551
.LBB126_547:
	s_mov_b32 s27, -1
                                        ; implicit-def: $vgpr0_vgpr1
.LBB126_548:
	s_delay_alu instid0(SALU_CYCLE_1)
	s_and_not1_b32 vcc_lo, exec_lo, s27
	s_cbranch_vccnz .LBB126_550
; %bb.549:
	s_wait_loadcnt 0x0
	global_load_u16 v0, v[2:3], off
	s_mov_b32 s27, 0
	s_delay_alu instid0(SALU_CYCLE_1)
	v_mov_b32_e32 v1, s27
	s_wait_loadcnt 0x0
	v_and_b32_e32 v0, 0xffff, v0
.LBB126_550:
	s_mov_b32 s27, 0
.LBB126_551:
	s_delay_alu instid0(SALU_CYCLE_1)
	s_and_not1_b32 vcc_lo, exec_lo, s27
	s_cbranch_vccnz .LBB126_557
; %bb.552:
	global_load_u8 v4, v[2:3], off
	s_mov_b32 s28, 0
	s_mov_b32 s27, exec_lo
	s_wait_loadcnt 0x0
	v_cmpx_lt_i16_e32 0x7f, v4
	s_xor_b32 s27, exec_lo, s27
	s_cbranch_execz .LBB126_569
; %bb.553:
	v_cmp_ne_u16_e32 vcc_lo, 0x80, v4
	s_and_b32 s28, vcc_lo, exec_lo
	s_and_not1_saveexec_b32 s27, s27
	s_cbranch_execnz .LBB126_570
.LBB126_554:
	s_or_b32 exec_lo, exec_lo, s27
	v_mov_b64_e32 v[0:1], 0
	s_and_saveexec_b32 s27, s28
	s_cbranch_execz .LBB126_556
.LBB126_555:
	v_and_b32_e32 v0, 0xffff, v4
	s_delay_alu instid0(VALU_DEP_1) | instskip(SKIP_1) | instid1(VALU_DEP_2)
	v_and_b32_e32 v1, 7, v0
	v_bfe_u32 v7, v0, 3, 4
	v_clz_i32_u32_e32 v5, v1
	s_delay_alu instid0(VALU_DEP_2) | instskip(NEXT) | instid1(VALU_DEP_2)
	v_cmp_eq_u32_e32 vcc_lo, 0, v7
	v_min_u32_e32 v5, 32, v5
	s_delay_alu instid0(VALU_DEP_1) | instskip(NEXT) | instid1(VALU_DEP_1)
	v_subrev_nc_u32_e32 v6, 28, v5
	v_dual_lshlrev_b32 v0, v6, v0 :: v_dual_sub_nc_u32 v5, 29, v5
	s_delay_alu instid0(VALU_DEP_1) | instskip(NEXT) | instid1(VALU_DEP_2)
	v_and_b32_e32 v0, 7, v0
	v_dual_cndmask_b32 v5, v7, v5 :: v_dual_lshlrev_b32 v4, 24, v4
	s_delay_alu instid0(VALU_DEP_2) | instskip(NEXT) | instid1(VALU_DEP_2)
	v_cndmask_b32_e32 v0, v1, v0, vcc_lo
	v_and_b32_e32 v1, 0x80000000, v4
	s_delay_alu instid0(VALU_DEP_3) | instskip(NEXT) | instid1(VALU_DEP_3)
	v_lshl_add_u32 v4, v5, 23, 0x3b800000
	v_lshlrev_b32_e32 v0, 20, v0
	s_delay_alu instid0(VALU_DEP_1) | instskip(NEXT) | instid1(VALU_DEP_1)
	v_or3_b32 v0, v1, v4, v0
	v_trunc_f32_e32 v0, v0
	s_delay_alu instid0(VALU_DEP_1) | instskip(NEXT) | instid1(VALU_DEP_1)
	v_mul_f32_e64 v1, 0x2f800000, |v0|
	v_floor_f32_e32 v1, v1
	s_delay_alu instid0(VALU_DEP_1) | instskip(SKIP_2) | instid1(VALU_DEP_3)
	v_fma_f32 v4, 0xcf800000, v1, |v0|
	v_ashrrev_i32_e32 v0, 31, v0
	v_cvt_u32_f32_e32 v5, v1
	v_cvt_u32_f32_e32 v4, v4
	s_delay_alu instid0(VALU_DEP_2) | instskip(NEXT) | instid1(VALU_DEP_2)
	v_dual_mov_b32 v1, v0 :: v_dual_bitop2_b32 v5, v5, v0 bitop3:0x14
	v_xor_b32_e32 v4, v4, v0
	s_delay_alu instid0(VALU_DEP_1)
	v_sub_nc_u64_e32 v[0:1], v[4:5], v[0:1]
.LBB126_556:
	s_or_b32 exec_lo, exec_lo, s27
.LBB126_557:
	s_mov_b32 s27, -1
.LBB126_558:
	s_mov_b32 s28, 0
.LBB126_559:
	s_delay_alu instid0(SALU_CYCLE_1)
	s_and_b32 vcc_lo, exec_lo, s28
	s_cbranch_vccz .LBB126_592
; %bb.560:
	s_cmp_gt_i32 s26, 22
	s_cbranch_scc0 .LBB126_568
; %bb.561:
	s_cmp_lt_i32 s26, 24
	s_cbranch_scc1 .LBB126_571
; %bb.562:
	s_cmp_gt_i32 s26, 24
	s_cbranch_scc0 .LBB126_572
; %bb.563:
	global_load_u8 v4, v[2:3], off
	s_mov_b32 s28, 0
	s_mov_b32 s27, exec_lo
	s_wait_loadcnt 0x0
	v_cmpx_lt_i16_e32 0x7f, v4
	s_xor_b32 s27, exec_lo, s27
	s_cbranch_execz .LBB126_584
; %bb.564:
	v_cmp_ne_u16_e32 vcc_lo, 0x80, v4
	s_and_b32 s28, vcc_lo, exec_lo
	s_and_not1_saveexec_b32 s27, s27
	s_cbranch_execnz .LBB126_585
.LBB126_565:
	s_or_b32 exec_lo, exec_lo, s27
	v_mov_b64_e32 v[0:1], 0
	s_and_saveexec_b32 s27, s28
	s_cbranch_execz .LBB126_567
.LBB126_566:
	v_and_b32_e32 v0, 0xffff, v4
	s_delay_alu instid0(VALU_DEP_1) | instskip(SKIP_1) | instid1(VALU_DEP_2)
	v_and_b32_e32 v1, 3, v0
	v_bfe_u32 v7, v0, 2, 5
	v_clz_i32_u32_e32 v5, v1
	s_delay_alu instid0(VALU_DEP_2) | instskip(NEXT) | instid1(VALU_DEP_2)
	v_cmp_eq_u32_e32 vcc_lo, 0, v7
	v_min_u32_e32 v5, 32, v5
	s_delay_alu instid0(VALU_DEP_1) | instskip(NEXT) | instid1(VALU_DEP_1)
	v_subrev_nc_u32_e32 v6, 29, v5
	v_dual_lshlrev_b32 v0, v6, v0 :: v_dual_sub_nc_u32 v5, 30, v5
	s_delay_alu instid0(VALU_DEP_1) | instskip(NEXT) | instid1(VALU_DEP_2)
	v_and_b32_e32 v0, 3, v0
	v_dual_cndmask_b32 v5, v7, v5 :: v_dual_lshlrev_b32 v4, 24, v4
	s_delay_alu instid0(VALU_DEP_2) | instskip(NEXT) | instid1(VALU_DEP_2)
	v_cndmask_b32_e32 v0, v1, v0, vcc_lo
	v_and_b32_e32 v1, 0x80000000, v4
	s_delay_alu instid0(VALU_DEP_3) | instskip(NEXT) | instid1(VALU_DEP_3)
	v_lshl_add_u32 v4, v5, 23, 0x37800000
	v_lshlrev_b32_e32 v0, 21, v0
	s_delay_alu instid0(VALU_DEP_1) | instskip(NEXT) | instid1(VALU_DEP_1)
	v_or3_b32 v0, v1, v4, v0
	v_trunc_f32_e32 v0, v0
	s_delay_alu instid0(VALU_DEP_1) | instskip(NEXT) | instid1(VALU_DEP_1)
	v_mul_f32_e64 v1, 0x2f800000, |v0|
	v_floor_f32_e32 v1, v1
	s_delay_alu instid0(VALU_DEP_1) | instskip(SKIP_2) | instid1(VALU_DEP_3)
	v_fma_f32 v4, 0xcf800000, v1, |v0|
	v_ashrrev_i32_e32 v0, 31, v0
	v_cvt_u32_f32_e32 v5, v1
	v_cvt_u32_f32_e32 v4, v4
	s_delay_alu instid0(VALU_DEP_2) | instskip(NEXT) | instid1(VALU_DEP_2)
	v_dual_mov_b32 v1, v0 :: v_dual_bitop2_b32 v5, v5, v0 bitop3:0x14
	v_xor_b32_e32 v4, v4, v0
	s_delay_alu instid0(VALU_DEP_1)
	v_sub_nc_u64_e32 v[0:1], v[4:5], v[0:1]
.LBB126_567:
	s_or_b32 exec_lo, exec_lo, s27
	s_mov_b32 s27, 0
	s_branch .LBB126_573
.LBB126_568:
	s_mov_b32 s28, -1
                                        ; implicit-def: $vgpr0_vgpr1
	s_branch .LBB126_579
.LBB126_569:
	s_and_not1_saveexec_b32 s27, s27
	s_cbranch_execz .LBB126_554
.LBB126_570:
	v_cmp_ne_u16_e32 vcc_lo, 0, v4
	s_and_not1_b32 s28, s28, exec_lo
	s_and_b32 s30, vcc_lo, exec_lo
	s_delay_alu instid0(SALU_CYCLE_1)
	s_or_b32 s28, s28, s30
	s_or_b32 exec_lo, exec_lo, s27
	v_mov_b64_e32 v[0:1], 0
	s_and_saveexec_b32 s27, s28
	s_cbranch_execnz .LBB126_555
	s_branch .LBB126_556
.LBB126_571:
	s_mov_b32 s27, -1
                                        ; implicit-def: $vgpr0_vgpr1
	s_branch .LBB126_576
.LBB126_572:
	s_mov_b32 s27, -1
                                        ; implicit-def: $vgpr0_vgpr1
.LBB126_573:
	s_delay_alu instid0(SALU_CYCLE_1)
	s_and_b32 vcc_lo, exec_lo, s27
	s_cbranch_vccz .LBB126_575
; %bb.574:
	s_wait_loadcnt 0x0
	global_load_u8 v0, v[2:3], off
	s_wait_loadcnt 0x0
	v_lshlrev_b32_e32 v0, 24, v0
	s_delay_alu instid0(VALU_DEP_1) | instskip(NEXT) | instid1(VALU_DEP_1)
	v_and_b32_e32 v1, 0x7f000000, v0
	v_clz_i32_u32_e32 v4, v1
	v_cmp_ne_u32_e32 vcc_lo, 0, v1
	v_add_nc_u32_e32 v6, 0x1000000, v1
	s_delay_alu instid0(VALU_DEP_3) | instskip(NEXT) | instid1(VALU_DEP_1)
	v_min_u32_e32 v4, 32, v4
	v_sub_nc_u32_e64 v4, v4, 4 clamp
	s_delay_alu instid0(VALU_DEP_1) | instskip(NEXT) | instid1(VALU_DEP_1)
	v_dual_lshlrev_b32 v5, v4, v1 :: v_dual_lshlrev_b32 v4, 23, v4
	v_lshrrev_b32_e32 v5, 4, v5
	s_delay_alu instid0(VALU_DEP_1) | instskip(NEXT) | instid1(VALU_DEP_1)
	v_dual_sub_nc_u32 v4, v5, v4 :: v_dual_ashrrev_i32 v5, 8, v6
	v_add_nc_u32_e32 v4, 0x3c000000, v4
	s_delay_alu instid0(VALU_DEP_1) | instskip(NEXT) | instid1(VALU_DEP_1)
	v_and_or_b32 v4, 0x7f800000, v5, v4
	v_cndmask_b32_e32 v1, 0, v4, vcc_lo
	s_delay_alu instid0(VALU_DEP_1) | instskip(NEXT) | instid1(VALU_DEP_1)
	v_and_or_b32 v0, 0x80000000, v0, v1
	v_trunc_f32_e32 v0, v0
	s_delay_alu instid0(VALU_DEP_1) | instskip(NEXT) | instid1(VALU_DEP_1)
	v_mul_f32_e64 v1, 0x2f800000, |v0|
	v_floor_f32_e32 v1, v1
	s_delay_alu instid0(VALU_DEP_1) | instskip(SKIP_2) | instid1(VALU_DEP_3)
	v_fma_f32 v4, 0xcf800000, v1, |v0|
	v_ashrrev_i32_e32 v0, 31, v0
	v_cvt_u32_f32_e32 v5, v1
	v_cvt_u32_f32_e32 v4, v4
	s_delay_alu instid0(VALU_DEP_2) | instskip(NEXT) | instid1(VALU_DEP_2)
	v_dual_mov_b32 v1, v0 :: v_dual_bitop2_b32 v5, v5, v0 bitop3:0x14
	v_xor_b32_e32 v4, v4, v0
	s_delay_alu instid0(VALU_DEP_1)
	v_sub_nc_u64_e32 v[0:1], v[4:5], v[0:1]
.LBB126_575:
	s_mov_b32 s27, 0
.LBB126_576:
	s_delay_alu instid0(SALU_CYCLE_1)
	s_and_not1_b32 vcc_lo, exec_lo, s27
	s_cbranch_vccnz .LBB126_578
; %bb.577:
	s_wait_loadcnt 0x0
	global_load_u8 v0, v[2:3], off
	s_wait_loadcnt 0x0
	v_lshlrev_b32_e32 v1, 25, v0
	v_lshlrev_b16 v0, 8, v0
	s_delay_alu instid0(VALU_DEP_1) | instskip(SKIP_1) | instid1(VALU_DEP_2)
	v_and_or_b32 v5, 0x7f00, v0, 0.5
	v_bfe_i32 v0, v0, 0, 16
	v_add_f32_e32 v5, -0.5, v5
	v_lshrrev_b32_e32 v4, 4, v1
	v_cmp_gt_u32_e32 vcc_lo, 0x8000000, v1
	s_delay_alu instid0(VALU_DEP_2) | instskip(NEXT) | instid1(VALU_DEP_1)
	v_or_b32_e32 v4, 0x70000000, v4
	v_mul_f32_e32 v4, 0x7800000, v4
	s_delay_alu instid0(VALU_DEP_1) | instskip(NEXT) | instid1(VALU_DEP_1)
	v_cndmask_b32_e32 v1, v4, v5, vcc_lo
	v_and_or_b32 v0, 0x80000000, v0, v1
	s_delay_alu instid0(VALU_DEP_1) | instskip(NEXT) | instid1(VALU_DEP_1)
	v_trunc_f32_e32 v0, v0
	v_mul_f32_e64 v1, 0x2f800000, |v0|
	s_delay_alu instid0(VALU_DEP_1) | instskip(NEXT) | instid1(VALU_DEP_1)
	v_floor_f32_e32 v1, v1
	v_fma_f32 v4, 0xcf800000, v1, |v0|
	v_ashrrev_i32_e32 v0, 31, v0
	v_cvt_u32_f32_e32 v5, v1
	s_delay_alu instid0(VALU_DEP_3) | instskip(NEXT) | instid1(VALU_DEP_2)
	v_cvt_u32_f32_e32 v4, v4
	v_dual_mov_b32 v1, v0 :: v_dual_bitop2_b32 v5, v5, v0 bitop3:0x14
	s_delay_alu instid0(VALU_DEP_2) | instskip(NEXT) | instid1(VALU_DEP_1)
	v_xor_b32_e32 v4, v4, v0
	v_sub_nc_u64_e32 v[0:1], v[4:5], v[0:1]
.LBB126_578:
	s_mov_b32 s28, 0
	s_mov_b32 s27, -1
.LBB126_579:
	s_and_not1_b32 vcc_lo, exec_lo, s28
	s_cbranch_vccnz .LBB126_592
; %bb.580:
	s_cmp_gt_i32 s26, 14
	s_cbranch_scc0 .LBB126_583
; %bb.581:
	s_cmp_eq_u32 s26, 15
	s_cbranch_scc0 .LBB126_586
; %bb.582:
	s_wait_loadcnt 0x0
	global_load_u16 v0, v[2:3], off
	s_mov_b32 s27, -1
	s_mov_b32 s25, 0
	s_wait_loadcnt 0x0
	v_lshlrev_b32_e32 v0, 16, v0
	s_delay_alu instid0(VALU_DEP_1) | instskip(NEXT) | instid1(VALU_DEP_1)
	v_trunc_f32_e32 v0, v0
	v_mul_f32_e64 v1, 0x2f800000, |v0|
	s_delay_alu instid0(VALU_DEP_1) | instskip(NEXT) | instid1(VALU_DEP_1)
	v_floor_f32_e32 v1, v1
	v_fma_f32 v4, 0xcf800000, v1, |v0|
	v_ashrrev_i32_e32 v0, 31, v0
	v_cvt_u32_f32_e32 v5, v1
	s_delay_alu instid0(VALU_DEP_3) | instskip(NEXT) | instid1(VALU_DEP_2)
	v_cvt_u32_f32_e32 v4, v4
	v_dual_mov_b32 v1, v0 :: v_dual_bitop2_b32 v5, v5, v0 bitop3:0x14
	s_delay_alu instid0(VALU_DEP_2) | instskip(NEXT) | instid1(VALU_DEP_1)
	v_xor_b32_e32 v4, v4, v0
	v_sub_nc_u64_e32 v[0:1], v[4:5], v[0:1]
	s_branch .LBB126_587
.LBB126_583:
	s_mov_b32 s28, -1
                                        ; implicit-def: $vgpr0_vgpr1
	s_branch .LBB126_588
.LBB126_584:
	s_and_not1_saveexec_b32 s27, s27
	s_cbranch_execz .LBB126_565
.LBB126_585:
	v_cmp_ne_u16_e32 vcc_lo, 0, v4
	s_and_not1_b32 s28, s28, exec_lo
	s_and_b32 s30, vcc_lo, exec_lo
	s_delay_alu instid0(SALU_CYCLE_1)
	s_or_b32 s28, s28, s30
	s_or_b32 exec_lo, exec_lo, s27
	v_mov_b64_e32 v[0:1], 0
	s_and_saveexec_b32 s27, s28
	s_cbranch_execnz .LBB126_566
	s_branch .LBB126_567
.LBB126_586:
	s_mov_b32 s25, -1
                                        ; implicit-def: $vgpr0_vgpr1
.LBB126_587:
	s_mov_b32 s28, 0
.LBB126_588:
	s_delay_alu instid0(SALU_CYCLE_1)
	s_and_b32 vcc_lo, exec_lo, s28
	s_cbranch_vccz .LBB126_592
; %bb.589:
	s_cmp_eq_u32 s26, 11
	s_cbranch_scc0 .LBB126_591
; %bb.590:
	s_wait_loadcnt 0x0
	global_load_u8 v0, v[2:3], off
	s_mov_b32 s25, 0
	s_mov_b32 s27, -1
	v_mov_b32_e32 v1, s25
	s_wait_loadcnt 0x0
	v_cmp_ne_u16_e32 vcc_lo, 0, v0
	v_cndmask_b32_e64 v0, 0, 1, vcc_lo
	s_branch .LBB126_592
.LBB126_591:
	s_mov_b32 s25, -1
                                        ; implicit-def: $vgpr0_vgpr1
.LBB126_592:
	s_branch .LBB126_513
.LBB126_593:
	s_and_b32 s0, 0xffff, s0
	s_delay_alu instid0(SALU_CYCLE_1)
	s_cmp_lt_i32 s0, 5
	s_cbranch_scc1 .LBB126_598
; %bb.594:
	s_cmp_lt_i32 s0, 8
	s_cbranch_scc1 .LBB126_599
; %bb.595:
	;; [unrolled: 3-line block ×3, first 2 shown]
	s_cmp_gt_i32 s0, 9
	s_cbranch_scc0 .LBB126_601
; %bb.597:
	s_wait_loadcnt 0x0
	global_load_b64 v[0:1], v[2:3], off
	s_mov_b32 s26, 0
	s_wait_loadcnt 0x0
	v_trunc_f64_e32 v[0:1], v[0:1]
	s_delay_alu instid0(VALU_DEP_1) | instskip(NEXT) | instid1(VALU_DEP_1)
	v_ldexp_f64 v[4:5], v[0:1], 0xffffffe0
	v_floor_f64_e32 v[4:5], v[4:5]
	s_delay_alu instid0(VALU_DEP_1) | instskip(SKIP_1) | instid1(VALU_DEP_2)
	v_fmamk_f64 v[6:7], v[4:5], 0xc1f00000, v[0:1]
	v_cvt_i32_f64_e32 v1, v[4:5]
	v_cvt_u32_f64_e32 v0, v[6:7]
	s_branch .LBB126_602
.LBB126_598:
	s_mov_b32 s26, -1
                                        ; implicit-def: $vgpr0_vgpr1
	s_branch .LBB126_620
.LBB126_599:
	s_mov_b32 s26, -1
                                        ; implicit-def: $vgpr0_vgpr1
	s_branch .LBB126_608
.LBB126_600:
	s_mov_b32 s26, -1
                                        ; implicit-def: $vgpr0_vgpr1
	s_branch .LBB126_605
.LBB126_601:
	s_mov_b32 s26, -1
                                        ; implicit-def: $vgpr0_vgpr1
.LBB126_602:
	s_delay_alu instid0(SALU_CYCLE_1)
	s_and_not1_b32 vcc_lo, exec_lo, s26
	s_cbranch_vccnz .LBB126_604
; %bb.603:
	s_wait_loadcnt 0x0
	global_load_b32 v0, v[2:3], off
	s_wait_loadcnt 0x0
	v_trunc_f32_e32 v0, v0
	s_delay_alu instid0(VALU_DEP_1) | instskip(NEXT) | instid1(VALU_DEP_1)
	v_mul_f32_e64 v1, 0x2f800000, |v0|
	v_floor_f32_e32 v1, v1
	s_delay_alu instid0(VALU_DEP_1) | instskip(SKIP_2) | instid1(VALU_DEP_3)
	v_fma_f32 v4, 0xcf800000, v1, |v0|
	v_ashrrev_i32_e32 v0, 31, v0
	v_cvt_u32_f32_e32 v5, v1
	v_cvt_u32_f32_e32 v4, v4
	s_delay_alu instid0(VALU_DEP_2) | instskip(NEXT) | instid1(VALU_DEP_2)
	v_dual_mov_b32 v1, v0 :: v_dual_bitop2_b32 v5, v5, v0 bitop3:0x14
	v_xor_b32_e32 v4, v4, v0
	s_delay_alu instid0(VALU_DEP_1)
	v_sub_nc_u64_e32 v[0:1], v[4:5], v[0:1]
.LBB126_604:
	s_mov_b32 s26, 0
.LBB126_605:
	s_delay_alu instid0(SALU_CYCLE_1)
	s_and_not1_b32 vcc_lo, exec_lo, s26
	s_cbranch_vccnz .LBB126_607
; %bb.606:
	s_wait_loadcnt 0x0
	global_load_b32 v0, v[2:3], off
	s_wait_loadcnt 0x0
	v_cvt_f32_f16_e32 v0, v0
	s_delay_alu instid0(VALU_DEP_1) | instskip(NEXT) | instid1(VALU_DEP_1)
	v_cvt_i32_f32_e32 v0, v0
	v_ashrrev_i32_e32 v1, 31, v0
.LBB126_607:
	s_mov_b32 s26, 0
.LBB126_608:
	s_delay_alu instid0(SALU_CYCLE_1)
	s_and_not1_b32 vcc_lo, exec_lo, s26
	s_cbranch_vccnz .LBB126_619
; %bb.609:
	s_cmp_lt_i32 s0, 6
	s_cbranch_scc1 .LBB126_612
; %bb.610:
	s_cmp_gt_i32 s0, 6
	s_cbranch_scc0 .LBB126_613
; %bb.611:
	s_wait_loadcnt 0x0
	global_load_b64 v[0:1], v[2:3], off
	s_mov_b32 s26, 0
	s_wait_loadcnt 0x0
	v_trunc_f64_e32 v[0:1], v[0:1]
	s_delay_alu instid0(VALU_DEP_1) | instskip(NEXT) | instid1(VALU_DEP_1)
	v_ldexp_f64 v[4:5], v[0:1], 0xffffffe0
	v_floor_f64_e32 v[4:5], v[4:5]
	s_delay_alu instid0(VALU_DEP_1) | instskip(SKIP_1) | instid1(VALU_DEP_2)
	v_fmamk_f64 v[6:7], v[4:5], 0xc1f00000, v[0:1]
	v_cvt_i32_f64_e32 v1, v[4:5]
	v_cvt_u32_f64_e32 v0, v[6:7]
	s_branch .LBB126_614
.LBB126_612:
	s_mov_b32 s26, -1
                                        ; implicit-def: $vgpr0_vgpr1
	s_branch .LBB126_617
.LBB126_613:
	s_mov_b32 s26, -1
                                        ; implicit-def: $vgpr0_vgpr1
.LBB126_614:
	s_delay_alu instid0(SALU_CYCLE_1)
	s_and_not1_b32 vcc_lo, exec_lo, s26
	s_cbranch_vccnz .LBB126_616
; %bb.615:
	s_wait_loadcnt 0x0
	global_load_b32 v0, v[2:3], off
	s_wait_loadcnt 0x0
	v_trunc_f32_e32 v0, v0
	s_delay_alu instid0(VALU_DEP_1) | instskip(NEXT) | instid1(VALU_DEP_1)
	v_mul_f32_e64 v1, 0x2f800000, |v0|
	v_floor_f32_e32 v1, v1
	s_delay_alu instid0(VALU_DEP_1) | instskip(SKIP_2) | instid1(VALU_DEP_3)
	v_fma_f32 v4, 0xcf800000, v1, |v0|
	v_ashrrev_i32_e32 v0, 31, v0
	v_cvt_u32_f32_e32 v5, v1
	v_cvt_u32_f32_e32 v4, v4
	s_delay_alu instid0(VALU_DEP_2) | instskip(NEXT) | instid1(VALU_DEP_2)
	v_dual_mov_b32 v1, v0 :: v_dual_bitop2_b32 v5, v5, v0 bitop3:0x14
	v_xor_b32_e32 v4, v4, v0
	s_delay_alu instid0(VALU_DEP_1)
	v_sub_nc_u64_e32 v[0:1], v[4:5], v[0:1]
.LBB126_616:
	s_mov_b32 s26, 0
.LBB126_617:
	s_delay_alu instid0(SALU_CYCLE_1)
	s_and_not1_b32 vcc_lo, exec_lo, s26
	s_cbranch_vccnz .LBB126_619
; %bb.618:
	s_wait_loadcnt 0x0
	global_load_u16 v0, v[2:3], off
	s_wait_loadcnt 0x0
	v_cvt_f32_f16_e32 v0, v0
	s_delay_alu instid0(VALU_DEP_1) | instskip(NEXT) | instid1(VALU_DEP_1)
	v_cvt_i32_f32_e32 v0, v0
	v_ashrrev_i32_e32 v1, 31, v0
.LBB126_619:
	s_mov_b32 s26, 0
.LBB126_620:
	s_delay_alu instid0(SALU_CYCLE_1)
	s_and_not1_b32 vcc_lo, exec_lo, s26
	s_cbranch_vccnz .LBB126_640
; %bb.621:
	s_cmp_lt_i32 s0, 2
	s_cbranch_scc1 .LBB126_625
; %bb.622:
	s_cmp_lt_i32 s0, 3
	s_cbranch_scc1 .LBB126_626
; %bb.623:
	s_cmp_gt_i32 s0, 3
	s_cbranch_scc0 .LBB126_627
; %bb.624:
	s_wait_loadcnt 0x0
	global_load_b64 v[0:1], v[2:3], off
	s_mov_b32 s26, 0
	s_branch .LBB126_628
.LBB126_625:
	s_mov_b32 s26, -1
                                        ; implicit-def: $vgpr0_vgpr1
	s_branch .LBB126_634
.LBB126_626:
	s_mov_b32 s26, -1
                                        ; implicit-def: $vgpr0_vgpr1
	s_branch .LBB126_631
.LBB126_627:
	s_mov_b32 s26, -1
                                        ; implicit-def: $vgpr0_vgpr1
.LBB126_628:
	s_delay_alu instid0(SALU_CYCLE_1)
	s_and_not1_b32 vcc_lo, exec_lo, s26
	s_cbranch_vccnz .LBB126_630
; %bb.629:
	s_wait_loadcnt 0x0
	global_load_b32 v0, v[2:3], off
	s_wait_loadcnt 0x0
	v_ashrrev_i32_e32 v1, 31, v0
.LBB126_630:
	s_mov_b32 s26, 0
.LBB126_631:
	s_delay_alu instid0(SALU_CYCLE_1)
	s_and_not1_b32 vcc_lo, exec_lo, s26
	s_cbranch_vccnz .LBB126_633
; %bb.632:
	s_wait_loadcnt 0x0
	global_load_u16 v0, v[2:3], off
	s_wait_loadcnt 0x0
	v_bfe_i32 v0, v0, 0, 16
	s_delay_alu instid0(VALU_DEP_1)
	v_ashrrev_i32_e32 v1, 31, v0
.LBB126_633:
	s_mov_b32 s26, 0
.LBB126_634:
	s_delay_alu instid0(SALU_CYCLE_1)
	s_and_not1_b32 vcc_lo, exec_lo, s26
	s_cbranch_vccnz .LBB126_640
; %bb.635:
	s_cmp_gt_i32 s0, 0
	s_mov_b32 s0, 0
	s_cbranch_scc0 .LBB126_637
; %bb.636:
	s_wait_loadcnt 0x0
	global_load_i8 v0, v[2:3], off
	s_wait_loadcnt 0x0
	v_bfe_i32 v0, v0, 0, 16
	s_delay_alu instid0(VALU_DEP_1)
	v_ashrrev_i32_e32 v1, 31, v0
	s_branch .LBB126_638
.LBB126_637:
	s_mov_b32 s0, -1
                                        ; implicit-def: $vgpr0_vgpr1
.LBB126_638:
	s_delay_alu instid0(SALU_CYCLE_1)
	s_and_not1_b32 vcc_lo, exec_lo, s0
	s_cbranch_vccnz .LBB126_640
; %bb.639:
	s_wait_loadcnt 0x0
	global_load_u8 v0, v[2:3], off
	s_mov_b32 s0, 0
	s_delay_alu instid0(SALU_CYCLE_1)
	v_mov_b32_e32 v1, s0
	s_wait_loadcnt 0x0
	v_and_b32_e32 v0, 0xffff, v0
.LBB126_640:
	s_branch .LBB126_514
.LBB126_641:
	s_mov_b32 s30, 0
	s_mov_b32 s0, s19
	;; [unrolled: 1-line block ×4, first 2 shown]
	s_branch .LBB126_1009
.LBB126_642:
	s_and_not1_saveexec_b32 s29, s29
	s_cbranch_execz .LBB126_409
.LBB126_643:
	v_add_f32_e64 v5, 0x46000000, |v4|
	s_and_not1_b32 s28, s28, exec_lo
	s_delay_alu instid0(VALU_DEP_1) | instskip(NEXT) | instid1(VALU_DEP_1)
	v_and_b32_e32 v5, 0xff, v5
	v_cmp_ne_u32_e32 vcc_lo, 0, v5
	s_and_b32 s30, vcc_lo, exec_lo
	s_delay_alu instid0(SALU_CYCLE_1)
	s_or_b32 s28, s28, s30
	s_or_b32 exec_lo, exec_lo, s29
	v_mov_b32_e32 v6, 0
	s_and_saveexec_b32 s29, s28
	s_cbranch_execnz .LBB126_410
	s_branch .LBB126_411
.LBB126_644:
	s_mov_b32 s28, -1
	s_mov_b32 s27, 0
.LBB126_645:
                                        ; implicit-def: $vgpr2_vgpr3
.LBB126_646:
	s_and_b32 vcc_lo, exec_lo, s30
	s_cbranch_vccz .LBB126_650
; %bb.647:
	s_cmp_eq_u32 s26, 44
	s_cbranch_scc0 .LBB126_649
; %bb.648:
	global_load_u8 v8, v[4:5], off
	s_mov_b32 s28, 0
	s_mov_b32 s27, -1
	s_wait_loadcnt 0x0
	v_cmp_ne_u32_e32 vcc_lo, 0, v8
	v_lshlrev_b32_e32 v2, 23, v8
	s_delay_alu instid0(VALU_DEP_1) | instskip(NEXT) | instid1(VALU_DEP_1)
	v_trunc_f32_e32 v2, v2
	v_mul_f32_e64 v3, 0x2f800000, |v2|
	s_delay_alu instid0(VALU_DEP_1) | instskip(NEXT) | instid1(VALU_DEP_1)
	v_floor_f32_e32 v3, v3
	v_fma_f32 v6, 0xcf800000, v3, |v2|
	v_ashrrev_i32_e32 v2, 31, v2
	v_cvt_u32_f32_e32 v7, v3
	s_delay_alu instid0(VALU_DEP_3) | instskip(NEXT) | instid1(VALU_DEP_2)
	v_cvt_u32_f32_e32 v6, v6
	v_dual_mov_b32 v3, v2 :: v_dual_bitop2_b32 v7, v7, v2 bitop3:0x14
	s_delay_alu instid0(VALU_DEP_2) | instskip(NEXT) | instid1(VALU_DEP_1)
	v_xor_b32_e32 v6, v6, v2
	v_sub_nc_u64_e32 v[2:3], v[6:7], v[2:3]
	s_delay_alu instid0(VALU_DEP_1)
	v_dual_cndmask_b32 v3, 0, v3 :: v_dual_cndmask_b32 v2, 0, v2
	s_branch .LBB126_650
.LBB126_649:
	s_mov_b32 s28, -1
                                        ; implicit-def: $vgpr2_vgpr3
.LBB126_650:
	s_mov_b32 s30, 0
.LBB126_651:
	s_delay_alu instid0(SALU_CYCLE_1)
	s_and_b32 vcc_lo, exec_lo, s30
	s_cbranch_vccz .LBB126_655
; %bb.652:
	s_cmp_eq_u32 s26, 29
	s_cbranch_scc0 .LBB126_654
; %bb.653:
	global_load_b64 v[2:3], v[4:5], off
	s_mov_b32 s27, -1
	s_mov_b32 s28, 0
	s_branch .LBB126_655
.LBB126_654:
	s_mov_b32 s28, -1
                                        ; implicit-def: $vgpr2_vgpr3
.LBB126_655:
	s_mov_b32 s30, 0
.LBB126_656:
	s_delay_alu instid0(SALU_CYCLE_1)
	s_and_b32 vcc_lo, exec_lo, s30
	s_cbranch_vccz .LBB126_672
; %bb.657:
	s_cmp_lt_i32 s26, 27
	s_cbranch_scc1 .LBB126_660
; %bb.658:
	s_cmp_gt_i32 s26, 27
	s_cbranch_scc0 .LBB126_661
; %bb.659:
	s_wait_loadcnt 0x0
	global_load_b32 v2, v[4:5], off
	v_mov_b32_e32 v3, 0
	s_mov_b32 s27, 0
	s_branch .LBB126_662
.LBB126_660:
	s_mov_b32 s27, -1
                                        ; implicit-def: $vgpr2_vgpr3
	s_branch .LBB126_665
.LBB126_661:
	s_mov_b32 s27, -1
                                        ; implicit-def: $vgpr2_vgpr3
.LBB126_662:
	s_delay_alu instid0(SALU_CYCLE_1)
	s_and_not1_b32 vcc_lo, exec_lo, s27
	s_cbranch_vccnz .LBB126_664
; %bb.663:
	s_wait_loadcnt 0x0
	global_load_u16 v2, v[4:5], off
	s_mov_b32 s27, 0
	s_delay_alu instid0(SALU_CYCLE_1)
	v_mov_b32_e32 v3, s27
	s_wait_loadcnt 0x0
	v_and_b32_e32 v2, 0xffff, v2
.LBB126_664:
	s_mov_b32 s27, 0
.LBB126_665:
	s_delay_alu instid0(SALU_CYCLE_1)
	s_and_not1_b32 vcc_lo, exec_lo, s27
	s_cbranch_vccnz .LBB126_671
; %bb.666:
	global_load_u8 v6, v[4:5], off
	s_mov_b32 s30, 0
	s_mov_b32 s27, exec_lo
	s_wait_loadcnt 0x0
	v_cmpx_lt_i16_e32 0x7f, v6
	s_xor_b32 s27, exec_lo, s27
	s_cbranch_execz .LBB126_683
; %bb.667:
	v_cmp_ne_u16_e32 vcc_lo, 0x80, v6
	s_and_b32 s30, vcc_lo, exec_lo
	s_and_not1_saveexec_b32 s27, s27
	s_cbranch_execnz .LBB126_684
.LBB126_668:
	s_or_b32 exec_lo, exec_lo, s27
	v_mov_b64_e32 v[2:3], 0
	s_and_saveexec_b32 s27, s30
	s_cbranch_execz .LBB126_670
.LBB126_669:
	v_and_b32_e32 v2, 0xffff, v6
	s_delay_alu instid0(VALU_DEP_1) | instskip(SKIP_1) | instid1(VALU_DEP_2)
	v_and_b32_e32 v3, 7, v2
	v_bfe_u32 v9, v2, 3, 4
	v_clz_i32_u32_e32 v7, v3
	s_delay_alu instid0(VALU_DEP_2) | instskip(NEXT) | instid1(VALU_DEP_2)
	v_cmp_eq_u32_e32 vcc_lo, 0, v9
	v_min_u32_e32 v7, 32, v7
	s_delay_alu instid0(VALU_DEP_1) | instskip(NEXT) | instid1(VALU_DEP_1)
	v_subrev_nc_u32_e32 v8, 28, v7
	v_dual_lshlrev_b32 v2, v8, v2 :: v_dual_sub_nc_u32 v7, 29, v7
	s_delay_alu instid0(VALU_DEP_1) | instskip(NEXT) | instid1(VALU_DEP_2)
	v_and_b32_e32 v2, 7, v2
	v_dual_cndmask_b32 v7, v9, v7 :: v_dual_lshlrev_b32 v6, 24, v6
	s_delay_alu instid0(VALU_DEP_2) | instskip(NEXT) | instid1(VALU_DEP_2)
	v_cndmask_b32_e32 v2, v3, v2, vcc_lo
	v_and_b32_e32 v3, 0x80000000, v6
	s_delay_alu instid0(VALU_DEP_3) | instskip(NEXT) | instid1(VALU_DEP_3)
	v_lshl_add_u32 v6, v7, 23, 0x3b800000
	v_lshlrev_b32_e32 v2, 20, v2
	s_delay_alu instid0(VALU_DEP_1) | instskip(NEXT) | instid1(VALU_DEP_1)
	v_or3_b32 v2, v3, v6, v2
	v_trunc_f32_e32 v2, v2
	s_delay_alu instid0(VALU_DEP_1) | instskip(NEXT) | instid1(VALU_DEP_1)
	v_mul_f32_e64 v3, 0x2f800000, |v2|
	v_floor_f32_e32 v3, v3
	s_delay_alu instid0(VALU_DEP_1) | instskip(SKIP_2) | instid1(VALU_DEP_3)
	v_fma_f32 v6, 0xcf800000, v3, |v2|
	v_ashrrev_i32_e32 v2, 31, v2
	v_cvt_u32_f32_e32 v7, v3
	v_cvt_u32_f32_e32 v6, v6
	s_delay_alu instid0(VALU_DEP_2) | instskip(NEXT) | instid1(VALU_DEP_2)
	v_dual_mov_b32 v3, v2 :: v_dual_bitop2_b32 v7, v7, v2 bitop3:0x14
	v_xor_b32_e32 v6, v6, v2
	s_delay_alu instid0(VALU_DEP_1)
	v_sub_nc_u64_e32 v[2:3], v[6:7], v[2:3]
.LBB126_670:
	s_or_b32 exec_lo, exec_lo, s27
.LBB126_671:
	s_mov_b32 s27, -1
.LBB126_672:
	s_mov_b32 s30, 0
.LBB126_673:
	s_delay_alu instid0(SALU_CYCLE_1)
	s_and_b32 vcc_lo, exec_lo, s30
	s_cbranch_vccz .LBB126_706
; %bb.674:
	s_cmp_gt_i32 s26, 22
	s_cbranch_scc0 .LBB126_682
; %bb.675:
	s_cmp_lt_i32 s26, 24
	s_cbranch_scc1 .LBB126_685
; %bb.676:
	s_cmp_gt_i32 s26, 24
	s_cbranch_scc0 .LBB126_686
; %bb.677:
	global_load_u8 v6, v[4:5], off
	s_mov_b32 s30, 0
	s_mov_b32 s27, exec_lo
	s_wait_loadcnt 0x0
	v_cmpx_lt_i16_e32 0x7f, v6
	s_xor_b32 s27, exec_lo, s27
	s_cbranch_execz .LBB126_698
; %bb.678:
	v_cmp_ne_u16_e32 vcc_lo, 0x80, v6
	s_and_b32 s30, vcc_lo, exec_lo
	s_and_not1_saveexec_b32 s27, s27
	s_cbranch_execnz .LBB126_699
.LBB126_679:
	s_or_b32 exec_lo, exec_lo, s27
	v_mov_b64_e32 v[2:3], 0
	s_and_saveexec_b32 s27, s30
	s_cbranch_execz .LBB126_681
.LBB126_680:
	v_and_b32_e32 v2, 0xffff, v6
	s_delay_alu instid0(VALU_DEP_1) | instskip(SKIP_1) | instid1(VALU_DEP_2)
	v_and_b32_e32 v3, 3, v2
	v_bfe_u32 v9, v2, 2, 5
	v_clz_i32_u32_e32 v7, v3
	s_delay_alu instid0(VALU_DEP_2) | instskip(NEXT) | instid1(VALU_DEP_2)
	v_cmp_eq_u32_e32 vcc_lo, 0, v9
	v_min_u32_e32 v7, 32, v7
	s_delay_alu instid0(VALU_DEP_1) | instskip(NEXT) | instid1(VALU_DEP_1)
	v_subrev_nc_u32_e32 v8, 29, v7
	v_dual_lshlrev_b32 v2, v8, v2 :: v_dual_sub_nc_u32 v7, 30, v7
	s_delay_alu instid0(VALU_DEP_1) | instskip(NEXT) | instid1(VALU_DEP_2)
	v_and_b32_e32 v2, 3, v2
	v_dual_cndmask_b32 v7, v9, v7 :: v_dual_lshlrev_b32 v6, 24, v6
	s_delay_alu instid0(VALU_DEP_2) | instskip(NEXT) | instid1(VALU_DEP_2)
	v_cndmask_b32_e32 v2, v3, v2, vcc_lo
	v_and_b32_e32 v3, 0x80000000, v6
	s_delay_alu instid0(VALU_DEP_3) | instskip(NEXT) | instid1(VALU_DEP_3)
	v_lshl_add_u32 v6, v7, 23, 0x37800000
	v_lshlrev_b32_e32 v2, 21, v2
	s_delay_alu instid0(VALU_DEP_1) | instskip(NEXT) | instid1(VALU_DEP_1)
	v_or3_b32 v2, v3, v6, v2
	v_trunc_f32_e32 v2, v2
	s_delay_alu instid0(VALU_DEP_1) | instskip(NEXT) | instid1(VALU_DEP_1)
	v_mul_f32_e64 v3, 0x2f800000, |v2|
	v_floor_f32_e32 v3, v3
	s_delay_alu instid0(VALU_DEP_1) | instskip(SKIP_2) | instid1(VALU_DEP_3)
	v_fma_f32 v6, 0xcf800000, v3, |v2|
	v_ashrrev_i32_e32 v2, 31, v2
	v_cvt_u32_f32_e32 v7, v3
	v_cvt_u32_f32_e32 v6, v6
	s_delay_alu instid0(VALU_DEP_2) | instskip(NEXT) | instid1(VALU_DEP_2)
	v_dual_mov_b32 v3, v2 :: v_dual_bitop2_b32 v7, v7, v2 bitop3:0x14
	v_xor_b32_e32 v6, v6, v2
	s_delay_alu instid0(VALU_DEP_1)
	v_sub_nc_u64_e32 v[2:3], v[6:7], v[2:3]
.LBB126_681:
	s_or_b32 exec_lo, exec_lo, s27
	s_mov_b32 s27, 0
	s_branch .LBB126_687
.LBB126_682:
	s_mov_b32 s30, -1
                                        ; implicit-def: $vgpr2_vgpr3
	s_branch .LBB126_693
.LBB126_683:
	s_and_not1_saveexec_b32 s27, s27
	s_cbranch_execz .LBB126_668
.LBB126_684:
	v_cmp_ne_u16_e32 vcc_lo, 0, v6
	s_and_not1_b32 s30, s30, exec_lo
	s_and_b32 s31, vcc_lo, exec_lo
	s_delay_alu instid0(SALU_CYCLE_1)
	s_or_b32 s30, s30, s31
	s_or_b32 exec_lo, exec_lo, s27
	v_mov_b64_e32 v[2:3], 0
	s_and_saveexec_b32 s27, s30
	s_cbranch_execnz .LBB126_669
	s_branch .LBB126_670
.LBB126_685:
	s_mov_b32 s27, -1
                                        ; implicit-def: $vgpr2_vgpr3
	s_branch .LBB126_690
.LBB126_686:
	s_mov_b32 s27, -1
                                        ; implicit-def: $vgpr2_vgpr3
.LBB126_687:
	s_delay_alu instid0(SALU_CYCLE_1)
	s_and_b32 vcc_lo, exec_lo, s27
	s_cbranch_vccz .LBB126_689
; %bb.688:
	s_wait_loadcnt 0x0
	global_load_u8 v2, v[4:5], off
	s_wait_loadcnt 0x0
	v_lshlrev_b32_e32 v2, 24, v2
	s_delay_alu instid0(VALU_DEP_1) | instskip(NEXT) | instid1(VALU_DEP_1)
	v_and_b32_e32 v3, 0x7f000000, v2
	v_clz_i32_u32_e32 v6, v3
	v_cmp_ne_u32_e32 vcc_lo, 0, v3
	v_add_nc_u32_e32 v8, 0x1000000, v3
	s_delay_alu instid0(VALU_DEP_3) | instskip(NEXT) | instid1(VALU_DEP_1)
	v_min_u32_e32 v6, 32, v6
	v_sub_nc_u32_e64 v6, v6, 4 clamp
	s_delay_alu instid0(VALU_DEP_1) | instskip(NEXT) | instid1(VALU_DEP_1)
	v_dual_lshlrev_b32 v7, v6, v3 :: v_dual_lshlrev_b32 v6, 23, v6
	v_lshrrev_b32_e32 v7, 4, v7
	s_delay_alu instid0(VALU_DEP_1) | instskip(NEXT) | instid1(VALU_DEP_1)
	v_dual_sub_nc_u32 v6, v7, v6 :: v_dual_ashrrev_i32 v7, 8, v8
	v_add_nc_u32_e32 v6, 0x3c000000, v6
	s_delay_alu instid0(VALU_DEP_1) | instskip(NEXT) | instid1(VALU_DEP_1)
	v_and_or_b32 v6, 0x7f800000, v7, v6
	v_cndmask_b32_e32 v3, 0, v6, vcc_lo
	s_delay_alu instid0(VALU_DEP_1) | instskip(NEXT) | instid1(VALU_DEP_1)
	v_and_or_b32 v2, 0x80000000, v2, v3
	v_trunc_f32_e32 v2, v2
	s_delay_alu instid0(VALU_DEP_1) | instskip(NEXT) | instid1(VALU_DEP_1)
	v_mul_f32_e64 v3, 0x2f800000, |v2|
	v_floor_f32_e32 v3, v3
	s_delay_alu instid0(VALU_DEP_1) | instskip(SKIP_2) | instid1(VALU_DEP_3)
	v_fma_f32 v6, 0xcf800000, v3, |v2|
	v_ashrrev_i32_e32 v2, 31, v2
	v_cvt_u32_f32_e32 v7, v3
	v_cvt_u32_f32_e32 v6, v6
	s_delay_alu instid0(VALU_DEP_2) | instskip(NEXT) | instid1(VALU_DEP_2)
	v_dual_mov_b32 v3, v2 :: v_dual_bitop2_b32 v7, v7, v2 bitop3:0x14
	v_xor_b32_e32 v6, v6, v2
	s_delay_alu instid0(VALU_DEP_1)
	v_sub_nc_u64_e32 v[2:3], v[6:7], v[2:3]
.LBB126_689:
	s_mov_b32 s27, 0
.LBB126_690:
	s_delay_alu instid0(SALU_CYCLE_1)
	s_and_not1_b32 vcc_lo, exec_lo, s27
	s_cbranch_vccnz .LBB126_692
; %bb.691:
	s_wait_loadcnt 0x0
	global_load_u8 v2, v[4:5], off
	s_wait_loadcnt 0x0
	v_lshlrev_b32_e32 v3, 25, v2
	v_lshlrev_b16 v2, 8, v2
	s_delay_alu instid0(VALU_DEP_1) | instskip(SKIP_1) | instid1(VALU_DEP_2)
	v_and_or_b32 v7, 0x7f00, v2, 0.5
	v_bfe_i32 v2, v2, 0, 16
	v_add_f32_e32 v7, -0.5, v7
	v_lshrrev_b32_e32 v6, 4, v3
	v_cmp_gt_u32_e32 vcc_lo, 0x8000000, v3
	s_delay_alu instid0(VALU_DEP_2) | instskip(NEXT) | instid1(VALU_DEP_1)
	v_or_b32_e32 v6, 0x70000000, v6
	v_mul_f32_e32 v6, 0x7800000, v6
	s_delay_alu instid0(VALU_DEP_1) | instskip(NEXT) | instid1(VALU_DEP_1)
	v_cndmask_b32_e32 v3, v6, v7, vcc_lo
	v_and_or_b32 v2, 0x80000000, v2, v3
	s_delay_alu instid0(VALU_DEP_1) | instskip(NEXT) | instid1(VALU_DEP_1)
	v_trunc_f32_e32 v2, v2
	v_mul_f32_e64 v3, 0x2f800000, |v2|
	s_delay_alu instid0(VALU_DEP_1) | instskip(NEXT) | instid1(VALU_DEP_1)
	v_floor_f32_e32 v3, v3
	v_fma_f32 v6, 0xcf800000, v3, |v2|
	v_ashrrev_i32_e32 v2, 31, v2
	v_cvt_u32_f32_e32 v7, v3
	s_delay_alu instid0(VALU_DEP_3) | instskip(NEXT) | instid1(VALU_DEP_2)
	v_cvt_u32_f32_e32 v6, v6
	v_dual_mov_b32 v3, v2 :: v_dual_bitop2_b32 v7, v7, v2 bitop3:0x14
	s_delay_alu instid0(VALU_DEP_2) | instskip(NEXT) | instid1(VALU_DEP_1)
	v_xor_b32_e32 v6, v6, v2
	v_sub_nc_u64_e32 v[2:3], v[6:7], v[2:3]
.LBB126_692:
	s_mov_b32 s30, 0
	s_mov_b32 s27, -1
.LBB126_693:
	s_and_not1_b32 vcc_lo, exec_lo, s30
	s_cbranch_vccnz .LBB126_706
; %bb.694:
	s_cmp_gt_i32 s26, 14
	s_cbranch_scc0 .LBB126_697
; %bb.695:
	s_cmp_eq_u32 s26, 15
	s_cbranch_scc0 .LBB126_700
; %bb.696:
	s_wait_loadcnt 0x0
	global_load_u16 v2, v[4:5], off
	s_mov_b32 s27, -1
	s_mov_b32 s28, 0
	s_wait_loadcnt 0x0
	v_lshlrev_b32_e32 v2, 16, v2
	s_delay_alu instid0(VALU_DEP_1) | instskip(NEXT) | instid1(VALU_DEP_1)
	v_trunc_f32_e32 v2, v2
	v_mul_f32_e64 v3, 0x2f800000, |v2|
	s_delay_alu instid0(VALU_DEP_1) | instskip(NEXT) | instid1(VALU_DEP_1)
	v_floor_f32_e32 v3, v3
	v_fma_f32 v6, 0xcf800000, v3, |v2|
	v_ashrrev_i32_e32 v2, 31, v2
	v_cvt_u32_f32_e32 v7, v3
	s_delay_alu instid0(VALU_DEP_3) | instskip(NEXT) | instid1(VALU_DEP_2)
	v_cvt_u32_f32_e32 v6, v6
	v_dual_mov_b32 v3, v2 :: v_dual_bitop2_b32 v7, v7, v2 bitop3:0x14
	s_delay_alu instid0(VALU_DEP_2) | instskip(NEXT) | instid1(VALU_DEP_1)
	v_xor_b32_e32 v6, v6, v2
	v_sub_nc_u64_e32 v[2:3], v[6:7], v[2:3]
	s_branch .LBB126_701
.LBB126_697:
	s_mov_b32 s30, -1
                                        ; implicit-def: $vgpr2_vgpr3
	s_branch .LBB126_702
.LBB126_698:
	s_and_not1_saveexec_b32 s27, s27
	s_cbranch_execz .LBB126_679
.LBB126_699:
	v_cmp_ne_u16_e32 vcc_lo, 0, v6
	s_and_not1_b32 s30, s30, exec_lo
	s_and_b32 s31, vcc_lo, exec_lo
	s_delay_alu instid0(SALU_CYCLE_1)
	s_or_b32 s30, s30, s31
	s_or_b32 exec_lo, exec_lo, s27
	v_mov_b64_e32 v[2:3], 0
	s_and_saveexec_b32 s27, s30
	s_cbranch_execnz .LBB126_680
	s_branch .LBB126_681
.LBB126_700:
	s_mov_b32 s28, -1
                                        ; implicit-def: $vgpr2_vgpr3
.LBB126_701:
	s_mov_b32 s30, 0
.LBB126_702:
	s_delay_alu instid0(SALU_CYCLE_1)
	s_and_b32 vcc_lo, exec_lo, s30
	s_cbranch_vccz .LBB126_706
; %bb.703:
	s_cmp_eq_u32 s26, 11
	s_cbranch_scc0 .LBB126_705
; %bb.704:
	s_wait_loadcnt 0x0
	global_load_u8 v2, v[4:5], off
	s_mov_b32 s28, 0
	s_mov_b32 s27, -1
	v_mov_b32_e32 v3, s28
	s_wait_loadcnt 0x0
	v_cmp_ne_u16_e32 vcc_lo, 0, v2
	v_cndmask_b32_e64 v2, 0, 1, vcc_lo
	s_branch .LBB126_706
.LBB126_705:
	s_mov_b32 s28, -1
                                        ; implicit-def: $vgpr2_vgpr3
.LBB126_706:
	s_mov_b32 s26, 0
.LBB126_707:
	s_delay_alu instid0(SALU_CYCLE_1)
	s_and_b32 vcc_lo, exec_lo, s26
	s_cbranch_vccz .LBB126_756
; %bb.708:
	s_and_b32 s0, 0xffff, s0
	s_delay_alu instid0(SALU_CYCLE_1)
	s_cmp_lt_i32 s0, 5
	s_cbranch_scc1 .LBB126_713
; %bb.709:
	s_cmp_lt_i32 s0, 8
	s_cbranch_scc1 .LBB126_714
; %bb.710:
	;; [unrolled: 3-line block ×3, first 2 shown]
	s_cmp_gt_i32 s0, 9
	s_cbranch_scc0 .LBB126_716
; %bb.712:
	s_wait_loadcnt 0x0
	global_load_b64 v[2:3], v[4:5], off
	s_mov_b32 s26, 0
	s_wait_loadcnt 0x0
	v_trunc_f64_e32 v[2:3], v[2:3]
	s_delay_alu instid0(VALU_DEP_1) | instskip(NEXT) | instid1(VALU_DEP_1)
	v_ldexp_f64 v[6:7], v[2:3], 0xffffffe0
	v_floor_f64_e32 v[6:7], v[6:7]
	s_delay_alu instid0(VALU_DEP_1) | instskip(SKIP_1) | instid1(VALU_DEP_2)
	v_fmamk_f64 v[8:9], v[6:7], 0xc1f00000, v[2:3]
	v_cvt_i32_f64_e32 v3, v[6:7]
	v_cvt_u32_f64_e32 v2, v[8:9]
	s_branch .LBB126_717
.LBB126_713:
	s_mov_b32 s26, -1
                                        ; implicit-def: $vgpr2_vgpr3
	s_branch .LBB126_735
.LBB126_714:
	s_mov_b32 s26, -1
                                        ; implicit-def: $vgpr2_vgpr3
	s_branch .LBB126_723
.LBB126_715:
	s_mov_b32 s26, -1
                                        ; implicit-def: $vgpr2_vgpr3
	s_branch .LBB126_720
.LBB126_716:
	s_mov_b32 s26, -1
                                        ; implicit-def: $vgpr2_vgpr3
.LBB126_717:
	s_delay_alu instid0(SALU_CYCLE_1)
	s_and_not1_b32 vcc_lo, exec_lo, s26
	s_cbranch_vccnz .LBB126_719
; %bb.718:
	s_wait_loadcnt 0x0
	global_load_b32 v2, v[4:5], off
	s_wait_loadcnt 0x0
	v_trunc_f32_e32 v2, v2
	s_delay_alu instid0(VALU_DEP_1) | instskip(NEXT) | instid1(VALU_DEP_1)
	v_mul_f32_e64 v3, 0x2f800000, |v2|
	v_floor_f32_e32 v3, v3
	s_delay_alu instid0(VALU_DEP_1) | instskip(SKIP_2) | instid1(VALU_DEP_3)
	v_fma_f32 v6, 0xcf800000, v3, |v2|
	v_ashrrev_i32_e32 v2, 31, v2
	v_cvt_u32_f32_e32 v7, v3
	v_cvt_u32_f32_e32 v6, v6
	s_delay_alu instid0(VALU_DEP_2) | instskip(NEXT) | instid1(VALU_DEP_2)
	v_dual_mov_b32 v3, v2 :: v_dual_bitop2_b32 v7, v7, v2 bitop3:0x14
	v_xor_b32_e32 v6, v6, v2
	s_delay_alu instid0(VALU_DEP_1)
	v_sub_nc_u64_e32 v[2:3], v[6:7], v[2:3]
.LBB126_719:
	s_mov_b32 s26, 0
.LBB126_720:
	s_delay_alu instid0(SALU_CYCLE_1)
	s_and_not1_b32 vcc_lo, exec_lo, s26
	s_cbranch_vccnz .LBB126_722
; %bb.721:
	s_wait_loadcnt 0x0
	global_load_b32 v2, v[4:5], off
	s_wait_loadcnt 0x0
	v_cvt_f32_f16_e32 v2, v2
	s_delay_alu instid0(VALU_DEP_1) | instskip(NEXT) | instid1(VALU_DEP_1)
	v_cvt_i32_f32_e32 v2, v2
	v_ashrrev_i32_e32 v3, 31, v2
.LBB126_722:
	s_mov_b32 s26, 0
.LBB126_723:
	s_delay_alu instid0(SALU_CYCLE_1)
	s_and_not1_b32 vcc_lo, exec_lo, s26
	s_cbranch_vccnz .LBB126_734
; %bb.724:
	s_cmp_lt_i32 s0, 6
	s_cbranch_scc1 .LBB126_727
; %bb.725:
	s_cmp_gt_i32 s0, 6
	s_cbranch_scc0 .LBB126_728
; %bb.726:
	s_wait_loadcnt 0x0
	global_load_b64 v[2:3], v[4:5], off
	s_mov_b32 s26, 0
	s_wait_loadcnt 0x0
	v_trunc_f64_e32 v[2:3], v[2:3]
	s_delay_alu instid0(VALU_DEP_1) | instskip(NEXT) | instid1(VALU_DEP_1)
	v_ldexp_f64 v[6:7], v[2:3], 0xffffffe0
	v_floor_f64_e32 v[6:7], v[6:7]
	s_delay_alu instid0(VALU_DEP_1) | instskip(SKIP_1) | instid1(VALU_DEP_2)
	v_fmamk_f64 v[8:9], v[6:7], 0xc1f00000, v[2:3]
	v_cvt_i32_f64_e32 v3, v[6:7]
	v_cvt_u32_f64_e32 v2, v[8:9]
	s_branch .LBB126_729
.LBB126_727:
	s_mov_b32 s26, -1
                                        ; implicit-def: $vgpr2_vgpr3
	s_branch .LBB126_732
.LBB126_728:
	s_mov_b32 s26, -1
                                        ; implicit-def: $vgpr2_vgpr3
.LBB126_729:
	s_delay_alu instid0(SALU_CYCLE_1)
	s_and_not1_b32 vcc_lo, exec_lo, s26
	s_cbranch_vccnz .LBB126_731
; %bb.730:
	s_wait_loadcnt 0x0
	global_load_b32 v2, v[4:5], off
	s_wait_loadcnt 0x0
	v_trunc_f32_e32 v2, v2
	s_delay_alu instid0(VALU_DEP_1) | instskip(NEXT) | instid1(VALU_DEP_1)
	v_mul_f32_e64 v3, 0x2f800000, |v2|
	v_floor_f32_e32 v3, v3
	s_delay_alu instid0(VALU_DEP_1) | instskip(SKIP_2) | instid1(VALU_DEP_3)
	v_fma_f32 v6, 0xcf800000, v3, |v2|
	v_ashrrev_i32_e32 v2, 31, v2
	v_cvt_u32_f32_e32 v7, v3
	v_cvt_u32_f32_e32 v6, v6
	s_delay_alu instid0(VALU_DEP_2) | instskip(NEXT) | instid1(VALU_DEP_2)
	v_dual_mov_b32 v3, v2 :: v_dual_bitop2_b32 v7, v7, v2 bitop3:0x14
	v_xor_b32_e32 v6, v6, v2
	s_delay_alu instid0(VALU_DEP_1)
	v_sub_nc_u64_e32 v[2:3], v[6:7], v[2:3]
.LBB126_731:
	s_mov_b32 s26, 0
.LBB126_732:
	s_delay_alu instid0(SALU_CYCLE_1)
	s_and_not1_b32 vcc_lo, exec_lo, s26
	s_cbranch_vccnz .LBB126_734
; %bb.733:
	s_wait_loadcnt 0x0
	global_load_u16 v2, v[4:5], off
	s_wait_loadcnt 0x0
	v_cvt_f32_f16_e32 v2, v2
	s_delay_alu instid0(VALU_DEP_1) | instskip(NEXT) | instid1(VALU_DEP_1)
	v_cvt_i32_f32_e32 v2, v2
	v_ashrrev_i32_e32 v3, 31, v2
.LBB126_734:
	s_mov_b32 s26, 0
.LBB126_735:
	s_delay_alu instid0(SALU_CYCLE_1)
	s_and_not1_b32 vcc_lo, exec_lo, s26
	s_cbranch_vccnz .LBB126_755
; %bb.736:
	s_cmp_lt_i32 s0, 2
	s_cbranch_scc1 .LBB126_740
; %bb.737:
	s_cmp_lt_i32 s0, 3
	s_cbranch_scc1 .LBB126_741
; %bb.738:
	s_cmp_gt_i32 s0, 3
	s_cbranch_scc0 .LBB126_742
; %bb.739:
	s_wait_loadcnt 0x0
	global_load_b64 v[2:3], v[4:5], off
	s_mov_b32 s26, 0
	s_branch .LBB126_743
.LBB126_740:
	s_mov_b32 s26, -1
                                        ; implicit-def: $vgpr2_vgpr3
	s_branch .LBB126_749
.LBB126_741:
	s_mov_b32 s26, -1
                                        ; implicit-def: $vgpr2_vgpr3
	s_branch .LBB126_746
.LBB126_742:
	s_mov_b32 s26, -1
                                        ; implicit-def: $vgpr2_vgpr3
.LBB126_743:
	s_delay_alu instid0(SALU_CYCLE_1)
	s_and_not1_b32 vcc_lo, exec_lo, s26
	s_cbranch_vccnz .LBB126_745
; %bb.744:
	s_wait_loadcnt 0x0
	global_load_b32 v2, v[4:5], off
	s_wait_loadcnt 0x0
	v_ashrrev_i32_e32 v3, 31, v2
.LBB126_745:
	s_mov_b32 s26, 0
.LBB126_746:
	s_delay_alu instid0(SALU_CYCLE_1)
	s_and_not1_b32 vcc_lo, exec_lo, s26
	s_cbranch_vccnz .LBB126_748
; %bb.747:
	s_wait_loadcnt 0x0
	global_load_u16 v2, v[4:5], off
	s_wait_loadcnt 0x0
	v_bfe_i32 v2, v2, 0, 16
	s_delay_alu instid0(VALU_DEP_1)
	v_ashrrev_i32_e32 v3, 31, v2
.LBB126_748:
	s_mov_b32 s26, 0
.LBB126_749:
	s_delay_alu instid0(SALU_CYCLE_1)
	s_and_not1_b32 vcc_lo, exec_lo, s26
	s_cbranch_vccnz .LBB126_755
; %bb.750:
	s_cmp_gt_i32 s0, 0
	s_mov_b32 s0, 0
	s_cbranch_scc0 .LBB126_752
; %bb.751:
	s_wait_loadcnt 0x0
	global_load_i8 v2, v[4:5], off
	s_wait_loadcnt 0x0
	v_bfe_i32 v2, v2, 0, 16
	s_delay_alu instid0(VALU_DEP_1)
	v_ashrrev_i32_e32 v3, 31, v2
	s_branch .LBB126_753
.LBB126_752:
	s_mov_b32 s0, -1
                                        ; implicit-def: $vgpr2_vgpr3
.LBB126_753:
	s_delay_alu instid0(SALU_CYCLE_1)
	s_and_not1_b32 vcc_lo, exec_lo, s0
	s_cbranch_vccnz .LBB126_755
; %bb.754:
	s_wait_loadcnt 0x0
	global_load_u8 v2, v[4:5], off
	s_mov_b32 s0, 0
	s_delay_alu instid0(SALU_CYCLE_1)
	v_mov_b32_e32 v3, s0
	s_wait_loadcnt 0x0
	v_and_b32_e32 v2, 0xffff, v2
.LBB126_755:
	s_mov_b32 s27, -1
.LBB126_756:
	s_delay_alu instid0(SALU_CYCLE_1)
	s_and_not1_b32 vcc_lo, exec_lo, s27
	s_cbranch_vccnz .LBB126_764
; %bb.757:
	s_wait_xcnt 0x0
	v_mul_lo_u32 v4, v26, s15
	s_and_b32 s0, 0xffff, s1
	s_delay_alu instid0(SALU_CYCLE_1) | instskip(NEXT) | instid1(VALU_DEP_1)
	s_cmp_lt_i32 s0, 11
	v_ashrrev_i32_e32 v5, 31, v4
	s_delay_alu instid0(VALU_DEP_1)
	v_add_nc_u64_e32 v[4:5], s[10:11], v[4:5]
	s_cbranch_scc1 .LBB126_765
; %bb.758:
	s_cmp_gt_i32 s0, 25
	s_cbranch_scc0 .LBB126_766
; %bb.759:
	s_cmp_gt_i32 s0, 28
	s_cbranch_scc0 .LBB126_767
	;; [unrolled: 3-line block ×4, first 2 shown]
; %bb.762:
	s_cmp_eq_u32 s0, 46
	s_mov_b32 s30, 0
	s_cbranch_scc0 .LBB126_772
; %bb.763:
	global_load_b32 v6, v[4:5], off
	s_mov_b32 s27, -1
	s_mov_b32 s26, 0
	s_wait_loadcnt 0x0
	v_lshlrev_b32_e32 v6, 16, v6
	s_delay_alu instid0(VALU_DEP_1) | instskip(NEXT) | instid1(VALU_DEP_1)
	v_trunc_f32_e32 v6, v6
	v_mul_f32_e64 v7, 0x2f800000, |v6|
	s_delay_alu instid0(VALU_DEP_1) | instskip(NEXT) | instid1(VALU_DEP_1)
	v_floor_f32_e32 v7, v7
	v_fma_f32 v8, 0xcf800000, v7, |v6|
	v_ashrrev_i32_e32 v6, 31, v6
	v_cvt_u32_f32_e32 v9, v7
	s_delay_alu instid0(VALU_DEP_3) | instskip(NEXT) | instid1(VALU_DEP_2)
	v_cvt_u32_f32_e32 v8, v8
	v_dual_mov_b32 v7, v6 :: v_dual_bitop2_b32 v9, v9, v6 bitop3:0x14
	s_delay_alu instid0(VALU_DEP_2) | instskip(NEXT) | instid1(VALU_DEP_1)
	v_xor_b32_e32 v8, v8, v6
	v_sub_nc_u64_e32 v[6:7], v[8:9], v[6:7]
	s_branch .LBB126_774
.LBB126_764:
	s_mov_b32 s30, 0
	s_mov_b32 s0, s19
	;; [unrolled: 1-line block ×3, first 2 shown]
	s_branch .LBB126_1009
.LBB126_765:
	s_mov_b32 s30, -1
	s_mov_b32 s27, 0
	s_mov_b32 s26, s21
                                        ; implicit-def: $vgpr6_vgpr7
	s_branch .LBB126_835
.LBB126_766:
	s_mov_b32 s30, -1
	s_mov_b32 s27, 0
	s_mov_b32 s26, s21
                                        ; implicit-def: $vgpr6_vgpr7
	s_branch .LBB126_801
.LBB126_767:
	s_mov_b32 s30, -1
	s_mov_b32 s27, 0
	s_mov_b32 s26, s21
                                        ; implicit-def: $vgpr6_vgpr7
	s_branch .LBB126_784
.LBB126_768:
	s_mov_b32 s30, -1
	s_mov_b32 s27, 0
	s_mov_b32 s26, s21
                                        ; implicit-def: $vgpr6_vgpr7
	s_branch .LBB126_779
.LBB126_769:
	s_mov_b32 s30, -1
	s_mov_b32 s27, 0
	s_mov_b32 s26, s21
	s_branch .LBB126_773
.LBB126_770:
	s_and_not1_saveexec_b32 s29, s29
	s_cbranch_execz .LBB126_422
.LBB126_771:
	v_add_f32_e64 v5, 0x42800000, |v4|
	s_and_not1_b32 s28, s28, exec_lo
	s_delay_alu instid0(VALU_DEP_1) | instskip(NEXT) | instid1(VALU_DEP_1)
	v_and_b32_e32 v5, 0xff, v5
	v_cmp_ne_u32_e32 vcc_lo, 0, v5
	s_and_b32 s30, vcc_lo, exec_lo
	s_delay_alu instid0(SALU_CYCLE_1)
	s_or_b32 s28, s28, s30
	s_or_b32 exec_lo, exec_lo, s29
	v_mov_b32_e32 v6, 0
	s_and_saveexec_b32 s29, s28
	s_cbranch_execnz .LBB126_423
	s_branch .LBB126_424
.LBB126_772:
	s_mov_b32 s26, -1
	s_mov_b32 s27, 0
.LBB126_773:
                                        ; implicit-def: $vgpr6_vgpr7
.LBB126_774:
	s_and_b32 vcc_lo, exec_lo, s30
	s_cbranch_vccz .LBB126_778
; %bb.775:
	s_cmp_eq_u32 s0, 44
	s_cbranch_scc0 .LBB126_777
; %bb.776:
	global_load_u8 v10, v[4:5], off
	s_mov_b32 s26, 0
	s_mov_b32 s27, -1
	s_wait_loadcnt 0x0
	v_cmp_ne_u32_e32 vcc_lo, 0, v10
	v_lshlrev_b32_e32 v6, 23, v10
	s_delay_alu instid0(VALU_DEP_1) | instskip(NEXT) | instid1(VALU_DEP_1)
	v_trunc_f32_e32 v6, v6
	v_mul_f32_e64 v7, 0x2f800000, |v6|
	s_delay_alu instid0(VALU_DEP_1) | instskip(NEXT) | instid1(VALU_DEP_1)
	v_floor_f32_e32 v7, v7
	v_fma_f32 v8, 0xcf800000, v7, |v6|
	v_ashrrev_i32_e32 v6, 31, v6
	v_cvt_u32_f32_e32 v9, v7
	s_delay_alu instid0(VALU_DEP_3) | instskip(NEXT) | instid1(VALU_DEP_2)
	v_cvt_u32_f32_e32 v8, v8
	v_dual_mov_b32 v7, v6 :: v_dual_bitop2_b32 v9, v9, v6 bitop3:0x14
	s_delay_alu instid0(VALU_DEP_2) | instskip(NEXT) | instid1(VALU_DEP_1)
	v_xor_b32_e32 v8, v8, v6
	v_sub_nc_u64_e32 v[6:7], v[8:9], v[6:7]
	s_delay_alu instid0(VALU_DEP_1)
	v_dual_cndmask_b32 v7, 0, v7 :: v_dual_cndmask_b32 v6, 0, v6
	s_branch .LBB126_778
.LBB126_777:
	s_mov_b32 s26, -1
                                        ; implicit-def: $vgpr6_vgpr7
.LBB126_778:
	s_mov_b32 s30, 0
.LBB126_779:
	s_delay_alu instid0(SALU_CYCLE_1)
	s_and_b32 vcc_lo, exec_lo, s30
	s_cbranch_vccz .LBB126_783
; %bb.780:
	s_cmp_eq_u32 s0, 29
	s_cbranch_scc0 .LBB126_782
; %bb.781:
	global_load_b64 v[6:7], v[4:5], off
	s_mov_b32 s27, -1
	s_mov_b32 s26, 0
	s_branch .LBB126_783
.LBB126_782:
	s_mov_b32 s26, -1
                                        ; implicit-def: $vgpr6_vgpr7
.LBB126_783:
	s_mov_b32 s30, 0
.LBB126_784:
	s_delay_alu instid0(SALU_CYCLE_1)
	s_and_b32 vcc_lo, exec_lo, s30
	s_cbranch_vccz .LBB126_800
; %bb.785:
	s_cmp_lt_i32 s0, 27
	s_cbranch_scc1 .LBB126_788
; %bb.786:
	s_cmp_gt_i32 s0, 27
	s_cbranch_scc0 .LBB126_789
; %bb.787:
	s_wait_loadcnt 0x0
	global_load_b32 v6, v[4:5], off
	v_mov_b32_e32 v7, 0
	s_mov_b32 s27, 0
	s_branch .LBB126_790
.LBB126_788:
	s_mov_b32 s27, -1
                                        ; implicit-def: $vgpr6_vgpr7
	s_branch .LBB126_793
.LBB126_789:
	s_mov_b32 s27, -1
                                        ; implicit-def: $vgpr6_vgpr7
.LBB126_790:
	s_delay_alu instid0(SALU_CYCLE_1)
	s_and_not1_b32 vcc_lo, exec_lo, s27
	s_cbranch_vccnz .LBB126_792
; %bb.791:
	s_wait_loadcnt 0x0
	global_load_u16 v6, v[4:5], off
	s_mov_b32 s27, 0
	s_delay_alu instid0(SALU_CYCLE_1)
	v_mov_b32_e32 v7, s27
	s_wait_loadcnt 0x0
	v_and_b32_e32 v6, 0xffff, v6
.LBB126_792:
	s_mov_b32 s27, 0
.LBB126_793:
	s_delay_alu instid0(SALU_CYCLE_1)
	s_and_not1_b32 vcc_lo, exec_lo, s27
	s_cbranch_vccnz .LBB126_799
; %bb.794:
	global_load_u8 v8, v[4:5], off
	s_mov_b32 s30, 0
	s_mov_b32 s27, exec_lo
	s_wait_loadcnt 0x0
	v_cmpx_lt_i16_e32 0x7f, v8
	s_xor_b32 s27, exec_lo, s27
	s_cbranch_execz .LBB126_811
; %bb.795:
	v_cmp_ne_u16_e32 vcc_lo, 0x80, v8
	s_and_b32 s30, vcc_lo, exec_lo
	s_and_not1_saveexec_b32 s27, s27
	s_cbranch_execnz .LBB126_812
.LBB126_796:
	s_or_b32 exec_lo, exec_lo, s27
	v_mov_b64_e32 v[6:7], 0
	s_and_saveexec_b32 s27, s30
	s_cbranch_execz .LBB126_798
.LBB126_797:
	v_and_b32_e32 v6, 0xffff, v8
	s_delay_alu instid0(VALU_DEP_1) | instskip(SKIP_1) | instid1(VALU_DEP_2)
	v_and_b32_e32 v7, 7, v6
	v_bfe_u32 v11, v6, 3, 4
	v_clz_i32_u32_e32 v9, v7
	s_delay_alu instid0(VALU_DEP_2) | instskip(NEXT) | instid1(VALU_DEP_2)
	v_cmp_eq_u32_e32 vcc_lo, 0, v11
	v_min_u32_e32 v9, 32, v9
	s_delay_alu instid0(VALU_DEP_1) | instskip(NEXT) | instid1(VALU_DEP_1)
	v_subrev_nc_u32_e32 v10, 28, v9
	v_dual_lshlrev_b32 v6, v10, v6 :: v_dual_sub_nc_u32 v9, 29, v9
	s_delay_alu instid0(VALU_DEP_1) | instskip(NEXT) | instid1(VALU_DEP_2)
	v_dual_lshlrev_b32 v8, 24, v8 :: v_dual_bitop2_b32 v6, 7, v6 bitop3:0x40
	v_cndmask_b32_e32 v9, v11, v9, vcc_lo
	s_delay_alu instid0(VALU_DEP_2) | instskip(NEXT) | instid1(VALU_DEP_3)
	v_cndmask_b32_e32 v6, v7, v6, vcc_lo
	v_and_b32_e32 v7, 0x80000000, v8
	s_delay_alu instid0(VALU_DEP_3) | instskip(NEXT) | instid1(VALU_DEP_3)
	v_lshl_add_u32 v8, v9, 23, 0x3b800000
	v_lshlrev_b32_e32 v6, 20, v6
	s_delay_alu instid0(VALU_DEP_1) | instskip(NEXT) | instid1(VALU_DEP_1)
	v_or3_b32 v6, v7, v8, v6
	v_trunc_f32_e32 v6, v6
	s_delay_alu instid0(VALU_DEP_1) | instskip(NEXT) | instid1(VALU_DEP_1)
	v_mul_f32_e64 v7, 0x2f800000, |v6|
	v_floor_f32_e32 v7, v7
	s_delay_alu instid0(VALU_DEP_1) | instskip(SKIP_2) | instid1(VALU_DEP_3)
	v_fma_f32 v8, 0xcf800000, v7, |v6|
	v_ashrrev_i32_e32 v6, 31, v6
	v_cvt_u32_f32_e32 v9, v7
	v_cvt_u32_f32_e32 v8, v8
	s_delay_alu instid0(VALU_DEP_2) | instskip(NEXT) | instid1(VALU_DEP_2)
	v_dual_mov_b32 v7, v6 :: v_dual_bitop2_b32 v9, v9, v6 bitop3:0x14
	v_xor_b32_e32 v8, v8, v6
	s_delay_alu instid0(VALU_DEP_1)
	v_sub_nc_u64_e32 v[6:7], v[8:9], v[6:7]
.LBB126_798:
	s_or_b32 exec_lo, exec_lo, s27
.LBB126_799:
	s_mov_b32 s27, -1
.LBB126_800:
	s_mov_b32 s30, 0
.LBB126_801:
	s_delay_alu instid0(SALU_CYCLE_1)
	s_and_b32 vcc_lo, exec_lo, s30
	s_cbranch_vccz .LBB126_834
; %bb.802:
	s_cmp_gt_i32 s0, 22
	s_cbranch_scc0 .LBB126_810
; %bb.803:
	s_cmp_lt_i32 s0, 24
	s_cbranch_scc1 .LBB126_813
; %bb.804:
	s_cmp_gt_i32 s0, 24
	s_cbranch_scc0 .LBB126_814
; %bb.805:
	global_load_u8 v8, v[4:5], off
	s_mov_b32 s30, 0
	s_mov_b32 s27, exec_lo
	s_wait_loadcnt 0x0
	v_cmpx_lt_i16_e32 0x7f, v8
	s_xor_b32 s27, exec_lo, s27
	s_cbranch_execz .LBB126_826
; %bb.806:
	v_cmp_ne_u16_e32 vcc_lo, 0x80, v8
	s_and_b32 s30, vcc_lo, exec_lo
	s_and_not1_saveexec_b32 s27, s27
	s_cbranch_execnz .LBB126_827
.LBB126_807:
	s_or_b32 exec_lo, exec_lo, s27
	v_mov_b64_e32 v[6:7], 0
	s_and_saveexec_b32 s27, s30
	s_cbranch_execz .LBB126_809
.LBB126_808:
	v_and_b32_e32 v6, 0xffff, v8
	s_delay_alu instid0(VALU_DEP_1) | instskip(SKIP_1) | instid1(VALU_DEP_2)
	v_and_b32_e32 v7, 3, v6
	v_bfe_u32 v11, v6, 2, 5
	v_clz_i32_u32_e32 v9, v7
	s_delay_alu instid0(VALU_DEP_2) | instskip(NEXT) | instid1(VALU_DEP_2)
	v_cmp_eq_u32_e32 vcc_lo, 0, v11
	v_min_u32_e32 v9, 32, v9
	s_delay_alu instid0(VALU_DEP_1) | instskip(NEXT) | instid1(VALU_DEP_1)
	v_subrev_nc_u32_e32 v10, 29, v9
	v_dual_lshlrev_b32 v6, v10, v6 :: v_dual_sub_nc_u32 v9, 30, v9
	s_delay_alu instid0(VALU_DEP_1) | instskip(NEXT) | instid1(VALU_DEP_2)
	v_dual_lshlrev_b32 v8, 24, v8 :: v_dual_bitop2_b32 v6, 3, v6 bitop3:0x40
	v_cndmask_b32_e32 v9, v11, v9, vcc_lo
	s_delay_alu instid0(VALU_DEP_2) | instskip(NEXT) | instid1(VALU_DEP_3)
	v_cndmask_b32_e32 v6, v7, v6, vcc_lo
	v_and_b32_e32 v7, 0x80000000, v8
	s_delay_alu instid0(VALU_DEP_3) | instskip(NEXT) | instid1(VALU_DEP_3)
	v_lshl_add_u32 v8, v9, 23, 0x37800000
	v_lshlrev_b32_e32 v6, 21, v6
	s_delay_alu instid0(VALU_DEP_1) | instskip(NEXT) | instid1(VALU_DEP_1)
	v_or3_b32 v6, v7, v8, v6
	v_trunc_f32_e32 v6, v6
	s_delay_alu instid0(VALU_DEP_1) | instskip(NEXT) | instid1(VALU_DEP_1)
	v_mul_f32_e64 v7, 0x2f800000, |v6|
	v_floor_f32_e32 v7, v7
	s_delay_alu instid0(VALU_DEP_1) | instskip(SKIP_2) | instid1(VALU_DEP_3)
	v_fma_f32 v8, 0xcf800000, v7, |v6|
	v_ashrrev_i32_e32 v6, 31, v6
	v_cvt_u32_f32_e32 v9, v7
	v_cvt_u32_f32_e32 v8, v8
	s_delay_alu instid0(VALU_DEP_2) | instskip(NEXT) | instid1(VALU_DEP_2)
	v_dual_mov_b32 v7, v6 :: v_dual_bitop2_b32 v9, v9, v6 bitop3:0x14
	v_xor_b32_e32 v8, v8, v6
	s_delay_alu instid0(VALU_DEP_1)
	v_sub_nc_u64_e32 v[6:7], v[8:9], v[6:7]
.LBB126_809:
	s_or_b32 exec_lo, exec_lo, s27
	s_mov_b32 s27, 0
	s_branch .LBB126_815
.LBB126_810:
	s_mov_b32 s30, -1
                                        ; implicit-def: $vgpr6_vgpr7
	s_branch .LBB126_821
.LBB126_811:
	s_and_not1_saveexec_b32 s27, s27
	s_cbranch_execz .LBB126_796
.LBB126_812:
	v_cmp_ne_u16_e32 vcc_lo, 0, v8
	s_and_not1_b32 s30, s30, exec_lo
	s_and_b32 s31, vcc_lo, exec_lo
	s_delay_alu instid0(SALU_CYCLE_1)
	s_or_b32 s30, s30, s31
	s_or_b32 exec_lo, exec_lo, s27
	v_mov_b64_e32 v[6:7], 0
	s_and_saveexec_b32 s27, s30
	s_cbranch_execnz .LBB126_797
	s_branch .LBB126_798
.LBB126_813:
	s_mov_b32 s27, -1
                                        ; implicit-def: $vgpr6_vgpr7
	s_branch .LBB126_818
.LBB126_814:
	s_mov_b32 s27, -1
                                        ; implicit-def: $vgpr6_vgpr7
.LBB126_815:
	s_delay_alu instid0(SALU_CYCLE_1)
	s_and_b32 vcc_lo, exec_lo, s27
	s_cbranch_vccz .LBB126_817
; %bb.816:
	s_wait_loadcnt 0x0
	global_load_u8 v6, v[4:5], off
	s_wait_loadcnt 0x0
	v_lshlrev_b32_e32 v6, 24, v6
	s_delay_alu instid0(VALU_DEP_1) | instskip(NEXT) | instid1(VALU_DEP_1)
	v_and_b32_e32 v7, 0x7f000000, v6
	v_clz_i32_u32_e32 v8, v7
	v_cmp_ne_u32_e32 vcc_lo, 0, v7
	v_add_nc_u32_e32 v10, 0x1000000, v7
	s_delay_alu instid0(VALU_DEP_3) | instskip(NEXT) | instid1(VALU_DEP_1)
	v_min_u32_e32 v8, 32, v8
	v_sub_nc_u32_e64 v8, v8, 4 clamp
	s_delay_alu instid0(VALU_DEP_1) | instskip(NEXT) | instid1(VALU_DEP_1)
	v_dual_lshlrev_b32 v9, v8, v7 :: v_dual_lshlrev_b32 v8, 23, v8
	v_lshrrev_b32_e32 v9, 4, v9
	s_delay_alu instid0(VALU_DEP_1) | instskip(NEXT) | instid1(VALU_DEP_1)
	v_dual_sub_nc_u32 v8, v9, v8 :: v_dual_ashrrev_i32 v9, 8, v10
	v_add_nc_u32_e32 v8, 0x3c000000, v8
	s_delay_alu instid0(VALU_DEP_1) | instskip(NEXT) | instid1(VALU_DEP_1)
	v_and_or_b32 v8, 0x7f800000, v9, v8
	v_cndmask_b32_e32 v7, 0, v8, vcc_lo
	s_delay_alu instid0(VALU_DEP_1) | instskip(NEXT) | instid1(VALU_DEP_1)
	v_and_or_b32 v6, 0x80000000, v6, v7
	v_trunc_f32_e32 v6, v6
	s_delay_alu instid0(VALU_DEP_1) | instskip(NEXT) | instid1(VALU_DEP_1)
	v_mul_f32_e64 v7, 0x2f800000, |v6|
	v_floor_f32_e32 v7, v7
	s_delay_alu instid0(VALU_DEP_1) | instskip(SKIP_2) | instid1(VALU_DEP_3)
	v_fma_f32 v8, 0xcf800000, v7, |v6|
	v_ashrrev_i32_e32 v6, 31, v6
	v_cvt_u32_f32_e32 v9, v7
	v_cvt_u32_f32_e32 v8, v8
	s_delay_alu instid0(VALU_DEP_2) | instskip(NEXT) | instid1(VALU_DEP_2)
	v_dual_mov_b32 v7, v6 :: v_dual_bitop2_b32 v9, v9, v6 bitop3:0x14
	v_xor_b32_e32 v8, v8, v6
	s_delay_alu instid0(VALU_DEP_1)
	v_sub_nc_u64_e32 v[6:7], v[8:9], v[6:7]
.LBB126_817:
	s_mov_b32 s27, 0
.LBB126_818:
	s_delay_alu instid0(SALU_CYCLE_1)
	s_and_not1_b32 vcc_lo, exec_lo, s27
	s_cbranch_vccnz .LBB126_820
; %bb.819:
	s_wait_loadcnt 0x0
	global_load_u8 v6, v[4:5], off
	s_wait_loadcnt 0x0
	v_lshlrev_b32_e32 v7, 25, v6
	v_lshlrev_b16 v6, 8, v6
	s_delay_alu instid0(VALU_DEP_1) | instskip(SKIP_1) | instid1(VALU_DEP_2)
	v_and_or_b32 v9, 0x7f00, v6, 0.5
	v_bfe_i32 v6, v6, 0, 16
	v_dual_add_f32 v9, -0.5, v9 :: v_dual_lshrrev_b32 v8, 4, v7
	v_cmp_gt_u32_e32 vcc_lo, 0x8000000, v7
	s_delay_alu instid0(VALU_DEP_2) | instskip(NEXT) | instid1(VALU_DEP_1)
	v_or_b32_e32 v8, 0x70000000, v8
	v_mul_f32_e32 v8, 0x7800000, v8
	s_delay_alu instid0(VALU_DEP_1) | instskip(NEXT) | instid1(VALU_DEP_1)
	v_cndmask_b32_e32 v7, v8, v9, vcc_lo
	v_and_or_b32 v6, 0x80000000, v6, v7
	s_delay_alu instid0(VALU_DEP_1) | instskip(NEXT) | instid1(VALU_DEP_1)
	v_trunc_f32_e32 v6, v6
	v_mul_f32_e64 v7, 0x2f800000, |v6|
	s_delay_alu instid0(VALU_DEP_1) | instskip(NEXT) | instid1(VALU_DEP_1)
	v_floor_f32_e32 v7, v7
	v_fma_f32 v8, 0xcf800000, v7, |v6|
	v_ashrrev_i32_e32 v6, 31, v6
	v_cvt_u32_f32_e32 v9, v7
	s_delay_alu instid0(VALU_DEP_3) | instskip(NEXT) | instid1(VALU_DEP_2)
	v_cvt_u32_f32_e32 v8, v8
	v_dual_mov_b32 v7, v6 :: v_dual_bitop2_b32 v9, v9, v6 bitop3:0x14
	s_delay_alu instid0(VALU_DEP_2) | instskip(NEXT) | instid1(VALU_DEP_1)
	v_xor_b32_e32 v8, v8, v6
	v_sub_nc_u64_e32 v[6:7], v[8:9], v[6:7]
.LBB126_820:
	s_mov_b32 s30, 0
	s_mov_b32 s27, -1
.LBB126_821:
	s_and_not1_b32 vcc_lo, exec_lo, s30
	s_cbranch_vccnz .LBB126_834
; %bb.822:
	s_cmp_gt_i32 s0, 14
	s_cbranch_scc0 .LBB126_825
; %bb.823:
	s_cmp_eq_u32 s0, 15
	s_cbranch_scc0 .LBB126_828
; %bb.824:
	s_wait_loadcnt 0x0
	global_load_u16 v6, v[4:5], off
	s_mov_b32 s27, -1
	s_mov_b32 s26, 0
	s_wait_loadcnt 0x0
	v_lshlrev_b32_e32 v6, 16, v6
	s_delay_alu instid0(VALU_DEP_1) | instskip(NEXT) | instid1(VALU_DEP_1)
	v_trunc_f32_e32 v6, v6
	v_mul_f32_e64 v7, 0x2f800000, |v6|
	s_delay_alu instid0(VALU_DEP_1) | instskip(NEXT) | instid1(VALU_DEP_1)
	v_floor_f32_e32 v7, v7
	v_fma_f32 v8, 0xcf800000, v7, |v6|
	v_ashrrev_i32_e32 v6, 31, v6
	v_cvt_u32_f32_e32 v9, v7
	s_delay_alu instid0(VALU_DEP_3) | instskip(NEXT) | instid1(VALU_DEP_2)
	v_cvt_u32_f32_e32 v8, v8
	v_dual_mov_b32 v7, v6 :: v_dual_bitop2_b32 v9, v9, v6 bitop3:0x14
	s_delay_alu instid0(VALU_DEP_2) | instskip(NEXT) | instid1(VALU_DEP_1)
	v_xor_b32_e32 v8, v8, v6
	v_sub_nc_u64_e32 v[6:7], v[8:9], v[6:7]
	s_branch .LBB126_829
.LBB126_825:
	s_mov_b32 s30, -1
                                        ; implicit-def: $vgpr6_vgpr7
	s_branch .LBB126_830
.LBB126_826:
	s_and_not1_saveexec_b32 s27, s27
	s_cbranch_execz .LBB126_807
.LBB126_827:
	v_cmp_ne_u16_e32 vcc_lo, 0, v8
	s_and_not1_b32 s30, s30, exec_lo
	s_and_b32 s31, vcc_lo, exec_lo
	s_delay_alu instid0(SALU_CYCLE_1)
	s_or_b32 s30, s30, s31
	s_or_b32 exec_lo, exec_lo, s27
	v_mov_b64_e32 v[6:7], 0
	s_and_saveexec_b32 s27, s30
	s_cbranch_execnz .LBB126_808
	s_branch .LBB126_809
.LBB126_828:
	s_mov_b32 s26, -1
                                        ; implicit-def: $vgpr6_vgpr7
.LBB126_829:
	s_mov_b32 s30, 0
.LBB126_830:
	s_delay_alu instid0(SALU_CYCLE_1)
	s_and_b32 vcc_lo, exec_lo, s30
	s_cbranch_vccz .LBB126_834
; %bb.831:
	s_cmp_eq_u32 s0, 11
	s_cbranch_scc0 .LBB126_833
; %bb.832:
	s_wait_loadcnt 0x0
	global_load_u8 v6, v[4:5], off
	s_mov_b32 s26, 0
	s_mov_b32 s27, -1
	v_mov_b32_e32 v7, s26
	s_wait_loadcnt 0x0
	v_cmp_ne_u16_e32 vcc_lo, 0, v6
	v_cndmask_b32_e64 v6, 0, 1, vcc_lo
	s_branch .LBB126_834
.LBB126_833:
	s_mov_b32 s26, -1
                                        ; implicit-def: $vgpr6_vgpr7
.LBB126_834:
	s_mov_b32 s30, 0
.LBB126_835:
	s_delay_alu instid0(SALU_CYCLE_1)
	s_and_b32 vcc_lo, exec_lo, s30
	s_cbranch_vccz .LBB126_884
; %bb.836:
	s_cmp_lt_i32 s0, 5
	s_cbranch_scc1 .LBB126_841
; %bb.837:
	s_cmp_lt_i32 s0, 8
	s_cbranch_scc1 .LBB126_842
	;; [unrolled: 3-line block ×3, first 2 shown]
; %bb.839:
	s_cmp_gt_i32 s0, 9
	s_cbranch_scc0 .LBB126_844
; %bb.840:
	s_wait_loadcnt 0x0
	global_load_b64 v[6:7], v[4:5], off
	s_mov_b32 s27, 0
	s_wait_loadcnt 0x0
	v_trunc_f64_e32 v[6:7], v[6:7]
	s_delay_alu instid0(VALU_DEP_1) | instskip(NEXT) | instid1(VALU_DEP_1)
	v_ldexp_f64 v[8:9], v[6:7], 0xffffffe0
	v_floor_f64_e32 v[8:9], v[8:9]
	s_delay_alu instid0(VALU_DEP_1) | instskip(SKIP_1) | instid1(VALU_DEP_2)
	v_fmamk_f64 v[10:11], v[8:9], 0xc1f00000, v[6:7]
	v_cvt_i32_f64_e32 v7, v[8:9]
	v_cvt_u32_f64_e32 v6, v[10:11]
	s_branch .LBB126_845
.LBB126_841:
	s_mov_b32 s27, -1
                                        ; implicit-def: $vgpr6_vgpr7
	s_branch .LBB126_863
.LBB126_842:
	s_mov_b32 s27, -1
                                        ; implicit-def: $vgpr6_vgpr7
	s_branch .LBB126_851
.LBB126_843:
	s_mov_b32 s27, -1
                                        ; implicit-def: $vgpr6_vgpr7
	s_branch .LBB126_848
.LBB126_844:
	s_mov_b32 s27, -1
                                        ; implicit-def: $vgpr6_vgpr7
.LBB126_845:
	s_delay_alu instid0(SALU_CYCLE_1)
	s_and_not1_b32 vcc_lo, exec_lo, s27
	s_cbranch_vccnz .LBB126_847
; %bb.846:
	s_wait_loadcnt 0x0
	global_load_b32 v6, v[4:5], off
	s_wait_loadcnt 0x0
	v_trunc_f32_e32 v6, v6
	s_delay_alu instid0(VALU_DEP_1) | instskip(NEXT) | instid1(VALU_DEP_1)
	v_mul_f32_e64 v7, 0x2f800000, |v6|
	v_floor_f32_e32 v7, v7
	s_delay_alu instid0(VALU_DEP_1) | instskip(SKIP_2) | instid1(VALU_DEP_3)
	v_fma_f32 v8, 0xcf800000, v7, |v6|
	v_ashrrev_i32_e32 v6, 31, v6
	v_cvt_u32_f32_e32 v9, v7
	v_cvt_u32_f32_e32 v8, v8
	s_delay_alu instid0(VALU_DEP_2) | instskip(NEXT) | instid1(VALU_DEP_2)
	v_dual_mov_b32 v7, v6 :: v_dual_bitop2_b32 v9, v9, v6 bitop3:0x14
	v_xor_b32_e32 v8, v8, v6
	s_delay_alu instid0(VALU_DEP_1)
	v_sub_nc_u64_e32 v[6:7], v[8:9], v[6:7]
.LBB126_847:
	s_mov_b32 s27, 0
.LBB126_848:
	s_delay_alu instid0(SALU_CYCLE_1)
	s_and_not1_b32 vcc_lo, exec_lo, s27
	s_cbranch_vccnz .LBB126_850
; %bb.849:
	s_wait_loadcnt 0x0
	global_load_b32 v6, v[4:5], off
	s_wait_loadcnt 0x0
	v_cvt_f32_f16_e32 v6, v6
	s_delay_alu instid0(VALU_DEP_1) | instskip(NEXT) | instid1(VALU_DEP_1)
	v_cvt_i32_f32_e32 v6, v6
	v_ashrrev_i32_e32 v7, 31, v6
.LBB126_850:
	s_mov_b32 s27, 0
.LBB126_851:
	s_delay_alu instid0(SALU_CYCLE_1)
	s_and_not1_b32 vcc_lo, exec_lo, s27
	s_cbranch_vccnz .LBB126_862
; %bb.852:
	s_cmp_lt_i32 s0, 6
	s_cbranch_scc1 .LBB126_855
; %bb.853:
	s_cmp_gt_i32 s0, 6
	s_cbranch_scc0 .LBB126_856
; %bb.854:
	s_wait_loadcnt 0x0
	global_load_b64 v[6:7], v[4:5], off
	s_mov_b32 s27, 0
	s_wait_loadcnt 0x0
	v_trunc_f64_e32 v[6:7], v[6:7]
	s_delay_alu instid0(VALU_DEP_1) | instskip(NEXT) | instid1(VALU_DEP_1)
	v_ldexp_f64 v[8:9], v[6:7], 0xffffffe0
	v_floor_f64_e32 v[8:9], v[8:9]
	s_delay_alu instid0(VALU_DEP_1) | instskip(SKIP_1) | instid1(VALU_DEP_2)
	v_fmamk_f64 v[10:11], v[8:9], 0xc1f00000, v[6:7]
	v_cvt_i32_f64_e32 v7, v[8:9]
	v_cvt_u32_f64_e32 v6, v[10:11]
	s_branch .LBB126_857
.LBB126_855:
	s_mov_b32 s27, -1
                                        ; implicit-def: $vgpr6_vgpr7
	s_branch .LBB126_860
.LBB126_856:
	s_mov_b32 s27, -1
                                        ; implicit-def: $vgpr6_vgpr7
.LBB126_857:
	s_delay_alu instid0(SALU_CYCLE_1)
	s_and_not1_b32 vcc_lo, exec_lo, s27
	s_cbranch_vccnz .LBB126_859
; %bb.858:
	s_wait_loadcnt 0x0
	global_load_b32 v6, v[4:5], off
	s_wait_loadcnt 0x0
	v_trunc_f32_e32 v6, v6
	s_delay_alu instid0(VALU_DEP_1) | instskip(NEXT) | instid1(VALU_DEP_1)
	v_mul_f32_e64 v7, 0x2f800000, |v6|
	v_floor_f32_e32 v7, v7
	s_delay_alu instid0(VALU_DEP_1) | instskip(SKIP_2) | instid1(VALU_DEP_3)
	v_fma_f32 v8, 0xcf800000, v7, |v6|
	v_ashrrev_i32_e32 v6, 31, v6
	v_cvt_u32_f32_e32 v9, v7
	v_cvt_u32_f32_e32 v8, v8
	s_delay_alu instid0(VALU_DEP_2) | instskip(NEXT) | instid1(VALU_DEP_2)
	v_dual_mov_b32 v7, v6 :: v_dual_bitop2_b32 v9, v9, v6 bitop3:0x14
	v_xor_b32_e32 v8, v8, v6
	s_delay_alu instid0(VALU_DEP_1)
	v_sub_nc_u64_e32 v[6:7], v[8:9], v[6:7]
.LBB126_859:
	s_mov_b32 s27, 0
.LBB126_860:
	s_delay_alu instid0(SALU_CYCLE_1)
	s_and_not1_b32 vcc_lo, exec_lo, s27
	s_cbranch_vccnz .LBB126_862
; %bb.861:
	s_wait_loadcnt 0x0
	global_load_u16 v6, v[4:5], off
	s_wait_loadcnt 0x0
	v_cvt_f32_f16_e32 v6, v6
	s_delay_alu instid0(VALU_DEP_1) | instskip(NEXT) | instid1(VALU_DEP_1)
	v_cvt_i32_f32_e32 v6, v6
	v_ashrrev_i32_e32 v7, 31, v6
.LBB126_862:
	s_mov_b32 s27, 0
.LBB126_863:
	s_delay_alu instid0(SALU_CYCLE_1)
	s_and_not1_b32 vcc_lo, exec_lo, s27
	s_cbranch_vccnz .LBB126_883
; %bb.864:
	s_cmp_lt_i32 s0, 2
	s_cbranch_scc1 .LBB126_868
; %bb.865:
	s_cmp_lt_i32 s0, 3
	s_cbranch_scc1 .LBB126_869
; %bb.866:
	s_cmp_gt_i32 s0, 3
	s_cbranch_scc0 .LBB126_870
; %bb.867:
	s_wait_loadcnt 0x0
	global_load_b64 v[6:7], v[4:5], off
	s_mov_b32 s27, 0
	s_branch .LBB126_871
.LBB126_868:
	s_mov_b32 s27, -1
                                        ; implicit-def: $vgpr6_vgpr7
	s_branch .LBB126_877
.LBB126_869:
	s_mov_b32 s27, -1
                                        ; implicit-def: $vgpr6_vgpr7
	s_branch .LBB126_874
.LBB126_870:
	s_mov_b32 s27, -1
                                        ; implicit-def: $vgpr6_vgpr7
.LBB126_871:
	s_delay_alu instid0(SALU_CYCLE_1)
	s_and_not1_b32 vcc_lo, exec_lo, s27
	s_cbranch_vccnz .LBB126_873
; %bb.872:
	s_wait_loadcnt 0x0
	global_load_b32 v6, v[4:5], off
	s_wait_loadcnt 0x0
	v_ashrrev_i32_e32 v7, 31, v6
.LBB126_873:
	s_mov_b32 s27, 0
.LBB126_874:
	s_delay_alu instid0(SALU_CYCLE_1)
	s_and_not1_b32 vcc_lo, exec_lo, s27
	s_cbranch_vccnz .LBB126_876
; %bb.875:
	s_wait_loadcnt 0x0
	global_load_u16 v6, v[4:5], off
	s_wait_loadcnt 0x0
	v_bfe_i32 v6, v6, 0, 16
	s_delay_alu instid0(VALU_DEP_1)
	v_ashrrev_i32_e32 v7, 31, v6
.LBB126_876:
	s_mov_b32 s27, 0
.LBB126_877:
	s_delay_alu instid0(SALU_CYCLE_1)
	s_and_not1_b32 vcc_lo, exec_lo, s27
	s_cbranch_vccnz .LBB126_883
; %bb.878:
	s_cmp_gt_i32 s0, 0
	s_mov_b32 s0, 0
	s_cbranch_scc0 .LBB126_880
; %bb.879:
	s_wait_loadcnt 0x0
	global_load_i8 v6, v[4:5], off
	s_wait_loadcnt 0x0
	v_bfe_i32 v6, v6, 0, 16
	s_delay_alu instid0(VALU_DEP_1)
	v_ashrrev_i32_e32 v7, 31, v6
	s_branch .LBB126_881
.LBB126_880:
	s_mov_b32 s0, -1
                                        ; implicit-def: $vgpr6_vgpr7
.LBB126_881:
	s_delay_alu instid0(SALU_CYCLE_1)
	s_and_not1_b32 vcc_lo, exec_lo, s0
	s_cbranch_vccnz .LBB126_883
; %bb.882:
	global_load_u8 v4, v[4:5], off
	s_mov_b32 s0, 0
	s_wait_loadcnt 0x1
	v_mov_b32_e32 v7, s0
	s_wait_loadcnt 0x0
	v_and_b32_e32 v6, 0xffff, v4
.LBB126_883:
	s_mov_b32 s27, -1
.LBB126_884:
	s_delay_alu instid0(SALU_CYCLE_1)
	s_and_not1_b32 vcc_lo, exec_lo, s27
	s_cbranch_vccnz .LBB126_892
; %bb.885:
	s_wait_loadcnt 0x0
	s_delay_alu instid0(VALU_DEP_4) | instskip(SKIP_2) | instid1(SALU_CYCLE_1)
	v_max_i64 v[0:1], v[0:1], v[2:3]
	v_mul_lo_u32 v2, v26, s12
	s_and_b32 s27, s2, 0xff
	s_cmp_lt_i32 s27, 11
	s_delay_alu instid0(VALU_DEP_1) | instskip(NEXT) | instid1(VALU_DEP_1)
	v_ashrrev_i32_e32 v3, 31, v2
	v_add_nc_u64_e32 v[2:3], s[4:5], v[2:3]
	s_delay_alu instid0(VALU_DEP_4)
	v_min_i64 v[0:1], v[0:1], v[6:7]
	s_cbranch_scc1 .LBB126_893
; %bb.886:
	s_and_b32 s30, 0xffff, s27
	s_delay_alu instid0(SALU_CYCLE_1)
	s_cmp_gt_i32 s30, 25
	s_cbranch_scc0 .LBB126_894
; %bb.887:
	s_cmp_gt_i32 s30, 28
	s_cbranch_scc0 .LBB126_895
; %bb.888:
	;; [unrolled: 3-line block ×4, first 2 shown]
	s_mov_b32 s33, 0
	s_mov_b32 s0, -1
	s_cmp_eq_u32 s30, 46
	s_mov_b32 s31, 0
	s_cbranch_scc0 .LBB126_898
; %bb.891:
	s_wait_xcnt 0x0
	s_delay_alu instid0(VALU_DEP_1) | instskip(SKIP_3) | instid1(VALU_DEP_2)
	v_xor_b32_e32 v4, v0, v1
	v_cls_i32_e32 v5, v1
	s_mov_b32 s31, -1
	s_mov_b32 s0, 0
	v_ashrrev_i32_e32 v4, 31, v4
	s_delay_alu instid0(VALU_DEP_1) | instskip(NEXT) | instid1(VALU_DEP_1)
	v_add_nc_u32_e32 v4, 32, v4
	v_add_min_u32_e64 v6, v5, -1, v4
	s_delay_alu instid0(VALU_DEP_1) | instskip(NEXT) | instid1(VALU_DEP_1)
	v_lshlrev_b64_e32 v[4:5], v6, v[0:1]
	v_min_u32_e32 v4, 1, v4
	s_delay_alu instid0(VALU_DEP_1) | instskip(NEXT) | instid1(VALU_DEP_1)
	v_dual_sub_nc_u32 v5, 32, v6 :: v_dual_bitop2_b32 v4, v5, v4 bitop3:0x54
	v_cvt_f32_i32_e32 v4, v4
	s_delay_alu instid0(VALU_DEP_1) | instskip(NEXT) | instid1(VALU_DEP_1)
	v_ldexp_f32 v4, v4, v5
	v_bfe_u32 v5, v4, 16, 1
	s_delay_alu instid0(VALU_DEP_1) | instskip(NEXT) | instid1(VALU_DEP_1)
	v_add3_u32 v4, v4, v5, 0x7fff
	v_lshrrev_b32_e32 v4, 16, v4
	global_store_b32 v[2:3], v4, off
	s_branch .LBB126_898
.LBB126_892:
	s_mov_b32 s30, 0
	s_mov_b32 s0, s19
	s_branch .LBB126_1009
.LBB126_893:
	s_mov_b32 s30, -1
	s_mov_b32 s31, 0
	s_mov_b32 s0, s19
	s_branch .LBB126_967
.LBB126_894:
	s_mov_b32 s33, -1
	s_mov_b32 s31, 0
	s_mov_b32 s0, s19
	s_branch .LBB126_925
.LBB126_895:
	s_mov_b32 s33, -1
	s_mov_b32 s31, 0
	s_mov_b32 s0, s19
	s_branch .LBB126_908
.LBB126_896:
	s_mov_b32 s33, -1
	s_mov_b32 s31, 0
	s_mov_b32 s0, s19
	s_branch .LBB126_904
.LBB126_897:
	s_mov_b32 s33, -1
	s_mov_b32 s31, 0
	s_mov_b32 s0, s19
.LBB126_898:
	s_and_b32 vcc_lo, exec_lo, s33
	s_cbranch_vccz .LBB126_903
; %bb.899:
	s_cmp_eq_u32 s30, 44
	s_mov_b32 s0, -1
	s_cbranch_scc0 .LBB126_903
; %bb.900:
	s_wait_xcnt 0x0
	s_delay_alu instid0(VALU_DEP_1) | instskip(SKIP_3) | instid1(VALU_DEP_2)
	v_xor_b32_e32 v4, v0, v1
	v_cls_i32_e32 v5, v1
	s_mov_b32 s31, -1
	s_mov_b32 s33, exec_lo
	v_ashrrev_i32_e32 v4, 31, v4
	s_delay_alu instid0(VALU_DEP_1) | instskip(NEXT) | instid1(VALU_DEP_1)
	v_add_nc_u32_e32 v4, 32, v4
	v_add_min_u32_e64 v6, v5, -1, v4
	s_delay_alu instid0(VALU_DEP_1) | instskip(NEXT) | instid1(VALU_DEP_1)
	v_lshlrev_b64_e32 v[4:5], v6, v[0:1]
	v_min_u32_e32 v4, 1, v4
	s_delay_alu instid0(VALU_DEP_1) | instskip(NEXT) | instid1(VALU_DEP_1)
	v_dual_sub_nc_u32 v5, 32, v6 :: v_dual_bitop2_b32 v4, v5, v4 bitop3:0x54
	v_cvt_f32_i32_e32 v4, v4
	s_delay_alu instid0(VALU_DEP_1) | instskip(SKIP_1) | instid1(VALU_DEP_2)
	v_ldexp_f32 v4, v4, v5
	v_mov_b32_e32 v5, 0xff
	v_bfe_u32 v6, v4, 23, 8
	s_delay_alu instid0(VALU_DEP_1)
	v_cmpx_ne_u32_e32 0xff, v6
	s_cbranch_execz .LBB126_902
; %bb.901:
	v_and_b32_e32 v5, 0x400000, v4
	v_and_or_b32 v6, 0x3fffff, v4, v6
	v_lshrrev_b32_e32 v4, 23, v4
	s_delay_alu instid0(VALU_DEP_3) | instskip(NEXT) | instid1(VALU_DEP_3)
	v_cmp_ne_u32_e32 vcc_lo, 0, v5
	v_cmp_ne_u32_e64 s0, 0, v6
	s_and_b32 s0, vcc_lo, s0
	s_delay_alu instid0(SALU_CYCLE_1) | instskip(NEXT) | instid1(VALU_DEP_1)
	v_cndmask_b32_e64 v5, 0, 1, s0
	v_add_nc_u32_e32 v5, v4, v5
.LBB126_902:
	s_or_b32 exec_lo, exec_lo, s33
	s_mov_b32 s0, 0
	global_store_b8 v[2:3], v5, off
.LBB126_903:
	s_mov_b32 s33, 0
.LBB126_904:
	s_delay_alu instid0(SALU_CYCLE_1)
	s_and_b32 vcc_lo, exec_lo, s33
	s_cbranch_vccz .LBB126_907
; %bb.905:
	s_cmp_eq_u32 s30, 29
	s_mov_b32 s0, -1
	s_cbranch_scc0 .LBB126_907
; %bb.906:
	s_mov_b32 s31, -1
	s_mov_b32 s0, 0
	global_store_b64 v[2:3], v[0:1], off
.LBB126_907:
	s_mov_b32 s33, 0
.LBB126_908:
	s_delay_alu instid0(SALU_CYCLE_1)
	s_and_b32 vcc_lo, exec_lo, s33
	s_cbranch_vccz .LBB126_924
; %bb.909:
	s_cmp_lt_i32 s30, 27
	s_mov_b32 s31, -1
	s_cbranch_scc1 .LBB126_915
; %bb.910:
	s_cmp_gt_i32 s30, 27
	s_cbranch_scc0 .LBB126_912
; %bb.911:
	s_mov_b32 s31, 0
	global_store_b32 v[2:3], v0, off
.LBB126_912:
	s_and_not1_b32 vcc_lo, exec_lo, s31
	s_cbranch_vccnz .LBB126_914
; %bb.913:
	global_store_b16 v[2:3], v0, off
.LBB126_914:
	s_mov_b32 s31, 0
.LBB126_915:
	s_delay_alu instid0(SALU_CYCLE_1)
	s_and_not1_b32 vcc_lo, exec_lo, s31
	s_cbranch_vccnz .LBB126_923
; %bb.916:
	s_wait_xcnt 0x0
	s_delay_alu instid0(VALU_DEP_1) | instskip(SKIP_2) | instid1(VALU_DEP_2)
	v_xor_b32_e32 v4, v0, v1
	v_cls_i32_e32 v5, v1
	s_mov_b32 s31, exec_lo
	v_ashrrev_i32_e32 v4, 31, v4
	s_delay_alu instid0(VALU_DEP_1) | instskip(NEXT) | instid1(VALU_DEP_1)
	v_add_nc_u32_e32 v4, 32, v4
	v_add_min_u32_e64 v6, v5, -1, v4
	s_delay_alu instid0(VALU_DEP_1) | instskip(NEXT) | instid1(VALU_DEP_1)
	v_lshlrev_b64_e32 v[4:5], v6, v[0:1]
	v_min_u32_e32 v4, 1, v4
	s_delay_alu instid0(VALU_DEP_1) | instskip(SKIP_1) | instid1(VALU_DEP_2)
	v_dual_sub_nc_u32 v5, 32, v6 :: v_dual_bitop2_b32 v4, v5, v4 bitop3:0x54
	v_mov_b32_e32 v6, 0x80
	v_cvt_f32_i32_e32 v4, v4
	s_delay_alu instid0(VALU_DEP_1) | instskip(NEXT) | instid1(VALU_DEP_1)
	v_ldexp_f32 v4, v4, v5
	v_and_b32_e32 v5, 0x7fffffff, v4
	s_delay_alu instid0(VALU_DEP_1)
	v_cmpx_gt_u32_e32 0x43800000, v5
	s_cbranch_execz .LBB126_922
; %bb.917:
	v_cmp_lt_u32_e32 vcc_lo, 0x3bffffff, v5
	s_mov_b32 s33, 0
                                        ; implicit-def: $vgpr5
	s_and_saveexec_b32 s34, vcc_lo
	s_delay_alu instid0(SALU_CYCLE_1)
	s_xor_b32 s34, exec_lo, s34
	s_cbranch_execz .LBB126_1151
; %bb.918:
	v_bfe_u32 v5, v4, 20, 1
	s_mov_b32 s33, exec_lo
	s_delay_alu instid0(VALU_DEP_1) | instskip(NEXT) | instid1(VALU_DEP_1)
	v_add3_u32 v5, v4, v5, 0x487ffff
	v_lshrrev_b32_e32 v5, 20, v5
	s_and_not1_saveexec_b32 s34, s34
	s_cbranch_execnz .LBB126_1152
.LBB126_919:
	s_or_b32 exec_lo, exec_lo, s34
	v_mov_b32_e32 v6, 0
	s_and_saveexec_b32 s34, s33
.LBB126_920:
	v_lshrrev_b32_e32 v4, 24, v4
	s_delay_alu instid0(VALU_DEP_1)
	v_and_or_b32 v6, 0x80, v4, v5
.LBB126_921:
	s_or_b32 exec_lo, exec_lo, s34
.LBB126_922:
	s_delay_alu instid0(SALU_CYCLE_1)
	s_or_b32 exec_lo, exec_lo, s31
	global_store_b8 v[2:3], v6, off
.LBB126_923:
	s_mov_b32 s31, -1
.LBB126_924:
	s_mov_b32 s33, 0
.LBB126_925:
	s_delay_alu instid0(SALU_CYCLE_1)
	s_and_b32 vcc_lo, exec_lo, s33
	s_cbranch_vccz .LBB126_966
; %bb.926:
	s_cmp_gt_i32 s30, 22
	s_mov_b32 s33, -1
	s_cbranch_scc0 .LBB126_958
; %bb.927:
	s_cmp_lt_i32 s30, 24
	s_mov_b32 s31, -1
	s_cbranch_scc1 .LBB126_947
; %bb.928:
	s_cmp_gt_i32 s30, 24
	s_cbranch_scc0 .LBB126_936
; %bb.929:
	s_wait_xcnt 0x0
	s_delay_alu instid0(VALU_DEP_1) | instskip(SKIP_2) | instid1(VALU_DEP_2)
	v_xor_b32_e32 v4, v0, v1
	v_cls_i32_e32 v5, v1
	s_mov_b32 s31, exec_lo
	v_ashrrev_i32_e32 v4, 31, v4
	s_delay_alu instid0(VALU_DEP_1) | instskip(NEXT) | instid1(VALU_DEP_1)
	v_add_nc_u32_e32 v4, 32, v4
	v_add_min_u32_e64 v6, v5, -1, v4
	s_delay_alu instid0(VALU_DEP_1) | instskip(NEXT) | instid1(VALU_DEP_1)
	v_lshlrev_b64_e32 v[4:5], v6, v[0:1]
	v_min_u32_e32 v4, 1, v4
	s_delay_alu instid0(VALU_DEP_1) | instskip(SKIP_1) | instid1(VALU_DEP_2)
	v_dual_sub_nc_u32 v5, 32, v6 :: v_dual_bitop2_b32 v4, v5, v4 bitop3:0x54
	v_mov_b32_e32 v6, 0x80
	v_cvt_f32_i32_e32 v4, v4
	s_delay_alu instid0(VALU_DEP_1) | instskip(NEXT) | instid1(VALU_DEP_1)
	v_ldexp_f32 v4, v4, v5
	v_and_b32_e32 v5, 0x7fffffff, v4
	s_delay_alu instid0(VALU_DEP_1)
	v_cmpx_gt_u32_e32 0x47800000, v5
	s_cbranch_execz .LBB126_935
; %bb.930:
	v_cmp_lt_u32_e32 vcc_lo, 0x37ffffff, v5
	s_mov_b32 s33, 0
                                        ; implicit-def: $vgpr5
	s_and_saveexec_b32 s34, vcc_lo
	s_delay_alu instid0(SALU_CYCLE_1)
	s_xor_b32 s34, exec_lo, s34
	s_cbranch_execz .LBB126_1279
; %bb.931:
	v_bfe_u32 v5, v4, 21, 1
	s_mov_b32 s33, exec_lo
	s_delay_alu instid0(VALU_DEP_1) | instskip(NEXT) | instid1(VALU_DEP_1)
	v_add3_u32 v5, v4, v5, 0x88fffff
	v_lshrrev_b32_e32 v5, 21, v5
	s_and_not1_saveexec_b32 s34, s34
	s_cbranch_execnz .LBB126_1280
.LBB126_932:
	s_or_b32 exec_lo, exec_lo, s34
	v_mov_b32_e32 v6, 0
	s_and_saveexec_b32 s34, s33
.LBB126_933:
	v_lshrrev_b32_e32 v4, 24, v4
	s_delay_alu instid0(VALU_DEP_1)
	v_and_or_b32 v6, 0x80, v4, v5
.LBB126_934:
	s_or_b32 exec_lo, exec_lo, s34
.LBB126_935:
	s_delay_alu instid0(SALU_CYCLE_1)
	s_or_b32 exec_lo, exec_lo, s31
	s_mov_b32 s31, 0
	global_store_b8 v[2:3], v6, off
.LBB126_936:
	s_and_b32 vcc_lo, exec_lo, s31
	s_cbranch_vccz .LBB126_946
; %bb.937:
	s_wait_xcnt 0x0
	s_delay_alu instid0(VALU_DEP_1) | instskip(SKIP_2) | instid1(VALU_DEP_2)
	v_xor_b32_e32 v4, v0, v1
	v_cls_i32_e32 v5, v1
	s_mov_b32 s31, exec_lo
	v_ashrrev_i32_e32 v4, 31, v4
	s_delay_alu instid0(VALU_DEP_1) | instskip(NEXT) | instid1(VALU_DEP_1)
	v_add_nc_u32_e32 v4, 32, v4
	v_add_min_u32_e64 v6, v5, -1, v4
	s_delay_alu instid0(VALU_DEP_1) | instskip(NEXT) | instid1(VALU_DEP_1)
	v_lshlrev_b64_e32 v[4:5], v6, v[0:1]
	v_min_u32_e32 v4, 1, v4
	s_delay_alu instid0(VALU_DEP_1) | instskip(NEXT) | instid1(VALU_DEP_1)
	v_dual_sub_nc_u32 v5, 32, v6 :: v_dual_bitop2_b32 v4, v5, v4 bitop3:0x54
	v_cvt_f32_i32_e32 v4, v4
	s_delay_alu instid0(VALU_DEP_1) | instskip(NEXT) | instid1(VALU_DEP_1)
	v_ldexp_f32 v4, v4, v5
                                        ; implicit-def: $vgpr5
	v_and_b32_e32 v6, 0x7fffffff, v4
	s_delay_alu instid0(VALU_DEP_1)
	v_cmpx_gt_u32_e32 0x43f00000, v6
	s_xor_b32 s31, exec_lo, s31
	s_cbranch_execz .LBB126_943
; %bb.938:
	s_mov_b32 s33, exec_lo
                                        ; implicit-def: $vgpr5
	v_cmpx_lt_u32_e32 0x3c7fffff, v6
	s_xor_b32 s33, exec_lo, s33
; %bb.939:
	v_bfe_u32 v5, v4, 20, 1
	s_delay_alu instid0(VALU_DEP_1) | instskip(NEXT) | instid1(VALU_DEP_1)
	v_add3_u32 v5, v4, v5, 0x407ffff
	v_and_b32_e32 v6, 0xff00000, v5
	v_lshrrev_b32_e32 v5, 20, v5
	s_delay_alu instid0(VALU_DEP_2) | instskip(NEXT) | instid1(VALU_DEP_2)
	v_cmp_ne_u32_e32 vcc_lo, 0x7f00000, v6
	v_cndmask_b32_e32 v5, 0x7e, v5, vcc_lo
; %bb.940:
	s_and_not1_saveexec_b32 s33, s33
; %bb.941:
	v_add_f32_e64 v5, 0x46800000, |v4|
; %bb.942:
	s_or_b32 exec_lo, exec_lo, s33
                                        ; implicit-def: $vgpr6
.LBB126_943:
	s_and_not1_saveexec_b32 s31, s31
; %bb.944:
	v_mov_b32_e32 v5, 0x7f
	v_cmp_lt_u32_e32 vcc_lo, 0x7f800000, v6
	s_delay_alu instid0(VALU_DEP_2)
	v_cndmask_b32_e32 v5, 0x7e, v5, vcc_lo
; %bb.945:
	s_or_b32 exec_lo, exec_lo, s31
	v_lshrrev_b32_e32 v4, 24, v4
	s_delay_alu instid0(VALU_DEP_1)
	v_and_or_b32 v4, 0x80, v4, v5
	global_store_b8 v[2:3], v4, off
.LBB126_946:
	s_mov_b32 s31, 0
.LBB126_947:
	s_delay_alu instid0(SALU_CYCLE_1)
	s_and_not1_b32 vcc_lo, exec_lo, s31
	s_cbranch_vccnz .LBB126_957
; %bb.948:
	s_wait_xcnt 0x0
	s_delay_alu instid0(VALU_DEP_1) | instskip(SKIP_2) | instid1(VALU_DEP_2)
	v_xor_b32_e32 v4, v0, v1
	v_cls_i32_e32 v5, v1
	s_mov_b32 s31, exec_lo
	v_ashrrev_i32_e32 v4, 31, v4
	s_delay_alu instid0(VALU_DEP_1) | instskip(NEXT) | instid1(VALU_DEP_1)
	v_add_nc_u32_e32 v4, 32, v4
	v_add_min_u32_e64 v6, v5, -1, v4
	s_delay_alu instid0(VALU_DEP_1) | instskip(NEXT) | instid1(VALU_DEP_1)
	v_lshlrev_b64_e32 v[4:5], v6, v[0:1]
	v_min_u32_e32 v4, 1, v4
	s_delay_alu instid0(VALU_DEP_1) | instskip(NEXT) | instid1(VALU_DEP_1)
	v_dual_sub_nc_u32 v5, 32, v6 :: v_dual_bitop2_b32 v4, v5, v4 bitop3:0x54
	v_cvt_f32_i32_e32 v4, v4
	s_delay_alu instid0(VALU_DEP_1) | instskip(NEXT) | instid1(VALU_DEP_1)
	v_ldexp_f32 v4, v4, v5
                                        ; implicit-def: $vgpr5
	v_and_b32_e32 v6, 0x7fffffff, v4
	s_delay_alu instid0(VALU_DEP_1)
	v_cmpx_gt_u32_e32 0x47800000, v6
	s_xor_b32 s31, exec_lo, s31
	s_cbranch_execz .LBB126_954
; %bb.949:
	s_mov_b32 s33, exec_lo
                                        ; implicit-def: $vgpr5
	v_cmpx_lt_u32_e32 0x387fffff, v6
	s_xor_b32 s33, exec_lo, s33
; %bb.950:
	v_bfe_u32 v5, v4, 21, 1
	s_delay_alu instid0(VALU_DEP_1) | instskip(NEXT) | instid1(VALU_DEP_1)
	v_add3_u32 v5, v4, v5, 0x80fffff
	v_lshrrev_b32_e32 v5, 21, v5
; %bb.951:
	s_and_not1_saveexec_b32 s33, s33
; %bb.952:
	v_add_f32_e64 v5, 0x43000000, |v4|
; %bb.953:
	s_or_b32 exec_lo, exec_lo, s33
                                        ; implicit-def: $vgpr6
.LBB126_954:
	s_and_not1_saveexec_b32 s31, s31
; %bb.955:
	v_mov_b32_e32 v5, 0x7f
	v_cmp_lt_u32_e32 vcc_lo, 0x7f800000, v6
	s_delay_alu instid0(VALU_DEP_2)
	v_cndmask_b32_e32 v5, 0x7c, v5, vcc_lo
; %bb.956:
	s_or_b32 exec_lo, exec_lo, s31
	v_lshrrev_b32_e32 v4, 24, v4
	s_delay_alu instid0(VALU_DEP_1)
	v_and_or_b32 v4, 0x80, v4, v5
	global_store_b8 v[2:3], v4, off
.LBB126_957:
	s_mov_b32 s33, 0
	s_mov_b32 s31, -1
.LBB126_958:
	s_and_not1_b32 vcc_lo, exec_lo, s33
	s_cbranch_vccnz .LBB126_966
; %bb.959:
	s_cmp_gt_i32 s30, 14
	s_mov_b32 s33, -1
	s_cbranch_scc0 .LBB126_963
; %bb.960:
	s_cmp_eq_u32 s30, 15
	s_mov_b32 s0, -1
	s_cbranch_scc0 .LBB126_962
; %bb.961:
	s_wait_xcnt 0x0
	s_delay_alu instid0(VALU_DEP_1) | instskip(SKIP_3) | instid1(VALU_DEP_2)
	v_xor_b32_e32 v4, v0, v1
	v_cls_i32_e32 v5, v1
	s_mov_b32 s31, -1
	s_mov_b32 s0, 0
	v_ashrrev_i32_e32 v4, 31, v4
	s_delay_alu instid0(VALU_DEP_1) | instskip(NEXT) | instid1(VALU_DEP_1)
	v_add_nc_u32_e32 v4, 32, v4
	v_add_min_u32_e64 v6, v5, -1, v4
	s_delay_alu instid0(VALU_DEP_1) | instskip(NEXT) | instid1(VALU_DEP_1)
	v_lshlrev_b64_e32 v[4:5], v6, v[0:1]
	v_min_u32_e32 v4, 1, v4
	s_delay_alu instid0(VALU_DEP_1) | instskip(NEXT) | instid1(VALU_DEP_1)
	v_dual_sub_nc_u32 v5, 32, v6 :: v_dual_bitop2_b32 v4, v5, v4 bitop3:0x54
	v_cvt_f32_i32_e32 v4, v4
	s_delay_alu instid0(VALU_DEP_1) | instskip(NEXT) | instid1(VALU_DEP_1)
	v_ldexp_f32 v4, v4, v5
	v_bfe_u32 v5, v4, 16, 1
	s_delay_alu instid0(VALU_DEP_1)
	v_add3_u32 v4, v4, v5, 0x7fff
	global_store_d16_hi_b16 v[2:3], v4, off
.LBB126_962:
	s_mov_b32 s33, 0
.LBB126_963:
	s_delay_alu instid0(SALU_CYCLE_1)
	s_and_b32 vcc_lo, exec_lo, s33
	s_cbranch_vccz .LBB126_966
; %bb.964:
	s_cmp_eq_u32 s30, 11
	s_mov_b32 s0, -1
	s_cbranch_scc0 .LBB126_966
; %bb.965:
	s_delay_alu instid0(VALU_DEP_1)
	v_cmp_ne_u64_e32 vcc_lo, 0, v[0:1]
	s_mov_b32 s31, -1
	s_mov_b32 s0, 0
	s_wait_xcnt 0x0
	v_cndmask_b32_e64 v4, 0, 1, vcc_lo
	global_store_b8 v[2:3], v4, off
.LBB126_966:
	s_mov_b32 s30, 0
.LBB126_967:
	s_delay_alu instid0(SALU_CYCLE_1)
	s_and_b32 vcc_lo, exec_lo, s30
	s_cbranch_vccz .LBB126_1006
; %bb.968:
	s_and_b32 s27, 0xffff, s27
	s_mov_b32 s30, -1
	s_cmp_lt_i32 s27, 5
	s_cbranch_scc1 .LBB126_989
; %bb.969:
	s_cmp_lt_i32 s27, 8
	s_cbranch_scc1 .LBB126_979
; %bb.970:
	;; [unrolled: 3-line block ×3, first 2 shown]
	s_cmp_gt_i32 s27, 9
	s_cbranch_scc0 .LBB126_973
; %bb.972:
	s_wait_xcnt 0x0
	s_delay_alu instid0(VALU_DEP_1) | instskip(NEXT) | instid1(VALU_DEP_2)
	v_cvt_f64_i32_e32 v[4:5], v1
	v_cvt_f64_u32_e32 v[6:7], v0
	s_mov_b32 s30, 0
	s_delay_alu instid0(VALU_DEP_2) | instskip(NEXT) | instid1(VALU_DEP_1)
	v_ldexp_f64 v[4:5], v[4:5], 32
	v_dual_add_f64 v[4:5], v[4:5], v[6:7] :: v_dual_mov_b32 v6, 0
	s_delay_alu instid0(VALU_DEP_1)
	v_mov_b32_e32 v7, v6
	global_store_b128 v[2:3], v[4:7], off
.LBB126_973:
	s_and_not1_b32 vcc_lo, exec_lo, s30
	s_cbranch_vccnz .LBB126_975
; %bb.974:
	s_wait_xcnt 0x0
	s_delay_alu instid0(VALU_DEP_1) | instskip(SKIP_1) | instid1(VALU_DEP_2)
	v_xor_b32_e32 v4, v0, v1
	v_cls_i32_e32 v5, v1
	v_ashrrev_i32_e32 v4, 31, v4
	s_delay_alu instid0(VALU_DEP_1) | instskip(NEXT) | instid1(VALU_DEP_1)
	v_add_nc_u32_e32 v4, 32, v4
	v_add_min_u32_e64 v6, v5, -1, v4
	s_delay_alu instid0(VALU_DEP_1) | instskip(NEXT) | instid1(VALU_DEP_1)
	v_lshlrev_b64_e32 v[4:5], v6, v[0:1]
	v_min_u32_e32 v4, 1, v4
	s_delay_alu instid0(VALU_DEP_1) | instskip(NEXT) | instid1(VALU_DEP_1)
	v_dual_sub_nc_u32 v5, 32, v6 :: v_dual_bitop2_b32 v4, v5, v4 bitop3:0x54
	v_cvt_f32_i32_e32 v4, v4
	s_delay_alu instid0(VALU_DEP_1)
	v_ldexp_f32 v4, v4, v5
	v_mov_b32_e32 v5, 0
	global_store_b64 v[2:3], v[4:5], off
.LBB126_975:
	s_mov_b32 s30, 0
.LBB126_976:
	s_delay_alu instid0(SALU_CYCLE_1)
	s_and_not1_b32 vcc_lo, exec_lo, s30
	s_cbranch_vccnz .LBB126_978
; %bb.977:
	s_wait_xcnt 0x0
	s_delay_alu instid0(VALU_DEP_1) | instskip(SKIP_1) | instid1(VALU_DEP_2)
	v_xor_b32_e32 v4, v0, v1
	v_cls_i32_e32 v5, v1
	v_ashrrev_i32_e32 v4, 31, v4
	s_delay_alu instid0(VALU_DEP_1) | instskip(NEXT) | instid1(VALU_DEP_1)
	v_add_nc_u32_e32 v4, 32, v4
	v_add_min_u32_e64 v6, v5, -1, v4
	s_delay_alu instid0(VALU_DEP_1) | instskip(NEXT) | instid1(VALU_DEP_1)
	v_lshlrev_b64_e32 v[4:5], v6, v[0:1]
	v_min_u32_e32 v4, 1, v4
	s_delay_alu instid0(VALU_DEP_1) | instskip(NEXT) | instid1(VALU_DEP_1)
	v_dual_sub_nc_u32 v5, 32, v6 :: v_dual_bitop2_b32 v4, v5, v4 bitop3:0x54
	v_cvt_f32_i32_e32 v4, v4
	s_delay_alu instid0(VALU_DEP_1) | instskip(NEXT) | instid1(VALU_DEP_1)
	v_ldexp_f32 v4, v4, v5
	v_cvt_f16_f32_e32 v4, v4
	s_delay_alu instid0(VALU_DEP_1)
	v_and_b32_e32 v4, 0xffff, v4
	global_store_b32 v[2:3], v4, off
.LBB126_978:
	s_mov_b32 s30, 0
.LBB126_979:
	s_delay_alu instid0(SALU_CYCLE_1)
	s_and_not1_b32 vcc_lo, exec_lo, s30
	s_cbranch_vccnz .LBB126_988
; %bb.980:
	s_cmp_lt_i32 s27, 6
	s_mov_b32 s30, -1
	s_cbranch_scc1 .LBB126_986
; %bb.981:
	s_cmp_gt_i32 s27, 6
	s_cbranch_scc0 .LBB126_983
; %bb.982:
	s_wait_xcnt 0x0
	s_delay_alu instid0(VALU_DEP_1) | instskip(NEXT) | instid1(VALU_DEP_2)
	v_cvt_f64_i32_e32 v[4:5], v1
	v_cvt_f64_u32_e32 v[6:7], v0
	s_mov_b32 s30, 0
	s_delay_alu instid0(VALU_DEP_2) | instskip(NEXT) | instid1(VALU_DEP_1)
	v_ldexp_f64 v[4:5], v[4:5], 32
	v_add_f64_e32 v[4:5], v[4:5], v[6:7]
	global_store_b64 v[2:3], v[4:5], off
.LBB126_983:
	s_and_not1_b32 vcc_lo, exec_lo, s30
	s_cbranch_vccnz .LBB126_985
; %bb.984:
	s_wait_xcnt 0x0
	s_delay_alu instid0(VALU_DEP_1) | instskip(SKIP_1) | instid1(VALU_DEP_2)
	v_xor_b32_e32 v4, v0, v1
	v_cls_i32_e32 v5, v1
	v_ashrrev_i32_e32 v4, 31, v4
	s_delay_alu instid0(VALU_DEP_1) | instskip(NEXT) | instid1(VALU_DEP_1)
	v_add_nc_u32_e32 v4, 32, v4
	v_add_min_u32_e64 v6, v5, -1, v4
	s_delay_alu instid0(VALU_DEP_1) | instskip(NEXT) | instid1(VALU_DEP_1)
	v_lshlrev_b64_e32 v[4:5], v6, v[0:1]
	v_min_u32_e32 v4, 1, v4
	s_delay_alu instid0(VALU_DEP_1) | instskip(NEXT) | instid1(VALU_DEP_1)
	v_dual_sub_nc_u32 v5, 32, v6 :: v_dual_bitop2_b32 v4, v5, v4 bitop3:0x54
	v_cvt_f32_i32_e32 v4, v4
	s_delay_alu instid0(VALU_DEP_1)
	v_ldexp_f32 v4, v4, v5
	global_store_b32 v[2:3], v4, off
.LBB126_985:
	s_mov_b32 s30, 0
.LBB126_986:
	s_delay_alu instid0(SALU_CYCLE_1)
	s_and_not1_b32 vcc_lo, exec_lo, s30
	s_cbranch_vccnz .LBB126_988
; %bb.987:
	s_wait_xcnt 0x0
	s_delay_alu instid0(VALU_DEP_1) | instskip(SKIP_1) | instid1(VALU_DEP_2)
	v_xor_b32_e32 v4, v0, v1
	v_cls_i32_e32 v5, v1
	v_ashrrev_i32_e32 v4, 31, v4
	s_delay_alu instid0(VALU_DEP_1) | instskip(NEXT) | instid1(VALU_DEP_1)
	v_add_nc_u32_e32 v4, 32, v4
	v_add_min_u32_e64 v6, v5, -1, v4
	s_delay_alu instid0(VALU_DEP_1) | instskip(NEXT) | instid1(VALU_DEP_1)
	v_lshlrev_b64_e32 v[4:5], v6, v[0:1]
	v_min_u32_e32 v4, 1, v4
	s_delay_alu instid0(VALU_DEP_1) | instskip(NEXT) | instid1(VALU_DEP_1)
	v_dual_sub_nc_u32 v5, 32, v6 :: v_dual_bitop2_b32 v4, v5, v4 bitop3:0x54
	v_cvt_f32_i32_e32 v4, v4
	s_delay_alu instid0(VALU_DEP_1) | instskip(NEXT) | instid1(VALU_DEP_1)
	v_ldexp_f32 v4, v4, v5
	v_cvt_f16_f32_e32 v4, v4
	global_store_b16 v[2:3], v4, off
.LBB126_988:
	s_mov_b32 s30, 0
.LBB126_989:
	s_delay_alu instid0(SALU_CYCLE_1)
	s_and_not1_b32 vcc_lo, exec_lo, s30
	s_cbranch_vccnz .LBB126_1005
; %bb.990:
	s_cmp_lt_i32 s27, 2
	s_mov_b32 s30, -1
	s_cbranch_scc1 .LBB126_1000
; %bb.991:
	s_cmp_lt_i32 s27, 3
	s_cbranch_scc1 .LBB126_997
; %bb.992:
	s_cmp_gt_i32 s27, 3
	s_cbranch_scc0 .LBB126_994
; %bb.993:
	s_mov_b32 s30, 0
	global_store_b64 v[2:3], v[0:1], off
.LBB126_994:
	s_and_not1_b32 vcc_lo, exec_lo, s30
	s_cbranch_vccnz .LBB126_996
; %bb.995:
	global_store_b32 v[2:3], v0, off
.LBB126_996:
	s_mov_b32 s30, 0
.LBB126_997:
	s_delay_alu instid0(SALU_CYCLE_1)
	s_and_not1_b32 vcc_lo, exec_lo, s30
	s_cbranch_vccnz .LBB126_999
; %bb.998:
	global_store_b16 v[2:3], v0, off
.LBB126_999:
	s_mov_b32 s30, 0
.LBB126_1000:
	s_delay_alu instid0(SALU_CYCLE_1)
	s_and_not1_b32 vcc_lo, exec_lo, s30
	s_cbranch_vccnz .LBB126_1005
; %bb.1001:
	s_cmp_gt_i32 s27, 0
	s_mov_b32 s27, -1
	s_cbranch_scc0 .LBB126_1003
; %bb.1002:
	s_mov_b32 s27, 0
	global_store_b8 v[2:3], v0, off
.LBB126_1003:
	s_and_not1_b32 vcc_lo, exec_lo, s27
	s_cbranch_vccnz .LBB126_1005
; %bb.1004:
	global_store_b8 v[2:3], v0, off
.LBB126_1005:
	s_mov_b32 s31, -1
.LBB126_1006:
	s_delay_alu instid0(SALU_CYCLE_1)
	s_and_not1_b32 vcc_lo, exec_lo, s31
	s_cbranch_vccnz .LBB126_1008
; %bb.1007:
	v_add_nc_u32_e32 v26, 0x80, v26
	s_mov_b32 s30, -1
	s_branch .LBB126_1010
.LBB126_1008:
	s_mov_b32 s30, 0
.LBB126_1009:
                                        ; implicit-def: $vgpr26
.LBB126_1010:
	s_and_not1_b32 s27, s19, exec_lo
	s_and_b32 s0, s0, exec_lo
	s_and_not1_b32 s31, s21, exec_lo
	s_and_b32 s33, s26, exec_lo
	s_or_b32 s26, s27, s0
	s_or_b32 s27, s31, s33
	s_and_not1_b32 s0, s22, exec_lo
	s_and_b32 s28, s28, exec_lo
	s_and_not1_b32 s31, s23, exec_lo
	s_and_b32 s25, s25, exec_lo
	s_or_b32 s28, s0, s28
	s_or_b32 s25, s31, s25
	s_or_not1_b32 s31, s30, exec_lo
.LBB126_1011:
	s_wait_xcnt 0x0
	s_or_b32 exec_lo, exec_lo, s29
	s_mov_b32 s30, 0
	s_mov_b32 s33, 0
	;; [unrolled: 1-line block ×3, first 2 shown]
                                        ; implicit-def: $sgpr0
                                        ; implicit-def: $vgpr2_vgpr3
                                        ; implicit-def: $vgpr0_vgpr1
	s_and_saveexec_b32 s29, s31
	s_cbranch_execz .LBB126_1598
; %bb.1012:
	s_mov_b32 s39, -1
	s_mov_b32 s31, s25
	s_mov_b32 s33, s28
	;; [unrolled: 1-line block ×4, first 2 shown]
	s_mov_b32 s30, exec_lo
	v_cmpx_gt_i32_e64 s20, v26
	s_cbranch_execz .LBB126_1520
; %bb.1013:
	s_wait_loadcnt 0x0
	v_mul_lo_u32 v0, v26, s13
	s_and_b32 s0, s17, 0xff
	s_delay_alu instid0(SALU_CYCLE_1) | instskip(NEXT) | instid1(VALU_DEP_1)
	s_cmp_lt_i32 s0, 11
	v_ashrrev_i32_e32 v1, 31, v0
	s_delay_alu instid0(VALU_DEP_1)
	v_add_nc_u64_e32 v[2:3], s[6:7], v[0:1]
	s_cbranch_scc1 .LBB126_1020
; %bb.1014:
	s_and_b32 s33, 0xffff, s0
	s_delay_alu instid0(SALU_CYCLE_1)
	s_cmp_gt_i32 s33, 25
	s_cbranch_scc0 .LBB126_1021
; %bb.1015:
	s_cmp_gt_i32 s33, 28
	s_cbranch_scc0 .LBB126_1022
; %bb.1016:
	;; [unrolled: 3-line block ×4, first 2 shown]
	s_cmp_eq_u32 s33, 46
	s_mov_b32 s35, 0
	s_cbranch_scc0 .LBB126_1025
; %bb.1019:
	global_load_b32 v0, v[2:3], off
	s_mov_b32 s34, -1
	s_mov_b32 s31, 0
	s_wait_loadcnt 0x0
	v_lshlrev_b32_e32 v0, 16, v0
	s_delay_alu instid0(VALU_DEP_1) | instskip(NEXT) | instid1(VALU_DEP_1)
	v_trunc_f32_e32 v0, v0
	v_mul_f32_e64 v1, 0x2f800000, |v0|
	s_delay_alu instid0(VALU_DEP_1) | instskip(NEXT) | instid1(VALU_DEP_1)
	v_floor_f32_e32 v1, v1
	v_fma_f32 v4, 0xcf800000, v1, |v0|
	v_ashrrev_i32_e32 v0, 31, v0
	v_cvt_u32_f32_e32 v5, v1
	s_delay_alu instid0(VALU_DEP_3) | instskip(NEXT) | instid1(VALU_DEP_2)
	v_cvt_u32_f32_e32 v4, v4
	v_dual_mov_b32 v1, v0 :: v_dual_bitop2_b32 v5, v5, v0 bitop3:0x14
	s_delay_alu instid0(VALU_DEP_2) | instskip(NEXT) | instid1(VALU_DEP_1)
	v_xor_b32_e32 v4, v4, v0
	v_sub_nc_u64_e32 v[0:1], v[4:5], v[0:1]
	s_branch .LBB126_1027
.LBB126_1020:
	s_mov_b32 s33, -1
	s_mov_b32 s34, 0
	s_mov_b32 s31, s25
                                        ; implicit-def: $vgpr0_vgpr1
	s_branch .LBB126_1088
.LBB126_1021:
	s_mov_b32 s35, -1
	s_mov_b32 s34, 0
	s_mov_b32 s31, s25
                                        ; implicit-def: $vgpr0_vgpr1
	s_branch .LBB126_1054
.LBB126_1022:
	s_mov_b32 s35, -1
	s_mov_b32 s34, 0
	s_mov_b32 s31, s25
                                        ; implicit-def: $vgpr0_vgpr1
	s_branch .LBB126_1037
.LBB126_1023:
	s_mov_b32 s35, -1
	s_mov_b32 s34, 0
	s_mov_b32 s31, s25
                                        ; implicit-def: $vgpr0_vgpr1
	s_branch .LBB126_1032
.LBB126_1024:
	s_mov_b32 s35, -1
	s_mov_b32 s34, 0
	s_mov_b32 s31, s25
	s_branch .LBB126_1026
.LBB126_1025:
	s_mov_b32 s31, -1
	s_mov_b32 s34, 0
.LBB126_1026:
                                        ; implicit-def: $vgpr0_vgpr1
.LBB126_1027:
	s_and_b32 vcc_lo, exec_lo, s35
	s_cbranch_vccz .LBB126_1031
; %bb.1028:
	s_cmp_eq_u32 s33, 44
	s_cbranch_scc0 .LBB126_1030
; %bb.1029:
	global_load_u8 v6, v[2:3], off
	s_mov_b32 s31, 0
	s_mov_b32 s34, -1
	s_wait_loadcnt 0x0
	v_cmp_ne_u32_e32 vcc_lo, 0, v6
	v_lshlrev_b32_e32 v0, 23, v6
	s_delay_alu instid0(VALU_DEP_1) | instskip(NEXT) | instid1(VALU_DEP_1)
	v_trunc_f32_e32 v0, v0
	v_mul_f32_e64 v1, 0x2f800000, |v0|
	s_delay_alu instid0(VALU_DEP_1) | instskip(NEXT) | instid1(VALU_DEP_1)
	v_floor_f32_e32 v1, v1
	v_fma_f32 v4, 0xcf800000, v1, |v0|
	v_ashrrev_i32_e32 v0, 31, v0
	v_cvt_u32_f32_e32 v5, v1
	s_delay_alu instid0(VALU_DEP_3) | instskip(NEXT) | instid1(VALU_DEP_2)
	v_cvt_u32_f32_e32 v4, v4
	v_dual_mov_b32 v1, v0 :: v_dual_bitop2_b32 v5, v5, v0 bitop3:0x14
	s_delay_alu instid0(VALU_DEP_2) | instskip(NEXT) | instid1(VALU_DEP_1)
	v_xor_b32_e32 v4, v4, v0
	v_sub_nc_u64_e32 v[0:1], v[4:5], v[0:1]
	s_delay_alu instid0(VALU_DEP_1)
	v_dual_cndmask_b32 v1, 0, v1 :: v_dual_cndmask_b32 v0, 0, v0
	s_branch .LBB126_1031
.LBB126_1030:
	s_mov_b32 s31, -1
                                        ; implicit-def: $vgpr0_vgpr1
.LBB126_1031:
	s_mov_b32 s35, 0
.LBB126_1032:
	s_delay_alu instid0(SALU_CYCLE_1)
	s_and_b32 vcc_lo, exec_lo, s35
	s_cbranch_vccz .LBB126_1036
; %bb.1033:
	s_cmp_eq_u32 s33, 29
	s_cbranch_scc0 .LBB126_1035
; %bb.1034:
	global_load_b64 v[0:1], v[2:3], off
	s_mov_b32 s34, -1
	s_mov_b32 s31, 0
	s_branch .LBB126_1036
.LBB126_1035:
	s_mov_b32 s31, -1
                                        ; implicit-def: $vgpr0_vgpr1
.LBB126_1036:
	s_mov_b32 s35, 0
.LBB126_1037:
	s_delay_alu instid0(SALU_CYCLE_1)
	s_and_b32 vcc_lo, exec_lo, s35
	s_cbranch_vccz .LBB126_1053
; %bb.1038:
	s_cmp_lt_i32 s33, 27
	s_cbranch_scc1 .LBB126_1041
; %bb.1039:
	s_cmp_gt_i32 s33, 27
	s_cbranch_scc0 .LBB126_1042
; %bb.1040:
	s_wait_loadcnt 0x0
	global_load_b32 v0, v[2:3], off
	v_mov_b32_e32 v1, 0
	s_mov_b32 s34, 0
	s_branch .LBB126_1043
.LBB126_1041:
	s_mov_b32 s34, -1
                                        ; implicit-def: $vgpr0_vgpr1
	s_branch .LBB126_1046
.LBB126_1042:
	s_mov_b32 s34, -1
                                        ; implicit-def: $vgpr0_vgpr1
.LBB126_1043:
	s_delay_alu instid0(SALU_CYCLE_1)
	s_and_not1_b32 vcc_lo, exec_lo, s34
	s_cbranch_vccnz .LBB126_1045
; %bb.1044:
	s_wait_loadcnt 0x0
	global_load_u16 v0, v[2:3], off
	s_mov_b32 s34, 0
	s_delay_alu instid0(SALU_CYCLE_1)
	v_mov_b32_e32 v1, s34
	s_wait_loadcnt 0x0
	v_and_b32_e32 v0, 0xffff, v0
.LBB126_1045:
	s_mov_b32 s34, 0
.LBB126_1046:
	s_delay_alu instid0(SALU_CYCLE_1)
	s_and_not1_b32 vcc_lo, exec_lo, s34
	s_cbranch_vccnz .LBB126_1052
; %bb.1047:
	global_load_u8 v4, v[2:3], off
	s_mov_b32 s35, 0
	s_mov_b32 s34, exec_lo
	s_wait_loadcnt 0x0
	v_cmpx_lt_i16_e32 0x7f, v4
	s_xor_b32 s34, exec_lo, s34
	s_cbranch_execz .LBB126_1064
; %bb.1048:
	v_cmp_ne_u16_e32 vcc_lo, 0x80, v4
	s_and_b32 s35, vcc_lo, exec_lo
	s_and_not1_saveexec_b32 s34, s34
	s_cbranch_execnz .LBB126_1065
.LBB126_1049:
	s_or_b32 exec_lo, exec_lo, s34
	v_mov_b64_e32 v[0:1], 0
	s_and_saveexec_b32 s34, s35
	s_cbranch_execz .LBB126_1051
.LBB126_1050:
	v_and_b32_e32 v0, 0xffff, v4
	s_delay_alu instid0(VALU_DEP_1) | instskip(SKIP_1) | instid1(VALU_DEP_2)
	v_and_b32_e32 v1, 7, v0
	v_bfe_u32 v7, v0, 3, 4
	v_clz_i32_u32_e32 v5, v1
	s_delay_alu instid0(VALU_DEP_2) | instskip(NEXT) | instid1(VALU_DEP_2)
	v_cmp_eq_u32_e32 vcc_lo, 0, v7
	v_min_u32_e32 v5, 32, v5
	s_delay_alu instid0(VALU_DEP_1) | instskip(NEXT) | instid1(VALU_DEP_1)
	v_subrev_nc_u32_e32 v6, 28, v5
	v_dual_lshlrev_b32 v0, v6, v0 :: v_dual_sub_nc_u32 v5, 29, v5
	s_delay_alu instid0(VALU_DEP_1) | instskip(NEXT) | instid1(VALU_DEP_2)
	v_and_b32_e32 v0, 7, v0
	v_dual_cndmask_b32 v5, v7, v5 :: v_dual_lshlrev_b32 v4, 24, v4
	s_delay_alu instid0(VALU_DEP_2) | instskip(NEXT) | instid1(VALU_DEP_2)
	v_cndmask_b32_e32 v0, v1, v0, vcc_lo
	v_and_b32_e32 v1, 0x80000000, v4
	s_delay_alu instid0(VALU_DEP_3) | instskip(NEXT) | instid1(VALU_DEP_3)
	v_lshl_add_u32 v4, v5, 23, 0x3b800000
	v_lshlrev_b32_e32 v0, 20, v0
	s_delay_alu instid0(VALU_DEP_1) | instskip(NEXT) | instid1(VALU_DEP_1)
	v_or3_b32 v0, v1, v4, v0
	v_trunc_f32_e32 v0, v0
	s_delay_alu instid0(VALU_DEP_1) | instskip(NEXT) | instid1(VALU_DEP_1)
	v_mul_f32_e64 v1, 0x2f800000, |v0|
	v_floor_f32_e32 v1, v1
	s_delay_alu instid0(VALU_DEP_1) | instskip(SKIP_2) | instid1(VALU_DEP_3)
	v_fma_f32 v4, 0xcf800000, v1, |v0|
	v_ashrrev_i32_e32 v0, 31, v0
	v_cvt_u32_f32_e32 v5, v1
	v_cvt_u32_f32_e32 v4, v4
	s_delay_alu instid0(VALU_DEP_2) | instskip(NEXT) | instid1(VALU_DEP_2)
	v_dual_mov_b32 v1, v0 :: v_dual_bitop2_b32 v5, v5, v0 bitop3:0x14
	v_xor_b32_e32 v4, v4, v0
	s_delay_alu instid0(VALU_DEP_1)
	v_sub_nc_u64_e32 v[0:1], v[4:5], v[0:1]
.LBB126_1051:
	s_or_b32 exec_lo, exec_lo, s34
.LBB126_1052:
	s_mov_b32 s34, -1
.LBB126_1053:
	s_mov_b32 s35, 0
.LBB126_1054:
	s_delay_alu instid0(SALU_CYCLE_1)
	s_and_b32 vcc_lo, exec_lo, s35
	s_cbranch_vccz .LBB126_1087
; %bb.1055:
	s_cmp_gt_i32 s33, 22
	s_cbranch_scc0 .LBB126_1063
; %bb.1056:
	s_cmp_lt_i32 s33, 24
	s_cbranch_scc1 .LBB126_1066
; %bb.1057:
	s_cmp_gt_i32 s33, 24
	s_cbranch_scc0 .LBB126_1067
; %bb.1058:
	global_load_u8 v4, v[2:3], off
	s_mov_b32 s35, 0
	s_mov_b32 s34, exec_lo
	s_wait_loadcnt 0x0
	v_cmpx_lt_i16_e32 0x7f, v4
	s_xor_b32 s34, exec_lo, s34
	s_cbranch_execz .LBB126_1079
; %bb.1059:
	v_cmp_ne_u16_e32 vcc_lo, 0x80, v4
	s_and_b32 s35, vcc_lo, exec_lo
	s_and_not1_saveexec_b32 s34, s34
	s_cbranch_execnz .LBB126_1080
.LBB126_1060:
	s_or_b32 exec_lo, exec_lo, s34
	v_mov_b64_e32 v[0:1], 0
	s_and_saveexec_b32 s34, s35
	s_cbranch_execz .LBB126_1062
.LBB126_1061:
	v_and_b32_e32 v0, 0xffff, v4
	s_delay_alu instid0(VALU_DEP_1) | instskip(SKIP_1) | instid1(VALU_DEP_2)
	v_and_b32_e32 v1, 3, v0
	v_bfe_u32 v7, v0, 2, 5
	v_clz_i32_u32_e32 v5, v1
	s_delay_alu instid0(VALU_DEP_2) | instskip(NEXT) | instid1(VALU_DEP_2)
	v_cmp_eq_u32_e32 vcc_lo, 0, v7
	v_min_u32_e32 v5, 32, v5
	s_delay_alu instid0(VALU_DEP_1) | instskip(NEXT) | instid1(VALU_DEP_1)
	v_subrev_nc_u32_e32 v6, 29, v5
	v_dual_lshlrev_b32 v0, v6, v0 :: v_dual_sub_nc_u32 v5, 30, v5
	s_delay_alu instid0(VALU_DEP_1) | instskip(NEXT) | instid1(VALU_DEP_2)
	v_and_b32_e32 v0, 3, v0
	v_dual_cndmask_b32 v5, v7, v5 :: v_dual_lshlrev_b32 v4, 24, v4
	s_delay_alu instid0(VALU_DEP_2) | instskip(NEXT) | instid1(VALU_DEP_2)
	v_cndmask_b32_e32 v0, v1, v0, vcc_lo
	v_and_b32_e32 v1, 0x80000000, v4
	s_delay_alu instid0(VALU_DEP_3) | instskip(NEXT) | instid1(VALU_DEP_3)
	v_lshl_add_u32 v4, v5, 23, 0x37800000
	v_lshlrev_b32_e32 v0, 21, v0
	s_delay_alu instid0(VALU_DEP_1) | instskip(NEXT) | instid1(VALU_DEP_1)
	v_or3_b32 v0, v1, v4, v0
	v_trunc_f32_e32 v0, v0
	s_delay_alu instid0(VALU_DEP_1) | instskip(NEXT) | instid1(VALU_DEP_1)
	v_mul_f32_e64 v1, 0x2f800000, |v0|
	v_floor_f32_e32 v1, v1
	s_delay_alu instid0(VALU_DEP_1) | instskip(SKIP_2) | instid1(VALU_DEP_3)
	v_fma_f32 v4, 0xcf800000, v1, |v0|
	v_ashrrev_i32_e32 v0, 31, v0
	v_cvt_u32_f32_e32 v5, v1
	v_cvt_u32_f32_e32 v4, v4
	s_delay_alu instid0(VALU_DEP_2) | instskip(NEXT) | instid1(VALU_DEP_2)
	v_dual_mov_b32 v1, v0 :: v_dual_bitop2_b32 v5, v5, v0 bitop3:0x14
	v_xor_b32_e32 v4, v4, v0
	s_delay_alu instid0(VALU_DEP_1)
	v_sub_nc_u64_e32 v[0:1], v[4:5], v[0:1]
.LBB126_1062:
	s_or_b32 exec_lo, exec_lo, s34
	s_mov_b32 s34, 0
	s_branch .LBB126_1068
.LBB126_1063:
	s_mov_b32 s35, -1
                                        ; implicit-def: $vgpr0_vgpr1
	s_branch .LBB126_1074
.LBB126_1064:
	s_and_not1_saveexec_b32 s34, s34
	s_cbranch_execz .LBB126_1049
.LBB126_1065:
	v_cmp_ne_u16_e32 vcc_lo, 0, v4
	s_and_not1_b32 s35, s35, exec_lo
	s_and_b32 s36, vcc_lo, exec_lo
	s_delay_alu instid0(SALU_CYCLE_1)
	s_or_b32 s35, s35, s36
	s_or_b32 exec_lo, exec_lo, s34
	v_mov_b64_e32 v[0:1], 0
	s_and_saveexec_b32 s34, s35
	s_cbranch_execnz .LBB126_1050
	s_branch .LBB126_1051
.LBB126_1066:
	s_mov_b32 s34, -1
                                        ; implicit-def: $vgpr0_vgpr1
	s_branch .LBB126_1071
.LBB126_1067:
	s_mov_b32 s34, -1
                                        ; implicit-def: $vgpr0_vgpr1
.LBB126_1068:
	s_delay_alu instid0(SALU_CYCLE_1)
	s_and_b32 vcc_lo, exec_lo, s34
	s_cbranch_vccz .LBB126_1070
; %bb.1069:
	s_wait_loadcnt 0x0
	global_load_u8 v0, v[2:3], off
	s_wait_loadcnt 0x0
	v_lshlrev_b32_e32 v0, 24, v0
	s_delay_alu instid0(VALU_DEP_1) | instskip(NEXT) | instid1(VALU_DEP_1)
	v_and_b32_e32 v1, 0x7f000000, v0
	v_clz_i32_u32_e32 v4, v1
	v_cmp_ne_u32_e32 vcc_lo, 0, v1
	v_add_nc_u32_e32 v6, 0x1000000, v1
	s_delay_alu instid0(VALU_DEP_3) | instskip(NEXT) | instid1(VALU_DEP_1)
	v_min_u32_e32 v4, 32, v4
	v_sub_nc_u32_e64 v4, v4, 4 clamp
	s_delay_alu instid0(VALU_DEP_1) | instskip(NEXT) | instid1(VALU_DEP_1)
	v_dual_lshlrev_b32 v5, v4, v1 :: v_dual_lshlrev_b32 v4, 23, v4
	v_lshrrev_b32_e32 v5, 4, v5
	s_delay_alu instid0(VALU_DEP_1) | instskip(NEXT) | instid1(VALU_DEP_1)
	v_dual_sub_nc_u32 v4, v5, v4 :: v_dual_ashrrev_i32 v5, 8, v6
	v_add_nc_u32_e32 v4, 0x3c000000, v4
	s_delay_alu instid0(VALU_DEP_1) | instskip(NEXT) | instid1(VALU_DEP_1)
	v_and_or_b32 v4, 0x7f800000, v5, v4
	v_cndmask_b32_e32 v1, 0, v4, vcc_lo
	s_delay_alu instid0(VALU_DEP_1) | instskip(NEXT) | instid1(VALU_DEP_1)
	v_and_or_b32 v0, 0x80000000, v0, v1
	v_trunc_f32_e32 v0, v0
	s_delay_alu instid0(VALU_DEP_1) | instskip(NEXT) | instid1(VALU_DEP_1)
	v_mul_f32_e64 v1, 0x2f800000, |v0|
	v_floor_f32_e32 v1, v1
	s_delay_alu instid0(VALU_DEP_1) | instskip(SKIP_2) | instid1(VALU_DEP_3)
	v_fma_f32 v4, 0xcf800000, v1, |v0|
	v_ashrrev_i32_e32 v0, 31, v0
	v_cvt_u32_f32_e32 v5, v1
	v_cvt_u32_f32_e32 v4, v4
	s_delay_alu instid0(VALU_DEP_2) | instskip(NEXT) | instid1(VALU_DEP_2)
	v_dual_mov_b32 v1, v0 :: v_dual_bitop2_b32 v5, v5, v0 bitop3:0x14
	v_xor_b32_e32 v4, v4, v0
	s_delay_alu instid0(VALU_DEP_1)
	v_sub_nc_u64_e32 v[0:1], v[4:5], v[0:1]
.LBB126_1070:
	s_mov_b32 s34, 0
.LBB126_1071:
	s_delay_alu instid0(SALU_CYCLE_1)
	s_and_not1_b32 vcc_lo, exec_lo, s34
	s_cbranch_vccnz .LBB126_1073
; %bb.1072:
	s_wait_loadcnt 0x0
	global_load_u8 v0, v[2:3], off
	s_wait_loadcnt 0x0
	v_lshlrev_b32_e32 v1, 25, v0
	v_lshlrev_b16 v0, 8, v0
	s_delay_alu instid0(VALU_DEP_1) | instskip(SKIP_1) | instid1(VALU_DEP_2)
	v_and_or_b32 v5, 0x7f00, v0, 0.5
	v_bfe_i32 v0, v0, 0, 16
	v_add_f32_e32 v5, -0.5, v5
	v_lshrrev_b32_e32 v4, 4, v1
	v_cmp_gt_u32_e32 vcc_lo, 0x8000000, v1
	s_delay_alu instid0(VALU_DEP_2) | instskip(NEXT) | instid1(VALU_DEP_1)
	v_or_b32_e32 v4, 0x70000000, v4
	v_mul_f32_e32 v4, 0x7800000, v4
	s_delay_alu instid0(VALU_DEP_1) | instskip(NEXT) | instid1(VALU_DEP_1)
	v_cndmask_b32_e32 v1, v4, v5, vcc_lo
	v_and_or_b32 v0, 0x80000000, v0, v1
	s_delay_alu instid0(VALU_DEP_1) | instskip(NEXT) | instid1(VALU_DEP_1)
	v_trunc_f32_e32 v0, v0
	v_mul_f32_e64 v1, 0x2f800000, |v0|
	s_delay_alu instid0(VALU_DEP_1) | instskip(NEXT) | instid1(VALU_DEP_1)
	v_floor_f32_e32 v1, v1
	v_fma_f32 v4, 0xcf800000, v1, |v0|
	v_ashrrev_i32_e32 v0, 31, v0
	v_cvt_u32_f32_e32 v5, v1
	s_delay_alu instid0(VALU_DEP_3) | instskip(NEXT) | instid1(VALU_DEP_2)
	v_cvt_u32_f32_e32 v4, v4
	v_dual_mov_b32 v1, v0 :: v_dual_bitop2_b32 v5, v5, v0 bitop3:0x14
	s_delay_alu instid0(VALU_DEP_2) | instskip(NEXT) | instid1(VALU_DEP_1)
	v_xor_b32_e32 v4, v4, v0
	v_sub_nc_u64_e32 v[0:1], v[4:5], v[0:1]
.LBB126_1073:
	s_mov_b32 s35, 0
	s_mov_b32 s34, -1
.LBB126_1074:
	s_and_not1_b32 vcc_lo, exec_lo, s35
	s_cbranch_vccnz .LBB126_1087
; %bb.1075:
	s_cmp_gt_i32 s33, 14
	s_cbranch_scc0 .LBB126_1078
; %bb.1076:
	s_cmp_eq_u32 s33, 15
	s_cbranch_scc0 .LBB126_1081
; %bb.1077:
	s_wait_loadcnt 0x0
	global_load_u16 v0, v[2:3], off
	s_mov_b32 s34, -1
	s_mov_b32 s31, 0
	s_wait_loadcnt 0x0
	v_lshlrev_b32_e32 v0, 16, v0
	s_delay_alu instid0(VALU_DEP_1) | instskip(NEXT) | instid1(VALU_DEP_1)
	v_trunc_f32_e32 v0, v0
	v_mul_f32_e64 v1, 0x2f800000, |v0|
	s_delay_alu instid0(VALU_DEP_1) | instskip(NEXT) | instid1(VALU_DEP_1)
	v_floor_f32_e32 v1, v1
	v_fma_f32 v4, 0xcf800000, v1, |v0|
	v_ashrrev_i32_e32 v0, 31, v0
	v_cvt_u32_f32_e32 v5, v1
	s_delay_alu instid0(VALU_DEP_3) | instskip(NEXT) | instid1(VALU_DEP_2)
	v_cvt_u32_f32_e32 v4, v4
	v_dual_mov_b32 v1, v0 :: v_dual_bitop2_b32 v5, v5, v0 bitop3:0x14
	s_delay_alu instid0(VALU_DEP_2) | instskip(NEXT) | instid1(VALU_DEP_1)
	v_xor_b32_e32 v4, v4, v0
	v_sub_nc_u64_e32 v[0:1], v[4:5], v[0:1]
	s_branch .LBB126_1082
.LBB126_1078:
	s_mov_b32 s35, -1
                                        ; implicit-def: $vgpr0_vgpr1
	s_branch .LBB126_1083
.LBB126_1079:
	s_and_not1_saveexec_b32 s34, s34
	s_cbranch_execz .LBB126_1060
.LBB126_1080:
	v_cmp_ne_u16_e32 vcc_lo, 0, v4
	s_and_not1_b32 s35, s35, exec_lo
	s_and_b32 s36, vcc_lo, exec_lo
	s_delay_alu instid0(SALU_CYCLE_1)
	s_or_b32 s35, s35, s36
	s_or_b32 exec_lo, exec_lo, s34
	v_mov_b64_e32 v[0:1], 0
	s_and_saveexec_b32 s34, s35
	s_cbranch_execnz .LBB126_1061
	s_branch .LBB126_1062
.LBB126_1081:
	s_mov_b32 s31, -1
                                        ; implicit-def: $vgpr0_vgpr1
.LBB126_1082:
	s_mov_b32 s35, 0
.LBB126_1083:
	s_delay_alu instid0(SALU_CYCLE_1)
	s_and_b32 vcc_lo, exec_lo, s35
	s_cbranch_vccz .LBB126_1087
; %bb.1084:
	s_cmp_eq_u32 s33, 11
	s_cbranch_scc0 .LBB126_1086
; %bb.1085:
	s_wait_loadcnt 0x0
	global_load_u8 v0, v[2:3], off
	s_mov_b32 s31, 0
	s_mov_b32 s34, -1
	v_mov_b32_e32 v1, s31
	s_wait_loadcnt 0x0
	v_cmp_ne_u16_e32 vcc_lo, 0, v0
	v_cndmask_b32_e64 v0, 0, 1, vcc_lo
	s_branch .LBB126_1087
.LBB126_1086:
	s_mov_b32 s31, -1
                                        ; implicit-def: $vgpr0_vgpr1
.LBB126_1087:
	s_mov_b32 s33, 0
.LBB126_1088:
	s_delay_alu instid0(SALU_CYCLE_1)
	s_and_b32 vcc_lo, exec_lo, s33
	s_cbranch_vccz .LBB126_1137
; %bb.1089:
	s_and_b32 s0, 0xffff, s0
	s_delay_alu instid0(SALU_CYCLE_1)
	s_cmp_lt_i32 s0, 5
	s_cbranch_scc1 .LBB126_1094
; %bb.1090:
	s_cmp_lt_i32 s0, 8
	s_cbranch_scc1 .LBB126_1095
; %bb.1091:
	;; [unrolled: 3-line block ×3, first 2 shown]
	s_cmp_gt_i32 s0, 9
	s_cbranch_scc0 .LBB126_1097
; %bb.1093:
	s_wait_loadcnt 0x0
	global_load_b64 v[0:1], v[2:3], off
	s_mov_b32 s33, 0
	s_wait_loadcnt 0x0
	v_trunc_f64_e32 v[0:1], v[0:1]
	s_delay_alu instid0(VALU_DEP_1) | instskip(NEXT) | instid1(VALU_DEP_1)
	v_ldexp_f64 v[4:5], v[0:1], 0xffffffe0
	v_floor_f64_e32 v[4:5], v[4:5]
	s_delay_alu instid0(VALU_DEP_1) | instskip(SKIP_1) | instid1(VALU_DEP_2)
	v_fmamk_f64 v[6:7], v[4:5], 0xc1f00000, v[0:1]
	v_cvt_i32_f64_e32 v1, v[4:5]
	v_cvt_u32_f64_e32 v0, v[6:7]
	s_branch .LBB126_1098
.LBB126_1094:
	s_mov_b32 s33, -1
                                        ; implicit-def: $vgpr0_vgpr1
	s_branch .LBB126_1116
.LBB126_1095:
	s_mov_b32 s33, -1
                                        ; implicit-def: $vgpr0_vgpr1
	s_branch .LBB126_1104
.LBB126_1096:
	s_mov_b32 s33, -1
                                        ; implicit-def: $vgpr0_vgpr1
	s_branch .LBB126_1101
.LBB126_1097:
	s_mov_b32 s33, -1
                                        ; implicit-def: $vgpr0_vgpr1
.LBB126_1098:
	s_delay_alu instid0(SALU_CYCLE_1)
	s_and_not1_b32 vcc_lo, exec_lo, s33
	s_cbranch_vccnz .LBB126_1100
; %bb.1099:
	s_wait_loadcnt 0x0
	global_load_b32 v0, v[2:3], off
	s_wait_loadcnt 0x0
	v_trunc_f32_e32 v0, v0
	s_delay_alu instid0(VALU_DEP_1) | instskip(NEXT) | instid1(VALU_DEP_1)
	v_mul_f32_e64 v1, 0x2f800000, |v0|
	v_floor_f32_e32 v1, v1
	s_delay_alu instid0(VALU_DEP_1) | instskip(SKIP_2) | instid1(VALU_DEP_3)
	v_fma_f32 v4, 0xcf800000, v1, |v0|
	v_ashrrev_i32_e32 v0, 31, v0
	v_cvt_u32_f32_e32 v5, v1
	v_cvt_u32_f32_e32 v4, v4
	s_delay_alu instid0(VALU_DEP_2) | instskip(NEXT) | instid1(VALU_DEP_2)
	v_dual_mov_b32 v1, v0 :: v_dual_bitop2_b32 v5, v5, v0 bitop3:0x14
	v_xor_b32_e32 v4, v4, v0
	s_delay_alu instid0(VALU_DEP_1)
	v_sub_nc_u64_e32 v[0:1], v[4:5], v[0:1]
.LBB126_1100:
	s_mov_b32 s33, 0
.LBB126_1101:
	s_delay_alu instid0(SALU_CYCLE_1)
	s_and_not1_b32 vcc_lo, exec_lo, s33
	s_cbranch_vccnz .LBB126_1103
; %bb.1102:
	s_wait_loadcnt 0x0
	global_load_b32 v0, v[2:3], off
	s_wait_loadcnt 0x0
	v_cvt_f32_f16_e32 v0, v0
	s_delay_alu instid0(VALU_DEP_1) | instskip(NEXT) | instid1(VALU_DEP_1)
	v_cvt_i32_f32_e32 v0, v0
	v_ashrrev_i32_e32 v1, 31, v0
.LBB126_1103:
	s_mov_b32 s33, 0
.LBB126_1104:
	s_delay_alu instid0(SALU_CYCLE_1)
	s_and_not1_b32 vcc_lo, exec_lo, s33
	s_cbranch_vccnz .LBB126_1115
; %bb.1105:
	s_cmp_lt_i32 s0, 6
	s_cbranch_scc1 .LBB126_1108
; %bb.1106:
	s_cmp_gt_i32 s0, 6
	s_cbranch_scc0 .LBB126_1109
; %bb.1107:
	s_wait_loadcnt 0x0
	global_load_b64 v[0:1], v[2:3], off
	s_mov_b32 s33, 0
	s_wait_loadcnt 0x0
	v_trunc_f64_e32 v[0:1], v[0:1]
	s_delay_alu instid0(VALU_DEP_1) | instskip(NEXT) | instid1(VALU_DEP_1)
	v_ldexp_f64 v[4:5], v[0:1], 0xffffffe0
	v_floor_f64_e32 v[4:5], v[4:5]
	s_delay_alu instid0(VALU_DEP_1) | instskip(SKIP_1) | instid1(VALU_DEP_2)
	v_fmamk_f64 v[6:7], v[4:5], 0xc1f00000, v[0:1]
	v_cvt_i32_f64_e32 v1, v[4:5]
	v_cvt_u32_f64_e32 v0, v[6:7]
	s_branch .LBB126_1110
.LBB126_1108:
	s_mov_b32 s33, -1
                                        ; implicit-def: $vgpr0_vgpr1
	s_branch .LBB126_1113
.LBB126_1109:
	s_mov_b32 s33, -1
                                        ; implicit-def: $vgpr0_vgpr1
.LBB126_1110:
	s_delay_alu instid0(SALU_CYCLE_1)
	s_and_not1_b32 vcc_lo, exec_lo, s33
	s_cbranch_vccnz .LBB126_1112
; %bb.1111:
	s_wait_loadcnt 0x0
	global_load_b32 v0, v[2:3], off
	s_wait_loadcnt 0x0
	v_trunc_f32_e32 v0, v0
	s_delay_alu instid0(VALU_DEP_1) | instskip(NEXT) | instid1(VALU_DEP_1)
	v_mul_f32_e64 v1, 0x2f800000, |v0|
	v_floor_f32_e32 v1, v1
	s_delay_alu instid0(VALU_DEP_1) | instskip(SKIP_2) | instid1(VALU_DEP_3)
	v_fma_f32 v4, 0xcf800000, v1, |v0|
	v_ashrrev_i32_e32 v0, 31, v0
	v_cvt_u32_f32_e32 v5, v1
	v_cvt_u32_f32_e32 v4, v4
	s_delay_alu instid0(VALU_DEP_2) | instskip(NEXT) | instid1(VALU_DEP_2)
	v_dual_mov_b32 v1, v0 :: v_dual_bitop2_b32 v5, v5, v0 bitop3:0x14
	v_xor_b32_e32 v4, v4, v0
	s_delay_alu instid0(VALU_DEP_1)
	v_sub_nc_u64_e32 v[0:1], v[4:5], v[0:1]
.LBB126_1112:
	s_mov_b32 s33, 0
.LBB126_1113:
	s_delay_alu instid0(SALU_CYCLE_1)
	s_and_not1_b32 vcc_lo, exec_lo, s33
	s_cbranch_vccnz .LBB126_1115
; %bb.1114:
	s_wait_loadcnt 0x0
	global_load_u16 v0, v[2:3], off
	s_wait_loadcnt 0x0
	v_cvt_f32_f16_e32 v0, v0
	s_delay_alu instid0(VALU_DEP_1) | instskip(NEXT) | instid1(VALU_DEP_1)
	v_cvt_i32_f32_e32 v0, v0
	v_ashrrev_i32_e32 v1, 31, v0
.LBB126_1115:
	s_mov_b32 s33, 0
.LBB126_1116:
	s_delay_alu instid0(SALU_CYCLE_1)
	s_and_not1_b32 vcc_lo, exec_lo, s33
	s_cbranch_vccnz .LBB126_1136
; %bb.1117:
	s_cmp_lt_i32 s0, 2
	s_cbranch_scc1 .LBB126_1121
; %bb.1118:
	s_cmp_lt_i32 s0, 3
	s_cbranch_scc1 .LBB126_1122
; %bb.1119:
	s_cmp_gt_i32 s0, 3
	s_cbranch_scc0 .LBB126_1123
; %bb.1120:
	s_wait_loadcnt 0x0
	global_load_b64 v[0:1], v[2:3], off
	s_mov_b32 s33, 0
	s_branch .LBB126_1124
.LBB126_1121:
	s_mov_b32 s33, -1
                                        ; implicit-def: $vgpr0_vgpr1
	s_branch .LBB126_1130
.LBB126_1122:
	s_mov_b32 s33, -1
                                        ; implicit-def: $vgpr0_vgpr1
	s_branch .LBB126_1127
.LBB126_1123:
	s_mov_b32 s33, -1
                                        ; implicit-def: $vgpr0_vgpr1
.LBB126_1124:
	s_delay_alu instid0(SALU_CYCLE_1)
	s_and_not1_b32 vcc_lo, exec_lo, s33
	s_cbranch_vccnz .LBB126_1126
; %bb.1125:
	s_wait_loadcnt 0x0
	global_load_b32 v0, v[2:3], off
	s_wait_loadcnt 0x0
	v_ashrrev_i32_e32 v1, 31, v0
.LBB126_1126:
	s_mov_b32 s33, 0
.LBB126_1127:
	s_delay_alu instid0(SALU_CYCLE_1)
	s_and_not1_b32 vcc_lo, exec_lo, s33
	s_cbranch_vccnz .LBB126_1129
; %bb.1128:
	s_wait_loadcnt 0x0
	global_load_u16 v0, v[2:3], off
	s_wait_loadcnt 0x0
	v_bfe_i32 v0, v0, 0, 16
	s_delay_alu instid0(VALU_DEP_1)
	v_ashrrev_i32_e32 v1, 31, v0
.LBB126_1129:
	s_mov_b32 s33, 0
.LBB126_1130:
	s_delay_alu instid0(SALU_CYCLE_1)
	s_and_not1_b32 vcc_lo, exec_lo, s33
	s_cbranch_vccnz .LBB126_1136
; %bb.1131:
	s_cmp_gt_i32 s0, 0
	s_mov_b32 s0, 0
	s_cbranch_scc0 .LBB126_1133
; %bb.1132:
	s_wait_loadcnt 0x0
	global_load_i8 v0, v[2:3], off
	s_wait_loadcnt 0x0
	v_bfe_i32 v0, v0, 0, 16
	s_delay_alu instid0(VALU_DEP_1)
	v_ashrrev_i32_e32 v1, 31, v0
	s_branch .LBB126_1134
.LBB126_1133:
	s_mov_b32 s0, -1
                                        ; implicit-def: $vgpr0_vgpr1
.LBB126_1134:
	s_delay_alu instid0(SALU_CYCLE_1)
	s_and_not1_b32 vcc_lo, exec_lo, s0
	s_cbranch_vccnz .LBB126_1136
; %bb.1135:
	s_wait_loadcnt 0x0
	global_load_u8 v0, v[2:3], off
	s_mov_b32 s0, 0
	s_delay_alu instid0(SALU_CYCLE_1)
	v_mov_b32_e32 v1, s0
	s_wait_loadcnt 0x0
	v_and_b32_e32 v0, 0xffff, v0
.LBB126_1136:
	s_mov_b32 s34, -1
.LBB126_1137:
	s_delay_alu instid0(SALU_CYCLE_1)
	s_and_not1_b32 vcc_lo, exec_lo, s34
	s_cbranch_vccnz .LBB126_1145
; %bb.1138:
	s_wait_xcnt 0x0
	v_mul_lo_u32 v2, v26, s14
	s_and_b32 s0, s3, 0xff
	s_delay_alu instid0(SALU_CYCLE_1) | instskip(NEXT) | instid1(VALU_DEP_1)
	s_cmp_lt_i32 s0, 11
	v_ashrrev_i32_e32 v3, 31, v2
	s_delay_alu instid0(VALU_DEP_1)
	v_add_nc_u64_e32 v[4:5], s[8:9], v[2:3]
	s_cbranch_scc1 .LBB126_1146
; %bb.1139:
	s_and_b32 s34, 0xffff, s0
	s_delay_alu instid0(SALU_CYCLE_1)
	s_cmp_gt_i32 s34, 25
	s_cbranch_scc0 .LBB126_1147
; %bb.1140:
	s_cmp_gt_i32 s34, 28
	s_cbranch_scc0 .LBB126_1148
; %bb.1141:
	;; [unrolled: 3-line block ×4, first 2 shown]
	s_cmp_eq_u32 s34, 46
	s_mov_b32 s36, 0
	s_cbranch_scc0 .LBB126_1153
; %bb.1144:
	global_load_b32 v2, v[4:5], off
	s_mov_b32 s35, -1
	s_mov_b32 s33, 0
	s_wait_loadcnt 0x0
	v_lshlrev_b32_e32 v2, 16, v2
	s_delay_alu instid0(VALU_DEP_1) | instskip(NEXT) | instid1(VALU_DEP_1)
	v_trunc_f32_e32 v2, v2
	v_mul_f32_e64 v3, 0x2f800000, |v2|
	s_delay_alu instid0(VALU_DEP_1) | instskip(NEXT) | instid1(VALU_DEP_1)
	v_floor_f32_e32 v3, v3
	v_fma_f32 v6, 0xcf800000, v3, |v2|
	v_ashrrev_i32_e32 v2, 31, v2
	v_cvt_u32_f32_e32 v7, v3
	s_delay_alu instid0(VALU_DEP_3) | instskip(NEXT) | instid1(VALU_DEP_2)
	v_cvt_u32_f32_e32 v6, v6
	v_dual_mov_b32 v3, v2 :: v_dual_bitop2_b32 v7, v7, v2 bitop3:0x14
	s_delay_alu instid0(VALU_DEP_2) | instskip(NEXT) | instid1(VALU_DEP_1)
	v_xor_b32_e32 v6, v6, v2
	v_sub_nc_u64_e32 v[2:3], v[6:7], v[2:3]
	s_branch .LBB126_1155
.LBB126_1145:
	s_mov_b32 s36, 0
	s_mov_b32 s0, s26
	;; [unrolled: 1-line block ×4, first 2 shown]
	s_branch .LBB126_1518
.LBB126_1146:
	s_mov_b32 s34, -1
	s_mov_b32 s35, 0
	s_mov_b32 s33, s28
                                        ; implicit-def: $vgpr2_vgpr3
	s_branch .LBB126_1216
.LBB126_1147:
	s_mov_b32 s36, -1
	s_mov_b32 s35, 0
	s_mov_b32 s33, s28
                                        ; implicit-def: $vgpr2_vgpr3
	s_branch .LBB126_1182
.LBB126_1148:
	s_mov_b32 s36, -1
	s_mov_b32 s35, 0
	s_mov_b32 s33, s28
                                        ; implicit-def: $vgpr2_vgpr3
	s_branch .LBB126_1165
.LBB126_1149:
	s_mov_b32 s36, -1
	s_mov_b32 s35, 0
	s_mov_b32 s33, s28
                                        ; implicit-def: $vgpr2_vgpr3
	s_branch .LBB126_1160
.LBB126_1150:
	s_mov_b32 s36, -1
	s_mov_b32 s35, 0
	s_mov_b32 s33, s28
	s_branch .LBB126_1154
.LBB126_1151:
	s_and_not1_saveexec_b32 s34, s34
	s_cbranch_execz .LBB126_919
.LBB126_1152:
	v_add_f32_e64 v5, 0x46000000, |v4|
	s_and_not1_b32 s33, s33, exec_lo
	s_delay_alu instid0(VALU_DEP_1) | instskip(NEXT) | instid1(VALU_DEP_1)
	v_and_b32_e32 v5, 0xff, v5
	v_cmp_ne_u32_e32 vcc_lo, 0, v5
	s_and_b32 s35, vcc_lo, exec_lo
	s_delay_alu instid0(SALU_CYCLE_1)
	s_or_b32 s33, s33, s35
	s_or_b32 exec_lo, exec_lo, s34
	v_mov_b32_e32 v6, 0
	s_and_saveexec_b32 s34, s33
	s_cbranch_execnz .LBB126_920
	s_branch .LBB126_921
.LBB126_1153:
	s_mov_b32 s33, -1
	s_mov_b32 s35, 0
.LBB126_1154:
                                        ; implicit-def: $vgpr2_vgpr3
.LBB126_1155:
	s_and_b32 vcc_lo, exec_lo, s36
	s_cbranch_vccz .LBB126_1159
; %bb.1156:
	s_cmp_eq_u32 s34, 44
	s_cbranch_scc0 .LBB126_1158
; %bb.1157:
	global_load_u8 v8, v[4:5], off
	s_mov_b32 s33, 0
	s_mov_b32 s35, -1
	s_wait_loadcnt 0x0
	v_cmp_ne_u32_e32 vcc_lo, 0, v8
	v_lshlrev_b32_e32 v2, 23, v8
	s_delay_alu instid0(VALU_DEP_1) | instskip(NEXT) | instid1(VALU_DEP_1)
	v_trunc_f32_e32 v2, v2
	v_mul_f32_e64 v3, 0x2f800000, |v2|
	s_delay_alu instid0(VALU_DEP_1) | instskip(NEXT) | instid1(VALU_DEP_1)
	v_floor_f32_e32 v3, v3
	v_fma_f32 v6, 0xcf800000, v3, |v2|
	v_ashrrev_i32_e32 v2, 31, v2
	v_cvt_u32_f32_e32 v7, v3
	s_delay_alu instid0(VALU_DEP_3) | instskip(NEXT) | instid1(VALU_DEP_2)
	v_cvt_u32_f32_e32 v6, v6
	v_dual_mov_b32 v3, v2 :: v_dual_bitop2_b32 v7, v7, v2 bitop3:0x14
	s_delay_alu instid0(VALU_DEP_2) | instskip(NEXT) | instid1(VALU_DEP_1)
	v_xor_b32_e32 v6, v6, v2
	v_sub_nc_u64_e32 v[2:3], v[6:7], v[2:3]
	s_delay_alu instid0(VALU_DEP_1)
	v_dual_cndmask_b32 v3, 0, v3 :: v_dual_cndmask_b32 v2, 0, v2
	s_branch .LBB126_1159
.LBB126_1158:
	s_mov_b32 s33, -1
                                        ; implicit-def: $vgpr2_vgpr3
.LBB126_1159:
	s_mov_b32 s36, 0
.LBB126_1160:
	s_delay_alu instid0(SALU_CYCLE_1)
	s_and_b32 vcc_lo, exec_lo, s36
	s_cbranch_vccz .LBB126_1164
; %bb.1161:
	s_cmp_eq_u32 s34, 29
	s_cbranch_scc0 .LBB126_1163
; %bb.1162:
	global_load_b64 v[2:3], v[4:5], off
	s_mov_b32 s35, -1
	s_mov_b32 s33, 0
	s_branch .LBB126_1164
.LBB126_1163:
	s_mov_b32 s33, -1
                                        ; implicit-def: $vgpr2_vgpr3
.LBB126_1164:
	s_mov_b32 s36, 0
.LBB126_1165:
	s_delay_alu instid0(SALU_CYCLE_1)
	s_and_b32 vcc_lo, exec_lo, s36
	s_cbranch_vccz .LBB126_1181
; %bb.1166:
	s_cmp_lt_i32 s34, 27
	s_cbranch_scc1 .LBB126_1169
; %bb.1167:
	s_cmp_gt_i32 s34, 27
	s_cbranch_scc0 .LBB126_1170
; %bb.1168:
	s_wait_loadcnt 0x0
	global_load_b32 v2, v[4:5], off
	v_mov_b32_e32 v3, 0
	s_mov_b32 s35, 0
	s_branch .LBB126_1171
.LBB126_1169:
	s_mov_b32 s35, -1
                                        ; implicit-def: $vgpr2_vgpr3
	s_branch .LBB126_1174
.LBB126_1170:
	s_mov_b32 s35, -1
                                        ; implicit-def: $vgpr2_vgpr3
.LBB126_1171:
	s_delay_alu instid0(SALU_CYCLE_1)
	s_and_not1_b32 vcc_lo, exec_lo, s35
	s_cbranch_vccnz .LBB126_1173
; %bb.1172:
	s_wait_loadcnt 0x0
	global_load_u16 v2, v[4:5], off
	s_mov_b32 s35, 0
	s_delay_alu instid0(SALU_CYCLE_1)
	v_mov_b32_e32 v3, s35
	s_wait_loadcnt 0x0
	v_and_b32_e32 v2, 0xffff, v2
.LBB126_1173:
	s_mov_b32 s35, 0
.LBB126_1174:
	s_delay_alu instid0(SALU_CYCLE_1)
	s_and_not1_b32 vcc_lo, exec_lo, s35
	s_cbranch_vccnz .LBB126_1180
; %bb.1175:
	global_load_u8 v6, v[4:5], off
	s_mov_b32 s36, 0
	s_mov_b32 s35, exec_lo
	s_wait_loadcnt 0x0
	v_cmpx_lt_i16_e32 0x7f, v6
	s_xor_b32 s35, exec_lo, s35
	s_cbranch_execz .LBB126_1192
; %bb.1176:
	v_cmp_ne_u16_e32 vcc_lo, 0x80, v6
	s_and_b32 s36, vcc_lo, exec_lo
	s_and_not1_saveexec_b32 s35, s35
	s_cbranch_execnz .LBB126_1193
.LBB126_1177:
	s_or_b32 exec_lo, exec_lo, s35
	v_mov_b64_e32 v[2:3], 0
	s_and_saveexec_b32 s35, s36
	s_cbranch_execz .LBB126_1179
.LBB126_1178:
	v_and_b32_e32 v2, 0xffff, v6
	s_delay_alu instid0(VALU_DEP_1) | instskip(SKIP_1) | instid1(VALU_DEP_2)
	v_and_b32_e32 v3, 7, v2
	v_bfe_u32 v9, v2, 3, 4
	v_clz_i32_u32_e32 v7, v3
	s_delay_alu instid0(VALU_DEP_2) | instskip(NEXT) | instid1(VALU_DEP_2)
	v_cmp_eq_u32_e32 vcc_lo, 0, v9
	v_min_u32_e32 v7, 32, v7
	s_delay_alu instid0(VALU_DEP_1) | instskip(NEXT) | instid1(VALU_DEP_1)
	v_subrev_nc_u32_e32 v8, 28, v7
	v_dual_lshlrev_b32 v2, v8, v2 :: v_dual_sub_nc_u32 v7, 29, v7
	s_delay_alu instid0(VALU_DEP_1) | instskip(NEXT) | instid1(VALU_DEP_2)
	v_and_b32_e32 v2, 7, v2
	v_dual_cndmask_b32 v7, v9, v7 :: v_dual_lshlrev_b32 v6, 24, v6
	s_delay_alu instid0(VALU_DEP_2) | instskip(NEXT) | instid1(VALU_DEP_2)
	v_cndmask_b32_e32 v2, v3, v2, vcc_lo
	v_and_b32_e32 v3, 0x80000000, v6
	s_delay_alu instid0(VALU_DEP_3) | instskip(NEXT) | instid1(VALU_DEP_3)
	v_lshl_add_u32 v6, v7, 23, 0x3b800000
	v_lshlrev_b32_e32 v2, 20, v2
	s_delay_alu instid0(VALU_DEP_1) | instskip(NEXT) | instid1(VALU_DEP_1)
	v_or3_b32 v2, v3, v6, v2
	v_trunc_f32_e32 v2, v2
	s_delay_alu instid0(VALU_DEP_1) | instskip(NEXT) | instid1(VALU_DEP_1)
	v_mul_f32_e64 v3, 0x2f800000, |v2|
	v_floor_f32_e32 v3, v3
	s_delay_alu instid0(VALU_DEP_1) | instskip(SKIP_2) | instid1(VALU_DEP_3)
	v_fma_f32 v6, 0xcf800000, v3, |v2|
	v_ashrrev_i32_e32 v2, 31, v2
	v_cvt_u32_f32_e32 v7, v3
	v_cvt_u32_f32_e32 v6, v6
	s_delay_alu instid0(VALU_DEP_2) | instskip(NEXT) | instid1(VALU_DEP_2)
	v_dual_mov_b32 v3, v2 :: v_dual_bitop2_b32 v7, v7, v2 bitop3:0x14
	v_xor_b32_e32 v6, v6, v2
	s_delay_alu instid0(VALU_DEP_1)
	v_sub_nc_u64_e32 v[2:3], v[6:7], v[2:3]
.LBB126_1179:
	s_or_b32 exec_lo, exec_lo, s35
.LBB126_1180:
	s_mov_b32 s35, -1
.LBB126_1181:
	s_mov_b32 s36, 0
.LBB126_1182:
	s_delay_alu instid0(SALU_CYCLE_1)
	s_and_b32 vcc_lo, exec_lo, s36
	s_cbranch_vccz .LBB126_1215
; %bb.1183:
	s_cmp_gt_i32 s34, 22
	s_cbranch_scc0 .LBB126_1191
; %bb.1184:
	s_cmp_lt_i32 s34, 24
	s_cbranch_scc1 .LBB126_1194
; %bb.1185:
	s_cmp_gt_i32 s34, 24
	s_cbranch_scc0 .LBB126_1195
; %bb.1186:
	global_load_u8 v6, v[4:5], off
	s_mov_b32 s36, 0
	s_mov_b32 s35, exec_lo
	s_wait_loadcnt 0x0
	v_cmpx_lt_i16_e32 0x7f, v6
	s_xor_b32 s35, exec_lo, s35
	s_cbranch_execz .LBB126_1207
; %bb.1187:
	v_cmp_ne_u16_e32 vcc_lo, 0x80, v6
	s_and_b32 s36, vcc_lo, exec_lo
	s_and_not1_saveexec_b32 s35, s35
	s_cbranch_execnz .LBB126_1208
.LBB126_1188:
	s_or_b32 exec_lo, exec_lo, s35
	v_mov_b64_e32 v[2:3], 0
	s_and_saveexec_b32 s35, s36
	s_cbranch_execz .LBB126_1190
.LBB126_1189:
	v_and_b32_e32 v2, 0xffff, v6
	s_delay_alu instid0(VALU_DEP_1) | instskip(SKIP_1) | instid1(VALU_DEP_2)
	v_and_b32_e32 v3, 3, v2
	v_bfe_u32 v9, v2, 2, 5
	v_clz_i32_u32_e32 v7, v3
	s_delay_alu instid0(VALU_DEP_2) | instskip(NEXT) | instid1(VALU_DEP_2)
	v_cmp_eq_u32_e32 vcc_lo, 0, v9
	v_min_u32_e32 v7, 32, v7
	s_delay_alu instid0(VALU_DEP_1) | instskip(NEXT) | instid1(VALU_DEP_1)
	v_subrev_nc_u32_e32 v8, 29, v7
	v_dual_lshlrev_b32 v2, v8, v2 :: v_dual_sub_nc_u32 v7, 30, v7
	s_delay_alu instid0(VALU_DEP_1) | instskip(NEXT) | instid1(VALU_DEP_2)
	v_and_b32_e32 v2, 3, v2
	v_dual_cndmask_b32 v7, v9, v7 :: v_dual_lshlrev_b32 v6, 24, v6
	s_delay_alu instid0(VALU_DEP_2) | instskip(NEXT) | instid1(VALU_DEP_2)
	v_cndmask_b32_e32 v2, v3, v2, vcc_lo
	v_and_b32_e32 v3, 0x80000000, v6
	s_delay_alu instid0(VALU_DEP_3) | instskip(NEXT) | instid1(VALU_DEP_3)
	v_lshl_add_u32 v6, v7, 23, 0x37800000
	v_lshlrev_b32_e32 v2, 21, v2
	s_delay_alu instid0(VALU_DEP_1) | instskip(NEXT) | instid1(VALU_DEP_1)
	v_or3_b32 v2, v3, v6, v2
	v_trunc_f32_e32 v2, v2
	s_delay_alu instid0(VALU_DEP_1) | instskip(NEXT) | instid1(VALU_DEP_1)
	v_mul_f32_e64 v3, 0x2f800000, |v2|
	v_floor_f32_e32 v3, v3
	s_delay_alu instid0(VALU_DEP_1) | instskip(SKIP_2) | instid1(VALU_DEP_3)
	v_fma_f32 v6, 0xcf800000, v3, |v2|
	v_ashrrev_i32_e32 v2, 31, v2
	v_cvt_u32_f32_e32 v7, v3
	v_cvt_u32_f32_e32 v6, v6
	s_delay_alu instid0(VALU_DEP_2) | instskip(NEXT) | instid1(VALU_DEP_2)
	v_dual_mov_b32 v3, v2 :: v_dual_bitop2_b32 v7, v7, v2 bitop3:0x14
	v_xor_b32_e32 v6, v6, v2
	s_delay_alu instid0(VALU_DEP_1)
	v_sub_nc_u64_e32 v[2:3], v[6:7], v[2:3]
.LBB126_1190:
	s_or_b32 exec_lo, exec_lo, s35
	s_mov_b32 s35, 0
	s_branch .LBB126_1196
.LBB126_1191:
	s_mov_b32 s36, -1
                                        ; implicit-def: $vgpr2_vgpr3
	s_branch .LBB126_1202
.LBB126_1192:
	s_and_not1_saveexec_b32 s35, s35
	s_cbranch_execz .LBB126_1177
.LBB126_1193:
	v_cmp_ne_u16_e32 vcc_lo, 0, v6
	s_and_not1_b32 s36, s36, exec_lo
	s_and_b32 s37, vcc_lo, exec_lo
	s_delay_alu instid0(SALU_CYCLE_1)
	s_or_b32 s36, s36, s37
	s_or_b32 exec_lo, exec_lo, s35
	v_mov_b64_e32 v[2:3], 0
	s_and_saveexec_b32 s35, s36
	s_cbranch_execnz .LBB126_1178
	s_branch .LBB126_1179
.LBB126_1194:
	s_mov_b32 s35, -1
                                        ; implicit-def: $vgpr2_vgpr3
	s_branch .LBB126_1199
.LBB126_1195:
	s_mov_b32 s35, -1
                                        ; implicit-def: $vgpr2_vgpr3
.LBB126_1196:
	s_delay_alu instid0(SALU_CYCLE_1)
	s_and_b32 vcc_lo, exec_lo, s35
	s_cbranch_vccz .LBB126_1198
; %bb.1197:
	s_wait_loadcnt 0x0
	global_load_u8 v2, v[4:5], off
	s_wait_loadcnt 0x0
	v_lshlrev_b32_e32 v2, 24, v2
	s_delay_alu instid0(VALU_DEP_1) | instskip(NEXT) | instid1(VALU_DEP_1)
	v_and_b32_e32 v3, 0x7f000000, v2
	v_clz_i32_u32_e32 v6, v3
	v_cmp_ne_u32_e32 vcc_lo, 0, v3
	v_add_nc_u32_e32 v8, 0x1000000, v3
	s_delay_alu instid0(VALU_DEP_3) | instskip(NEXT) | instid1(VALU_DEP_1)
	v_min_u32_e32 v6, 32, v6
	v_sub_nc_u32_e64 v6, v6, 4 clamp
	s_delay_alu instid0(VALU_DEP_1) | instskip(NEXT) | instid1(VALU_DEP_1)
	v_dual_lshlrev_b32 v7, v6, v3 :: v_dual_lshlrev_b32 v6, 23, v6
	v_lshrrev_b32_e32 v7, 4, v7
	s_delay_alu instid0(VALU_DEP_1) | instskip(NEXT) | instid1(VALU_DEP_1)
	v_dual_sub_nc_u32 v6, v7, v6 :: v_dual_ashrrev_i32 v7, 8, v8
	v_add_nc_u32_e32 v6, 0x3c000000, v6
	s_delay_alu instid0(VALU_DEP_1) | instskip(NEXT) | instid1(VALU_DEP_1)
	v_and_or_b32 v6, 0x7f800000, v7, v6
	v_cndmask_b32_e32 v3, 0, v6, vcc_lo
	s_delay_alu instid0(VALU_DEP_1) | instskip(NEXT) | instid1(VALU_DEP_1)
	v_and_or_b32 v2, 0x80000000, v2, v3
	v_trunc_f32_e32 v2, v2
	s_delay_alu instid0(VALU_DEP_1) | instskip(NEXT) | instid1(VALU_DEP_1)
	v_mul_f32_e64 v3, 0x2f800000, |v2|
	v_floor_f32_e32 v3, v3
	s_delay_alu instid0(VALU_DEP_1) | instskip(SKIP_2) | instid1(VALU_DEP_3)
	v_fma_f32 v6, 0xcf800000, v3, |v2|
	v_ashrrev_i32_e32 v2, 31, v2
	v_cvt_u32_f32_e32 v7, v3
	v_cvt_u32_f32_e32 v6, v6
	s_delay_alu instid0(VALU_DEP_2) | instskip(NEXT) | instid1(VALU_DEP_2)
	v_dual_mov_b32 v3, v2 :: v_dual_bitop2_b32 v7, v7, v2 bitop3:0x14
	v_xor_b32_e32 v6, v6, v2
	s_delay_alu instid0(VALU_DEP_1)
	v_sub_nc_u64_e32 v[2:3], v[6:7], v[2:3]
.LBB126_1198:
	s_mov_b32 s35, 0
.LBB126_1199:
	s_delay_alu instid0(SALU_CYCLE_1)
	s_and_not1_b32 vcc_lo, exec_lo, s35
	s_cbranch_vccnz .LBB126_1201
; %bb.1200:
	s_wait_loadcnt 0x0
	global_load_u8 v2, v[4:5], off
	s_wait_loadcnt 0x0
	v_lshlrev_b32_e32 v3, 25, v2
	v_lshlrev_b16 v2, 8, v2
	s_delay_alu instid0(VALU_DEP_1) | instskip(SKIP_1) | instid1(VALU_DEP_2)
	v_and_or_b32 v7, 0x7f00, v2, 0.5
	v_bfe_i32 v2, v2, 0, 16
	v_add_f32_e32 v7, -0.5, v7
	v_lshrrev_b32_e32 v6, 4, v3
	v_cmp_gt_u32_e32 vcc_lo, 0x8000000, v3
	s_delay_alu instid0(VALU_DEP_2) | instskip(NEXT) | instid1(VALU_DEP_1)
	v_or_b32_e32 v6, 0x70000000, v6
	v_mul_f32_e32 v6, 0x7800000, v6
	s_delay_alu instid0(VALU_DEP_1) | instskip(NEXT) | instid1(VALU_DEP_1)
	v_cndmask_b32_e32 v3, v6, v7, vcc_lo
	v_and_or_b32 v2, 0x80000000, v2, v3
	s_delay_alu instid0(VALU_DEP_1) | instskip(NEXT) | instid1(VALU_DEP_1)
	v_trunc_f32_e32 v2, v2
	v_mul_f32_e64 v3, 0x2f800000, |v2|
	s_delay_alu instid0(VALU_DEP_1) | instskip(NEXT) | instid1(VALU_DEP_1)
	v_floor_f32_e32 v3, v3
	v_fma_f32 v6, 0xcf800000, v3, |v2|
	v_ashrrev_i32_e32 v2, 31, v2
	v_cvt_u32_f32_e32 v7, v3
	s_delay_alu instid0(VALU_DEP_3) | instskip(NEXT) | instid1(VALU_DEP_2)
	v_cvt_u32_f32_e32 v6, v6
	v_dual_mov_b32 v3, v2 :: v_dual_bitop2_b32 v7, v7, v2 bitop3:0x14
	s_delay_alu instid0(VALU_DEP_2) | instskip(NEXT) | instid1(VALU_DEP_1)
	v_xor_b32_e32 v6, v6, v2
	v_sub_nc_u64_e32 v[2:3], v[6:7], v[2:3]
.LBB126_1201:
	s_mov_b32 s36, 0
	s_mov_b32 s35, -1
.LBB126_1202:
	s_and_not1_b32 vcc_lo, exec_lo, s36
	s_cbranch_vccnz .LBB126_1215
; %bb.1203:
	s_cmp_gt_i32 s34, 14
	s_cbranch_scc0 .LBB126_1206
; %bb.1204:
	s_cmp_eq_u32 s34, 15
	s_cbranch_scc0 .LBB126_1209
; %bb.1205:
	s_wait_loadcnt 0x0
	global_load_u16 v2, v[4:5], off
	s_mov_b32 s35, -1
	s_mov_b32 s33, 0
	s_wait_loadcnt 0x0
	v_lshlrev_b32_e32 v2, 16, v2
	s_delay_alu instid0(VALU_DEP_1) | instskip(NEXT) | instid1(VALU_DEP_1)
	v_trunc_f32_e32 v2, v2
	v_mul_f32_e64 v3, 0x2f800000, |v2|
	s_delay_alu instid0(VALU_DEP_1) | instskip(NEXT) | instid1(VALU_DEP_1)
	v_floor_f32_e32 v3, v3
	v_fma_f32 v6, 0xcf800000, v3, |v2|
	v_ashrrev_i32_e32 v2, 31, v2
	v_cvt_u32_f32_e32 v7, v3
	s_delay_alu instid0(VALU_DEP_3) | instskip(NEXT) | instid1(VALU_DEP_2)
	v_cvt_u32_f32_e32 v6, v6
	v_dual_mov_b32 v3, v2 :: v_dual_bitop2_b32 v7, v7, v2 bitop3:0x14
	s_delay_alu instid0(VALU_DEP_2) | instskip(NEXT) | instid1(VALU_DEP_1)
	v_xor_b32_e32 v6, v6, v2
	v_sub_nc_u64_e32 v[2:3], v[6:7], v[2:3]
	s_branch .LBB126_1210
.LBB126_1206:
	s_mov_b32 s36, -1
                                        ; implicit-def: $vgpr2_vgpr3
	s_branch .LBB126_1211
.LBB126_1207:
	s_and_not1_saveexec_b32 s35, s35
	s_cbranch_execz .LBB126_1188
.LBB126_1208:
	v_cmp_ne_u16_e32 vcc_lo, 0, v6
	s_and_not1_b32 s36, s36, exec_lo
	s_and_b32 s37, vcc_lo, exec_lo
	s_delay_alu instid0(SALU_CYCLE_1)
	s_or_b32 s36, s36, s37
	s_or_b32 exec_lo, exec_lo, s35
	v_mov_b64_e32 v[2:3], 0
	s_and_saveexec_b32 s35, s36
	s_cbranch_execnz .LBB126_1189
	s_branch .LBB126_1190
.LBB126_1209:
	s_mov_b32 s33, -1
                                        ; implicit-def: $vgpr2_vgpr3
.LBB126_1210:
	s_mov_b32 s36, 0
.LBB126_1211:
	s_delay_alu instid0(SALU_CYCLE_1)
	s_and_b32 vcc_lo, exec_lo, s36
	s_cbranch_vccz .LBB126_1215
; %bb.1212:
	s_cmp_eq_u32 s34, 11
	s_cbranch_scc0 .LBB126_1214
; %bb.1213:
	s_wait_loadcnt 0x0
	global_load_u8 v2, v[4:5], off
	s_mov_b32 s33, 0
	s_mov_b32 s35, -1
	v_mov_b32_e32 v3, s33
	s_wait_loadcnt 0x0
	v_cmp_ne_u16_e32 vcc_lo, 0, v2
	v_cndmask_b32_e64 v2, 0, 1, vcc_lo
	s_branch .LBB126_1215
.LBB126_1214:
	s_mov_b32 s33, -1
                                        ; implicit-def: $vgpr2_vgpr3
.LBB126_1215:
	s_mov_b32 s34, 0
.LBB126_1216:
	s_delay_alu instid0(SALU_CYCLE_1)
	s_and_b32 vcc_lo, exec_lo, s34
	s_cbranch_vccz .LBB126_1265
; %bb.1217:
	s_and_b32 s0, 0xffff, s0
	s_delay_alu instid0(SALU_CYCLE_1)
	s_cmp_lt_i32 s0, 5
	s_cbranch_scc1 .LBB126_1222
; %bb.1218:
	s_cmp_lt_i32 s0, 8
	s_cbranch_scc1 .LBB126_1223
; %bb.1219:
	;; [unrolled: 3-line block ×3, first 2 shown]
	s_cmp_gt_i32 s0, 9
	s_cbranch_scc0 .LBB126_1225
; %bb.1221:
	s_wait_loadcnt 0x0
	global_load_b64 v[2:3], v[4:5], off
	s_mov_b32 s34, 0
	s_wait_loadcnt 0x0
	v_trunc_f64_e32 v[2:3], v[2:3]
	s_delay_alu instid0(VALU_DEP_1) | instskip(NEXT) | instid1(VALU_DEP_1)
	v_ldexp_f64 v[6:7], v[2:3], 0xffffffe0
	v_floor_f64_e32 v[6:7], v[6:7]
	s_delay_alu instid0(VALU_DEP_1) | instskip(SKIP_1) | instid1(VALU_DEP_2)
	v_fmamk_f64 v[8:9], v[6:7], 0xc1f00000, v[2:3]
	v_cvt_i32_f64_e32 v3, v[6:7]
	v_cvt_u32_f64_e32 v2, v[8:9]
	s_branch .LBB126_1226
.LBB126_1222:
	s_mov_b32 s34, -1
                                        ; implicit-def: $vgpr2_vgpr3
	s_branch .LBB126_1244
.LBB126_1223:
	s_mov_b32 s34, -1
                                        ; implicit-def: $vgpr2_vgpr3
	s_branch .LBB126_1232
.LBB126_1224:
	s_mov_b32 s34, -1
                                        ; implicit-def: $vgpr2_vgpr3
	s_branch .LBB126_1229
.LBB126_1225:
	s_mov_b32 s34, -1
                                        ; implicit-def: $vgpr2_vgpr3
.LBB126_1226:
	s_delay_alu instid0(SALU_CYCLE_1)
	s_and_not1_b32 vcc_lo, exec_lo, s34
	s_cbranch_vccnz .LBB126_1228
; %bb.1227:
	s_wait_loadcnt 0x0
	global_load_b32 v2, v[4:5], off
	s_wait_loadcnt 0x0
	v_trunc_f32_e32 v2, v2
	s_delay_alu instid0(VALU_DEP_1) | instskip(NEXT) | instid1(VALU_DEP_1)
	v_mul_f32_e64 v3, 0x2f800000, |v2|
	v_floor_f32_e32 v3, v3
	s_delay_alu instid0(VALU_DEP_1) | instskip(SKIP_2) | instid1(VALU_DEP_3)
	v_fma_f32 v6, 0xcf800000, v3, |v2|
	v_ashrrev_i32_e32 v2, 31, v2
	v_cvt_u32_f32_e32 v7, v3
	v_cvt_u32_f32_e32 v6, v6
	s_delay_alu instid0(VALU_DEP_2) | instskip(NEXT) | instid1(VALU_DEP_2)
	v_dual_mov_b32 v3, v2 :: v_dual_bitop2_b32 v7, v7, v2 bitop3:0x14
	v_xor_b32_e32 v6, v6, v2
	s_delay_alu instid0(VALU_DEP_1)
	v_sub_nc_u64_e32 v[2:3], v[6:7], v[2:3]
.LBB126_1228:
	s_mov_b32 s34, 0
.LBB126_1229:
	s_delay_alu instid0(SALU_CYCLE_1)
	s_and_not1_b32 vcc_lo, exec_lo, s34
	s_cbranch_vccnz .LBB126_1231
; %bb.1230:
	s_wait_loadcnt 0x0
	global_load_b32 v2, v[4:5], off
	s_wait_loadcnt 0x0
	v_cvt_f32_f16_e32 v2, v2
	s_delay_alu instid0(VALU_DEP_1) | instskip(NEXT) | instid1(VALU_DEP_1)
	v_cvt_i32_f32_e32 v2, v2
	v_ashrrev_i32_e32 v3, 31, v2
.LBB126_1231:
	s_mov_b32 s34, 0
.LBB126_1232:
	s_delay_alu instid0(SALU_CYCLE_1)
	s_and_not1_b32 vcc_lo, exec_lo, s34
	s_cbranch_vccnz .LBB126_1243
; %bb.1233:
	s_cmp_lt_i32 s0, 6
	s_cbranch_scc1 .LBB126_1236
; %bb.1234:
	s_cmp_gt_i32 s0, 6
	s_cbranch_scc0 .LBB126_1237
; %bb.1235:
	s_wait_loadcnt 0x0
	global_load_b64 v[2:3], v[4:5], off
	s_mov_b32 s34, 0
	s_wait_loadcnt 0x0
	v_trunc_f64_e32 v[2:3], v[2:3]
	s_delay_alu instid0(VALU_DEP_1) | instskip(NEXT) | instid1(VALU_DEP_1)
	v_ldexp_f64 v[6:7], v[2:3], 0xffffffe0
	v_floor_f64_e32 v[6:7], v[6:7]
	s_delay_alu instid0(VALU_DEP_1) | instskip(SKIP_1) | instid1(VALU_DEP_2)
	v_fmamk_f64 v[8:9], v[6:7], 0xc1f00000, v[2:3]
	v_cvt_i32_f64_e32 v3, v[6:7]
	v_cvt_u32_f64_e32 v2, v[8:9]
	s_branch .LBB126_1238
.LBB126_1236:
	s_mov_b32 s34, -1
                                        ; implicit-def: $vgpr2_vgpr3
	s_branch .LBB126_1241
.LBB126_1237:
	s_mov_b32 s34, -1
                                        ; implicit-def: $vgpr2_vgpr3
.LBB126_1238:
	s_delay_alu instid0(SALU_CYCLE_1)
	s_and_not1_b32 vcc_lo, exec_lo, s34
	s_cbranch_vccnz .LBB126_1240
; %bb.1239:
	s_wait_loadcnt 0x0
	global_load_b32 v2, v[4:5], off
	s_wait_loadcnt 0x0
	v_trunc_f32_e32 v2, v2
	s_delay_alu instid0(VALU_DEP_1) | instskip(NEXT) | instid1(VALU_DEP_1)
	v_mul_f32_e64 v3, 0x2f800000, |v2|
	v_floor_f32_e32 v3, v3
	s_delay_alu instid0(VALU_DEP_1) | instskip(SKIP_2) | instid1(VALU_DEP_3)
	v_fma_f32 v6, 0xcf800000, v3, |v2|
	v_ashrrev_i32_e32 v2, 31, v2
	v_cvt_u32_f32_e32 v7, v3
	v_cvt_u32_f32_e32 v6, v6
	s_delay_alu instid0(VALU_DEP_2) | instskip(NEXT) | instid1(VALU_DEP_2)
	v_dual_mov_b32 v3, v2 :: v_dual_bitop2_b32 v7, v7, v2 bitop3:0x14
	v_xor_b32_e32 v6, v6, v2
	s_delay_alu instid0(VALU_DEP_1)
	v_sub_nc_u64_e32 v[2:3], v[6:7], v[2:3]
.LBB126_1240:
	s_mov_b32 s34, 0
.LBB126_1241:
	s_delay_alu instid0(SALU_CYCLE_1)
	s_and_not1_b32 vcc_lo, exec_lo, s34
	s_cbranch_vccnz .LBB126_1243
; %bb.1242:
	s_wait_loadcnt 0x0
	global_load_u16 v2, v[4:5], off
	s_wait_loadcnt 0x0
	v_cvt_f32_f16_e32 v2, v2
	s_delay_alu instid0(VALU_DEP_1) | instskip(NEXT) | instid1(VALU_DEP_1)
	v_cvt_i32_f32_e32 v2, v2
	v_ashrrev_i32_e32 v3, 31, v2
.LBB126_1243:
	s_mov_b32 s34, 0
.LBB126_1244:
	s_delay_alu instid0(SALU_CYCLE_1)
	s_and_not1_b32 vcc_lo, exec_lo, s34
	s_cbranch_vccnz .LBB126_1264
; %bb.1245:
	s_cmp_lt_i32 s0, 2
	s_cbranch_scc1 .LBB126_1249
; %bb.1246:
	s_cmp_lt_i32 s0, 3
	s_cbranch_scc1 .LBB126_1250
; %bb.1247:
	s_cmp_gt_i32 s0, 3
	s_cbranch_scc0 .LBB126_1251
; %bb.1248:
	s_wait_loadcnt 0x0
	global_load_b64 v[2:3], v[4:5], off
	s_mov_b32 s34, 0
	s_branch .LBB126_1252
.LBB126_1249:
	s_mov_b32 s34, -1
                                        ; implicit-def: $vgpr2_vgpr3
	s_branch .LBB126_1258
.LBB126_1250:
	s_mov_b32 s34, -1
                                        ; implicit-def: $vgpr2_vgpr3
	s_branch .LBB126_1255
.LBB126_1251:
	s_mov_b32 s34, -1
                                        ; implicit-def: $vgpr2_vgpr3
.LBB126_1252:
	s_delay_alu instid0(SALU_CYCLE_1)
	s_and_not1_b32 vcc_lo, exec_lo, s34
	s_cbranch_vccnz .LBB126_1254
; %bb.1253:
	s_wait_loadcnt 0x0
	global_load_b32 v2, v[4:5], off
	s_wait_loadcnt 0x0
	v_ashrrev_i32_e32 v3, 31, v2
.LBB126_1254:
	s_mov_b32 s34, 0
.LBB126_1255:
	s_delay_alu instid0(SALU_CYCLE_1)
	s_and_not1_b32 vcc_lo, exec_lo, s34
	s_cbranch_vccnz .LBB126_1257
; %bb.1256:
	s_wait_loadcnt 0x0
	global_load_u16 v2, v[4:5], off
	s_wait_loadcnt 0x0
	v_bfe_i32 v2, v2, 0, 16
	s_delay_alu instid0(VALU_DEP_1)
	v_ashrrev_i32_e32 v3, 31, v2
.LBB126_1257:
	s_mov_b32 s34, 0
.LBB126_1258:
	s_delay_alu instid0(SALU_CYCLE_1)
	s_and_not1_b32 vcc_lo, exec_lo, s34
	s_cbranch_vccnz .LBB126_1264
; %bb.1259:
	s_cmp_gt_i32 s0, 0
	s_mov_b32 s0, 0
	s_cbranch_scc0 .LBB126_1261
; %bb.1260:
	s_wait_loadcnt 0x0
	global_load_i8 v2, v[4:5], off
	s_wait_loadcnt 0x0
	v_bfe_i32 v2, v2, 0, 16
	s_delay_alu instid0(VALU_DEP_1)
	v_ashrrev_i32_e32 v3, 31, v2
	s_branch .LBB126_1262
.LBB126_1261:
	s_mov_b32 s0, -1
                                        ; implicit-def: $vgpr2_vgpr3
.LBB126_1262:
	s_delay_alu instid0(SALU_CYCLE_1)
	s_and_not1_b32 vcc_lo, exec_lo, s0
	s_cbranch_vccnz .LBB126_1264
; %bb.1263:
	s_wait_loadcnt 0x0
	global_load_u8 v2, v[4:5], off
	s_mov_b32 s0, 0
	s_delay_alu instid0(SALU_CYCLE_1)
	v_mov_b32_e32 v3, s0
	s_wait_loadcnt 0x0
	v_and_b32_e32 v2, 0xffff, v2
.LBB126_1264:
	s_mov_b32 s35, -1
.LBB126_1265:
	s_delay_alu instid0(SALU_CYCLE_1)
	s_and_not1_b32 vcc_lo, exec_lo, s35
	s_cbranch_vccnz .LBB126_1273
; %bb.1266:
	s_wait_xcnt 0x0
	v_mul_lo_u32 v4, v26, s15
	s_and_b32 s0, 0xffff, s1
	s_delay_alu instid0(SALU_CYCLE_1) | instskip(NEXT) | instid1(VALU_DEP_1)
	s_cmp_lt_i32 s0, 11
	v_ashrrev_i32_e32 v5, 31, v4
	s_delay_alu instid0(VALU_DEP_1)
	v_add_nc_u64_e32 v[4:5], s[10:11], v[4:5]
	s_cbranch_scc1 .LBB126_1274
; %bb.1267:
	s_cmp_gt_i32 s0, 25
	s_cbranch_scc0 .LBB126_1275
; %bb.1268:
	s_cmp_gt_i32 s0, 28
	s_cbranch_scc0 .LBB126_1276
	;; [unrolled: 3-line block ×4, first 2 shown]
; %bb.1271:
	s_cmp_eq_u32 s0, 46
	s_mov_b32 s36, 0
	s_cbranch_scc0 .LBB126_1281
; %bb.1272:
	global_load_b32 v6, v[4:5], off
	s_mov_b32 s35, -1
	s_mov_b32 s34, 0
	s_wait_loadcnt 0x0
	v_lshlrev_b32_e32 v6, 16, v6
	s_delay_alu instid0(VALU_DEP_1) | instskip(NEXT) | instid1(VALU_DEP_1)
	v_trunc_f32_e32 v6, v6
	v_mul_f32_e64 v7, 0x2f800000, |v6|
	s_delay_alu instid0(VALU_DEP_1) | instskip(NEXT) | instid1(VALU_DEP_1)
	v_floor_f32_e32 v7, v7
	v_fma_f32 v8, 0xcf800000, v7, |v6|
	v_ashrrev_i32_e32 v6, 31, v6
	v_cvt_u32_f32_e32 v9, v7
	s_delay_alu instid0(VALU_DEP_3) | instskip(NEXT) | instid1(VALU_DEP_2)
	v_cvt_u32_f32_e32 v8, v8
	v_dual_mov_b32 v7, v6 :: v_dual_bitop2_b32 v9, v9, v6 bitop3:0x14
	s_delay_alu instid0(VALU_DEP_2) | instskip(NEXT) | instid1(VALU_DEP_1)
	v_xor_b32_e32 v8, v8, v6
	v_sub_nc_u64_e32 v[6:7], v[8:9], v[6:7]
	s_branch .LBB126_1283
.LBB126_1273:
	s_mov_b32 s36, 0
	s_mov_b32 s0, s26
	;; [unrolled: 1-line block ×3, first 2 shown]
	s_branch .LBB126_1518
.LBB126_1274:
	s_mov_b32 s36, -1
	s_mov_b32 s35, 0
	s_mov_b32 s34, s27
                                        ; implicit-def: $vgpr6_vgpr7
	s_branch .LBB126_1344
.LBB126_1275:
	s_mov_b32 s36, -1
	s_mov_b32 s35, 0
	s_mov_b32 s34, s27
                                        ; implicit-def: $vgpr6_vgpr7
	s_branch .LBB126_1310
.LBB126_1276:
	s_mov_b32 s36, -1
	s_mov_b32 s35, 0
	s_mov_b32 s34, s27
                                        ; implicit-def: $vgpr6_vgpr7
	s_branch .LBB126_1293
.LBB126_1277:
	s_mov_b32 s36, -1
	s_mov_b32 s35, 0
	s_mov_b32 s34, s27
                                        ; implicit-def: $vgpr6_vgpr7
	s_branch .LBB126_1288
.LBB126_1278:
	s_mov_b32 s36, -1
	s_mov_b32 s35, 0
	s_mov_b32 s34, s27
	s_branch .LBB126_1282
.LBB126_1279:
	s_and_not1_saveexec_b32 s34, s34
	s_cbranch_execz .LBB126_932
.LBB126_1280:
	v_add_f32_e64 v5, 0x42800000, |v4|
	s_and_not1_b32 s33, s33, exec_lo
	s_delay_alu instid0(VALU_DEP_1) | instskip(NEXT) | instid1(VALU_DEP_1)
	v_and_b32_e32 v5, 0xff, v5
	v_cmp_ne_u32_e32 vcc_lo, 0, v5
	s_and_b32 s35, vcc_lo, exec_lo
	s_delay_alu instid0(SALU_CYCLE_1)
	s_or_b32 s33, s33, s35
	s_or_b32 exec_lo, exec_lo, s34
	v_mov_b32_e32 v6, 0
	s_and_saveexec_b32 s34, s33
	s_cbranch_execnz .LBB126_933
	s_branch .LBB126_934
.LBB126_1281:
	s_mov_b32 s34, -1
	s_mov_b32 s35, 0
.LBB126_1282:
                                        ; implicit-def: $vgpr6_vgpr7
.LBB126_1283:
	s_and_b32 vcc_lo, exec_lo, s36
	s_cbranch_vccz .LBB126_1287
; %bb.1284:
	s_cmp_eq_u32 s0, 44
	s_cbranch_scc0 .LBB126_1286
; %bb.1285:
	global_load_u8 v10, v[4:5], off
	s_mov_b32 s34, 0
	s_mov_b32 s35, -1
	s_wait_loadcnt 0x0
	v_cmp_ne_u32_e32 vcc_lo, 0, v10
	v_lshlrev_b32_e32 v6, 23, v10
	s_delay_alu instid0(VALU_DEP_1) | instskip(NEXT) | instid1(VALU_DEP_1)
	v_trunc_f32_e32 v6, v6
	v_mul_f32_e64 v7, 0x2f800000, |v6|
	s_delay_alu instid0(VALU_DEP_1) | instskip(NEXT) | instid1(VALU_DEP_1)
	v_floor_f32_e32 v7, v7
	v_fma_f32 v8, 0xcf800000, v7, |v6|
	v_ashrrev_i32_e32 v6, 31, v6
	v_cvt_u32_f32_e32 v9, v7
	s_delay_alu instid0(VALU_DEP_3) | instskip(NEXT) | instid1(VALU_DEP_2)
	v_cvt_u32_f32_e32 v8, v8
	v_dual_mov_b32 v7, v6 :: v_dual_bitop2_b32 v9, v9, v6 bitop3:0x14
	s_delay_alu instid0(VALU_DEP_2) | instskip(NEXT) | instid1(VALU_DEP_1)
	v_xor_b32_e32 v8, v8, v6
	v_sub_nc_u64_e32 v[6:7], v[8:9], v[6:7]
	s_delay_alu instid0(VALU_DEP_1)
	v_dual_cndmask_b32 v7, 0, v7 :: v_dual_cndmask_b32 v6, 0, v6
	s_branch .LBB126_1287
.LBB126_1286:
	s_mov_b32 s34, -1
                                        ; implicit-def: $vgpr6_vgpr7
.LBB126_1287:
	s_mov_b32 s36, 0
.LBB126_1288:
	s_delay_alu instid0(SALU_CYCLE_1)
	s_and_b32 vcc_lo, exec_lo, s36
	s_cbranch_vccz .LBB126_1292
; %bb.1289:
	s_cmp_eq_u32 s0, 29
	s_cbranch_scc0 .LBB126_1291
; %bb.1290:
	global_load_b64 v[6:7], v[4:5], off
	s_mov_b32 s35, -1
	s_mov_b32 s34, 0
	s_branch .LBB126_1292
.LBB126_1291:
	s_mov_b32 s34, -1
                                        ; implicit-def: $vgpr6_vgpr7
.LBB126_1292:
	s_mov_b32 s36, 0
.LBB126_1293:
	s_delay_alu instid0(SALU_CYCLE_1)
	s_and_b32 vcc_lo, exec_lo, s36
	s_cbranch_vccz .LBB126_1309
; %bb.1294:
	s_cmp_lt_i32 s0, 27
	s_cbranch_scc1 .LBB126_1297
; %bb.1295:
	s_cmp_gt_i32 s0, 27
	s_cbranch_scc0 .LBB126_1298
; %bb.1296:
	s_wait_loadcnt 0x0
	global_load_b32 v6, v[4:5], off
	v_mov_b32_e32 v7, 0
	s_mov_b32 s35, 0
	s_branch .LBB126_1299
.LBB126_1297:
	s_mov_b32 s35, -1
                                        ; implicit-def: $vgpr6_vgpr7
	s_branch .LBB126_1302
.LBB126_1298:
	s_mov_b32 s35, -1
                                        ; implicit-def: $vgpr6_vgpr7
.LBB126_1299:
	s_delay_alu instid0(SALU_CYCLE_1)
	s_and_not1_b32 vcc_lo, exec_lo, s35
	s_cbranch_vccnz .LBB126_1301
; %bb.1300:
	s_wait_loadcnt 0x0
	global_load_u16 v6, v[4:5], off
	s_mov_b32 s35, 0
	s_delay_alu instid0(SALU_CYCLE_1)
	v_mov_b32_e32 v7, s35
	s_wait_loadcnt 0x0
	v_and_b32_e32 v6, 0xffff, v6
.LBB126_1301:
	s_mov_b32 s35, 0
.LBB126_1302:
	s_delay_alu instid0(SALU_CYCLE_1)
	s_and_not1_b32 vcc_lo, exec_lo, s35
	s_cbranch_vccnz .LBB126_1308
; %bb.1303:
	global_load_u8 v8, v[4:5], off
	s_mov_b32 s36, 0
	s_mov_b32 s35, exec_lo
	s_wait_loadcnt 0x0
	v_cmpx_lt_i16_e32 0x7f, v8
	s_xor_b32 s35, exec_lo, s35
	s_cbranch_execz .LBB126_1320
; %bb.1304:
	v_cmp_ne_u16_e32 vcc_lo, 0x80, v8
	s_and_b32 s36, vcc_lo, exec_lo
	s_and_not1_saveexec_b32 s35, s35
	s_cbranch_execnz .LBB126_1321
.LBB126_1305:
	s_or_b32 exec_lo, exec_lo, s35
	v_mov_b64_e32 v[6:7], 0
	s_and_saveexec_b32 s35, s36
	s_cbranch_execz .LBB126_1307
.LBB126_1306:
	v_and_b32_e32 v6, 0xffff, v8
	s_delay_alu instid0(VALU_DEP_1) | instskip(SKIP_1) | instid1(VALU_DEP_2)
	v_and_b32_e32 v7, 7, v6
	v_bfe_u32 v11, v6, 3, 4
	v_clz_i32_u32_e32 v9, v7
	s_delay_alu instid0(VALU_DEP_2) | instskip(NEXT) | instid1(VALU_DEP_2)
	v_cmp_eq_u32_e32 vcc_lo, 0, v11
	v_min_u32_e32 v9, 32, v9
	s_delay_alu instid0(VALU_DEP_1) | instskip(NEXT) | instid1(VALU_DEP_1)
	v_subrev_nc_u32_e32 v10, 28, v9
	v_dual_lshlrev_b32 v6, v10, v6 :: v_dual_sub_nc_u32 v9, 29, v9
	s_delay_alu instid0(VALU_DEP_1) | instskip(NEXT) | instid1(VALU_DEP_2)
	v_dual_lshlrev_b32 v8, 24, v8 :: v_dual_bitop2_b32 v6, 7, v6 bitop3:0x40
	v_cndmask_b32_e32 v9, v11, v9, vcc_lo
	s_delay_alu instid0(VALU_DEP_2) | instskip(NEXT) | instid1(VALU_DEP_3)
	v_cndmask_b32_e32 v6, v7, v6, vcc_lo
	v_and_b32_e32 v7, 0x80000000, v8
	s_delay_alu instid0(VALU_DEP_3) | instskip(NEXT) | instid1(VALU_DEP_3)
	v_lshl_add_u32 v8, v9, 23, 0x3b800000
	v_lshlrev_b32_e32 v6, 20, v6
	s_delay_alu instid0(VALU_DEP_1) | instskip(NEXT) | instid1(VALU_DEP_1)
	v_or3_b32 v6, v7, v8, v6
	v_trunc_f32_e32 v6, v6
	s_delay_alu instid0(VALU_DEP_1) | instskip(NEXT) | instid1(VALU_DEP_1)
	v_mul_f32_e64 v7, 0x2f800000, |v6|
	v_floor_f32_e32 v7, v7
	s_delay_alu instid0(VALU_DEP_1) | instskip(SKIP_2) | instid1(VALU_DEP_3)
	v_fma_f32 v8, 0xcf800000, v7, |v6|
	v_ashrrev_i32_e32 v6, 31, v6
	v_cvt_u32_f32_e32 v9, v7
	v_cvt_u32_f32_e32 v8, v8
	s_delay_alu instid0(VALU_DEP_2) | instskip(NEXT) | instid1(VALU_DEP_2)
	v_dual_mov_b32 v7, v6 :: v_dual_bitop2_b32 v9, v9, v6 bitop3:0x14
	v_xor_b32_e32 v8, v8, v6
	s_delay_alu instid0(VALU_DEP_1)
	v_sub_nc_u64_e32 v[6:7], v[8:9], v[6:7]
.LBB126_1307:
	s_or_b32 exec_lo, exec_lo, s35
.LBB126_1308:
	s_mov_b32 s35, -1
.LBB126_1309:
	s_mov_b32 s36, 0
.LBB126_1310:
	s_delay_alu instid0(SALU_CYCLE_1)
	s_and_b32 vcc_lo, exec_lo, s36
	s_cbranch_vccz .LBB126_1343
; %bb.1311:
	s_cmp_gt_i32 s0, 22
	s_cbranch_scc0 .LBB126_1319
; %bb.1312:
	s_cmp_lt_i32 s0, 24
	s_cbranch_scc1 .LBB126_1322
; %bb.1313:
	s_cmp_gt_i32 s0, 24
	s_cbranch_scc0 .LBB126_1323
; %bb.1314:
	global_load_u8 v8, v[4:5], off
	s_mov_b32 s36, 0
	s_mov_b32 s35, exec_lo
	s_wait_loadcnt 0x0
	v_cmpx_lt_i16_e32 0x7f, v8
	s_xor_b32 s35, exec_lo, s35
	s_cbranch_execz .LBB126_1335
; %bb.1315:
	v_cmp_ne_u16_e32 vcc_lo, 0x80, v8
	s_and_b32 s36, vcc_lo, exec_lo
	s_and_not1_saveexec_b32 s35, s35
	s_cbranch_execnz .LBB126_1336
.LBB126_1316:
	s_or_b32 exec_lo, exec_lo, s35
	v_mov_b64_e32 v[6:7], 0
	s_and_saveexec_b32 s35, s36
	s_cbranch_execz .LBB126_1318
.LBB126_1317:
	v_and_b32_e32 v6, 0xffff, v8
	s_delay_alu instid0(VALU_DEP_1) | instskip(SKIP_1) | instid1(VALU_DEP_2)
	v_and_b32_e32 v7, 3, v6
	v_bfe_u32 v11, v6, 2, 5
	v_clz_i32_u32_e32 v9, v7
	s_delay_alu instid0(VALU_DEP_2) | instskip(NEXT) | instid1(VALU_DEP_2)
	v_cmp_eq_u32_e32 vcc_lo, 0, v11
	v_min_u32_e32 v9, 32, v9
	s_delay_alu instid0(VALU_DEP_1) | instskip(NEXT) | instid1(VALU_DEP_1)
	v_subrev_nc_u32_e32 v10, 29, v9
	v_dual_lshlrev_b32 v6, v10, v6 :: v_dual_sub_nc_u32 v9, 30, v9
	s_delay_alu instid0(VALU_DEP_1) | instskip(NEXT) | instid1(VALU_DEP_2)
	v_dual_lshlrev_b32 v8, 24, v8 :: v_dual_bitop2_b32 v6, 3, v6 bitop3:0x40
	v_cndmask_b32_e32 v9, v11, v9, vcc_lo
	s_delay_alu instid0(VALU_DEP_2) | instskip(NEXT) | instid1(VALU_DEP_3)
	v_cndmask_b32_e32 v6, v7, v6, vcc_lo
	v_and_b32_e32 v7, 0x80000000, v8
	s_delay_alu instid0(VALU_DEP_3) | instskip(NEXT) | instid1(VALU_DEP_3)
	v_lshl_add_u32 v8, v9, 23, 0x37800000
	v_lshlrev_b32_e32 v6, 21, v6
	s_delay_alu instid0(VALU_DEP_1) | instskip(NEXT) | instid1(VALU_DEP_1)
	v_or3_b32 v6, v7, v8, v6
	v_trunc_f32_e32 v6, v6
	s_delay_alu instid0(VALU_DEP_1) | instskip(NEXT) | instid1(VALU_DEP_1)
	v_mul_f32_e64 v7, 0x2f800000, |v6|
	v_floor_f32_e32 v7, v7
	s_delay_alu instid0(VALU_DEP_1) | instskip(SKIP_2) | instid1(VALU_DEP_3)
	v_fma_f32 v8, 0xcf800000, v7, |v6|
	v_ashrrev_i32_e32 v6, 31, v6
	v_cvt_u32_f32_e32 v9, v7
	v_cvt_u32_f32_e32 v8, v8
	s_delay_alu instid0(VALU_DEP_2) | instskip(NEXT) | instid1(VALU_DEP_2)
	v_dual_mov_b32 v7, v6 :: v_dual_bitop2_b32 v9, v9, v6 bitop3:0x14
	v_xor_b32_e32 v8, v8, v6
	s_delay_alu instid0(VALU_DEP_1)
	v_sub_nc_u64_e32 v[6:7], v[8:9], v[6:7]
.LBB126_1318:
	s_or_b32 exec_lo, exec_lo, s35
	s_mov_b32 s35, 0
	s_branch .LBB126_1324
.LBB126_1319:
	s_mov_b32 s36, -1
                                        ; implicit-def: $vgpr6_vgpr7
	s_branch .LBB126_1330
.LBB126_1320:
	s_and_not1_saveexec_b32 s35, s35
	s_cbranch_execz .LBB126_1305
.LBB126_1321:
	v_cmp_ne_u16_e32 vcc_lo, 0, v8
	s_and_not1_b32 s36, s36, exec_lo
	s_and_b32 s37, vcc_lo, exec_lo
	s_delay_alu instid0(SALU_CYCLE_1)
	s_or_b32 s36, s36, s37
	s_or_b32 exec_lo, exec_lo, s35
	v_mov_b64_e32 v[6:7], 0
	s_and_saveexec_b32 s35, s36
	s_cbranch_execnz .LBB126_1306
	s_branch .LBB126_1307
.LBB126_1322:
	s_mov_b32 s35, -1
                                        ; implicit-def: $vgpr6_vgpr7
	s_branch .LBB126_1327
.LBB126_1323:
	s_mov_b32 s35, -1
                                        ; implicit-def: $vgpr6_vgpr7
.LBB126_1324:
	s_delay_alu instid0(SALU_CYCLE_1)
	s_and_b32 vcc_lo, exec_lo, s35
	s_cbranch_vccz .LBB126_1326
; %bb.1325:
	s_wait_loadcnt 0x0
	global_load_u8 v6, v[4:5], off
	s_wait_loadcnt 0x0
	v_lshlrev_b32_e32 v6, 24, v6
	s_delay_alu instid0(VALU_DEP_1) | instskip(NEXT) | instid1(VALU_DEP_1)
	v_and_b32_e32 v7, 0x7f000000, v6
	v_clz_i32_u32_e32 v8, v7
	v_cmp_ne_u32_e32 vcc_lo, 0, v7
	v_add_nc_u32_e32 v10, 0x1000000, v7
	s_delay_alu instid0(VALU_DEP_3) | instskip(NEXT) | instid1(VALU_DEP_1)
	v_min_u32_e32 v8, 32, v8
	v_sub_nc_u32_e64 v8, v8, 4 clamp
	s_delay_alu instid0(VALU_DEP_1) | instskip(NEXT) | instid1(VALU_DEP_1)
	v_dual_lshlrev_b32 v9, v8, v7 :: v_dual_lshlrev_b32 v8, 23, v8
	v_lshrrev_b32_e32 v9, 4, v9
	s_delay_alu instid0(VALU_DEP_1) | instskip(NEXT) | instid1(VALU_DEP_1)
	v_dual_sub_nc_u32 v8, v9, v8 :: v_dual_ashrrev_i32 v9, 8, v10
	v_add_nc_u32_e32 v8, 0x3c000000, v8
	s_delay_alu instid0(VALU_DEP_1) | instskip(NEXT) | instid1(VALU_DEP_1)
	v_and_or_b32 v8, 0x7f800000, v9, v8
	v_cndmask_b32_e32 v7, 0, v8, vcc_lo
	s_delay_alu instid0(VALU_DEP_1) | instskip(NEXT) | instid1(VALU_DEP_1)
	v_and_or_b32 v6, 0x80000000, v6, v7
	v_trunc_f32_e32 v6, v6
	s_delay_alu instid0(VALU_DEP_1) | instskip(NEXT) | instid1(VALU_DEP_1)
	v_mul_f32_e64 v7, 0x2f800000, |v6|
	v_floor_f32_e32 v7, v7
	s_delay_alu instid0(VALU_DEP_1) | instskip(SKIP_2) | instid1(VALU_DEP_3)
	v_fma_f32 v8, 0xcf800000, v7, |v6|
	v_ashrrev_i32_e32 v6, 31, v6
	v_cvt_u32_f32_e32 v9, v7
	v_cvt_u32_f32_e32 v8, v8
	s_delay_alu instid0(VALU_DEP_2) | instskip(NEXT) | instid1(VALU_DEP_2)
	v_dual_mov_b32 v7, v6 :: v_dual_bitop2_b32 v9, v9, v6 bitop3:0x14
	v_xor_b32_e32 v8, v8, v6
	s_delay_alu instid0(VALU_DEP_1)
	v_sub_nc_u64_e32 v[6:7], v[8:9], v[6:7]
.LBB126_1326:
	s_mov_b32 s35, 0
.LBB126_1327:
	s_delay_alu instid0(SALU_CYCLE_1)
	s_and_not1_b32 vcc_lo, exec_lo, s35
	s_cbranch_vccnz .LBB126_1329
; %bb.1328:
	s_wait_loadcnt 0x0
	global_load_u8 v6, v[4:5], off
	s_wait_loadcnt 0x0
	v_lshlrev_b32_e32 v7, 25, v6
	v_lshlrev_b16 v6, 8, v6
	s_delay_alu instid0(VALU_DEP_1) | instskip(SKIP_1) | instid1(VALU_DEP_2)
	v_and_or_b32 v9, 0x7f00, v6, 0.5
	v_bfe_i32 v6, v6, 0, 16
	v_dual_add_f32 v9, -0.5, v9 :: v_dual_lshrrev_b32 v8, 4, v7
	v_cmp_gt_u32_e32 vcc_lo, 0x8000000, v7
	s_delay_alu instid0(VALU_DEP_2) | instskip(NEXT) | instid1(VALU_DEP_1)
	v_or_b32_e32 v8, 0x70000000, v8
	v_mul_f32_e32 v8, 0x7800000, v8
	s_delay_alu instid0(VALU_DEP_1) | instskip(NEXT) | instid1(VALU_DEP_1)
	v_cndmask_b32_e32 v7, v8, v9, vcc_lo
	v_and_or_b32 v6, 0x80000000, v6, v7
	s_delay_alu instid0(VALU_DEP_1) | instskip(NEXT) | instid1(VALU_DEP_1)
	v_trunc_f32_e32 v6, v6
	v_mul_f32_e64 v7, 0x2f800000, |v6|
	s_delay_alu instid0(VALU_DEP_1) | instskip(NEXT) | instid1(VALU_DEP_1)
	v_floor_f32_e32 v7, v7
	v_fma_f32 v8, 0xcf800000, v7, |v6|
	v_ashrrev_i32_e32 v6, 31, v6
	v_cvt_u32_f32_e32 v9, v7
	s_delay_alu instid0(VALU_DEP_3) | instskip(NEXT) | instid1(VALU_DEP_2)
	v_cvt_u32_f32_e32 v8, v8
	v_dual_mov_b32 v7, v6 :: v_dual_bitop2_b32 v9, v9, v6 bitop3:0x14
	s_delay_alu instid0(VALU_DEP_2) | instskip(NEXT) | instid1(VALU_DEP_1)
	v_xor_b32_e32 v8, v8, v6
	v_sub_nc_u64_e32 v[6:7], v[8:9], v[6:7]
.LBB126_1329:
	s_mov_b32 s36, 0
	s_mov_b32 s35, -1
.LBB126_1330:
	s_and_not1_b32 vcc_lo, exec_lo, s36
	s_cbranch_vccnz .LBB126_1343
; %bb.1331:
	s_cmp_gt_i32 s0, 14
	s_cbranch_scc0 .LBB126_1334
; %bb.1332:
	s_cmp_eq_u32 s0, 15
	s_cbranch_scc0 .LBB126_1337
; %bb.1333:
	s_wait_loadcnt 0x0
	global_load_u16 v6, v[4:5], off
	s_mov_b32 s35, -1
	s_mov_b32 s34, 0
	s_wait_loadcnt 0x0
	v_lshlrev_b32_e32 v6, 16, v6
	s_delay_alu instid0(VALU_DEP_1) | instskip(NEXT) | instid1(VALU_DEP_1)
	v_trunc_f32_e32 v6, v6
	v_mul_f32_e64 v7, 0x2f800000, |v6|
	s_delay_alu instid0(VALU_DEP_1) | instskip(NEXT) | instid1(VALU_DEP_1)
	v_floor_f32_e32 v7, v7
	v_fma_f32 v8, 0xcf800000, v7, |v6|
	v_ashrrev_i32_e32 v6, 31, v6
	v_cvt_u32_f32_e32 v9, v7
	s_delay_alu instid0(VALU_DEP_3) | instskip(NEXT) | instid1(VALU_DEP_2)
	v_cvt_u32_f32_e32 v8, v8
	v_dual_mov_b32 v7, v6 :: v_dual_bitop2_b32 v9, v9, v6 bitop3:0x14
	s_delay_alu instid0(VALU_DEP_2) | instskip(NEXT) | instid1(VALU_DEP_1)
	v_xor_b32_e32 v8, v8, v6
	v_sub_nc_u64_e32 v[6:7], v[8:9], v[6:7]
	s_branch .LBB126_1338
.LBB126_1334:
	s_mov_b32 s36, -1
                                        ; implicit-def: $vgpr6_vgpr7
	s_branch .LBB126_1339
.LBB126_1335:
	s_and_not1_saveexec_b32 s35, s35
	s_cbranch_execz .LBB126_1316
.LBB126_1336:
	v_cmp_ne_u16_e32 vcc_lo, 0, v8
	s_and_not1_b32 s36, s36, exec_lo
	s_and_b32 s37, vcc_lo, exec_lo
	s_delay_alu instid0(SALU_CYCLE_1)
	s_or_b32 s36, s36, s37
	s_or_b32 exec_lo, exec_lo, s35
	v_mov_b64_e32 v[6:7], 0
	s_and_saveexec_b32 s35, s36
	s_cbranch_execnz .LBB126_1317
	s_branch .LBB126_1318
.LBB126_1337:
	s_mov_b32 s34, -1
                                        ; implicit-def: $vgpr6_vgpr7
.LBB126_1338:
	s_mov_b32 s36, 0
.LBB126_1339:
	s_delay_alu instid0(SALU_CYCLE_1)
	s_and_b32 vcc_lo, exec_lo, s36
	s_cbranch_vccz .LBB126_1343
; %bb.1340:
	s_cmp_eq_u32 s0, 11
	s_cbranch_scc0 .LBB126_1342
; %bb.1341:
	s_wait_loadcnt 0x0
	global_load_u8 v6, v[4:5], off
	s_mov_b32 s34, 0
	s_mov_b32 s35, -1
	v_mov_b32_e32 v7, s34
	s_wait_loadcnt 0x0
	v_cmp_ne_u16_e32 vcc_lo, 0, v6
	v_cndmask_b32_e64 v6, 0, 1, vcc_lo
	s_branch .LBB126_1343
.LBB126_1342:
	s_mov_b32 s34, -1
                                        ; implicit-def: $vgpr6_vgpr7
.LBB126_1343:
	s_mov_b32 s36, 0
.LBB126_1344:
	s_delay_alu instid0(SALU_CYCLE_1)
	s_and_b32 vcc_lo, exec_lo, s36
	s_cbranch_vccz .LBB126_1393
; %bb.1345:
	s_cmp_lt_i32 s0, 5
	s_cbranch_scc1 .LBB126_1350
; %bb.1346:
	s_cmp_lt_i32 s0, 8
	s_cbranch_scc1 .LBB126_1351
	;; [unrolled: 3-line block ×3, first 2 shown]
; %bb.1348:
	s_cmp_gt_i32 s0, 9
	s_cbranch_scc0 .LBB126_1353
; %bb.1349:
	s_wait_loadcnt 0x0
	global_load_b64 v[6:7], v[4:5], off
	s_mov_b32 s35, 0
	s_wait_loadcnt 0x0
	v_trunc_f64_e32 v[6:7], v[6:7]
	s_delay_alu instid0(VALU_DEP_1) | instskip(NEXT) | instid1(VALU_DEP_1)
	v_ldexp_f64 v[8:9], v[6:7], 0xffffffe0
	v_floor_f64_e32 v[8:9], v[8:9]
	s_delay_alu instid0(VALU_DEP_1) | instskip(SKIP_1) | instid1(VALU_DEP_2)
	v_fmamk_f64 v[10:11], v[8:9], 0xc1f00000, v[6:7]
	v_cvt_i32_f64_e32 v7, v[8:9]
	v_cvt_u32_f64_e32 v6, v[10:11]
	s_branch .LBB126_1354
.LBB126_1350:
	s_mov_b32 s35, -1
                                        ; implicit-def: $vgpr6_vgpr7
	s_branch .LBB126_1372
.LBB126_1351:
	s_mov_b32 s35, -1
                                        ; implicit-def: $vgpr6_vgpr7
	s_branch .LBB126_1360
.LBB126_1352:
	s_mov_b32 s35, -1
                                        ; implicit-def: $vgpr6_vgpr7
	s_branch .LBB126_1357
.LBB126_1353:
	s_mov_b32 s35, -1
                                        ; implicit-def: $vgpr6_vgpr7
.LBB126_1354:
	s_delay_alu instid0(SALU_CYCLE_1)
	s_and_not1_b32 vcc_lo, exec_lo, s35
	s_cbranch_vccnz .LBB126_1356
; %bb.1355:
	s_wait_loadcnt 0x0
	global_load_b32 v6, v[4:5], off
	s_wait_loadcnt 0x0
	v_trunc_f32_e32 v6, v6
	s_delay_alu instid0(VALU_DEP_1) | instskip(NEXT) | instid1(VALU_DEP_1)
	v_mul_f32_e64 v7, 0x2f800000, |v6|
	v_floor_f32_e32 v7, v7
	s_delay_alu instid0(VALU_DEP_1) | instskip(SKIP_2) | instid1(VALU_DEP_3)
	v_fma_f32 v8, 0xcf800000, v7, |v6|
	v_ashrrev_i32_e32 v6, 31, v6
	v_cvt_u32_f32_e32 v9, v7
	v_cvt_u32_f32_e32 v8, v8
	s_delay_alu instid0(VALU_DEP_2) | instskip(NEXT) | instid1(VALU_DEP_2)
	v_dual_mov_b32 v7, v6 :: v_dual_bitop2_b32 v9, v9, v6 bitop3:0x14
	v_xor_b32_e32 v8, v8, v6
	s_delay_alu instid0(VALU_DEP_1)
	v_sub_nc_u64_e32 v[6:7], v[8:9], v[6:7]
.LBB126_1356:
	s_mov_b32 s35, 0
.LBB126_1357:
	s_delay_alu instid0(SALU_CYCLE_1)
	s_and_not1_b32 vcc_lo, exec_lo, s35
	s_cbranch_vccnz .LBB126_1359
; %bb.1358:
	s_wait_loadcnt 0x0
	global_load_b32 v6, v[4:5], off
	s_wait_loadcnt 0x0
	v_cvt_f32_f16_e32 v6, v6
	s_delay_alu instid0(VALU_DEP_1) | instskip(NEXT) | instid1(VALU_DEP_1)
	v_cvt_i32_f32_e32 v6, v6
	v_ashrrev_i32_e32 v7, 31, v6
.LBB126_1359:
	s_mov_b32 s35, 0
.LBB126_1360:
	s_delay_alu instid0(SALU_CYCLE_1)
	s_and_not1_b32 vcc_lo, exec_lo, s35
	s_cbranch_vccnz .LBB126_1371
; %bb.1361:
	s_cmp_lt_i32 s0, 6
	s_cbranch_scc1 .LBB126_1364
; %bb.1362:
	s_cmp_gt_i32 s0, 6
	s_cbranch_scc0 .LBB126_1365
; %bb.1363:
	s_wait_loadcnt 0x0
	global_load_b64 v[6:7], v[4:5], off
	s_mov_b32 s35, 0
	s_wait_loadcnt 0x0
	v_trunc_f64_e32 v[6:7], v[6:7]
	s_delay_alu instid0(VALU_DEP_1) | instskip(NEXT) | instid1(VALU_DEP_1)
	v_ldexp_f64 v[8:9], v[6:7], 0xffffffe0
	v_floor_f64_e32 v[8:9], v[8:9]
	s_delay_alu instid0(VALU_DEP_1) | instskip(SKIP_1) | instid1(VALU_DEP_2)
	v_fmamk_f64 v[10:11], v[8:9], 0xc1f00000, v[6:7]
	v_cvt_i32_f64_e32 v7, v[8:9]
	v_cvt_u32_f64_e32 v6, v[10:11]
	s_branch .LBB126_1366
.LBB126_1364:
	s_mov_b32 s35, -1
                                        ; implicit-def: $vgpr6_vgpr7
	s_branch .LBB126_1369
.LBB126_1365:
	s_mov_b32 s35, -1
                                        ; implicit-def: $vgpr6_vgpr7
.LBB126_1366:
	s_delay_alu instid0(SALU_CYCLE_1)
	s_and_not1_b32 vcc_lo, exec_lo, s35
	s_cbranch_vccnz .LBB126_1368
; %bb.1367:
	s_wait_loadcnt 0x0
	global_load_b32 v6, v[4:5], off
	s_wait_loadcnt 0x0
	v_trunc_f32_e32 v6, v6
	s_delay_alu instid0(VALU_DEP_1) | instskip(NEXT) | instid1(VALU_DEP_1)
	v_mul_f32_e64 v7, 0x2f800000, |v6|
	v_floor_f32_e32 v7, v7
	s_delay_alu instid0(VALU_DEP_1) | instskip(SKIP_2) | instid1(VALU_DEP_3)
	v_fma_f32 v8, 0xcf800000, v7, |v6|
	v_ashrrev_i32_e32 v6, 31, v6
	v_cvt_u32_f32_e32 v9, v7
	v_cvt_u32_f32_e32 v8, v8
	s_delay_alu instid0(VALU_DEP_2) | instskip(NEXT) | instid1(VALU_DEP_2)
	v_dual_mov_b32 v7, v6 :: v_dual_bitop2_b32 v9, v9, v6 bitop3:0x14
	v_xor_b32_e32 v8, v8, v6
	s_delay_alu instid0(VALU_DEP_1)
	v_sub_nc_u64_e32 v[6:7], v[8:9], v[6:7]
.LBB126_1368:
	s_mov_b32 s35, 0
.LBB126_1369:
	s_delay_alu instid0(SALU_CYCLE_1)
	s_and_not1_b32 vcc_lo, exec_lo, s35
	s_cbranch_vccnz .LBB126_1371
; %bb.1370:
	s_wait_loadcnt 0x0
	global_load_u16 v6, v[4:5], off
	s_wait_loadcnt 0x0
	v_cvt_f32_f16_e32 v6, v6
	s_delay_alu instid0(VALU_DEP_1) | instskip(NEXT) | instid1(VALU_DEP_1)
	v_cvt_i32_f32_e32 v6, v6
	v_ashrrev_i32_e32 v7, 31, v6
.LBB126_1371:
	s_mov_b32 s35, 0
.LBB126_1372:
	s_delay_alu instid0(SALU_CYCLE_1)
	s_and_not1_b32 vcc_lo, exec_lo, s35
	s_cbranch_vccnz .LBB126_1392
; %bb.1373:
	s_cmp_lt_i32 s0, 2
	s_cbranch_scc1 .LBB126_1377
; %bb.1374:
	s_cmp_lt_i32 s0, 3
	s_cbranch_scc1 .LBB126_1378
; %bb.1375:
	s_cmp_gt_i32 s0, 3
	s_cbranch_scc0 .LBB126_1379
; %bb.1376:
	s_wait_loadcnt 0x0
	global_load_b64 v[6:7], v[4:5], off
	s_mov_b32 s35, 0
	s_branch .LBB126_1380
.LBB126_1377:
	s_mov_b32 s35, -1
                                        ; implicit-def: $vgpr6_vgpr7
	s_branch .LBB126_1386
.LBB126_1378:
	s_mov_b32 s35, -1
                                        ; implicit-def: $vgpr6_vgpr7
	s_branch .LBB126_1383
.LBB126_1379:
	s_mov_b32 s35, -1
                                        ; implicit-def: $vgpr6_vgpr7
.LBB126_1380:
	s_delay_alu instid0(SALU_CYCLE_1)
	s_and_not1_b32 vcc_lo, exec_lo, s35
	s_cbranch_vccnz .LBB126_1382
; %bb.1381:
	s_wait_loadcnt 0x0
	global_load_b32 v6, v[4:5], off
	s_wait_loadcnt 0x0
	v_ashrrev_i32_e32 v7, 31, v6
.LBB126_1382:
	s_mov_b32 s35, 0
.LBB126_1383:
	s_delay_alu instid0(SALU_CYCLE_1)
	s_and_not1_b32 vcc_lo, exec_lo, s35
	s_cbranch_vccnz .LBB126_1385
; %bb.1384:
	s_wait_loadcnt 0x0
	global_load_u16 v6, v[4:5], off
	s_wait_loadcnt 0x0
	v_bfe_i32 v6, v6, 0, 16
	s_delay_alu instid0(VALU_DEP_1)
	v_ashrrev_i32_e32 v7, 31, v6
.LBB126_1385:
	s_mov_b32 s35, 0
.LBB126_1386:
	s_delay_alu instid0(SALU_CYCLE_1)
	s_and_not1_b32 vcc_lo, exec_lo, s35
	s_cbranch_vccnz .LBB126_1392
; %bb.1387:
	s_cmp_gt_i32 s0, 0
	s_mov_b32 s0, 0
	s_cbranch_scc0 .LBB126_1389
; %bb.1388:
	s_wait_loadcnt 0x0
	global_load_i8 v6, v[4:5], off
	s_wait_loadcnt 0x0
	v_bfe_i32 v6, v6, 0, 16
	s_delay_alu instid0(VALU_DEP_1)
	v_ashrrev_i32_e32 v7, 31, v6
	s_branch .LBB126_1390
.LBB126_1389:
	s_mov_b32 s0, -1
                                        ; implicit-def: $vgpr6_vgpr7
.LBB126_1390:
	s_delay_alu instid0(SALU_CYCLE_1)
	s_and_not1_b32 vcc_lo, exec_lo, s0
	s_cbranch_vccnz .LBB126_1392
; %bb.1391:
	global_load_u8 v4, v[4:5], off
	s_mov_b32 s0, 0
	s_wait_loadcnt 0x1
	v_mov_b32_e32 v7, s0
	s_wait_loadcnt 0x0
	v_and_b32_e32 v6, 0xffff, v4
.LBB126_1392:
	s_mov_b32 s35, -1
.LBB126_1393:
	s_delay_alu instid0(SALU_CYCLE_1)
	s_and_not1_b32 vcc_lo, exec_lo, s35
	s_cbranch_vccnz .LBB126_1401
; %bb.1394:
	s_wait_loadcnt 0x0
	s_delay_alu instid0(VALU_DEP_4) | instskip(SKIP_2) | instid1(SALU_CYCLE_1)
	v_max_i64 v[0:1], v[0:1], v[2:3]
	v_mul_lo_u32 v2, v26, s12
	s_and_b32 s35, s2, 0xff
	s_cmp_lt_i32 s35, 11
	s_delay_alu instid0(VALU_DEP_1) | instskip(NEXT) | instid1(VALU_DEP_1)
	v_ashrrev_i32_e32 v3, 31, v2
	v_add_nc_u64_e32 v[2:3], s[4:5], v[2:3]
	s_delay_alu instid0(VALU_DEP_4)
	v_min_i64 v[0:1], v[0:1], v[6:7]
	s_cbranch_scc1 .LBB126_1402
; %bb.1395:
	s_and_b32 s36, 0xffff, s35
	s_delay_alu instid0(SALU_CYCLE_1)
	s_cmp_gt_i32 s36, 25
	s_cbranch_scc0 .LBB126_1403
; %bb.1396:
	s_cmp_gt_i32 s36, 28
	s_cbranch_scc0 .LBB126_1404
; %bb.1397:
	;; [unrolled: 3-line block ×4, first 2 shown]
	s_mov_b32 s38, 0
	s_mov_b32 s0, -1
	s_cmp_eq_u32 s36, 46
	s_mov_b32 s37, 0
	s_cbranch_scc0 .LBB126_1407
; %bb.1400:
	s_wait_xcnt 0x0
	s_delay_alu instid0(VALU_DEP_1) | instskip(SKIP_3) | instid1(VALU_DEP_2)
	v_xor_b32_e32 v4, v0, v1
	v_cls_i32_e32 v5, v1
	s_mov_b32 s37, -1
	s_mov_b32 s0, 0
	v_ashrrev_i32_e32 v4, 31, v4
	s_delay_alu instid0(VALU_DEP_1) | instskip(NEXT) | instid1(VALU_DEP_1)
	v_add_nc_u32_e32 v4, 32, v4
	v_add_min_u32_e64 v6, v5, -1, v4
	s_delay_alu instid0(VALU_DEP_1) | instskip(NEXT) | instid1(VALU_DEP_1)
	v_lshlrev_b64_e32 v[4:5], v6, v[0:1]
	v_min_u32_e32 v4, 1, v4
	s_delay_alu instid0(VALU_DEP_1) | instskip(NEXT) | instid1(VALU_DEP_1)
	v_dual_sub_nc_u32 v5, 32, v6 :: v_dual_bitop2_b32 v4, v5, v4 bitop3:0x54
	v_cvt_f32_i32_e32 v4, v4
	s_delay_alu instid0(VALU_DEP_1) | instskip(NEXT) | instid1(VALU_DEP_1)
	v_ldexp_f32 v4, v4, v5
	v_bfe_u32 v5, v4, 16, 1
	s_delay_alu instid0(VALU_DEP_1) | instskip(NEXT) | instid1(VALU_DEP_1)
	v_add3_u32 v4, v4, v5, 0x7fff
	v_lshrrev_b32_e32 v4, 16, v4
	global_store_b32 v[2:3], v4, off
	s_branch .LBB126_1407
.LBB126_1401:
	s_mov_b32 s36, 0
	s_mov_b32 s0, s26
	s_branch .LBB126_1518
.LBB126_1402:
	s_mov_b32 s36, -1
	s_mov_b32 s37, 0
	s_mov_b32 s0, s26
	s_branch .LBB126_1476
.LBB126_1403:
	s_mov_b32 s38, -1
	s_mov_b32 s37, 0
	s_mov_b32 s0, s26
	s_branch .LBB126_1434
.LBB126_1404:
	s_mov_b32 s38, -1
	s_mov_b32 s37, 0
	s_mov_b32 s0, s26
	s_branch .LBB126_1417
.LBB126_1405:
	s_mov_b32 s38, -1
	s_mov_b32 s37, 0
	s_mov_b32 s0, s26
	s_branch .LBB126_1413
.LBB126_1406:
	s_mov_b32 s38, -1
	s_mov_b32 s37, 0
	s_mov_b32 s0, s26
.LBB126_1407:
	s_and_b32 vcc_lo, exec_lo, s38
	s_cbranch_vccz .LBB126_1412
; %bb.1408:
	s_cmp_eq_u32 s36, 44
	s_mov_b32 s0, -1
	s_cbranch_scc0 .LBB126_1412
; %bb.1409:
	s_wait_xcnt 0x0
	s_delay_alu instid0(VALU_DEP_1) | instskip(SKIP_3) | instid1(VALU_DEP_2)
	v_xor_b32_e32 v4, v0, v1
	v_cls_i32_e32 v5, v1
	s_mov_b32 s37, -1
	s_mov_b32 s38, exec_lo
	v_ashrrev_i32_e32 v4, 31, v4
	s_delay_alu instid0(VALU_DEP_1) | instskip(NEXT) | instid1(VALU_DEP_1)
	v_add_nc_u32_e32 v4, 32, v4
	v_add_min_u32_e64 v6, v5, -1, v4
	s_delay_alu instid0(VALU_DEP_1) | instskip(NEXT) | instid1(VALU_DEP_1)
	v_lshlrev_b64_e32 v[4:5], v6, v[0:1]
	v_min_u32_e32 v4, 1, v4
	s_delay_alu instid0(VALU_DEP_1) | instskip(NEXT) | instid1(VALU_DEP_1)
	v_dual_sub_nc_u32 v5, 32, v6 :: v_dual_bitop2_b32 v4, v5, v4 bitop3:0x54
	v_cvt_f32_i32_e32 v4, v4
	s_delay_alu instid0(VALU_DEP_1) | instskip(SKIP_1) | instid1(VALU_DEP_2)
	v_ldexp_f32 v4, v4, v5
	v_mov_b32_e32 v5, 0xff
	v_bfe_u32 v6, v4, 23, 8
	s_delay_alu instid0(VALU_DEP_1)
	v_cmpx_ne_u32_e32 0xff, v6
	s_cbranch_execz .LBB126_1411
; %bb.1410:
	v_and_b32_e32 v5, 0x400000, v4
	v_and_or_b32 v6, 0x3fffff, v4, v6
	v_lshrrev_b32_e32 v4, 23, v4
	s_delay_alu instid0(VALU_DEP_3) | instskip(NEXT) | instid1(VALU_DEP_3)
	v_cmp_ne_u32_e32 vcc_lo, 0, v5
	v_cmp_ne_u32_e64 s0, 0, v6
	s_and_b32 s0, vcc_lo, s0
	s_delay_alu instid0(SALU_CYCLE_1) | instskip(NEXT) | instid1(VALU_DEP_1)
	v_cndmask_b32_e64 v5, 0, 1, s0
	v_add_nc_u32_e32 v5, v4, v5
.LBB126_1411:
	s_or_b32 exec_lo, exec_lo, s38
	s_mov_b32 s0, 0
	global_store_b8 v[2:3], v5, off
.LBB126_1412:
	s_mov_b32 s38, 0
.LBB126_1413:
	s_delay_alu instid0(SALU_CYCLE_1)
	s_and_b32 vcc_lo, exec_lo, s38
	s_cbranch_vccz .LBB126_1416
; %bb.1414:
	s_cmp_eq_u32 s36, 29
	s_mov_b32 s0, -1
	s_cbranch_scc0 .LBB126_1416
; %bb.1415:
	s_mov_b32 s37, -1
	s_mov_b32 s0, 0
	global_store_b64 v[2:3], v[0:1], off
.LBB126_1416:
	s_mov_b32 s38, 0
.LBB126_1417:
	s_delay_alu instid0(SALU_CYCLE_1)
	s_and_b32 vcc_lo, exec_lo, s38
	s_cbranch_vccz .LBB126_1433
; %bb.1418:
	s_cmp_lt_i32 s36, 27
	s_mov_b32 s37, -1
	s_cbranch_scc1 .LBB126_1424
; %bb.1419:
	s_cmp_gt_i32 s36, 27
	s_cbranch_scc0 .LBB126_1421
; %bb.1420:
	s_mov_b32 s37, 0
	global_store_b32 v[2:3], v0, off
.LBB126_1421:
	s_and_not1_b32 vcc_lo, exec_lo, s37
	s_cbranch_vccnz .LBB126_1423
; %bb.1422:
	global_store_b16 v[2:3], v0, off
.LBB126_1423:
	s_mov_b32 s37, 0
.LBB126_1424:
	s_delay_alu instid0(SALU_CYCLE_1)
	s_and_not1_b32 vcc_lo, exec_lo, s37
	s_cbranch_vccnz .LBB126_1432
; %bb.1425:
	s_wait_xcnt 0x0
	s_delay_alu instid0(VALU_DEP_1) | instskip(SKIP_2) | instid1(VALU_DEP_2)
	v_xor_b32_e32 v4, v0, v1
	v_cls_i32_e32 v5, v1
	s_mov_b32 s37, exec_lo
	v_ashrrev_i32_e32 v4, 31, v4
	s_delay_alu instid0(VALU_DEP_1) | instskip(NEXT) | instid1(VALU_DEP_1)
	v_add_nc_u32_e32 v4, 32, v4
	v_add_min_u32_e64 v6, v5, -1, v4
	s_delay_alu instid0(VALU_DEP_1) | instskip(NEXT) | instid1(VALU_DEP_1)
	v_lshlrev_b64_e32 v[4:5], v6, v[0:1]
	v_min_u32_e32 v4, 1, v4
	s_delay_alu instid0(VALU_DEP_1) | instskip(SKIP_1) | instid1(VALU_DEP_2)
	v_dual_sub_nc_u32 v5, 32, v6 :: v_dual_bitop2_b32 v4, v5, v4 bitop3:0x54
	v_mov_b32_e32 v6, 0x80
	v_cvt_f32_i32_e32 v4, v4
	s_delay_alu instid0(VALU_DEP_1) | instskip(NEXT) | instid1(VALU_DEP_1)
	v_ldexp_f32 v4, v4, v5
	v_and_b32_e32 v5, 0x7fffffff, v4
	s_delay_alu instid0(VALU_DEP_1)
	v_cmpx_gt_u32_e32 0x43800000, v5
	s_cbranch_execz .LBB126_1431
; %bb.1426:
	v_cmp_lt_u32_e32 vcc_lo, 0x3bffffff, v5
	s_mov_b32 s38, 0
                                        ; implicit-def: $vgpr5
	s_and_saveexec_b32 s39, vcc_lo
	s_delay_alu instid0(SALU_CYCLE_1)
	s_xor_b32 s39, exec_lo, s39
	s_cbranch_execz .LBB126_2655
; %bb.1427:
	v_bfe_u32 v5, v4, 20, 1
	s_mov_b32 s38, exec_lo
	s_delay_alu instid0(VALU_DEP_1) | instskip(NEXT) | instid1(VALU_DEP_1)
	v_add3_u32 v5, v4, v5, 0x487ffff
	v_lshrrev_b32_e32 v5, 20, v5
	s_and_not1_saveexec_b32 s39, s39
	s_cbranch_execnz .LBB126_2656
.LBB126_1428:
	s_or_b32 exec_lo, exec_lo, s39
	v_mov_b32_e32 v6, 0
	s_and_saveexec_b32 s39, s38
.LBB126_1429:
	v_lshrrev_b32_e32 v4, 24, v4
	s_delay_alu instid0(VALU_DEP_1)
	v_and_or_b32 v6, 0x80, v4, v5
.LBB126_1430:
	s_or_b32 exec_lo, exec_lo, s39
.LBB126_1431:
	s_delay_alu instid0(SALU_CYCLE_1)
	s_or_b32 exec_lo, exec_lo, s37
	global_store_b8 v[2:3], v6, off
.LBB126_1432:
	s_mov_b32 s37, -1
.LBB126_1433:
	s_mov_b32 s38, 0
.LBB126_1434:
	s_delay_alu instid0(SALU_CYCLE_1)
	s_and_b32 vcc_lo, exec_lo, s38
	s_cbranch_vccz .LBB126_1475
; %bb.1435:
	s_cmp_gt_i32 s36, 22
	s_mov_b32 s38, -1
	s_cbranch_scc0 .LBB126_1467
; %bb.1436:
	s_cmp_lt_i32 s36, 24
	s_mov_b32 s37, -1
	s_cbranch_scc1 .LBB126_1456
; %bb.1437:
	s_cmp_gt_i32 s36, 24
	s_cbranch_scc0 .LBB126_1445
; %bb.1438:
	s_wait_xcnt 0x0
	s_delay_alu instid0(VALU_DEP_1) | instskip(SKIP_2) | instid1(VALU_DEP_2)
	v_xor_b32_e32 v4, v0, v1
	v_cls_i32_e32 v5, v1
	s_mov_b32 s37, exec_lo
	v_ashrrev_i32_e32 v4, 31, v4
	s_delay_alu instid0(VALU_DEP_1) | instskip(NEXT) | instid1(VALU_DEP_1)
	v_add_nc_u32_e32 v4, 32, v4
	v_add_min_u32_e64 v6, v5, -1, v4
	s_delay_alu instid0(VALU_DEP_1) | instskip(NEXT) | instid1(VALU_DEP_1)
	v_lshlrev_b64_e32 v[4:5], v6, v[0:1]
	v_min_u32_e32 v4, 1, v4
	s_delay_alu instid0(VALU_DEP_1) | instskip(SKIP_1) | instid1(VALU_DEP_2)
	v_dual_sub_nc_u32 v5, 32, v6 :: v_dual_bitop2_b32 v4, v5, v4 bitop3:0x54
	v_mov_b32_e32 v6, 0x80
	v_cvt_f32_i32_e32 v4, v4
	s_delay_alu instid0(VALU_DEP_1) | instskip(NEXT) | instid1(VALU_DEP_1)
	v_ldexp_f32 v4, v4, v5
	v_and_b32_e32 v5, 0x7fffffff, v4
	s_delay_alu instid0(VALU_DEP_1)
	v_cmpx_gt_u32_e32 0x47800000, v5
	s_cbranch_execz .LBB126_1444
; %bb.1439:
	v_cmp_lt_u32_e32 vcc_lo, 0x37ffffff, v5
	s_mov_b32 s38, 0
                                        ; implicit-def: $vgpr5
	s_and_saveexec_b32 s39, vcc_lo
	s_delay_alu instid0(SALU_CYCLE_1)
	s_xor_b32 s39, exec_lo, s39
	s_cbranch_execz .LBB126_2784
; %bb.1440:
	v_bfe_u32 v5, v4, 21, 1
	s_mov_b32 s38, exec_lo
	s_delay_alu instid0(VALU_DEP_1) | instskip(NEXT) | instid1(VALU_DEP_1)
	v_add3_u32 v5, v4, v5, 0x88fffff
	v_lshrrev_b32_e32 v5, 21, v5
	s_and_not1_saveexec_b32 s39, s39
	s_cbranch_execnz .LBB126_2785
.LBB126_1441:
	s_or_b32 exec_lo, exec_lo, s39
	v_mov_b32_e32 v6, 0
	s_and_saveexec_b32 s39, s38
.LBB126_1442:
	v_lshrrev_b32_e32 v4, 24, v4
	s_delay_alu instid0(VALU_DEP_1)
	v_and_or_b32 v6, 0x80, v4, v5
.LBB126_1443:
	s_or_b32 exec_lo, exec_lo, s39
.LBB126_1444:
	s_delay_alu instid0(SALU_CYCLE_1)
	s_or_b32 exec_lo, exec_lo, s37
	s_mov_b32 s37, 0
	global_store_b8 v[2:3], v6, off
.LBB126_1445:
	s_and_b32 vcc_lo, exec_lo, s37
	s_cbranch_vccz .LBB126_1455
; %bb.1446:
	s_wait_xcnt 0x0
	s_delay_alu instid0(VALU_DEP_1) | instskip(SKIP_2) | instid1(VALU_DEP_2)
	v_xor_b32_e32 v4, v0, v1
	v_cls_i32_e32 v5, v1
	s_mov_b32 s37, exec_lo
	v_ashrrev_i32_e32 v4, 31, v4
	s_delay_alu instid0(VALU_DEP_1) | instskip(NEXT) | instid1(VALU_DEP_1)
	v_add_nc_u32_e32 v4, 32, v4
	v_add_min_u32_e64 v6, v5, -1, v4
	s_delay_alu instid0(VALU_DEP_1) | instskip(NEXT) | instid1(VALU_DEP_1)
	v_lshlrev_b64_e32 v[4:5], v6, v[0:1]
	v_min_u32_e32 v4, 1, v4
	s_delay_alu instid0(VALU_DEP_1) | instskip(NEXT) | instid1(VALU_DEP_1)
	v_dual_sub_nc_u32 v5, 32, v6 :: v_dual_bitop2_b32 v4, v5, v4 bitop3:0x54
	v_cvt_f32_i32_e32 v4, v4
	s_delay_alu instid0(VALU_DEP_1) | instskip(NEXT) | instid1(VALU_DEP_1)
	v_ldexp_f32 v4, v4, v5
                                        ; implicit-def: $vgpr5
	v_and_b32_e32 v6, 0x7fffffff, v4
	s_delay_alu instid0(VALU_DEP_1)
	v_cmpx_gt_u32_e32 0x43f00000, v6
	s_xor_b32 s37, exec_lo, s37
	s_cbranch_execz .LBB126_1452
; %bb.1447:
	s_mov_b32 s38, exec_lo
                                        ; implicit-def: $vgpr5
	v_cmpx_lt_u32_e32 0x3c7fffff, v6
	s_xor_b32 s38, exec_lo, s38
; %bb.1448:
	v_bfe_u32 v5, v4, 20, 1
	s_delay_alu instid0(VALU_DEP_1) | instskip(NEXT) | instid1(VALU_DEP_1)
	v_add3_u32 v5, v4, v5, 0x407ffff
	v_and_b32_e32 v6, 0xff00000, v5
	v_lshrrev_b32_e32 v5, 20, v5
	s_delay_alu instid0(VALU_DEP_2) | instskip(NEXT) | instid1(VALU_DEP_2)
	v_cmp_ne_u32_e32 vcc_lo, 0x7f00000, v6
	v_cndmask_b32_e32 v5, 0x7e, v5, vcc_lo
; %bb.1449:
	s_and_not1_saveexec_b32 s38, s38
; %bb.1450:
	v_add_f32_e64 v5, 0x46800000, |v4|
; %bb.1451:
	s_or_b32 exec_lo, exec_lo, s38
                                        ; implicit-def: $vgpr6
.LBB126_1452:
	s_and_not1_saveexec_b32 s37, s37
; %bb.1453:
	v_mov_b32_e32 v5, 0x7f
	v_cmp_lt_u32_e32 vcc_lo, 0x7f800000, v6
	s_delay_alu instid0(VALU_DEP_2)
	v_cndmask_b32_e32 v5, 0x7e, v5, vcc_lo
; %bb.1454:
	s_or_b32 exec_lo, exec_lo, s37
	v_lshrrev_b32_e32 v4, 24, v4
	s_delay_alu instid0(VALU_DEP_1)
	v_and_or_b32 v4, 0x80, v4, v5
	global_store_b8 v[2:3], v4, off
.LBB126_1455:
	s_mov_b32 s37, 0
.LBB126_1456:
	s_delay_alu instid0(SALU_CYCLE_1)
	s_and_not1_b32 vcc_lo, exec_lo, s37
	s_cbranch_vccnz .LBB126_1466
; %bb.1457:
	s_wait_xcnt 0x0
	s_delay_alu instid0(VALU_DEP_1) | instskip(SKIP_2) | instid1(VALU_DEP_2)
	v_xor_b32_e32 v4, v0, v1
	v_cls_i32_e32 v5, v1
	s_mov_b32 s37, exec_lo
	v_ashrrev_i32_e32 v4, 31, v4
	s_delay_alu instid0(VALU_DEP_1) | instskip(NEXT) | instid1(VALU_DEP_1)
	v_add_nc_u32_e32 v4, 32, v4
	v_add_min_u32_e64 v6, v5, -1, v4
	s_delay_alu instid0(VALU_DEP_1) | instskip(NEXT) | instid1(VALU_DEP_1)
	v_lshlrev_b64_e32 v[4:5], v6, v[0:1]
	v_min_u32_e32 v4, 1, v4
	s_delay_alu instid0(VALU_DEP_1) | instskip(NEXT) | instid1(VALU_DEP_1)
	v_dual_sub_nc_u32 v5, 32, v6 :: v_dual_bitop2_b32 v4, v5, v4 bitop3:0x54
	v_cvt_f32_i32_e32 v4, v4
	s_delay_alu instid0(VALU_DEP_1) | instskip(NEXT) | instid1(VALU_DEP_1)
	v_ldexp_f32 v4, v4, v5
                                        ; implicit-def: $vgpr5
	v_and_b32_e32 v6, 0x7fffffff, v4
	s_delay_alu instid0(VALU_DEP_1)
	v_cmpx_gt_u32_e32 0x47800000, v6
	s_xor_b32 s37, exec_lo, s37
	s_cbranch_execz .LBB126_1463
; %bb.1458:
	s_mov_b32 s38, exec_lo
                                        ; implicit-def: $vgpr5
	v_cmpx_lt_u32_e32 0x387fffff, v6
	s_xor_b32 s38, exec_lo, s38
; %bb.1459:
	v_bfe_u32 v5, v4, 21, 1
	s_delay_alu instid0(VALU_DEP_1) | instskip(NEXT) | instid1(VALU_DEP_1)
	v_add3_u32 v5, v4, v5, 0x80fffff
	v_lshrrev_b32_e32 v5, 21, v5
; %bb.1460:
	s_and_not1_saveexec_b32 s38, s38
; %bb.1461:
	v_add_f32_e64 v5, 0x43000000, |v4|
; %bb.1462:
	s_or_b32 exec_lo, exec_lo, s38
                                        ; implicit-def: $vgpr6
.LBB126_1463:
	s_and_not1_saveexec_b32 s37, s37
; %bb.1464:
	v_mov_b32_e32 v5, 0x7f
	v_cmp_lt_u32_e32 vcc_lo, 0x7f800000, v6
	s_delay_alu instid0(VALU_DEP_2)
	v_cndmask_b32_e32 v5, 0x7c, v5, vcc_lo
; %bb.1465:
	s_or_b32 exec_lo, exec_lo, s37
	v_lshrrev_b32_e32 v4, 24, v4
	s_delay_alu instid0(VALU_DEP_1)
	v_and_or_b32 v4, 0x80, v4, v5
	global_store_b8 v[2:3], v4, off
.LBB126_1466:
	s_mov_b32 s38, 0
	s_mov_b32 s37, -1
.LBB126_1467:
	s_and_not1_b32 vcc_lo, exec_lo, s38
	s_cbranch_vccnz .LBB126_1475
; %bb.1468:
	s_cmp_gt_i32 s36, 14
	s_mov_b32 s38, -1
	s_cbranch_scc0 .LBB126_1472
; %bb.1469:
	s_cmp_eq_u32 s36, 15
	s_mov_b32 s0, -1
	s_cbranch_scc0 .LBB126_1471
; %bb.1470:
	s_wait_xcnt 0x0
	s_delay_alu instid0(VALU_DEP_1) | instskip(SKIP_3) | instid1(VALU_DEP_2)
	v_xor_b32_e32 v4, v0, v1
	v_cls_i32_e32 v5, v1
	s_mov_b32 s37, -1
	s_mov_b32 s0, 0
	v_ashrrev_i32_e32 v4, 31, v4
	s_delay_alu instid0(VALU_DEP_1) | instskip(NEXT) | instid1(VALU_DEP_1)
	v_add_nc_u32_e32 v4, 32, v4
	v_add_min_u32_e64 v6, v5, -1, v4
	s_delay_alu instid0(VALU_DEP_1) | instskip(NEXT) | instid1(VALU_DEP_1)
	v_lshlrev_b64_e32 v[4:5], v6, v[0:1]
	v_min_u32_e32 v4, 1, v4
	s_delay_alu instid0(VALU_DEP_1) | instskip(NEXT) | instid1(VALU_DEP_1)
	v_dual_sub_nc_u32 v5, 32, v6 :: v_dual_bitop2_b32 v4, v5, v4 bitop3:0x54
	v_cvt_f32_i32_e32 v4, v4
	s_delay_alu instid0(VALU_DEP_1) | instskip(NEXT) | instid1(VALU_DEP_1)
	v_ldexp_f32 v4, v4, v5
	v_bfe_u32 v5, v4, 16, 1
	s_delay_alu instid0(VALU_DEP_1)
	v_add3_u32 v4, v4, v5, 0x7fff
	global_store_d16_hi_b16 v[2:3], v4, off
.LBB126_1471:
	s_mov_b32 s38, 0
.LBB126_1472:
	s_delay_alu instid0(SALU_CYCLE_1)
	s_and_b32 vcc_lo, exec_lo, s38
	s_cbranch_vccz .LBB126_1475
; %bb.1473:
	s_cmp_eq_u32 s36, 11
	s_mov_b32 s0, -1
	s_cbranch_scc0 .LBB126_1475
; %bb.1474:
	s_delay_alu instid0(VALU_DEP_1)
	v_cmp_ne_u64_e32 vcc_lo, 0, v[0:1]
	s_mov_b32 s37, -1
	s_mov_b32 s0, 0
	s_wait_xcnt 0x0
	v_cndmask_b32_e64 v4, 0, 1, vcc_lo
	global_store_b8 v[2:3], v4, off
.LBB126_1475:
	s_mov_b32 s36, 0
.LBB126_1476:
	s_delay_alu instid0(SALU_CYCLE_1)
	s_and_b32 vcc_lo, exec_lo, s36
	s_cbranch_vccz .LBB126_1515
; %bb.1477:
	s_and_b32 s35, 0xffff, s35
	s_mov_b32 s36, -1
	s_cmp_lt_i32 s35, 5
	s_cbranch_scc1 .LBB126_1498
; %bb.1478:
	s_cmp_lt_i32 s35, 8
	s_cbranch_scc1 .LBB126_1488
; %bb.1479:
	;; [unrolled: 3-line block ×3, first 2 shown]
	s_cmp_gt_i32 s35, 9
	s_cbranch_scc0 .LBB126_1482
; %bb.1481:
	s_wait_xcnt 0x0
	s_delay_alu instid0(VALU_DEP_1) | instskip(NEXT) | instid1(VALU_DEP_2)
	v_cvt_f64_i32_e32 v[4:5], v1
	v_cvt_f64_u32_e32 v[6:7], v0
	s_mov_b32 s36, 0
	s_delay_alu instid0(VALU_DEP_2) | instskip(NEXT) | instid1(VALU_DEP_1)
	v_ldexp_f64 v[4:5], v[4:5], 32
	v_dual_add_f64 v[4:5], v[4:5], v[6:7] :: v_dual_mov_b32 v6, 0
	s_delay_alu instid0(VALU_DEP_1)
	v_mov_b32_e32 v7, v6
	global_store_b128 v[2:3], v[4:7], off
.LBB126_1482:
	s_and_not1_b32 vcc_lo, exec_lo, s36
	s_cbranch_vccnz .LBB126_1484
; %bb.1483:
	s_wait_xcnt 0x0
	s_delay_alu instid0(VALU_DEP_1) | instskip(SKIP_1) | instid1(VALU_DEP_2)
	v_xor_b32_e32 v4, v0, v1
	v_cls_i32_e32 v5, v1
	v_ashrrev_i32_e32 v4, 31, v4
	s_delay_alu instid0(VALU_DEP_1) | instskip(NEXT) | instid1(VALU_DEP_1)
	v_add_nc_u32_e32 v4, 32, v4
	v_add_min_u32_e64 v6, v5, -1, v4
	s_delay_alu instid0(VALU_DEP_1) | instskip(NEXT) | instid1(VALU_DEP_1)
	v_lshlrev_b64_e32 v[4:5], v6, v[0:1]
	v_min_u32_e32 v4, 1, v4
	s_delay_alu instid0(VALU_DEP_1) | instskip(NEXT) | instid1(VALU_DEP_1)
	v_dual_sub_nc_u32 v5, 32, v6 :: v_dual_bitop2_b32 v4, v5, v4 bitop3:0x54
	v_cvt_f32_i32_e32 v4, v4
	s_delay_alu instid0(VALU_DEP_1)
	v_ldexp_f32 v4, v4, v5
	v_mov_b32_e32 v5, 0
	global_store_b64 v[2:3], v[4:5], off
.LBB126_1484:
	s_mov_b32 s36, 0
.LBB126_1485:
	s_delay_alu instid0(SALU_CYCLE_1)
	s_and_not1_b32 vcc_lo, exec_lo, s36
	s_cbranch_vccnz .LBB126_1487
; %bb.1486:
	s_wait_xcnt 0x0
	s_delay_alu instid0(VALU_DEP_1) | instskip(SKIP_1) | instid1(VALU_DEP_2)
	v_xor_b32_e32 v4, v0, v1
	v_cls_i32_e32 v5, v1
	v_ashrrev_i32_e32 v4, 31, v4
	s_delay_alu instid0(VALU_DEP_1) | instskip(NEXT) | instid1(VALU_DEP_1)
	v_add_nc_u32_e32 v4, 32, v4
	v_add_min_u32_e64 v6, v5, -1, v4
	s_delay_alu instid0(VALU_DEP_1) | instskip(NEXT) | instid1(VALU_DEP_1)
	v_lshlrev_b64_e32 v[4:5], v6, v[0:1]
	v_min_u32_e32 v4, 1, v4
	s_delay_alu instid0(VALU_DEP_1) | instskip(NEXT) | instid1(VALU_DEP_1)
	v_dual_sub_nc_u32 v5, 32, v6 :: v_dual_bitop2_b32 v4, v5, v4 bitop3:0x54
	v_cvt_f32_i32_e32 v4, v4
	s_delay_alu instid0(VALU_DEP_1) | instskip(NEXT) | instid1(VALU_DEP_1)
	v_ldexp_f32 v4, v4, v5
	v_cvt_f16_f32_e32 v4, v4
	s_delay_alu instid0(VALU_DEP_1)
	v_and_b32_e32 v4, 0xffff, v4
	global_store_b32 v[2:3], v4, off
.LBB126_1487:
	s_mov_b32 s36, 0
.LBB126_1488:
	s_delay_alu instid0(SALU_CYCLE_1)
	s_and_not1_b32 vcc_lo, exec_lo, s36
	s_cbranch_vccnz .LBB126_1497
; %bb.1489:
	s_cmp_lt_i32 s35, 6
	s_mov_b32 s36, -1
	s_cbranch_scc1 .LBB126_1495
; %bb.1490:
	s_cmp_gt_i32 s35, 6
	s_cbranch_scc0 .LBB126_1492
; %bb.1491:
	s_wait_xcnt 0x0
	s_delay_alu instid0(VALU_DEP_1) | instskip(NEXT) | instid1(VALU_DEP_2)
	v_cvt_f64_i32_e32 v[4:5], v1
	v_cvt_f64_u32_e32 v[6:7], v0
	s_mov_b32 s36, 0
	s_delay_alu instid0(VALU_DEP_2) | instskip(NEXT) | instid1(VALU_DEP_1)
	v_ldexp_f64 v[4:5], v[4:5], 32
	v_add_f64_e32 v[4:5], v[4:5], v[6:7]
	global_store_b64 v[2:3], v[4:5], off
.LBB126_1492:
	s_and_not1_b32 vcc_lo, exec_lo, s36
	s_cbranch_vccnz .LBB126_1494
; %bb.1493:
	s_wait_xcnt 0x0
	s_delay_alu instid0(VALU_DEP_1) | instskip(SKIP_1) | instid1(VALU_DEP_2)
	v_xor_b32_e32 v4, v0, v1
	v_cls_i32_e32 v5, v1
	v_ashrrev_i32_e32 v4, 31, v4
	s_delay_alu instid0(VALU_DEP_1) | instskip(NEXT) | instid1(VALU_DEP_1)
	v_add_nc_u32_e32 v4, 32, v4
	v_add_min_u32_e64 v6, v5, -1, v4
	s_delay_alu instid0(VALU_DEP_1) | instskip(NEXT) | instid1(VALU_DEP_1)
	v_lshlrev_b64_e32 v[4:5], v6, v[0:1]
	v_min_u32_e32 v4, 1, v4
	s_delay_alu instid0(VALU_DEP_1) | instskip(NEXT) | instid1(VALU_DEP_1)
	v_dual_sub_nc_u32 v5, 32, v6 :: v_dual_bitop2_b32 v4, v5, v4 bitop3:0x54
	v_cvt_f32_i32_e32 v4, v4
	s_delay_alu instid0(VALU_DEP_1)
	v_ldexp_f32 v4, v4, v5
	global_store_b32 v[2:3], v4, off
.LBB126_1494:
	s_mov_b32 s36, 0
.LBB126_1495:
	s_delay_alu instid0(SALU_CYCLE_1)
	s_and_not1_b32 vcc_lo, exec_lo, s36
	s_cbranch_vccnz .LBB126_1497
; %bb.1496:
	s_wait_xcnt 0x0
	s_delay_alu instid0(VALU_DEP_1) | instskip(SKIP_1) | instid1(VALU_DEP_2)
	v_xor_b32_e32 v4, v0, v1
	v_cls_i32_e32 v5, v1
	v_ashrrev_i32_e32 v4, 31, v4
	s_delay_alu instid0(VALU_DEP_1) | instskip(NEXT) | instid1(VALU_DEP_1)
	v_add_nc_u32_e32 v4, 32, v4
	v_add_min_u32_e64 v6, v5, -1, v4
	s_delay_alu instid0(VALU_DEP_1) | instskip(NEXT) | instid1(VALU_DEP_1)
	v_lshlrev_b64_e32 v[4:5], v6, v[0:1]
	v_min_u32_e32 v4, 1, v4
	s_delay_alu instid0(VALU_DEP_1) | instskip(NEXT) | instid1(VALU_DEP_1)
	v_dual_sub_nc_u32 v5, 32, v6 :: v_dual_bitop2_b32 v4, v5, v4 bitop3:0x54
	v_cvt_f32_i32_e32 v4, v4
	s_delay_alu instid0(VALU_DEP_1) | instskip(NEXT) | instid1(VALU_DEP_1)
	v_ldexp_f32 v4, v4, v5
	v_cvt_f16_f32_e32 v4, v4
	global_store_b16 v[2:3], v4, off
.LBB126_1497:
	s_mov_b32 s36, 0
.LBB126_1498:
	s_delay_alu instid0(SALU_CYCLE_1)
	s_and_not1_b32 vcc_lo, exec_lo, s36
	s_cbranch_vccnz .LBB126_1514
; %bb.1499:
	s_cmp_lt_i32 s35, 2
	s_mov_b32 s36, -1
	s_cbranch_scc1 .LBB126_1509
; %bb.1500:
	s_cmp_lt_i32 s35, 3
	s_cbranch_scc1 .LBB126_1506
; %bb.1501:
	s_cmp_gt_i32 s35, 3
	s_cbranch_scc0 .LBB126_1503
; %bb.1502:
	s_mov_b32 s36, 0
	global_store_b64 v[2:3], v[0:1], off
.LBB126_1503:
	s_and_not1_b32 vcc_lo, exec_lo, s36
	s_cbranch_vccnz .LBB126_1505
; %bb.1504:
	global_store_b32 v[2:3], v0, off
.LBB126_1505:
	s_mov_b32 s36, 0
.LBB126_1506:
	s_delay_alu instid0(SALU_CYCLE_1)
	s_and_not1_b32 vcc_lo, exec_lo, s36
	s_cbranch_vccnz .LBB126_1508
; %bb.1507:
	global_store_b16 v[2:3], v0, off
.LBB126_1508:
	s_mov_b32 s36, 0
.LBB126_1509:
	s_delay_alu instid0(SALU_CYCLE_1)
	s_and_not1_b32 vcc_lo, exec_lo, s36
	s_cbranch_vccnz .LBB126_1514
; %bb.1510:
	s_cmp_gt_i32 s35, 0
	s_mov_b32 s35, -1
	s_cbranch_scc0 .LBB126_1512
; %bb.1511:
	s_mov_b32 s35, 0
	global_store_b8 v[2:3], v0, off
.LBB126_1512:
	s_and_not1_b32 vcc_lo, exec_lo, s35
	s_cbranch_vccnz .LBB126_1514
; %bb.1513:
	global_store_b8 v[2:3], v0, off
.LBB126_1514:
	s_mov_b32 s37, -1
.LBB126_1515:
	s_delay_alu instid0(SALU_CYCLE_1)
	s_and_not1_b32 vcc_lo, exec_lo, s37
	s_cbranch_vccnz .LBB126_1517
; %bb.1516:
	v_add_nc_u32_e32 v26, 0x80, v26
	s_mov_b32 s36, -1
	s_branch .LBB126_1519
.LBB126_1517:
	s_mov_b32 s36, 0
.LBB126_1518:
                                        ; implicit-def: $vgpr26
.LBB126_1519:
	s_and_not1_b32 s35, s26, exec_lo
	s_and_b32 s0, s0, exec_lo
	s_and_not1_b32 s37, s27, exec_lo
	s_and_b32 s34, s34, exec_lo
	s_or_b32 s35, s35, s0
	s_or_b32 s34, s37, s34
	s_and_not1_b32 s0, s28, exec_lo
	s_and_b32 s33, s33, exec_lo
	s_and_not1_b32 s37, s25, exec_lo
	s_and_b32 s31, s31, exec_lo
	s_or_b32 s33, s0, s33
	s_or_b32 s31, s37, s31
	s_or_not1_b32 s39, s36, exec_lo
.LBB126_1520:
	s_wait_xcnt 0x0
	s_or_b32 exec_lo, exec_lo, s30
	s_mov_b32 s36, 0
	s_mov_b32 s37, 0
	s_mov_b32 s38, 0
                                        ; implicit-def: $sgpr0
                                        ; implicit-def: $vgpr2_vgpr3
                                        ; implicit-def: $vgpr0_vgpr1
	s_and_saveexec_b32 s30, s39
	s_cbranch_execz .LBB126_1597
; %bb.1521:
	v_cmp_gt_i32_e32 vcc_lo, s20, v26
	s_mov_b32 s40, s31
	s_mov_b32 s39, 0
	;; [unrolled: 1-line block ×3, first 2 shown]
                                        ; implicit-def: $sgpr0
                                        ; implicit-def: $vgpr2_vgpr3
                                        ; implicit-def: $vgpr0_vgpr1
	s_and_saveexec_b32 s20, vcc_lo
	s_cbranch_execz .LBB126_1596
; %bb.1522:
	s_wait_loadcnt 0x0
	v_mul_lo_u32 v0, v26, s13
	s_and_b32 s0, s17, 0xff
	s_delay_alu instid0(SALU_CYCLE_1) | instskip(NEXT) | instid1(VALU_DEP_1)
	s_cmp_lt_i32 s0, 11
	v_ashrrev_i32_e32 v1, 31, v0
	s_delay_alu instid0(VALU_DEP_1)
	v_add_nc_u64_e32 v[2:3], s[6:7], v[0:1]
	s_cbranch_scc1 .LBB126_1529
; %bb.1523:
	s_and_b32 s36, 0xffff, s0
	s_delay_alu instid0(SALU_CYCLE_1)
	s_cmp_gt_i32 s36, 25
	s_cbranch_scc0 .LBB126_1530
; %bb.1524:
	s_cmp_gt_i32 s36, 28
	s_cbranch_scc0 .LBB126_1531
; %bb.1525:
	;; [unrolled: 3-line block ×4, first 2 shown]
	s_cmp_eq_u32 s36, 46
	s_mov_b32 s40, 0
	s_cbranch_scc0 .LBB126_1534
; %bb.1528:
	global_load_b32 v0, v[2:3], off
	s_mov_b32 s39, -1
	s_wait_loadcnt 0x0
	v_lshlrev_b32_e32 v0, 16, v0
	s_delay_alu instid0(VALU_DEP_1) | instskip(NEXT) | instid1(VALU_DEP_1)
	v_trunc_f32_e32 v0, v0
	v_mul_f32_e64 v1, 0x2f800000, |v0|
	s_delay_alu instid0(VALU_DEP_1) | instskip(NEXT) | instid1(VALU_DEP_1)
	v_floor_f32_e32 v1, v1
	v_fma_f32 v4, 0xcf800000, v1, |v0|
	v_ashrrev_i32_e32 v0, 31, v0
	v_cvt_u32_f32_e32 v5, v1
	s_delay_alu instid0(VALU_DEP_3) | instskip(NEXT) | instid1(VALU_DEP_2)
	v_cvt_u32_f32_e32 v4, v4
	v_dual_mov_b32 v1, v0 :: v_dual_bitop2_b32 v5, v5, v0 bitop3:0x14
	s_delay_alu instid0(VALU_DEP_2) | instskip(NEXT) | instid1(VALU_DEP_1)
	v_xor_b32_e32 v4, v4, v0
	v_sub_nc_u64_e32 v[0:1], v[4:5], v[0:1]
	s_branch .LBB126_1536
.LBB126_1529:
	s_mov_b32 s36, -1
	s_mov_b32 s37, s31
                                        ; implicit-def: $vgpr0_vgpr1
	s_branch .LBB126_1595
.LBB126_1530:
	s_mov_b32 s40, -1
	s_mov_b32 s37, s31
                                        ; implicit-def: $vgpr0_vgpr1
	s_branch .LBB126_1563
.LBB126_1531:
	s_mov_b32 s40, -1
	s_mov_b32 s37, s31
                                        ; implicit-def: $vgpr0_vgpr1
	s_branch .LBB126_1546
.LBB126_1532:
	s_mov_b32 s40, -1
	s_mov_b32 s37, s31
                                        ; implicit-def: $vgpr0_vgpr1
	s_branch .LBB126_1541
.LBB126_1533:
	s_mov_b32 s40, -1
	s_mov_b32 s37, s31
	s_branch .LBB126_1535
.LBB126_1534:
	s_mov_b32 s37, -1
.LBB126_1535:
                                        ; implicit-def: $vgpr0_vgpr1
.LBB126_1536:
	s_and_b32 vcc_lo, exec_lo, s40
	s_cbranch_vccz .LBB126_1540
; %bb.1537:
	s_cmp_eq_u32 s36, 44
	s_cbranch_scc0 .LBB126_1539
; %bb.1538:
	global_load_u8 v6, v[2:3], off
	s_mov_b32 s37, 0
	s_mov_b32 s39, -1
	s_wait_loadcnt 0x0
	v_cmp_ne_u32_e32 vcc_lo, 0, v6
	v_lshlrev_b32_e32 v0, 23, v6
	s_delay_alu instid0(VALU_DEP_1) | instskip(NEXT) | instid1(VALU_DEP_1)
	v_trunc_f32_e32 v0, v0
	v_mul_f32_e64 v1, 0x2f800000, |v0|
	s_delay_alu instid0(VALU_DEP_1) | instskip(NEXT) | instid1(VALU_DEP_1)
	v_floor_f32_e32 v1, v1
	v_fma_f32 v4, 0xcf800000, v1, |v0|
	v_ashrrev_i32_e32 v0, 31, v0
	v_cvt_u32_f32_e32 v5, v1
	s_delay_alu instid0(VALU_DEP_3) | instskip(NEXT) | instid1(VALU_DEP_2)
	v_cvt_u32_f32_e32 v4, v4
	v_dual_mov_b32 v1, v0 :: v_dual_bitop2_b32 v5, v5, v0 bitop3:0x14
	s_delay_alu instid0(VALU_DEP_2) | instskip(NEXT) | instid1(VALU_DEP_1)
	v_xor_b32_e32 v4, v4, v0
	v_sub_nc_u64_e32 v[0:1], v[4:5], v[0:1]
	s_delay_alu instid0(VALU_DEP_1)
	v_dual_cndmask_b32 v1, 0, v1 :: v_dual_cndmask_b32 v0, 0, v0
	s_branch .LBB126_1540
.LBB126_1539:
	s_mov_b32 s37, -1
                                        ; implicit-def: $vgpr0_vgpr1
.LBB126_1540:
	s_mov_b32 s40, 0
.LBB126_1541:
	s_delay_alu instid0(SALU_CYCLE_1)
	s_and_b32 vcc_lo, exec_lo, s40
	s_cbranch_vccz .LBB126_1545
; %bb.1542:
	s_cmp_eq_u32 s36, 29
	s_cbranch_scc0 .LBB126_1544
; %bb.1543:
	global_load_b64 v[0:1], v[2:3], off
	s_mov_b32 s37, 0
	s_mov_b32 s39, -1
	s_branch .LBB126_1545
.LBB126_1544:
	s_mov_b32 s37, -1
                                        ; implicit-def: $vgpr0_vgpr1
.LBB126_1545:
	s_mov_b32 s40, 0
.LBB126_1546:
	s_delay_alu instid0(SALU_CYCLE_1)
	s_and_b32 vcc_lo, exec_lo, s40
	s_cbranch_vccz .LBB126_1562
; %bb.1547:
	s_cmp_lt_i32 s36, 27
	s_cbranch_scc1 .LBB126_1550
; %bb.1548:
	s_cmp_gt_i32 s36, 27
	s_cbranch_scc0 .LBB126_1551
; %bb.1549:
	s_wait_loadcnt 0x0
	global_load_b32 v0, v[2:3], off
	v_mov_b32_e32 v1, 0
	s_mov_b32 s39, 0
	s_branch .LBB126_1552
.LBB126_1550:
	s_mov_b32 s39, -1
                                        ; implicit-def: $vgpr0_vgpr1
	s_branch .LBB126_1555
.LBB126_1551:
	s_mov_b32 s39, -1
                                        ; implicit-def: $vgpr0_vgpr1
.LBB126_1552:
	s_delay_alu instid0(SALU_CYCLE_1)
	s_and_not1_b32 vcc_lo, exec_lo, s39
	s_cbranch_vccnz .LBB126_1554
; %bb.1553:
	s_wait_loadcnt 0x0
	global_load_u16 v0, v[2:3], off
	s_mov_b32 s39, 0
	s_delay_alu instid0(SALU_CYCLE_1)
	v_mov_b32_e32 v1, s39
	s_wait_loadcnt 0x0
	v_and_b32_e32 v0, 0xffff, v0
.LBB126_1554:
	s_mov_b32 s39, 0
.LBB126_1555:
	s_delay_alu instid0(SALU_CYCLE_1)
	s_and_not1_b32 vcc_lo, exec_lo, s39
	s_cbranch_vccnz .LBB126_1561
; %bb.1556:
	global_load_u8 v4, v[2:3], off
	s_mov_b32 s40, 0
	s_mov_b32 s39, exec_lo
	s_wait_loadcnt 0x0
	v_cmpx_lt_i16_e32 0x7f, v4
	s_xor_b32 s39, exec_lo, s39
	s_cbranch_execz .LBB126_1573
; %bb.1557:
	v_cmp_ne_u16_e32 vcc_lo, 0x80, v4
	s_and_b32 s40, vcc_lo, exec_lo
	s_and_not1_saveexec_b32 s39, s39
	s_cbranch_execnz .LBB126_1574
.LBB126_1558:
	s_or_b32 exec_lo, exec_lo, s39
	v_mov_b64_e32 v[0:1], 0
	s_and_saveexec_b32 s39, s40
	s_cbranch_execz .LBB126_1560
.LBB126_1559:
	v_and_b32_e32 v0, 0xffff, v4
	s_delay_alu instid0(VALU_DEP_1) | instskip(SKIP_1) | instid1(VALU_DEP_2)
	v_and_b32_e32 v1, 7, v0
	v_bfe_u32 v7, v0, 3, 4
	v_clz_i32_u32_e32 v5, v1
	s_delay_alu instid0(VALU_DEP_2) | instskip(NEXT) | instid1(VALU_DEP_2)
	v_cmp_eq_u32_e32 vcc_lo, 0, v7
	v_min_u32_e32 v5, 32, v5
	s_delay_alu instid0(VALU_DEP_1) | instskip(NEXT) | instid1(VALU_DEP_1)
	v_subrev_nc_u32_e32 v6, 28, v5
	v_dual_lshlrev_b32 v0, v6, v0 :: v_dual_sub_nc_u32 v5, 29, v5
	s_delay_alu instid0(VALU_DEP_1) | instskip(NEXT) | instid1(VALU_DEP_2)
	v_and_b32_e32 v0, 7, v0
	v_dual_cndmask_b32 v5, v7, v5 :: v_dual_lshlrev_b32 v4, 24, v4
	s_delay_alu instid0(VALU_DEP_2) | instskip(NEXT) | instid1(VALU_DEP_2)
	v_cndmask_b32_e32 v0, v1, v0, vcc_lo
	v_and_b32_e32 v1, 0x80000000, v4
	s_delay_alu instid0(VALU_DEP_3) | instskip(NEXT) | instid1(VALU_DEP_3)
	v_lshl_add_u32 v4, v5, 23, 0x3b800000
	v_lshlrev_b32_e32 v0, 20, v0
	s_delay_alu instid0(VALU_DEP_1) | instskip(NEXT) | instid1(VALU_DEP_1)
	v_or3_b32 v0, v1, v4, v0
	v_trunc_f32_e32 v0, v0
	s_delay_alu instid0(VALU_DEP_1) | instskip(NEXT) | instid1(VALU_DEP_1)
	v_mul_f32_e64 v1, 0x2f800000, |v0|
	v_floor_f32_e32 v1, v1
	s_delay_alu instid0(VALU_DEP_1) | instskip(SKIP_2) | instid1(VALU_DEP_3)
	v_fma_f32 v4, 0xcf800000, v1, |v0|
	v_ashrrev_i32_e32 v0, 31, v0
	v_cvt_u32_f32_e32 v5, v1
	v_cvt_u32_f32_e32 v4, v4
	s_delay_alu instid0(VALU_DEP_2) | instskip(NEXT) | instid1(VALU_DEP_2)
	v_dual_mov_b32 v1, v0 :: v_dual_bitop2_b32 v5, v5, v0 bitop3:0x14
	v_xor_b32_e32 v4, v4, v0
	s_delay_alu instid0(VALU_DEP_1)
	v_sub_nc_u64_e32 v[0:1], v[4:5], v[0:1]
.LBB126_1560:
	s_or_b32 exec_lo, exec_lo, s39
.LBB126_1561:
	s_mov_b32 s39, -1
.LBB126_1562:
	s_mov_b32 s40, 0
.LBB126_1563:
	s_delay_alu instid0(SALU_CYCLE_1)
	s_and_b32 vcc_lo, exec_lo, s40
	s_cbranch_vccz .LBB126_1594
; %bb.1564:
	s_cmp_gt_i32 s36, 22
	s_cbranch_scc0 .LBB126_1572
; %bb.1565:
	s_cmp_lt_i32 s36, 24
	s_cbranch_scc1 .LBB126_1575
; %bb.1566:
	s_cmp_gt_i32 s36, 24
	s_cbranch_scc0 .LBB126_1576
; %bb.1567:
	global_load_u8 v4, v[2:3], off
	s_mov_b32 s39, 0
	s_mov_b32 s38, exec_lo
	s_wait_loadcnt 0x0
	v_cmpx_lt_i16_e32 0x7f, v4
	s_xor_b32 s38, exec_lo, s38
	s_cbranch_execz .LBB126_1588
; %bb.1568:
	v_cmp_ne_u16_e32 vcc_lo, 0x80, v4
	s_and_b32 s39, vcc_lo, exec_lo
	s_and_not1_saveexec_b32 s38, s38
	s_cbranch_execnz .LBB126_1589
.LBB126_1569:
	s_or_b32 exec_lo, exec_lo, s38
	v_mov_b64_e32 v[0:1], 0
	s_and_saveexec_b32 s38, s39
	s_cbranch_execz .LBB126_1571
.LBB126_1570:
	v_and_b32_e32 v0, 0xffff, v4
	s_delay_alu instid0(VALU_DEP_1) | instskip(SKIP_1) | instid1(VALU_DEP_2)
	v_and_b32_e32 v1, 3, v0
	v_bfe_u32 v7, v0, 2, 5
	v_clz_i32_u32_e32 v5, v1
	s_delay_alu instid0(VALU_DEP_2) | instskip(NEXT) | instid1(VALU_DEP_2)
	v_cmp_eq_u32_e32 vcc_lo, 0, v7
	v_min_u32_e32 v5, 32, v5
	s_delay_alu instid0(VALU_DEP_1) | instskip(NEXT) | instid1(VALU_DEP_1)
	v_subrev_nc_u32_e32 v6, 29, v5
	v_dual_lshlrev_b32 v0, v6, v0 :: v_dual_sub_nc_u32 v5, 30, v5
	s_delay_alu instid0(VALU_DEP_1) | instskip(NEXT) | instid1(VALU_DEP_2)
	v_and_b32_e32 v0, 3, v0
	v_dual_cndmask_b32 v5, v7, v5 :: v_dual_lshlrev_b32 v4, 24, v4
	s_delay_alu instid0(VALU_DEP_2) | instskip(NEXT) | instid1(VALU_DEP_2)
	v_cndmask_b32_e32 v0, v1, v0, vcc_lo
	v_and_b32_e32 v1, 0x80000000, v4
	s_delay_alu instid0(VALU_DEP_3) | instskip(NEXT) | instid1(VALU_DEP_3)
	v_lshl_add_u32 v4, v5, 23, 0x37800000
	v_lshlrev_b32_e32 v0, 21, v0
	s_delay_alu instid0(VALU_DEP_1) | instskip(NEXT) | instid1(VALU_DEP_1)
	v_or3_b32 v0, v1, v4, v0
	v_trunc_f32_e32 v0, v0
	s_delay_alu instid0(VALU_DEP_1) | instskip(NEXT) | instid1(VALU_DEP_1)
	v_mul_f32_e64 v1, 0x2f800000, |v0|
	v_floor_f32_e32 v1, v1
	s_delay_alu instid0(VALU_DEP_1) | instskip(SKIP_2) | instid1(VALU_DEP_3)
	v_fma_f32 v4, 0xcf800000, v1, |v0|
	v_ashrrev_i32_e32 v0, 31, v0
	v_cvt_u32_f32_e32 v5, v1
	v_cvt_u32_f32_e32 v4, v4
	s_delay_alu instid0(VALU_DEP_2) | instskip(NEXT) | instid1(VALU_DEP_2)
	v_dual_mov_b32 v1, v0 :: v_dual_bitop2_b32 v5, v5, v0 bitop3:0x14
	v_xor_b32_e32 v4, v4, v0
	s_delay_alu instid0(VALU_DEP_1)
	v_sub_nc_u64_e32 v[0:1], v[4:5], v[0:1]
.LBB126_1571:
	s_or_b32 exec_lo, exec_lo, s38
	s_mov_b32 s38, 0
	s_branch .LBB126_1577
.LBB126_1572:
	s_mov_b32 s38, -1
                                        ; implicit-def: $vgpr0_vgpr1
	s_branch .LBB126_1583
.LBB126_1573:
	s_and_not1_saveexec_b32 s39, s39
	s_cbranch_execz .LBB126_1558
.LBB126_1574:
	v_cmp_ne_u16_e32 vcc_lo, 0, v4
	s_and_not1_b32 s40, s40, exec_lo
	s_and_b32 s41, vcc_lo, exec_lo
	s_delay_alu instid0(SALU_CYCLE_1)
	s_or_b32 s40, s40, s41
	s_or_b32 exec_lo, exec_lo, s39
	v_mov_b64_e32 v[0:1], 0
	s_and_saveexec_b32 s39, s40
	s_cbranch_execnz .LBB126_1559
	s_branch .LBB126_1560
.LBB126_1575:
	s_mov_b32 s38, -1
                                        ; implicit-def: $vgpr0_vgpr1
	s_branch .LBB126_1580
.LBB126_1576:
	s_mov_b32 s38, -1
                                        ; implicit-def: $vgpr0_vgpr1
.LBB126_1577:
	s_delay_alu instid0(SALU_CYCLE_1)
	s_and_b32 vcc_lo, exec_lo, s38
	s_cbranch_vccz .LBB126_1579
; %bb.1578:
	s_wait_loadcnt 0x0
	global_load_u8 v0, v[2:3], off
	s_wait_loadcnt 0x0
	v_lshlrev_b32_e32 v0, 24, v0
	s_delay_alu instid0(VALU_DEP_1) | instskip(NEXT) | instid1(VALU_DEP_1)
	v_and_b32_e32 v1, 0x7f000000, v0
	v_clz_i32_u32_e32 v4, v1
	v_cmp_ne_u32_e32 vcc_lo, 0, v1
	v_add_nc_u32_e32 v6, 0x1000000, v1
	s_delay_alu instid0(VALU_DEP_3) | instskip(NEXT) | instid1(VALU_DEP_1)
	v_min_u32_e32 v4, 32, v4
	v_sub_nc_u32_e64 v4, v4, 4 clamp
	s_delay_alu instid0(VALU_DEP_1) | instskip(NEXT) | instid1(VALU_DEP_1)
	v_dual_lshlrev_b32 v5, v4, v1 :: v_dual_lshlrev_b32 v4, 23, v4
	v_lshrrev_b32_e32 v5, 4, v5
	s_delay_alu instid0(VALU_DEP_1) | instskip(NEXT) | instid1(VALU_DEP_1)
	v_dual_sub_nc_u32 v4, v5, v4 :: v_dual_ashrrev_i32 v5, 8, v6
	v_add_nc_u32_e32 v4, 0x3c000000, v4
	s_delay_alu instid0(VALU_DEP_1) | instskip(NEXT) | instid1(VALU_DEP_1)
	v_and_or_b32 v4, 0x7f800000, v5, v4
	v_cndmask_b32_e32 v1, 0, v4, vcc_lo
	s_delay_alu instid0(VALU_DEP_1) | instskip(NEXT) | instid1(VALU_DEP_1)
	v_and_or_b32 v0, 0x80000000, v0, v1
	v_trunc_f32_e32 v0, v0
	s_delay_alu instid0(VALU_DEP_1) | instskip(NEXT) | instid1(VALU_DEP_1)
	v_mul_f32_e64 v1, 0x2f800000, |v0|
	v_floor_f32_e32 v1, v1
	s_delay_alu instid0(VALU_DEP_1) | instskip(SKIP_2) | instid1(VALU_DEP_3)
	v_fma_f32 v4, 0xcf800000, v1, |v0|
	v_ashrrev_i32_e32 v0, 31, v0
	v_cvt_u32_f32_e32 v5, v1
	v_cvt_u32_f32_e32 v4, v4
	s_delay_alu instid0(VALU_DEP_2) | instskip(NEXT) | instid1(VALU_DEP_2)
	v_dual_mov_b32 v1, v0 :: v_dual_bitop2_b32 v5, v5, v0 bitop3:0x14
	v_xor_b32_e32 v4, v4, v0
	s_delay_alu instid0(VALU_DEP_1)
	v_sub_nc_u64_e32 v[0:1], v[4:5], v[0:1]
.LBB126_1579:
	s_mov_b32 s38, 0
.LBB126_1580:
	s_delay_alu instid0(SALU_CYCLE_1)
	s_and_not1_b32 vcc_lo, exec_lo, s38
	s_cbranch_vccnz .LBB126_1582
; %bb.1581:
	s_wait_loadcnt 0x0
	global_load_u8 v0, v[2:3], off
	s_wait_loadcnt 0x0
	v_lshlrev_b32_e32 v1, 25, v0
	v_lshlrev_b16 v0, 8, v0
	s_delay_alu instid0(VALU_DEP_1) | instskip(SKIP_1) | instid1(VALU_DEP_2)
	v_and_or_b32 v5, 0x7f00, v0, 0.5
	v_bfe_i32 v0, v0, 0, 16
	v_add_f32_e32 v5, -0.5, v5
	v_lshrrev_b32_e32 v4, 4, v1
	v_cmp_gt_u32_e32 vcc_lo, 0x8000000, v1
	s_delay_alu instid0(VALU_DEP_2) | instskip(NEXT) | instid1(VALU_DEP_1)
	v_or_b32_e32 v4, 0x70000000, v4
	v_mul_f32_e32 v4, 0x7800000, v4
	s_delay_alu instid0(VALU_DEP_1) | instskip(NEXT) | instid1(VALU_DEP_1)
	v_cndmask_b32_e32 v1, v4, v5, vcc_lo
	v_and_or_b32 v0, 0x80000000, v0, v1
	s_delay_alu instid0(VALU_DEP_1) | instskip(NEXT) | instid1(VALU_DEP_1)
	v_trunc_f32_e32 v0, v0
	v_mul_f32_e64 v1, 0x2f800000, |v0|
	s_delay_alu instid0(VALU_DEP_1) | instskip(NEXT) | instid1(VALU_DEP_1)
	v_floor_f32_e32 v1, v1
	v_fma_f32 v4, 0xcf800000, v1, |v0|
	v_ashrrev_i32_e32 v0, 31, v0
	v_cvt_u32_f32_e32 v5, v1
	s_delay_alu instid0(VALU_DEP_3) | instskip(NEXT) | instid1(VALU_DEP_2)
	v_cvt_u32_f32_e32 v4, v4
	v_dual_mov_b32 v1, v0 :: v_dual_bitop2_b32 v5, v5, v0 bitop3:0x14
	s_delay_alu instid0(VALU_DEP_2) | instskip(NEXT) | instid1(VALU_DEP_1)
	v_xor_b32_e32 v4, v4, v0
	v_sub_nc_u64_e32 v[0:1], v[4:5], v[0:1]
.LBB126_1582:
	s_mov_b32 s38, 0
	s_mov_b32 s39, -1
.LBB126_1583:
	s_and_not1_b32 vcc_lo, exec_lo, s38
	s_mov_b32 s38, 0
	s_cbranch_vccnz .LBB126_1594
; %bb.1584:
	s_cmp_gt_i32 s36, 14
	s_cbranch_scc0 .LBB126_1587
; %bb.1585:
	s_cmp_eq_u32 s36, 15
	s_cbranch_scc0 .LBB126_1590
; %bb.1586:
	s_wait_loadcnt 0x0
	global_load_u16 v0, v[2:3], off
	s_mov_b32 s37, 0
	s_mov_b32 s39, -1
	s_wait_loadcnt 0x0
	v_lshlrev_b32_e32 v0, 16, v0
	s_delay_alu instid0(VALU_DEP_1) | instskip(NEXT) | instid1(VALU_DEP_1)
	v_trunc_f32_e32 v0, v0
	v_mul_f32_e64 v1, 0x2f800000, |v0|
	s_delay_alu instid0(VALU_DEP_1) | instskip(NEXT) | instid1(VALU_DEP_1)
	v_floor_f32_e32 v1, v1
	v_fma_f32 v4, 0xcf800000, v1, |v0|
	v_ashrrev_i32_e32 v0, 31, v0
	v_cvt_u32_f32_e32 v5, v1
	s_delay_alu instid0(VALU_DEP_3) | instskip(NEXT) | instid1(VALU_DEP_2)
	v_cvt_u32_f32_e32 v4, v4
	v_dual_mov_b32 v1, v0 :: v_dual_bitop2_b32 v5, v5, v0 bitop3:0x14
	s_delay_alu instid0(VALU_DEP_2) | instskip(NEXT) | instid1(VALU_DEP_1)
	v_xor_b32_e32 v4, v4, v0
	v_sub_nc_u64_e32 v[0:1], v[4:5], v[0:1]
	s_branch .LBB126_1592
.LBB126_1587:
	s_mov_b32 s38, -1
	s_branch .LBB126_1591
.LBB126_1588:
	s_and_not1_saveexec_b32 s38, s38
	s_cbranch_execz .LBB126_1569
.LBB126_1589:
	v_cmp_ne_u16_e32 vcc_lo, 0, v4
	s_and_not1_b32 s39, s39, exec_lo
	s_and_b32 s40, vcc_lo, exec_lo
	s_delay_alu instid0(SALU_CYCLE_1)
	s_or_b32 s39, s39, s40
	s_or_b32 exec_lo, exec_lo, s38
	v_mov_b64_e32 v[0:1], 0
	s_and_saveexec_b32 s38, s39
	s_cbranch_execnz .LBB126_1570
	s_branch .LBB126_1571
.LBB126_1590:
	s_mov_b32 s37, -1
.LBB126_1591:
                                        ; implicit-def: $vgpr0_vgpr1
.LBB126_1592:
	s_and_b32 vcc_lo, exec_lo, s38
	s_mov_b32 s38, 0
	s_cbranch_vccz .LBB126_1594
; %bb.1593:
	s_cmp_lg_u32 s36, 11
	s_mov_b32 s38, -1
	s_cselect_b32 s36, -1, 0
	s_and_not1_b32 s37, s37, exec_lo
	s_and_b32 s36, s36, exec_lo
	s_delay_alu instid0(SALU_CYCLE_1)
	s_or_b32 s37, s37, s36
.LBB126_1594:
	s_mov_b32 s36, 0
.LBB126_1595:
	s_and_not1_b32 s40, s31, exec_lo
	s_and_b32 s37, s37, exec_lo
	s_and_b32 s41, s39, exec_lo
	;; [unrolled: 1-line block ×4, first 2 shown]
	s_or_b32 s40, s40, s37
.LBB126_1596:
	s_wait_xcnt 0x0
	s_or_b32 exec_lo, exec_lo, s20
	s_delay_alu instid0(SALU_CYCLE_1)
	s_and_not1_b32 s20, s31, exec_lo
	s_and_b32 s31, s40, exec_lo
	s_and_b32 s38, s41, exec_lo
	;; [unrolled: 1-line block ×4, first 2 shown]
	s_or_b32 s31, s20, s31
.LBB126_1597:
	s_or_b32 exec_lo, exec_lo, s30
	s_delay_alu instid0(SALU_CYCLE_1)
	s_and_not1_b32 s20, s26, exec_lo
	s_and_b32 s26, s35, exec_lo
	s_and_not1_b32 s28, s28, exec_lo
	s_or_b32 s26, s20, s26
	s_and_not1_b32 s20, s27, exec_lo
	s_and_b32 s27, s34, exec_lo
	s_and_b32 s30, s33, exec_lo
	s_or_b32 s27, s20, s27
	s_and_not1_b32 s20, s25, exec_lo
	s_and_b32 s25, s31, exec_lo
	s_or_b32 s28, s28, s30
	s_and_b32 s34, s38, exec_lo
	s_and_b32 s33, s37, exec_lo
	;; [unrolled: 1-line block ×3, first 2 shown]
	s_or_b32 s25, s20, s25
.LBB126_1598:
	s_or_b32 exec_lo, exec_lo, s29
	s_delay_alu instid0(SALU_CYCLE_1)
	s_and_not1_b32 s19, s19, exec_lo
	s_and_b32 s20, s26, exec_lo
	s_and_not1_b32 s22, s22, exec_lo
	s_or_b32 s19, s19, s20
	s_and_not1_b32 s20, s21, exec_lo
	s_and_b32 s21, s27, exec_lo
	s_and_b32 s26, s28, exec_lo
	s_or_b32 s21, s20, s21
	s_and_not1_b32 s20, s23, exec_lo
	s_and_b32 s23, s25, exec_lo
	s_or_b32 s22, s22, s26
	s_and_b32 s26, s34, exec_lo
	s_and_b32 s27, s33, exec_lo
	;; [unrolled: 1-line block ×3, first 2 shown]
	s_or_b32 s23, s20, s23
	s_or_b32 exec_lo, exec_lo, s24
	s_mov_b32 s20, 0
	s_and_saveexec_b32 s24, s23
	s_cbranch_execz .LBB126_510
.LBB126_1599:
	s_mov_b32 s20, exec_lo
	s_and_not1_b32 s25, s25, exec_lo
	s_trap 2
	s_or_b32 exec_lo, exec_lo, s24
	s_and_saveexec_b32 s23, s25
	s_delay_alu instid0(SALU_CYCLE_1)
	s_xor_b32 s23, exec_lo, s23
	s_cbranch_execnz .LBB126_511
.LBB126_1600:
	s_or_b32 exec_lo, exec_lo, s23
	s_and_saveexec_b32 s23, s27
	s_cbranch_execz .LBB126_1646
.LBB126_1601:
	s_sext_i32_i16 s24, s0
	s_delay_alu instid0(SALU_CYCLE_1)
	s_cmp_lt_i32 s24, 5
	s_cbranch_scc1 .LBB126_1606
; %bb.1602:
	s_cmp_lt_i32 s24, 8
	s_cbranch_scc1 .LBB126_1607
; %bb.1603:
	;; [unrolled: 3-line block ×3, first 2 shown]
	s_cmp_gt_i32 s24, 9
	s_cbranch_scc0 .LBB126_1609
; %bb.1605:
	s_wait_loadcnt 0x0
	global_load_b64 v[0:1], v[2:3], off
	s_mov_b32 s24, 0
	s_wait_loadcnt 0x0
	v_trunc_f64_e32 v[0:1], v[0:1]
	s_delay_alu instid0(VALU_DEP_1) | instskip(NEXT) | instid1(VALU_DEP_1)
	v_ldexp_f64 v[4:5], v[0:1], 0xffffffe0
	v_floor_f64_e32 v[4:5], v[4:5]
	s_delay_alu instid0(VALU_DEP_1) | instskip(SKIP_1) | instid1(VALU_DEP_2)
	v_fmamk_f64 v[6:7], v[4:5], 0xc1f00000, v[0:1]
	v_cvt_i32_f64_e32 v1, v[4:5]
	v_cvt_u32_f64_e32 v0, v[6:7]
	s_branch .LBB126_1610
.LBB126_1606:
                                        ; implicit-def: $vgpr0_vgpr1
	s_branch .LBB126_1627
.LBB126_1607:
                                        ; implicit-def: $vgpr0_vgpr1
	s_branch .LBB126_1616
.LBB126_1608:
	s_mov_b32 s24, -1
                                        ; implicit-def: $vgpr0_vgpr1
	s_branch .LBB126_1613
.LBB126_1609:
	s_mov_b32 s24, -1
                                        ; implicit-def: $vgpr0_vgpr1
.LBB126_1610:
	s_delay_alu instid0(SALU_CYCLE_1)
	s_and_not1_b32 vcc_lo, exec_lo, s24
	s_cbranch_vccnz .LBB126_1612
; %bb.1611:
	s_wait_loadcnt 0x0
	global_load_b32 v0, v[2:3], off
	s_wait_loadcnt 0x0
	v_trunc_f32_e32 v0, v0
	s_delay_alu instid0(VALU_DEP_1) | instskip(NEXT) | instid1(VALU_DEP_1)
	v_mul_f32_e64 v1, 0x2f800000, |v0|
	v_floor_f32_e32 v1, v1
	s_delay_alu instid0(VALU_DEP_1) | instskip(SKIP_2) | instid1(VALU_DEP_3)
	v_fma_f32 v4, 0xcf800000, v1, |v0|
	v_ashrrev_i32_e32 v0, 31, v0
	v_cvt_u32_f32_e32 v5, v1
	v_cvt_u32_f32_e32 v4, v4
	s_delay_alu instid0(VALU_DEP_2) | instskip(NEXT) | instid1(VALU_DEP_2)
	v_dual_mov_b32 v1, v0 :: v_dual_bitop2_b32 v5, v5, v0 bitop3:0x14
	v_xor_b32_e32 v4, v4, v0
	s_delay_alu instid0(VALU_DEP_1)
	v_sub_nc_u64_e32 v[0:1], v[4:5], v[0:1]
.LBB126_1612:
	s_mov_b32 s24, 0
.LBB126_1613:
	s_delay_alu instid0(SALU_CYCLE_1)
	s_and_not1_b32 vcc_lo, exec_lo, s24
	s_cbranch_vccnz .LBB126_1615
; %bb.1614:
	s_wait_loadcnt 0x0
	global_load_b32 v0, v[2:3], off
	s_wait_loadcnt 0x0
	v_cvt_f32_f16_e32 v0, v0
	s_delay_alu instid0(VALU_DEP_1) | instskip(NEXT) | instid1(VALU_DEP_1)
	v_cvt_i32_f32_e32 v0, v0
	v_ashrrev_i32_e32 v1, 31, v0
.LBB126_1615:
	s_cbranch_execnz .LBB126_1626
.LBB126_1616:
	s_sext_i32_i16 s24, s0
	s_delay_alu instid0(SALU_CYCLE_1)
	s_cmp_lt_i32 s24, 6
	s_cbranch_scc1 .LBB126_1619
; %bb.1617:
	s_cmp_gt_i32 s24, 6
	s_cbranch_scc0 .LBB126_1620
; %bb.1618:
	s_wait_loadcnt 0x0
	global_load_b64 v[0:1], v[2:3], off
	s_mov_b32 s24, 0
	s_wait_loadcnt 0x0
	v_trunc_f64_e32 v[0:1], v[0:1]
	s_delay_alu instid0(VALU_DEP_1) | instskip(NEXT) | instid1(VALU_DEP_1)
	v_ldexp_f64 v[4:5], v[0:1], 0xffffffe0
	v_floor_f64_e32 v[4:5], v[4:5]
	s_delay_alu instid0(VALU_DEP_1) | instskip(SKIP_1) | instid1(VALU_DEP_2)
	v_fmamk_f64 v[6:7], v[4:5], 0xc1f00000, v[0:1]
	v_cvt_i32_f64_e32 v1, v[4:5]
	v_cvt_u32_f64_e32 v0, v[6:7]
	s_branch .LBB126_1621
.LBB126_1619:
	s_mov_b32 s24, -1
                                        ; implicit-def: $vgpr0_vgpr1
	s_branch .LBB126_1624
.LBB126_1620:
	s_mov_b32 s24, -1
                                        ; implicit-def: $vgpr0_vgpr1
.LBB126_1621:
	s_delay_alu instid0(SALU_CYCLE_1)
	s_and_not1_b32 vcc_lo, exec_lo, s24
	s_cbranch_vccnz .LBB126_1623
; %bb.1622:
	s_wait_loadcnt 0x0
	global_load_b32 v0, v[2:3], off
	s_wait_loadcnt 0x0
	v_trunc_f32_e32 v0, v0
	s_delay_alu instid0(VALU_DEP_1) | instskip(NEXT) | instid1(VALU_DEP_1)
	v_mul_f32_e64 v1, 0x2f800000, |v0|
	v_floor_f32_e32 v1, v1
	s_delay_alu instid0(VALU_DEP_1) | instskip(SKIP_2) | instid1(VALU_DEP_3)
	v_fma_f32 v4, 0xcf800000, v1, |v0|
	v_ashrrev_i32_e32 v0, 31, v0
	v_cvt_u32_f32_e32 v5, v1
	v_cvt_u32_f32_e32 v4, v4
	s_delay_alu instid0(VALU_DEP_2) | instskip(NEXT) | instid1(VALU_DEP_2)
	v_dual_mov_b32 v1, v0 :: v_dual_bitop2_b32 v5, v5, v0 bitop3:0x14
	v_xor_b32_e32 v4, v4, v0
	s_delay_alu instid0(VALU_DEP_1)
	v_sub_nc_u64_e32 v[0:1], v[4:5], v[0:1]
.LBB126_1623:
	s_mov_b32 s24, 0
.LBB126_1624:
	s_delay_alu instid0(SALU_CYCLE_1)
	s_and_not1_b32 vcc_lo, exec_lo, s24
	s_cbranch_vccnz .LBB126_1626
; %bb.1625:
	s_wait_loadcnt 0x0
	global_load_u16 v0, v[2:3], off
	s_wait_loadcnt 0x0
	v_cvt_f32_f16_e32 v0, v0
	s_delay_alu instid0(VALU_DEP_1) | instskip(NEXT) | instid1(VALU_DEP_1)
	v_cvt_i32_f32_e32 v0, v0
	v_ashrrev_i32_e32 v1, 31, v0
.LBB126_1626:
	s_cbranch_execnz .LBB126_1645
.LBB126_1627:
	s_sext_i32_i16 s24, s0
	s_delay_alu instid0(SALU_CYCLE_1)
	s_cmp_lt_i32 s24, 2
	s_cbranch_scc1 .LBB126_1631
; %bb.1628:
	s_cmp_lt_i32 s24, 3
	s_cbranch_scc1 .LBB126_1632
; %bb.1629:
	s_cmp_gt_i32 s24, 3
	s_cbranch_scc0 .LBB126_1633
; %bb.1630:
	s_wait_loadcnt 0x0
	global_load_b64 v[0:1], v[2:3], off
	s_mov_b32 s24, 0
	s_branch .LBB126_1634
.LBB126_1631:
                                        ; implicit-def: $vgpr0_vgpr1
	s_branch .LBB126_1640
.LBB126_1632:
	s_mov_b32 s24, -1
                                        ; implicit-def: $vgpr0_vgpr1
	s_branch .LBB126_1637
.LBB126_1633:
	s_mov_b32 s24, -1
                                        ; implicit-def: $vgpr0_vgpr1
.LBB126_1634:
	s_delay_alu instid0(SALU_CYCLE_1)
	s_and_not1_b32 vcc_lo, exec_lo, s24
	s_cbranch_vccnz .LBB126_1636
; %bb.1635:
	s_wait_loadcnt 0x0
	global_load_b32 v0, v[2:3], off
	s_wait_loadcnt 0x0
	v_ashrrev_i32_e32 v1, 31, v0
.LBB126_1636:
	s_mov_b32 s24, 0
.LBB126_1637:
	s_delay_alu instid0(SALU_CYCLE_1)
	s_and_not1_b32 vcc_lo, exec_lo, s24
	s_cbranch_vccnz .LBB126_1639
; %bb.1638:
	s_wait_loadcnt 0x0
	global_load_u16 v0, v[2:3], off
	s_wait_loadcnt 0x0
	v_bfe_i32 v0, v0, 0, 16
	s_delay_alu instid0(VALU_DEP_1)
	v_ashrrev_i32_e32 v1, 31, v0
.LBB126_1639:
	s_cbranch_execnz .LBB126_1645
.LBB126_1640:
	s_sext_i32_i16 s0, s0
	s_delay_alu instid0(SALU_CYCLE_1)
	s_cmp_gt_i32 s0, 0
	s_mov_b32 s0, 0
	s_cbranch_scc0 .LBB126_1642
; %bb.1641:
	s_wait_loadcnt 0x0
	global_load_i8 v0, v[2:3], off
	s_wait_loadcnt 0x0
	v_bfe_i32 v0, v0, 0, 16
	s_delay_alu instid0(VALU_DEP_1)
	v_ashrrev_i32_e32 v1, 31, v0
	s_branch .LBB126_1643
.LBB126_1642:
	s_mov_b32 s0, -1
                                        ; implicit-def: $vgpr0_vgpr1
.LBB126_1643:
	s_delay_alu instid0(SALU_CYCLE_1)
	s_and_not1_b32 vcc_lo, exec_lo, s0
	s_cbranch_vccnz .LBB126_1645
; %bb.1644:
	s_wait_loadcnt 0x0
	global_load_u8 v0, v[2:3], off
	s_mov_b32 s0, 0
	s_delay_alu instid0(SALU_CYCLE_1)
	v_mov_b32_e32 v1, s0
	s_wait_loadcnt 0x0
	v_and_b32_e32 v0, 0xffff, v0
.LBB126_1645:
	s_or_b32 s26, s26, exec_lo
.LBB126_1646:
	s_wait_xcnt 0x0
	s_or_b32 exec_lo, exec_lo, s23
	s_mov_b32 s25, 0
	s_mov_b32 s27, 0
	;; [unrolled: 1-line block ×3, first 2 shown]
                                        ; implicit-def: $sgpr0
                                        ; implicit-def: $vgpr4_vgpr5
                                        ; implicit-def: $vgpr2_vgpr3
	s_and_saveexec_b32 s23, s26
	s_cbranch_execz .LBB126_1654
; %bb.1647:
	s_wait_loadcnt 0x0
	v_mul_lo_u32 v2, v26, s14
	s_and_b32 s0, s3, 0xff
	s_delay_alu instid0(SALU_CYCLE_1) | instskip(NEXT) | instid1(VALU_DEP_1)
	s_cmp_lt_i32 s0, 11
	v_ashrrev_i32_e32 v3, 31, v2
	s_delay_alu instid0(VALU_DEP_1)
	v_add_nc_u64_e32 v[4:5], s[8:9], v[2:3]
	s_cbranch_scc1 .LBB126_1657
; %bb.1648:
	s_and_b32 s24, 0xffff, s0
	s_mov_b32 s26, 0
	s_cmp_gt_i32 s24, 25
	s_cbranch_scc0 .LBB126_1658
; %bb.1649:
	s_cmp_gt_i32 s24, 28
	s_cbranch_scc0 .LBB126_1659
; %bb.1650:
	s_cmp_gt_i32 s24, 43
	s_cbranch_scc0 .LBB126_1660
; %bb.1651:
	s_cmp_gt_i32 s24, 45
	s_cbranch_scc0 .LBB126_1661
; %bb.1652:
	s_cmp_eq_u32 s24, 46
	s_mov_b32 s28, 0
	s_cbranch_scc0 .LBB126_1662
; %bb.1653:
	global_load_b32 v2, v[4:5], off
	s_mov_b32 s27, -1
	s_wait_loadcnt 0x0
	v_lshlrev_b32_e32 v2, 16, v2
	s_delay_alu instid0(VALU_DEP_1) | instskip(NEXT) | instid1(VALU_DEP_1)
	v_trunc_f32_e32 v2, v2
	v_mul_f32_e64 v3, 0x2f800000, |v2|
	s_delay_alu instid0(VALU_DEP_1) | instskip(NEXT) | instid1(VALU_DEP_1)
	v_floor_f32_e32 v3, v3
	v_fma_f32 v6, 0xcf800000, v3, |v2|
	v_ashrrev_i32_e32 v2, 31, v2
	v_cvt_u32_f32_e32 v7, v3
	s_delay_alu instid0(VALU_DEP_3) | instskip(NEXT) | instid1(VALU_DEP_2)
	v_cvt_u32_f32_e32 v6, v6
	v_dual_mov_b32 v3, v2 :: v_dual_bitop2_b32 v7, v7, v2 bitop3:0x14
	s_delay_alu instid0(VALU_DEP_2) | instskip(NEXT) | instid1(VALU_DEP_1)
	v_xor_b32_e32 v6, v6, v2
	v_sub_nc_u64_e32 v[2:3], v[6:7], v[2:3]
	s_branch .LBB126_1664
.LBB126_1654:
	s_or_b32 exec_lo, exec_lo, s23
	s_and_saveexec_b32 s23, s22
	s_cbranch_execnz .LBB126_1723
.LBB126_1655:
	s_or_b32 exec_lo, exec_lo, s23
	s_and_saveexec_b32 s22, s25
	s_delay_alu instid0(SALU_CYCLE_1)
	s_xor_b32 s22, exec_lo, s22
	s_cbranch_execz .LBB126_1724
.LBB126_1656:
	s_wait_loadcnt 0x0
	global_load_u8 v2, v[4:5], off
	s_mov_b32 s23, 0
	s_or_b32 s24, s24, exec_lo
	v_mov_b32_e32 v3, s23
	s_wait_loadcnt 0x0
	v_cmp_ne_u16_e32 vcc_lo, 0, v2
	v_cndmask_b32_e64 v2, 0, 1, vcc_lo
	s_wait_xcnt 0x0
	s_or_b32 exec_lo, exec_lo, s22
	s_and_saveexec_b32 s22, s27
	s_cbranch_execz .LBB126_1770
	s_branch .LBB126_1725
.LBB126_1657:
	s_mov_b32 s28, -1
	s_mov_b32 s26, 0
	s_mov_b32 s25, s22
                                        ; implicit-def: $vgpr2_vgpr3
	s_branch .LBB126_1722
.LBB126_1658:
	s_mov_b32 s25, s22
                                        ; implicit-def: $vgpr2_vgpr3
	s_cbranch_execnz .LBB126_1691
	s_branch .LBB126_1721
.LBB126_1659:
	s_mov_b32 s28, -1
	s_mov_b32 s25, s22
                                        ; implicit-def: $vgpr2_vgpr3
	s_branch .LBB126_1674
.LBB126_1660:
	s_mov_b32 s28, -1
	s_mov_b32 s25, s22
                                        ; implicit-def: $vgpr2_vgpr3
	s_branch .LBB126_1669
.LBB126_1661:
	s_mov_b32 s28, -1
	s_mov_b32 s25, s22
	s_branch .LBB126_1663
.LBB126_1662:
	s_mov_b32 s25, -1
.LBB126_1663:
                                        ; implicit-def: $vgpr2_vgpr3
.LBB126_1664:
	s_and_b32 vcc_lo, exec_lo, s28
	s_cbranch_vccz .LBB126_1668
; %bb.1665:
	s_cmp_eq_u32 s24, 44
	s_cbranch_scc0 .LBB126_1667
; %bb.1666:
	global_load_u8 v8, v[4:5], off
	s_mov_b32 s25, 0
	s_mov_b32 s27, -1
	s_wait_loadcnt 0x0
	v_cmp_ne_u32_e32 vcc_lo, 0, v8
	v_lshlrev_b32_e32 v2, 23, v8
	s_delay_alu instid0(VALU_DEP_1) | instskip(NEXT) | instid1(VALU_DEP_1)
	v_trunc_f32_e32 v2, v2
	v_mul_f32_e64 v3, 0x2f800000, |v2|
	s_delay_alu instid0(VALU_DEP_1) | instskip(NEXT) | instid1(VALU_DEP_1)
	v_floor_f32_e32 v3, v3
	v_fma_f32 v6, 0xcf800000, v3, |v2|
	v_ashrrev_i32_e32 v2, 31, v2
	v_cvt_u32_f32_e32 v7, v3
	s_delay_alu instid0(VALU_DEP_3) | instskip(NEXT) | instid1(VALU_DEP_2)
	v_cvt_u32_f32_e32 v6, v6
	v_dual_mov_b32 v3, v2 :: v_dual_bitop2_b32 v7, v7, v2 bitop3:0x14
	s_delay_alu instid0(VALU_DEP_2) | instskip(NEXT) | instid1(VALU_DEP_1)
	v_xor_b32_e32 v6, v6, v2
	v_sub_nc_u64_e32 v[2:3], v[6:7], v[2:3]
	s_delay_alu instid0(VALU_DEP_1)
	v_dual_cndmask_b32 v3, 0, v3 :: v_dual_cndmask_b32 v2, 0, v2
	s_branch .LBB126_1668
.LBB126_1667:
	s_mov_b32 s25, -1
                                        ; implicit-def: $vgpr2_vgpr3
.LBB126_1668:
	s_mov_b32 s28, 0
.LBB126_1669:
	s_delay_alu instid0(SALU_CYCLE_1)
	s_and_b32 vcc_lo, exec_lo, s28
	s_cbranch_vccz .LBB126_1673
; %bb.1670:
	s_cmp_eq_u32 s24, 29
	s_cbranch_scc0 .LBB126_1672
; %bb.1671:
	global_load_b64 v[2:3], v[4:5], off
	s_mov_b32 s25, 0
	s_mov_b32 s27, -1
	s_branch .LBB126_1673
.LBB126_1672:
	s_mov_b32 s25, -1
                                        ; implicit-def: $vgpr2_vgpr3
.LBB126_1673:
	s_mov_b32 s28, 0
.LBB126_1674:
	s_delay_alu instid0(SALU_CYCLE_1)
	s_and_b32 vcc_lo, exec_lo, s28
	s_cbranch_vccz .LBB126_1690
; %bb.1675:
	s_cmp_lt_i32 s24, 27
	s_cbranch_scc1 .LBB126_1678
; %bb.1676:
	s_cmp_gt_i32 s24, 27
	s_cbranch_scc0 .LBB126_1679
; %bb.1677:
	s_wait_loadcnt 0x0
	global_load_b32 v2, v[4:5], off
	v_mov_b32_e32 v3, 0
	s_mov_b32 s27, 0
	s_branch .LBB126_1680
.LBB126_1678:
	s_mov_b32 s27, -1
                                        ; implicit-def: $vgpr2_vgpr3
	s_branch .LBB126_1683
.LBB126_1679:
	s_mov_b32 s27, -1
                                        ; implicit-def: $vgpr2_vgpr3
.LBB126_1680:
	s_delay_alu instid0(SALU_CYCLE_1)
	s_and_not1_b32 vcc_lo, exec_lo, s27
	s_cbranch_vccnz .LBB126_1682
; %bb.1681:
	s_wait_loadcnt 0x0
	global_load_u16 v2, v[4:5], off
	s_mov_b32 s27, 0
	s_delay_alu instid0(SALU_CYCLE_1)
	v_mov_b32_e32 v3, s27
	s_wait_loadcnt 0x0
	v_and_b32_e32 v2, 0xffff, v2
.LBB126_1682:
	s_mov_b32 s27, 0
.LBB126_1683:
	s_delay_alu instid0(SALU_CYCLE_1)
	s_and_not1_b32 vcc_lo, exec_lo, s27
	s_cbranch_vccnz .LBB126_1689
; %bb.1684:
	global_load_u8 v6, v[4:5], off
	s_mov_b32 s28, 0
	s_mov_b32 s27, exec_lo
	s_wait_loadcnt 0x0
	v_cmpx_lt_i16_e32 0x7f, v6
	s_xor_b32 s27, exec_lo, s27
	s_cbranch_execz .LBB126_1700
; %bb.1685:
	v_cmp_ne_u16_e32 vcc_lo, 0x80, v6
	s_and_b32 s28, vcc_lo, exec_lo
	s_and_not1_saveexec_b32 s27, s27
	s_cbranch_execnz .LBB126_1701
.LBB126_1686:
	s_or_b32 exec_lo, exec_lo, s27
	v_mov_b64_e32 v[2:3], 0
	s_and_saveexec_b32 s27, s28
	s_cbranch_execz .LBB126_1688
.LBB126_1687:
	v_and_b32_e32 v2, 0xffff, v6
	s_delay_alu instid0(VALU_DEP_1) | instskip(SKIP_1) | instid1(VALU_DEP_2)
	v_and_b32_e32 v3, 7, v2
	v_bfe_u32 v9, v2, 3, 4
	v_clz_i32_u32_e32 v7, v3
	s_delay_alu instid0(VALU_DEP_2) | instskip(NEXT) | instid1(VALU_DEP_2)
	v_cmp_eq_u32_e32 vcc_lo, 0, v9
	v_min_u32_e32 v7, 32, v7
	s_delay_alu instid0(VALU_DEP_1) | instskip(NEXT) | instid1(VALU_DEP_1)
	v_subrev_nc_u32_e32 v8, 28, v7
	v_dual_lshlrev_b32 v2, v8, v2 :: v_dual_sub_nc_u32 v7, 29, v7
	s_delay_alu instid0(VALU_DEP_1) | instskip(NEXT) | instid1(VALU_DEP_2)
	v_and_b32_e32 v2, 7, v2
	v_dual_cndmask_b32 v7, v9, v7 :: v_dual_lshlrev_b32 v6, 24, v6
	s_delay_alu instid0(VALU_DEP_2) | instskip(NEXT) | instid1(VALU_DEP_2)
	v_cndmask_b32_e32 v2, v3, v2, vcc_lo
	v_and_b32_e32 v3, 0x80000000, v6
	s_delay_alu instid0(VALU_DEP_3) | instskip(NEXT) | instid1(VALU_DEP_3)
	v_lshl_add_u32 v6, v7, 23, 0x3b800000
	v_lshlrev_b32_e32 v2, 20, v2
	s_delay_alu instid0(VALU_DEP_1) | instskip(NEXT) | instid1(VALU_DEP_1)
	v_or3_b32 v2, v3, v6, v2
	v_trunc_f32_e32 v2, v2
	s_delay_alu instid0(VALU_DEP_1) | instskip(NEXT) | instid1(VALU_DEP_1)
	v_mul_f32_e64 v3, 0x2f800000, |v2|
	v_floor_f32_e32 v3, v3
	s_delay_alu instid0(VALU_DEP_1) | instskip(SKIP_2) | instid1(VALU_DEP_3)
	v_fma_f32 v6, 0xcf800000, v3, |v2|
	v_ashrrev_i32_e32 v2, 31, v2
	v_cvt_u32_f32_e32 v7, v3
	v_cvt_u32_f32_e32 v6, v6
	s_delay_alu instid0(VALU_DEP_2) | instskip(NEXT) | instid1(VALU_DEP_2)
	v_dual_mov_b32 v3, v2 :: v_dual_bitop2_b32 v7, v7, v2 bitop3:0x14
	v_xor_b32_e32 v6, v6, v2
	s_delay_alu instid0(VALU_DEP_1)
	v_sub_nc_u64_e32 v[2:3], v[6:7], v[2:3]
.LBB126_1688:
	s_or_b32 exec_lo, exec_lo, s27
.LBB126_1689:
	s_mov_b32 s27, -1
.LBB126_1690:
	s_branch .LBB126_1721
.LBB126_1691:
	s_cmp_gt_i32 s24, 22
	s_cbranch_scc0 .LBB126_1699
; %bb.1692:
	s_cmp_lt_i32 s24, 24
	s_cbranch_scc1 .LBB126_1702
; %bb.1693:
	s_cmp_gt_i32 s24, 24
	s_cbranch_scc0 .LBB126_1703
; %bb.1694:
	global_load_u8 v6, v[4:5], off
	s_mov_b32 s27, 0
	s_mov_b32 s26, exec_lo
	s_wait_loadcnt 0x0
	v_cmpx_lt_i16_e32 0x7f, v6
	s_xor_b32 s26, exec_lo, s26
	s_cbranch_execz .LBB126_1715
; %bb.1695:
	v_cmp_ne_u16_e32 vcc_lo, 0x80, v6
	s_and_b32 s27, vcc_lo, exec_lo
	s_and_not1_saveexec_b32 s26, s26
	s_cbranch_execnz .LBB126_1716
.LBB126_1696:
	s_or_b32 exec_lo, exec_lo, s26
	v_mov_b64_e32 v[2:3], 0
	s_and_saveexec_b32 s26, s27
	s_cbranch_execz .LBB126_1698
.LBB126_1697:
	v_and_b32_e32 v2, 0xffff, v6
	s_delay_alu instid0(VALU_DEP_1) | instskip(SKIP_1) | instid1(VALU_DEP_2)
	v_and_b32_e32 v3, 3, v2
	v_bfe_u32 v9, v2, 2, 5
	v_clz_i32_u32_e32 v7, v3
	s_delay_alu instid0(VALU_DEP_2) | instskip(NEXT) | instid1(VALU_DEP_2)
	v_cmp_eq_u32_e32 vcc_lo, 0, v9
	v_min_u32_e32 v7, 32, v7
	s_delay_alu instid0(VALU_DEP_1) | instskip(NEXT) | instid1(VALU_DEP_1)
	v_subrev_nc_u32_e32 v8, 29, v7
	v_dual_lshlrev_b32 v2, v8, v2 :: v_dual_sub_nc_u32 v7, 30, v7
	s_delay_alu instid0(VALU_DEP_1) | instskip(NEXT) | instid1(VALU_DEP_2)
	v_and_b32_e32 v2, 3, v2
	v_dual_cndmask_b32 v7, v9, v7 :: v_dual_lshlrev_b32 v6, 24, v6
	s_delay_alu instid0(VALU_DEP_2) | instskip(NEXT) | instid1(VALU_DEP_2)
	v_cndmask_b32_e32 v2, v3, v2, vcc_lo
	v_and_b32_e32 v3, 0x80000000, v6
	s_delay_alu instid0(VALU_DEP_3) | instskip(NEXT) | instid1(VALU_DEP_3)
	v_lshl_add_u32 v6, v7, 23, 0x37800000
	v_lshlrev_b32_e32 v2, 21, v2
	s_delay_alu instid0(VALU_DEP_1) | instskip(NEXT) | instid1(VALU_DEP_1)
	v_or3_b32 v2, v3, v6, v2
	v_trunc_f32_e32 v2, v2
	s_delay_alu instid0(VALU_DEP_1) | instskip(NEXT) | instid1(VALU_DEP_1)
	v_mul_f32_e64 v3, 0x2f800000, |v2|
	v_floor_f32_e32 v3, v3
	s_delay_alu instid0(VALU_DEP_1) | instskip(SKIP_2) | instid1(VALU_DEP_3)
	v_fma_f32 v6, 0xcf800000, v3, |v2|
	v_ashrrev_i32_e32 v2, 31, v2
	v_cvt_u32_f32_e32 v7, v3
	v_cvt_u32_f32_e32 v6, v6
	s_delay_alu instid0(VALU_DEP_2) | instskip(NEXT) | instid1(VALU_DEP_2)
	v_dual_mov_b32 v3, v2 :: v_dual_bitop2_b32 v7, v7, v2 bitop3:0x14
	v_xor_b32_e32 v6, v6, v2
	s_delay_alu instid0(VALU_DEP_1)
	v_sub_nc_u64_e32 v[2:3], v[6:7], v[2:3]
.LBB126_1698:
	s_or_b32 exec_lo, exec_lo, s26
	s_mov_b32 s26, 0
	s_branch .LBB126_1704
.LBB126_1699:
	s_mov_b32 s26, -1
                                        ; implicit-def: $vgpr2_vgpr3
	s_branch .LBB126_1710
.LBB126_1700:
	s_and_not1_saveexec_b32 s27, s27
	s_cbranch_execz .LBB126_1686
.LBB126_1701:
	v_cmp_ne_u16_e32 vcc_lo, 0, v6
	s_and_not1_b32 s28, s28, exec_lo
	s_and_b32 s29, vcc_lo, exec_lo
	s_delay_alu instid0(SALU_CYCLE_1)
	s_or_b32 s28, s28, s29
	s_or_b32 exec_lo, exec_lo, s27
	v_mov_b64_e32 v[2:3], 0
	s_and_saveexec_b32 s27, s28
	s_cbranch_execnz .LBB126_1687
	s_branch .LBB126_1688
.LBB126_1702:
	s_mov_b32 s26, -1
                                        ; implicit-def: $vgpr2_vgpr3
	s_branch .LBB126_1707
.LBB126_1703:
	s_mov_b32 s26, -1
                                        ; implicit-def: $vgpr2_vgpr3
.LBB126_1704:
	s_delay_alu instid0(SALU_CYCLE_1)
	s_and_b32 vcc_lo, exec_lo, s26
	s_cbranch_vccz .LBB126_1706
; %bb.1705:
	s_wait_loadcnt 0x0
	global_load_u8 v2, v[4:5], off
	s_wait_loadcnt 0x0
	v_lshlrev_b32_e32 v2, 24, v2
	s_delay_alu instid0(VALU_DEP_1) | instskip(NEXT) | instid1(VALU_DEP_1)
	v_and_b32_e32 v3, 0x7f000000, v2
	v_clz_i32_u32_e32 v6, v3
	v_cmp_ne_u32_e32 vcc_lo, 0, v3
	v_add_nc_u32_e32 v8, 0x1000000, v3
	s_delay_alu instid0(VALU_DEP_3) | instskip(NEXT) | instid1(VALU_DEP_1)
	v_min_u32_e32 v6, 32, v6
	v_sub_nc_u32_e64 v6, v6, 4 clamp
	s_delay_alu instid0(VALU_DEP_1) | instskip(NEXT) | instid1(VALU_DEP_1)
	v_dual_lshlrev_b32 v7, v6, v3 :: v_dual_lshlrev_b32 v6, 23, v6
	v_lshrrev_b32_e32 v7, 4, v7
	s_delay_alu instid0(VALU_DEP_1) | instskip(NEXT) | instid1(VALU_DEP_1)
	v_dual_sub_nc_u32 v6, v7, v6 :: v_dual_ashrrev_i32 v7, 8, v8
	v_add_nc_u32_e32 v6, 0x3c000000, v6
	s_delay_alu instid0(VALU_DEP_1) | instskip(NEXT) | instid1(VALU_DEP_1)
	v_and_or_b32 v6, 0x7f800000, v7, v6
	v_cndmask_b32_e32 v3, 0, v6, vcc_lo
	s_delay_alu instid0(VALU_DEP_1) | instskip(NEXT) | instid1(VALU_DEP_1)
	v_and_or_b32 v2, 0x80000000, v2, v3
	v_trunc_f32_e32 v2, v2
	s_delay_alu instid0(VALU_DEP_1) | instskip(NEXT) | instid1(VALU_DEP_1)
	v_mul_f32_e64 v3, 0x2f800000, |v2|
	v_floor_f32_e32 v3, v3
	s_delay_alu instid0(VALU_DEP_1) | instskip(SKIP_2) | instid1(VALU_DEP_3)
	v_fma_f32 v6, 0xcf800000, v3, |v2|
	v_ashrrev_i32_e32 v2, 31, v2
	v_cvt_u32_f32_e32 v7, v3
	v_cvt_u32_f32_e32 v6, v6
	s_delay_alu instid0(VALU_DEP_2) | instskip(NEXT) | instid1(VALU_DEP_2)
	v_dual_mov_b32 v3, v2 :: v_dual_bitop2_b32 v7, v7, v2 bitop3:0x14
	v_xor_b32_e32 v6, v6, v2
	s_delay_alu instid0(VALU_DEP_1)
	v_sub_nc_u64_e32 v[2:3], v[6:7], v[2:3]
.LBB126_1706:
	s_mov_b32 s26, 0
.LBB126_1707:
	s_delay_alu instid0(SALU_CYCLE_1)
	s_and_not1_b32 vcc_lo, exec_lo, s26
	s_cbranch_vccnz .LBB126_1709
; %bb.1708:
	s_wait_loadcnt 0x0
	global_load_u8 v2, v[4:5], off
	s_wait_loadcnt 0x0
	v_lshlrev_b32_e32 v3, 25, v2
	v_lshlrev_b16 v2, 8, v2
	s_delay_alu instid0(VALU_DEP_1) | instskip(SKIP_1) | instid1(VALU_DEP_2)
	v_and_or_b32 v7, 0x7f00, v2, 0.5
	v_bfe_i32 v2, v2, 0, 16
	v_add_f32_e32 v7, -0.5, v7
	v_lshrrev_b32_e32 v6, 4, v3
	v_cmp_gt_u32_e32 vcc_lo, 0x8000000, v3
	s_delay_alu instid0(VALU_DEP_2) | instskip(NEXT) | instid1(VALU_DEP_1)
	v_or_b32_e32 v6, 0x70000000, v6
	v_mul_f32_e32 v6, 0x7800000, v6
	s_delay_alu instid0(VALU_DEP_1) | instskip(NEXT) | instid1(VALU_DEP_1)
	v_cndmask_b32_e32 v3, v6, v7, vcc_lo
	v_and_or_b32 v2, 0x80000000, v2, v3
	s_delay_alu instid0(VALU_DEP_1) | instskip(NEXT) | instid1(VALU_DEP_1)
	v_trunc_f32_e32 v2, v2
	v_mul_f32_e64 v3, 0x2f800000, |v2|
	s_delay_alu instid0(VALU_DEP_1) | instskip(NEXT) | instid1(VALU_DEP_1)
	v_floor_f32_e32 v3, v3
	v_fma_f32 v6, 0xcf800000, v3, |v2|
	v_ashrrev_i32_e32 v2, 31, v2
	v_cvt_u32_f32_e32 v7, v3
	s_delay_alu instid0(VALU_DEP_3) | instskip(NEXT) | instid1(VALU_DEP_2)
	v_cvt_u32_f32_e32 v6, v6
	v_dual_mov_b32 v3, v2 :: v_dual_bitop2_b32 v7, v7, v2 bitop3:0x14
	s_delay_alu instid0(VALU_DEP_2) | instskip(NEXT) | instid1(VALU_DEP_1)
	v_xor_b32_e32 v6, v6, v2
	v_sub_nc_u64_e32 v[2:3], v[6:7], v[2:3]
.LBB126_1709:
	s_mov_b32 s26, 0
	s_mov_b32 s27, -1
.LBB126_1710:
	s_and_not1_b32 vcc_lo, exec_lo, s26
	s_mov_b32 s26, 0
	s_cbranch_vccnz .LBB126_1721
; %bb.1711:
	s_cmp_gt_i32 s24, 14
	s_cbranch_scc0 .LBB126_1714
; %bb.1712:
	s_cmp_eq_u32 s24, 15
	s_cbranch_scc0 .LBB126_1717
; %bb.1713:
	s_wait_loadcnt 0x0
	global_load_u16 v2, v[4:5], off
	s_mov_b32 s25, 0
	s_mov_b32 s27, -1
	s_wait_loadcnt 0x0
	v_lshlrev_b32_e32 v2, 16, v2
	s_delay_alu instid0(VALU_DEP_1) | instskip(NEXT) | instid1(VALU_DEP_1)
	v_trunc_f32_e32 v2, v2
	v_mul_f32_e64 v3, 0x2f800000, |v2|
	s_delay_alu instid0(VALU_DEP_1) | instskip(NEXT) | instid1(VALU_DEP_1)
	v_floor_f32_e32 v3, v3
	v_fma_f32 v6, 0xcf800000, v3, |v2|
	v_ashrrev_i32_e32 v2, 31, v2
	v_cvt_u32_f32_e32 v7, v3
	s_delay_alu instid0(VALU_DEP_3) | instskip(NEXT) | instid1(VALU_DEP_2)
	v_cvt_u32_f32_e32 v6, v6
	v_dual_mov_b32 v3, v2 :: v_dual_bitop2_b32 v7, v7, v2 bitop3:0x14
	s_delay_alu instid0(VALU_DEP_2) | instskip(NEXT) | instid1(VALU_DEP_1)
	v_xor_b32_e32 v6, v6, v2
	v_sub_nc_u64_e32 v[2:3], v[6:7], v[2:3]
	s_branch .LBB126_1719
.LBB126_1714:
	s_mov_b32 s26, -1
	s_branch .LBB126_1718
.LBB126_1715:
	s_and_not1_saveexec_b32 s26, s26
	s_cbranch_execz .LBB126_1696
.LBB126_1716:
	v_cmp_ne_u16_e32 vcc_lo, 0, v6
	s_and_not1_b32 s27, s27, exec_lo
	s_and_b32 s28, vcc_lo, exec_lo
	s_delay_alu instid0(SALU_CYCLE_1)
	s_or_b32 s27, s27, s28
	s_or_b32 exec_lo, exec_lo, s26
	v_mov_b64_e32 v[2:3], 0
	s_and_saveexec_b32 s26, s27
	s_cbranch_execnz .LBB126_1697
	s_branch .LBB126_1698
.LBB126_1717:
	s_mov_b32 s25, -1
.LBB126_1718:
                                        ; implicit-def: $vgpr2_vgpr3
.LBB126_1719:
	s_and_b32 vcc_lo, exec_lo, s26
	s_mov_b32 s26, 0
	s_cbranch_vccz .LBB126_1721
; %bb.1720:
	s_cmp_lg_u32 s24, 11
	s_mov_b32 s26, -1
	s_cselect_b32 s24, -1, 0
	s_and_not1_b32 s25, s25, exec_lo
	s_and_b32 s24, s24, exec_lo
	s_delay_alu instid0(SALU_CYCLE_1)
	s_or_b32 s25, s25, s24
.LBB126_1721:
	s_mov_b32 s28, 0
.LBB126_1722:
	s_and_b32 s24, s27, exec_lo
	s_and_b32 s27, s28, exec_lo
	s_and_not1_b32 s22, s22, exec_lo
	s_and_b32 s28, s25, exec_lo
	s_and_b32 s25, s26, exec_lo
	s_or_b32 s22, s22, s28
	s_wait_xcnt 0x0
	s_or_b32 exec_lo, exec_lo, s23
	s_and_saveexec_b32 s23, s22
	s_cbranch_execz .LBB126_1655
.LBB126_1723:
	s_or_b32 s20, s20, exec_lo
	s_and_not1_b32 s25, s25, exec_lo
	s_trap 2
	s_or_b32 exec_lo, exec_lo, s23
	s_and_saveexec_b32 s22, s25
	s_delay_alu instid0(SALU_CYCLE_1)
	s_xor_b32 s22, exec_lo, s22
	s_cbranch_execnz .LBB126_1656
.LBB126_1724:
	s_or_b32 exec_lo, exec_lo, s22
	s_and_saveexec_b32 s22, s27
	s_cbranch_execz .LBB126_1770
.LBB126_1725:
	s_sext_i32_i16 s23, s0
	s_delay_alu instid0(SALU_CYCLE_1)
	s_cmp_lt_i32 s23, 5
	s_cbranch_scc1 .LBB126_1730
; %bb.1726:
	s_cmp_lt_i32 s23, 8
	s_cbranch_scc1 .LBB126_1731
; %bb.1727:
	;; [unrolled: 3-line block ×3, first 2 shown]
	s_cmp_gt_i32 s23, 9
	s_cbranch_scc0 .LBB126_1733
; %bb.1729:
	s_wait_loadcnt 0x0
	global_load_b64 v[2:3], v[4:5], off
	s_mov_b32 s23, 0
	s_wait_loadcnt 0x0
	v_trunc_f64_e32 v[2:3], v[2:3]
	s_delay_alu instid0(VALU_DEP_1) | instskip(NEXT) | instid1(VALU_DEP_1)
	v_ldexp_f64 v[6:7], v[2:3], 0xffffffe0
	v_floor_f64_e32 v[6:7], v[6:7]
	s_delay_alu instid0(VALU_DEP_1) | instskip(SKIP_1) | instid1(VALU_DEP_2)
	v_fmamk_f64 v[8:9], v[6:7], 0xc1f00000, v[2:3]
	v_cvt_i32_f64_e32 v3, v[6:7]
	v_cvt_u32_f64_e32 v2, v[8:9]
	s_branch .LBB126_1734
.LBB126_1730:
                                        ; implicit-def: $vgpr2_vgpr3
	s_branch .LBB126_1751
.LBB126_1731:
                                        ; implicit-def: $vgpr2_vgpr3
	s_branch .LBB126_1740
.LBB126_1732:
	s_mov_b32 s23, -1
                                        ; implicit-def: $vgpr2_vgpr3
	s_branch .LBB126_1737
.LBB126_1733:
	s_mov_b32 s23, -1
                                        ; implicit-def: $vgpr2_vgpr3
.LBB126_1734:
	s_delay_alu instid0(SALU_CYCLE_1)
	s_and_not1_b32 vcc_lo, exec_lo, s23
	s_cbranch_vccnz .LBB126_1736
; %bb.1735:
	s_wait_loadcnt 0x0
	global_load_b32 v2, v[4:5], off
	s_wait_loadcnt 0x0
	v_trunc_f32_e32 v2, v2
	s_delay_alu instid0(VALU_DEP_1) | instskip(NEXT) | instid1(VALU_DEP_1)
	v_mul_f32_e64 v3, 0x2f800000, |v2|
	v_floor_f32_e32 v3, v3
	s_delay_alu instid0(VALU_DEP_1) | instskip(SKIP_2) | instid1(VALU_DEP_3)
	v_fma_f32 v6, 0xcf800000, v3, |v2|
	v_ashrrev_i32_e32 v2, 31, v2
	v_cvt_u32_f32_e32 v7, v3
	v_cvt_u32_f32_e32 v6, v6
	s_delay_alu instid0(VALU_DEP_2) | instskip(NEXT) | instid1(VALU_DEP_2)
	v_dual_mov_b32 v3, v2 :: v_dual_bitop2_b32 v7, v7, v2 bitop3:0x14
	v_xor_b32_e32 v6, v6, v2
	s_delay_alu instid0(VALU_DEP_1)
	v_sub_nc_u64_e32 v[2:3], v[6:7], v[2:3]
.LBB126_1736:
	s_mov_b32 s23, 0
.LBB126_1737:
	s_delay_alu instid0(SALU_CYCLE_1)
	s_and_not1_b32 vcc_lo, exec_lo, s23
	s_cbranch_vccnz .LBB126_1739
; %bb.1738:
	s_wait_loadcnt 0x0
	global_load_b32 v2, v[4:5], off
	s_wait_loadcnt 0x0
	v_cvt_f32_f16_e32 v2, v2
	s_delay_alu instid0(VALU_DEP_1) | instskip(NEXT) | instid1(VALU_DEP_1)
	v_cvt_i32_f32_e32 v2, v2
	v_ashrrev_i32_e32 v3, 31, v2
.LBB126_1739:
	s_cbranch_execnz .LBB126_1750
.LBB126_1740:
	s_sext_i32_i16 s23, s0
	s_delay_alu instid0(SALU_CYCLE_1)
	s_cmp_lt_i32 s23, 6
	s_cbranch_scc1 .LBB126_1743
; %bb.1741:
	s_cmp_gt_i32 s23, 6
	s_cbranch_scc0 .LBB126_1744
; %bb.1742:
	s_wait_loadcnt 0x0
	global_load_b64 v[2:3], v[4:5], off
	s_mov_b32 s23, 0
	s_wait_loadcnt 0x0
	v_trunc_f64_e32 v[2:3], v[2:3]
	s_delay_alu instid0(VALU_DEP_1) | instskip(NEXT) | instid1(VALU_DEP_1)
	v_ldexp_f64 v[6:7], v[2:3], 0xffffffe0
	v_floor_f64_e32 v[6:7], v[6:7]
	s_delay_alu instid0(VALU_DEP_1) | instskip(SKIP_1) | instid1(VALU_DEP_2)
	v_fmamk_f64 v[8:9], v[6:7], 0xc1f00000, v[2:3]
	v_cvt_i32_f64_e32 v3, v[6:7]
	v_cvt_u32_f64_e32 v2, v[8:9]
	s_branch .LBB126_1745
.LBB126_1743:
	s_mov_b32 s23, -1
                                        ; implicit-def: $vgpr2_vgpr3
	s_branch .LBB126_1748
.LBB126_1744:
	s_mov_b32 s23, -1
                                        ; implicit-def: $vgpr2_vgpr3
.LBB126_1745:
	s_delay_alu instid0(SALU_CYCLE_1)
	s_and_not1_b32 vcc_lo, exec_lo, s23
	s_cbranch_vccnz .LBB126_1747
; %bb.1746:
	s_wait_loadcnt 0x0
	global_load_b32 v2, v[4:5], off
	s_wait_loadcnt 0x0
	v_trunc_f32_e32 v2, v2
	s_delay_alu instid0(VALU_DEP_1) | instskip(NEXT) | instid1(VALU_DEP_1)
	v_mul_f32_e64 v3, 0x2f800000, |v2|
	v_floor_f32_e32 v3, v3
	s_delay_alu instid0(VALU_DEP_1) | instskip(SKIP_2) | instid1(VALU_DEP_3)
	v_fma_f32 v6, 0xcf800000, v3, |v2|
	v_ashrrev_i32_e32 v2, 31, v2
	v_cvt_u32_f32_e32 v7, v3
	v_cvt_u32_f32_e32 v6, v6
	s_delay_alu instid0(VALU_DEP_2) | instskip(NEXT) | instid1(VALU_DEP_2)
	v_dual_mov_b32 v3, v2 :: v_dual_bitop2_b32 v7, v7, v2 bitop3:0x14
	v_xor_b32_e32 v6, v6, v2
	s_delay_alu instid0(VALU_DEP_1)
	v_sub_nc_u64_e32 v[2:3], v[6:7], v[2:3]
.LBB126_1747:
	s_mov_b32 s23, 0
.LBB126_1748:
	s_delay_alu instid0(SALU_CYCLE_1)
	s_and_not1_b32 vcc_lo, exec_lo, s23
	s_cbranch_vccnz .LBB126_1750
; %bb.1749:
	s_wait_loadcnt 0x0
	global_load_u16 v2, v[4:5], off
	s_wait_loadcnt 0x0
	v_cvt_f32_f16_e32 v2, v2
	s_delay_alu instid0(VALU_DEP_1) | instskip(NEXT) | instid1(VALU_DEP_1)
	v_cvt_i32_f32_e32 v2, v2
	v_ashrrev_i32_e32 v3, 31, v2
.LBB126_1750:
	s_cbranch_execnz .LBB126_1769
.LBB126_1751:
	s_sext_i32_i16 s23, s0
	s_delay_alu instid0(SALU_CYCLE_1)
	s_cmp_lt_i32 s23, 2
	s_cbranch_scc1 .LBB126_1755
; %bb.1752:
	s_cmp_lt_i32 s23, 3
	s_cbranch_scc1 .LBB126_1756
; %bb.1753:
	s_cmp_gt_i32 s23, 3
	s_cbranch_scc0 .LBB126_1757
; %bb.1754:
	s_wait_loadcnt 0x0
	global_load_b64 v[2:3], v[4:5], off
	s_mov_b32 s23, 0
	s_branch .LBB126_1758
.LBB126_1755:
                                        ; implicit-def: $vgpr2_vgpr3
	s_branch .LBB126_1764
.LBB126_1756:
	s_mov_b32 s23, -1
                                        ; implicit-def: $vgpr2_vgpr3
	s_branch .LBB126_1761
.LBB126_1757:
	s_mov_b32 s23, -1
                                        ; implicit-def: $vgpr2_vgpr3
.LBB126_1758:
	s_delay_alu instid0(SALU_CYCLE_1)
	s_and_not1_b32 vcc_lo, exec_lo, s23
	s_cbranch_vccnz .LBB126_1760
; %bb.1759:
	s_wait_loadcnt 0x0
	global_load_b32 v2, v[4:5], off
	s_wait_loadcnt 0x0
	v_ashrrev_i32_e32 v3, 31, v2
.LBB126_1760:
	s_mov_b32 s23, 0
.LBB126_1761:
	s_delay_alu instid0(SALU_CYCLE_1)
	s_and_not1_b32 vcc_lo, exec_lo, s23
	s_cbranch_vccnz .LBB126_1763
; %bb.1762:
	s_wait_loadcnt 0x0
	global_load_u16 v2, v[4:5], off
	s_wait_loadcnt 0x0
	v_bfe_i32 v2, v2, 0, 16
	s_delay_alu instid0(VALU_DEP_1)
	v_ashrrev_i32_e32 v3, 31, v2
.LBB126_1763:
	s_cbranch_execnz .LBB126_1769
.LBB126_1764:
	s_sext_i32_i16 s0, s0
	s_delay_alu instid0(SALU_CYCLE_1)
	s_cmp_gt_i32 s0, 0
	s_mov_b32 s0, 0
	s_cbranch_scc0 .LBB126_1766
; %bb.1765:
	s_wait_loadcnt 0x0
	global_load_i8 v2, v[4:5], off
	s_wait_loadcnt 0x0
	v_bfe_i32 v2, v2, 0, 16
	s_delay_alu instid0(VALU_DEP_1)
	v_ashrrev_i32_e32 v3, 31, v2
	s_branch .LBB126_1767
.LBB126_1766:
	s_mov_b32 s0, -1
                                        ; implicit-def: $vgpr2_vgpr3
.LBB126_1767:
	s_delay_alu instid0(SALU_CYCLE_1)
	s_and_not1_b32 vcc_lo, exec_lo, s0
	s_cbranch_vccnz .LBB126_1769
; %bb.1768:
	s_wait_loadcnt 0x0
	global_load_u8 v2, v[4:5], off
	s_mov_b32 s0, 0
	s_delay_alu instid0(SALU_CYCLE_1)
	v_mov_b32_e32 v3, s0
	s_wait_loadcnt 0x0
	v_and_b32_e32 v2, 0xffff, v2
.LBB126_1769:
	s_or_b32 s24, s24, exec_lo
.LBB126_1770:
	s_wait_xcnt 0x0
	s_or_b32 exec_lo, exec_lo, s22
	s_mov_b32 s23, 0
	s_mov_b32 s22, 0
	;; [unrolled: 1-line block ×3, first 2 shown]
                                        ; implicit-def: $vgpr4_vgpr5
                                        ; implicit-def: $vgpr8_vgpr9
	s_and_saveexec_b32 s0, s24
	s_cbranch_execz .LBB126_1778
; %bb.1771:
	v_mul_lo_u32 v4, v26, s15
	s_and_b32 s22, 0xffff, s1
	s_delay_alu instid0(SALU_CYCLE_1) | instskip(NEXT) | instid1(VALU_DEP_1)
	s_cmp_lt_i32 s22, 11
	v_ashrrev_i32_e32 v5, 31, v4
	s_delay_alu instid0(VALU_DEP_1)
	v_add_nc_u64_e32 v[4:5], s[10:11], v[4:5]
	s_cbranch_scc1 .LBB126_1781
; %bb.1772:
	s_cmp_gt_i32 s22, 25
	s_mov_b32 s24, 0
	s_cbranch_scc0 .LBB126_1782
; %bb.1773:
	s_cmp_gt_i32 s22, 28
	s_cbranch_scc0 .LBB126_1783
; %bb.1774:
	s_cmp_gt_i32 s22, 43
	;; [unrolled: 3-line block ×3, first 2 shown]
	s_cbranch_scc0 .LBB126_1785
; %bb.1776:
	s_cmp_eq_u32 s22, 46
	s_mov_b32 s26, 0
	s_cbranch_scc0 .LBB126_1786
; %bb.1777:
	s_wait_loadcnt 0x0
	global_load_b32 v6, v[4:5], off
	s_mov_b32 s25, -1
	s_wait_loadcnt 0x0
	v_lshlrev_b32_e32 v6, 16, v6
	s_delay_alu instid0(VALU_DEP_1) | instskip(NEXT) | instid1(VALU_DEP_1)
	v_trunc_f32_e32 v6, v6
	v_mul_f32_e64 v7, 0x2f800000, |v6|
	s_delay_alu instid0(VALU_DEP_1) | instskip(NEXT) | instid1(VALU_DEP_1)
	v_floor_f32_e32 v7, v7
	v_fma_f32 v8, 0xcf800000, v7, |v6|
	v_ashrrev_i32_e32 v6, 31, v6
	v_cvt_u32_f32_e32 v9, v7
	s_delay_alu instid0(VALU_DEP_3) | instskip(NEXT) | instid1(VALU_DEP_2)
	v_cvt_u32_f32_e32 v8, v8
	v_dual_mov_b32 v7, v6 :: v_dual_bitop2_b32 v9, v9, v6 bitop3:0x14
	s_delay_alu instid0(VALU_DEP_2) | instskip(NEXT) | instid1(VALU_DEP_1)
	v_xor_b32_e32 v8, v8, v6
	v_sub_nc_u64_e32 v[8:9], v[8:9], v[6:7]
	s_branch .LBB126_1788
.LBB126_1778:
	s_or_b32 exec_lo, exec_lo, s0
	s_and_saveexec_b32 s0, s21
	s_cbranch_execnz .LBB126_1847
.LBB126_1779:
	s_or_b32 exec_lo, exec_lo, s0
	s_and_saveexec_b32 s0, s23
	s_delay_alu instid0(SALU_CYCLE_1)
	s_xor_b32 s0, exec_lo, s0
	s_cbranch_execz .LBB126_1848
.LBB126_1780:
	s_wait_loadcnt 0x0
	global_load_u8 v6, v[4:5], off
	s_mov_b32 s21, 0
	s_or_b32 s25, s25, exec_lo
	v_mov_b32_e32 v9, s21
	s_wait_loadcnt 0x0
	v_cmp_ne_u16_e32 vcc_lo, 0, v6
	v_cndmask_b32_e64 v8, 0, 1, vcc_lo
	s_wait_xcnt 0x0
	s_or_b32 exec_lo, exec_lo, s0
	s_and_saveexec_b32 s0, s22
	s_cbranch_execz .LBB126_1894
	s_branch .LBB126_1849
.LBB126_1781:
	s_mov_b32 s22, -1
	s_mov_b32 s24, 0
	s_mov_b32 s23, s21
                                        ; implicit-def: $vgpr8_vgpr9
	s_branch .LBB126_1846
.LBB126_1782:
	s_mov_b32 s23, s21
                                        ; implicit-def: $vgpr8_vgpr9
	s_cbranch_execnz .LBB126_1815
	s_branch .LBB126_1845
.LBB126_1783:
	s_mov_b32 s26, -1
	s_mov_b32 s23, s21
                                        ; implicit-def: $vgpr8_vgpr9
	s_branch .LBB126_1798
.LBB126_1784:
	s_mov_b32 s26, -1
	s_mov_b32 s23, s21
                                        ; implicit-def: $vgpr8_vgpr9
	s_branch .LBB126_1793
.LBB126_1785:
	s_mov_b32 s26, -1
	s_mov_b32 s23, s21
	s_branch .LBB126_1787
.LBB126_1786:
	s_mov_b32 s23, -1
.LBB126_1787:
                                        ; implicit-def: $vgpr8_vgpr9
.LBB126_1788:
	s_and_b32 vcc_lo, exec_lo, s26
	s_cbranch_vccz .LBB126_1792
; %bb.1789:
	s_cmp_eq_u32 s22, 44
	s_cbranch_scc0 .LBB126_1791
; %bb.1790:
	global_load_u8 v10, v[4:5], off
	s_mov_b32 s23, 0
	s_mov_b32 s25, -1
	s_wait_loadcnt 0x0
	v_cmp_ne_u32_e32 vcc_lo, 0, v10
	v_lshlrev_b32_e32 v6, 23, v10
	s_delay_alu instid0(VALU_DEP_1) | instskip(NEXT) | instid1(VALU_DEP_1)
	v_trunc_f32_e32 v6, v6
	v_mul_f32_e64 v7, 0x2f800000, |v6|
	s_delay_alu instid0(VALU_DEP_1) | instskip(NEXT) | instid1(VALU_DEP_1)
	v_floor_f32_e32 v7, v7
	v_fma_f32 v8, 0xcf800000, v7, |v6|
	v_ashrrev_i32_e32 v6, 31, v6
	v_cvt_u32_f32_e32 v9, v7
	s_delay_alu instid0(VALU_DEP_3) | instskip(NEXT) | instid1(VALU_DEP_2)
	v_cvt_u32_f32_e32 v8, v8
	v_dual_mov_b32 v7, v6 :: v_dual_bitop2_b32 v9, v9, v6 bitop3:0x14
	s_delay_alu instid0(VALU_DEP_2) | instskip(NEXT) | instid1(VALU_DEP_1)
	v_xor_b32_e32 v8, v8, v6
	v_sub_nc_u64_e32 v[6:7], v[8:9], v[6:7]
	s_delay_alu instid0(VALU_DEP_1)
	v_dual_cndmask_b32 v9, 0, v7 :: v_dual_cndmask_b32 v8, 0, v6
	s_branch .LBB126_1792
.LBB126_1791:
	s_mov_b32 s23, -1
                                        ; implicit-def: $vgpr8_vgpr9
.LBB126_1792:
	s_mov_b32 s26, 0
.LBB126_1793:
	s_delay_alu instid0(SALU_CYCLE_1)
	s_and_b32 vcc_lo, exec_lo, s26
	s_cbranch_vccz .LBB126_1797
; %bb.1794:
	s_cmp_eq_u32 s22, 29
	s_cbranch_scc0 .LBB126_1796
; %bb.1795:
	global_load_b64 v[8:9], v[4:5], off
	s_mov_b32 s23, 0
	s_mov_b32 s25, -1
	s_branch .LBB126_1797
.LBB126_1796:
	s_mov_b32 s23, -1
                                        ; implicit-def: $vgpr8_vgpr9
.LBB126_1797:
	s_mov_b32 s26, 0
.LBB126_1798:
	s_delay_alu instid0(SALU_CYCLE_1)
	s_and_b32 vcc_lo, exec_lo, s26
	s_cbranch_vccz .LBB126_1814
; %bb.1799:
	s_cmp_lt_i32 s22, 27
	s_cbranch_scc1 .LBB126_1802
; %bb.1800:
	s_cmp_gt_i32 s22, 27
	s_cbranch_scc0 .LBB126_1803
; %bb.1801:
	s_wait_loadcnt 0x0
	global_load_b32 v8, v[4:5], off
	v_mov_b32_e32 v9, 0
	s_mov_b32 s25, 0
	s_branch .LBB126_1804
.LBB126_1802:
	s_mov_b32 s25, -1
                                        ; implicit-def: $vgpr8_vgpr9
	s_branch .LBB126_1807
.LBB126_1803:
	s_mov_b32 s25, -1
                                        ; implicit-def: $vgpr8_vgpr9
.LBB126_1804:
	s_delay_alu instid0(SALU_CYCLE_1)
	s_and_not1_b32 vcc_lo, exec_lo, s25
	s_cbranch_vccnz .LBB126_1806
; %bb.1805:
	s_wait_loadcnt 0x0
	global_load_u16 v6, v[4:5], off
	s_mov_b32 s25, 0
	s_delay_alu instid0(SALU_CYCLE_1)
	v_mov_b32_e32 v9, s25
	s_wait_loadcnt 0x0
	v_and_b32_e32 v8, 0xffff, v6
.LBB126_1806:
	s_mov_b32 s25, 0
.LBB126_1807:
	s_delay_alu instid0(SALU_CYCLE_1)
	s_and_not1_b32 vcc_lo, exec_lo, s25
	s_cbranch_vccnz .LBB126_1813
; %bb.1808:
	s_wait_loadcnt 0x0
	global_load_u8 v6, v[4:5], off
	s_mov_b32 s26, 0
	s_mov_b32 s25, exec_lo
	s_wait_loadcnt 0x0
	v_cmpx_lt_i16_e32 0x7f, v6
	s_xor_b32 s25, exec_lo, s25
	s_cbranch_execz .LBB126_1824
; %bb.1809:
	v_cmp_ne_u16_e32 vcc_lo, 0x80, v6
	s_and_b32 s26, vcc_lo, exec_lo
	s_and_not1_saveexec_b32 s25, s25
	s_cbranch_execnz .LBB126_1825
.LBB126_1810:
	s_or_b32 exec_lo, exec_lo, s25
	v_mov_b64_e32 v[8:9], 0
	s_and_saveexec_b32 s25, s26
	s_cbranch_execz .LBB126_1812
.LBB126_1811:
	v_and_b32_e32 v7, 0xffff, v6
	s_delay_alu instid0(VALU_DEP_1) | instskip(SKIP_1) | instid1(VALU_DEP_2)
	v_and_b32_e32 v8, 7, v7
	v_bfe_u32 v11, v7, 3, 4
	v_clz_i32_u32_e32 v9, v8
	s_delay_alu instid0(VALU_DEP_2) | instskip(NEXT) | instid1(VALU_DEP_2)
	v_cmp_eq_u32_e32 vcc_lo, 0, v11
	v_min_u32_e32 v9, 32, v9
	s_delay_alu instid0(VALU_DEP_1) | instskip(NEXT) | instid1(VALU_DEP_1)
	v_subrev_nc_u32_e32 v10, 28, v9
	v_dual_lshlrev_b32 v7, v10, v7 :: v_dual_sub_nc_u32 v9, 29, v9
	s_delay_alu instid0(VALU_DEP_1) | instskip(NEXT) | instid1(VALU_DEP_1)
	v_dual_lshlrev_b32 v6, 24, v6 :: v_dual_bitop2_b32 v7, 7, v7 bitop3:0x40
	v_dual_cndmask_b32 v9, v11, v9, vcc_lo :: v_dual_cndmask_b32 v7, v8, v7, vcc_lo
	s_delay_alu instid0(VALU_DEP_2) | instskip(NEXT) | instid1(VALU_DEP_2)
	v_and_b32_e32 v6, 0x80000000, v6
	v_lshl_add_u32 v8, v9, 23, 0x3b800000
	s_delay_alu instid0(VALU_DEP_3) | instskip(NEXT) | instid1(VALU_DEP_1)
	v_lshlrev_b32_e32 v7, 20, v7
	v_or3_b32 v6, v6, v8, v7
	s_delay_alu instid0(VALU_DEP_1) | instskip(NEXT) | instid1(VALU_DEP_1)
	v_trunc_f32_e32 v6, v6
	v_mul_f32_e64 v7, 0x2f800000, |v6|
	s_delay_alu instid0(VALU_DEP_1) | instskip(NEXT) | instid1(VALU_DEP_1)
	v_floor_f32_e32 v7, v7
	v_fma_f32 v8, 0xcf800000, v7, |v6|
	v_ashrrev_i32_e32 v6, 31, v6
	v_cvt_u32_f32_e32 v9, v7
	s_delay_alu instid0(VALU_DEP_3) | instskip(NEXT) | instid1(VALU_DEP_2)
	v_cvt_u32_f32_e32 v8, v8
	v_dual_mov_b32 v7, v6 :: v_dual_bitop2_b32 v9, v9, v6 bitop3:0x14
	s_delay_alu instid0(VALU_DEP_2) | instskip(NEXT) | instid1(VALU_DEP_1)
	v_xor_b32_e32 v8, v8, v6
	v_sub_nc_u64_e32 v[8:9], v[8:9], v[6:7]
.LBB126_1812:
	s_or_b32 exec_lo, exec_lo, s25
.LBB126_1813:
	s_mov_b32 s25, -1
.LBB126_1814:
	s_branch .LBB126_1845
.LBB126_1815:
	s_cmp_gt_i32 s22, 22
	s_cbranch_scc0 .LBB126_1823
; %bb.1816:
	s_cmp_lt_i32 s22, 24
	s_cbranch_scc1 .LBB126_1826
; %bb.1817:
	s_cmp_gt_i32 s22, 24
	s_cbranch_scc0 .LBB126_1827
; %bb.1818:
	s_wait_loadcnt 0x0
	global_load_u8 v6, v[4:5], off
	s_mov_b32 s25, 0
	s_mov_b32 s24, exec_lo
	s_wait_loadcnt 0x0
	v_cmpx_lt_i16_e32 0x7f, v6
	s_xor_b32 s24, exec_lo, s24
	s_cbranch_execz .LBB126_1839
; %bb.1819:
	v_cmp_ne_u16_e32 vcc_lo, 0x80, v6
	s_and_b32 s25, vcc_lo, exec_lo
	s_and_not1_saveexec_b32 s24, s24
	s_cbranch_execnz .LBB126_1840
.LBB126_1820:
	s_or_b32 exec_lo, exec_lo, s24
	v_mov_b64_e32 v[8:9], 0
	s_and_saveexec_b32 s24, s25
	s_cbranch_execz .LBB126_1822
.LBB126_1821:
	v_and_b32_e32 v7, 0xffff, v6
	s_delay_alu instid0(VALU_DEP_1) | instskip(SKIP_1) | instid1(VALU_DEP_2)
	v_and_b32_e32 v8, 3, v7
	v_bfe_u32 v11, v7, 2, 5
	v_clz_i32_u32_e32 v9, v8
	s_delay_alu instid0(VALU_DEP_2) | instskip(NEXT) | instid1(VALU_DEP_2)
	v_cmp_eq_u32_e32 vcc_lo, 0, v11
	v_min_u32_e32 v9, 32, v9
	s_delay_alu instid0(VALU_DEP_1) | instskip(NEXT) | instid1(VALU_DEP_1)
	v_subrev_nc_u32_e32 v10, 29, v9
	v_dual_lshlrev_b32 v7, v10, v7 :: v_dual_sub_nc_u32 v9, 30, v9
	s_delay_alu instid0(VALU_DEP_1) | instskip(NEXT) | instid1(VALU_DEP_1)
	v_dual_lshlrev_b32 v6, 24, v6 :: v_dual_bitop2_b32 v7, 3, v7 bitop3:0x40
	v_dual_cndmask_b32 v9, v11, v9, vcc_lo :: v_dual_cndmask_b32 v7, v8, v7, vcc_lo
	s_delay_alu instid0(VALU_DEP_2) | instskip(NEXT) | instid1(VALU_DEP_2)
	v_and_b32_e32 v6, 0x80000000, v6
	v_lshl_add_u32 v8, v9, 23, 0x37800000
	s_delay_alu instid0(VALU_DEP_3) | instskip(NEXT) | instid1(VALU_DEP_1)
	v_lshlrev_b32_e32 v7, 21, v7
	v_or3_b32 v6, v6, v8, v7
	s_delay_alu instid0(VALU_DEP_1) | instskip(NEXT) | instid1(VALU_DEP_1)
	v_trunc_f32_e32 v6, v6
	v_mul_f32_e64 v7, 0x2f800000, |v6|
	s_delay_alu instid0(VALU_DEP_1) | instskip(NEXT) | instid1(VALU_DEP_1)
	v_floor_f32_e32 v7, v7
	v_fma_f32 v8, 0xcf800000, v7, |v6|
	v_ashrrev_i32_e32 v6, 31, v6
	v_cvt_u32_f32_e32 v9, v7
	s_delay_alu instid0(VALU_DEP_3) | instskip(NEXT) | instid1(VALU_DEP_2)
	v_cvt_u32_f32_e32 v8, v8
	v_dual_mov_b32 v7, v6 :: v_dual_bitop2_b32 v9, v9, v6 bitop3:0x14
	s_delay_alu instid0(VALU_DEP_2) | instskip(NEXT) | instid1(VALU_DEP_1)
	v_xor_b32_e32 v8, v8, v6
	v_sub_nc_u64_e32 v[8:9], v[8:9], v[6:7]
.LBB126_1822:
	s_or_b32 exec_lo, exec_lo, s24
	s_mov_b32 s24, 0
	s_branch .LBB126_1828
.LBB126_1823:
	s_mov_b32 s24, -1
                                        ; implicit-def: $vgpr8_vgpr9
	s_branch .LBB126_1834
.LBB126_1824:
	s_and_not1_saveexec_b32 s25, s25
	s_cbranch_execz .LBB126_1810
.LBB126_1825:
	v_cmp_ne_u16_e32 vcc_lo, 0, v6
	s_and_not1_b32 s26, s26, exec_lo
	s_and_b32 s27, vcc_lo, exec_lo
	s_delay_alu instid0(SALU_CYCLE_1)
	s_or_b32 s26, s26, s27
	s_or_b32 exec_lo, exec_lo, s25
	v_mov_b64_e32 v[8:9], 0
	s_and_saveexec_b32 s25, s26
	s_cbranch_execnz .LBB126_1811
	s_branch .LBB126_1812
.LBB126_1826:
	s_mov_b32 s24, -1
                                        ; implicit-def: $vgpr8_vgpr9
	s_branch .LBB126_1831
.LBB126_1827:
	s_mov_b32 s24, -1
                                        ; implicit-def: $vgpr8_vgpr9
.LBB126_1828:
	s_delay_alu instid0(SALU_CYCLE_1)
	s_and_b32 vcc_lo, exec_lo, s24
	s_cbranch_vccz .LBB126_1830
; %bb.1829:
	s_wait_loadcnt 0x0
	global_load_u8 v6, v[4:5], off
	s_wait_loadcnt 0x0
	v_lshlrev_b32_e32 v6, 24, v6
	s_delay_alu instid0(VALU_DEP_1) | instskip(NEXT) | instid1(VALU_DEP_1)
	v_and_b32_e32 v7, 0x7f000000, v6
	v_clz_i32_u32_e32 v8, v7
	v_cmp_ne_u32_e32 vcc_lo, 0, v7
	v_add_nc_u32_e32 v10, 0x1000000, v7
	s_delay_alu instid0(VALU_DEP_3) | instskip(NEXT) | instid1(VALU_DEP_1)
	v_min_u32_e32 v8, 32, v8
	v_sub_nc_u32_e64 v8, v8, 4 clamp
	s_delay_alu instid0(VALU_DEP_1) | instskip(NEXT) | instid1(VALU_DEP_1)
	v_dual_lshlrev_b32 v9, v8, v7 :: v_dual_lshlrev_b32 v8, 23, v8
	v_lshrrev_b32_e32 v9, 4, v9
	s_delay_alu instid0(VALU_DEP_1) | instskip(NEXT) | instid1(VALU_DEP_1)
	v_dual_sub_nc_u32 v8, v9, v8 :: v_dual_ashrrev_i32 v9, 8, v10
	v_add_nc_u32_e32 v8, 0x3c000000, v8
	s_delay_alu instid0(VALU_DEP_1) | instskip(NEXT) | instid1(VALU_DEP_1)
	v_and_or_b32 v8, 0x7f800000, v9, v8
	v_cndmask_b32_e32 v7, 0, v8, vcc_lo
	s_delay_alu instid0(VALU_DEP_1) | instskip(NEXT) | instid1(VALU_DEP_1)
	v_and_or_b32 v6, 0x80000000, v6, v7
	v_trunc_f32_e32 v6, v6
	s_delay_alu instid0(VALU_DEP_1) | instskip(NEXT) | instid1(VALU_DEP_1)
	v_mul_f32_e64 v7, 0x2f800000, |v6|
	v_floor_f32_e32 v7, v7
	s_delay_alu instid0(VALU_DEP_1) | instskip(SKIP_2) | instid1(VALU_DEP_3)
	v_fma_f32 v8, 0xcf800000, v7, |v6|
	v_ashrrev_i32_e32 v6, 31, v6
	v_cvt_u32_f32_e32 v9, v7
	v_cvt_u32_f32_e32 v8, v8
	s_delay_alu instid0(VALU_DEP_2) | instskip(NEXT) | instid1(VALU_DEP_2)
	v_dual_mov_b32 v7, v6 :: v_dual_bitop2_b32 v9, v9, v6 bitop3:0x14
	v_xor_b32_e32 v8, v8, v6
	s_delay_alu instid0(VALU_DEP_1)
	v_sub_nc_u64_e32 v[8:9], v[8:9], v[6:7]
.LBB126_1830:
	s_mov_b32 s24, 0
.LBB126_1831:
	s_delay_alu instid0(SALU_CYCLE_1)
	s_and_not1_b32 vcc_lo, exec_lo, s24
	s_cbranch_vccnz .LBB126_1833
; %bb.1832:
	s_wait_loadcnt 0x0
	global_load_u8 v6, v[4:5], off
	s_wait_loadcnt 0x0
	v_lshlrev_b32_e32 v7, 25, v6
	v_lshlrev_b16 v6, 8, v6
	s_delay_alu instid0(VALU_DEP_1) | instskip(SKIP_1) | instid1(VALU_DEP_2)
	v_and_or_b32 v9, 0x7f00, v6, 0.5
	v_bfe_i32 v6, v6, 0, 16
	v_dual_add_f32 v9, -0.5, v9 :: v_dual_lshrrev_b32 v8, 4, v7
	v_cmp_gt_u32_e32 vcc_lo, 0x8000000, v7
	s_delay_alu instid0(VALU_DEP_2) | instskip(NEXT) | instid1(VALU_DEP_1)
	v_or_b32_e32 v8, 0x70000000, v8
	v_mul_f32_e32 v8, 0x7800000, v8
	s_delay_alu instid0(VALU_DEP_1) | instskip(NEXT) | instid1(VALU_DEP_1)
	v_cndmask_b32_e32 v7, v8, v9, vcc_lo
	v_and_or_b32 v6, 0x80000000, v6, v7
	s_delay_alu instid0(VALU_DEP_1) | instskip(NEXT) | instid1(VALU_DEP_1)
	v_trunc_f32_e32 v6, v6
	v_mul_f32_e64 v7, 0x2f800000, |v6|
	s_delay_alu instid0(VALU_DEP_1) | instskip(NEXT) | instid1(VALU_DEP_1)
	v_floor_f32_e32 v7, v7
	v_fma_f32 v8, 0xcf800000, v7, |v6|
	v_ashrrev_i32_e32 v6, 31, v6
	v_cvt_u32_f32_e32 v9, v7
	s_delay_alu instid0(VALU_DEP_3) | instskip(NEXT) | instid1(VALU_DEP_2)
	v_cvt_u32_f32_e32 v8, v8
	v_dual_mov_b32 v7, v6 :: v_dual_bitop2_b32 v9, v9, v6 bitop3:0x14
	s_delay_alu instid0(VALU_DEP_2) | instskip(NEXT) | instid1(VALU_DEP_1)
	v_xor_b32_e32 v8, v8, v6
	v_sub_nc_u64_e32 v[8:9], v[8:9], v[6:7]
.LBB126_1833:
	s_mov_b32 s24, 0
	s_mov_b32 s25, -1
.LBB126_1834:
	s_and_not1_b32 vcc_lo, exec_lo, s24
	s_mov_b32 s24, 0
	s_cbranch_vccnz .LBB126_1845
; %bb.1835:
	s_cmp_gt_i32 s22, 14
	s_cbranch_scc0 .LBB126_1838
; %bb.1836:
	s_cmp_eq_u32 s22, 15
	s_cbranch_scc0 .LBB126_1841
; %bb.1837:
	s_wait_loadcnt 0x0
	global_load_u16 v6, v[4:5], off
	s_mov_b32 s23, 0
	s_mov_b32 s25, -1
	s_wait_loadcnt 0x0
	v_lshlrev_b32_e32 v6, 16, v6
	s_delay_alu instid0(VALU_DEP_1) | instskip(NEXT) | instid1(VALU_DEP_1)
	v_trunc_f32_e32 v6, v6
	v_mul_f32_e64 v7, 0x2f800000, |v6|
	s_delay_alu instid0(VALU_DEP_1) | instskip(NEXT) | instid1(VALU_DEP_1)
	v_floor_f32_e32 v7, v7
	v_fma_f32 v8, 0xcf800000, v7, |v6|
	v_ashrrev_i32_e32 v6, 31, v6
	v_cvt_u32_f32_e32 v9, v7
	s_delay_alu instid0(VALU_DEP_3) | instskip(NEXT) | instid1(VALU_DEP_2)
	v_cvt_u32_f32_e32 v8, v8
	v_dual_mov_b32 v7, v6 :: v_dual_bitop2_b32 v9, v9, v6 bitop3:0x14
	s_delay_alu instid0(VALU_DEP_2) | instskip(NEXT) | instid1(VALU_DEP_1)
	v_xor_b32_e32 v8, v8, v6
	v_sub_nc_u64_e32 v[8:9], v[8:9], v[6:7]
	s_branch .LBB126_1843
.LBB126_1838:
	s_mov_b32 s24, -1
	s_branch .LBB126_1842
.LBB126_1839:
	s_and_not1_saveexec_b32 s24, s24
	s_cbranch_execz .LBB126_1820
.LBB126_1840:
	v_cmp_ne_u16_e32 vcc_lo, 0, v6
	s_and_not1_b32 s25, s25, exec_lo
	s_and_b32 s26, vcc_lo, exec_lo
	s_delay_alu instid0(SALU_CYCLE_1)
	s_or_b32 s25, s25, s26
	s_or_b32 exec_lo, exec_lo, s24
	v_mov_b64_e32 v[8:9], 0
	s_and_saveexec_b32 s24, s25
	s_cbranch_execnz .LBB126_1821
	s_branch .LBB126_1822
.LBB126_1841:
	s_mov_b32 s23, -1
.LBB126_1842:
                                        ; implicit-def: $vgpr8_vgpr9
.LBB126_1843:
	s_and_b32 vcc_lo, exec_lo, s24
	s_mov_b32 s24, 0
	s_cbranch_vccz .LBB126_1845
; %bb.1844:
	s_cmp_lg_u32 s22, 11
	s_mov_b32 s24, -1
	s_cselect_b32 s22, -1, 0
	s_and_not1_b32 s23, s23, exec_lo
	s_and_b32 s22, s22, exec_lo
	s_delay_alu instid0(SALU_CYCLE_1)
	s_or_b32 s23, s23, s22
.LBB126_1845:
	s_mov_b32 s22, 0
.LBB126_1846:
	s_and_not1_b32 s21, s21, exec_lo
	s_and_b32 s26, s23, exec_lo
	s_and_b32 s25, s25, exec_lo
	;; [unrolled: 1-line block ×4, first 2 shown]
	s_or_b32 s21, s21, s26
	s_wait_xcnt 0x0
	s_or_b32 exec_lo, exec_lo, s0
	s_and_saveexec_b32 s0, s21
	s_cbranch_execz .LBB126_1779
.LBB126_1847:
	s_or_b32 s20, s20, exec_lo
	s_and_not1_b32 s23, s23, exec_lo
	s_trap 2
	s_or_b32 exec_lo, exec_lo, s0
	s_and_saveexec_b32 s0, s23
	s_delay_alu instid0(SALU_CYCLE_1)
	s_xor_b32 s0, exec_lo, s0
	s_cbranch_execnz .LBB126_1780
.LBB126_1848:
	s_or_b32 exec_lo, exec_lo, s0
	s_and_saveexec_b32 s0, s22
	s_cbranch_execz .LBB126_1894
.LBB126_1849:
	s_sext_i32_i16 s21, s1
	s_delay_alu instid0(SALU_CYCLE_1)
	s_cmp_lt_i32 s21, 5
	s_cbranch_scc1 .LBB126_1854
; %bb.1850:
	s_cmp_lt_i32 s21, 8
	s_cbranch_scc1 .LBB126_1855
; %bb.1851:
	s_cmp_lt_i32 s21, 9
	s_cbranch_scc1 .LBB126_1856
; %bb.1852:
	s_cmp_gt_i32 s21, 9
	s_cbranch_scc0 .LBB126_1857
; %bb.1853:
	s_wait_loadcnt 0x0
	global_load_b64 v[6:7], v[4:5], off
	s_mov_b32 s21, 0
	s_wait_loadcnt 0x0
	v_trunc_f64_e32 v[6:7], v[6:7]
	s_delay_alu instid0(VALU_DEP_1) | instskip(NEXT) | instid1(VALU_DEP_1)
	v_ldexp_f64 v[8:9], v[6:7], 0xffffffe0
	v_floor_f64_e32 v[8:9], v[8:9]
	s_delay_alu instid0(VALU_DEP_1) | instskip(SKIP_1) | instid1(VALU_DEP_2)
	v_fmamk_f64 v[6:7], v[8:9], 0xc1f00000, v[6:7]
	v_cvt_i32_f64_e32 v9, v[8:9]
	v_cvt_u32_f64_e32 v8, v[6:7]
	s_branch .LBB126_1858
.LBB126_1854:
                                        ; implicit-def: $vgpr8_vgpr9
	s_branch .LBB126_1875
.LBB126_1855:
                                        ; implicit-def: $vgpr8_vgpr9
	s_branch .LBB126_1864
.LBB126_1856:
	s_mov_b32 s21, -1
                                        ; implicit-def: $vgpr8_vgpr9
	s_branch .LBB126_1861
.LBB126_1857:
	s_mov_b32 s21, -1
                                        ; implicit-def: $vgpr8_vgpr9
.LBB126_1858:
	s_delay_alu instid0(SALU_CYCLE_1)
	s_and_not1_b32 vcc_lo, exec_lo, s21
	s_cbranch_vccnz .LBB126_1860
; %bb.1859:
	s_wait_loadcnt 0x0
	global_load_b32 v6, v[4:5], off
	s_wait_loadcnt 0x0
	v_trunc_f32_e32 v6, v6
	s_delay_alu instid0(VALU_DEP_1) | instskip(NEXT) | instid1(VALU_DEP_1)
	v_mul_f32_e64 v7, 0x2f800000, |v6|
	v_floor_f32_e32 v7, v7
	s_delay_alu instid0(VALU_DEP_1) | instskip(SKIP_2) | instid1(VALU_DEP_3)
	v_fma_f32 v8, 0xcf800000, v7, |v6|
	v_ashrrev_i32_e32 v6, 31, v6
	v_cvt_u32_f32_e32 v9, v7
	v_cvt_u32_f32_e32 v8, v8
	s_delay_alu instid0(VALU_DEP_2) | instskip(NEXT) | instid1(VALU_DEP_2)
	v_dual_mov_b32 v7, v6 :: v_dual_bitop2_b32 v9, v9, v6 bitop3:0x14
	v_xor_b32_e32 v8, v8, v6
	s_delay_alu instid0(VALU_DEP_1)
	v_sub_nc_u64_e32 v[8:9], v[8:9], v[6:7]
.LBB126_1860:
	s_mov_b32 s21, 0
.LBB126_1861:
	s_delay_alu instid0(SALU_CYCLE_1)
	s_and_not1_b32 vcc_lo, exec_lo, s21
	s_cbranch_vccnz .LBB126_1863
; %bb.1862:
	s_wait_loadcnt 0x0
	global_load_b32 v6, v[4:5], off
	s_wait_loadcnt 0x0
	v_cvt_f32_f16_e32 v6, v6
	s_delay_alu instid0(VALU_DEP_1) | instskip(NEXT) | instid1(VALU_DEP_1)
	v_cvt_i32_f32_e32 v8, v6
	v_ashrrev_i32_e32 v9, 31, v8
.LBB126_1863:
	s_cbranch_execnz .LBB126_1874
.LBB126_1864:
	s_sext_i32_i16 s21, s1
	s_delay_alu instid0(SALU_CYCLE_1)
	s_cmp_lt_i32 s21, 6
	s_cbranch_scc1 .LBB126_1867
; %bb.1865:
	s_cmp_gt_i32 s21, 6
	s_cbranch_scc0 .LBB126_1868
; %bb.1866:
	s_wait_loadcnt 0x0
	global_load_b64 v[6:7], v[4:5], off
	s_mov_b32 s21, 0
	s_wait_loadcnt 0x0
	v_trunc_f64_e32 v[6:7], v[6:7]
	s_delay_alu instid0(VALU_DEP_1) | instskip(NEXT) | instid1(VALU_DEP_1)
	v_ldexp_f64 v[8:9], v[6:7], 0xffffffe0
	v_floor_f64_e32 v[8:9], v[8:9]
	s_delay_alu instid0(VALU_DEP_1) | instskip(SKIP_1) | instid1(VALU_DEP_2)
	v_fmamk_f64 v[6:7], v[8:9], 0xc1f00000, v[6:7]
	v_cvt_i32_f64_e32 v9, v[8:9]
	v_cvt_u32_f64_e32 v8, v[6:7]
	s_branch .LBB126_1869
.LBB126_1867:
	s_mov_b32 s21, -1
                                        ; implicit-def: $vgpr8_vgpr9
	s_branch .LBB126_1872
.LBB126_1868:
	s_mov_b32 s21, -1
                                        ; implicit-def: $vgpr8_vgpr9
.LBB126_1869:
	s_delay_alu instid0(SALU_CYCLE_1)
	s_and_not1_b32 vcc_lo, exec_lo, s21
	s_cbranch_vccnz .LBB126_1871
; %bb.1870:
	s_wait_loadcnt 0x0
	global_load_b32 v6, v[4:5], off
	s_wait_loadcnt 0x0
	v_trunc_f32_e32 v6, v6
	s_delay_alu instid0(VALU_DEP_1) | instskip(NEXT) | instid1(VALU_DEP_1)
	v_mul_f32_e64 v7, 0x2f800000, |v6|
	v_floor_f32_e32 v7, v7
	s_delay_alu instid0(VALU_DEP_1) | instskip(SKIP_2) | instid1(VALU_DEP_3)
	v_fma_f32 v8, 0xcf800000, v7, |v6|
	v_ashrrev_i32_e32 v6, 31, v6
	v_cvt_u32_f32_e32 v9, v7
	v_cvt_u32_f32_e32 v8, v8
	s_delay_alu instid0(VALU_DEP_2) | instskip(NEXT) | instid1(VALU_DEP_2)
	v_dual_mov_b32 v7, v6 :: v_dual_bitop2_b32 v9, v9, v6 bitop3:0x14
	v_xor_b32_e32 v8, v8, v6
	s_delay_alu instid0(VALU_DEP_1)
	v_sub_nc_u64_e32 v[8:9], v[8:9], v[6:7]
.LBB126_1871:
	s_mov_b32 s21, 0
.LBB126_1872:
	s_delay_alu instid0(SALU_CYCLE_1)
	s_and_not1_b32 vcc_lo, exec_lo, s21
	s_cbranch_vccnz .LBB126_1874
; %bb.1873:
	s_wait_loadcnt 0x0
	global_load_u16 v6, v[4:5], off
	s_wait_loadcnt 0x0
	v_cvt_f32_f16_e32 v6, v6
	s_delay_alu instid0(VALU_DEP_1) | instskip(NEXT) | instid1(VALU_DEP_1)
	v_cvt_i32_f32_e32 v8, v6
	v_ashrrev_i32_e32 v9, 31, v8
.LBB126_1874:
	s_cbranch_execnz .LBB126_1893
.LBB126_1875:
	s_sext_i32_i16 s21, s1
	s_delay_alu instid0(SALU_CYCLE_1)
	s_cmp_lt_i32 s21, 2
	s_cbranch_scc1 .LBB126_1879
; %bb.1876:
	s_cmp_lt_i32 s21, 3
	s_cbranch_scc1 .LBB126_1880
; %bb.1877:
	s_cmp_gt_i32 s21, 3
	s_cbranch_scc0 .LBB126_1881
; %bb.1878:
	s_wait_loadcnt 0x0
	global_load_b64 v[8:9], v[4:5], off
	s_mov_b32 s21, 0
	s_branch .LBB126_1882
.LBB126_1879:
                                        ; implicit-def: $vgpr8_vgpr9
	s_branch .LBB126_1888
.LBB126_1880:
	s_mov_b32 s21, -1
                                        ; implicit-def: $vgpr8_vgpr9
	s_branch .LBB126_1885
.LBB126_1881:
	s_mov_b32 s21, -1
                                        ; implicit-def: $vgpr8_vgpr9
.LBB126_1882:
	s_delay_alu instid0(SALU_CYCLE_1)
	s_and_not1_b32 vcc_lo, exec_lo, s21
	s_cbranch_vccnz .LBB126_1884
; %bb.1883:
	s_wait_loadcnt 0x0
	global_load_b32 v8, v[4:5], off
	s_wait_loadcnt 0x0
	v_ashrrev_i32_e32 v9, 31, v8
.LBB126_1884:
	s_mov_b32 s21, 0
.LBB126_1885:
	s_delay_alu instid0(SALU_CYCLE_1)
	s_and_not1_b32 vcc_lo, exec_lo, s21
	s_cbranch_vccnz .LBB126_1887
; %bb.1886:
	s_wait_loadcnt 0x0
	global_load_u16 v6, v[4:5], off
	s_wait_loadcnt 0x0
	v_bfe_i32 v8, v6, 0, 16
	s_delay_alu instid0(VALU_DEP_1)
	v_ashrrev_i32_e32 v9, 31, v8
.LBB126_1887:
	s_cbranch_execnz .LBB126_1893
.LBB126_1888:
	s_sext_i32_i16 s21, s1
	s_delay_alu instid0(SALU_CYCLE_1)
	s_cmp_gt_i32 s21, 0
	s_mov_b32 s21, 0
	s_cbranch_scc0 .LBB126_1890
; %bb.1889:
	s_wait_loadcnt 0x0
	global_load_i8 v6, v[4:5], off
	s_wait_loadcnt 0x0
	v_bfe_i32 v8, v6, 0, 16
	s_delay_alu instid0(VALU_DEP_1)
	v_ashrrev_i32_e32 v9, 31, v8
	s_branch .LBB126_1891
.LBB126_1890:
	s_mov_b32 s21, -1
                                        ; implicit-def: $vgpr8_vgpr9
.LBB126_1891:
	s_delay_alu instid0(SALU_CYCLE_1)
	s_and_not1_b32 vcc_lo, exec_lo, s21
	s_cbranch_vccnz .LBB126_1893
; %bb.1892:
	global_load_u8 v4, v[4:5], off
	s_mov_b32 s21, 0
	s_wait_loadcnt 0x1
	v_mov_b32_e32 v9, s21
	s_wait_loadcnt 0x0
	v_and_b32_e32 v8, 0xffff, v4
.LBB126_1893:
	s_or_b32 s25, s25, exec_lo
.LBB126_1894:
	s_wait_xcnt 0x0
	s_or_b32 exec_lo, exec_lo, s0
	s_mov_b32 s0, 0
	s_mov_b32 s23, 0
                                        ; implicit-def: $sgpr21
                                        ; implicit-def: $vgpr6_vgpr7
                                        ; implicit-def: $vgpr4_vgpr5
	s_and_saveexec_b32 s22, s25
	s_cbranch_execz .LBB126_1902
; %bb.1895:
	s_wait_loadcnt 0x0
	v_max_i64 v[0:1], v[0:1], v[2:3]
	s_and_b32 s21, s2, 0xff
	s_delay_alu instid0(SALU_CYCLE_1) | instskip(NEXT) | instid1(VALU_DEP_1)
	s_cmp_lt_i32 s21, 11
	v_min_i64 v[4:5], v[0:1], v[8:9]
	v_mul_lo_u32 v0, v26, s12
	s_delay_alu instid0(VALU_DEP_1) | instskip(NEXT) | instid1(VALU_DEP_1)
	v_ashrrev_i32_e32 v1, 31, v0
	v_add_nc_u64_e32 v[6:7], s[4:5], v[0:1]
	s_cbranch_scc1 .LBB126_1905
; %bb.1896:
	s_and_b32 s23, 0xffff, s21
	s_mov_b32 s24, -1
	s_cmp_gt_i32 s23, 25
	s_mov_b32 s0, s19
	s_cbranch_scc0 .LBB126_1933
; %bb.1897:
	s_cmp_gt_i32 s23, 28
	s_mov_b32 s0, s19
	s_cbranch_scc0 .LBB126_1917
; %bb.1898:
	;; [unrolled: 4-line block ×4, first 2 shown]
	s_cmp_eq_u32 s23, 46
	s_mov_b32 s0, -1
	s_cbranch_scc0 .LBB126_1906
; %bb.1901:
	s_delay_alu instid0(VALU_DEP_4) | instskip(SKIP_3) | instid1(VALU_DEP_2)
	v_xor_b32_e32 v0, v4, v5
	v_cls_i32_e32 v1, v5
	s_mov_b32 s0, 0
	s_mov_b32 s24, 0
	v_ashrrev_i32_e32 v0, 31, v0
	s_delay_alu instid0(VALU_DEP_1) | instskip(NEXT) | instid1(VALU_DEP_1)
	v_add_nc_u32_e32 v0, 32, v0
	v_add_min_u32_e64 v2, v1, -1, v0
	s_delay_alu instid0(VALU_DEP_1) | instskip(NEXT) | instid1(VALU_DEP_1)
	v_lshlrev_b64_e32 v[0:1], v2, v[4:5]
	v_min_u32_e32 v0, 1, v0
	s_delay_alu instid0(VALU_DEP_1) | instskip(NEXT) | instid1(VALU_DEP_1)
	v_dual_sub_nc_u32 v1, 32, v2 :: v_dual_bitop2_b32 v0, v1, v0 bitop3:0x54
	v_cvt_f32_i32_e32 v0, v0
	s_delay_alu instid0(VALU_DEP_1) | instskip(NEXT) | instid1(VALU_DEP_1)
	v_ldexp_f32 v0, v0, v1
	v_bfe_u32 v1, v0, 16, 1
	s_delay_alu instid0(VALU_DEP_1) | instskip(NEXT) | instid1(VALU_DEP_1)
	v_add3_u32 v0, v0, v1, 0x7fff
	v_lshrrev_b32_e32 v0, 16, v0
	global_store_b32 v[6:7], v0, off
	s_branch .LBB126_1907
.LBB126_1902:
	s_or_b32 exec_lo, exec_lo, s22
	s_and_saveexec_b32 s22, s19
	s_cbranch_execnz .LBB126_1975
.LBB126_1903:
	s_or_b32 exec_lo, exec_lo, s22
	s_and_saveexec_b32 s19, s0
	s_delay_alu instid0(SALU_CYCLE_1)
	s_xor_b32 s0, exec_lo, s19
	s_cbranch_execz .LBB126_1976
.LBB126_1904:
	s_delay_alu instid0(VALU_DEP_4)
	v_cmp_ne_u64_e32 vcc_lo, 0, v[4:5]
	s_wait_loadcnt 0x0
	v_cndmask_b32_e64 v0, 0, 1, vcc_lo
	global_store_b8 v[6:7], v0, off
	s_wait_xcnt 0x0
	s_or_b32 exec_lo, exec_lo, s0
	s_and_saveexec_b32 s0, s23
	s_delay_alu instid0(SALU_CYCLE_1)
	s_xor_b32 s0, exec_lo, s0
	s_cbranch_execz .LBB126_2014
	s_branch .LBB126_1977
.LBB126_1905:
	s_mov_b32 s25, 0
	s_mov_b32 s24, -1
	s_mov_b32 s0, s19
	s_branch .LBB126_1974
.LBB126_1906:
	s_mov_b32 s24, 0
.LBB126_1907:
	s_delay_alu instid0(SALU_CYCLE_1)
	s_and_b32 vcc_lo, exec_lo, s24
	s_cbranch_vccz .LBB126_1912
; %bb.1908:
	s_cmp_eq_u32 s23, 44
	s_mov_b32 s0, -1
	s_cbranch_scc0 .LBB126_1912
; %bb.1909:
	s_wait_xcnt 0x0
	s_delay_alu instid0(VALU_DEP_4) | instskip(SKIP_2) | instid1(VALU_DEP_2)
	v_xor_b32_e32 v0, v4, v5
	v_cls_i32_e32 v1, v5
	s_mov_b32 s24, exec_lo
	v_ashrrev_i32_e32 v0, 31, v0
	s_delay_alu instid0(VALU_DEP_1) | instskip(NEXT) | instid1(VALU_DEP_1)
	v_add_nc_u32_e32 v0, 32, v0
	v_add_min_u32_e64 v2, v1, -1, v0
	s_delay_alu instid0(VALU_DEP_1) | instskip(NEXT) | instid1(VALU_DEP_1)
	v_lshlrev_b64_e32 v[0:1], v2, v[4:5]
	v_min_u32_e32 v0, 1, v0
	s_delay_alu instid0(VALU_DEP_1) | instskip(NEXT) | instid1(VALU_DEP_1)
	v_dual_sub_nc_u32 v1, 32, v2 :: v_dual_bitop2_b32 v0, v1, v0 bitop3:0x54
	v_cvt_f32_i32_e32 v0, v0
	s_delay_alu instid0(VALU_DEP_1) | instskip(SKIP_1) | instid1(VALU_DEP_2)
	v_ldexp_f32 v0, v0, v1
	v_mov_b32_e32 v1, 0xff
	v_bfe_u32 v2, v0, 23, 8
	s_delay_alu instid0(VALU_DEP_1)
	v_cmpx_ne_u32_e32 0xff, v2
	s_cbranch_execz .LBB126_1911
; %bb.1910:
	v_and_b32_e32 v1, 0x400000, v0
	v_and_or_b32 v2, 0x3fffff, v0, v2
	v_lshrrev_b32_e32 v0, 23, v0
	s_delay_alu instid0(VALU_DEP_3) | instskip(NEXT) | instid1(VALU_DEP_3)
	v_cmp_ne_u32_e32 vcc_lo, 0, v1
	v_cmp_ne_u32_e64 s0, 0, v2
	s_and_b32 s0, vcc_lo, s0
	s_delay_alu instid0(SALU_CYCLE_1) | instskip(NEXT) | instid1(VALU_DEP_1)
	v_cndmask_b32_e64 v1, 0, 1, s0
	v_add_nc_u32_e32 v1, v0, v1
.LBB126_1911:
	s_or_b32 exec_lo, exec_lo, s24
	s_mov_b32 s0, 0
	global_store_b8 v[6:7], v1, off
.LBB126_1912:
	s_mov_b32 s24, 0
.LBB126_1913:
	s_delay_alu instid0(SALU_CYCLE_1)
	s_and_b32 vcc_lo, exec_lo, s24
	s_cbranch_vccz .LBB126_1916
; %bb.1914:
	s_cmp_eq_u32 s23, 29
	s_mov_b32 s0, -1
	s_cbranch_scc0 .LBB126_1916
; %bb.1915:
	s_mov_b32 s0, 0
	global_store_b64 v[6:7], v[4:5], off
.LBB126_1916:
	s_mov_b32 s24, 0
.LBB126_1917:
	s_delay_alu instid0(SALU_CYCLE_1)
	s_and_b32 vcc_lo, exec_lo, s24
	s_cbranch_vccz .LBB126_1932
; %bb.1918:
	s_cmp_lt_i32 s23, 27
	s_mov_b32 s24, -1
	s_cbranch_scc1 .LBB126_1924
; %bb.1919:
	s_cmp_gt_i32 s23, 27
	s_cbranch_scc0 .LBB126_1921
; %bb.1920:
	s_mov_b32 s24, 0
	global_store_b32 v[6:7], v4, off
.LBB126_1921:
	s_and_not1_b32 vcc_lo, exec_lo, s24
	s_cbranch_vccnz .LBB126_1923
; %bb.1922:
	global_store_b16 v[6:7], v4, off
.LBB126_1923:
	s_mov_b32 s24, 0
.LBB126_1924:
	s_delay_alu instid0(SALU_CYCLE_1)
	s_and_not1_b32 vcc_lo, exec_lo, s24
	s_cbranch_vccnz .LBB126_1932
; %bb.1925:
	s_wait_xcnt 0x0
	s_delay_alu instid0(VALU_DEP_4) | instskip(SKIP_2) | instid1(VALU_DEP_2)
	v_xor_b32_e32 v0, v4, v5
	v_cls_i32_e32 v1, v5
	s_mov_b32 s24, exec_lo
	v_ashrrev_i32_e32 v0, 31, v0
	s_delay_alu instid0(VALU_DEP_1) | instskip(NEXT) | instid1(VALU_DEP_1)
	v_add_nc_u32_e32 v0, 32, v0
	v_add_min_u32_e64 v2, v1, -1, v0
	s_delay_alu instid0(VALU_DEP_1) | instskip(NEXT) | instid1(VALU_DEP_1)
	v_lshlrev_b64_e32 v[0:1], v2, v[4:5]
	v_min_u32_e32 v0, 1, v0
	s_delay_alu instid0(VALU_DEP_1) | instskip(SKIP_1) | instid1(VALU_DEP_2)
	v_dual_sub_nc_u32 v1, 32, v2 :: v_dual_bitop2_b32 v0, v1, v0 bitop3:0x54
	v_mov_b32_e32 v2, 0x80
	v_cvt_f32_i32_e32 v0, v0
	s_delay_alu instid0(VALU_DEP_1) | instskip(NEXT) | instid1(VALU_DEP_1)
	v_ldexp_f32 v0, v0, v1
	v_and_b32_e32 v1, 0x7fffffff, v0
	s_delay_alu instid0(VALU_DEP_1)
	v_cmpx_gt_u32_e32 0x43800000, v1
	s_cbranch_execz .LBB126_1931
; %bb.1926:
	v_cmp_lt_u32_e32 vcc_lo, 0x3bffffff, v1
	s_mov_b32 s25, 0
                                        ; implicit-def: $vgpr1
	s_and_saveexec_b32 s26, vcc_lo
	s_delay_alu instid0(SALU_CYCLE_1)
	s_xor_b32 s26, exec_lo, s26
	s_cbranch_execz .LBB126_2029
; %bb.1927:
	v_bfe_u32 v1, v0, 20, 1
	s_mov_b32 s25, exec_lo
	s_delay_alu instid0(VALU_DEP_1) | instskip(NEXT) | instid1(VALU_DEP_1)
	v_add3_u32 v1, v0, v1, 0x487ffff
	v_lshrrev_b32_e32 v1, 20, v1
	s_and_not1_saveexec_b32 s26, s26
	s_cbranch_execnz .LBB126_2030
.LBB126_1928:
	s_or_b32 exec_lo, exec_lo, s26
	v_mov_b32_e32 v2, 0
	s_and_saveexec_b32 s26, s25
.LBB126_1929:
	v_lshrrev_b32_e32 v0, 24, v0
	s_delay_alu instid0(VALU_DEP_1)
	v_and_or_b32 v2, 0x80, v0, v1
.LBB126_1930:
	s_or_b32 exec_lo, exec_lo, s26
.LBB126_1931:
	s_delay_alu instid0(SALU_CYCLE_1)
	s_or_b32 exec_lo, exec_lo, s24
	global_store_b8 v[6:7], v2, off
.LBB126_1932:
	s_mov_b32 s24, 0
.LBB126_1933:
	s_delay_alu instid0(SALU_CYCLE_1)
	s_and_b32 vcc_lo, exec_lo, s24
	s_mov_b32 s24, 0
	s_cbranch_vccz .LBB126_1973
; %bb.1934:
	s_cmp_gt_i32 s23, 22
	s_mov_b32 s25, -1
	s_cbranch_scc0 .LBB126_1966
; %bb.1935:
	s_cmp_lt_i32 s23, 24
	s_cbranch_scc1 .LBB126_1955
; %bb.1936:
	s_cmp_gt_i32 s23, 24
	s_cbranch_scc0 .LBB126_1944
; %bb.1937:
	s_wait_xcnt 0x0
	s_delay_alu instid0(VALU_DEP_4) | instskip(SKIP_2) | instid1(VALU_DEP_2)
	v_xor_b32_e32 v0, v4, v5
	v_cls_i32_e32 v1, v5
	s_mov_b32 s25, exec_lo
	v_ashrrev_i32_e32 v0, 31, v0
	s_delay_alu instid0(VALU_DEP_1) | instskip(NEXT) | instid1(VALU_DEP_1)
	v_add_nc_u32_e32 v0, 32, v0
	v_add_min_u32_e64 v2, v1, -1, v0
	s_delay_alu instid0(VALU_DEP_1) | instskip(NEXT) | instid1(VALU_DEP_1)
	v_lshlrev_b64_e32 v[0:1], v2, v[4:5]
	v_min_u32_e32 v0, 1, v0
	s_delay_alu instid0(VALU_DEP_1) | instskip(SKIP_1) | instid1(VALU_DEP_2)
	v_dual_sub_nc_u32 v1, 32, v2 :: v_dual_bitop2_b32 v0, v1, v0 bitop3:0x54
	v_mov_b32_e32 v2, 0x80
	v_cvt_f32_i32_e32 v0, v0
	s_delay_alu instid0(VALU_DEP_1) | instskip(NEXT) | instid1(VALU_DEP_1)
	v_ldexp_f32 v0, v0, v1
	v_and_b32_e32 v1, 0x7fffffff, v0
	s_delay_alu instid0(VALU_DEP_1)
	v_cmpx_gt_u32_e32 0x47800000, v1
	s_cbranch_execz .LBB126_1943
; %bb.1938:
	v_cmp_lt_u32_e32 vcc_lo, 0x37ffffff, v1
	s_mov_b32 s26, 0
                                        ; implicit-def: $vgpr1
	s_and_saveexec_b32 s27, vcc_lo
	s_delay_alu instid0(SALU_CYCLE_1)
	s_xor_b32 s27, exec_lo, s27
	s_cbranch_execz .LBB126_2150
; %bb.1939:
	v_bfe_u32 v1, v0, 21, 1
	s_mov_b32 s26, exec_lo
	s_delay_alu instid0(VALU_DEP_1) | instskip(NEXT) | instid1(VALU_DEP_1)
	v_add3_u32 v1, v0, v1, 0x88fffff
	v_lshrrev_b32_e32 v1, 21, v1
	s_and_not1_saveexec_b32 s27, s27
	s_cbranch_execnz .LBB126_2151
.LBB126_1940:
	s_or_b32 exec_lo, exec_lo, s27
	v_mov_b32_e32 v2, 0
	s_and_saveexec_b32 s27, s26
.LBB126_1941:
	v_lshrrev_b32_e32 v0, 24, v0
	s_delay_alu instid0(VALU_DEP_1)
	v_and_or_b32 v2, 0x80, v0, v1
.LBB126_1942:
	s_or_b32 exec_lo, exec_lo, s27
.LBB126_1943:
	s_delay_alu instid0(SALU_CYCLE_1)
	s_or_b32 exec_lo, exec_lo, s25
	s_mov_b32 s25, 0
	global_store_b8 v[6:7], v2, off
.LBB126_1944:
	s_and_b32 vcc_lo, exec_lo, s25
	s_cbranch_vccz .LBB126_1954
; %bb.1945:
	s_wait_xcnt 0x0
	s_delay_alu instid0(VALU_DEP_4) | instskip(SKIP_2) | instid1(VALU_DEP_2)
	v_xor_b32_e32 v0, v4, v5
	v_cls_i32_e32 v1, v5
	s_mov_b32 s25, exec_lo
	v_ashrrev_i32_e32 v0, 31, v0
	s_delay_alu instid0(VALU_DEP_1) | instskip(NEXT) | instid1(VALU_DEP_1)
	v_add_nc_u32_e32 v0, 32, v0
	v_add_min_u32_e64 v2, v1, -1, v0
	s_delay_alu instid0(VALU_DEP_1) | instskip(NEXT) | instid1(VALU_DEP_1)
	v_lshlrev_b64_e32 v[0:1], v2, v[4:5]
	v_min_u32_e32 v0, 1, v0
	s_delay_alu instid0(VALU_DEP_1) | instskip(NEXT) | instid1(VALU_DEP_1)
	v_dual_sub_nc_u32 v1, 32, v2 :: v_dual_bitop2_b32 v0, v1, v0 bitop3:0x54
	v_cvt_f32_i32_e32 v0, v0
	s_delay_alu instid0(VALU_DEP_1) | instskip(NEXT) | instid1(VALU_DEP_1)
	v_ldexp_f32 v0, v0, v1
                                        ; implicit-def: $vgpr1
	v_and_b32_e32 v2, 0x7fffffff, v0
	s_delay_alu instid0(VALU_DEP_1)
	v_cmpx_gt_u32_e32 0x43f00000, v2
	s_xor_b32 s25, exec_lo, s25
	s_cbranch_execz .LBB126_1951
; %bb.1946:
	s_mov_b32 s26, exec_lo
                                        ; implicit-def: $vgpr1
	v_cmpx_lt_u32_e32 0x3c7fffff, v2
	s_xor_b32 s26, exec_lo, s26
; %bb.1947:
	v_bfe_u32 v1, v0, 20, 1
	s_delay_alu instid0(VALU_DEP_1) | instskip(NEXT) | instid1(VALU_DEP_1)
	v_add3_u32 v1, v0, v1, 0x407ffff
	v_and_b32_e32 v2, 0xff00000, v1
	v_lshrrev_b32_e32 v1, 20, v1
	s_delay_alu instid0(VALU_DEP_2) | instskip(NEXT) | instid1(VALU_DEP_2)
	v_cmp_ne_u32_e32 vcc_lo, 0x7f00000, v2
	v_cndmask_b32_e32 v1, 0x7e, v1, vcc_lo
; %bb.1948:
	s_and_not1_saveexec_b32 s26, s26
; %bb.1949:
	v_add_f32_e64 v1, 0x46800000, |v0|
; %bb.1950:
	s_or_b32 exec_lo, exec_lo, s26
                                        ; implicit-def: $vgpr2
.LBB126_1951:
	s_and_not1_saveexec_b32 s25, s25
; %bb.1952:
	v_mov_b32_e32 v1, 0x7f
	v_cmp_lt_u32_e32 vcc_lo, 0x7f800000, v2
	s_delay_alu instid0(VALU_DEP_2)
	v_cndmask_b32_e32 v1, 0x7e, v1, vcc_lo
; %bb.1953:
	s_or_b32 exec_lo, exec_lo, s25
	v_lshrrev_b32_e32 v0, 24, v0
	s_delay_alu instid0(VALU_DEP_1)
	v_and_or_b32 v0, 0x80, v0, v1
	global_store_b8 v[6:7], v0, off
.LBB126_1954:
	s_mov_b32 s25, 0
.LBB126_1955:
	s_delay_alu instid0(SALU_CYCLE_1)
	s_and_not1_b32 vcc_lo, exec_lo, s25
	s_cbranch_vccnz .LBB126_1965
; %bb.1956:
	s_wait_xcnt 0x0
	s_delay_alu instid0(VALU_DEP_4) | instskip(SKIP_2) | instid1(VALU_DEP_2)
	v_xor_b32_e32 v0, v4, v5
	v_cls_i32_e32 v1, v5
	s_mov_b32 s25, exec_lo
	v_ashrrev_i32_e32 v0, 31, v0
	s_delay_alu instid0(VALU_DEP_1) | instskip(NEXT) | instid1(VALU_DEP_1)
	v_add_nc_u32_e32 v0, 32, v0
	v_add_min_u32_e64 v2, v1, -1, v0
	s_delay_alu instid0(VALU_DEP_1) | instskip(NEXT) | instid1(VALU_DEP_1)
	v_lshlrev_b64_e32 v[0:1], v2, v[4:5]
	v_min_u32_e32 v0, 1, v0
	s_delay_alu instid0(VALU_DEP_1) | instskip(NEXT) | instid1(VALU_DEP_1)
	v_dual_sub_nc_u32 v1, 32, v2 :: v_dual_bitop2_b32 v0, v1, v0 bitop3:0x54
	v_cvt_f32_i32_e32 v0, v0
	s_delay_alu instid0(VALU_DEP_1) | instskip(NEXT) | instid1(VALU_DEP_1)
	v_ldexp_f32 v0, v0, v1
                                        ; implicit-def: $vgpr1
	v_and_b32_e32 v2, 0x7fffffff, v0
	s_delay_alu instid0(VALU_DEP_1)
	v_cmpx_gt_u32_e32 0x47800000, v2
	s_xor_b32 s25, exec_lo, s25
	s_cbranch_execz .LBB126_1962
; %bb.1957:
	s_mov_b32 s26, exec_lo
                                        ; implicit-def: $vgpr1
	v_cmpx_lt_u32_e32 0x387fffff, v2
	s_xor_b32 s26, exec_lo, s26
; %bb.1958:
	v_bfe_u32 v1, v0, 21, 1
	s_delay_alu instid0(VALU_DEP_1) | instskip(NEXT) | instid1(VALU_DEP_1)
	v_add3_u32 v1, v0, v1, 0x80fffff
	v_lshrrev_b32_e32 v1, 21, v1
; %bb.1959:
	s_and_not1_saveexec_b32 s26, s26
; %bb.1960:
	v_add_f32_e64 v1, 0x43000000, |v0|
; %bb.1961:
	s_or_b32 exec_lo, exec_lo, s26
                                        ; implicit-def: $vgpr2
.LBB126_1962:
	s_and_not1_saveexec_b32 s25, s25
; %bb.1963:
	v_mov_b32_e32 v1, 0x7f
	v_cmp_lt_u32_e32 vcc_lo, 0x7f800000, v2
	s_delay_alu instid0(VALU_DEP_2)
	v_cndmask_b32_e32 v1, 0x7c, v1, vcc_lo
; %bb.1964:
	s_or_b32 exec_lo, exec_lo, s25
	v_lshrrev_b32_e32 v0, 24, v0
	s_delay_alu instid0(VALU_DEP_1)
	v_and_or_b32 v0, 0x80, v0, v1
	global_store_b8 v[6:7], v0, off
.LBB126_1965:
	s_mov_b32 s25, 0
.LBB126_1966:
	s_delay_alu instid0(SALU_CYCLE_1)
	s_and_not1_b32 vcc_lo, exec_lo, s25
	s_mov_b32 s25, 0
	s_cbranch_vccnz .LBB126_1974
; %bb.1967:
	s_cmp_gt_i32 s23, 14
	s_mov_b32 s25, -1
	s_cbranch_scc0 .LBB126_1971
; %bb.1968:
	s_cmp_eq_u32 s23, 15
	s_mov_b32 s0, -1
	s_cbranch_scc0 .LBB126_1970
; %bb.1969:
	s_wait_xcnt 0x0
	s_delay_alu instid0(VALU_DEP_4) | instskip(SKIP_2) | instid1(VALU_DEP_2)
	v_xor_b32_e32 v0, v4, v5
	v_cls_i32_e32 v1, v5
	s_mov_b32 s0, 0
	v_ashrrev_i32_e32 v0, 31, v0
	s_delay_alu instid0(VALU_DEP_1) | instskip(NEXT) | instid1(VALU_DEP_1)
	v_add_nc_u32_e32 v0, 32, v0
	v_add_min_u32_e64 v2, v1, -1, v0
	s_delay_alu instid0(VALU_DEP_1) | instskip(NEXT) | instid1(VALU_DEP_1)
	v_lshlrev_b64_e32 v[0:1], v2, v[4:5]
	v_min_u32_e32 v0, 1, v0
	s_delay_alu instid0(VALU_DEP_1) | instskip(NEXT) | instid1(VALU_DEP_1)
	v_dual_sub_nc_u32 v1, 32, v2 :: v_dual_bitop2_b32 v0, v1, v0 bitop3:0x54
	v_cvt_f32_i32_e32 v0, v0
	s_delay_alu instid0(VALU_DEP_1) | instskip(NEXT) | instid1(VALU_DEP_1)
	v_ldexp_f32 v0, v0, v1
	v_bfe_u32 v1, v0, 16, 1
	s_delay_alu instid0(VALU_DEP_1)
	v_add3_u32 v0, v0, v1, 0x7fff
	global_store_d16_hi_b16 v[6:7], v0, off
.LBB126_1970:
	s_mov_b32 s25, 0
.LBB126_1971:
	s_delay_alu instid0(SALU_CYCLE_1)
	s_and_b32 vcc_lo, exec_lo, s25
	s_mov_b32 s25, 0
	s_cbranch_vccz .LBB126_1974
; %bb.1972:
	s_cmp_lg_u32 s23, 11
	s_mov_b32 s25, -1
	s_cselect_b32 s23, -1, 0
	s_and_not1_b32 s0, s0, exec_lo
	s_and_b32 s23, s23, exec_lo
	s_delay_alu instid0(SALU_CYCLE_1)
	s_or_b32 s0, s0, s23
	s_branch .LBB126_1974
.LBB126_1973:
	s_mov_b32 s25, 0
.LBB126_1974:
	s_and_b32 s23, s24, exec_lo
	s_and_not1_b32 s19, s19, exec_lo
	s_and_b32 s24, s0, exec_lo
	s_and_b32 s0, s25, exec_lo
	s_or_b32 s19, s19, s24
	s_wait_xcnt 0x0
	s_or_b32 exec_lo, exec_lo, s22
	s_and_saveexec_b32 s22, s19
	s_cbranch_execz .LBB126_1903
.LBB126_1975:
	s_or_b32 s20, s20, exec_lo
	s_and_not1_b32 s0, s0, exec_lo
	s_trap 2
	s_or_b32 exec_lo, exec_lo, s22
	s_and_saveexec_b32 s19, s0
	s_delay_alu instid0(SALU_CYCLE_1)
	s_xor_b32 s0, exec_lo, s19
	s_cbranch_execnz .LBB126_1904
.LBB126_1976:
	s_or_b32 exec_lo, exec_lo, s0
	s_and_saveexec_b32 s0, s23
	s_delay_alu instid0(SALU_CYCLE_1)
	s_xor_b32 s0, exec_lo, s0
	s_cbranch_execz .LBB126_2014
.LBB126_1977:
	s_sext_i32_i16 s22, s21
	s_mov_b32 s19, -1
	s_cmp_lt_i32 s22, 5
	s_cbranch_scc1 .LBB126_1998
; %bb.1978:
	s_cmp_lt_i32 s22, 8
	s_cbranch_scc1 .LBB126_1988
; %bb.1979:
	s_cmp_lt_i32 s22, 9
	s_cbranch_scc1 .LBB126_1985
; %bb.1980:
	s_cmp_gt_i32 s22, 9
	s_cbranch_scc0 .LBB126_1982
; %bb.1981:
	s_wait_loadcnt 0x0
	v_cvt_f64_i32_e32 v[0:1], v5
	v_cvt_f64_u32_e32 v[2:3], v4
	s_mov_b32 s19, 0
	s_delay_alu instid0(VALU_DEP_2) | instskip(NEXT) | instid1(VALU_DEP_1)
	v_ldexp_f64 v[0:1], v[0:1], 32
	v_dual_add_f64 v[0:1], v[0:1], v[2:3] :: v_dual_mov_b32 v2, 0
	s_delay_alu instid0(VALU_DEP_1)
	v_mov_b32_e32 v3, v2
	global_store_b128 v[6:7], v[0:3], off
.LBB126_1982:
	s_and_not1_b32 vcc_lo, exec_lo, s19
	s_cbranch_vccnz .LBB126_1984
; %bb.1983:
	s_wait_loadcnt 0x0
	v_xor_b32_e32 v0, v4, v5
	v_cls_i32_e32 v1, v5
	s_delay_alu instid0(VALU_DEP_2) | instskip(NEXT) | instid1(VALU_DEP_1)
	v_ashrrev_i32_e32 v0, 31, v0
	v_add_nc_u32_e32 v0, 32, v0
	s_delay_alu instid0(VALU_DEP_1) | instskip(NEXT) | instid1(VALU_DEP_1)
	v_add_min_u32_e64 v2, v1, -1, v0
	v_lshlrev_b64_e32 v[0:1], v2, v[4:5]
	s_delay_alu instid0(VALU_DEP_1) | instskip(NEXT) | instid1(VALU_DEP_1)
	v_min_u32_e32 v0, 1, v0
	v_dual_sub_nc_u32 v1, 32, v2 :: v_dual_bitop2_b32 v0, v1, v0 bitop3:0x54
	s_delay_alu instid0(VALU_DEP_1) | instskip(NEXT) | instid1(VALU_DEP_1)
	v_cvt_f32_i32_e32 v0, v0
	v_ldexp_f32 v0, v0, v1
	v_mov_b32_e32 v1, 0
	global_store_b64 v[6:7], v[0:1], off
.LBB126_1984:
	s_mov_b32 s19, 0
.LBB126_1985:
	s_delay_alu instid0(SALU_CYCLE_1)
	s_and_not1_b32 vcc_lo, exec_lo, s19
	s_cbranch_vccnz .LBB126_1987
; %bb.1986:
	s_wait_loadcnt 0x0
	v_xor_b32_e32 v0, v4, v5
	v_cls_i32_e32 v1, v5
	s_delay_alu instid0(VALU_DEP_2) | instskip(NEXT) | instid1(VALU_DEP_1)
	v_ashrrev_i32_e32 v0, 31, v0
	v_add_nc_u32_e32 v0, 32, v0
	s_delay_alu instid0(VALU_DEP_1) | instskip(NEXT) | instid1(VALU_DEP_1)
	v_add_min_u32_e64 v2, v1, -1, v0
	v_lshlrev_b64_e32 v[0:1], v2, v[4:5]
	s_delay_alu instid0(VALU_DEP_1) | instskip(NEXT) | instid1(VALU_DEP_1)
	v_min_u32_e32 v0, 1, v0
	v_dual_sub_nc_u32 v1, 32, v2 :: v_dual_bitop2_b32 v0, v1, v0 bitop3:0x54
	s_delay_alu instid0(VALU_DEP_1) | instskip(NEXT) | instid1(VALU_DEP_1)
	v_cvt_f32_i32_e32 v0, v0
	v_ldexp_f32 v0, v0, v1
	s_delay_alu instid0(VALU_DEP_1) | instskip(NEXT) | instid1(VALU_DEP_1)
	v_cvt_f16_f32_e32 v0, v0
	v_and_b32_e32 v0, 0xffff, v0
	global_store_b32 v[6:7], v0, off
.LBB126_1987:
	s_mov_b32 s19, 0
.LBB126_1988:
	s_delay_alu instid0(SALU_CYCLE_1)
	s_and_not1_b32 vcc_lo, exec_lo, s19
	s_cbranch_vccnz .LBB126_1997
; %bb.1989:
	s_sext_i32_i16 s22, s21
	s_mov_b32 s19, -1
	s_cmp_lt_i32 s22, 6
	s_cbranch_scc1 .LBB126_1995
; %bb.1990:
	s_cmp_gt_i32 s22, 6
	s_cbranch_scc0 .LBB126_1992
; %bb.1991:
	s_wait_loadcnt 0x0
	v_cvt_f64_i32_e32 v[0:1], v5
	v_cvt_f64_u32_e32 v[2:3], v4
	s_mov_b32 s19, 0
	s_delay_alu instid0(VALU_DEP_2) | instskip(NEXT) | instid1(VALU_DEP_1)
	v_ldexp_f64 v[0:1], v[0:1], 32
	v_add_f64_e32 v[0:1], v[0:1], v[2:3]
	global_store_b64 v[6:7], v[0:1], off
.LBB126_1992:
	s_and_not1_b32 vcc_lo, exec_lo, s19
	s_cbranch_vccnz .LBB126_1994
; %bb.1993:
	s_wait_loadcnt 0x0
	v_xor_b32_e32 v0, v4, v5
	v_cls_i32_e32 v1, v5
	s_delay_alu instid0(VALU_DEP_2) | instskip(NEXT) | instid1(VALU_DEP_1)
	v_ashrrev_i32_e32 v0, 31, v0
	v_add_nc_u32_e32 v0, 32, v0
	s_delay_alu instid0(VALU_DEP_1) | instskip(NEXT) | instid1(VALU_DEP_1)
	v_add_min_u32_e64 v2, v1, -1, v0
	v_lshlrev_b64_e32 v[0:1], v2, v[4:5]
	s_delay_alu instid0(VALU_DEP_1) | instskip(NEXT) | instid1(VALU_DEP_1)
	v_min_u32_e32 v0, 1, v0
	v_dual_sub_nc_u32 v1, 32, v2 :: v_dual_bitop2_b32 v0, v1, v0 bitop3:0x54
	s_delay_alu instid0(VALU_DEP_1) | instskip(NEXT) | instid1(VALU_DEP_1)
	v_cvt_f32_i32_e32 v0, v0
	v_ldexp_f32 v0, v0, v1
	global_store_b32 v[6:7], v0, off
.LBB126_1994:
	s_mov_b32 s19, 0
.LBB126_1995:
	s_delay_alu instid0(SALU_CYCLE_1)
	s_and_not1_b32 vcc_lo, exec_lo, s19
	s_cbranch_vccnz .LBB126_1997
; %bb.1996:
	s_wait_loadcnt 0x0
	v_xor_b32_e32 v0, v4, v5
	v_cls_i32_e32 v1, v5
	s_delay_alu instid0(VALU_DEP_2) | instskip(NEXT) | instid1(VALU_DEP_1)
	v_ashrrev_i32_e32 v0, 31, v0
	v_add_nc_u32_e32 v0, 32, v0
	s_delay_alu instid0(VALU_DEP_1) | instskip(NEXT) | instid1(VALU_DEP_1)
	v_add_min_u32_e64 v2, v1, -1, v0
	v_lshlrev_b64_e32 v[0:1], v2, v[4:5]
	s_delay_alu instid0(VALU_DEP_1) | instskip(NEXT) | instid1(VALU_DEP_1)
	v_min_u32_e32 v0, 1, v0
	v_dual_sub_nc_u32 v1, 32, v2 :: v_dual_bitop2_b32 v0, v1, v0 bitop3:0x54
	s_delay_alu instid0(VALU_DEP_1) | instskip(NEXT) | instid1(VALU_DEP_1)
	v_cvt_f32_i32_e32 v0, v0
	v_ldexp_f32 v0, v0, v1
	s_delay_alu instid0(VALU_DEP_1)
	v_cvt_f16_f32_e32 v0, v0
	global_store_b16 v[6:7], v0, off
.LBB126_1997:
	s_mov_b32 s19, 0
.LBB126_1998:
	s_delay_alu instid0(SALU_CYCLE_1)
	s_and_not1_b32 vcc_lo, exec_lo, s19
	s_cbranch_vccnz .LBB126_2014
; %bb.1999:
	s_sext_i32_i16 s22, s21
	s_mov_b32 s19, -1
	s_cmp_lt_i32 s22, 2
	s_cbranch_scc1 .LBB126_2009
; %bb.2000:
	s_cmp_lt_i32 s22, 3
	s_cbranch_scc1 .LBB126_2006
; %bb.2001:
	s_cmp_gt_i32 s22, 3
	s_cbranch_scc0 .LBB126_2003
; %bb.2002:
	s_mov_b32 s19, 0
	s_wait_loadcnt 0x0
	global_store_b64 v[6:7], v[4:5], off
.LBB126_2003:
	s_and_not1_b32 vcc_lo, exec_lo, s19
	s_cbranch_vccnz .LBB126_2005
; %bb.2004:
	s_wait_loadcnt 0x0
	global_store_b32 v[6:7], v4, off
.LBB126_2005:
	s_mov_b32 s19, 0
.LBB126_2006:
	s_delay_alu instid0(SALU_CYCLE_1)
	s_and_not1_b32 vcc_lo, exec_lo, s19
	s_cbranch_vccnz .LBB126_2008
; %bb.2007:
	s_wait_loadcnt 0x0
	global_store_b16 v[6:7], v4, off
.LBB126_2008:
	s_mov_b32 s19, 0
.LBB126_2009:
	s_delay_alu instid0(SALU_CYCLE_1)
	s_and_not1_b32 vcc_lo, exec_lo, s19
	s_cbranch_vccnz .LBB126_2014
; %bb.2010:
	s_sext_i32_i16 s19, s21
	s_delay_alu instid0(SALU_CYCLE_1)
	s_cmp_gt_i32 s19, 0
	s_mov_b32 s19, -1
	s_cbranch_scc0 .LBB126_2012
; %bb.2011:
	s_mov_b32 s19, 0
	s_wait_loadcnt 0x0
	global_store_b8 v[6:7], v4, off
.LBB126_2012:
	s_and_not1_b32 vcc_lo, exec_lo, s19
	s_cbranch_vccnz .LBB126_2014
; %bb.2013:
	s_wait_loadcnt 0x0
	global_store_b8 v[6:7], v4, off
.LBB126_2014:
	s_wait_xcnt 0x0
	s_or_b32 exec_lo, exec_lo, s0
	s_delay_alu instid0(SALU_CYCLE_1)
	s_and_b32 s19, s20, exec_lo
                                        ; implicit-def: $vgpr26
.LBB126_2015:
	s_or_saveexec_b32 s18, s18
	s_mov_b32 s0, 0
                                        ; implicit-def: $sgpr20
                                        ; implicit-def: $vgpr0_vgpr1
                                        ; implicit-def: $vgpr2_vgpr3
	s_xor_b32 exec_lo, exec_lo, s18
	s_cbranch_execz .LBB126_3970
; %bb.2016:
	s_wait_loadcnt 0x0
	v_mul_lo_u32 v6, s13, v26
	s_and_b32 s17, s17, 0xff
	s_delay_alu instid0(SALU_CYCLE_1) | instskip(NEXT) | instid1(VALU_DEP_1)
	s_cmp_lt_i32 s17, 11
	v_ashrrev_i32_e32 v7, 31, v6
	s_delay_alu instid0(VALU_DEP_1)
	v_add_nc_u64_e32 v[2:3], s[6:7], v[6:7]
	s_cbranch_scc1 .LBB126_2023
; %bb.2017:
	s_and_b32 s0, 0xffff, s17
	s_mov_b32 s20, 0
	s_cmp_gt_i32 s0, 25
	s_cbranch_scc0 .LBB126_2025
; %bb.2018:
	s_cmp_gt_i32 s0, 28
	s_cbranch_scc0 .LBB126_2026
; %bb.2019:
	s_cmp_gt_i32 s0, 43
	s_cbranch_scc0 .LBB126_2027
; %bb.2020:
	s_cmp_gt_i32 s0, 45
	s_cbranch_scc0 .LBB126_2028
; %bb.2021:
	s_cmp_eq_u32 s0, 46
	s_mov_b32 s22, 0
	s_cbranch_scc0 .LBB126_2031
; %bb.2022:
	global_load_b32 v0, v[2:3], off
	s_mov_b32 s21, -1
	s_wait_loadcnt 0x0
	v_lshlrev_b32_e32 v0, 16, v0
	s_delay_alu instid0(VALU_DEP_1) | instskip(NEXT) | instid1(VALU_DEP_1)
	v_trunc_f32_e32 v0, v0
	v_mul_f32_e64 v1, 0x2f800000, |v0|
	s_delay_alu instid0(VALU_DEP_1) | instskip(NEXT) | instid1(VALU_DEP_1)
	v_floor_f32_e32 v1, v1
	v_fma_f32 v4, 0xcf800000, v1, |v0|
	v_ashrrev_i32_e32 v0, 31, v0
	v_cvt_u32_f32_e32 v5, v1
	s_delay_alu instid0(VALU_DEP_3) | instskip(NEXT) | instid1(VALU_DEP_2)
	v_cvt_u32_f32_e32 v4, v4
	v_dual_mov_b32 v1, v0 :: v_dual_bitop2_b32 v5, v5, v0 bitop3:0x14
	s_delay_alu instid0(VALU_DEP_2) | instskip(NEXT) | instid1(VALU_DEP_1)
	v_xor_b32_e32 v4, v4, v0
	v_sub_nc_u64_e32 v[0:1], v[4:5], v[0:1]
	s_branch .LBB126_2033
.LBB126_2023:
	s_mov_b32 s21, 0
	s_mov_b32 s16, s19
                                        ; implicit-def: $vgpr0_vgpr1
	s_cbranch_execnz .LBB126_2091
.LBB126_2024:
	s_and_not1_b32 vcc_lo, exec_lo, s21
	s_cbranch_vccz .LBB126_2136
	s_branch .LBB126_3968
.LBB126_2025:
	s_mov_b32 s21, 0
                                        ; implicit-def: $vgpr0_vgpr1
	s_cbranch_execnz .LBB126_2058
	s_branch .LBB126_2087
.LBB126_2026:
	s_mov_b32 s21, 0
                                        ; implicit-def: $vgpr0_vgpr1
	s_cbranch_execz .LBB126_2057
	s_branch .LBB126_2042
.LBB126_2027:
	s_mov_b32 s21, 0
                                        ; implicit-def: $vgpr0_vgpr1
	s_cbranch_execnz .LBB126_2038
	s_branch .LBB126_2041
.LBB126_2028:
	s_mov_b32 s22, -1
	s_branch .LBB126_2032
.LBB126_2029:
	s_and_not1_saveexec_b32 s26, s26
	s_cbranch_execz .LBB126_1928
.LBB126_2030:
	v_add_f32_e64 v1, 0x46000000, |v0|
	s_and_not1_b32 s25, s25, exec_lo
	s_delay_alu instid0(VALU_DEP_1) | instskip(NEXT) | instid1(VALU_DEP_1)
	v_and_b32_e32 v1, 0xff, v1
	v_cmp_ne_u32_e32 vcc_lo, 0, v1
	s_and_b32 s27, vcc_lo, exec_lo
	s_delay_alu instid0(SALU_CYCLE_1)
	s_or_b32 s25, s25, s27
	s_or_b32 exec_lo, exec_lo, s26
	v_mov_b32_e32 v2, 0
	s_and_saveexec_b32 s26, s25
	s_cbranch_execnz .LBB126_1929
	s_branch .LBB126_1930
.LBB126_2031:
	s_mov_b32 s16, -1
.LBB126_2032:
	s_mov_b32 s21, 0
                                        ; implicit-def: $vgpr0_vgpr1
.LBB126_2033:
	s_and_b32 vcc_lo, exec_lo, s22
	s_cbranch_vccz .LBB126_2036
; %bb.2034:
	s_cmp_eq_u32 s0, 44
	s_cbranch_scc0 .LBB126_2037
; %bb.2035:
	global_load_u8 v7, v[2:3], off
	s_mov_b32 s16, 0
	s_mov_b32 s21, -1
	s_wait_loadcnt 0x0
	v_cmp_ne_u32_e32 vcc_lo, 0, v7
	v_lshlrev_b32_e32 v0, 23, v7
	s_delay_alu instid0(VALU_DEP_1) | instskip(NEXT) | instid1(VALU_DEP_1)
	v_trunc_f32_e32 v0, v0
	v_mul_f32_e64 v1, 0x2f800000, |v0|
	s_delay_alu instid0(VALU_DEP_1) | instskip(NEXT) | instid1(VALU_DEP_1)
	v_floor_f32_e32 v1, v1
	v_fma_f32 v4, 0xcf800000, v1, |v0|
	v_ashrrev_i32_e32 v0, 31, v0
	v_cvt_u32_f32_e32 v5, v1
	s_delay_alu instid0(VALU_DEP_3) | instskip(NEXT) | instid1(VALU_DEP_2)
	v_cvt_u32_f32_e32 v4, v4
	v_dual_mov_b32 v1, v0 :: v_dual_bitop2_b32 v5, v5, v0 bitop3:0x14
	s_delay_alu instid0(VALU_DEP_2) | instskip(NEXT) | instid1(VALU_DEP_1)
	v_xor_b32_e32 v4, v4, v0
	v_sub_nc_u64_e32 v[0:1], v[4:5], v[0:1]
	s_delay_alu instid0(VALU_DEP_1)
	v_dual_cndmask_b32 v1, 0, v1 :: v_dual_cndmask_b32 v0, 0, v0
.LBB126_2036:
	s_branch .LBB126_2041
.LBB126_2037:
	s_mov_b32 s16, -1
                                        ; implicit-def: $vgpr0_vgpr1
	s_branch .LBB126_2041
.LBB126_2038:
	s_cmp_eq_u32 s0, 29
	s_cbranch_scc0 .LBB126_2040
; %bb.2039:
	global_load_b64 v[0:1], v[2:3], off
	s_mov_b32 s16, 0
	s_mov_b32 s21, -1
	s_branch .LBB126_2041
.LBB126_2040:
	s_mov_b32 s16, -1
                                        ; implicit-def: $vgpr0_vgpr1
.LBB126_2041:
	s_branch .LBB126_2057
.LBB126_2042:
	s_cmp_lt_i32 s0, 27
	s_cbranch_scc1 .LBB126_2045
; %bb.2043:
	s_cmp_gt_i32 s0, 27
	s_cbranch_scc0 .LBB126_2046
; %bb.2044:
	s_wait_loadcnt 0x0
	global_load_b32 v0, v[2:3], off
	v_mov_b32_e32 v1, 0
	s_mov_b32 s21, 0
	s_branch .LBB126_2047
.LBB126_2045:
	s_mov_b32 s21, -1
                                        ; implicit-def: $vgpr0_vgpr1
	s_branch .LBB126_2050
.LBB126_2046:
	s_mov_b32 s21, -1
                                        ; implicit-def: $vgpr0_vgpr1
.LBB126_2047:
	s_delay_alu instid0(SALU_CYCLE_1)
	s_and_not1_b32 vcc_lo, exec_lo, s21
	s_cbranch_vccnz .LBB126_2049
; %bb.2048:
	s_wait_loadcnt 0x0
	global_load_u16 v0, v[2:3], off
	s_mov_b32 s21, 0
	s_delay_alu instid0(SALU_CYCLE_1)
	v_mov_b32_e32 v1, s21
	s_wait_loadcnt 0x0
	v_and_b32_e32 v0, 0xffff, v0
.LBB126_2049:
	s_mov_b32 s21, 0
.LBB126_2050:
	s_delay_alu instid0(SALU_CYCLE_1)
	s_and_not1_b32 vcc_lo, exec_lo, s21
	s_cbranch_vccnz .LBB126_2056
; %bb.2051:
	global_load_u8 v4, v[2:3], off
	s_mov_b32 s22, 0
	s_mov_b32 s21, exec_lo
	s_wait_loadcnt 0x0
	v_cmpx_lt_i16_e32 0x7f, v4
	s_xor_b32 s21, exec_lo, s21
	s_cbranch_execz .LBB126_2067
; %bb.2052:
	v_cmp_ne_u16_e32 vcc_lo, 0x80, v4
	s_and_b32 s22, vcc_lo, exec_lo
	s_and_not1_saveexec_b32 s21, s21
	s_cbranch_execnz .LBB126_2068
.LBB126_2053:
	s_or_b32 exec_lo, exec_lo, s21
	v_mov_b64_e32 v[0:1], 0
	s_and_saveexec_b32 s21, s22
	s_cbranch_execz .LBB126_2055
.LBB126_2054:
	v_and_b32_e32 v0, 0xffff, v4
	s_delay_alu instid0(VALU_DEP_1) | instskip(SKIP_1) | instid1(VALU_DEP_2)
	v_and_b32_e32 v1, 7, v0
	v_bfe_u32 v8, v0, 3, 4
	v_clz_i32_u32_e32 v5, v1
	s_delay_alu instid0(VALU_DEP_2) | instskip(NEXT) | instid1(VALU_DEP_2)
	v_cmp_eq_u32_e32 vcc_lo, 0, v8
	v_min_u32_e32 v5, 32, v5
	s_delay_alu instid0(VALU_DEP_1) | instskip(NEXT) | instid1(VALU_DEP_1)
	v_subrev_nc_u32_e32 v7, 28, v5
	v_dual_lshlrev_b32 v0, v7, v0 :: v_dual_sub_nc_u32 v5, 29, v5
	s_delay_alu instid0(VALU_DEP_1) | instskip(NEXT) | instid1(VALU_DEP_2)
	v_and_b32_e32 v0, 7, v0
	v_dual_cndmask_b32 v5, v8, v5 :: v_dual_lshlrev_b32 v4, 24, v4
	s_delay_alu instid0(VALU_DEP_2) | instskip(NEXT) | instid1(VALU_DEP_2)
	v_cndmask_b32_e32 v0, v1, v0, vcc_lo
	v_and_b32_e32 v1, 0x80000000, v4
	s_delay_alu instid0(VALU_DEP_3) | instskip(NEXT) | instid1(VALU_DEP_3)
	v_lshl_add_u32 v4, v5, 23, 0x3b800000
	v_lshlrev_b32_e32 v0, 20, v0
	s_delay_alu instid0(VALU_DEP_1) | instskip(NEXT) | instid1(VALU_DEP_1)
	v_or3_b32 v0, v1, v4, v0
	v_trunc_f32_e32 v0, v0
	s_delay_alu instid0(VALU_DEP_1) | instskip(NEXT) | instid1(VALU_DEP_1)
	v_mul_f32_e64 v1, 0x2f800000, |v0|
	v_floor_f32_e32 v1, v1
	s_delay_alu instid0(VALU_DEP_1) | instskip(SKIP_2) | instid1(VALU_DEP_3)
	v_fma_f32 v4, 0xcf800000, v1, |v0|
	v_ashrrev_i32_e32 v0, 31, v0
	v_cvt_u32_f32_e32 v5, v1
	v_cvt_u32_f32_e32 v4, v4
	s_delay_alu instid0(VALU_DEP_2) | instskip(NEXT) | instid1(VALU_DEP_2)
	v_dual_mov_b32 v1, v0 :: v_dual_bitop2_b32 v5, v5, v0 bitop3:0x14
	v_xor_b32_e32 v4, v4, v0
	s_delay_alu instid0(VALU_DEP_1)
	v_sub_nc_u64_e32 v[0:1], v[4:5], v[0:1]
.LBB126_2055:
	s_or_b32 exec_lo, exec_lo, s21
.LBB126_2056:
	s_mov_b32 s21, -1
.LBB126_2057:
	s_branch .LBB126_2087
.LBB126_2058:
	s_cmp_gt_i32 s0, 22
	s_cbranch_scc0 .LBB126_2066
; %bb.2059:
	s_cmp_lt_i32 s0, 24
	s_cbranch_scc1 .LBB126_2069
; %bb.2060:
	s_cmp_gt_i32 s0, 24
	s_cbranch_scc0 .LBB126_2070
; %bb.2061:
	global_load_u8 v4, v[2:3], off
	s_mov_b32 s21, 0
	s_mov_b32 s20, exec_lo
	s_wait_loadcnt 0x0
	v_cmpx_lt_i16_e32 0x7f, v4
	s_xor_b32 s20, exec_lo, s20
	s_cbranch_execz .LBB126_2081
; %bb.2062:
	v_cmp_ne_u16_e32 vcc_lo, 0x80, v4
	s_and_b32 s21, vcc_lo, exec_lo
	s_and_not1_saveexec_b32 s20, s20
	s_cbranch_execnz .LBB126_2082
.LBB126_2063:
	s_or_b32 exec_lo, exec_lo, s20
	v_mov_b64_e32 v[0:1], 0
	s_and_saveexec_b32 s20, s21
	s_cbranch_execz .LBB126_2065
.LBB126_2064:
	v_and_b32_e32 v0, 0xffff, v4
	s_delay_alu instid0(VALU_DEP_1) | instskip(SKIP_1) | instid1(VALU_DEP_2)
	v_and_b32_e32 v1, 3, v0
	v_bfe_u32 v8, v0, 2, 5
	v_clz_i32_u32_e32 v5, v1
	s_delay_alu instid0(VALU_DEP_2) | instskip(NEXT) | instid1(VALU_DEP_2)
	v_cmp_eq_u32_e32 vcc_lo, 0, v8
	v_min_u32_e32 v5, 32, v5
	s_delay_alu instid0(VALU_DEP_1) | instskip(NEXT) | instid1(VALU_DEP_1)
	v_subrev_nc_u32_e32 v7, 29, v5
	v_dual_lshlrev_b32 v0, v7, v0 :: v_dual_sub_nc_u32 v5, 30, v5
	s_delay_alu instid0(VALU_DEP_1) | instskip(NEXT) | instid1(VALU_DEP_2)
	v_and_b32_e32 v0, 3, v0
	v_dual_cndmask_b32 v5, v8, v5 :: v_dual_lshlrev_b32 v4, 24, v4
	s_delay_alu instid0(VALU_DEP_2) | instskip(NEXT) | instid1(VALU_DEP_2)
	v_cndmask_b32_e32 v0, v1, v0, vcc_lo
	v_and_b32_e32 v1, 0x80000000, v4
	s_delay_alu instid0(VALU_DEP_3) | instskip(NEXT) | instid1(VALU_DEP_3)
	v_lshl_add_u32 v4, v5, 23, 0x37800000
	v_lshlrev_b32_e32 v0, 21, v0
	s_delay_alu instid0(VALU_DEP_1) | instskip(NEXT) | instid1(VALU_DEP_1)
	v_or3_b32 v0, v1, v4, v0
	v_trunc_f32_e32 v0, v0
	s_delay_alu instid0(VALU_DEP_1) | instskip(NEXT) | instid1(VALU_DEP_1)
	v_mul_f32_e64 v1, 0x2f800000, |v0|
	v_floor_f32_e32 v1, v1
	s_delay_alu instid0(VALU_DEP_1) | instskip(SKIP_2) | instid1(VALU_DEP_3)
	v_fma_f32 v4, 0xcf800000, v1, |v0|
	v_ashrrev_i32_e32 v0, 31, v0
	v_cvt_u32_f32_e32 v5, v1
	v_cvt_u32_f32_e32 v4, v4
	s_delay_alu instid0(VALU_DEP_2) | instskip(NEXT) | instid1(VALU_DEP_2)
	v_dual_mov_b32 v1, v0 :: v_dual_bitop2_b32 v5, v5, v0 bitop3:0x14
	v_xor_b32_e32 v4, v4, v0
	s_delay_alu instid0(VALU_DEP_1)
	v_sub_nc_u64_e32 v[0:1], v[4:5], v[0:1]
.LBB126_2065:
	s_or_b32 exec_lo, exec_lo, s20
	s_mov_b32 s20, 0
	s_branch .LBB126_2071
.LBB126_2066:
                                        ; implicit-def: $vgpr0_vgpr1
	s_mov_b32 s20, 0
	s_branch .LBB126_2077
.LBB126_2067:
	s_and_not1_saveexec_b32 s21, s21
	s_cbranch_execz .LBB126_2053
.LBB126_2068:
	v_cmp_ne_u16_e32 vcc_lo, 0, v4
	s_and_not1_b32 s22, s22, exec_lo
	s_and_b32 s23, vcc_lo, exec_lo
	s_delay_alu instid0(SALU_CYCLE_1)
	s_or_b32 s22, s22, s23
	s_or_b32 exec_lo, exec_lo, s21
	v_mov_b64_e32 v[0:1], 0
	s_and_saveexec_b32 s21, s22
	s_cbranch_execnz .LBB126_2054
	s_branch .LBB126_2055
.LBB126_2069:
	s_mov_b32 s20, -1
                                        ; implicit-def: $vgpr0_vgpr1
	s_branch .LBB126_2074
.LBB126_2070:
	s_mov_b32 s20, -1
                                        ; implicit-def: $vgpr0_vgpr1
.LBB126_2071:
	s_delay_alu instid0(SALU_CYCLE_1)
	s_and_b32 vcc_lo, exec_lo, s20
	s_cbranch_vccz .LBB126_2073
; %bb.2072:
	s_wait_loadcnt 0x0
	global_load_u8 v0, v[2:3], off
	s_wait_loadcnt 0x0
	v_lshlrev_b32_e32 v0, 24, v0
	s_delay_alu instid0(VALU_DEP_1) | instskip(NEXT) | instid1(VALU_DEP_1)
	v_and_b32_e32 v1, 0x7f000000, v0
	v_clz_i32_u32_e32 v4, v1
	v_add_nc_u32_e32 v7, 0x1000000, v1
	v_cmp_ne_u32_e32 vcc_lo, 0, v1
	s_delay_alu instid0(VALU_DEP_3) | instskip(NEXT) | instid1(VALU_DEP_1)
	v_min_u32_e32 v4, 32, v4
	v_sub_nc_u32_e64 v4, v4, 4 clamp
	s_delay_alu instid0(VALU_DEP_1) | instskip(NEXT) | instid1(VALU_DEP_1)
	v_dual_lshlrev_b32 v5, v4, v1 :: v_dual_lshlrev_b32 v4, 23, v4
	v_lshrrev_b32_e32 v5, 4, v5
	s_delay_alu instid0(VALU_DEP_1) | instskip(NEXT) | instid1(VALU_DEP_1)
	v_dual_sub_nc_u32 v4, v5, v4 :: v_dual_ashrrev_i32 v5, 8, v7
	v_add_nc_u32_e32 v4, 0x3c000000, v4
	s_delay_alu instid0(VALU_DEP_1) | instskip(NEXT) | instid1(VALU_DEP_1)
	v_and_or_b32 v4, 0x7f800000, v5, v4
	v_cndmask_b32_e32 v1, 0, v4, vcc_lo
	s_delay_alu instid0(VALU_DEP_1) | instskip(NEXT) | instid1(VALU_DEP_1)
	v_and_or_b32 v0, 0x80000000, v0, v1
	v_trunc_f32_e32 v0, v0
	s_delay_alu instid0(VALU_DEP_1) | instskip(NEXT) | instid1(VALU_DEP_1)
	v_mul_f32_e64 v1, 0x2f800000, |v0|
	v_floor_f32_e32 v1, v1
	s_delay_alu instid0(VALU_DEP_1) | instskip(SKIP_2) | instid1(VALU_DEP_3)
	v_fma_f32 v4, 0xcf800000, v1, |v0|
	v_ashrrev_i32_e32 v0, 31, v0
	v_cvt_u32_f32_e32 v5, v1
	v_cvt_u32_f32_e32 v4, v4
	s_delay_alu instid0(VALU_DEP_2) | instskip(NEXT) | instid1(VALU_DEP_2)
	v_dual_mov_b32 v1, v0 :: v_dual_bitop2_b32 v5, v5, v0 bitop3:0x14
	v_xor_b32_e32 v4, v4, v0
	s_delay_alu instid0(VALU_DEP_1)
	v_sub_nc_u64_e32 v[0:1], v[4:5], v[0:1]
.LBB126_2073:
	s_mov_b32 s20, 0
.LBB126_2074:
	s_delay_alu instid0(SALU_CYCLE_1)
	s_and_not1_b32 vcc_lo, exec_lo, s20
	s_cbranch_vccnz .LBB126_2076
; %bb.2075:
	s_wait_loadcnt 0x0
	global_load_u8 v0, v[2:3], off
	s_wait_loadcnt 0x0
	v_lshlrev_b32_e32 v1, 25, v0
	v_lshlrev_b16 v0, 8, v0
	s_delay_alu instid0(VALU_DEP_1) | instskip(SKIP_1) | instid1(VALU_DEP_2)
	v_and_or_b32 v5, 0x7f00, v0, 0.5
	v_bfe_i32 v0, v0, 0, 16
	v_add_f32_e32 v5, -0.5, v5
	v_lshrrev_b32_e32 v4, 4, v1
	v_cmp_gt_u32_e32 vcc_lo, 0x8000000, v1
	s_delay_alu instid0(VALU_DEP_2) | instskip(NEXT) | instid1(VALU_DEP_1)
	v_or_b32_e32 v4, 0x70000000, v4
	v_mul_f32_e32 v4, 0x7800000, v4
	s_delay_alu instid0(VALU_DEP_1) | instskip(NEXT) | instid1(VALU_DEP_1)
	v_cndmask_b32_e32 v1, v4, v5, vcc_lo
	v_and_or_b32 v0, 0x80000000, v0, v1
	s_delay_alu instid0(VALU_DEP_1) | instskip(NEXT) | instid1(VALU_DEP_1)
	v_trunc_f32_e32 v0, v0
	v_mul_f32_e64 v1, 0x2f800000, |v0|
	s_delay_alu instid0(VALU_DEP_1) | instskip(NEXT) | instid1(VALU_DEP_1)
	v_floor_f32_e32 v1, v1
	v_fma_f32 v4, 0xcf800000, v1, |v0|
	v_ashrrev_i32_e32 v0, 31, v0
	v_cvt_u32_f32_e32 v5, v1
	s_delay_alu instid0(VALU_DEP_3) | instskip(NEXT) | instid1(VALU_DEP_2)
	v_cvt_u32_f32_e32 v4, v4
	v_dual_mov_b32 v1, v0 :: v_dual_bitop2_b32 v5, v5, v0 bitop3:0x14
	s_delay_alu instid0(VALU_DEP_2) | instskip(NEXT) | instid1(VALU_DEP_1)
	v_xor_b32_e32 v4, v4, v0
	v_sub_nc_u64_e32 v[0:1], v[4:5], v[0:1]
.LBB126_2076:
	s_mov_b32 s21, -1
	s_mov_b32 s20, 0
	s_cbranch_execnz .LBB126_2087
.LBB126_2077:
	s_cmp_gt_i32 s0, 14
	s_cbranch_scc0 .LBB126_2080
; %bb.2078:
	s_cmp_eq_u32 s0, 15
	s_cbranch_scc0 .LBB126_2083
; %bb.2079:
	s_wait_loadcnt 0x0
	global_load_u16 v0, v[2:3], off
	s_mov_b32 s16, 0
	s_mov_b32 s21, -1
	s_wait_loadcnt 0x0
	v_lshlrev_b32_e32 v0, 16, v0
	s_delay_alu instid0(VALU_DEP_1) | instskip(NEXT) | instid1(VALU_DEP_1)
	v_trunc_f32_e32 v0, v0
	v_mul_f32_e64 v1, 0x2f800000, |v0|
	s_delay_alu instid0(VALU_DEP_1) | instskip(NEXT) | instid1(VALU_DEP_1)
	v_floor_f32_e32 v1, v1
	v_fma_f32 v4, 0xcf800000, v1, |v0|
	v_ashrrev_i32_e32 v0, 31, v0
	v_cvt_u32_f32_e32 v5, v1
	s_delay_alu instid0(VALU_DEP_3) | instskip(NEXT) | instid1(VALU_DEP_2)
	v_cvt_u32_f32_e32 v4, v4
	v_dual_mov_b32 v1, v0 :: v_dual_bitop2_b32 v5, v5, v0 bitop3:0x14
	s_delay_alu instid0(VALU_DEP_2) | instskip(NEXT) | instid1(VALU_DEP_1)
	v_xor_b32_e32 v4, v4, v0
	v_sub_nc_u64_e32 v[0:1], v[4:5], v[0:1]
	s_branch .LBB126_2085
.LBB126_2080:
	s_mov_b32 s20, -1
	s_branch .LBB126_2084
.LBB126_2081:
	s_and_not1_saveexec_b32 s20, s20
	s_cbranch_execz .LBB126_2063
.LBB126_2082:
	v_cmp_ne_u16_e32 vcc_lo, 0, v4
	s_and_not1_b32 s21, s21, exec_lo
	s_and_b32 s22, vcc_lo, exec_lo
	s_delay_alu instid0(SALU_CYCLE_1)
	s_or_b32 s21, s21, s22
	s_or_b32 exec_lo, exec_lo, s20
	v_mov_b64_e32 v[0:1], 0
	s_and_saveexec_b32 s20, s21
	s_cbranch_execnz .LBB126_2064
	s_branch .LBB126_2065
.LBB126_2083:
	s_mov_b32 s16, -1
.LBB126_2084:
                                        ; implicit-def: $vgpr0_vgpr1
.LBB126_2085:
	s_and_b32 vcc_lo, exec_lo, s20
	s_mov_b32 s20, 0
	s_cbranch_vccz .LBB126_2087
; %bb.2086:
	s_cmp_lg_u32 s0, 11
	s_mov_b32 s20, -1
	s_cselect_b32 s16, -1, 0
.LBB126_2087:
	s_delay_alu instid0(SALU_CYCLE_1)
	s_and_b32 vcc_lo, exec_lo, s16
	s_mov_b32 s16, s19
	s_cbranch_vccnz .LBB126_2148
; %bb.2088:
	s_and_not1_b32 vcc_lo, exec_lo, s20
	s_cbranch_vccnz .LBB126_2090
.LBB126_2089:
	s_wait_loadcnt 0x0
	global_load_u8 v0, v[2:3], off
	s_mov_b32 s0, 0
	s_mov_b32 s21, -1
	v_mov_b32_e32 v1, s0
	s_wait_loadcnt 0x0
	v_cmp_ne_u16_e32 vcc_lo, 0, v0
	v_cndmask_b32_e64 v0, 0, 1, vcc_lo
.LBB126_2090:
	s_branch .LBB126_2024
.LBB126_2091:
	s_and_b32 s0, 0xffff, s17
	s_delay_alu instid0(SALU_CYCLE_1)
	s_cmp_lt_i32 s0, 5
	s_cbranch_scc1 .LBB126_2096
; %bb.2092:
	s_cmp_lt_i32 s0, 8
	s_cbranch_scc1 .LBB126_2097
; %bb.2093:
	;; [unrolled: 3-line block ×3, first 2 shown]
	s_cmp_gt_i32 s0, 9
	s_cbranch_scc0 .LBB126_2099
; %bb.2095:
	s_wait_loadcnt 0x0
	global_load_b64 v[0:1], v[2:3], off
	s_mov_b32 s20, 0
	s_wait_loadcnt 0x0
	v_trunc_f64_e32 v[0:1], v[0:1]
	s_delay_alu instid0(VALU_DEP_1) | instskip(NEXT) | instid1(VALU_DEP_1)
	v_ldexp_f64 v[4:5], v[0:1], 0xffffffe0
	v_floor_f64_e32 v[4:5], v[4:5]
	s_delay_alu instid0(VALU_DEP_1) | instskip(SKIP_1) | instid1(VALU_DEP_2)
	v_fmamk_f64 v[8:9], v[4:5], 0xc1f00000, v[0:1]
	v_cvt_i32_f64_e32 v1, v[4:5]
	v_cvt_u32_f64_e32 v0, v[8:9]
	s_branch .LBB126_2100
.LBB126_2096:
                                        ; implicit-def: $vgpr0_vgpr1
	s_branch .LBB126_2117
.LBB126_2097:
                                        ; implicit-def: $vgpr0_vgpr1
	s_branch .LBB126_2106
.LBB126_2098:
	s_mov_b32 s20, -1
                                        ; implicit-def: $vgpr0_vgpr1
	s_branch .LBB126_2103
.LBB126_2099:
	s_mov_b32 s20, -1
                                        ; implicit-def: $vgpr0_vgpr1
.LBB126_2100:
	s_delay_alu instid0(SALU_CYCLE_1)
	s_and_not1_b32 vcc_lo, exec_lo, s20
	s_cbranch_vccnz .LBB126_2102
; %bb.2101:
	s_wait_loadcnt 0x0
	global_load_b32 v0, v[2:3], off
	s_wait_loadcnt 0x0
	v_trunc_f32_e32 v0, v0
	s_delay_alu instid0(VALU_DEP_1) | instskip(NEXT) | instid1(VALU_DEP_1)
	v_mul_f32_e64 v1, 0x2f800000, |v0|
	v_floor_f32_e32 v1, v1
	s_delay_alu instid0(VALU_DEP_1) | instskip(SKIP_2) | instid1(VALU_DEP_3)
	v_fma_f32 v4, 0xcf800000, v1, |v0|
	v_ashrrev_i32_e32 v0, 31, v0
	v_cvt_u32_f32_e32 v5, v1
	v_cvt_u32_f32_e32 v4, v4
	s_delay_alu instid0(VALU_DEP_2) | instskip(NEXT) | instid1(VALU_DEP_2)
	v_dual_mov_b32 v1, v0 :: v_dual_bitop2_b32 v5, v5, v0 bitop3:0x14
	v_xor_b32_e32 v4, v4, v0
	s_delay_alu instid0(VALU_DEP_1)
	v_sub_nc_u64_e32 v[0:1], v[4:5], v[0:1]
.LBB126_2102:
	s_mov_b32 s20, 0
.LBB126_2103:
	s_delay_alu instid0(SALU_CYCLE_1)
	s_and_not1_b32 vcc_lo, exec_lo, s20
	s_cbranch_vccnz .LBB126_2105
; %bb.2104:
	s_wait_loadcnt 0x0
	global_load_b32 v0, v[2:3], off
	s_wait_loadcnt 0x0
	v_cvt_f32_f16_e32 v0, v0
	s_delay_alu instid0(VALU_DEP_1) | instskip(NEXT) | instid1(VALU_DEP_1)
	v_cvt_i32_f32_e32 v0, v0
	v_ashrrev_i32_e32 v1, 31, v0
.LBB126_2105:
	s_cbranch_execnz .LBB126_2116
.LBB126_2106:
	s_cmp_lt_i32 s0, 6
	s_cbranch_scc1 .LBB126_2109
; %bb.2107:
	s_cmp_gt_i32 s0, 6
	s_cbranch_scc0 .LBB126_2110
; %bb.2108:
	s_wait_loadcnt 0x0
	global_load_b64 v[0:1], v[2:3], off
	s_mov_b32 s20, 0
	s_wait_loadcnt 0x0
	v_trunc_f64_e32 v[0:1], v[0:1]
	s_delay_alu instid0(VALU_DEP_1) | instskip(NEXT) | instid1(VALU_DEP_1)
	v_ldexp_f64 v[4:5], v[0:1], 0xffffffe0
	v_floor_f64_e32 v[4:5], v[4:5]
	s_delay_alu instid0(VALU_DEP_1) | instskip(SKIP_1) | instid1(VALU_DEP_2)
	v_fmamk_f64 v[8:9], v[4:5], 0xc1f00000, v[0:1]
	v_cvt_i32_f64_e32 v1, v[4:5]
	v_cvt_u32_f64_e32 v0, v[8:9]
	s_branch .LBB126_2111
.LBB126_2109:
	s_mov_b32 s20, -1
                                        ; implicit-def: $vgpr0_vgpr1
	s_branch .LBB126_2114
.LBB126_2110:
	s_mov_b32 s20, -1
                                        ; implicit-def: $vgpr0_vgpr1
.LBB126_2111:
	s_delay_alu instid0(SALU_CYCLE_1)
	s_and_not1_b32 vcc_lo, exec_lo, s20
	s_cbranch_vccnz .LBB126_2113
; %bb.2112:
	s_wait_loadcnt 0x0
	global_load_b32 v0, v[2:3], off
	s_wait_loadcnt 0x0
	v_trunc_f32_e32 v0, v0
	s_delay_alu instid0(VALU_DEP_1) | instskip(NEXT) | instid1(VALU_DEP_1)
	v_mul_f32_e64 v1, 0x2f800000, |v0|
	v_floor_f32_e32 v1, v1
	s_delay_alu instid0(VALU_DEP_1) | instskip(SKIP_2) | instid1(VALU_DEP_3)
	v_fma_f32 v4, 0xcf800000, v1, |v0|
	v_ashrrev_i32_e32 v0, 31, v0
	v_cvt_u32_f32_e32 v5, v1
	v_cvt_u32_f32_e32 v4, v4
	s_delay_alu instid0(VALU_DEP_2) | instskip(NEXT) | instid1(VALU_DEP_2)
	v_dual_mov_b32 v1, v0 :: v_dual_bitop2_b32 v5, v5, v0 bitop3:0x14
	v_xor_b32_e32 v4, v4, v0
	s_delay_alu instid0(VALU_DEP_1)
	v_sub_nc_u64_e32 v[0:1], v[4:5], v[0:1]
.LBB126_2113:
	s_mov_b32 s20, 0
.LBB126_2114:
	s_delay_alu instid0(SALU_CYCLE_1)
	s_and_not1_b32 vcc_lo, exec_lo, s20
	s_cbranch_vccnz .LBB126_2116
; %bb.2115:
	s_wait_loadcnt 0x0
	global_load_u16 v0, v[2:3], off
	s_wait_loadcnt 0x0
	v_cvt_f32_f16_e32 v0, v0
	s_delay_alu instid0(VALU_DEP_1) | instskip(NEXT) | instid1(VALU_DEP_1)
	v_cvt_i32_f32_e32 v0, v0
	v_ashrrev_i32_e32 v1, 31, v0
.LBB126_2116:
	s_cbranch_execnz .LBB126_2135
.LBB126_2117:
	s_cmp_lt_i32 s0, 2
	s_cbranch_scc1 .LBB126_2121
; %bb.2118:
	s_cmp_lt_i32 s0, 3
	s_cbranch_scc1 .LBB126_2122
; %bb.2119:
	s_cmp_gt_i32 s0, 3
	s_cbranch_scc0 .LBB126_2123
; %bb.2120:
	s_wait_loadcnt 0x0
	global_load_b64 v[0:1], v[2:3], off
	s_mov_b32 s20, 0
	s_branch .LBB126_2124
.LBB126_2121:
                                        ; implicit-def: $vgpr0_vgpr1
	s_branch .LBB126_2130
.LBB126_2122:
	s_mov_b32 s20, -1
                                        ; implicit-def: $vgpr0_vgpr1
	s_branch .LBB126_2127
.LBB126_2123:
	s_mov_b32 s20, -1
                                        ; implicit-def: $vgpr0_vgpr1
.LBB126_2124:
	s_delay_alu instid0(SALU_CYCLE_1)
	s_and_not1_b32 vcc_lo, exec_lo, s20
	s_cbranch_vccnz .LBB126_2126
; %bb.2125:
	s_wait_loadcnt 0x0
	global_load_b32 v0, v[2:3], off
	s_wait_loadcnt 0x0
	v_ashrrev_i32_e32 v1, 31, v0
.LBB126_2126:
	s_mov_b32 s20, 0
.LBB126_2127:
	s_delay_alu instid0(SALU_CYCLE_1)
	s_and_not1_b32 vcc_lo, exec_lo, s20
	s_cbranch_vccnz .LBB126_2129
; %bb.2128:
	s_wait_loadcnt 0x0
	global_load_u16 v0, v[2:3], off
	s_wait_loadcnt 0x0
	v_bfe_i32 v0, v0, 0, 16
	s_delay_alu instid0(VALU_DEP_1)
	v_ashrrev_i32_e32 v1, 31, v0
.LBB126_2129:
	s_cbranch_execnz .LBB126_2135
.LBB126_2130:
	s_cmp_gt_i32 s0, 0
	s_mov_b32 s0, 0
	s_cbranch_scc0 .LBB126_2132
; %bb.2131:
	s_wait_loadcnt 0x0
	global_load_i8 v0, v[2:3], off
	s_wait_loadcnt 0x0
	v_bfe_i32 v0, v0, 0, 16
	s_delay_alu instid0(VALU_DEP_1)
	v_ashrrev_i32_e32 v1, 31, v0
	s_branch .LBB126_2133
.LBB126_2132:
	s_mov_b32 s0, -1
                                        ; implicit-def: $vgpr0_vgpr1
.LBB126_2133:
	s_delay_alu instid0(SALU_CYCLE_1)
	s_and_not1_b32 vcc_lo, exec_lo, s0
	s_cbranch_vccnz .LBB126_2135
; %bb.2134:
	s_wait_loadcnt 0x0
	global_load_u8 v0, v[2:3], off
	s_mov_b32 s0, 0
	s_delay_alu instid0(SALU_CYCLE_1)
	v_mov_b32_e32 v1, s0
	s_wait_loadcnt 0x0
	v_and_b32_e32 v0, 0xffff, v0
.LBB126_2135:
.LBB126_2136:
	v_mul_lo_u32 v8, s14, v26
	s_and_b32 s3, s3, 0xff
	s_delay_alu instid0(SALU_CYCLE_1) | instskip(NEXT) | instid1(VALU_DEP_1)
	s_cmp_lt_i32 s3, 11
	v_ashrrev_i32_e32 v9, 31, v8
	s_delay_alu instid0(VALU_DEP_1)
	v_add_nc_u64_e32 v[4:5], s[8:9], v[8:9]
	s_cbranch_scc1 .LBB126_2143
; %bb.2137:
	s_and_b32 s0, 0xffff, s3
	s_mov_b32 s21, 0
	s_cmp_gt_i32 s0, 25
	s_cbranch_scc0 .LBB126_2145
; %bb.2138:
	s_cmp_gt_i32 s0, 28
	s_cbranch_scc0 .LBB126_2146
; %bb.2139:
	;; [unrolled: 3-line block ×4, first 2 shown]
	s_cmp_eq_u32 s0, 46
	s_mov_b32 s23, 0
	s_cbranch_scc0 .LBB126_2152
; %bb.2142:
	global_load_b32 v2, v[4:5], off
	s_mov_b32 s20, 0
	s_mov_b32 s22, -1
	s_wait_loadcnt 0x0
	v_lshlrev_b32_e32 v2, 16, v2
	s_delay_alu instid0(VALU_DEP_1) | instskip(NEXT) | instid1(VALU_DEP_1)
	v_trunc_f32_e32 v2, v2
	v_mul_f32_e64 v3, 0x2f800000, |v2|
	s_delay_alu instid0(VALU_DEP_1) | instskip(NEXT) | instid1(VALU_DEP_1)
	v_floor_f32_e32 v3, v3
	v_fma_f32 v7, 0xcf800000, v3, |v2|
	v_ashrrev_i32_e32 v2, 31, v2
	v_cvt_u32_f32_e32 v9, v3
	s_delay_alu instid0(VALU_DEP_3) | instskip(NEXT) | instid1(VALU_DEP_2)
	v_cvt_u32_f32_e32 v7, v7
	v_dual_mov_b32 v3, v2 :: v_dual_bitop2_b32 v11, v9, v2 bitop3:0x14
	s_delay_alu instid0(VALU_DEP_2) | instskip(NEXT) | instid1(VALU_DEP_1)
	v_xor_b32_e32 v10, v7, v2
	v_sub_nc_u64_e32 v[2:3], v[10:11], v[2:3]
	s_branch .LBB126_2154
.LBB126_2143:
	s_mov_b32 s22, 0
                                        ; implicit-def: $vgpr2_vgpr3
	s_cbranch_execnz .LBB126_2215
.LBB126_2144:
	s_and_not1_b32 vcc_lo, exec_lo, s22
	s_cbranch_vccnz .LBB126_3968
	s_branch .LBB126_2262
.LBB126_2145:
	s_mov_b32 s22, 0
	s_mov_b32 s20, 0
                                        ; implicit-def: $vgpr2_vgpr3
	s_cbranch_execnz .LBB126_2181
	s_branch .LBB126_2211
.LBB126_2146:
	s_mov_b32 s23, -1
	s_mov_b32 s22, 0
	s_mov_b32 s20, 0
                                        ; implicit-def: $vgpr2_vgpr3
	s_branch .LBB126_2164
.LBB126_2147:
	s_mov_b32 s23, -1
	s_mov_b32 s22, 0
	s_mov_b32 s20, 0
                                        ; implicit-def: $vgpr2_vgpr3
	s_branch .LBB126_2159
.LBB126_2148:
	s_or_b32 s16, s19, exec_lo
	s_trap 2
	s_cbranch_execz .LBB126_2089
	s_branch .LBB126_2090
.LBB126_2149:
	s_mov_b32 s23, -1
	s_mov_b32 s22, 0
	s_mov_b32 s20, 0
	s_branch .LBB126_2153
.LBB126_2150:
	s_and_not1_saveexec_b32 s27, s27
	s_cbranch_execz .LBB126_1940
.LBB126_2151:
	v_add_f32_e64 v1, 0x42800000, |v0|
	s_and_not1_b32 s26, s26, exec_lo
	s_delay_alu instid0(VALU_DEP_1) | instskip(NEXT) | instid1(VALU_DEP_1)
	v_and_b32_e32 v1, 0xff, v1
	v_cmp_ne_u32_e32 vcc_lo, 0, v1
	s_and_b32 s28, vcc_lo, exec_lo
	s_delay_alu instid0(SALU_CYCLE_1)
	s_or_b32 s26, s26, s28
	s_or_b32 exec_lo, exec_lo, s27
	v_mov_b32_e32 v2, 0
	s_and_saveexec_b32 s27, s26
	s_cbranch_execnz .LBB126_1941
	s_branch .LBB126_1942
.LBB126_2152:
	s_mov_b32 s20, -1
	s_mov_b32 s22, 0
.LBB126_2153:
                                        ; implicit-def: $vgpr2_vgpr3
.LBB126_2154:
	s_and_b32 vcc_lo, exec_lo, s23
	s_cbranch_vccz .LBB126_2158
; %bb.2155:
	s_cmp_eq_u32 s0, 44
	s_cbranch_scc0 .LBB126_2157
; %bb.2156:
	global_load_u8 v7, v[4:5], off
	s_mov_b32 s20, 0
	s_mov_b32 s22, -1
	s_wait_loadcnt 0x0
	s_wait_xcnt 0x1
	v_lshlrev_b32_e32 v2, 23, v7
	v_cmp_ne_u32_e32 vcc_lo, 0, v7
	s_delay_alu instid0(VALU_DEP_2) | instskip(NEXT) | instid1(VALU_DEP_1)
	v_trunc_f32_e32 v2, v2
	v_mul_f32_e64 v3, 0x2f800000, |v2|
	s_delay_alu instid0(VALU_DEP_1) | instskip(NEXT) | instid1(VALU_DEP_1)
	v_floor_f32_e32 v3, v3
	v_fma_f32 v9, 0xcf800000, v3, |v2|
	v_ashrrev_i32_e32 v2, 31, v2
	v_cvt_u32_f32_e32 v10, v3
	s_delay_alu instid0(VALU_DEP_3) | instskip(NEXT) | instid1(VALU_DEP_3)
	v_cvt_u32_f32_e32 v9, v9
	v_mov_b32_e32 v3, v2
	s_delay_alu instid0(VALU_DEP_3) | instskip(NEXT) | instid1(VALU_DEP_3)
	v_xor_b32_e32 v11, v10, v2
	v_xor_b32_e32 v10, v9, v2
	s_delay_alu instid0(VALU_DEP_1) | instskip(NEXT) | instid1(VALU_DEP_1)
	v_sub_nc_u64_e32 v[2:3], v[10:11], v[2:3]
	v_dual_cndmask_b32 v3, 0, v3 :: v_dual_cndmask_b32 v2, 0, v2
	s_branch .LBB126_2158
.LBB126_2157:
	s_mov_b32 s20, -1
                                        ; implicit-def: $vgpr2_vgpr3
.LBB126_2158:
	s_mov_b32 s23, 0
.LBB126_2159:
	s_delay_alu instid0(SALU_CYCLE_1)
	s_and_b32 vcc_lo, exec_lo, s23
	s_cbranch_vccz .LBB126_2163
; %bb.2160:
	s_cmp_eq_u32 s0, 29
	s_cbranch_scc0 .LBB126_2162
; %bb.2161:
	global_load_b64 v[2:3], v[4:5], off
	s_mov_b32 s20, 0
	s_mov_b32 s22, -1
	s_branch .LBB126_2163
.LBB126_2162:
	s_mov_b32 s20, -1
                                        ; implicit-def: $vgpr2_vgpr3
.LBB126_2163:
	s_mov_b32 s23, 0
.LBB126_2164:
	s_delay_alu instid0(SALU_CYCLE_1)
	s_and_b32 vcc_lo, exec_lo, s23
	s_cbranch_vccz .LBB126_2180
; %bb.2165:
	s_cmp_lt_i32 s0, 27
	s_cbranch_scc1 .LBB126_2168
; %bb.2166:
	s_cmp_gt_i32 s0, 27
	s_cbranch_scc0 .LBB126_2169
; %bb.2167:
	s_wait_loadcnt 0x0
	global_load_b32 v2, v[4:5], off
	v_mov_b32_e32 v3, 0
	s_mov_b32 s22, 0
	s_branch .LBB126_2170
.LBB126_2168:
	s_mov_b32 s22, -1
                                        ; implicit-def: $vgpr2_vgpr3
	s_branch .LBB126_2173
.LBB126_2169:
	s_mov_b32 s22, -1
                                        ; implicit-def: $vgpr2_vgpr3
.LBB126_2170:
	s_delay_alu instid0(SALU_CYCLE_1)
	s_and_not1_b32 vcc_lo, exec_lo, s22
	s_cbranch_vccnz .LBB126_2172
; %bb.2171:
	s_wait_loadcnt 0x0
	global_load_u16 v2, v[4:5], off
	s_mov_b32 s22, 0
	s_delay_alu instid0(SALU_CYCLE_1)
	v_mov_b32_e32 v3, s22
	s_wait_loadcnt 0x0
	v_and_b32_e32 v2, 0xffff, v2
.LBB126_2172:
	s_mov_b32 s22, 0
.LBB126_2173:
	s_delay_alu instid0(SALU_CYCLE_1)
	s_and_not1_b32 vcc_lo, exec_lo, s22
	s_cbranch_vccnz .LBB126_2179
; %bb.2174:
	global_load_u8 v7, v[4:5], off
	s_mov_b32 s23, 0
	s_mov_b32 s22, exec_lo
	s_wait_loadcnt 0x0
	v_cmpx_lt_i16_e32 0x7f, v7
	s_xor_b32 s22, exec_lo, s22
	s_cbranch_execz .LBB126_2190
; %bb.2175:
	v_cmp_ne_u16_e32 vcc_lo, 0x80, v7
	s_and_b32 s23, vcc_lo, exec_lo
	s_and_not1_saveexec_b32 s22, s22
	s_cbranch_execnz .LBB126_2191
.LBB126_2176:
	s_or_b32 exec_lo, exec_lo, s22
	v_mov_b64_e32 v[2:3], 0
	s_and_saveexec_b32 s22, s23
	s_cbranch_execz .LBB126_2178
.LBB126_2177:
	v_and_b32_e32 v2, 0xffff, v7
	s_delay_alu instid0(VALU_DEP_1) | instskip(SKIP_1) | instid1(VALU_DEP_2)
	v_and_b32_e32 v3, 7, v2
	v_bfe_u32 v11, v2, 3, 4
	v_clz_i32_u32_e32 v9, v3
	s_delay_alu instid0(VALU_DEP_2) | instskip(NEXT) | instid1(VALU_DEP_2)
	v_cmp_eq_u32_e32 vcc_lo, 0, v11
	v_min_u32_e32 v9, 32, v9
	s_delay_alu instid0(VALU_DEP_1) | instskip(NEXT) | instid1(VALU_DEP_1)
	v_subrev_nc_u32_e32 v10, 28, v9
	v_dual_lshlrev_b32 v2, v10, v2 :: v_dual_sub_nc_u32 v9, 29, v9
	s_delay_alu instid0(VALU_DEP_1) | instskip(NEXT) | instid1(VALU_DEP_2)
	v_dual_lshlrev_b32 v7, 24, v7 :: v_dual_bitop2_b32 v2, 7, v2 bitop3:0x40
	v_cndmask_b32_e32 v9, v11, v9, vcc_lo
	s_delay_alu instid0(VALU_DEP_2) | instskip(NEXT) | instid1(VALU_DEP_3)
	v_cndmask_b32_e32 v2, v3, v2, vcc_lo
	v_and_b32_e32 v3, 0x80000000, v7
	s_delay_alu instid0(VALU_DEP_3) | instskip(NEXT) | instid1(VALU_DEP_3)
	v_lshl_add_u32 v7, v9, 23, 0x3b800000
	v_lshlrev_b32_e32 v2, 20, v2
	s_delay_alu instid0(VALU_DEP_1) | instskip(NEXT) | instid1(VALU_DEP_1)
	v_or3_b32 v2, v3, v7, v2
	v_trunc_f32_e32 v2, v2
	s_delay_alu instid0(VALU_DEP_1) | instskip(NEXT) | instid1(VALU_DEP_1)
	v_mul_f32_e64 v3, 0x2f800000, |v2|
	v_floor_f32_e32 v3, v3
	s_delay_alu instid0(VALU_DEP_1) | instskip(SKIP_2) | instid1(VALU_DEP_3)
	v_fma_f32 v7, 0xcf800000, v3, |v2|
	v_ashrrev_i32_e32 v2, 31, v2
	v_cvt_u32_f32_e32 v9, v3
	v_cvt_u32_f32_e32 v7, v7
	s_delay_alu instid0(VALU_DEP_2) | instskip(NEXT) | instid1(VALU_DEP_2)
	v_dual_mov_b32 v3, v2 :: v_dual_bitop2_b32 v11, v9, v2 bitop3:0x14
	v_xor_b32_e32 v10, v7, v2
	s_delay_alu instid0(VALU_DEP_1)
	v_sub_nc_u64_e32 v[2:3], v[10:11], v[2:3]
.LBB126_2178:
	s_or_b32 exec_lo, exec_lo, s22
.LBB126_2179:
	s_mov_b32 s22, -1
.LBB126_2180:
	s_branch .LBB126_2211
.LBB126_2181:
	s_cmp_gt_i32 s0, 22
	s_cbranch_scc0 .LBB126_2189
; %bb.2182:
	s_cmp_lt_i32 s0, 24
	s_cbranch_scc1 .LBB126_2192
; %bb.2183:
	s_cmp_gt_i32 s0, 24
	s_cbranch_scc0 .LBB126_2193
; %bb.2184:
	global_load_u8 v7, v[4:5], off
	s_mov_b32 s22, 0
	s_mov_b32 s21, exec_lo
	s_wait_loadcnt 0x0
	v_cmpx_lt_i16_e32 0x7f, v7
	s_xor_b32 s21, exec_lo, s21
	s_cbranch_execz .LBB126_2205
; %bb.2185:
	v_cmp_ne_u16_e32 vcc_lo, 0x80, v7
	s_and_b32 s22, vcc_lo, exec_lo
	s_and_not1_saveexec_b32 s21, s21
	s_cbranch_execnz .LBB126_2206
.LBB126_2186:
	s_or_b32 exec_lo, exec_lo, s21
	v_mov_b64_e32 v[2:3], 0
	s_and_saveexec_b32 s21, s22
	s_cbranch_execz .LBB126_2188
.LBB126_2187:
	v_and_b32_e32 v2, 0xffff, v7
	s_delay_alu instid0(VALU_DEP_1) | instskip(SKIP_1) | instid1(VALU_DEP_2)
	v_and_b32_e32 v3, 3, v2
	v_bfe_u32 v11, v2, 2, 5
	v_clz_i32_u32_e32 v9, v3
	s_delay_alu instid0(VALU_DEP_2) | instskip(NEXT) | instid1(VALU_DEP_2)
	v_cmp_eq_u32_e32 vcc_lo, 0, v11
	v_min_u32_e32 v9, 32, v9
	s_delay_alu instid0(VALU_DEP_1) | instskip(NEXT) | instid1(VALU_DEP_1)
	v_subrev_nc_u32_e32 v10, 29, v9
	v_dual_lshlrev_b32 v2, v10, v2 :: v_dual_sub_nc_u32 v9, 30, v9
	s_delay_alu instid0(VALU_DEP_1) | instskip(NEXT) | instid1(VALU_DEP_2)
	v_dual_lshlrev_b32 v7, 24, v7 :: v_dual_bitop2_b32 v2, 3, v2 bitop3:0x40
	v_cndmask_b32_e32 v9, v11, v9, vcc_lo
	s_delay_alu instid0(VALU_DEP_2) | instskip(NEXT) | instid1(VALU_DEP_3)
	v_cndmask_b32_e32 v2, v3, v2, vcc_lo
	v_and_b32_e32 v3, 0x80000000, v7
	s_delay_alu instid0(VALU_DEP_3) | instskip(NEXT) | instid1(VALU_DEP_3)
	v_lshl_add_u32 v7, v9, 23, 0x37800000
	v_lshlrev_b32_e32 v2, 21, v2
	s_delay_alu instid0(VALU_DEP_1) | instskip(NEXT) | instid1(VALU_DEP_1)
	v_or3_b32 v2, v3, v7, v2
	v_trunc_f32_e32 v2, v2
	s_delay_alu instid0(VALU_DEP_1) | instskip(NEXT) | instid1(VALU_DEP_1)
	v_mul_f32_e64 v3, 0x2f800000, |v2|
	v_floor_f32_e32 v3, v3
	s_delay_alu instid0(VALU_DEP_1) | instskip(SKIP_2) | instid1(VALU_DEP_3)
	v_fma_f32 v7, 0xcf800000, v3, |v2|
	v_ashrrev_i32_e32 v2, 31, v2
	v_cvt_u32_f32_e32 v9, v3
	v_cvt_u32_f32_e32 v7, v7
	s_delay_alu instid0(VALU_DEP_2) | instskip(NEXT) | instid1(VALU_DEP_2)
	v_dual_mov_b32 v3, v2 :: v_dual_bitop2_b32 v11, v9, v2 bitop3:0x14
	v_xor_b32_e32 v10, v7, v2
	s_delay_alu instid0(VALU_DEP_1)
	v_sub_nc_u64_e32 v[2:3], v[10:11], v[2:3]
.LBB126_2188:
	s_or_b32 exec_lo, exec_lo, s21
	s_mov_b32 s21, 0
	s_branch .LBB126_2194
.LBB126_2189:
	s_mov_b32 s21, -1
                                        ; implicit-def: $vgpr2_vgpr3
	s_branch .LBB126_2200
.LBB126_2190:
	s_and_not1_saveexec_b32 s22, s22
	s_cbranch_execz .LBB126_2176
.LBB126_2191:
	v_cmp_ne_u16_e32 vcc_lo, 0, v7
	s_and_not1_b32 s23, s23, exec_lo
	s_and_b32 s24, vcc_lo, exec_lo
	s_delay_alu instid0(SALU_CYCLE_1)
	s_or_b32 s23, s23, s24
	s_or_b32 exec_lo, exec_lo, s22
	v_mov_b64_e32 v[2:3], 0
	s_and_saveexec_b32 s22, s23
	s_cbranch_execnz .LBB126_2177
	s_branch .LBB126_2178
.LBB126_2192:
	s_mov_b32 s21, -1
                                        ; implicit-def: $vgpr2_vgpr3
	s_branch .LBB126_2197
.LBB126_2193:
	s_mov_b32 s21, -1
                                        ; implicit-def: $vgpr2_vgpr3
.LBB126_2194:
	s_delay_alu instid0(SALU_CYCLE_1)
	s_and_b32 vcc_lo, exec_lo, s21
	s_cbranch_vccz .LBB126_2196
; %bb.2195:
	s_wait_loadcnt 0x0
	global_load_u8 v2, v[4:5], off
	s_wait_loadcnt 0x0
	v_lshlrev_b32_e32 v2, 24, v2
	s_delay_alu instid0(VALU_DEP_1) | instskip(NEXT) | instid1(VALU_DEP_1)
	v_and_b32_e32 v3, 0x7f000000, v2
	v_clz_i32_u32_e32 v7, v3
	v_add_nc_u32_e32 v10, 0x1000000, v3
	v_cmp_ne_u32_e32 vcc_lo, 0, v3
	s_delay_alu instid0(VALU_DEP_3) | instskip(NEXT) | instid1(VALU_DEP_1)
	v_min_u32_e32 v7, 32, v7
	v_sub_nc_u32_e64 v7, v7, 4 clamp
	s_delay_alu instid0(VALU_DEP_1) | instskip(NEXT) | instid1(VALU_DEP_1)
	v_lshlrev_b32_e32 v9, v7, v3
	v_dual_lshlrev_b32 v7, 23, v7 :: v_dual_lshrrev_b32 v9, 4, v9
	s_delay_alu instid0(VALU_DEP_1) | instskip(NEXT) | instid1(VALU_DEP_1)
	v_dual_sub_nc_u32 v7, v9, v7 :: v_dual_ashrrev_i32 v9, 8, v10
	v_add_nc_u32_e32 v7, 0x3c000000, v7
	s_delay_alu instid0(VALU_DEP_1) | instskip(NEXT) | instid1(VALU_DEP_1)
	v_and_or_b32 v7, 0x7f800000, v9, v7
	v_cndmask_b32_e32 v3, 0, v7, vcc_lo
	s_delay_alu instid0(VALU_DEP_1) | instskip(NEXT) | instid1(VALU_DEP_1)
	v_and_or_b32 v2, 0x80000000, v2, v3
	v_trunc_f32_e32 v2, v2
	s_delay_alu instid0(VALU_DEP_1) | instskip(NEXT) | instid1(VALU_DEP_1)
	v_mul_f32_e64 v3, 0x2f800000, |v2|
	v_floor_f32_e32 v3, v3
	s_delay_alu instid0(VALU_DEP_1) | instskip(SKIP_2) | instid1(VALU_DEP_3)
	v_fma_f32 v7, 0xcf800000, v3, |v2|
	v_ashrrev_i32_e32 v2, 31, v2
	v_cvt_u32_f32_e32 v9, v3
	v_cvt_u32_f32_e32 v7, v7
	s_delay_alu instid0(VALU_DEP_2) | instskip(NEXT) | instid1(VALU_DEP_2)
	v_dual_mov_b32 v3, v2 :: v_dual_bitop2_b32 v11, v9, v2 bitop3:0x14
	v_xor_b32_e32 v10, v7, v2
	s_delay_alu instid0(VALU_DEP_1)
	v_sub_nc_u64_e32 v[2:3], v[10:11], v[2:3]
.LBB126_2196:
	s_mov_b32 s21, 0
.LBB126_2197:
	s_delay_alu instid0(SALU_CYCLE_1)
	s_and_not1_b32 vcc_lo, exec_lo, s21
	s_cbranch_vccnz .LBB126_2199
; %bb.2198:
	s_wait_loadcnt 0x0
	global_load_u8 v2, v[4:5], off
	s_wait_loadcnt 0x0
	v_lshlrev_b32_e32 v3, 25, v2
	v_lshlrev_b16 v2, 8, v2
	s_delay_alu instid0(VALU_DEP_1) | instskip(SKIP_1) | instid1(VALU_DEP_2)
	v_and_or_b32 v9, 0x7f00, v2, 0.5
	v_bfe_i32 v2, v2, 0, 16
	v_dual_add_f32 v9, -0.5, v9 :: v_dual_lshrrev_b32 v7, 4, v3
	v_cmp_gt_u32_e32 vcc_lo, 0x8000000, v3
	s_delay_alu instid0(VALU_DEP_2) | instskip(NEXT) | instid1(VALU_DEP_1)
	v_or_b32_e32 v7, 0x70000000, v7
	v_mul_f32_e32 v7, 0x7800000, v7
	s_delay_alu instid0(VALU_DEP_1) | instskip(NEXT) | instid1(VALU_DEP_1)
	v_cndmask_b32_e32 v3, v7, v9, vcc_lo
	v_and_or_b32 v2, 0x80000000, v2, v3
	s_delay_alu instid0(VALU_DEP_1) | instskip(NEXT) | instid1(VALU_DEP_1)
	v_trunc_f32_e32 v2, v2
	v_mul_f32_e64 v3, 0x2f800000, |v2|
	s_delay_alu instid0(VALU_DEP_1) | instskip(NEXT) | instid1(VALU_DEP_1)
	v_floor_f32_e32 v3, v3
	v_fma_f32 v7, 0xcf800000, v3, |v2|
	v_ashrrev_i32_e32 v2, 31, v2
	v_cvt_u32_f32_e32 v9, v3
	s_delay_alu instid0(VALU_DEP_3) | instskip(NEXT) | instid1(VALU_DEP_2)
	v_cvt_u32_f32_e32 v7, v7
	v_dual_mov_b32 v3, v2 :: v_dual_bitop2_b32 v11, v9, v2 bitop3:0x14
	s_delay_alu instid0(VALU_DEP_2) | instskip(NEXT) | instid1(VALU_DEP_1)
	v_xor_b32_e32 v10, v7, v2
	v_sub_nc_u64_e32 v[2:3], v[10:11], v[2:3]
.LBB126_2199:
	s_mov_b32 s21, 0
	s_mov_b32 s22, -1
.LBB126_2200:
	s_and_not1_b32 vcc_lo, exec_lo, s21
	s_mov_b32 s21, 0
	s_cbranch_vccnz .LBB126_2211
; %bb.2201:
	s_cmp_gt_i32 s0, 14
	s_cbranch_scc0 .LBB126_2204
; %bb.2202:
	s_cmp_eq_u32 s0, 15
	s_cbranch_scc0 .LBB126_2207
; %bb.2203:
	s_wait_loadcnt 0x0
	global_load_u16 v2, v[4:5], off
	s_mov_b32 s20, 0
	s_mov_b32 s22, -1
	s_wait_loadcnt 0x0
	v_lshlrev_b32_e32 v2, 16, v2
	s_delay_alu instid0(VALU_DEP_1) | instskip(NEXT) | instid1(VALU_DEP_1)
	v_trunc_f32_e32 v2, v2
	v_mul_f32_e64 v3, 0x2f800000, |v2|
	s_delay_alu instid0(VALU_DEP_1) | instskip(NEXT) | instid1(VALU_DEP_1)
	v_floor_f32_e32 v3, v3
	v_fma_f32 v7, 0xcf800000, v3, |v2|
	v_ashrrev_i32_e32 v2, 31, v2
	v_cvt_u32_f32_e32 v9, v3
	s_delay_alu instid0(VALU_DEP_3) | instskip(NEXT) | instid1(VALU_DEP_2)
	v_cvt_u32_f32_e32 v7, v7
	v_dual_mov_b32 v3, v2 :: v_dual_bitop2_b32 v11, v9, v2 bitop3:0x14
	s_delay_alu instid0(VALU_DEP_2) | instskip(NEXT) | instid1(VALU_DEP_1)
	v_xor_b32_e32 v10, v7, v2
	v_sub_nc_u64_e32 v[2:3], v[10:11], v[2:3]
	s_branch .LBB126_2209
.LBB126_2204:
	s_mov_b32 s21, -1
	s_branch .LBB126_2208
.LBB126_2205:
	s_and_not1_saveexec_b32 s21, s21
	s_cbranch_execz .LBB126_2186
.LBB126_2206:
	v_cmp_ne_u16_e32 vcc_lo, 0, v7
	s_and_not1_b32 s22, s22, exec_lo
	s_and_b32 s23, vcc_lo, exec_lo
	s_delay_alu instid0(SALU_CYCLE_1)
	s_or_b32 s22, s22, s23
	s_or_b32 exec_lo, exec_lo, s21
	v_mov_b64_e32 v[2:3], 0
	s_and_saveexec_b32 s21, s22
	s_cbranch_execnz .LBB126_2187
	s_branch .LBB126_2188
.LBB126_2207:
	s_mov_b32 s20, -1
.LBB126_2208:
                                        ; implicit-def: $vgpr2_vgpr3
.LBB126_2209:
	s_and_b32 vcc_lo, exec_lo, s21
	s_mov_b32 s21, 0
	s_cbranch_vccz .LBB126_2211
; %bb.2210:
	s_cmp_lg_u32 s0, 11
	s_mov_b32 s21, -1
	s_cselect_b32 s20, -1, 0
.LBB126_2211:
	s_delay_alu instid0(SALU_CYCLE_1)
	s_and_b32 vcc_lo, exec_lo, s20
	s_cbranch_vccnz .LBB126_2274
; %bb.2212:
	s_and_not1_b32 vcc_lo, exec_lo, s21
	s_cbranch_vccnz .LBB126_2214
.LBB126_2213:
	s_wait_loadcnt 0x0
	global_load_u8 v2, v[4:5], off
	s_mov_b32 s0, 0
	s_mov_b32 s22, -1
	v_mov_b32_e32 v3, s0
	s_wait_loadcnt 0x0
	v_cmp_ne_u16_e32 vcc_lo, 0, v2
	v_cndmask_b32_e64 v2, 0, 1, vcc_lo
.LBB126_2214:
	s_branch .LBB126_2144
.LBB126_2215:
	s_and_b32 s0, 0xffff, s3
	s_delay_alu instid0(SALU_CYCLE_1)
	s_cmp_lt_i32 s0, 5
	s_cbranch_scc1 .LBB126_2220
; %bb.2216:
	s_cmp_lt_i32 s0, 8
	s_cbranch_scc1 .LBB126_2221
; %bb.2217:
	;; [unrolled: 3-line block ×3, first 2 shown]
	s_cmp_gt_i32 s0, 9
	s_cbranch_scc0 .LBB126_2223
; %bb.2219:
	s_wait_loadcnt 0x0
	global_load_b64 v[2:3], v[4:5], off
	s_mov_b32 s20, 0
	s_wait_loadcnt 0x0
	v_trunc_f64_e32 v[2:3], v[2:3]
	s_delay_alu instid0(VALU_DEP_1) | instskip(NEXT) | instid1(VALU_DEP_1)
	v_ldexp_f64 v[10:11], v[2:3], 0xffffffe0
	v_floor_f64_e32 v[10:11], v[10:11]
	s_delay_alu instid0(VALU_DEP_1) | instskip(SKIP_1) | instid1(VALU_DEP_2)
	v_fmamk_f64 v[12:13], v[10:11], 0xc1f00000, v[2:3]
	v_cvt_i32_f64_e32 v3, v[10:11]
	v_cvt_u32_f64_e32 v2, v[12:13]
	s_branch .LBB126_2224
.LBB126_2220:
                                        ; implicit-def: $vgpr2_vgpr3
	s_branch .LBB126_2242
.LBB126_2221:
	s_mov_b32 s20, -1
                                        ; implicit-def: $vgpr2_vgpr3
	s_branch .LBB126_2230
.LBB126_2222:
	s_mov_b32 s20, -1
                                        ; implicit-def: $vgpr2_vgpr3
	s_branch .LBB126_2227
.LBB126_2223:
	s_mov_b32 s20, -1
                                        ; implicit-def: $vgpr2_vgpr3
.LBB126_2224:
	s_delay_alu instid0(SALU_CYCLE_1)
	s_and_not1_b32 vcc_lo, exec_lo, s20
	s_cbranch_vccnz .LBB126_2226
; %bb.2225:
	s_wait_loadcnt 0x0
	global_load_b32 v2, v[4:5], off
	s_wait_loadcnt 0x0
	v_trunc_f32_e32 v2, v2
	s_delay_alu instid0(VALU_DEP_1) | instskip(NEXT) | instid1(VALU_DEP_1)
	v_mul_f32_e64 v3, 0x2f800000, |v2|
	v_floor_f32_e32 v3, v3
	s_delay_alu instid0(VALU_DEP_1) | instskip(SKIP_2) | instid1(VALU_DEP_3)
	v_fma_f32 v7, 0xcf800000, v3, |v2|
	v_ashrrev_i32_e32 v2, 31, v2
	v_cvt_u32_f32_e32 v9, v3
	v_cvt_u32_f32_e32 v7, v7
	s_delay_alu instid0(VALU_DEP_2) | instskip(NEXT) | instid1(VALU_DEP_2)
	v_dual_mov_b32 v3, v2 :: v_dual_bitop2_b32 v11, v9, v2 bitop3:0x14
	v_xor_b32_e32 v10, v7, v2
	s_delay_alu instid0(VALU_DEP_1)
	v_sub_nc_u64_e32 v[2:3], v[10:11], v[2:3]
.LBB126_2226:
	s_mov_b32 s20, 0
.LBB126_2227:
	s_delay_alu instid0(SALU_CYCLE_1)
	s_and_not1_b32 vcc_lo, exec_lo, s20
	s_cbranch_vccnz .LBB126_2229
; %bb.2228:
	s_wait_loadcnt 0x0
	global_load_b32 v2, v[4:5], off
	s_wait_loadcnt 0x0
	v_cvt_f32_f16_e32 v2, v2
	s_delay_alu instid0(VALU_DEP_1) | instskip(NEXT) | instid1(VALU_DEP_1)
	v_cvt_i32_f32_e32 v2, v2
	v_ashrrev_i32_e32 v3, 31, v2
.LBB126_2229:
	s_mov_b32 s20, 0
.LBB126_2230:
	s_delay_alu instid0(SALU_CYCLE_1)
	s_and_not1_b32 vcc_lo, exec_lo, s20
	s_cbranch_vccnz .LBB126_2241
; %bb.2231:
	s_cmp_lt_i32 s0, 6
	s_cbranch_scc1 .LBB126_2234
; %bb.2232:
	s_cmp_gt_i32 s0, 6
	s_cbranch_scc0 .LBB126_2235
; %bb.2233:
	s_wait_loadcnt 0x0
	global_load_b64 v[2:3], v[4:5], off
	s_mov_b32 s20, 0
	s_wait_loadcnt 0x0
	v_trunc_f64_e32 v[2:3], v[2:3]
	s_delay_alu instid0(VALU_DEP_1) | instskip(NEXT) | instid1(VALU_DEP_1)
	v_ldexp_f64 v[10:11], v[2:3], 0xffffffe0
	v_floor_f64_e32 v[10:11], v[10:11]
	s_delay_alu instid0(VALU_DEP_1) | instskip(SKIP_1) | instid1(VALU_DEP_2)
	v_fmamk_f64 v[12:13], v[10:11], 0xc1f00000, v[2:3]
	v_cvt_i32_f64_e32 v3, v[10:11]
	v_cvt_u32_f64_e32 v2, v[12:13]
	s_branch .LBB126_2236
.LBB126_2234:
	s_mov_b32 s20, -1
                                        ; implicit-def: $vgpr2_vgpr3
	s_branch .LBB126_2239
.LBB126_2235:
	s_mov_b32 s20, -1
                                        ; implicit-def: $vgpr2_vgpr3
.LBB126_2236:
	s_delay_alu instid0(SALU_CYCLE_1)
	s_and_not1_b32 vcc_lo, exec_lo, s20
	s_cbranch_vccnz .LBB126_2238
; %bb.2237:
	s_wait_loadcnt 0x0
	global_load_b32 v2, v[4:5], off
	s_wait_loadcnt 0x0
	v_trunc_f32_e32 v2, v2
	s_delay_alu instid0(VALU_DEP_1) | instskip(NEXT) | instid1(VALU_DEP_1)
	v_mul_f32_e64 v3, 0x2f800000, |v2|
	v_floor_f32_e32 v3, v3
	s_delay_alu instid0(VALU_DEP_1) | instskip(SKIP_2) | instid1(VALU_DEP_3)
	v_fma_f32 v7, 0xcf800000, v3, |v2|
	v_ashrrev_i32_e32 v2, 31, v2
	v_cvt_u32_f32_e32 v9, v3
	v_cvt_u32_f32_e32 v7, v7
	s_delay_alu instid0(VALU_DEP_2) | instskip(NEXT) | instid1(VALU_DEP_2)
	v_dual_mov_b32 v3, v2 :: v_dual_bitop2_b32 v11, v9, v2 bitop3:0x14
	v_xor_b32_e32 v10, v7, v2
	s_delay_alu instid0(VALU_DEP_1)
	v_sub_nc_u64_e32 v[2:3], v[10:11], v[2:3]
.LBB126_2238:
	s_mov_b32 s20, 0
.LBB126_2239:
	s_delay_alu instid0(SALU_CYCLE_1)
	s_and_not1_b32 vcc_lo, exec_lo, s20
	s_cbranch_vccnz .LBB126_2241
; %bb.2240:
	s_wait_loadcnt 0x0
	global_load_u16 v2, v[4:5], off
	s_wait_loadcnt 0x0
	v_cvt_f32_f16_e32 v2, v2
	s_delay_alu instid0(VALU_DEP_1) | instskip(NEXT) | instid1(VALU_DEP_1)
	v_cvt_i32_f32_e32 v2, v2
	v_ashrrev_i32_e32 v3, 31, v2
.LBB126_2241:
	s_cbranch_execnz .LBB126_2261
.LBB126_2242:
	s_cmp_lt_i32 s0, 2
	s_cbranch_scc1 .LBB126_2246
; %bb.2243:
	s_cmp_lt_i32 s0, 3
	s_cbranch_scc1 .LBB126_2247
; %bb.2244:
	s_cmp_gt_i32 s0, 3
	s_cbranch_scc0 .LBB126_2248
; %bb.2245:
	s_wait_loadcnt 0x0
	global_load_b64 v[2:3], v[4:5], off
	s_mov_b32 s20, 0
	s_branch .LBB126_2249
.LBB126_2246:
	s_mov_b32 s20, -1
                                        ; implicit-def: $vgpr2_vgpr3
	s_branch .LBB126_2255
.LBB126_2247:
	s_mov_b32 s20, -1
                                        ; implicit-def: $vgpr2_vgpr3
	s_branch .LBB126_2252
.LBB126_2248:
	s_mov_b32 s20, -1
                                        ; implicit-def: $vgpr2_vgpr3
.LBB126_2249:
	s_delay_alu instid0(SALU_CYCLE_1)
	s_and_not1_b32 vcc_lo, exec_lo, s20
	s_cbranch_vccnz .LBB126_2251
; %bb.2250:
	s_wait_loadcnt 0x0
	global_load_b32 v2, v[4:5], off
	s_wait_loadcnt 0x0
	v_ashrrev_i32_e32 v3, 31, v2
.LBB126_2251:
	s_mov_b32 s20, 0
.LBB126_2252:
	s_delay_alu instid0(SALU_CYCLE_1)
	s_and_not1_b32 vcc_lo, exec_lo, s20
	s_cbranch_vccnz .LBB126_2254
; %bb.2253:
	s_wait_loadcnt 0x0
	global_load_u16 v2, v[4:5], off
	s_wait_loadcnt 0x0
	v_bfe_i32 v2, v2, 0, 16
	s_delay_alu instid0(VALU_DEP_1)
	v_ashrrev_i32_e32 v3, 31, v2
.LBB126_2254:
	s_mov_b32 s20, 0
.LBB126_2255:
	s_delay_alu instid0(SALU_CYCLE_1)
	s_and_not1_b32 vcc_lo, exec_lo, s20
	s_cbranch_vccnz .LBB126_2261
; %bb.2256:
	s_cmp_gt_i32 s0, 0
	s_mov_b32 s0, 0
	s_cbranch_scc0 .LBB126_2258
; %bb.2257:
	s_wait_loadcnt 0x0
	global_load_i8 v2, v[4:5], off
	s_wait_loadcnt 0x0
	v_bfe_i32 v2, v2, 0, 16
	s_delay_alu instid0(VALU_DEP_1)
	v_ashrrev_i32_e32 v3, 31, v2
	s_branch .LBB126_2259
.LBB126_2258:
	s_mov_b32 s0, -1
                                        ; implicit-def: $vgpr2_vgpr3
.LBB126_2259:
	s_delay_alu instid0(SALU_CYCLE_1)
	s_and_not1_b32 vcc_lo, exec_lo, s0
	s_cbranch_vccnz .LBB126_2261
; %bb.2260:
	s_wait_loadcnt 0x0
	global_load_u8 v2, v[4:5], off
	s_mov_b32 s0, 0
	s_delay_alu instid0(SALU_CYCLE_1)
	v_mov_b32_e32 v3, s0
	s_wait_loadcnt 0x0
	v_and_b32_e32 v2, 0xffff, v2
.LBB126_2261:
.LBB126_2262:
	v_mul_lo_u32 v10, s15, v26
	s_and_b32 s0, 0xffff, s1
	s_delay_alu instid0(SALU_CYCLE_1) | instskip(NEXT) | instid1(VALU_DEP_1)
	s_cmp_lt_i32 s0, 11
	v_ashrrev_i32_e32 v11, 31, v10
	s_delay_alu instid0(VALU_DEP_1)
	v_add_nc_u64_e32 v[12:13], s[10:11], v[10:11]
	s_cbranch_scc1 .LBB126_2269
; %bb.2263:
	s_cmp_gt_i32 s0, 25
	s_mov_b32 s20, 0
	s_cbranch_scc0 .LBB126_2271
; %bb.2264:
	s_cmp_gt_i32 s0, 28
	s_cbranch_scc0 .LBB126_2272
; %bb.2265:
	s_cmp_gt_i32 s0, 43
	;; [unrolled: 3-line block ×3, first 2 shown]
	s_cbranch_scc0 .LBB126_2275
; %bb.2267:
	s_cmp_eq_u32 s0, 46
	s_mov_b32 s22, 0
	s_cbranch_scc0 .LBB126_2276
; %bb.2268:
	global_load_b32 v4, v[12:13], off
	s_mov_b32 s1, 0
	s_mov_b32 s21, -1
	s_wait_loadcnt 0x0
	v_lshlrev_b32_e32 v4, 16, v4
	s_delay_alu instid0(VALU_DEP_1) | instskip(NEXT) | instid1(VALU_DEP_1)
	v_trunc_f32_e32 v4, v4
	v_mul_f32_e64 v5, 0x2f800000, |v4|
	s_delay_alu instid0(VALU_DEP_1) | instskip(NEXT) | instid1(VALU_DEP_1)
	v_floor_f32_e32 v5, v5
	v_fma_f32 v7, 0xcf800000, v5, |v4|
	v_ashrrev_i32_e32 v4, 31, v4
	v_cvt_u32_f32_e32 v9, v5
	s_delay_alu instid0(VALU_DEP_3) | instskip(NEXT) | instid1(VALU_DEP_2)
	v_cvt_u32_f32_e32 v7, v7
	v_dual_mov_b32 v5, v4 :: v_dual_bitop2_b32 v15, v9, v4 bitop3:0x14
	s_delay_alu instid0(VALU_DEP_2) | instskip(NEXT) | instid1(VALU_DEP_1)
	v_xor_b32_e32 v14, v7, v4
	v_sub_nc_u64_e32 v[4:5], v[14:15], v[4:5]
	s_branch .LBB126_2278
.LBB126_2269:
	s_mov_b32 s21, 0
                                        ; implicit-def: $vgpr4_vgpr5
	s_cbranch_execnz .LBB126_2340
.LBB126_2270:
	s_and_not1_b32 vcc_lo, exec_lo, s21
	s_cbranch_vccnz .LBB126_3968
	s_branch .LBB126_2388
.LBB126_2271:
	s_mov_b32 s22, -1
	s_mov_b32 s21, 0
	s_mov_b32 s1, 0
                                        ; implicit-def: $vgpr4_vgpr5
	s_branch .LBB126_2305
.LBB126_2272:
	s_mov_b32 s22, -1
	s_mov_b32 s21, 0
	s_mov_b32 s1, 0
                                        ; implicit-def: $vgpr4_vgpr5
	s_branch .LBB126_2288
.LBB126_2273:
	s_mov_b32 s22, -1
	s_mov_b32 s21, 0
	s_mov_b32 s1, 0
                                        ; implicit-def: $vgpr4_vgpr5
	s_branch .LBB126_2283
.LBB126_2274:
	s_or_b32 s16, s16, exec_lo
	s_trap 2
	s_cbranch_execz .LBB126_2213
	s_branch .LBB126_2214
.LBB126_2275:
	s_mov_b32 s22, -1
	s_mov_b32 s21, 0
	s_mov_b32 s1, 0
	s_branch .LBB126_2277
.LBB126_2276:
	s_mov_b32 s1, -1
	s_mov_b32 s21, 0
.LBB126_2277:
                                        ; implicit-def: $vgpr4_vgpr5
.LBB126_2278:
	s_and_b32 vcc_lo, exec_lo, s22
	s_cbranch_vccz .LBB126_2282
; %bb.2279:
	s_cmp_eq_u32 s0, 44
	s_cbranch_scc0 .LBB126_2281
; %bb.2280:
	global_load_u8 v7, v[12:13], off
	s_mov_b32 s1, 0
	s_mov_b32 s21, -1
	s_wait_loadcnt 0x0
	v_cmp_ne_u32_e32 vcc_lo, 0, v7
	s_wait_xcnt 0x1
	v_lshlrev_b32_e32 v4, 23, v7
	s_delay_alu instid0(VALU_DEP_1) | instskip(NEXT) | instid1(VALU_DEP_1)
	v_trunc_f32_e32 v4, v4
	v_mul_f32_e64 v5, 0x2f800000, |v4|
	s_delay_alu instid0(VALU_DEP_1) | instskip(NEXT) | instid1(VALU_DEP_1)
	v_floor_f32_e32 v5, v5
	v_fma_f32 v9, 0xcf800000, v5, |v4|
	v_ashrrev_i32_e32 v4, 31, v4
	v_cvt_u32_f32_e32 v11, v5
	s_delay_alu instid0(VALU_DEP_3) | instskip(NEXT) | instid1(VALU_DEP_2)
	v_cvt_u32_f32_e32 v9, v9
	v_dual_mov_b32 v5, v4 :: v_dual_bitop2_b32 v15, v11, v4 bitop3:0x14
	s_delay_alu instid0(VALU_DEP_2) | instskip(NEXT) | instid1(VALU_DEP_1)
	v_xor_b32_e32 v14, v9, v4
	v_sub_nc_u64_e32 v[4:5], v[14:15], v[4:5]
	s_delay_alu instid0(VALU_DEP_1)
	v_dual_cndmask_b32 v5, 0, v5 :: v_dual_cndmask_b32 v4, 0, v4
	s_branch .LBB126_2282
.LBB126_2281:
	s_mov_b32 s1, -1
                                        ; implicit-def: $vgpr4_vgpr5
.LBB126_2282:
	s_mov_b32 s22, 0
.LBB126_2283:
	s_delay_alu instid0(SALU_CYCLE_1)
	s_and_b32 vcc_lo, exec_lo, s22
	s_cbranch_vccz .LBB126_2287
; %bb.2284:
	s_cmp_eq_u32 s0, 29
	s_cbranch_scc0 .LBB126_2286
; %bb.2285:
	global_load_b64 v[4:5], v[12:13], off
	s_mov_b32 s1, 0
	s_mov_b32 s21, -1
	s_branch .LBB126_2287
.LBB126_2286:
	s_mov_b32 s1, -1
                                        ; implicit-def: $vgpr4_vgpr5
.LBB126_2287:
	s_mov_b32 s22, 0
.LBB126_2288:
	s_delay_alu instid0(SALU_CYCLE_1)
	s_and_b32 vcc_lo, exec_lo, s22
	s_cbranch_vccz .LBB126_2304
; %bb.2289:
	s_cmp_lt_i32 s0, 27
	s_cbranch_scc1 .LBB126_2292
; %bb.2290:
	s_cmp_gt_i32 s0, 27
	s_cbranch_scc0 .LBB126_2293
; %bb.2291:
	s_wait_loadcnt 0x0
	global_load_b32 v4, v[12:13], off
	v_mov_b32_e32 v5, 0
	s_mov_b32 s21, 0
	s_branch .LBB126_2294
.LBB126_2292:
	s_mov_b32 s21, -1
                                        ; implicit-def: $vgpr4_vgpr5
	s_branch .LBB126_2297
.LBB126_2293:
	s_mov_b32 s21, -1
                                        ; implicit-def: $vgpr4_vgpr5
.LBB126_2294:
	s_delay_alu instid0(SALU_CYCLE_1)
	s_and_not1_b32 vcc_lo, exec_lo, s21
	s_cbranch_vccnz .LBB126_2296
; %bb.2295:
	s_wait_loadcnt 0x0
	global_load_u16 v4, v[12:13], off
	s_mov_b32 s21, 0
	s_delay_alu instid0(SALU_CYCLE_1)
	v_mov_b32_e32 v5, s21
	s_wait_loadcnt 0x0
	v_and_b32_e32 v4, 0xffff, v4
.LBB126_2296:
	s_mov_b32 s21, 0
.LBB126_2297:
	s_delay_alu instid0(SALU_CYCLE_1)
	s_and_not1_b32 vcc_lo, exec_lo, s21
	s_cbranch_vccnz .LBB126_2303
; %bb.2298:
	global_load_u8 v7, v[12:13], off
	s_mov_b32 s22, 0
	s_mov_b32 s21, exec_lo
	s_wait_loadcnt 0x0
	v_cmpx_lt_i16_e32 0x7f, v7
	s_xor_b32 s21, exec_lo, s21
	s_cbranch_execz .LBB126_2315
; %bb.2299:
	v_cmp_ne_u16_e32 vcc_lo, 0x80, v7
	s_and_b32 s22, vcc_lo, exec_lo
	s_and_not1_saveexec_b32 s21, s21
	s_cbranch_execnz .LBB126_2316
.LBB126_2300:
	s_or_b32 exec_lo, exec_lo, s21
	v_mov_b64_e32 v[4:5], 0
	s_and_saveexec_b32 s21, s22
	s_cbranch_execz .LBB126_2302
.LBB126_2301:
	v_and_b32_e32 v4, 0xffff, v7
	s_delay_alu instid0(VALU_DEP_1) | instskip(SKIP_1) | instid1(VALU_DEP_2)
	v_and_b32_e32 v5, 7, v4
	v_bfe_u32 v14, v4, 3, 4
	v_clz_i32_u32_e32 v9, v5
	s_delay_alu instid0(VALU_DEP_2) | instskip(NEXT) | instid1(VALU_DEP_2)
	v_cmp_eq_u32_e32 vcc_lo, 0, v14
	v_min_u32_e32 v9, 32, v9
	s_delay_alu instid0(VALU_DEP_1) | instskip(NEXT) | instid1(VALU_DEP_1)
	v_subrev_nc_u32_e32 v11, 28, v9
	v_dual_lshlrev_b32 v4, v11, v4 :: v_dual_sub_nc_u32 v9, 29, v9
	s_delay_alu instid0(VALU_DEP_1) | instskip(NEXT) | instid1(VALU_DEP_1)
	v_dual_lshlrev_b32 v7, 24, v7 :: v_dual_bitop2_b32 v4, 7, v4 bitop3:0x40
	v_dual_cndmask_b32 v9, v14, v9 :: v_dual_cndmask_b32 v4, v5, v4
	s_delay_alu instid0(VALU_DEP_2) | instskip(NEXT) | instid1(VALU_DEP_2)
	v_and_b32_e32 v5, 0x80000000, v7
	v_lshl_add_u32 v7, v9, 23, 0x3b800000
	s_delay_alu instid0(VALU_DEP_3) | instskip(NEXT) | instid1(VALU_DEP_1)
	v_lshlrev_b32_e32 v4, 20, v4
	v_or3_b32 v4, v5, v7, v4
	s_delay_alu instid0(VALU_DEP_1) | instskip(NEXT) | instid1(VALU_DEP_1)
	v_trunc_f32_e32 v4, v4
	v_mul_f32_e64 v5, 0x2f800000, |v4|
	s_delay_alu instid0(VALU_DEP_1) | instskip(NEXT) | instid1(VALU_DEP_1)
	v_floor_f32_e32 v5, v5
	v_fma_f32 v7, 0xcf800000, v5, |v4|
	v_ashrrev_i32_e32 v4, 31, v4
	v_cvt_u32_f32_e32 v9, v5
	s_delay_alu instid0(VALU_DEP_3) | instskip(NEXT) | instid1(VALU_DEP_2)
	v_cvt_u32_f32_e32 v7, v7
	v_dual_mov_b32 v5, v4 :: v_dual_bitop2_b32 v15, v9, v4 bitop3:0x14
	s_delay_alu instid0(VALU_DEP_2) | instskip(NEXT) | instid1(VALU_DEP_1)
	v_xor_b32_e32 v14, v7, v4
	v_sub_nc_u64_e32 v[4:5], v[14:15], v[4:5]
.LBB126_2302:
	s_or_b32 exec_lo, exec_lo, s21
.LBB126_2303:
	s_mov_b32 s21, -1
.LBB126_2304:
	s_mov_b32 s22, 0
.LBB126_2305:
	s_delay_alu instid0(SALU_CYCLE_1)
	s_and_b32 vcc_lo, exec_lo, s22
	s_cbranch_vccz .LBB126_2336
; %bb.2306:
	s_cmp_gt_i32 s0, 22
	s_cbranch_scc0 .LBB126_2314
; %bb.2307:
	s_cmp_lt_i32 s0, 24
	s_cbranch_scc1 .LBB126_2317
; %bb.2308:
	s_cmp_gt_i32 s0, 24
	s_cbranch_scc0 .LBB126_2318
; %bb.2309:
	global_load_u8 v7, v[12:13], off
	s_mov_b32 s21, 0
	s_mov_b32 s20, exec_lo
	s_wait_loadcnt 0x0
	v_cmpx_lt_i16_e32 0x7f, v7
	s_xor_b32 s20, exec_lo, s20
	s_cbranch_execz .LBB126_2330
; %bb.2310:
	v_cmp_ne_u16_e32 vcc_lo, 0x80, v7
	s_and_b32 s21, vcc_lo, exec_lo
	s_and_not1_saveexec_b32 s20, s20
	s_cbranch_execnz .LBB126_2331
.LBB126_2311:
	s_or_b32 exec_lo, exec_lo, s20
	v_mov_b64_e32 v[4:5], 0
	s_and_saveexec_b32 s20, s21
	s_cbranch_execz .LBB126_2313
.LBB126_2312:
	v_and_b32_e32 v4, 0xffff, v7
	s_delay_alu instid0(VALU_DEP_1) | instskip(SKIP_1) | instid1(VALU_DEP_2)
	v_and_b32_e32 v5, 3, v4
	v_bfe_u32 v14, v4, 2, 5
	v_clz_i32_u32_e32 v9, v5
	s_delay_alu instid0(VALU_DEP_2) | instskip(NEXT) | instid1(VALU_DEP_2)
	v_cmp_eq_u32_e32 vcc_lo, 0, v14
	v_min_u32_e32 v9, 32, v9
	s_delay_alu instid0(VALU_DEP_1) | instskip(NEXT) | instid1(VALU_DEP_1)
	v_subrev_nc_u32_e32 v11, 29, v9
	v_dual_lshlrev_b32 v4, v11, v4 :: v_dual_sub_nc_u32 v9, 30, v9
	s_delay_alu instid0(VALU_DEP_1) | instskip(NEXT) | instid1(VALU_DEP_1)
	v_dual_lshlrev_b32 v7, 24, v7 :: v_dual_bitop2_b32 v4, 3, v4 bitop3:0x40
	v_dual_cndmask_b32 v9, v14, v9 :: v_dual_cndmask_b32 v4, v5, v4
	s_delay_alu instid0(VALU_DEP_2) | instskip(NEXT) | instid1(VALU_DEP_2)
	v_and_b32_e32 v5, 0x80000000, v7
	v_lshl_add_u32 v7, v9, 23, 0x37800000
	s_delay_alu instid0(VALU_DEP_3) | instskip(NEXT) | instid1(VALU_DEP_1)
	v_lshlrev_b32_e32 v4, 21, v4
	v_or3_b32 v4, v5, v7, v4
	s_delay_alu instid0(VALU_DEP_1) | instskip(NEXT) | instid1(VALU_DEP_1)
	v_trunc_f32_e32 v4, v4
	v_mul_f32_e64 v5, 0x2f800000, |v4|
	s_delay_alu instid0(VALU_DEP_1) | instskip(NEXT) | instid1(VALU_DEP_1)
	v_floor_f32_e32 v5, v5
	v_fma_f32 v7, 0xcf800000, v5, |v4|
	v_ashrrev_i32_e32 v4, 31, v4
	v_cvt_u32_f32_e32 v9, v5
	s_delay_alu instid0(VALU_DEP_3) | instskip(NEXT) | instid1(VALU_DEP_2)
	v_cvt_u32_f32_e32 v7, v7
	v_dual_mov_b32 v5, v4 :: v_dual_bitop2_b32 v15, v9, v4 bitop3:0x14
	s_delay_alu instid0(VALU_DEP_2) | instskip(NEXT) | instid1(VALU_DEP_1)
	v_xor_b32_e32 v14, v7, v4
	v_sub_nc_u64_e32 v[4:5], v[14:15], v[4:5]
.LBB126_2313:
	s_or_b32 exec_lo, exec_lo, s20
	s_mov_b32 s20, 0
	s_branch .LBB126_2319
.LBB126_2314:
	s_mov_b32 s20, -1
                                        ; implicit-def: $vgpr4_vgpr5
	s_branch .LBB126_2325
.LBB126_2315:
	s_and_not1_saveexec_b32 s21, s21
	s_cbranch_execz .LBB126_2300
.LBB126_2316:
	v_cmp_ne_u16_e32 vcc_lo, 0, v7
	s_and_not1_b32 s22, s22, exec_lo
	s_and_b32 s23, vcc_lo, exec_lo
	s_delay_alu instid0(SALU_CYCLE_1)
	s_or_b32 s22, s22, s23
	s_or_b32 exec_lo, exec_lo, s21
	v_mov_b64_e32 v[4:5], 0
	s_and_saveexec_b32 s21, s22
	s_cbranch_execnz .LBB126_2301
	s_branch .LBB126_2302
.LBB126_2317:
	s_mov_b32 s20, -1
                                        ; implicit-def: $vgpr4_vgpr5
	s_branch .LBB126_2322
.LBB126_2318:
	s_mov_b32 s20, -1
                                        ; implicit-def: $vgpr4_vgpr5
.LBB126_2319:
	s_delay_alu instid0(SALU_CYCLE_1)
	s_and_b32 vcc_lo, exec_lo, s20
	s_cbranch_vccz .LBB126_2321
; %bb.2320:
	s_wait_loadcnt 0x0
	global_load_u8 v4, v[12:13], off
	s_wait_loadcnt 0x0
	v_lshlrev_b32_e32 v4, 24, v4
	s_delay_alu instid0(VALU_DEP_1) | instskip(NEXT) | instid1(VALU_DEP_1)
	v_and_b32_e32 v5, 0x7f000000, v4
	v_clz_i32_u32_e32 v7, v5
	v_add_nc_u32_e32 v11, 0x1000000, v5
	v_cmp_ne_u32_e32 vcc_lo, 0, v5
	s_delay_alu instid0(VALU_DEP_3) | instskip(NEXT) | instid1(VALU_DEP_1)
	v_min_u32_e32 v7, 32, v7
	v_sub_nc_u32_e64 v7, v7, 4 clamp
	s_delay_alu instid0(VALU_DEP_1) | instskip(NEXT) | instid1(VALU_DEP_1)
	v_dual_lshlrev_b32 v9, v7, v5 :: v_dual_lshlrev_b32 v7, 23, v7
	v_lshrrev_b32_e32 v9, 4, v9
	s_delay_alu instid0(VALU_DEP_1) | instskip(SKIP_1) | instid1(VALU_DEP_2)
	v_sub_nc_u32_e32 v7, v9, v7
	v_ashrrev_i32_e32 v9, 8, v11
	v_add_nc_u32_e32 v7, 0x3c000000, v7
	s_delay_alu instid0(VALU_DEP_1) | instskip(NEXT) | instid1(VALU_DEP_1)
	v_and_or_b32 v7, 0x7f800000, v9, v7
	v_cndmask_b32_e32 v5, 0, v7, vcc_lo
	s_delay_alu instid0(VALU_DEP_1) | instskip(NEXT) | instid1(VALU_DEP_1)
	v_and_or_b32 v4, 0x80000000, v4, v5
	v_trunc_f32_e32 v4, v4
	s_delay_alu instid0(VALU_DEP_1) | instskip(NEXT) | instid1(VALU_DEP_1)
	v_mul_f32_e64 v5, 0x2f800000, |v4|
	v_floor_f32_e32 v5, v5
	s_delay_alu instid0(VALU_DEP_1) | instskip(SKIP_2) | instid1(VALU_DEP_3)
	v_fma_f32 v7, 0xcf800000, v5, |v4|
	v_ashrrev_i32_e32 v4, 31, v4
	v_cvt_u32_f32_e32 v9, v5
	v_cvt_u32_f32_e32 v7, v7
	s_delay_alu instid0(VALU_DEP_2) | instskip(NEXT) | instid1(VALU_DEP_2)
	v_dual_mov_b32 v5, v4 :: v_dual_bitop2_b32 v15, v9, v4 bitop3:0x14
	v_xor_b32_e32 v14, v7, v4
	s_delay_alu instid0(VALU_DEP_1)
	v_sub_nc_u64_e32 v[4:5], v[14:15], v[4:5]
.LBB126_2321:
	s_mov_b32 s20, 0
.LBB126_2322:
	s_delay_alu instid0(SALU_CYCLE_1)
	s_and_not1_b32 vcc_lo, exec_lo, s20
	s_cbranch_vccnz .LBB126_2324
; %bb.2323:
	s_wait_loadcnt 0x0
	global_load_u8 v4, v[12:13], off
	s_wait_loadcnt 0x0
	v_lshlrev_b32_e32 v5, 25, v4
	v_lshlrev_b16 v4, 8, v4
	s_delay_alu instid0(VALU_DEP_1) | instskip(SKIP_1) | instid1(VALU_DEP_2)
	v_and_or_b32 v9, 0x7f00, v4, 0.5
	v_bfe_i32 v4, v4, 0, 16
	v_add_f32_e32 v9, -0.5, v9
	v_lshrrev_b32_e32 v7, 4, v5
	v_cmp_gt_u32_e32 vcc_lo, 0x8000000, v5
	s_delay_alu instid0(VALU_DEP_2) | instskip(NEXT) | instid1(VALU_DEP_1)
	v_or_b32_e32 v7, 0x70000000, v7
	v_mul_f32_e32 v7, 0x7800000, v7
	s_delay_alu instid0(VALU_DEP_1) | instskip(NEXT) | instid1(VALU_DEP_1)
	v_cndmask_b32_e32 v5, v7, v9, vcc_lo
	v_and_or_b32 v4, 0x80000000, v4, v5
	s_delay_alu instid0(VALU_DEP_1) | instskip(NEXT) | instid1(VALU_DEP_1)
	v_trunc_f32_e32 v4, v4
	v_mul_f32_e64 v5, 0x2f800000, |v4|
	s_delay_alu instid0(VALU_DEP_1) | instskip(NEXT) | instid1(VALU_DEP_1)
	v_floor_f32_e32 v5, v5
	v_fma_f32 v7, 0xcf800000, v5, |v4|
	v_ashrrev_i32_e32 v4, 31, v4
	v_cvt_u32_f32_e32 v9, v5
	s_delay_alu instid0(VALU_DEP_3) | instskip(NEXT) | instid1(VALU_DEP_2)
	v_cvt_u32_f32_e32 v7, v7
	v_dual_mov_b32 v5, v4 :: v_dual_bitop2_b32 v15, v9, v4 bitop3:0x14
	s_delay_alu instid0(VALU_DEP_2) | instskip(NEXT) | instid1(VALU_DEP_1)
	v_xor_b32_e32 v14, v7, v4
	v_sub_nc_u64_e32 v[4:5], v[14:15], v[4:5]
.LBB126_2324:
	s_mov_b32 s20, 0
	s_mov_b32 s21, -1
.LBB126_2325:
	s_and_not1_b32 vcc_lo, exec_lo, s20
	s_mov_b32 s20, 0
	s_cbranch_vccnz .LBB126_2336
; %bb.2326:
	s_cmp_gt_i32 s0, 14
	s_cbranch_scc0 .LBB126_2329
; %bb.2327:
	s_cmp_eq_u32 s0, 15
	s_cbranch_scc0 .LBB126_2332
; %bb.2328:
	s_wait_loadcnt 0x0
	global_load_u16 v4, v[12:13], off
	s_mov_b32 s1, 0
	s_mov_b32 s21, -1
	s_wait_loadcnt 0x0
	v_lshlrev_b32_e32 v4, 16, v4
	s_delay_alu instid0(VALU_DEP_1) | instskip(NEXT) | instid1(VALU_DEP_1)
	v_trunc_f32_e32 v4, v4
	v_mul_f32_e64 v5, 0x2f800000, |v4|
	s_delay_alu instid0(VALU_DEP_1) | instskip(NEXT) | instid1(VALU_DEP_1)
	v_floor_f32_e32 v5, v5
	v_fma_f32 v7, 0xcf800000, v5, |v4|
	v_ashrrev_i32_e32 v4, 31, v4
	v_cvt_u32_f32_e32 v9, v5
	s_delay_alu instid0(VALU_DEP_3) | instskip(NEXT) | instid1(VALU_DEP_2)
	v_cvt_u32_f32_e32 v7, v7
	v_dual_mov_b32 v5, v4 :: v_dual_bitop2_b32 v15, v9, v4 bitop3:0x14
	s_delay_alu instid0(VALU_DEP_2) | instskip(NEXT) | instid1(VALU_DEP_1)
	v_xor_b32_e32 v14, v7, v4
	v_sub_nc_u64_e32 v[4:5], v[14:15], v[4:5]
	s_branch .LBB126_2334
.LBB126_2329:
	s_mov_b32 s20, -1
	s_branch .LBB126_2333
.LBB126_2330:
	s_and_not1_saveexec_b32 s20, s20
	s_cbranch_execz .LBB126_2311
.LBB126_2331:
	v_cmp_ne_u16_e32 vcc_lo, 0, v7
	s_and_not1_b32 s21, s21, exec_lo
	s_and_b32 s22, vcc_lo, exec_lo
	s_delay_alu instid0(SALU_CYCLE_1)
	s_or_b32 s21, s21, s22
	s_or_b32 exec_lo, exec_lo, s20
	v_mov_b64_e32 v[4:5], 0
	s_and_saveexec_b32 s20, s21
	s_cbranch_execnz .LBB126_2312
	s_branch .LBB126_2313
.LBB126_2332:
	s_mov_b32 s1, -1
.LBB126_2333:
                                        ; implicit-def: $vgpr4_vgpr5
.LBB126_2334:
	s_and_b32 vcc_lo, exec_lo, s20
	s_mov_b32 s20, 0
	s_cbranch_vccz .LBB126_2336
; %bb.2335:
	s_cmp_lg_u32 s0, 11
	s_mov_b32 s20, -1
	s_cselect_b32 s1, -1, 0
.LBB126_2336:
	s_delay_alu instid0(SALU_CYCLE_1)
	s_and_b32 vcc_lo, exec_lo, s1
	s_cbranch_vccnz .LBB126_2399
; %bb.2337:
	s_and_not1_b32 vcc_lo, exec_lo, s20
	s_cbranch_vccnz .LBB126_2339
.LBB126_2338:
	s_wait_loadcnt 0x0
	global_load_u8 v4, v[12:13], off
	s_mov_b32 s1, 0
	s_mov_b32 s21, -1
	v_mov_b32_e32 v5, s1
	s_wait_loadcnt 0x0
	v_cmp_ne_u16_e32 vcc_lo, 0, v4
	v_cndmask_b32_e64 v4, 0, 1, vcc_lo
.LBB126_2339:
	s_branch .LBB126_2270
.LBB126_2340:
	s_cmp_lt_i32 s0, 5
	s_cbranch_scc1 .LBB126_2345
; %bb.2341:
	s_cmp_lt_i32 s0, 8
	s_cbranch_scc1 .LBB126_2346
; %bb.2342:
	s_cmp_lt_i32 s0, 9
	s_cbranch_scc1 .LBB126_2347
; %bb.2343:
	s_cmp_gt_i32 s0, 9
	s_cbranch_scc0 .LBB126_2348
; %bb.2344:
	s_wait_loadcnt 0x0
	global_load_b64 v[4:5], v[12:13], off
	s_mov_b32 s1, 0
	s_wait_loadcnt 0x0
	v_trunc_f64_e32 v[4:5], v[4:5]
	s_delay_alu instid0(VALU_DEP_1) | instskip(NEXT) | instid1(VALU_DEP_1)
	v_ldexp_f64 v[14:15], v[4:5], 0xffffffe0
	v_floor_f64_e32 v[14:15], v[14:15]
	s_delay_alu instid0(VALU_DEP_1) | instskip(SKIP_1) | instid1(VALU_DEP_2)
	v_fmamk_f64 v[16:17], v[14:15], 0xc1f00000, v[4:5]
	v_cvt_i32_f64_e32 v5, v[14:15]
	v_cvt_u32_f64_e32 v4, v[16:17]
	s_branch .LBB126_2349
.LBB126_2345:
	s_mov_b32 s1, -1
                                        ; implicit-def: $vgpr4_vgpr5
	s_branch .LBB126_2367
.LBB126_2346:
	s_mov_b32 s1, -1
                                        ; implicit-def: $vgpr4_vgpr5
	s_branch .LBB126_2355
.LBB126_2347:
	s_mov_b32 s1, -1
                                        ; implicit-def: $vgpr4_vgpr5
	s_branch .LBB126_2352
.LBB126_2348:
	s_mov_b32 s1, -1
                                        ; implicit-def: $vgpr4_vgpr5
.LBB126_2349:
	s_delay_alu instid0(SALU_CYCLE_1)
	s_and_not1_b32 vcc_lo, exec_lo, s1
	s_cbranch_vccnz .LBB126_2351
; %bb.2350:
	s_wait_loadcnt 0x0
	global_load_b32 v4, v[12:13], off
	s_wait_loadcnt 0x0
	v_trunc_f32_e32 v4, v4
	s_delay_alu instid0(VALU_DEP_1) | instskip(NEXT) | instid1(VALU_DEP_1)
	v_mul_f32_e64 v5, 0x2f800000, |v4|
	v_floor_f32_e32 v5, v5
	s_delay_alu instid0(VALU_DEP_1) | instskip(SKIP_2) | instid1(VALU_DEP_3)
	v_fma_f32 v7, 0xcf800000, v5, |v4|
	v_ashrrev_i32_e32 v4, 31, v4
	v_cvt_u32_f32_e32 v9, v5
	v_cvt_u32_f32_e32 v7, v7
	s_delay_alu instid0(VALU_DEP_2) | instskip(NEXT) | instid1(VALU_DEP_2)
	v_dual_mov_b32 v5, v4 :: v_dual_bitop2_b32 v15, v9, v4 bitop3:0x14
	v_xor_b32_e32 v14, v7, v4
	s_delay_alu instid0(VALU_DEP_1)
	v_sub_nc_u64_e32 v[4:5], v[14:15], v[4:5]
.LBB126_2351:
	s_mov_b32 s1, 0
.LBB126_2352:
	s_delay_alu instid0(SALU_CYCLE_1)
	s_and_not1_b32 vcc_lo, exec_lo, s1
	s_cbranch_vccnz .LBB126_2354
; %bb.2353:
	s_wait_loadcnt 0x0
	global_load_b32 v4, v[12:13], off
	s_wait_loadcnt 0x0
	v_cvt_f32_f16_e32 v4, v4
	s_delay_alu instid0(VALU_DEP_1) | instskip(NEXT) | instid1(VALU_DEP_1)
	v_cvt_i32_f32_e32 v4, v4
	v_ashrrev_i32_e32 v5, 31, v4
.LBB126_2354:
	s_mov_b32 s1, 0
.LBB126_2355:
	s_delay_alu instid0(SALU_CYCLE_1)
	s_and_not1_b32 vcc_lo, exec_lo, s1
	s_cbranch_vccnz .LBB126_2366
; %bb.2356:
	s_cmp_lt_i32 s0, 6
	s_cbranch_scc1 .LBB126_2359
; %bb.2357:
	s_cmp_gt_i32 s0, 6
	s_cbranch_scc0 .LBB126_2360
; %bb.2358:
	s_wait_loadcnt 0x0
	global_load_b64 v[4:5], v[12:13], off
	s_mov_b32 s1, 0
	s_wait_loadcnt 0x0
	v_trunc_f64_e32 v[4:5], v[4:5]
	s_delay_alu instid0(VALU_DEP_1) | instskip(NEXT) | instid1(VALU_DEP_1)
	v_ldexp_f64 v[14:15], v[4:5], 0xffffffe0
	v_floor_f64_e32 v[14:15], v[14:15]
	s_delay_alu instid0(VALU_DEP_1) | instskip(SKIP_1) | instid1(VALU_DEP_2)
	v_fmamk_f64 v[16:17], v[14:15], 0xc1f00000, v[4:5]
	v_cvt_i32_f64_e32 v5, v[14:15]
	v_cvt_u32_f64_e32 v4, v[16:17]
	s_branch .LBB126_2361
.LBB126_2359:
	s_mov_b32 s1, -1
                                        ; implicit-def: $vgpr4_vgpr5
	s_branch .LBB126_2364
.LBB126_2360:
	s_mov_b32 s1, -1
                                        ; implicit-def: $vgpr4_vgpr5
.LBB126_2361:
	s_delay_alu instid0(SALU_CYCLE_1)
	s_and_not1_b32 vcc_lo, exec_lo, s1
	s_cbranch_vccnz .LBB126_2363
; %bb.2362:
	s_wait_loadcnt 0x0
	global_load_b32 v4, v[12:13], off
	s_wait_loadcnt 0x0
	v_trunc_f32_e32 v4, v4
	s_delay_alu instid0(VALU_DEP_1) | instskip(NEXT) | instid1(VALU_DEP_1)
	v_mul_f32_e64 v5, 0x2f800000, |v4|
	v_floor_f32_e32 v5, v5
	s_delay_alu instid0(VALU_DEP_1) | instskip(SKIP_2) | instid1(VALU_DEP_3)
	v_fma_f32 v7, 0xcf800000, v5, |v4|
	v_ashrrev_i32_e32 v4, 31, v4
	v_cvt_u32_f32_e32 v9, v5
	v_cvt_u32_f32_e32 v7, v7
	s_delay_alu instid0(VALU_DEP_2) | instskip(NEXT) | instid1(VALU_DEP_2)
	v_dual_mov_b32 v5, v4 :: v_dual_bitop2_b32 v15, v9, v4 bitop3:0x14
	v_xor_b32_e32 v14, v7, v4
	s_delay_alu instid0(VALU_DEP_1)
	v_sub_nc_u64_e32 v[4:5], v[14:15], v[4:5]
.LBB126_2363:
	s_mov_b32 s1, 0
.LBB126_2364:
	s_delay_alu instid0(SALU_CYCLE_1)
	s_and_not1_b32 vcc_lo, exec_lo, s1
	s_cbranch_vccnz .LBB126_2366
; %bb.2365:
	s_wait_loadcnt 0x0
	global_load_u16 v4, v[12:13], off
	s_wait_loadcnt 0x0
	v_cvt_f32_f16_e32 v4, v4
	s_delay_alu instid0(VALU_DEP_1) | instskip(NEXT) | instid1(VALU_DEP_1)
	v_cvt_i32_f32_e32 v4, v4
	v_ashrrev_i32_e32 v5, 31, v4
.LBB126_2366:
	s_mov_b32 s1, 0
.LBB126_2367:
	s_delay_alu instid0(SALU_CYCLE_1)
	s_and_not1_b32 vcc_lo, exec_lo, s1
	s_cbranch_vccnz .LBB126_2387
; %bb.2368:
	s_cmp_lt_i32 s0, 2
	s_cbranch_scc1 .LBB126_2372
; %bb.2369:
	s_cmp_lt_i32 s0, 3
	s_cbranch_scc1 .LBB126_2373
; %bb.2370:
	s_cmp_gt_i32 s0, 3
	s_cbranch_scc0 .LBB126_2374
; %bb.2371:
	s_wait_loadcnt 0x0
	global_load_b64 v[4:5], v[12:13], off
	s_mov_b32 s1, 0
	s_branch .LBB126_2375
.LBB126_2372:
	s_mov_b32 s1, -1
                                        ; implicit-def: $vgpr4_vgpr5
	s_branch .LBB126_2381
.LBB126_2373:
	s_mov_b32 s1, -1
                                        ; implicit-def: $vgpr4_vgpr5
	s_branch .LBB126_2378
.LBB126_2374:
	s_mov_b32 s1, -1
                                        ; implicit-def: $vgpr4_vgpr5
.LBB126_2375:
	s_delay_alu instid0(SALU_CYCLE_1)
	s_and_not1_b32 vcc_lo, exec_lo, s1
	s_cbranch_vccnz .LBB126_2377
; %bb.2376:
	s_wait_loadcnt 0x0
	global_load_b32 v4, v[12:13], off
	s_wait_loadcnt 0x0
	v_ashrrev_i32_e32 v5, 31, v4
.LBB126_2377:
	s_mov_b32 s1, 0
.LBB126_2378:
	s_delay_alu instid0(SALU_CYCLE_1)
	s_and_not1_b32 vcc_lo, exec_lo, s1
	s_cbranch_vccnz .LBB126_2380
; %bb.2379:
	s_wait_loadcnt 0x0
	global_load_u16 v4, v[12:13], off
	s_wait_loadcnt 0x0
	v_bfe_i32 v4, v4, 0, 16
	s_delay_alu instid0(VALU_DEP_1)
	v_ashrrev_i32_e32 v5, 31, v4
.LBB126_2380:
	s_mov_b32 s1, 0
.LBB126_2381:
	s_delay_alu instid0(SALU_CYCLE_1)
	s_and_not1_b32 vcc_lo, exec_lo, s1
	s_cbranch_vccnz .LBB126_2387
; %bb.2382:
	s_cmp_gt_i32 s0, 0
	s_mov_b32 s1, 0
	s_cbranch_scc0 .LBB126_2384
; %bb.2383:
	s_wait_loadcnt 0x0
	global_load_i8 v4, v[12:13], off
	s_wait_loadcnt 0x0
	v_bfe_i32 v4, v4, 0, 16
	s_delay_alu instid0(VALU_DEP_1)
	v_ashrrev_i32_e32 v5, 31, v4
	s_branch .LBB126_2385
.LBB126_2384:
	s_mov_b32 s1, -1
                                        ; implicit-def: $vgpr4_vgpr5
.LBB126_2385:
	s_delay_alu instid0(SALU_CYCLE_1)
	s_and_not1_b32 vcc_lo, exec_lo, s1
	s_cbranch_vccnz .LBB126_2387
; %bb.2386:
	s_wait_loadcnt 0x0
	global_load_u8 v4, v[12:13], off
	s_mov_b32 s1, 0
	s_delay_alu instid0(SALU_CYCLE_1)
	v_mov_b32_e32 v5, s1
	s_wait_loadcnt 0x0
	v_and_b32_e32 v4, 0xffff, v4
.LBB126_2387:
.LBB126_2388:
	s_lshl_b32 s1, s13, 7
	s_cmp_lt_i32 s17, 11
	s_wait_xcnt 0x0
	v_add_nc_u32_e32 v12, s1, v6
	s_delay_alu instid0(VALU_DEP_1) | instskip(NEXT) | instid1(VALU_DEP_1)
	v_ashrrev_i32_e32 v13, 31, v12
	v_add_nc_u64_e32 v[14:15], s[6:7], v[12:13]
	s_cbranch_scc1 .LBB126_2395
; %bb.2389:
	s_and_b32 s13, 0xffff, s17
	s_mov_b32 s21, 0
	s_cmp_gt_i32 s13, 25
	s_cbranch_scc0 .LBB126_2396
; %bb.2390:
	s_cmp_gt_i32 s13, 28
	s_cbranch_scc0 .LBB126_2397
; %bb.2391:
	;; [unrolled: 3-line block ×4, first 2 shown]
	s_cmp_eq_u32 s13, 46
	s_mov_b32 s23, 0
	s_cbranch_scc0 .LBB126_2401
; %bb.2394:
	global_load_b32 v6, v[14:15], off
	s_mov_b32 s20, 0
	s_mov_b32 s22, -1
	s_wait_loadcnt 0x0
	v_lshlrev_b32_e32 v6, 16, v6
	s_delay_alu instid0(VALU_DEP_1) | instskip(NEXT) | instid1(VALU_DEP_1)
	v_trunc_f32_e32 v6, v6
	v_mul_f32_e64 v7, 0x2f800000, |v6|
	s_delay_alu instid0(VALU_DEP_1) | instskip(NEXT) | instid1(VALU_DEP_1)
	v_floor_f32_e32 v7, v7
	v_fma_f32 v9, 0xcf800000, v7, |v6|
	v_ashrrev_i32_e32 v6, 31, v6
	v_cvt_u32_f32_e32 v11, v7
	s_delay_alu instid0(VALU_DEP_3) | instskip(NEXT) | instid1(VALU_DEP_2)
	v_cvt_u32_f32_e32 v9, v9
	v_dual_mov_b32 v7, v6 :: v_dual_bitop2_b32 v17, v11, v6 bitop3:0x14
	s_delay_alu instid0(VALU_DEP_2) | instskip(NEXT) | instid1(VALU_DEP_1)
	v_xor_b32_e32 v16, v9, v6
	v_sub_nc_u64_e32 v[6:7], v[16:17], v[6:7]
	s_branch .LBB126_2403
.LBB126_2395:
	s_mov_b32 s13, -1
	s_mov_b32 s22, 0
                                        ; implicit-def: $vgpr6_vgpr7
	s_branch .LBB126_2465
.LBB126_2396:
	s_mov_b32 s23, -1
	s_mov_b32 s22, 0
	s_mov_b32 s20, 0
                                        ; implicit-def: $vgpr6_vgpr7
	s_branch .LBB126_2430
.LBB126_2397:
	s_mov_b32 s23, -1
	s_mov_b32 s22, 0
	s_mov_b32 s20, 0
                                        ; implicit-def: $vgpr6_vgpr7
	s_branch .LBB126_2413
.LBB126_2398:
	s_mov_b32 s23, -1
	s_mov_b32 s22, 0
	s_mov_b32 s20, 0
                                        ; implicit-def: $vgpr6_vgpr7
	s_branch .LBB126_2408
.LBB126_2399:
	s_or_b32 s16, s16, exec_lo
	s_trap 2
	s_cbranch_execz .LBB126_2338
	s_branch .LBB126_2339
.LBB126_2400:
	s_mov_b32 s23, -1
	s_mov_b32 s22, 0
	s_mov_b32 s20, 0
	s_branch .LBB126_2402
.LBB126_2401:
	s_mov_b32 s20, -1
	s_mov_b32 s22, 0
.LBB126_2402:
                                        ; implicit-def: $vgpr6_vgpr7
.LBB126_2403:
	s_and_b32 vcc_lo, exec_lo, s23
	s_cbranch_vccz .LBB126_2407
; %bb.2404:
	s_cmp_eq_u32 s13, 44
	s_cbranch_scc0 .LBB126_2406
; %bb.2405:
	global_load_u8 v9, v[14:15], off
	s_mov_b32 s20, 0
	s_mov_b32 s22, -1
	s_wait_loadcnt 0x0
	v_cmp_ne_u32_e32 vcc_lo, 0, v9
	v_lshlrev_b32_e32 v6, 23, v9
	s_delay_alu instid0(VALU_DEP_1) | instskip(NEXT) | instid1(VALU_DEP_1)
	v_trunc_f32_e32 v6, v6
	v_mul_f32_e64 v7, 0x2f800000, |v6|
	s_delay_alu instid0(VALU_DEP_1) | instskip(NEXT) | instid1(VALU_DEP_1)
	v_floor_f32_e32 v7, v7
	v_fma_f32 v11, 0xcf800000, v7, |v6|
	v_ashrrev_i32_e32 v6, 31, v6
	v_cvt_u32_f32_e32 v13, v7
	s_delay_alu instid0(VALU_DEP_3) | instskip(NEXT) | instid1(VALU_DEP_2)
	v_cvt_u32_f32_e32 v11, v11
	v_dual_mov_b32 v7, v6 :: v_dual_bitop2_b32 v17, v13, v6 bitop3:0x14
	s_delay_alu instid0(VALU_DEP_2) | instskip(NEXT) | instid1(VALU_DEP_1)
	v_xor_b32_e32 v16, v11, v6
	v_sub_nc_u64_e32 v[6:7], v[16:17], v[6:7]
	s_delay_alu instid0(VALU_DEP_1)
	v_dual_cndmask_b32 v7, 0, v7 :: v_dual_cndmask_b32 v6, 0, v6
	s_branch .LBB126_2407
.LBB126_2406:
	s_mov_b32 s20, -1
                                        ; implicit-def: $vgpr6_vgpr7
.LBB126_2407:
	s_mov_b32 s23, 0
.LBB126_2408:
	s_delay_alu instid0(SALU_CYCLE_1)
	s_and_b32 vcc_lo, exec_lo, s23
	s_cbranch_vccz .LBB126_2412
; %bb.2409:
	s_cmp_eq_u32 s13, 29
	s_cbranch_scc0 .LBB126_2411
; %bb.2410:
	global_load_b64 v[6:7], v[14:15], off
	s_mov_b32 s20, 0
	s_mov_b32 s22, -1
	s_branch .LBB126_2412
.LBB126_2411:
	s_mov_b32 s20, -1
                                        ; implicit-def: $vgpr6_vgpr7
.LBB126_2412:
	s_mov_b32 s23, 0
.LBB126_2413:
	s_delay_alu instid0(SALU_CYCLE_1)
	s_and_b32 vcc_lo, exec_lo, s23
	s_cbranch_vccz .LBB126_2429
; %bb.2414:
	s_cmp_lt_i32 s13, 27
	s_cbranch_scc1 .LBB126_2417
; %bb.2415:
	s_cmp_gt_i32 s13, 27
	s_cbranch_scc0 .LBB126_2418
; %bb.2416:
	s_wait_loadcnt 0x0
	global_load_b32 v6, v[14:15], off
	v_mov_b32_e32 v7, 0
	s_mov_b32 s22, 0
	s_branch .LBB126_2419
.LBB126_2417:
	s_mov_b32 s22, -1
                                        ; implicit-def: $vgpr6_vgpr7
	s_branch .LBB126_2422
.LBB126_2418:
	s_mov_b32 s22, -1
                                        ; implicit-def: $vgpr6_vgpr7
.LBB126_2419:
	s_delay_alu instid0(SALU_CYCLE_1)
	s_and_not1_b32 vcc_lo, exec_lo, s22
	s_cbranch_vccnz .LBB126_2421
; %bb.2420:
	s_wait_loadcnt 0x0
	global_load_u16 v6, v[14:15], off
	s_mov_b32 s22, 0
	s_delay_alu instid0(SALU_CYCLE_1)
	v_mov_b32_e32 v7, s22
	s_wait_loadcnt 0x0
	v_and_b32_e32 v6, 0xffff, v6
.LBB126_2421:
	s_mov_b32 s22, 0
.LBB126_2422:
	s_delay_alu instid0(SALU_CYCLE_1)
	s_and_not1_b32 vcc_lo, exec_lo, s22
	s_cbranch_vccnz .LBB126_2428
; %bb.2423:
	global_load_u8 v9, v[14:15], off
	s_mov_b32 s23, 0
	s_mov_b32 s22, exec_lo
	s_wait_loadcnt 0x0
	v_cmpx_lt_i16_e32 0x7f, v9
	s_xor_b32 s22, exec_lo, s22
	s_cbranch_execz .LBB126_2440
; %bb.2424:
	v_cmp_ne_u16_e32 vcc_lo, 0x80, v9
	s_and_b32 s23, vcc_lo, exec_lo
	s_and_not1_saveexec_b32 s22, s22
	s_cbranch_execnz .LBB126_2441
.LBB126_2425:
	s_or_b32 exec_lo, exec_lo, s22
	v_mov_b64_e32 v[6:7], 0
	s_and_saveexec_b32 s22, s23
	s_cbranch_execz .LBB126_2427
.LBB126_2426:
	v_and_b32_e32 v6, 0xffff, v9
	s_delay_alu instid0(VALU_DEP_1) | instskip(SKIP_1) | instid1(VALU_DEP_2)
	v_and_b32_e32 v7, 7, v6
	v_bfe_u32 v16, v6, 3, 4
	v_clz_i32_u32_e32 v11, v7
	s_delay_alu instid0(VALU_DEP_2) | instskip(NEXT) | instid1(VALU_DEP_2)
	v_cmp_eq_u32_e32 vcc_lo, 0, v16
	v_min_u32_e32 v11, 32, v11
	s_delay_alu instid0(VALU_DEP_1) | instskip(NEXT) | instid1(VALU_DEP_1)
	v_subrev_nc_u32_e32 v13, 28, v11
	v_dual_lshlrev_b32 v6, v13, v6 :: v_dual_sub_nc_u32 v11, 29, v11
	s_delay_alu instid0(VALU_DEP_1) | instskip(NEXT) | instid1(VALU_DEP_1)
	v_dual_lshlrev_b32 v9, 24, v9 :: v_dual_bitop2_b32 v6, 7, v6 bitop3:0x40
	v_dual_cndmask_b32 v11, v16, v11 :: v_dual_cndmask_b32 v6, v7, v6
	s_delay_alu instid0(VALU_DEP_2) | instskip(NEXT) | instid1(VALU_DEP_2)
	v_and_b32_e32 v7, 0x80000000, v9
	v_lshl_add_u32 v9, v11, 23, 0x3b800000
	s_delay_alu instid0(VALU_DEP_3) | instskip(NEXT) | instid1(VALU_DEP_1)
	v_lshlrev_b32_e32 v6, 20, v6
	v_or3_b32 v6, v7, v9, v6
	s_delay_alu instid0(VALU_DEP_1) | instskip(NEXT) | instid1(VALU_DEP_1)
	v_trunc_f32_e32 v6, v6
	v_mul_f32_e64 v7, 0x2f800000, |v6|
	s_delay_alu instid0(VALU_DEP_1) | instskip(NEXT) | instid1(VALU_DEP_1)
	v_floor_f32_e32 v7, v7
	v_fma_f32 v9, 0xcf800000, v7, |v6|
	v_ashrrev_i32_e32 v6, 31, v6
	v_cvt_u32_f32_e32 v11, v7
	s_delay_alu instid0(VALU_DEP_3) | instskip(NEXT) | instid1(VALU_DEP_2)
	v_cvt_u32_f32_e32 v9, v9
	v_dual_mov_b32 v7, v6 :: v_dual_bitop2_b32 v17, v11, v6 bitop3:0x14
	s_delay_alu instid0(VALU_DEP_2) | instskip(NEXT) | instid1(VALU_DEP_1)
	v_xor_b32_e32 v16, v9, v6
	v_sub_nc_u64_e32 v[6:7], v[16:17], v[6:7]
.LBB126_2427:
	s_or_b32 exec_lo, exec_lo, s22
.LBB126_2428:
	s_mov_b32 s22, -1
.LBB126_2429:
	s_mov_b32 s23, 0
.LBB126_2430:
	s_delay_alu instid0(SALU_CYCLE_1)
	s_and_b32 vcc_lo, exec_lo, s23
	s_cbranch_vccz .LBB126_2461
; %bb.2431:
	s_cmp_gt_i32 s13, 22
	s_cbranch_scc0 .LBB126_2439
; %bb.2432:
	s_cmp_lt_i32 s13, 24
	s_cbranch_scc1 .LBB126_2442
; %bb.2433:
	s_cmp_gt_i32 s13, 24
	s_cbranch_scc0 .LBB126_2443
; %bb.2434:
	global_load_u8 v9, v[14:15], off
	s_mov_b32 s22, 0
	s_mov_b32 s21, exec_lo
	s_wait_loadcnt 0x0
	v_cmpx_lt_i16_e32 0x7f, v9
	s_xor_b32 s21, exec_lo, s21
	s_cbranch_execz .LBB126_2455
; %bb.2435:
	v_cmp_ne_u16_e32 vcc_lo, 0x80, v9
	s_and_b32 s22, vcc_lo, exec_lo
	s_and_not1_saveexec_b32 s21, s21
	s_cbranch_execnz .LBB126_2456
.LBB126_2436:
	s_or_b32 exec_lo, exec_lo, s21
	v_mov_b64_e32 v[6:7], 0
	s_and_saveexec_b32 s21, s22
	s_cbranch_execz .LBB126_2438
.LBB126_2437:
	v_and_b32_e32 v6, 0xffff, v9
	s_delay_alu instid0(VALU_DEP_1) | instskip(SKIP_1) | instid1(VALU_DEP_2)
	v_and_b32_e32 v7, 3, v6
	v_bfe_u32 v16, v6, 2, 5
	v_clz_i32_u32_e32 v11, v7
	s_delay_alu instid0(VALU_DEP_2) | instskip(NEXT) | instid1(VALU_DEP_2)
	v_cmp_eq_u32_e32 vcc_lo, 0, v16
	v_min_u32_e32 v11, 32, v11
	s_delay_alu instid0(VALU_DEP_1) | instskip(NEXT) | instid1(VALU_DEP_1)
	v_subrev_nc_u32_e32 v13, 29, v11
	v_dual_lshlrev_b32 v6, v13, v6 :: v_dual_sub_nc_u32 v11, 30, v11
	s_delay_alu instid0(VALU_DEP_1) | instskip(NEXT) | instid1(VALU_DEP_1)
	v_dual_lshlrev_b32 v9, 24, v9 :: v_dual_bitop2_b32 v6, 3, v6 bitop3:0x40
	v_dual_cndmask_b32 v11, v16, v11 :: v_dual_cndmask_b32 v6, v7, v6
	s_delay_alu instid0(VALU_DEP_2) | instskip(NEXT) | instid1(VALU_DEP_2)
	v_and_b32_e32 v7, 0x80000000, v9
	v_lshl_add_u32 v9, v11, 23, 0x37800000
	s_delay_alu instid0(VALU_DEP_3) | instskip(NEXT) | instid1(VALU_DEP_1)
	v_lshlrev_b32_e32 v6, 21, v6
	v_or3_b32 v6, v7, v9, v6
	s_delay_alu instid0(VALU_DEP_1) | instskip(NEXT) | instid1(VALU_DEP_1)
	v_trunc_f32_e32 v6, v6
	v_mul_f32_e64 v7, 0x2f800000, |v6|
	s_delay_alu instid0(VALU_DEP_1) | instskip(NEXT) | instid1(VALU_DEP_1)
	v_floor_f32_e32 v7, v7
	v_fma_f32 v9, 0xcf800000, v7, |v6|
	v_ashrrev_i32_e32 v6, 31, v6
	v_cvt_u32_f32_e32 v11, v7
	s_delay_alu instid0(VALU_DEP_3) | instskip(NEXT) | instid1(VALU_DEP_2)
	v_cvt_u32_f32_e32 v9, v9
	v_dual_mov_b32 v7, v6 :: v_dual_bitop2_b32 v17, v11, v6 bitop3:0x14
	s_delay_alu instid0(VALU_DEP_2) | instskip(NEXT) | instid1(VALU_DEP_1)
	v_xor_b32_e32 v16, v9, v6
	v_sub_nc_u64_e32 v[6:7], v[16:17], v[6:7]
.LBB126_2438:
	s_or_b32 exec_lo, exec_lo, s21
	s_mov_b32 s21, 0
	s_branch .LBB126_2444
.LBB126_2439:
	s_mov_b32 s21, -1
                                        ; implicit-def: $vgpr6_vgpr7
	s_branch .LBB126_2450
.LBB126_2440:
	s_and_not1_saveexec_b32 s22, s22
	s_cbranch_execz .LBB126_2425
.LBB126_2441:
	v_cmp_ne_u16_e32 vcc_lo, 0, v9
	s_and_not1_b32 s23, s23, exec_lo
	s_and_b32 s24, vcc_lo, exec_lo
	s_delay_alu instid0(SALU_CYCLE_1)
	s_or_b32 s23, s23, s24
	s_or_b32 exec_lo, exec_lo, s22
	v_mov_b64_e32 v[6:7], 0
	s_and_saveexec_b32 s22, s23
	s_cbranch_execnz .LBB126_2426
	s_branch .LBB126_2427
.LBB126_2442:
	s_mov_b32 s21, -1
                                        ; implicit-def: $vgpr6_vgpr7
	s_branch .LBB126_2447
.LBB126_2443:
	s_mov_b32 s21, -1
                                        ; implicit-def: $vgpr6_vgpr7
.LBB126_2444:
	s_delay_alu instid0(SALU_CYCLE_1)
	s_and_b32 vcc_lo, exec_lo, s21
	s_cbranch_vccz .LBB126_2446
; %bb.2445:
	s_wait_loadcnt 0x0
	global_load_u8 v6, v[14:15], off
	s_wait_loadcnt 0x0
	v_lshlrev_b32_e32 v6, 24, v6
	s_delay_alu instid0(VALU_DEP_1) | instskip(NEXT) | instid1(VALU_DEP_1)
	v_and_b32_e32 v7, 0x7f000000, v6
	v_clz_i32_u32_e32 v9, v7
	v_add_nc_u32_e32 v13, 0x1000000, v7
	v_cmp_ne_u32_e32 vcc_lo, 0, v7
	s_delay_alu instid0(VALU_DEP_3) | instskip(NEXT) | instid1(VALU_DEP_1)
	v_min_u32_e32 v9, 32, v9
	v_sub_nc_u32_e64 v9, v9, 4 clamp
	s_delay_alu instid0(VALU_DEP_1) | instskip(NEXT) | instid1(VALU_DEP_1)
	v_dual_lshlrev_b32 v11, v9, v7 :: v_dual_lshlrev_b32 v9, 23, v9
	v_lshrrev_b32_e32 v11, 4, v11
	s_delay_alu instid0(VALU_DEP_1) | instskip(SKIP_1) | instid1(VALU_DEP_2)
	v_sub_nc_u32_e32 v9, v11, v9
	v_ashrrev_i32_e32 v11, 8, v13
	v_add_nc_u32_e32 v9, 0x3c000000, v9
	s_delay_alu instid0(VALU_DEP_1) | instskip(NEXT) | instid1(VALU_DEP_1)
	v_and_or_b32 v9, 0x7f800000, v11, v9
	v_cndmask_b32_e32 v7, 0, v9, vcc_lo
	s_delay_alu instid0(VALU_DEP_1) | instskip(NEXT) | instid1(VALU_DEP_1)
	v_and_or_b32 v6, 0x80000000, v6, v7
	v_trunc_f32_e32 v6, v6
	s_delay_alu instid0(VALU_DEP_1) | instskip(NEXT) | instid1(VALU_DEP_1)
	v_mul_f32_e64 v7, 0x2f800000, |v6|
	v_floor_f32_e32 v7, v7
	s_delay_alu instid0(VALU_DEP_1) | instskip(SKIP_2) | instid1(VALU_DEP_3)
	v_fma_f32 v9, 0xcf800000, v7, |v6|
	v_ashrrev_i32_e32 v6, 31, v6
	v_cvt_u32_f32_e32 v11, v7
	v_cvt_u32_f32_e32 v9, v9
	s_delay_alu instid0(VALU_DEP_2) | instskip(NEXT) | instid1(VALU_DEP_2)
	v_dual_mov_b32 v7, v6 :: v_dual_bitop2_b32 v17, v11, v6 bitop3:0x14
	v_xor_b32_e32 v16, v9, v6
	s_delay_alu instid0(VALU_DEP_1)
	v_sub_nc_u64_e32 v[6:7], v[16:17], v[6:7]
.LBB126_2446:
	s_mov_b32 s21, 0
.LBB126_2447:
	s_delay_alu instid0(SALU_CYCLE_1)
	s_and_not1_b32 vcc_lo, exec_lo, s21
	s_cbranch_vccnz .LBB126_2449
; %bb.2448:
	s_wait_loadcnt 0x0
	global_load_u8 v6, v[14:15], off
	s_wait_loadcnt 0x0
	v_lshlrev_b32_e32 v7, 25, v6
	v_lshlrev_b16 v6, 8, v6
	s_delay_alu instid0(VALU_DEP_1) | instskip(SKIP_1) | instid1(VALU_DEP_2)
	v_and_or_b32 v11, 0x7f00, v6, 0.5
	v_bfe_i32 v6, v6, 0, 16
	v_add_f32_e32 v11, -0.5, v11
	v_lshrrev_b32_e32 v9, 4, v7
	v_cmp_gt_u32_e32 vcc_lo, 0x8000000, v7
	s_delay_alu instid0(VALU_DEP_2) | instskip(NEXT) | instid1(VALU_DEP_1)
	v_or_b32_e32 v9, 0x70000000, v9
	v_mul_f32_e32 v9, 0x7800000, v9
	s_delay_alu instid0(VALU_DEP_1) | instskip(NEXT) | instid1(VALU_DEP_1)
	v_cndmask_b32_e32 v7, v9, v11, vcc_lo
	v_and_or_b32 v6, 0x80000000, v6, v7
	s_delay_alu instid0(VALU_DEP_1) | instskip(NEXT) | instid1(VALU_DEP_1)
	v_trunc_f32_e32 v6, v6
	v_mul_f32_e64 v7, 0x2f800000, |v6|
	s_delay_alu instid0(VALU_DEP_1) | instskip(NEXT) | instid1(VALU_DEP_1)
	v_floor_f32_e32 v7, v7
	v_fma_f32 v9, 0xcf800000, v7, |v6|
	v_ashrrev_i32_e32 v6, 31, v6
	v_cvt_u32_f32_e32 v11, v7
	s_delay_alu instid0(VALU_DEP_3) | instskip(NEXT) | instid1(VALU_DEP_2)
	v_cvt_u32_f32_e32 v9, v9
	v_dual_mov_b32 v7, v6 :: v_dual_bitop2_b32 v17, v11, v6 bitop3:0x14
	s_delay_alu instid0(VALU_DEP_2) | instskip(NEXT) | instid1(VALU_DEP_1)
	v_xor_b32_e32 v16, v9, v6
	v_sub_nc_u64_e32 v[6:7], v[16:17], v[6:7]
.LBB126_2449:
	s_mov_b32 s21, 0
	s_mov_b32 s22, -1
.LBB126_2450:
	s_and_not1_b32 vcc_lo, exec_lo, s21
	s_mov_b32 s21, 0
	s_cbranch_vccnz .LBB126_2461
; %bb.2451:
	s_cmp_gt_i32 s13, 14
	s_cbranch_scc0 .LBB126_2454
; %bb.2452:
	s_cmp_eq_u32 s13, 15
	s_cbranch_scc0 .LBB126_2457
; %bb.2453:
	s_wait_loadcnt 0x0
	global_load_u16 v6, v[14:15], off
	s_mov_b32 s20, 0
	s_mov_b32 s22, -1
	s_wait_loadcnt 0x0
	v_lshlrev_b32_e32 v6, 16, v6
	s_delay_alu instid0(VALU_DEP_1) | instskip(NEXT) | instid1(VALU_DEP_1)
	v_trunc_f32_e32 v6, v6
	v_mul_f32_e64 v7, 0x2f800000, |v6|
	s_delay_alu instid0(VALU_DEP_1) | instskip(NEXT) | instid1(VALU_DEP_1)
	v_floor_f32_e32 v7, v7
	v_fma_f32 v9, 0xcf800000, v7, |v6|
	v_ashrrev_i32_e32 v6, 31, v6
	v_cvt_u32_f32_e32 v11, v7
	s_delay_alu instid0(VALU_DEP_3) | instskip(NEXT) | instid1(VALU_DEP_2)
	v_cvt_u32_f32_e32 v9, v9
	v_dual_mov_b32 v7, v6 :: v_dual_bitop2_b32 v17, v11, v6 bitop3:0x14
	s_delay_alu instid0(VALU_DEP_2) | instskip(NEXT) | instid1(VALU_DEP_1)
	v_xor_b32_e32 v16, v9, v6
	v_sub_nc_u64_e32 v[6:7], v[16:17], v[6:7]
	s_branch .LBB126_2459
.LBB126_2454:
	s_mov_b32 s21, -1
	s_branch .LBB126_2458
.LBB126_2455:
	s_and_not1_saveexec_b32 s21, s21
	s_cbranch_execz .LBB126_2436
.LBB126_2456:
	v_cmp_ne_u16_e32 vcc_lo, 0, v9
	s_and_not1_b32 s22, s22, exec_lo
	s_and_b32 s23, vcc_lo, exec_lo
	s_delay_alu instid0(SALU_CYCLE_1)
	s_or_b32 s22, s22, s23
	s_or_b32 exec_lo, exec_lo, s21
	v_mov_b64_e32 v[6:7], 0
	s_and_saveexec_b32 s21, s22
	s_cbranch_execnz .LBB126_2437
	s_branch .LBB126_2438
.LBB126_2457:
	s_mov_b32 s20, -1
.LBB126_2458:
                                        ; implicit-def: $vgpr6_vgpr7
.LBB126_2459:
	s_and_b32 vcc_lo, exec_lo, s21
	s_mov_b32 s21, 0
	s_cbranch_vccz .LBB126_2461
; %bb.2460:
	s_cmp_lg_u32 s13, 11
	s_mov_b32 s21, -1
	s_cselect_b32 s20, -1, 0
.LBB126_2461:
	s_delay_alu instid0(SALU_CYCLE_1)
	s_and_b32 vcc_lo, exec_lo, s20
	s_cbranch_vccnz .LBB126_2526
; %bb.2462:
	s_and_not1_b32 vcc_lo, exec_lo, s21
	s_cbranch_vccnz .LBB126_2464
.LBB126_2463:
	s_wait_loadcnt 0x0
	global_load_u8 v6, v[14:15], off
	s_mov_b32 s13, 0
	s_mov_b32 s22, -1
	v_mov_b32_e32 v7, s13
	s_wait_loadcnt 0x0
	v_cmp_ne_u16_e32 vcc_lo, 0, v6
	v_cndmask_b32_e64 v6, 0, 1, vcc_lo
.LBB126_2464:
	s_mov_b32 s13, 0
.LBB126_2465:
	s_delay_alu instid0(SALU_CYCLE_1)
	s_and_b32 vcc_lo, exec_lo, s13
	s_cbranch_vccz .LBB126_2514
; %bb.2466:
	s_and_b32 s13, 0xffff, s17
	s_delay_alu instid0(SALU_CYCLE_1)
	s_cmp_lt_i32 s13, 5
	s_cbranch_scc1 .LBB126_2471
; %bb.2467:
	s_cmp_lt_i32 s13, 8
	s_cbranch_scc1 .LBB126_2472
; %bb.2468:
	;; [unrolled: 3-line block ×3, first 2 shown]
	s_cmp_gt_i32 s13, 9
	s_cbranch_scc0 .LBB126_2474
; %bb.2470:
	s_wait_loadcnt 0x0
	global_load_b64 v[6:7], v[14:15], off
	s_mov_b32 s20, 0
	s_wait_loadcnt 0x0
	v_trunc_f64_e32 v[6:7], v[6:7]
	s_delay_alu instid0(VALU_DEP_1) | instskip(NEXT) | instid1(VALU_DEP_1)
	v_ldexp_f64 v[16:17], v[6:7], 0xffffffe0
	v_floor_f64_e32 v[16:17], v[16:17]
	s_delay_alu instid0(VALU_DEP_1) | instskip(SKIP_1) | instid1(VALU_DEP_2)
	v_fmamk_f64 v[18:19], v[16:17], 0xc1f00000, v[6:7]
	v_cvt_i32_f64_e32 v7, v[16:17]
	v_cvt_u32_f64_e32 v6, v[18:19]
	s_branch .LBB126_2475
.LBB126_2471:
	s_mov_b32 s20, -1
                                        ; implicit-def: $vgpr6_vgpr7
	s_branch .LBB126_2493
.LBB126_2472:
	s_mov_b32 s20, -1
                                        ; implicit-def: $vgpr6_vgpr7
	s_branch .LBB126_2481
.LBB126_2473:
	s_mov_b32 s20, -1
                                        ; implicit-def: $vgpr6_vgpr7
	s_branch .LBB126_2478
.LBB126_2474:
	s_mov_b32 s20, -1
                                        ; implicit-def: $vgpr6_vgpr7
.LBB126_2475:
	s_delay_alu instid0(SALU_CYCLE_1)
	s_and_not1_b32 vcc_lo, exec_lo, s20
	s_cbranch_vccnz .LBB126_2477
; %bb.2476:
	s_wait_loadcnt 0x0
	global_load_b32 v6, v[14:15], off
	s_wait_loadcnt 0x0
	v_trunc_f32_e32 v6, v6
	s_delay_alu instid0(VALU_DEP_1) | instskip(NEXT) | instid1(VALU_DEP_1)
	v_mul_f32_e64 v7, 0x2f800000, |v6|
	v_floor_f32_e32 v7, v7
	s_delay_alu instid0(VALU_DEP_1) | instskip(SKIP_2) | instid1(VALU_DEP_3)
	v_fma_f32 v9, 0xcf800000, v7, |v6|
	v_ashrrev_i32_e32 v6, 31, v6
	v_cvt_u32_f32_e32 v11, v7
	v_cvt_u32_f32_e32 v9, v9
	s_delay_alu instid0(VALU_DEP_2) | instskip(NEXT) | instid1(VALU_DEP_2)
	v_dual_mov_b32 v7, v6 :: v_dual_bitop2_b32 v17, v11, v6 bitop3:0x14
	v_xor_b32_e32 v16, v9, v6
	s_delay_alu instid0(VALU_DEP_1)
	v_sub_nc_u64_e32 v[6:7], v[16:17], v[6:7]
.LBB126_2477:
	s_mov_b32 s20, 0
.LBB126_2478:
	s_delay_alu instid0(SALU_CYCLE_1)
	s_and_not1_b32 vcc_lo, exec_lo, s20
	s_cbranch_vccnz .LBB126_2480
; %bb.2479:
	s_wait_loadcnt 0x0
	global_load_b32 v6, v[14:15], off
	s_wait_loadcnt 0x0
	v_cvt_f32_f16_e32 v6, v6
	s_delay_alu instid0(VALU_DEP_1) | instskip(NEXT) | instid1(VALU_DEP_1)
	v_cvt_i32_f32_e32 v6, v6
	v_ashrrev_i32_e32 v7, 31, v6
.LBB126_2480:
	s_mov_b32 s20, 0
.LBB126_2481:
	s_delay_alu instid0(SALU_CYCLE_1)
	s_and_not1_b32 vcc_lo, exec_lo, s20
	s_cbranch_vccnz .LBB126_2492
; %bb.2482:
	s_cmp_lt_i32 s13, 6
	s_cbranch_scc1 .LBB126_2485
; %bb.2483:
	s_cmp_gt_i32 s13, 6
	s_cbranch_scc0 .LBB126_2486
; %bb.2484:
	s_wait_loadcnt 0x0
	global_load_b64 v[6:7], v[14:15], off
	s_mov_b32 s20, 0
	s_wait_loadcnt 0x0
	v_trunc_f64_e32 v[6:7], v[6:7]
	s_delay_alu instid0(VALU_DEP_1) | instskip(NEXT) | instid1(VALU_DEP_1)
	v_ldexp_f64 v[16:17], v[6:7], 0xffffffe0
	v_floor_f64_e32 v[16:17], v[16:17]
	s_delay_alu instid0(VALU_DEP_1) | instskip(SKIP_1) | instid1(VALU_DEP_2)
	v_fmamk_f64 v[18:19], v[16:17], 0xc1f00000, v[6:7]
	v_cvt_i32_f64_e32 v7, v[16:17]
	v_cvt_u32_f64_e32 v6, v[18:19]
	s_branch .LBB126_2487
.LBB126_2485:
	s_mov_b32 s20, -1
                                        ; implicit-def: $vgpr6_vgpr7
	s_branch .LBB126_2490
.LBB126_2486:
	s_mov_b32 s20, -1
                                        ; implicit-def: $vgpr6_vgpr7
.LBB126_2487:
	s_delay_alu instid0(SALU_CYCLE_1)
	s_and_not1_b32 vcc_lo, exec_lo, s20
	s_cbranch_vccnz .LBB126_2489
; %bb.2488:
	s_wait_loadcnt 0x0
	global_load_b32 v6, v[14:15], off
	s_wait_loadcnt 0x0
	v_trunc_f32_e32 v6, v6
	s_delay_alu instid0(VALU_DEP_1) | instskip(NEXT) | instid1(VALU_DEP_1)
	v_mul_f32_e64 v7, 0x2f800000, |v6|
	v_floor_f32_e32 v7, v7
	s_delay_alu instid0(VALU_DEP_1) | instskip(SKIP_2) | instid1(VALU_DEP_3)
	v_fma_f32 v9, 0xcf800000, v7, |v6|
	v_ashrrev_i32_e32 v6, 31, v6
	v_cvt_u32_f32_e32 v11, v7
	v_cvt_u32_f32_e32 v9, v9
	s_delay_alu instid0(VALU_DEP_2) | instskip(NEXT) | instid1(VALU_DEP_2)
	v_dual_mov_b32 v7, v6 :: v_dual_bitop2_b32 v17, v11, v6 bitop3:0x14
	v_xor_b32_e32 v16, v9, v6
	s_delay_alu instid0(VALU_DEP_1)
	v_sub_nc_u64_e32 v[6:7], v[16:17], v[6:7]
.LBB126_2489:
	s_mov_b32 s20, 0
.LBB126_2490:
	s_delay_alu instid0(SALU_CYCLE_1)
	s_and_not1_b32 vcc_lo, exec_lo, s20
	s_cbranch_vccnz .LBB126_2492
; %bb.2491:
	s_wait_loadcnt 0x0
	global_load_u16 v6, v[14:15], off
	s_wait_loadcnt 0x0
	v_cvt_f32_f16_e32 v6, v6
	s_delay_alu instid0(VALU_DEP_1) | instskip(NEXT) | instid1(VALU_DEP_1)
	v_cvt_i32_f32_e32 v6, v6
	v_ashrrev_i32_e32 v7, 31, v6
.LBB126_2492:
	s_mov_b32 s20, 0
.LBB126_2493:
	s_delay_alu instid0(SALU_CYCLE_1)
	s_and_not1_b32 vcc_lo, exec_lo, s20
	s_cbranch_vccnz .LBB126_2513
; %bb.2494:
	s_cmp_lt_i32 s13, 2
	s_cbranch_scc1 .LBB126_2498
; %bb.2495:
	s_cmp_lt_i32 s13, 3
	s_cbranch_scc1 .LBB126_2499
; %bb.2496:
	s_cmp_gt_i32 s13, 3
	s_cbranch_scc0 .LBB126_2500
; %bb.2497:
	s_wait_loadcnt 0x0
	global_load_b64 v[6:7], v[14:15], off
	s_mov_b32 s20, 0
	s_branch .LBB126_2501
.LBB126_2498:
	s_mov_b32 s20, -1
                                        ; implicit-def: $vgpr6_vgpr7
	s_branch .LBB126_2507
.LBB126_2499:
	s_mov_b32 s20, -1
                                        ; implicit-def: $vgpr6_vgpr7
	s_branch .LBB126_2504
.LBB126_2500:
	s_mov_b32 s20, -1
                                        ; implicit-def: $vgpr6_vgpr7
.LBB126_2501:
	s_delay_alu instid0(SALU_CYCLE_1)
	s_and_not1_b32 vcc_lo, exec_lo, s20
	s_cbranch_vccnz .LBB126_2503
; %bb.2502:
	s_wait_loadcnt 0x0
	global_load_b32 v6, v[14:15], off
	s_wait_loadcnt 0x0
	v_ashrrev_i32_e32 v7, 31, v6
.LBB126_2503:
	s_mov_b32 s20, 0
.LBB126_2504:
	s_delay_alu instid0(SALU_CYCLE_1)
	s_and_not1_b32 vcc_lo, exec_lo, s20
	s_cbranch_vccnz .LBB126_2506
; %bb.2505:
	s_wait_loadcnt 0x0
	global_load_u16 v6, v[14:15], off
	s_wait_loadcnt 0x0
	v_bfe_i32 v6, v6, 0, 16
	s_delay_alu instid0(VALU_DEP_1)
	v_ashrrev_i32_e32 v7, 31, v6
.LBB126_2506:
	s_mov_b32 s20, 0
.LBB126_2507:
	s_delay_alu instid0(SALU_CYCLE_1)
	s_and_not1_b32 vcc_lo, exec_lo, s20
	s_cbranch_vccnz .LBB126_2513
; %bb.2508:
	s_cmp_gt_i32 s13, 0
	s_mov_b32 s13, 0
	s_cbranch_scc0 .LBB126_2510
; %bb.2509:
	s_wait_loadcnt 0x0
	global_load_i8 v6, v[14:15], off
	s_wait_loadcnt 0x0
	v_bfe_i32 v6, v6, 0, 16
	s_delay_alu instid0(VALU_DEP_1)
	v_ashrrev_i32_e32 v7, 31, v6
	s_branch .LBB126_2511
.LBB126_2510:
	s_mov_b32 s13, -1
                                        ; implicit-def: $vgpr6_vgpr7
.LBB126_2511:
	s_delay_alu instid0(SALU_CYCLE_1)
	s_and_not1_b32 vcc_lo, exec_lo, s13
	s_cbranch_vccnz .LBB126_2513
; %bb.2512:
	s_wait_loadcnt 0x0
	global_load_u8 v6, v[14:15], off
	s_mov_b32 s13, 0
	s_delay_alu instid0(SALU_CYCLE_1)
	v_mov_b32_e32 v7, s13
	s_wait_loadcnt 0x0
	v_and_b32_e32 v6, 0xffff, v6
.LBB126_2513:
	s_mov_b32 s22, -1
.LBB126_2514:
	s_delay_alu instid0(SALU_CYCLE_1)
	s_and_not1_b32 vcc_lo, exec_lo, s22
	s_cbranch_vccnz .LBB126_3968
; %bb.2515:
	s_lshl_b32 s13, s14, 7
	s_cmp_lt_i32 s3, 11
	s_wait_xcnt 0x0
	v_add_nc_u32_e32 v14, s13, v8
	s_delay_alu instid0(VALU_DEP_1) | instskip(NEXT) | instid1(VALU_DEP_1)
	v_ashrrev_i32_e32 v15, 31, v14
	v_add_nc_u64_e32 v[16:17], s[8:9], v[14:15]
	s_cbranch_scc1 .LBB126_2522
; %bb.2516:
	s_and_b32 s14, 0xffff, s3
	s_mov_b32 s21, 0
	s_cmp_gt_i32 s14, 25
	s_cbranch_scc0 .LBB126_2523
; %bb.2517:
	s_cmp_gt_i32 s14, 28
	s_cbranch_scc0 .LBB126_2524
; %bb.2518:
	;; [unrolled: 3-line block ×4, first 2 shown]
	s_cmp_eq_u32 s14, 46
	s_mov_b32 s23, 0
	s_cbranch_scc0 .LBB126_2528
; %bb.2521:
	global_load_b32 v8, v[16:17], off
	s_mov_b32 s20, 0
	s_mov_b32 s22, -1
	s_wait_loadcnt 0x0
	v_lshlrev_b32_e32 v8, 16, v8
	s_delay_alu instid0(VALU_DEP_1) | instskip(NEXT) | instid1(VALU_DEP_1)
	v_trunc_f32_e32 v8, v8
	v_mul_f32_e64 v9, 0x2f800000, |v8|
	s_delay_alu instid0(VALU_DEP_1) | instskip(NEXT) | instid1(VALU_DEP_1)
	v_floor_f32_e32 v9, v9
	v_fma_f32 v11, 0xcf800000, v9, |v8|
	v_ashrrev_i32_e32 v8, 31, v8
	v_cvt_u32_f32_e32 v13, v9
	s_delay_alu instid0(VALU_DEP_3) | instskip(NEXT) | instid1(VALU_DEP_2)
	v_cvt_u32_f32_e32 v11, v11
	v_dual_mov_b32 v9, v8 :: v_dual_bitop2_b32 v19, v13, v8 bitop3:0x14
	s_delay_alu instid0(VALU_DEP_2) | instskip(NEXT) | instid1(VALU_DEP_1)
	v_xor_b32_e32 v18, v11, v8
	v_sub_nc_u64_e32 v[8:9], v[18:19], v[8:9]
	s_branch .LBB126_2530
.LBB126_2522:
	s_mov_b32 s14, -1
	s_mov_b32 s22, 0
                                        ; implicit-def: $vgpr8_vgpr9
	s_branch .LBB126_2592
.LBB126_2523:
	s_mov_b32 s23, -1
	s_mov_b32 s22, 0
	s_mov_b32 s20, 0
                                        ; implicit-def: $vgpr8_vgpr9
	s_branch .LBB126_2557
.LBB126_2524:
	s_mov_b32 s23, -1
	s_mov_b32 s22, 0
	s_mov_b32 s20, 0
                                        ; implicit-def: $vgpr8_vgpr9
	s_branch .LBB126_2540
.LBB126_2525:
	s_mov_b32 s23, -1
	s_mov_b32 s22, 0
	s_mov_b32 s20, 0
                                        ; implicit-def: $vgpr8_vgpr9
	s_branch .LBB126_2535
.LBB126_2526:
	s_or_b32 s16, s16, exec_lo
	s_trap 2
	s_cbranch_execz .LBB126_2463
	s_branch .LBB126_2464
.LBB126_2527:
	s_mov_b32 s23, -1
	s_mov_b32 s22, 0
	s_mov_b32 s20, 0
	s_branch .LBB126_2529
.LBB126_2528:
	s_mov_b32 s20, -1
	s_mov_b32 s22, 0
.LBB126_2529:
                                        ; implicit-def: $vgpr8_vgpr9
.LBB126_2530:
	s_and_b32 vcc_lo, exec_lo, s23
	s_cbranch_vccz .LBB126_2534
; %bb.2531:
	s_cmp_eq_u32 s14, 44
	s_cbranch_scc0 .LBB126_2533
; %bb.2532:
	global_load_u8 v11, v[16:17], off
	s_mov_b32 s20, 0
	s_mov_b32 s22, -1
	s_wait_loadcnt 0x0
	v_cmp_ne_u32_e32 vcc_lo, 0, v11
	v_lshlrev_b32_e32 v8, 23, v11
	s_delay_alu instid0(VALU_DEP_1) | instskip(NEXT) | instid1(VALU_DEP_1)
	v_trunc_f32_e32 v8, v8
	v_mul_f32_e64 v9, 0x2f800000, |v8|
	s_delay_alu instid0(VALU_DEP_1) | instskip(NEXT) | instid1(VALU_DEP_1)
	v_floor_f32_e32 v9, v9
	v_fma_f32 v13, 0xcf800000, v9, |v8|
	v_ashrrev_i32_e32 v8, 31, v8
	v_cvt_u32_f32_e32 v15, v9
	s_delay_alu instid0(VALU_DEP_3) | instskip(NEXT) | instid1(VALU_DEP_2)
	v_cvt_u32_f32_e32 v13, v13
	v_dual_mov_b32 v9, v8 :: v_dual_bitop2_b32 v19, v15, v8 bitop3:0x14
	s_delay_alu instid0(VALU_DEP_2) | instskip(NEXT) | instid1(VALU_DEP_1)
	v_xor_b32_e32 v18, v13, v8
	v_sub_nc_u64_e32 v[8:9], v[18:19], v[8:9]
	s_delay_alu instid0(VALU_DEP_1)
	v_dual_cndmask_b32 v9, 0, v9 :: v_dual_cndmask_b32 v8, 0, v8
	s_branch .LBB126_2534
.LBB126_2533:
	s_mov_b32 s20, -1
                                        ; implicit-def: $vgpr8_vgpr9
.LBB126_2534:
	s_mov_b32 s23, 0
.LBB126_2535:
	s_delay_alu instid0(SALU_CYCLE_1)
	s_and_b32 vcc_lo, exec_lo, s23
	s_cbranch_vccz .LBB126_2539
; %bb.2536:
	s_cmp_eq_u32 s14, 29
	s_cbranch_scc0 .LBB126_2538
; %bb.2537:
	global_load_b64 v[8:9], v[16:17], off
	s_mov_b32 s20, 0
	s_mov_b32 s22, -1
	s_branch .LBB126_2539
.LBB126_2538:
	s_mov_b32 s20, -1
                                        ; implicit-def: $vgpr8_vgpr9
.LBB126_2539:
	s_mov_b32 s23, 0
.LBB126_2540:
	s_delay_alu instid0(SALU_CYCLE_1)
	s_and_b32 vcc_lo, exec_lo, s23
	s_cbranch_vccz .LBB126_2556
; %bb.2541:
	s_cmp_lt_i32 s14, 27
	s_cbranch_scc1 .LBB126_2544
; %bb.2542:
	s_cmp_gt_i32 s14, 27
	s_cbranch_scc0 .LBB126_2545
; %bb.2543:
	s_wait_loadcnt 0x0
	global_load_b32 v8, v[16:17], off
	v_mov_b32_e32 v9, 0
	s_mov_b32 s22, 0
	s_branch .LBB126_2546
.LBB126_2544:
	s_mov_b32 s22, -1
                                        ; implicit-def: $vgpr8_vgpr9
	s_branch .LBB126_2549
.LBB126_2545:
	s_mov_b32 s22, -1
                                        ; implicit-def: $vgpr8_vgpr9
.LBB126_2546:
	s_delay_alu instid0(SALU_CYCLE_1)
	s_and_not1_b32 vcc_lo, exec_lo, s22
	s_cbranch_vccnz .LBB126_2548
; %bb.2547:
	s_wait_loadcnt 0x0
	global_load_u16 v8, v[16:17], off
	s_mov_b32 s22, 0
	s_delay_alu instid0(SALU_CYCLE_1)
	v_mov_b32_e32 v9, s22
	s_wait_loadcnt 0x0
	v_and_b32_e32 v8, 0xffff, v8
.LBB126_2548:
	s_mov_b32 s22, 0
.LBB126_2549:
	s_delay_alu instid0(SALU_CYCLE_1)
	s_and_not1_b32 vcc_lo, exec_lo, s22
	s_cbranch_vccnz .LBB126_2555
; %bb.2550:
	global_load_u8 v11, v[16:17], off
	s_mov_b32 s23, 0
	s_mov_b32 s22, exec_lo
	s_wait_loadcnt 0x0
	v_cmpx_lt_i16_e32 0x7f, v11
	s_xor_b32 s22, exec_lo, s22
	s_cbranch_execz .LBB126_2567
; %bb.2551:
	v_cmp_ne_u16_e32 vcc_lo, 0x80, v11
	s_and_b32 s23, vcc_lo, exec_lo
	s_and_not1_saveexec_b32 s22, s22
	s_cbranch_execnz .LBB126_2568
.LBB126_2552:
	s_or_b32 exec_lo, exec_lo, s22
	v_mov_b64_e32 v[8:9], 0
	s_and_saveexec_b32 s22, s23
	s_cbranch_execz .LBB126_2554
.LBB126_2553:
	v_and_b32_e32 v8, 0xffff, v11
	s_delay_alu instid0(VALU_DEP_1) | instskip(SKIP_1) | instid1(VALU_DEP_2)
	v_and_b32_e32 v9, 7, v8
	v_bfe_u32 v18, v8, 3, 4
	v_clz_i32_u32_e32 v13, v9
	s_delay_alu instid0(VALU_DEP_2) | instskip(NEXT) | instid1(VALU_DEP_2)
	v_cmp_eq_u32_e32 vcc_lo, 0, v18
	v_min_u32_e32 v13, 32, v13
	s_delay_alu instid0(VALU_DEP_1) | instskip(NEXT) | instid1(VALU_DEP_1)
	v_subrev_nc_u32_e32 v15, 28, v13
	v_dual_lshlrev_b32 v8, v15, v8 :: v_dual_sub_nc_u32 v13, 29, v13
	s_delay_alu instid0(VALU_DEP_1) | instskip(NEXT) | instid1(VALU_DEP_1)
	v_dual_lshlrev_b32 v11, 24, v11 :: v_dual_bitop2_b32 v8, 7, v8 bitop3:0x40
	v_dual_cndmask_b32 v13, v18, v13 :: v_dual_cndmask_b32 v8, v9, v8
	s_delay_alu instid0(VALU_DEP_2) | instskip(NEXT) | instid1(VALU_DEP_2)
	v_and_b32_e32 v9, 0x80000000, v11
	v_lshl_add_u32 v11, v13, 23, 0x3b800000
	s_delay_alu instid0(VALU_DEP_3) | instskip(NEXT) | instid1(VALU_DEP_1)
	v_lshlrev_b32_e32 v8, 20, v8
	v_or3_b32 v8, v9, v11, v8
	s_delay_alu instid0(VALU_DEP_1) | instskip(NEXT) | instid1(VALU_DEP_1)
	v_trunc_f32_e32 v8, v8
	v_mul_f32_e64 v9, 0x2f800000, |v8|
	s_delay_alu instid0(VALU_DEP_1) | instskip(NEXT) | instid1(VALU_DEP_1)
	v_floor_f32_e32 v9, v9
	v_fma_f32 v11, 0xcf800000, v9, |v8|
	v_ashrrev_i32_e32 v8, 31, v8
	v_cvt_u32_f32_e32 v13, v9
	s_delay_alu instid0(VALU_DEP_3) | instskip(NEXT) | instid1(VALU_DEP_2)
	v_cvt_u32_f32_e32 v11, v11
	v_dual_mov_b32 v9, v8 :: v_dual_bitop2_b32 v19, v13, v8 bitop3:0x14
	s_delay_alu instid0(VALU_DEP_2) | instskip(NEXT) | instid1(VALU_DEP_1)
	v_xor_b32_e32 v18, v11, v8
	v_sub_nc_u64_e32 v[8:9], v[18:19], v[8:9]
.LBB126_2554:
	s_or_b32 exec_lo, exec_lo, s22
.LBB126_2555:
	s_mov_b32 s22, -1
.LBB126_2556:
	s_mov_b32 s23, 0
.LBB126_2557:
	s_delay_alu instid0(SALU_CYCLE_1)
	s_and_b32 vcc_lo, exec_lo, s23
	s_cbranch_vccz .LBB126_2588
; %bb.2558:
	s_cmp_gt_i32 s14, 22
	s_cbranch_scc0 .LBB126_2566
; %bb.2559:
	s_cmp_lt_i32 s14, 24
	s_cbranch_scc1 .LBB126_2569
; %bb.2560:
	s_cmp_gt_i32 s14, 24
	s_cbranch_scc0 .LBB126_2570
; %bb.2561:
	global_load_u8 v11, v[16:17], off
	s_mov_b32 s22, 0
	s_mov_b32 s21, exec_lo
	s_wait_loadcnt 0x0
	v_cmpx_lt_i16_e32 0x7f, v11
	s_xor_b32 s21, exec_lo, s21
	s_cbranch_execz .LBB126_2582
; %bb.2562:
	v_cmp_ne_u16_e32 vcc_lo, 0x80, v11
	s_and_b32 s22, vcc_lo, exec_lo
	s_and_not1_saveexec_b32 s21, s21
	s_cbranch_execnz .LBB126_2583
.LBB126_2563:
	s_or_b32 exec_lo, exec_lo, s21
	v_mov_b64_e32 v[8:9], 0
	s_and_saveexec_b32 s21, s22
	s_cbranch_execz .LBB126_2565
.LBB126_2564:
	v_and_b32_e32 v8, 0xffff, v11
	s_delay_alu instid0(VALU_DEP_1) | instskip(SKIP_1) | instid1(VALU_DEP_2)
	v_and_b32_e32 v9, 3, v8
	v_bfe_u32 v18, v8, 2, 5
	v_clz_i32_u32_e32 v13, v9
	s_delay_alu instid0(VALU_DEP_2) | instskip(NEXT) | instid1(VALU_DEP_2)
	v_cmp_eq_u32_e32 vcc_lo, 0, v18
	v_min_u32_e32 v13, 32, v13
	s_delay_alu instid0(VALU_DEP_1) | instskip(NEXT) | instid1(VALU_DEP_1)
	v_subrev_nc_u32_e32 v15, 29, v13
	v_dual_lshlrev_b32 v8, v15, v8 :: v_dual_sub_nc_u32 v13, 30, v13
	s_delay_alu instid0(VALU_DEP_1) | instskip(NEXT) | instid1(VALU_DEP_1)
	v_dual_lshlrev_b32 v11, 24, v11 :: v_dual_bitop2_b32 v8, 3, v8 bitop3:0x40
	v_dual_cndmask_b32 v13, v18, v13 :: v_dual_cndmask_b32 v8, v9, v8
	s_delay_alu instid0(VALU_DEP_2) | instskip(NEXT) | instid1(VALU_DEP_2)
	v_and_b32_e32 v9, 0x80000000, v11
	v_lshl_add_u32 v11, v13, 23, 0x37800000
	s_delay_alu instid0(VALU_DEP_3) | instskip(NEXT) | instid1(VALU_DEP_1)
	v_lshlrev_b32_e32 v8, 21, v8
	v_or3_b32 v8, v9, v11, v8
	s_delay_alu instid0(VALU_DEP_1) | instskip(NEXT) | instid1(VALU_DEP_1)
	v_trunc_f32_e32 v8, v8
	v_mul_f32_e64 v9, 0x2f800000, |v8|
	s_delay_alu instid0(VALU_DEP_1) | instskip(NEXT) | instid1(VALU_DEP_1)
	v_floor_f32_e32 v9, v9
	v_fma_f32 v11, 0xcf800000, v9, |v8|
	v_ashrrev_i32_e32 v8, 31, v8
	v_cvt_u32_f32_e32 v13, v9
	s_delay_alu instid0(VALU_DEP_3) | instskip(NEXT) | instid1(VALU_DEP_2)
	v_cvt_u32_f32_e32 v11, v11
	v_dual_mov_b32 v9, v8 :: v_dual_bitop2_b32 v19, v13, v8 bitop3:0x14
	s_delay_alu instid0(VALU_DEP_2) | instskip(NEXT) | instid1(VALU_DEP_1)
	v_xor_b32_e32 v18, v11, v8
	v_sub_nc_u64_e32 v[8:9], v[18:19], v[8:9]
.LBB126_2565:
	s_or_b32 exec_lo, exec_lo, s21
	s_mov_b32 s21, 0
	s_branch .LBB126_2571
.LBB126_2566:
	s_mov_b32 s21, -1
                                        ; implicit-def: $vgpr8_vgpr9
	s_branch .LBB126_2577
.LBB126_2567:
	s_and_not1_saveexec_b32 s22, s22
	s_cbranch_execz .LBB126_2552
.LBB126_2568:
	v_cmp_ne_u16_e32 vcc_lo, 0, v11
	s_and_not1_b32 s23, s23, exec_lo
	s_and_b32 s24, vcc_lo, exec_lo
	s_delay_alu instid0(SALU_CYCLE_1)
	s_or_b32 s23, s23, s24
	s_or_b32 exec_lo, exec_lo, s22
	v_mov_b64_e32 v[8:9], 0
	s_and_saveexec_b32 s22, s23
	s_cbranch_execnz .LBB126_2553
	s_branch .LBB126_2554
.LBB126_2569:
	s_mov_b32 s21, -1
                                        ; implicit-def: $vgpr8_vgpr9
	s_branch .LBB126_2574
.LBB126_2570:
	s_mov_b32 s21, -1
                                        ; implicit-def: $vgpr8_vgpr9
.LBB126_2571:
	s_delay_alu instid0(SALU_CYCLE_1)
	s_and_b32 vcc_lo, exec_lo, s21
	s_cbranch_vccz .LBB126_2573
; %bb.2572:
	s_wait_loadcnt 0x0
	global_load_u8 v8, v[16:17], off
	s_wait_loadcnt 0x0
	v_lshlrev_b32_e32 v8, 24, v8
	s_delay_alu instid0(VALU_DEP_1) | instskip(NEXT) | instid1(VALU_DEP_1)
	v_and_b32_e32 v9, 0x7f000000, v8
	v_clz_i32_u32_e32 v11, v9
	v_add_nc_u32_e32 v15, 0x1000000, v9
	v_cmp_ne_u32_e32 vcc_lo, 0, v9
	s_delay_alu instid0(VALU_DEP_3) | instskip(NEXT) | instid1(VALU_DEP_1)
	v_min_u32_e32 v11, 32, v11
	v_sub_nc_u32_e64 v11, v11, 4 clamp
	s_delay_alu instid0(VALU_DEP_1) | instskip(NEXT) | instid1(VALU_DEP_1)
	v_dual_lshlrev_b32 v13, v11, v9 :: v_dual_lshlrev_b32 v11, 23, v11
	v_lshrrev_b32_e32 v13, 4, v13
	s_delay_alu instid0(VALU_DEP_1) | instskip(SKIP_1) | instid1(VALU_DEP_2)
	v_sub_nc_u32_e32 v11, v13, v11
	v_ashrrev_i32_e32 v13, 8, v15
	v_add_nc_u32_e32 v11, 0x3c000000, v11
	s_delay_alu instid0(VALU_DEP_1) | instskip(NEXT) | instid1(VALU_DEP_1)
	v_and_or_b32 v11, 0x7f800000, v13, v11
	v_cndmask_b32_e32 v9, 0, v11, vcc_lo
	s_delay_alu instid0(VALU_DEP_1) | instskip(NEXT) | instid1(VALU_DEP_1)
	v_and_or_b32 v8, 0x80000000, v8, v9
	v_trunc_f32_e32 v8, v8
	s_delay_alu instid0(VALU_DEP_1) | instskip(NEXT) | instid1(VALU_DEP_1)
	v_mul_f32_e64 v9, 0x2f800000, |v8|
	v_floor_f32_e32 v9, v9
	s_delay_alu instid0(VALU_DEP_1) | instskip(SKIP_2) | instid1(VALU_DEP_3)
	v_fma_f32 v11, 0xcf800000, v9, |v8|
	v_ashrrev_i32_e32 v8, 31, v8
	v_cvt_u32_f32_e32 v13, v9
	v_cvt_u32_f32_e32 v11, v11
	s_delay_alu instid0(VALU_DEP_2) | instskip(NEXT) | instid1(VALU_DEP_2)
	v_dual_mov_b32 v9, v8 :: v_dual_bitop2_b32 v19, v13, v8 bitop3:0x14
	v_xor_b32_e32 v18, v11, v8
	s_delay_alu instid0(VALU_DEP_1)
	v_sub_nc_u64_e32 v[8:9], v[18:19], v[8:9]
.LBB126_2573:
	s_mov_b32 s21, 0
.LBB126_2574:
	s_delay_alu instid0(SALU_CYCLE_1)
	s_and_not1_b32 vcc_lo, exec_lo, s21
	s_cbranch_vccnz .LBB126_2576
; %bb.2575:
	s_wait_loadcnt 0x0
	global_load_u8 v8, v[16:17], off
	s_wait_loadcnt 0x0
	v_lshlrev_b32_e32 v9, 25, v8
	v_lshlrev_b16 v8, 8, v8
	s_delay_alu instid0(VALU_DEP_1) | instskip(SKIP_1) | instid1(VALU_DEP_2)
	v_and_or_b32 v13, 0x7f00, v8, 0.5
	v_bfe_i32 v8, v8, 0, 16
	v_add_f32_e32 v13, -0.5, v13
	v_lshrrev_b32_e32 v11, 4, v9
	v_cmp_gt_u32_e32 vcc_lo, 0x8000000, v9
	s_delay_alu instid0(VALU_DEP_2) | instskip(NEXT) | instid1(VALU_DEP_1)
	v_or_b32_e32 v11, 0x70000000, v11
	v_mul_f32_e32 v11, 0x7800000, v11
	s_delay_alu instid0(VALU_DEP_1) | instskip(NEXT) | instid1(VALU_DEP_1)
	v_cndmask_b32_e32 v9, v11, v13, vcc_lo
	v_and_or_b32 v8, 0x80000000, v8, v9
	s_delay_alu instid0(VALU_DEP_1) | instskip(NEXT) | instid1(VALU_DEP_1)
	v_trunc_f32_e32 v8, v8
	v_mul_f32_e64 v9, 0x2f800000, |v8|
	s_delay_alu instid0(VALU_DEP_1) | instskip(NEXT) | instid1(VALU_DEP_1)
	v_floor_f32_e32 v9, v9
	v_fma_f32 v11, 0xcf800000, v9, |v8|
	v_ashrrev_i32_e32 v8, 31, v8
	v_cvt_u32_f32_e32 v13, v9
	s_delay_alu instid0(VALU_DEP_3) | instskip(NEXT) | instid1(VALU_DEP_2)
	v_cvt_u32_f32_e32 v11, v11
	v_dual_mov_b32 v9, v8 :: v_dual_bitop2_b32 v19, v13, v8 bitop3:0x14
	s_delay_alu instid0(VALU_DEP_2) | instskip(NEXT) | instid1(VALU_DEP_1)
	v_xor_b32_e32 v18, v11, v8
	v_sub_nc_u64_e32 v[8:9], v[18:19], v[8:9]
.LBB126_2576:
	s_mov_b32 s21, 0
	s_mov_b32 s22, -1
.LBB126_2577:
	s_and_not1_b32 vcc_lo, exec_lo, s21
	s_mov_b32 s21, 0
	s_cbranch_vccnz .LBB126_2588
; %bb.2578:
	s_cmp_gt_i32 s14, 14
	s_cbranch_scc0 .LBB126_2581
; %bb.2579:
	s_cmp_eq_u32 s14, 15
	s_cbranch_scc0 .LBB126_2584
; %bb.2580:
	s_wait_loadcnt 0x0
	global_load_u16 v8, v[16:17], off
	s_mov_b32 s20, 0
	s_mov_b32 s22, -1
	s_wait_loadcnt 0x0
	v_lshlrev_b32_e32 v8, 16, v8
	s_delay_alu instid0(VALU_DEP_1) | instskip(NEXT) | instid1(VALU_DEP_1)
	v_trunc_f32_e32 v8, v8
	v_mul_f32_e64 v9, 0x2f800000, |v8|
	s_delay_alu instid0(VALU_DEP_1) | instskip(NEXT) | instid1(VALU_DEP_1)
	v_floor_f32_e32 v9, v9
	v_fma_f32 v11, 0xcf800000, v9, |v8|
	v_ashrrev_i32_e32 v8, 31, v8
	v_cvt_u32_f32_e32 v13, v9
	s_delay_alu instid0(VALU_DEP_3) | instskip(NEXT) | instid1(VALU_DEP_2)
	v_cvt_u32_f32_e32 v11, v11
	v_dual_mov_b32 v9, v8 :: v_dual_bitop2_b32 v19, v13, v8 bitop3:0x14
	s_delay_alu instid0(VALU_DEP_2) | instskip(NEXT) | instid1(VALU_DEP_1)
	v_xor_b32_e32 v18, v11, v8
	v_sub_nc_u64_e32 v[8:9], v[18:19], v[8:9]
	s_branch .LBB126_2586
.LBB126_2581:
	s_mov_b32 s21, -1
	s_branch .LBB126_2585
.LBB126_2582:
	s_and_not1_saveexec_b32 s21, s21
	s_cbranch_execz .LBB126_2563
.LBB126_2583:
	v_cmp_ne_u16_e32 vcc_lo, 0, v11
	s_and_not1_b32 s22, s22, exec_lo
	s_and_b32 s23, vcc_lo, exec_lo
	s_delay_alu instid0(SALU_CYCLE_1)
	s_or_b32 s22, s22, s23
	s_or_b32 exec_lo, exec_lo, s21
	v_mov_b64_e32 v[8:9], 0
	s_and_saveexec_b32 s21, s22
	s_cbranch_execnz .LBB126_2564
	s_branch .LBB126_2565
.LBB126_2584:
	s_mov_b32 s20, -1
.LBB126_2585:
                                        ; implicit-def: $vgpr8_vgpr9
.LBB126_2586:
	s_and_b32 vcc_lo, exec_lo, s21
	s_mov_b32 s21, 0
	s_cbranch_vccz .LBB126_2588
; %bb.2587:
	s_cmp_lg_u32 s14, 11
	s_mov_b32 s21, -1
	s_cselect_b32 s20, -1, 0
.LBB126_2588:
	s_delay_alu instid0(SALU_CYCLE_1)
	s_and_b32 vcc_lo, exec_lo, s20
	s_cbranch_vccnz .LBB126_2653
; %bb.2589:
	s_and_not1_b32 vcc_lo, exec_lo, s21
	s_cbranch_vccnz .LBB126_2591
.LBB126_2590:
	s_wait_loadcnt 0x0
	global_load_u8 v8, v[16:17], off
	s_mov_b32 s14, 0
	s_mov_b32 s22, -1
	v_mov_b32_e32 v9, s14
	s_wait_loadcnt 0x0
	v_cmp_ne_u16_e32 vcc_lo, 0, v8
	v_cndmask_b32_e64 v8, 0, 1, vcc_lo
.LBB126_2591:
	s_mov_b32 s14, 0
.LBB126_2592:
	s_delay_alu instid0(SALU_CYCLE_1)
	s_and_b32 vcc_lo, exec_lo, s14
	s_cbranch_vccz .LBB126_2641
; %bb.2593:
	s_and_b32 s14, 0xffff, s3
	s_delay_alu instid0(SALU_CYCLE_1)
	s_cmp_lt_i32 s14, 5
	s_cbranch_scc1 .LBB126_2598
; %bb.2594:
	s_cmp_lt_i32 s14, 8
	s_cbranch_scc1 .LBB126_2599
; %bb.2595:
	;; [unrolled: 3-line block ×3, first 2 shown]
	s_cmp_gt_i32 s14, 9
	s_cbranch_scc0 .LBB126_2601
; %bb.2597:
	s_wait_loadcnt 0x0
	global_load_b64 v[8:9], v[16:17], off
	s_mov_b32 s20, 0
	s_wait_loadcnt 0x0
	v_trunc_f64_e32 v[8:9], v[8:9]
	s_delay_alu instid0(VALU_DEP_1) | instskip(NEXT) | instid1(VALU_DEP_1)
	v_ldexp_f64 v[18:19], v[8:9], 0xffffffe0
	v_floor_f64_e32 v[18:19], v[18:19]
	s_delay_alu instid0(VALU_DEP_1) | instskip(SKIP_1) | instid1(VALU_DEP_2)
	v_fmamk_f64 v[20:21], v[18:19], 0xc1f00000, v[8:9]
	v_cvt_i32_f64_e32 v9, v[18:19]
	v_cvt_u32_f64_e32 v8, v[20:21]
	s_branch .LBB126_2602
.LBB126_2598:
	s_mov_b32 s20, -1
                                        ; implicit-def: $vgpr8_vgpr9
	s_branch .LBB126_2620
.LBB126_2599:
	s_mov_b32 s20, -1
                                        ; implicit-def: $vgpr8_vgpr9
	s_branch .LBB126_2608
.LBB126_2600:
	s_mov_b32 s20, -1
                                        ; implicit-def: $vgpr8_vgpr9
	s_branch .LBB126_2605
.LBB126_2601:
	s_mov_b32 s20, -1
                                        ; implicit-def: $vgpr8_vgpr9
.LBB126_2602:
	s_delay_alu instid0(SALU_CYCLE_1)
	s_and_not1_b32 vcc_lo, exec_lo, s20
	s_cbranch_vccnz .LBB126_2604
; %bb.2603:
	s_wait_loadcnt 0x0
	global_load_b32 v8, v[16:17], off
	s_wait_loadcnt 0x0
	v_trunc_f32_e32 v8, v8
	s_delay_alu instid0(VALU_DEP_1) | instskip(NEXT) | instid1(VALU_DEP_1)
	v_mul_f32_e64 v9, 0x2f800000, |v8|
	v_floor_f32_e32 v9, v9
	s_delay_alu instid0(VALU_DEP_1) | instskip(SKIP_2) | instid1(VALU_DEP_3)
	v_fma_f32 v11, 0xcf800000, v9, |v8|
	v_ashrrev_i32_e32 v8, 31, v8
	v_cvt_u32_f32_e32 v13, v9
	v_cvt_u32_f32_e32 v11, v11
	s_delay_alu instid0(VALU_DEP_2) | instskip(NEXT) | instid1(VALU_DEP_2)
	v_dual_mov_b32 v9, v8 :: v_dual_bitop2_b32 v19, v13, v8 bitop3:0x14
	v_xor_b32_e32 v18, v11, v8
	s_delay_alu instid0(VALU_DEP_1)
	v_sub_nc_u64_e32 v[8:9], v[18:19], v[8:9]
.LBB126_2604:
	s_mov_b32 s20, 0
.LBB126_2605:
	s_delay_alu instid0(SALU_CYCLE_1)
	s_and_not1_b32 vcc_lo, exec_lo, s20
	s_cbranch_vccnz .LBB126_2607
; %bb.2606:
	s_wait_loadcnt 0x0
	global_load_b32 v8, v[16:17], off
	s_wait_loadcnt 0x0
	v_cvt_f32_f16_e32 v8, v8
	s_delay_alu instid0(VALU_DEP_1) | instskip(NEXT) | instid1(VALU_DEP_1)
	v_cvt_i32_f32_e32 v8, v8
	v_ashrrev_i32_e32 v9, 31, v8
.LBB126_2607:
	s_mov_b32 s20, 0
.LBB126_2608:
	s_delay_alu instid0(SALU_CYCLE_1)
	s_and_not1_b32 vcc_lo, exec_lo, s20
	s_cbranch_vccnz .LBB126_2619
; %bb.2609:
	s_cmp_lt_i32 s14, 6
	s_cbranch_scc1 .LBB126_2612
; %bb.2610:
	s_cmp_gt_i32 s14, 6
	s_cbranch_scc0 .LBB126_2613
; %bb.2611:
	s_wait_loadcnt 0x0
	global_load_b64 v[8:9], v[16:17], off
	s_mov_b32 s20, 0
	s_wait_loadcnt 0x0
	v_trunc_f64_e32 v[8:9], v[8:9]
	s_delay_alu instid0(VALU_DEP_1) | instskip(NEXT) | instid1(VALU_DEP_1)
	v_ldexp_f64 v[18:19], v[8:9], 0xffffffe0
	v_floor_f64_e32 v[18:19], v[18:19]
	s_delay_alu instid0(VALU_DEP_1) | instskip(SKIP_1) | instid1(VALU_DEP_2)
	v_fmamk_f64 v[20:21], v[18:19], 0xc1f00000, v[8:9]
	v_cvt_i32_f64_e32 v9, v[18:19]
	v_cvt_u32_f64_e32 v8, v[20:21]
	s_branch .LBB126_2614
.LBB126_2612:
	s_mov_b32 s20, -1
                                        ; implicit-def: $vgpr8_vgpr9
	s_branch .LBB126_2617
.LBB126_2613:
	s_mov_b32 s20, -1
                                        ; implicit-def: $vgpr8_vgpr9
.LBB126_2614:
	s_delay_alu instid0(SALU_CYCLE_1)
	s_and_not1_b32 vcc_lo, exec_lo, s20
	s_cbranch_vccnz .LBB126_2616
; %bb.2615:
	s_wait_loadcnt 0x0
	global_load_b32 v8, v[16:17], off
	s_wait_loadcnt 0x0
	v_trunc_f32_e32 v8, v8
	s_delay_alu instid0(VALU_DEP_1) | instskip(NEXT) | instid1(VALU_DEP_1)
	v_mul_f32_e64 v9, 0x2f800000, |v8|
	v_floor_f32_e32 v9, v9
	s_delay_alu instid0(VALU_DEP_1) | instskip(SKIP_2) | instid1(VALU_DEP_3)
	v_fma_f32 v11, 0xcf800000, v9, |v8|
	v_ashrrev_i32_e32 v8, 31, v8
	v_cvt_u32_f32_e32 v13, v9
	v_cvt_u32_f32_e32 v11, v11
	s_delay_alu instid0(VALU_DEP_2) | instskip(NEXT) | instid1(VALU_DEP_2)
	v_dual_mov_b32 v9, v8 :: v_dual_bitop2_b32 v19, v13, v8 bitop3:0x14
	v_xor_b32_e32 v18, v11, v8
	s_delay_alu instid0(VALU_DEP_1)
	v_sub_nc_u64_e32 v[8:9], v[18:19], v[8:9]
.LBB126_2616:
	s_mov_b32 s20, 0
.LBB126_2617:
	s_delay_alu instid0(SALU_CYCLE_1)
	s_and_not1_b32 vcc_lo, exec_lo, s20
	s_cbranch_vccnz .LBB126_2619
; %bb.2618:
	s_wait_loadcnt 0x0
	global_load_u16 v8, v[16:17], off
	s_wait_loadcnt 0x0
	v_cvt_f32_f16_e32 v8, v8
	s_delay_alu instid0(VALU_DEP_1) | instskip(NEXT) | instid1(VALU_DEP_1)
	v_cvt_i32_f32_e32 v8, v8
	v_ashrrev_i32_e32 v9, 31, v8
.LBB126_2619:
	s_mov_b32 s20, 0
.LBB126_2620:
	s_delay_alu instid0(SALU_CYCLE_1)
	s_and_not1_b32 vcc_lo, exec_lo, s20
	s_cbranch_vccnz .LBB126_2640
; %bb.2621:
	s_cmp_lt_i32 s14, 2
	s_cbranch_scc1 .LBB126_2625
; %bb.2622:
	s_cmp_lt_i32 s14, 3
	s_cbranch_scc1 .LBB126_2626
; %bb.2623:
	s_cmp_gt_i32 s14, 3
	s_cbranch_scc0 .LBB126_2627
; %bb.2624:
	s_wait_loadcnt 0x0
	global_load_b64 v[8:9], v[16:17], off
	s_mov_b32 s20, 0
	s_branch .LBB126_2628
.LBB126_2625:
	s_mov_b32 s20, -1
                                        ; implicit-def: $vgpr8_vgpr9
	s_branch .LBB126_2634
.LBB126_2626:
	s_mov_b32 s20, -1
                                        ; implicit-def: $vgpr8_vgpr9
	s_branch .LBB126_2631
.LBB126_2627:
	s_mov_b32 s20, -1
                                        ; implicit-def: $vgpr8_vgpr9
.LBB126_2628:
	s_delay_alu instid0(SALU_CYCLE_1)
	s_and_not1_b32 vcc_lo, exec_lo, s20
	s_cbranch_vccnz .LBB126_2630
; %bb.2629:
	s_wait_loadcnt 0x0
	global_load_b32 v8, v[16:17], off
	s_wait_loadcnt 0x0
	v_ashrrev_i32_e32 v9, 31, v8
.LBB126_2630:
	s_mov_b32 s20, 0
.LBB126_2631:
	s_delay_alu instid0(SALU_CYCLE_1)
	s_and_not1_b32 vcc_lo, exec_lo, s20
	s_cbranch_vccnz .LBB126_2633
; %bb.2632:
	s_wait_loadcnt 0x0
	global_load_u16 v8, v[16:17], off
	s_wait_loadcnt 0x0
	v_bfe_i32 v8, v8, 0, 16
	s_delay_alu instid0(VALU_DEP_1)
	v_ashrrev_i32_e32 v9, 31, v8
.LBB126_2633:
	s_mov_b32 s20, 0
.LBB126_2634:
	s_delay_alu instid0(SALU_CYCLE_1)
	s_and_not1_b32 vcc_lo, exec_lo, s20
	s_cbranch_vccnz .LBB126_2640
; %bb.2635:
	s_cmp_gt_i32 s14, 0
	s_mov_b32 s14, 0
	s_cbranch_scc0 .LBB126_2637
; %bb.2636:
	s_wait_loadcnt 0x0
	global_load_i8 v8, v[16:17], off
	s_wait_loadcnt 0x0
	v_bfe_i32 v8, v8, 0, 16
	s_delay_alu instid0(VALU_DEP_1)
	v_ashrrev_i32_e32 v9, 31, v8
	s_branch .LBB126_2638
.LBB126_2637:
	s_mov_b32 s14, -1
                                        ; implicit-def: $vgpr8_vgpr9
.LBB126_2638:
	s_delay_alu instid0(SALU_CYCLE_1)
	s_and_not1_b32 vcc_lo, exec_lo, s14
	s_cbranch_vccnz .LBB126_2640
; %bb.2639:
	s_wait_loadcnt 0x0
	global_load_u8 v8, v[16:17], off
	s_mov_b32 s14, 0
	s_delay_alu instid0(SALU_CYCLE_1)
	v_mov_b32_e32 v9, s14
	s_wait_loadcnt 0x0
	v_and_b32_e32 v8, 0xffff, v8
.LBB126_2640:
	s_mov_b32 s22, -1
.LBB126_2641:
	s_delay_alu instid0(SALU_CYCLE_1)
	s_and_not1_b32 vcc_lo, exec_lo, s22
	s_cbranch_vccnz .LBB126_3968
; %bb.2642:
	s_lshl_b32 s14, s15, 7
	s_cmp_lt_i32 s0, 11
	s_wait_xcnt 0x0
	v_add_nc_u32_e32 v16, s14, v10
	s_delay_alu instid0(VALU_DEP_1) | instskip(NEXT) | instid1(VALU_DEP_1)
	v_ashrrev_i32_e32 v17, 31, v16
	v_add_nc_u64_e32 v[18:19], s[10:11], v[16:17]
	s_cbranch_scc1 .LBB126_2649
; %bb.2643:
	s_cmp_gt_i32 s0, 25
	s_mov_b32 s20, 0
	s_cbranch_scc0 .LBB126_2650
; %bb.2644:
	s_cmp_gt_i32 s0, 28
	s_cbranch_scc0 .LBB126_2651
; %bb.2645:
	s_cmp_gt_i32 s0, 43
	;; [unrolled: 3-line block ×3, first 2 shown]
	s_cbranch_scc0 .LBB126_2654
; %bb.2647:
	s_cmp_eq_u32 s0, 46
	s_mov_b32 s22, 0
	s_cbranch_scc0 .LBB126_2657
; %bb.2648:
	global_load_b32 v10, v[18:19], off
	s_mov_b32 s15, 0
	s_mov_b32 s21, -1
	s_wait_loadcnt 0x0
	v_lshlrev_b32_e32 v10, 16, v10
	s_delay_alu instid0(VALU_DEP_1) | instskip(NEXT) | instid1(VALU_DEP_1)
	v_trunc_f32_e32 v10, v10
	v_mul_f32_e64 v11, 0x2f800000, |v10|
	s_delay_alu instid0(VALU_DEP_1) | instskip(NEXT) | instid1(VALU_DEP_1)
	v_floor_f32_e32 v11, v11
	v_fma_f32 v13, 0xcf800000, v11, |v10|
	v_ashrrev_i32_e32 v10, 31, v10
	v_cvt_u32_f32_e32 v15, v11
	s_delay_alu instid0(VALU_DEP_3) | instskip(NEXT) | instid1(VALU_DEP_2)
	v_cvt_u32_f32_e32 v13, v13
	v_dual_mov_b32 v11, v10 :: v_dual_bitop2_b32 v21, v15, v10 bitop3:0x14
	s_delay_alu instid0(VALU_DEP_2) | instskip(NEXT) | instid1(VALU_DEP_1)
	v_xor_b32_e32 v20, v13, v10
	v_sub_nc_u64_e32 v[10:11], v[20:21], v[10:11]
	s_branch .LBB126_2659
.LBB126_2649:
	s_mov_b32 s15, -1
	s_mov_b32 s21, 0
                                        ; implicit-def: $vgpr10_vgpr11
	s_branch .LBB126_2721
.LBB126_2650:
	s_mov_b32 s22, -1
	s_mov_b32 s21, 0
	s_mov_b32 s15, 0
                                        ; implicit-def: $vgpr10_vgpr11
	s_branch .LBB126_2686
.LBB126_2651:
	s_mov_b32 s22, -1
	s_mov_b32 s21, 0
	s_mov_b32 s15, 0
                                        ; implicit-def: $vgpr10_vgpr11
	s_branch .LBB126_2669
.LBB126_2652:
	s_mov_b32 s22, -1
	s_mov_b32 s21, 0
	s_mov_b32 s15, 0
                                        ; implicit-def: $vgpr10_vgpr11
	s_branch .LBB126_2664
.LBB126_2653:
	s_or_b32 s16, s16, exec_lo
	s_trap 2
	s_cbranch_execz .LBB126_2590
	s_branch .LBB126_2591
.LBB126_2654:
	s_mov_b32 s22, -1
	s_mov_b32 s21, 0
	s_mov_b32 s15, 0
	s_branch .LBB126_2658
.LBB126_2655:
	s_and_not1_saveexec_b32 s39, s39
	s_cbranch_execz .LBB126_1428
.LBB126_2656:
	v_add_f32_e64 v5, 0x46000000, |v4|
	s_and_not1_b32 s38, s38, exec_lo
	s_delay_alu instid0(VALU_DEP_1) | instskip(NEXT) | instid1(VALU_DEP_1)
	v_and_b32_e32 v5, 0xff, v5
	v_cmp_ne_u32_e32 vcc_lo, 0, v5
	s_and_b32 s40, vcc_lo, exec_lo
	s_delay_alu instid0(SALU_CYCLE_1)
	s_or_b32 s38, s38, s40
	s_or_b32 exec_lo, exec_lo, s39
	v_mov_b32_e32 v6, 0
	s_and_saveexec_b32 s39, s38
	s_cbranch_execnz .LBB126_1429
	s_branch .LBB126_1430
.LBB126_2657:
	s_mov_b32 s15, -1
	s_mov_b32 s21, 0
.LBB126_2658:
                                        ; implicit-def: $vgpr10_vgpr11
.LBB126_2659:
	s_and_b32 vcc_lo, exec_lo, s22
	s_cbranch_vccz .LBB126_2663
; %bb.2660:
	s_cmp_eq_u32 s0, 44
	s_cbranch_scc0 .LBB126_2662
; %bb.2661:
	global_load_u8 v13, v[18:19], off
	s_mov_b32 s15, 0
	s_mov_b32 s21, -1
	s_wait_loadcnt 0x0
	v_cmp_ne_u32_e32 vcc_lo, 0, v13
	v_lshlrev_b32_e32 v10, 23, v13
	s_delay_alu instid0(VALU_DEP_1) | instskip(NEXT) | instid1(VALU_DEP_1)
	v_trunc_f32_e32 v10, v10
	v_mul_f32_e64 v11, 0x2f800000, |v10|
	s_delay_alu instid0(VALU_DEP_1) | instskip(NEXT) | instid1(VALU_DEP_1)
	v_floor_f32_e32 v11, v11
	v_fma_f32 v15, 0xcf800000, v11, |v10|
	v_ashrrev_i32_e32 v10, 31, v10
	v_cvt_u32_f32_e32 v17, v11
	s_delay_alu instid0(VALU_DEP_3) | instskip(NEXT) | instid1(VALU_DEP_2)
	v_cvt_u32_f32_e32 v15, v15
	v_dual_mov_b32 v11, v10 :: v_dual_bitop2_b32 v21, v17, v10 bitop3:0x14
	s_delay_alu instid0(VALU_DEP_2) | instskip(NEXT) | instid1(VALU_DEP_1)
	v_xor_b32_e32 v20, v15, v10
	v_sub_nc_u64_e32 v[10:11], v[20:21], v[10:11]
	s_delay_alu instid0(VALU_DEP_1)
	v_dual_cndmask_b32 v11, 0, v11 :: v_dual_cndmask_b32 v10, 0, v10
	s_branch .LBB126_2663
.LBB126_2662:
	s_mov_b32 s15, -1
                                        ; implicit-def: $vgpr10_vgpr11
.LBB126_2663:
	s_mov_b32 s22, 0
.LBB126_2664:
	s_delay_alu instid0(SALU_CYCLE_1)
	s_and_b32 vcc_lo, exec_lo, s22
	s_cbranch_vccz .LBB126_2668
; %bb.2665:
	s_cmp_eq_u32 s0, 29
	s_cbranch_scc0 .LBB126_2667
; %bb.2666:
	global_load_b64 v[10:11], v[18:19], off
	s_mov_b32 s15, 0
	s_mov_b32 s21, -1
	s_branch .LBB126_2668
.LBB126_2667:
	s_mov_b32 s15, -1
                                        ; implicit-def: $vgpr10_vgpr11
.LBB126_2668:
	s_mov_b32 s22, 0
.LBB126_2669:
	s_delay_alu instid0(SALU_CYCLE_1)
	s_and_b32 vcc_lo, exec_lo, s22
	s_cbranch_vccz .LBB126_2685
; %bb.2670:
	s_cmp_lt_i32 s0, 27
	s_cbranch_scc1 .LBB126_2673
; %bb.2671:
	s_cmp_gt_i32 s0, 27
	s_cbranch_scc0 .LBB126_2674
; %bb.2672:
	s_wait_loadcnt 0x0
	global_load_b32 v10, v[18:19], off
	v_mov_b32_e32 v11, 0
	s_mov_b32 s21, 0
	s_branch .LBB126_2675
.LBB126_2673:
	s_mov_b32 s21, -1
                                        ; implicit-def: $vgpr10_vgpr11
	s_branch .LBB126_2678
.LBB126_2674:
	s_mov_b32 s21, -1
                                        ; implicit-def: $vgpr10_vgpr11
.LBB126_2675:
	s_delay_alu instid0(SALU_CYCLE_1)
	s_and_not1_b32 vcc_lo, exec_lo, s21
	s_cbranch_vccnz .LBB126_2677
; %bb.2676:
	s_wait_loadcnt 0x0
	global_load_u16 v10, v[18:19], off
	s_mov_b32 s21, 0
	s_delay_alu instid0(SALU_CYCLE_1)
	v_mov_b32_e32 v11, s21
	s_wait_loadcnt 0x0
	v_and_b32_e32 v10, 0xffff, v10
.LBB126_2677:
	s_mov_b32 s21, 0
.LBB126_2678:
	s_delay_alu instid0(SALU_CYCLE_1)
	s_and_not1_b32 vcc_lo, exec_lo, s21
	s_cbranch_vccnz .LBB126_2684
; %bb.2679:
	global_load_u8 v13, v[18:19], off
	s_mov_b32 s22, 0
	s_mov_b32 s21, exec_lo
	s_wait_loadcnt 0x0
	v_cmpx_lt_i16_e32 0x7f, v13
	s_xor_b32 s21, exec_lo, s21
	s_cbranch_execz .LBB126_2696
; %bb.2680:
	v_cmp_ne_u16_e32 vcc_lo, 0x80, v13
	s_and_b32 s22, vcc_lo, exec_lo
	s_and_not1_saveexec_b32 s21, s21
	s_cbranch_execnz .LBB126_2697
.LBB126_2681:
	s_or_b32 exec_lo, exec_lo, s21
	v_mov_b64_e32 v[10:11], 0
	s_and_saveexec_b32 s21, s22
	s_cbranch_execz .LBB126_2683
.LBB126_2682:
	v_and_b32_e32 v10, 0xffff, v13
	s_delay_alu instid0(VALU_DEP_1) | instskip(SKIP_1) | instid1(VALU_DEP_2)
	v_and_b32_e32 v11, 7, v10
	v_bfe_u32 v20, v10, 3, 4
	v_clz_i32_u32_e32 v15, v11
	s_delay_alu instid0(VALU_DEP_2) | instskip(NEXT) | instid1(VALU_DEP_2)
	v_cmp_eq_u32_e32 vcc_lo, 0, v20
	v_min_u32_e32 v15, 32, v15
	s_delay_alu instid0(VALU_DEP_1) | instskip(NEXT) | instid1(VALU_DEP_1)
	v_subrev_nc_u32_e32 v17, 28, v15
	v_dual_lshlrev_b32 v10, v17, v10 :: v_dual_sub_nc_u32 v15, 29, v15
	s_delay_alu instid0(VALU_DEP_1) | instskip(NEXT) | instid1(VALU_DEP_1)
	v_dual_lshlrev_b32 v13, 24, v13 :: v_dual_bitop2_b32 v10, 7, v10 bitop3:0x40
	v_dual_cndmask_b32 v15, v20, v15 :: v_dual_cndmask_b32 v10, v11, v10
	s_delay_alu instid0(VALU_DEP_2) | instskip(NEXT) | instid1(VALU_DEP_2)
	v_and_b32_e32 v11, 0x80000000, v13
	v_lshl_add_u32 v13, v15, 23, 0x3b800000
	s_delay_alu instid0(VALU_DEP_3) | instskip(NEXT) | instid1(VALU_DEP_1)
	v_lshlrev_b32_e32 v10, 20, v10
	v_or3_b32 v10, v11, v13, v10
	s_delay_alu instid0(VALU_DEP_1) | instskip(NEXT) | instid1(VALU_DEP_1)
	v_trunc_f32_e32 v10, v10
	v_mul_f32_e64 v11, 0x2f800000, |v10|
	s_delay_alu instid0(VALU_DEP_1) | instskip(NEXT) | instid1(VALU_DEP_1)
	v_floor_f32_e32 v11, v11
	v_fma_f32 v13, 0xcf800000, v11, |v10|
	v_ashrrev_i32_e32 v10, 31, v10
	v_cvt_u32_f32_e32 v15, v11
	s_delay_alu instid0(VALU_DEP_3) | instskip(NEXT) | instid1(VALU_DEP_2)
	v_cvt_u32_f32_e32 v13, v13
	v_dual_mov_b32 v11, v10 :: v_dual_bitop2_b32 v21, v15, v10 bitop3:0x14
	s_delay_alu instid0(VALU_DEP_2) | instskip(NEXT) | instid1(VALU_DEP_1)
	v_xor_b32_e32 v20, v13, v10
	v_sub_nc_u64_e32 v[10:11], v[20:21], v[10:11]
.LBB126_2683:
	s_or_b32 exec_lo, exec_lo, s21
.LBB126_2684:
	s_mov_b32 s21, -1
.LBB126_2685:
	s_mov_b32 s22, 0
.LBB126_2686:
	s_delay_alu instid0(SALU_CYCLE_1)
	s_and_b32 vcc_lo, exec_lo, s22
	s_cbranch_vccz .LBB126_2717
; %bb.2687:
	s_cmp_gt_i32 s0, 22
	s_cbranch_scc0 .LBB126_2695
; %bb.2688:
	s_cmp_lt_i32 s0, 24
	s_cbranch_scc1 .LBB126_2698
; %bb.2689:
	s_cmp_gt_i32 s0, 24
	s_cbranch_scc0 .LBB126_2699
; %bb.2690:
	global_load_u8 v13, v[18:19], off
	s_mov_b32 s21, 0
	s_mov_b32 s20, exec_lo
	s_wait_loadcnt 0x0
	v_cmpx_lt_i16_e32 0x7f, v13
	s_xor_b32 s20, exec_lo, s20
	s_cbranch_execz .LBB126_2711
; %bb.2691:
	v_cmp_ne_u16_e32 vcc_lo, 0x80, v13
	s_and_b32 s21, vcc_lo, exec_lo
	s_and_not1_saveexec_b32 s20, s20
	s_cbranch_execnz .LBB126_2712
.LBB126_2692:
	s_or_b32 exec_lo, exec_lo, s20
	v_mov_b64_e32 v[10:11], 0
	s_and_saveexec_b32 s20, s21
	s_cbranch_execz .LBB126_2694
.LBB126_2693:
	v_and_b32_e32 v10, 0xffff, v13
	s_delay_alu instid0(VALU_DEP_1) | instskip(SKIP_1) | instid1(VALU_DEP_2)
	v_and_b32_e32 v11, 3, v10
	v_bfe_u32 v20, v10, 2, 5
	v_clz_i32_u32_e32 v15, v11
	s_delay_alu instid0(VALU_DEP_2) | instskip(NEXT) | instid1(VALU_DEP_2)
	v_cmp_eq_u32_e32 vcc_lo, 0, v20
	v_min_u32_e32 v15, 32, v15
	s_delay_alu instid0(VALU_DEP_1) | instskip(NEXT) | instid1(VALU_DEP_1)
	v_subrev_nc_u32_e32 v17, 29, v15
	v_dual_lshlrev_b32 v10, v17, v10 :: v_dual_sub_nc_u32 v15, 30, v15
	s_delay_alu instid0(VALU_DEP_1) | instskip(NEXT) | instid1(VALU_DEP_1)
	v_dual_lshlrev_b32 v13, 24, v13 :: v_dual_bitop2_b32 v10, 3, v10 bitop3:0x40
	v_dual_cndmask_b32 v15, v20, v15 :: v_dual_cndmask_b32 v10, v11, v10
	s_delay_alu instid0(VALU_DEP_2) | instskip(NEXT) | instid1(VALU_DEP_2)
	v_and_b32_e32 v11, 0x80000000, v13
	v_lshl_add_u32 v13, v15, 23, 0x37800000
	s_delay_alu instid0(VALU_DEP_3) | instskip(NEXT) | instid1(VALU_DEP_1)
	v_lshlrev_b32_e32 v10, 21, v10
	v_or3_b32 v10, v11, v13, v10
	s_delay_alu instid0(VALU_DEP_1) | instskip(NEXT) | instid1(VALU_DEP_1)
	v_trunc_f32_e32 v10, v10
	v_mul_f32_e64 v11, 0x2f800000, |v10|
	s_delay_alu instid0(VALU_DEP_1) | instskip(NEXT) | instid1(VALU_DEP_1)
	v_floor_f32_e32 v11, v11
	v_fma_f32 v13, 0xcf800000, v11, |v10|
	v_ashrrev_i32_e32 v10, 31, v10
	v_cvt_u32_f32_e32 v15, v11
	s_delay_alu instid0(VALU_DEP_3) | instskip(NEXT) | instid1(VALU_DEP_2)
	v_cvt_u32_f32_e32 v13, v13
	v_dual_mov_b32 v11, v10 :: v_dual_bitop2_b32 v21, v15, v10 bitop3:0x14
	s_delay_alu instid0(VALU_DEP_2) | instskip(NEXT) | instid1(VALU_DEP_1)
	v_xor_b32_e32 v20, v13, v10
	v_sub_nc_u64_e32 v[10:11], v[20:21], v[10:11]
.LBB126_2694:
	s_or_b32 exec_lo, exec_lo, s20
	s_mov_b32 s20, 0
	s_branch .LBB126_2700
.LBB126_2695:
	s_mov_b32 s20, -1
                                        ; implicit-def: $vgpr10_vgpr11
	s_branch .LBB126_2706
.LBB126_2696:
	s_and_not1_saveexec_b32 s21, s21
	s_cbranch_execz .LBB126_2681
.LBB126_2697:
	v_cmp_ne_u16_e32 vcc_lo, 0, v13
	s_and_not1_b32 s22, s22, exec_lo
	s_and_b32 s23, vcc_lo, exec_lo
	s_delay_alu instid0(SALU_CYCLE_1)
	s_or_b32 s22, s22, s23
	s_or_b32 exec_lo, exec_lo, s21
	v_mov_b64_e32 v[10:11], 0
	s_and_saveexec_b32 s21, s22
	s_cbranch_execnz .LBB126_2682
	s_branch .LBB126_2683
.LBB126_2698:
	s_mov_b32 s20, -1
                                        ; implicit-def: $vgpr10_vgpr11
	s_branch .LBB126_2703
.LBB126_2699:
	s_mov_b32 s20, -1
                                        ; implicit-def: $vgpr10_vgpr11
.LBB126_2700:
	s_delay_alu instid0(SALU_CYCLE_1)
	s_and_b32 vcc_lo, exec_lo, s20
	s_cbranch_vccz .LBB126_2702
; %bb.2701:
	s_wait_loadcnt 0x0
	global_load_u8 v10, v[18:19], off
	s_wait_loadcnt 0x0
	v_lshlrev_b32_e32 v10, 24, v10
	s_delay_alu instid0(VALU_DEP_1) | instskip(NEXT) | instid1(VALU_DEP_1)
	v_and_b32_e32 v11, 0x7f000000, v10
	v_clz_i32_u32_e32 v13, v11
	v_add_nc_u32_e32 v17, 0x1000000, v11
	v_cmp_ne_u32_e32 vcc_lo, 0, v11
	s_delay_alu instid0(VALU_DEP_3) | instskip(NEXT) | instid1(VALU_DEP_1)
	v_min_u32_e32 v13, 32, v13
	v_sub_nc_u32_e64 v13, v13, 4 clamp
	s_delay_alu instid0(VALU_DEP_1) | instskip(NEXT) | instid1(VALU_DEP_1)
	v_dual_lshlrev_b32 v15, v13, v11 :: v_dual_lshlrev_b32 v13, 23, v13
	v_lshrrev_b32_e32 v15, 4, v15
	s_delay_alu instid0(VALU_DEP_1) | instskip(SKIP_1) | instid1(VALU_DEP_2)
	v_sub_nc_u32_e32 v13, v15, v13
	v_ashrrev_i32_e32 v15, 8, v17
	v_add_nc_u32_e32 v13, 0x3c000000, v13
	s_delay_alu instid0(VALU_DEP_1) | instskip(NEXT) | instid1(VALU_DEP_1)
	v_and_or_b32 v13, 0x7f800000, v15, v13
	v_cndmask_b32_e32 v11, 0, v13, vcc_lo
	s_delay_alu instid0(VALU_DEP_1) | instskip(NEXT) | instid1(VALU_DEP_1)
	v_and_or_b32 v10, 0x80000000, v10, v11
	v_trunc_f32_e32 v10, v10
	s_delay_alu instid0(VALU_DEP_1) | instskip(NEXT) | instid1(VALU_DEP_1)
	v_mul_f32_e64 v11, 0x2f800000, |v10|
	v_floor_f32_e32 v11, v11
	s_delay_alu instid0(VALU_DEP_1) | instskip(SKIP_2) | instid1(VALU_DEP_3)
	v_fma_f32 v13, 0xcf800000, v11, |v10|
	v_ashrrev_i32_e32 v10, 31, v10
	v_cvt_u32_f32_e32 v15, v11
	v_cvt_u32_f32_e32 v13, v13
	s_delay_alu instid0(VALU_DEP_2) | instskip(NEXT) | instid1(VALU_DEP_2)
	v_dual_mov_b32 v11, v10 :: v_dual_bitop2_b32 v21, v15, v10 bitop3:0x14
	v_xor_b32_e32 v20, v13, v10
	s_delay_alu instid0(VALU_DEP_1)
	v_sub_nc_u64_e32 v[10:11], v[20:21], v[10:11]
.LBB126_2702:
	s_mov_b32 s20, 0
.LBB126_2703:
	s_delay_alu instid0(SALU_CYCLE_1)
	s_and_not1_b32 vcc_lo, exec_lo, s20
	s_cbranch_vccnz .LBB126_2705
; %bb.2704:
	s_wait_loadcnt 0x0
	global_load_u8 v10, v[18:19], off
	s_wait_loadcnt 0x0
	v_lshlrev_b32_e32 v11, 25, v10
	v_lshlrev_b16 v10, 8, v10
	s_delay_alu instid0(VALU_DEP_1) | instskip(SKIP_1) | instid1(VALU_DEP_2)
	v_and_or_b32 v15, 0x7f00, v10, 0.5
	v_bfe_i32 v10, v10, 0, 16
	v_add_f32_e32 v15, -0.5, v15
	v_lshrrev_b32_e32 v13, 4, v11
	v_cmp_gt_u32_e32 vcc_lo, 0x8000000, v11
	s_delay_alu instid0(VALU_DEP_2) | instskip(NEXT) | instid1(VALU_DEP_1)
	v_or_b32_e32 v13, 0x70000000, v13
	v_mul_f32_e32 v13, 0x7800000, v13
	s_delay_alu instid0(VALU_DEP_1) | instskip(NEXT) | instid1(VALU_DEP_1)
	v_cndmask_b32_e32 v11, v13, v15, vcc_lo
	v_and_or_b32 v10, 0x80000000, v10, v11
	s_delay_alu instid0(VALU_DEP_1) | instskip(NEXT) | instid1(VALU_DEP_1)
	v_trunc_f32_e32 v10, v10
	v_mul_f32_e64 v11, 0x2f800000, |v10|
	s_delay_alu instid0(VALU_DEP_1) | instskip(NEXT) | instid1(VALU_DEP_1)
	v_floor_f32_e32 v11, v11
	v_fma_f32 v13, 0xcf800000, v11, |v10|
	v_ashrrev_i32_e32 v10, 31, v10
	v_cvt_u32_f32_e32 v15, v11
	s_delay_alu instid0(VALU_DEP_3) | instskip(NEXT) | instid1(VALU_DEP_2)
	v_cvt_u32_f32_e32 v13, v13
	v_dual_mov_b32 v11, v10 :: v_dual_bitop2_b32 v21, v15, v10 bitop3:0x14
	s_delay_alu instid0(VALU_DEP_2) | instskip(NEXT) | instid1(VALU_DEP_1)
	v_xor_b32_e32 v20, v13, v10
	v_sub_nc_u64_e32 v[10:11], v[20:21], v[10:11]
.LBB126_2705:
	s_mov_b32 s20, 0
	s_mov_b32 s21, -1
.LBB126_2706:
	s_and_not1_b32 vcc_lo, exec_lo, s20
	s_mov_b32 s20, 0
	s_cbranch_vccnz .LBB126_2717
; %bb.2707:
	s_cmp_gt_i32 s0, 14
	s_cbranch_scc0 .LBB126_2710
; %bb.2708:
	s_cmp_eq_u32 s0, 15
	s_cbranch_scc0 .LBB126_2713
; %bb.2709:
	s_wait_loadcnt 0x0
	global_load_u16 v10, v[18:19], off
	s_mov_b32 s15, 0
	s_mov_b32 s21, -1
	s_wait_loadcnt 0x0
	v_lshlrev_b32_e32 v10, 16, v10
	s_delay_alu instid0(VALU_DEP_1) | instskip(NEXT) | instid1(VALU_DEP_1)
	v_trunc_f32_e32 v10, v10
	v_mul_f32_e64 v11, 0x2f800000, |v10|
	s_delay_alu instid0(VALU_DEP_1) | instskip(NEXT) | instid1(VALU_DEP_1)
	v_floor_f32_e32 v11, v11
	v_fma_f32 v13, 0xcf800000, v11, |v10|
	v_ashrrev_i32_e32 v10, 31, v10
	v_cvt_u32_f32_e32 v15, v11
	s_delay_alu instid0(VALU_DEP_3) | instskip(NEXT) | instid1(VALU_DEP_2)
	v_cvt_u32_f32_e32 v13, v13
	v_dual_mov_b32 v11, v10 :: v_dual_bitop2_b32 v21, v15, v10 bitop3:0x14
	s_delay_alu instid0(VALU_DEP_2) | instskip(NEXT) | instid1(VALU_DEP_1)
	v_xor_b32_e32 v20, v13, v10
	v_sub_nc_u64_e32 v[10:11], v[20:21], v[10:11]
	s_branch .LBB126_2715
.LBB126_2710:
	s_mov_b32 s20, -1
	s_branch .LBB126_2714
.LBB126_2711:
	s_and_not1_saveexec_b32 s20, s20
	s_cbranch_execz .LBB126_2692
.LBB126_2712:
	v_cmp_ne_u16_e32 vcc_lo, 0, v13
	s_and_not1_b32 s21, s21, exec_lo
	s_and_b32 s22, vcc_lo, exec_lo
	s_delay_alu instid0(SALU_CYCLE_1)
	s_or_b32 s21, s21, s22
	s_or_b32 exec_lo, exec_lo, s20
	v_mov_b64_e32 v[10:11], 0
	s_and_saveexec_b32 s20, s21
	s_cbranch_execnz .LBB126_2693
	s_branch .LBB126_2694
.LBB126_2713:
	s_mov_b32 s15, -1
.LBB126_2714:
                                        ; implicit-def: $vgpr10_vgpr11
.LBB126_2715:
	s_and_b32 vcc_lo, exec_lo, s20
	s_mov_b32 s20, 0
	s_cbranch_vccz .LBB126_2717
; %bb.2716:
	s_cmp_lg_u32 s0, 11
	s_mov_b32 s20, -1
	s_cselect_b32 s15, -1, 0
.LBB126_2717:
	s_delay_alu instid0(SALU_CYCLE_1)
	s_and_b32 vcc_lo, exec_lo, s15
	s_cbranch_vccnz .LBB126_2782
; %bb.2718:
	s_and_not1_b32 vcc_lo, exec_lo, s20
	s_cbranch_vccnz .LBB126_2720
.LBB126_2719:
	s_wait_loadcnt 0x0
	global_load_u8 v10, v[18:19], off
	s_mov_b32 s15, 0
	s_mov_b32 s21, -1
	v_mov_b32_e32 v11, s15
	s_wait_loadcnt 0x0
	v_cmp_ne_u16_e32 vcc_lo, 0, v10
	v_cndmask_b32_e64 v10, 0, 1, vcc_lo
.LBB126_2720:
	s_mov_b32 s15, 0
.LBB126_2721:
	s_delay_alu instid0(SALU_CYCLE_1)
	s_and_b32 vcc_lo, exec_lo, s15
	s_cbranch_vccz .LBB126_2770
; %bb.2722:
	s_cmp_lt_i32 s0, 5
	s_cbranch_scc1 .LBB126_2727
; %bb.2723:
	s_cmp_lt_i32 s0, 8
	s_cbranch_scc1 .LBB126_2728
	;; [unrolled: 3-line block ×3, first 2 shown]
; %bb.2725:
	s_cmp_gt_i32 s0, 9
	s_cbranch_scc0 .LBB126_2730
; %bb.2726:
	s_wait_loadcnt 0x0
	global_load_b64 v[10:11], v[18:19], off
	s_mov_b32 s15, 0
	s_wait_loadcnt 0x0
	v_trunc_f64_e32 v[10:11], v[10:11]
	s_delay_alu instid0(VALU_DEP_1) | instskip(NEXT) | instid1(VALU_DEP_1)
	v_ldexp_f64 v[20:21], v[10:11], 0xffffffe0
	v_floor_f64_e32 v[20:21], v[20:21]
	s_delay_alu instid0(VALU_DEP_1) | instskip(SKIP_1) | instid1(VALU_DEP_2)
	v_fmamk_f64 v[22:23], v[20:21], 0xc1f00000, v[10:11]
	v_cvt_i32_f64_e32 v11, v[20:21]
	v_cvt_u32_f64_e32 v10, v[22:23]
	s_branch .LBB126_2731
.LBB126_2727:
	s_mov_b32 s15, -1
                                        ; implicit-def: $vgpr10_vgpr11
	s_branch .LBB126_2749
.LBB126_2728:
	s_mov_b32 s15, -1
                                        ; implicit-def: $vgpr10_vgpr11
	s_branch .LBB126_2737
.LBB126_2729:
	s_mov_b32 s15, -1
                                        ; implicit-def: $vgpr10_vgpr11
	s_branch .LBB126_2734
.LBB126_2730:
	s_mov_b32 s15, -1
                                        ; implicit-def: $vgpr10_vgpr11
.LBB126_2731:
	s_delay_alu instid0(SALU_CYCLE_1)
	s_and_not1_b32 vcc_lo, exec_lo, s15
	s_cbranch_vccnz .LBB126_2733
; %bb.2732:
	s_wait_loadcnt 0x0
	global_load_b32 v10, v[18:19], off
	s_wait_loadcnt 0x0
	v_trunc_f32_e32 v10, v10
	s_delay_alu instid0(VALU_DEP_1) | instskip(NEXT) | instid1(VALU_DEP_1)
	v_mul_f32_e64 v11, 0x2f800000, |v10|
	v_floor_f32_e32 v11, v11
	s_delay_alu instid0(VALU_DEP_1) | instskip(SKIP_2) | instid1(VALU_DEP_3)
	v_fma_f32 v13, 0xcf800000, v11, |v10|
	v_ashrrev_i32_e32 v10, 31, v10
	v_cvt_u32_f32_e32 v15, v11
	v_cvt_u32_f32_e32 v13, v13
	s_delay_alu instid0(VALU_DEP_2) | instskip(NEXT) | instid1(VALU_DEP_2)
	v_dual_mov_b32 v11, v10 :: v_dual_bitop2_b32 v21, v15, v10 bitop3:0x14
	v_xor_b32_e32 v20, v13, v10
	s_delay_alu instid0(VALU_DEP_1)
	v_sub_nc_u64_e32 v[10:11], v[20:21], v[10:11]
.LBB126_2733:
	s_mov_b32 s15, 0
.LBB126_2734:
	s_delay_alu instid0(SALU_CYCLE_1)
	s_and_not1_b32 vcc_lo, exec_lo, s15
	s_cbranch_vccnz .LBB126_2736
; %bb.2735:
	s_wait_loadcnt 0x0
	global_load_b32 v10, v[18:19], off
	s_wait_loadcnt 0x0
	v_cvt_f32_f16_e32 v10, v10
	s_delay_alu instid0(VALU_DEP_1) | instskip(NEXT) | instid1(VALU_DEP_1)
	v_cvt_i32_f32_e32 v10, v10
	v_ashrrev_i32_e32 v11, 31, v10
.LBB126_2736:
	s_mov_b32 s15, 0
.LBB126_2737:
	s_delay_alu instid0(SALU_CYCLE_1)
	s_and_not1_b32 vcc_lo, exec_lo, s15
	s_cbranch_vccnz .LBB126_2748
; %bb.2738:
	s_cmp_lt_i32 s0, 6
	s_cbranch_scc1 .LBB126_2741
; %bb.2739:
	s_cmp_gt_i32 s0, 6
	s_cbranch_scc0 .LBB126_2742
; %bb.2740:
	s_wait_loadcnt 0x0
	global_load_b64 v[10:11], v[18:19], off
	s_mov_b32 s15, 0
	s_wait_loadcnt 0x0
	v_trunc_f64_e32 v[10:11], v[10:11]
	s_delay_alu instid0(VALU_DEP_1) | instskip(NEXT) | instid1(VALU_DEP_1)
	v_ldexp_f64 v[20:21], v[10:11], 0xffffffe0
	v_floor_f64_e32 v[20:21], v[20:21]
	s_delay_alu instid0(VALU_DEP_1) | instskip(SKIP_1) | instid1(VALU_DEP_2)
	v_fmamk_f64 v[22:23], v[20:21], 0xc1f00000, v[10:11]
	v_cvt_i32_f64_e32 v11, v[20:21]
	v_cvt_u32_f64_e32 v10, v[22:23]
	s_branch .LBB126_2743
.LBB126_2741:
	s_mov_b32 s15, -1
                                        ; implicit-def: $vgpr10_vgpr11
	s_branch .LBB126_2746
.LBB126_2742:
	s_mov_b32 s15, -1
                                        ; implicit-def: $vgpr10_vgpr11
.LBB126_2743:
	s_delay_alu instid0(SALU_CYCLE_1)
	s_and_not1_b32 vcc_lo, exec_lo, s15
	s_cbranch_vccnz .LBB126_2745
; %bb.2744:
	s_wait_loadcnt 0x0
	global_load_b32 v10, v[18:19], off
	s_wait_loadcnt 0x0
	v_trunc_f32_e32 v10, v10
	s_delay_alu instid0(VALU_DEP_1) | instskip(NEXT) | instid1(VALU_DEP_1)
	v_mul_f32_e64 v11, 0x2f800000, |v10|
	v_floor_f32_e32 v11, v11
	s_delay_alu instid0(VALU_DEP_1) | instskip(SKIP_2) | instid1(VALU_DEP_3)
	v_fma_f32 v13, 0xcf800000, v11, |v10|
	v_ashrrev_i32_e32 v10, 31, v10
	v_cvt_u32_f32_e32 v15, v11
	v_cvt_u32_f32_e32 v13, v13
	s_delay_alu instid0(VALU_DEP_2) | instskip(NEXT) | instid1(VALU_DEP_2)
	v_dual_mov_b32 v11, v10 :: v_dual_bitop2_b32 v21, v15, v10 bitop3:0x14
	v_xor_b32_e32 v20, v13, v10
	s_delay_alu instid0(VALU_DEP_1)
	v_sub_nc_u64_e32 v[10:11], v[20:21], v[10:11]
.LBB126_2745:
	s_mov_b32 s15, 0
.LBB126_2746:
	s_delay_alu instid0(SALU_CYCLE_1)
	s_and_not1_b32 vcc_lo, exec_lo, s15
	s_cbranch_vccnz .LBB126_2748
; %bb.2747:
	s_wait_loadcnt 0x0
	global_load_u16 v10, v[18:19], off
	s_wait_loadcnt 0x0
	v_cvt_f32_f16_e32 v10, v10
	s_delay_alu instid0(VALU_DEP_1) | instskip(NEXT) | instid1(VALU_DEP_1)
	v_cvt_i32_f32_e32 v10, v10
	v_ashrrev_i32_e32 v11, 31, v10
.LBB126_2748:
	s_mov_b32 s15, 0
.LBB126_2749:
	s_delay_alu instid0(SALU_CYCLE_1)
	s_and_not1_b32 vcc_lo, exec_lo, s15
	s_cbranch_vccnz .LBB126_2769
; %bb.2750:
	s_cmp_lt_i32 s0, 2
	s_cbranch_scc1 .LBB126_2754
; %bb.2751:
	s_cmp_lt_i32 s0, 3
	s_cbranch_scc1 .LBB126_2755
; %bb.2752:
	s_cmp_gt_i32 s0, 3
	s_cbranch_scc0 .LBB126_2756
; %bb.2753:
	s_wait_loadcnt 0x0
	global_load_b64 v[10:11], v[18:19], off
	s_mov_b32 s15, 0
	s_branch .LBB126_2757
.LBB126_2754:
	s_mov_b32 s15, -1
                                        ; implicit-def: $vgpr10_vgpr11
	s_branch .LBB126_2763
.LBB126_2755:
	s_mov_b32 s15, -1
                                        ; implicit-def: $vgpr10_vgpr11
	s_branch .LBB126_2760
.LBB126_2756:
	s_mov_b32 s15, -1
                                        ; implicit-def: $vgpr10_vgpr11
.LBB126_2757:
	s_delay_alu instid0(SALU_CYCLE_1)
	s_and_not1_b32 vcc_lo, exec_lo, s15
	s_cbranch_vccnz .LBB126_2759
; %bb.2758:
	s_wait_loadcnt 0x0
	global_load_b32 v10, v[18:19], off
	s_wait_loadcnt 0x0
	v_ashrrev_i32_e32 v11, 31, v10
.LBB126_2759:
	s_mov_b32 s15, 0
.LBB126_2760:
	s_delay_alu instid0(SALU_CYCLE_1)
	s_and_not1_b32 vcc_lo, exec_lo, s15
	s_cbranch_vccnz .LBB126_2762
; %bb.2761:
	s_wait_loadcnt 0x0
	global_load_u16 v10, v[18:19], off
	s_wait_loadcnt 0x0
	v_bfe_i32 v10, v10, 0, 16
	s_delay_alu instid0(VALU_DEP_1)
	v_ashrrev_i32_e32 v11, 31, v10
.LBB126_2762:
	s_mov_b32 s15, 0
.LBB126_2763:
	s_delay_alu instid0(SALU_CYCLE_1)
	s_and_not1_b32 vcc_lo, exec_lo, s15
	s_cbranch_vccnz .LBB126_2769
; %bb.2764:
	s_cmp_gt_i32 s0, 0
	s_mov_b32 s15, 0
	s_cbranch_scc0 .LBB126_2766
; %bb.2765:
	s_wait_loadcnt 0x0
	global_load_i8 v10, v[18:19], off
	s_wait_loadcnt 0x0
	v_bfe_i32 v10, v10, 0, 16
	s_delay_alu instid0(VALU_DEP_1)
	v_ashrrev_i32_e32 v11, 31, v10
	s_branch .LBB126_2767
.LBB126_2766:
	s_mov_b32 s15, -1
                                        ; implicit-def: $vgpr10_vgpr11
.LBB126_2767:
	s_delay_alu instid0(SALU_CYCLE_1)
	s_and_not1_b32 vcc_lo, exec_lo, s15
	s_cbranch_vccnz .LBB126_2769
; %bb.2768:
	s_wait_loadcnt 0x0
	global_load_u8 v10, v[18:19], off
	s_mov_b32 s15, 0
	s_delay_alu instid0(SALU_CYCLE_1)
	v_mov_b32_e32 v11, s15
	s_wait_loadcnt 0x0
	v_and_b32_e32 v10, 0xffff, v10
.LBB126_2769:
	s_mov_b32 s21, -1
.LBB126_2770:
	s_delay_alu instid0(SALU_CYCLE_1)
	s_and_not1_b32 vcc_lo, exec_lo, s21
	s_cbranch_vccnz .LBB126_3968
; %bb.2771:
	s_wait_xcnt 0x0
	v_add_nc_u32_e32 v18, s1, v12
	s_cmp_lt_i32 s17, 11
	s_delay_alu instid0(VALU_DEP_1) | instskip(NEXT) | instid1(VALU_DEP_1)
	v_ashrrev_i32_e32 v19, 31, v18
	v_add_nc_u64_e32 v[20:21], s[6:7], v[18:19]
	s_cbranch_scc1 .LBB126_2778
; %bb.2772:
	s_and_b32 s15, 0xffff, s17
	s_mov_b32 s21, 0
	s_cmp_gt_i32 s15, 25
	s_cbranch_scc0 .LBB126_2779
; %bb.2773:
	s_cmp_gt_i32 s15, 28
	s_cbranch_scc0 .LBB126_2780
; %bb.2774:
	;; [unrolled: 3-line block ×4, first 2 shown]
	s_cmp_eq_u32 s15, 46
	s_mov_b32 s23, 0
	s_cbranch_scc0 .LBB126_2786
; %bb.2777:
	global_load_b32 v12, v[20:21], off
	s_mov_b32 s20, 0
	s_mov_b32 s22, -1
	s_wait_loadcnt 0x0
	v_lshlrev_b32_e32 v12, 16, v12
	s_delay_alu instid0(VALU_DEP_1) | instskip(NEXT) | instid1(VALU_DEP_1)
	v_trunc_f32_e32 v12, v12
	v_mul_f32_e64 v13, 0x2f800000, |v12|
	s_delay_alu instid0(VALU_DEP_1) | instskip(NEXT) | instid1(VALU_DEP_1)
	v_floor_f32_e32 v13, v13
	v_fma_f32 v15, 0xcf800000, v13, |v12|
	v_ashrrev_i32_e32 v12, 31, v12
	v_cvt_u32_f32_e32 v17, v13
	s_delay_alu instid0(VALU_DEP_3) | instskip(NEXT) | instid1(VALU_DEP_2)
	v_cvt_u32_f32_e32 v15, v15
	v_dual_mov_b32 v13, v12 :: v_dual_bitop2_b32 v23, v17, v12 bitop3:0x14
	s_delay_alu instid0(VALU_DEP_2) | instskip(NEXT) | instid1(VALU_DEP_1)
	v_xor_b32_e32 v22, v15, v12
	v_sub_nc_u64_e32 v[12:13], v[22:23], v[12:13]
	s_branch .LBB126_2788
.LBB126_2778:
	s_mov_b32 s15, -1
	s_mov_b32 s22, 0
                                        ; implicit-def: $vgpr12_vgpr13
	s_branch .LBB126_2850
.LBB126_2779:
	s_mov_b32 s23, -1
	s_mov_b32 s22, 0
	s_mov_b32 s20, 0
                                        ; implicit-def: $vgpr12_vgpr13
	s_branch .LBB126_2815
.LBB126_2780:
	s_mov_b32 s23, -1
	s_mov_b32 s22, 0
	s_mov_b32 s20, 0
                                        ; implicit-def: $vgpr12_vgpr13
	s_branch .LBB126_2798
.LBB126_2781:
	s_mov_b32 s23, -1
	s_mov_b32 s22, 0
	s_mov_b32 s20, 0
                                        ; implicit-def: $vgpr12_vgpr13
	s_branch .LBB126_2793
.LBB126_2782:
	s_or_b32 s16, s16, exec_lo
	s_trap 2
	s_cbranch_execz .LBB126_2719
	s_branch .LBB126_2720
.LBB126_2783:
	s_mov_b32 s23, -1
	s_mov_b32 s22, 0
	s_mov_b32 s20, 0
	s_branch .LBB126_2787
.LBB126_2784:
	s_and_not1_saveexec_b32 s39, s39
	s_cbranch_execz .LBB126_1441
.LBB126_2785:
	v_add_f32_e64 v5, 0x42800000, |v4|
	s_and_not1_b32 s38, s38, exec_lo
	s_delay_alu instid0(VALU_DEP_1) | instskip(NEXT) | instid1(VALU_DEP_1)
	v_and_b32_e32 v5, 0xff, v5
	v_cmp_ne_u32_e32 vcc_lo, 0, v5
	s_and_b32 s40, vcc_lo, exec_lo
	s_delay_alu instid0(SALU_CYCLE_1)
	s_or_b32 s38, s38, s40
	s_or_b32 exec_lo, exec_lo, s39
	v_mov_b32_e32 v6, 0
	s_and_saveexec_b32 s39, s38
	s_cbranch_execnz .LBB126_1442
	s_branch .LBB126_1443
.LBB126_2786:
	s_mov_b32 s20, -1
	s_mov_b32 s22, 0
.LBB126_2787:
                                        ; implicit-def: $vgpr12_vgpr13
.LBB126_2788:
	s_and_b32 vcc_lo, exec_lo, s23
	s_cbranch_vccz .LBB126_2792
; %bb.2789:
	s_cmp_eq_u32 s15, 44
	s_cbranch_scc0 .LBB126_2791
; %bb.2790:
	global_load_u8 v15, v[20:21], off
	s_mov_b32 s20, 0
	s_mov_b32 s22, -1
	s_wait_loadcnt 0x0
	v_cmp_ne_u32_e32 vcc_lo, 0, v15
	v_lshlrev_b32_e32 v12, 23, v15
	s_delay_alu instid0(VALU_DEP_1) | instskip(NEXT) | instid1(VALU_DEP_1)
	v_trunc_f32_e32 v12, v12
	v_mul_f32_e64 v13, 0x2f800000, |v12|
	s_delay_alu instid0(VALU_DEP_1) | instskip(NEXT) | instid1(VALU_DEP_1)
	v_floor_f32_e32 v13, v13
	v_fma_f32 v17, 0xcf800000, v13, |v12|
	v_ashrrev_i32_e32 v12, 31, v12
	v_cvt_u32_f32_e32 v19, v13
	s_delay_alu instid0(VALU_DEP_3) | instskip(NEXT) | instid1(VALU_DEP_2)
	v_cvt_u32_f32_e32 v17, v17
	v_dual_mov_b32 v13, v12 :: v_dual_bitop2_b32 v23, v19, v12 bitop3:0x14
	s_delay_alu instid0(VALU_DEP_2) | instskip(NEXT) | instid1(VALU_DEP_1)
	v_xor_b32_e32 v22, v17, v12
	v_sub_nc_u64_e32 v[12:13], v[22:23], v[12:13]
	s_delay_alu instid0(VALU_DEP_1)
	v_dual_cndmask_b32 v13, 0, v13 :: v_dual_cndmask_b32 v12, 0, v12
	s_branch .LBB126_2792
.LBB126_2791:
	s_mov_b32 s20, -1
                                        ; implicit-def: $vgpr12_vgpr13
.LBB126_2792:
	s_mov_b32 s23, 0
.LBB126_2793:
	s_delay_alu instid0(SALU_CYCLE_1)
	s_and_b32 vcc_lo, exec_lo, s23
	s_cbranch_vccz .LBB126_2797
; %bb.2794:
	s_cmp_eq_u32 s15, 29
	s_cbranch_scc0 .LBB126_2796
; %bb.2795:
	global_load_b64 v[12:13], v[20:21], off
	s_mov_b32 s20, 0
	s_mov_b32 s22, -1
	s_branch .LBB126_2797
.LBB126_2796:
	s_mov_b32 s20, -1
                                        ; implicit-def: $vgpr12_vgpr13
.LBB126_2797:
	s_mov_b32 s23, 0
.LBB126_2798:
	s_delay_alu instid0(SALU_CYCLE_1)
	s_and_b32 vcc_lo, exec_lo, s23
	s_cbranch_vccz .LBB126_2814
; %bb.2799:
	s_cmp_lt_i32 s15, 27
	s_cbranch_scc1 .LBB126_2802
; %bb.2800:
	s_cmp_gt_i32 s15, 27
	s_cbranch_scc0 .LBB126_2803
; %bb.2801:
	s_wait_loadcnt 0x0
	global_load_b32 v12, v[20:21], off
	v_mov_b32_e32 v13, 0
	s_mov_b32 s22, 0
	s_branch .LBB126_2804
.LBB126_2802:
	s_mov_b32 s22, -1
                                        ; implicit-def: $vgpr12_vgpr13
	s_branch .LBB126_2807
.LBB126_2803:
	s_mov_b32 s22, -1
                                        ; implicit-def: $vgpr12_vgpr13
.LBB126_2804:
	s_delay_alu instid0(SALU_CYCLE_1)
	s_and_not1_b32 vcc_lo, exec_lo, s22
	s_cbranch_vccnz .LBB126_2806
; %bb.2805:
	s_wait_loadcnt 0x0
	global_load_u16 v12, v[20:21], off
	s_mov_b32 s22, 0
	s_delay_alu instid0(SALU_CYCLE_1)
	v_mov_b32_e32 v13, s22
	s_wait_loadcnt 0x0
	v_and_b32_e32 v12, 0xffff, v12
.LBB126_2806:
	s_mov_b32 s22, 0
.LBB126_2807:
	s_delay_alu instid0(SALU_CYCLE_1)
	s_and_not1_b32 vcc_lo, exec_lo, s22
	s_cbranch_vccnz .LBB126_2813
; %bb.2808:
	global_load_u8 v15, v[20:21], off
	s_mov_b32 s23, 0
	s_mov_b32 s22, exec_lo
	s_wait_loadcnt 0x0
	v_cmpx_lt_i16_e32 0x7f, v15
	s_xor_b32 s22, exec_lo, s22
	s_cbranch_execz .LBB126_2825
; %bb.2809:
	v_cmp_ne_u16_e32 vcc_lo, 0x80, v15
	s_and_b32 s23, vcc_lo, exec_lo
	s_and_not1_saveexec_b32 s22, s22
	s_cbranch_execnz .LBB126_2826
.LBB126_2810:
	s_or_b32 exec_lo, exec_lo, s22
	v_mov_b64_e32 v[12:13], 0
	s_and_saveexec_b32 s22, s23
	s_cbranch_execz .LBB126_2812
.LBB126_2811:
	v_and_b32_e32 v12, 0xffff, v15
	s_delay_alu instid0(VALU_DEP_1) | instskip(SKIP_1) | instid1(VALU_DEP_2)
	v_and_b32_e32 v13, 7, v12
	v_bfe_u32 v22, v12, 3, 4
	v_clz_i32_u32_e32 v17, v13
	s_delay_alu instid0(VALU_DEP_2) | instskip(NEXT) | instid1(VALU_DEP_2)
	v_cmp_eq_u32_e32 vcc_lo, 0, v22
	v_min_u32_e32 v17, 32, v17
	s_delay_alu instid0(VALU_DEP_1) | instskip(NEXT) | instid1(VALU_DEP_1)
	v_subrev_nc_u32_e32 v19, 28, v17
	v_dual_lshlrev_b32 v12, v19, v12 :: v_dual_sub_nc_u32 v17, 29, v17
	s_delay_alu instid0(VALU_DEP_1) | instskip(NEXT) | instid1(VALU_DEP_1)
	v_dual_lshlrev_b32 v15, 24, v15 :: v_dual_bitop2_b32 v12, 7, v12 bitop3:0x40
	v_dual_cndmask_b32 v17, v22, v17 :: v_dual_cndmask_b32 v12, v13, v12
	s_delay_alu instid0(VALU_DEP_2) | instskip(NEXT) | instid1(VALU_DEP_2)
	v_and_b32_e32 v13, 0x80000000, v15
	v_lshl_add_u32 v15, v17, 23, 0x3b800000
	s_delay_alu instid0(VALU_DEP_3) | instskip(NEXT) | instid1(VALU_DEP_1)
	v_lshlrev_b32_e32 v12, 20, v12
	v_or3_b32 v12, v13, v15, v12
	s_delay_alu instid0(VALU_DEP_1) | instskip(NEXT) | instid1(VALU_DEP_1)
	v_trunc_f32_e32 v12, v12
	v_mul_f32_e64 v13, 0x2f800000, |v12|
	s_delay_alu instid0(VALU_DEP_1) | instskip(NEXT) | instid1(VALU_DEP_1)
	v_floor_f32_e32 v13, v13
	v_fma_f32 v15, 0xcf800000, v13, |v12|
	v_ashrrev_i32_e32 v12, 31, v12
	v_cvt_u32_f32_e32 v17, v13
	s_delay_alu instid0(VALU_DEP_3) | instskip(NEXT) | instid1(VALU_DEP_2)
	v_cvt_u32_f32_e32 v15, v15
	v_dual_mov_b32 v13, v12 :: v_dual_bitop2_b32 v23, v17, v12 bitop3:0x14
	s_delay_alu instid0(VALU_DEP_2) | instskip(NEXT) | instid1(VALU_DEP_1)
	v_xor_b32_e32 v22, v15, v12
	v_sub_nc_u64_e32 v[12:13], v[22:23], v[12:13]
.LBB126_2812:
	s_or_b32 exec_lo, exec_lo, s22
.LBB126_2813:
	s_mov_b32 s22, -1
.LBB126_2814:
	s_mov_b32 s23, 0
.LBB126_2815:
	s_delay_alu instid0(SALU_CYCLE_1)
	s_and_b32 vcc_lo, exec_lo, s23
	s_cbranch_vccz .LBB126_2846
; %bb.2816:
	s_cmp_gt_i32 s15, 22
	s_cbranch_scc0 .LBB126_2824
; %bb.2817:
	s_cmp_lt_i32 s15, 24
	s_cbranch_scc1 .LBB126_2827
; %bb.2818:
	s_cmp_gt_i32 s15, 24
	s_cbranch_scc0 .LBB126_2828
; %bb.2819:
	global_load_u8 v15, v[20:21], off
	s_mov_b32 s22, 0
	s_mov_b32 s21, exec_lo
	s_wait_loadcnt 0x0
	v_cmpx_lt_i16_e32 0x7f, v15
	s_xor_b32 s21, exec_lo, s21
	s_cbranch_execz .LBB126_2840
; %bb.2820:
	v_cmp_ne_u16_e32 vcc_lo, 0x80, v15
	s_and_b32 s22, vcc_lo, exec_lo
	s_and_not1_saveexec_b32 s21, s21
	s_cbranch_execnz .LBB126_2841
.LBB126_2821:
	s_or_b32 exec_lo, exec_lo, s21
	v_mov_b64_e32 v[12:13], 0
	s_and_saveexec_b32 s21, s22
	s_cbranch_execz .LBB126_2823
.LBB126_2822:
	v_and_b32_e32 v12, 0xffff, v15
	s_delay_alu instid0(VALU_DEP_1) | instskip(SKIP_1) | instid1(VALU_DEP_2)
	v_and_b32_e32 v13, 3, v12
	v_bfe_u32 v22, v12, 2, 5
	v_clz_i32_u32_e32 v17, v13
	s_delay_alu instid0(VALU_DEP_2) | instskip(NEXT) | instid1(VALU_DEP_2)
	v_cmp_eq_u32_e32 vcc_lo, 0, v22
	v_min_u32_e32 v17, 32, v17
	s_delay_alu instid0(VALU_DEP_1) | instskip(NEXT) | instid1(VALU_DEP_1)
	v_subrev_nc_u32_e32 v19, 29, v17
	v_dual_lshlrev_b32 v12, v19, v12 :: v_dual_sub_nc_u32 v17, 30, v17
	s_delay_alu instid0(VALU_DEP_1) | instskip(NEXT) | instid1(VALU_DEP_1)
	v_dual_lshlrev_b32 v15, 24, v15 :: v_dual_bitop2_b32 v12, 3, v12 bitop3:0x40
	v_dual_cndmask_b32 v17, v22, v17 :: v_dual_cndmask_b32 v12, v13, v12
	s_delay_alu instid0(VALU_DEP_2) | instskip(NEXT) | instid1(VALU_DEP_2)
	v_and_b32_e32 v13, 0x80000000, v15
	v_lshl_add_u32 v15, v17, 23, 0x37800000
	s_delay_alu instid0(VALU_DEP_3) | instskip(NEXT) | instid1(VALU_DEP_1)
	v_lshlrev_b32_e32 v12, 21, v12
	v_or3_b32 v12, v13, v15, v12
	s_delay_alu instid0(VALU_DEP_1) | instskip(NEXT) | instid1(VALU_DEP_1)
	v_trunc_f32_e32 v12, v12
	v_mul_f32_e64 v13, 0x2f800000, |v12|
	s_delay_alu instid0(VALU_DEP_1) | instskip(NEXT) | instid1(VALU_DEP_1)
	v_floor_f32_e32 v13, v13
	v_fma_f32 v15, 0xcf800000, v13, |v12|
	v_ashrrev_i32_e32 v12, 31, v12
	v_cvt_u32_f32_e32 v17, v13
	s_delay_alu instid0(VALU_DEP_3) | instskip(NEXT) | instid1(VALU_DEP_2)
	v_cvt_u32_f32_e32 v15, v15
	v_dual_mov_b32 v13, v12 :: v_dual_bitop2_b32 v23, v17, v12 bitop3:0x14
	s_delay_alu instid0(VALU_DEP_2) | instskip(NEXT) | instid1(VALU_DEP_1)
	v_xor_b32_e32 v22, v15, v12
	v_sub_nc_u64_e32 v[12:13], v[22:23], v[12:13]
.LBB126_2823:
	s_or_b32 exec_lo, exec_lo, s21
	s_mov_b32 s21, 0
	s_branch .LBB126_2829
.LBB126_2824:
	s_mov_b32 s21, -1
                                        ; implicit-def: $vgpr12_vgpr13
	s_branch .LBB126_2835
.LBB126_2825:
	s_and_not1_saveexec_b32 s22, s22
	s_cbranch_execz .LBB126_2810
.LBB126_2826:
	v_cmp_ne_u16_e32 vcc_lo, 0, v15
	s_and_not1_b32 s23, s23, exec_lo
	s_and_b32 s24, vcc_lo, exec_lo
	s_delay_alu instid0(SALU_CYCLE_1)
	s_or_b32 s23, s23, s24
	s_or_b32 exec_lo, exec_lo, s22
	v_mov_b64_e32 v[12:13], 0
	s_and_saveexec_b32 s22, s23
	s_cbranch_execnz .LBB126_2811
	s_branch .LBB126_2812
.LBB126_2827:
	s_mov_b32 s21, -1
                                        ; implicit-def: $vgpr12_vgpr13
	s_branch .LBB126_2832
.LBB126_2828:
	s_mov_b32 s21, -1
                                        ; implicit-def: $vgpr12_vgpr13
.LBB126_2829:
	s_delay_alu instid0(SALU_CYCLE_1)
	s_and_b32 vcc_lo, exec_lo, s21
	s_cbranch_vccz .LBB126_2831
; %bb.2830:
	s_wait_loadcnt 0x0
	global_load_u8 v12, v[20:21], off
	s_wait_loadcnt 0x0
	v_lshlrev_b32_e32 v12, 24, v12
	s_delay_alu instid0(VALU_DEP_1) | instskip(NEXT) | instid1(VALU_DEP_1)
	v_and_b32_e32 v13, 0x7f000000, v12
	v_clz_i32_u32_e32 v15, v13
	v_add_nc_u32_e32 v19, 0x1000000, v13
	v_cmp_ne_u32_e32 vcc_lo, 0, v13
	s_delay_alu instid0(VALU_DEP_3) | instskip(NEXT) | instid1(VALU_DEP_1)
	v_min_u32_e32 v15, 32, v15
	v_sub_nc_u32_e64 v15, v15, 4 clamp
	s_delay_alu instid0(VALU_DEP_1) | instskip(NEXT) | instid1(VALU_DEP_1)
	v_dual_lshlrev_b32 v17, v15, v13 :: v_dual_lshlrev_b32 v15, 23, v15
	v_lshrrev_b32_e32 v17, 4, v17
	s_delay_alu instid0(VALU_DEP_1) | instskip(SKIP_1) | instid1(VALU_DEP_2)
	v_sub_nc_u32_e32 v15, v17, v15
	v_ashrrev_i32_e32 v17, 8, v19
	v_add_nc_u32_e32 v15, 0x3c000000, v15
	s_delay_alu instid0(VALU_DEP_1) | instskip(NEXT) | instid1(VALU_DEP_1)
	v_and_or_b32 v15, 0x7f800000, v17, v15
	v_cndmask_b32_e32 v13, 0, v15, vcc_lo
	s_delay_alu instid0(VALU_DEP_1) | instskip(NEXT) | instid1(VALU_DEP_1)
	v_and_or_b32 v12, 0x80000000, v12, v13
	v_trunc_f32_e32 v12, v12
	s_delay_alu instid0(VALU_DEP_1) | instskip(NEXT) | instid1(VALU_DEP_1)
	v_mul_f32_e64 v13, 0x2f800000, |v12|
	v_floor_f32_e32 v13, v13
	s_delay_alu instid0(VALU_DEP_1) | instskip(SKIP_2) | instid1(VALU_DEP_3)
	v_fma_f32 v15, 0xcf800000, v13, |v12|
	v_ashrrev_i32_e32 v12, 31, v12
	v_cvt_u32_f32_e32 v17, v13
	v_cvt_u32_f32_e32 v15, v15
	s_delay_alu instid0(VALU_DEP_2) | instskip(NEXT) | instid1(VALU_DEP_2)
	v_dual_mov_b32 v13, v12 :: v_dual_bitop2_b32 v23, v17, v12 bitop3:0x14
	v_xor_b32_e32 v22, v15, v12
	s_delay_alu instid0(VALU_DEP_1)
	v_sub_nc_u64_e32 v[12:13], v[22:23], v[12:13]
.LBB126_2831:
	s_mov_b32 s21, 0
.LBB126_2832:
	s_delay_alu instid0(SALU_CYCLE_1)
	s_and_not1_b32 vcc_lo, exec_lo, s21
	s_cbranch_vccnz .LBB126_2834
; %bb.2833:
	s_wait_loadcnt 0x0
	global_load_u8 v12, v[20:21], off
	s_wait_loadcnt 0x0
	v_lshlrev_b32_e32 v13, 25, v12
	v_lshlrev_b16 v12, 8, v12
	s_delay_alu instid0(VALU_DEP_1) | instskip(SKIP_1) | instid1(VALU_DEP_2)
	v_and_or_b32 v17, 0x7f00, v12, 0.5
	v_bfe_i32 v12, v12, 0, 16
	v_add_f32_e32 v17, -0.5, v17
	v_lshrrev_b32_e32 v15, 4, v13
	v_cmp_gt_u32_e32 vcc_lo, 0x8000000, v13
	s_delay_alu instid0(VALU_DEP_2) | instskip(NEXT) | instid1(VALU_DEP_1)
	v_or_b32_e32 v15, 0x70000000, v15
	v_mul_f32_e32 v15, 0x7800000, v15
	s_delay_alu instid0(VALU_DEP_1) | instskip(NEXT) | instid1(VALU_DEP_1)
	v_cndmask_b32_e32 v13, v15, v17, vcc_lo
	v_and_or_b32 v12, 0x80000000, v12, v13
	s_delay_alu instid0(VALU_DEP_1) | instskip(NEXT) | instid1(VALU_DEP_1)
	v_trunc_f32_e32 v12, v12
	v_mul_f32_e64 v13, 0x2f800000, |v12|
	s_delay_alu instid0(VALU_DEP_1) | instskip(NEXT) | instid1(VALU_DEP_1)
	v_floor_f32_e32 v13, v13
	v_fma_f32 v15, 0xcf800000, v13, |v12|
	v_ashrrev_i32_e32 v12, 31, v12
	v_cvt_u32_f32_e32 v17, v13
	s_delay_alu instid0(VALU_DEP_3) | instskip(NEXT) | instid1(VALU_DEP_2)
	v_cvt_u32_f32_e32 v15, v15
	v_dual_mov_b32 v13, v12 :: v_dual_bitop2_b32 v23, v17, v12 bitop3:0x14
	s_delay_alu instid0(VALU_DEP_2) | instskip(NEXT) | instid1(VALU_DEP_1)
	v_xor_b32_e32 v22, v15, v12
	v_sub_nc_u64_e32 v[12:13], v[22:23], v[12:13]
.LBB126_2834:
	s_mov_b32 s21, 0
	s_mov_b32 s22, -1
.LBB126_2835:
	s_and_not1_b32 vcc_lo, exec_lo, s21
	s_mov_b32 s21, 0
	s_cbranch_vccnz .LBB126_2846
; %bb.2836:
	s_cmp_gt_i32 s15, 14
	s_cbranch_scc0 .LBB126_2839
; %bb.2837:
	s_cmp_eq_u32 s15, 15
	s_cbranch_scc0 .LBB126_2842
; %bb.2838:
	s_wait_loadcnt 0x0
	global_load_u16 v12, v[20:21], off
	s_mov_b32 s20, 0
	s_mov_b32 s22, -1
	s_wait_loadcnt 0x0
	v_lshlrev_b32_e32 v12, 16, v12
	s_delay_alu instid0(VALU_DEP_1) | instskip(NEXT) | instid1(VALU_DEP_1)
	v_trunc_f32_e32 v12, v12
	v_mul_f32_e64 v13, 0x2f800000, |v12|
	s_delay_alu instid0(VALU_DEP_1) | instskip(NEXT) | instid1(VALU_DEP_1)
	v_floor_f32_e32 v13, v13
	v_fma_f32 v15, 0xcf800000, v13, |v12|
	v_ashrrev_i32_e32 v12, 31, v12
	v_cvt_u32_f32_e32 v17, v13
	s_delay_alu instid0(VALU_DEP_3) | instskip(NEXT) | instid1(VALU_DEP_2)
	v_cvt_u32_f32_e32 v15, v15
	v_dual_mov_b32 v13, v12 :: v_dual_bitop2_b32 v23, v17, v12 bitop3:0x14
	s_delay_alu instid0(VALU_DEP_2) | instskip(NEXT) | instid1(VALU_DEP_1)
	v_xor_b32_e32 v22, v15, v12
	v_sub_nc_u64_e32 v[12:13], v[22:23], v[12:13]
	s_branch .LBB126_2844
.LBB126_2839:
	s_mov_b32 s21, -1
	s_branch .LBB126_2843
.LBB126_2840:
	s_and_not1_saveexec_b32 s21, s21
	s_cbranch_execz .LBB126_2821
.LBB126_2841:
	v_cmp_ne_u16_e32 vcc_lo, 0, v15
	s_and_not1_b32 s22, s22, exec_lo
	s_and_b32 s23, vcc_lo, exec_lo
	s_delay_alu instid0(SALU_CYCLE_1)
	s_or_b32 s22, s22, s23
	s_or_b32 exec_lo, exec_lo, s21
	v_mov_b64_e32 v[12:13], 0
	s_and_saveexec_b32 s21, s22
	s_cbranch_execnz .LBB126_2822
	s_branch .LBB126_2823
.LBB126_2842:
	s_mov_b32 s20, -1
.LBB126_2843:
                                        ; implicit-def: $vgpr12_vgpr13
.LBB126_2844:
	s_and_b32 vcc_lo, exec_lo, s21
	s_mov_b32 s21, 0
	s_cbranch_vccz .LBB126_2846
; %bb.2845:
	s_cmp_lg_u32 s15, 11
	s_mov_b32 s21, -1
	s_cselect_b32 s20, -1, 0
.LBB126_2846:
	s_delay_alu instid0(SALU_CYCLE_1)
	s_and_b32 vcc_lo, exec_lo, s20
	s_cbranch_vccnz .LBB126_2911
; %bb.2847:
	s_and_not1_b32 vcc_lo, exec_lo, s21
	s_cbranch_vccnz .LBB126_2849
.LBB126_2848:
	s_wait_loadcnt 0x0
	global_load_u8 v12, v[20:21], off
	s_mov_b32 s15, 0
	s_mov_b32 s22, -1
	v_mov_b32_e32 v13, s15
	s_wait_loadcnt 0x0
	v_cmp_ne_u16_e32 vcc_lo, 0, v12
	v_cndmask_b32_e64 v12, 0, 1, vcc_lo
.LBB126_2849:
	s_mov_b32 s15, 0
.LBB126_2850:
	s_delay_alu instid0(SALU_CYCLE_1)
	s_and_b32 vcc_lo, exec_lo, s15
	s_cbranch_vccz .LBB126_2899
; %bb.2851:
	s_and_b32 s15, 0xffff, s17
	s_delay_alu instid0(SALU_CYCLE_1)
	s_cmp_lt_i32 s15, 5
	s_cbranch_scc1 .LBB126_2856
; %bb.2852:
	s_cmp_lt_i32 s15, 8
	s_cbranch_scc1 .LBB126_2857
; %bb.2853:
	;; [unrolled: 3-line block ×3, first 2 shown]
	s_cmp_gt_i32 s15, 9
	s_cbranch_scc0 .LBB126_2859
; %bb.2855:
	s_wait_loadcnt 0x0
	global_load_b64 v[12:13], v[20:21], off
	s_mov_b32 s20, 0
	s_wait_loadcnt 0x0
	v_trunc_f64_e32 v[12:13], v[12:13]
	s_delay_alu instid0(VALU_DEP_1) | instskip(NEXT) | instid1(VALU_DEP_1)
	v_ldexp_f64 v[22:23], v[12:13], 0xffffffe0
	v_floor_f64_e32 v[22:23], v[22:23]
	s_delay_alu instid0(VALU_DEP_1) | instskip(SKIP_1) | instid1(VALU_DEP_2)
	v_fmamk_f64 v[24:25], v[22:23], 0xc1f00000, v[12:13]
	v_cvt_i32_f64_e32 v13, v[22:23]
	v_cvt_u32_f64_e32 v12, v[24:25]
	s_branch .LBB126_2860
.LBB126_2856:
	s_mov_b32 s20, -1
                                        ; implicit-def: $vgpr12_vgpr13
	s_branch .LBB126_2878
.LBB126_2857:
	s_mov_b32 s20, -1
                                        ; implicit-def: $vgpr12_vgpr13
	s_branch .LBB126_2866
.LBB126_2858:
	s_mov_b32 s20, -1
                                        ; implicit-def: $vgpr12_vgpr13
	s_branch .LBB126_2863
.LBB126_2859:
	s_mov_b32 s20, -1
                                        ; implicit-def: $vgpr12_vgpr13
.LBB126_2860:
	s_delay_alu instid0(SALU_CYCLE_1)
	s_and_not1_b32 vcc_lo, exec_lo, s20
	s_cbranch_vccnz .LBB126_2862
; %bb.2861:
	s_wait_loadcnt 0x0
	global_load_b32 v12, v[20:21], off
	s_wait_loadcnt 0x0
	v_trunc_f32_e32 v12, v12
	s_delay_alu instid0(VALU_DEP_1) | instskip(NEXT) | instid1(VALU_DEP_1)
	v_mul_f32_e64 v13, 0x2f800000, |v12|
	v_floor_f32_e32 v13, v13
	s_delay_alu instid0(VALU_DEP_1) | instskip(SKIP_2) | instid1(VALU_DEP_3)
	v_fma_f32 v15, 0xcf800000, v13, |v12|
	v_ashrrev_i32_e32 v12, 31, v12
	v_cvt_u32_f32_e32 v17, v13
	v_cvt_u32_f32_e32 v15, v15
	s_delay_alu instid0(VALU_DEP_2) | instskip(NEXT) | instid1(VALU_DEP_2)
	v_dual_mov_b32 v13, v12 :: v_dual_bitop2_b32 v23, v17, v12 bitop3:0x14
	v_xor_b32_e32 v22, v15, v12
	s_delay_alu instid0(VALU_DEP_1)
	v_sub_nc_u64_e32 v[12:13], v[22:23], v[12:13]
.LBB126_2862:
	s_mov_b32 s20, 0
.LBB126_2863:
	s_delay_alu instid0(SALU_CYCLE_1)
	s_and_not1_b32 vcc_lo, exec_lo, s20
	s_cbranch_vccnz .LBB126_2865
; %bb.2864:
	s_wait_loadcnt 0x0
	global_load_b32 v12, v[20:21], off
	s_wait_loadcnt 0x0
	v_cvt_f32_f16_e32 v12, v12
	s_delay_alu instid0(VALU_DEP_1) | instskip(NEXT) | instid1(VALU_DEP_1)
	v_cvt_i32_f32_e32 v12, v12
	v_ashrrev_i32_e32 v13, 31, v12
.LBB126_2865:
	s_mov_b32 s20, 0
.LBB126_2866:
	s_delay_alu instid0(SALU_CYCLE_1)
	s_and_not1_b32 vcc_lo, exec_lo, s20
	s_cbranch_vccnz .LBB126_2877
; %bb.2867:
	s_cmp_lt_i32 s15, 6
	s_cbranch_scc1 .LBB126_2870
; %bb.2868:
	s_cmp_gt_i32 s15, 6
	s_cbranch_scc0 .LBB126_2871
; %bb.2869:
	s_wait_loadcnt 0x0
	global_load_b64 v[12:13], v[20:21], off
	s_mov_b32 s20, 0
	s_wait_loadcnt 0x0
	v_trunc_f64_e32 v[12:13], v[12:13]
	s_delay_alu instid0(VALU_DEP_1) | instskip(NEXT) | instid1(VALU_DEP_1)
	v_ldexp_f64 v[22:23], v[12:13], 0xffffffe0
	v_floor_f64_e32 v[22:23], v[22:23]
	s_delay_alu instid0(VALU_DEP_1) | instskip(SKIP_1) | instid1(VALU_DEP_2)
	v_fmamk_f64 v[24:25], v[22:23], 0xc1f00000, v[12:13]
	v_cvt_i32_f64_e32 v13, v[22:23]
	v_cvt_u32_f64_e32 v12, v[24:25]
	s_branch .LBB126_2872
.LBB126_2870:
	s_mov_b32 s20, -1
                                        ; implicit-def: $vgpr12_vgpr13
	s_branch .LBB126_2875
.LBB126_2871:
	s_mov_b32 s20, -1
                                        ; implicit-def: $vgpr12_vgpr13
.LBB126_2872:
	s_delay_alu instid0(SALU_CYCLE_1)
	s_and_not1_b32 vcc_lo, exec_lo, s20
	s_cbranch_vccnz .LBB126_2874
; %bb.2873:
	s_wait_loadcnt 0x0
	global_load_b32 v12, v[20:21], off
	s_wait_loadcnt 0x0
	v_trunc_f32_e32 v12, v12
	s_delay_alu instid0(VALU_DEP_1) | instskip(NEXT) | instid1(VALU_DEP_1)
	v_mul_f32_e64 v13, 0x2f800000, |v12|
	v_floor_f32_e32 v13, v13
	s_delay_alu instid0(VALU_DEP_1) | instskip(SKIP_2) | instid1(VALU_DEP_3)
	v_fma_f32 v15, 0xcf800000, v13, |v12|
	v_ashrrev_i32_e32 v12, 31, v12
	v_cvt_u32_f32_e32 v17, v13
	v_cvt_u32_f32_e32 v15, v15
	s_delay_alu instid0(VALU_DEP_2) | instskip(NEXT) | instid1(VALU_DEP_2)
	v_dual_mov_b32 v13, v12 :: v_dual_bitop2_b32 v23, v17, v12 bitop3:0x14
	v_xor_b32_e32 v22, v15, v12
	s_delay_alu instid0(VALU_DEP_1)
	v_sub_nc_u64_e32 v[12:13], v[22:23], v[12:13]
.LBB126_2874:
	s_mov_b32 s20, 0
.LBB126_2875:
	s_delay_alu instid0(SALU_CYCLE_1)
	s_and_not1_b32 vcc_lo, exec_lo, s20
	s_cbranch_vccnz .LBB126_2877
; %bb.2876:
	s_wait_loadcnt 0x0
	global_load_u16 v12, v[20:21], off
	s_wait_loadcnt 0x0
	v_cvt_f32_f16_e32 v12, v12
	s_delay_alu instid0(VALU_DEP_1) | instskip(NEXT) | instid1(VALU_DEP_1)
	v_cvt_i32_f32_e32 v12, v12
	v_ashrrev_i32_e32 v13, 31, v12
.LBB126_2877:
	s_mov_b32 s20, 0
.LBB126_2878:
	s_delay_alu instid0(SALU_CYCLE_1)
	s_and_not1_b32 vcc_lo, exec_lo, s20
	s_cbranch_vccnz .LBB126_2898
; %bb.2879:
	s_cmp_lt_i32 s15, 2
	s_cbranch_scc1 .LBB126_2883
; %bb.2880:
	s_cmp_lt_i32 s15, 3
	s_cbranch_scc1 .LBB126_2884
; %bb.2881:
	s_cmp_gt_i32 s15, 3
	s_cbranch_scc0 .LBB126_2885
; %bb.2882:
	s_wait_loadcnt 0x0
	global_load_b64 v[12:13], v[20:21], off
	s_mov_b32 s20, 0
	s_branch .LBB126_2886
.LBB126_2883:
	s_mov_b32 s20, -1
                                        ; implicit-def: $vgpr12_vgpr13
	s_branch .LBB126_2892
.LBB126_2884:
	s_mov_b32 s20, -1
                                        ; implicit-def: $vgpr12_vgpr13
	s_branch .LBB126_2889
.LBB126_2885:
	s_mov_b32 s20, -1
                                        ; implicit-def: $vgpr12_vgpr13
.LBB126_2886:
	s_delay_alu instid0(SALU_CYCLE_1)
	s_and_not1_b32 vcc_lo, exec_lo, s20
	s_cbranch_vccnz .LBB126_2888
; %bb.2887:
	s_wait_loadcnt 0x0
	global_load_b32 v12, v[20:21], off
	s_wait_loadcnt 0x0
	v_ashrrev_i32_e32 v13, 31, v12
.LBB126_2888:
	s_mov_b32 s20, 0
.LBB126_2889:
	s_delay_alu instid0(SALU_CYCLE_1)
	s_and_not1_b32 vcc_lo, exec_lo, s20
	s_cbranch_vccnz .LBB126_2891
; %bb.2890:
	s_wait_loadcnt 0x0
	global_load_u16 v12, v[20:21], off
	s_wait_loadcnt 0x0
	v_bfe_i32 v12, v12, 0, 16
	s_delay_alu instid0(VALU_DEP_1)
	v_ashrrev_i32_e32 v13, 31, v12
.LBB126_2891:
	s_mov_b32 s20, 0
.LBB126_2892:
	s_delay_alu instid0(SALU_CYCLE_1)
	s_and_not1_b32 vcc_lo, exec_lo, s20
	s_cbranch_vccnz .LBB126_2898
; %bb.2893:
	s_cmp_gt_i32 s15, 0
	s_mov_b32 s15, 0
	s_cbranch_scc0 .LBB126_2895
; %bb.2894:
	s_wait_loadcnt 0x0
	global_load_i8 v12, v[20:21], off
	s_wait_loadcnt 0x0
	v_bfe_i32 v12, v12, 0, 16
	s_delay_alu instid0(VALU_DEP_1)
	v_ashrrev_i32_e32 v13, 31, v12
	s_branch .LBB126_2896
.LBB126_2895:
	s_mov_b32 s15, -1
                                        ; implicit-def: $vgpr12_vgpr13
.LBB126_2896:
	s_delay_alu instid0(SALU_CYCLE_1)
	s_and_not1_b32 vcc_lo, exec_lo, s15
	s_cbranch_vccnz .LBB126_2898
; %bb.2897:
	s_wait_loadcnt 0x0
	global_load_u8 v12, v[20:21], off
	s_mov_b32 s15, 0
	s_delay_alu instid0(SALU_CYCLE_1)
	v_mov_b32_e32 v13, s15
	s_wait_loadcnt 0x0
	v_and_b32_e32 v12, 0xffff, v12
.LBB126_2898:
	s_mov_b32 s22, -1
.LBB126_2899:
	s_delay_alu instid0(SALU_CYCLE_1)
	s_and_not1_b32 vcc_lo, exec_lo, s22
	s_cbranch_vccnz .LBB126_3968
; %bb.2900:
	s_wait_xcnt 0x0
	v_add_nc_u32_e32 v20, s13, v14
	s_cmp_lt_i32 s3, 11
	s_delay_alu instid0(VALU_DEP_1) | instskip(NEXT) | instid1(VALU_DEP_1)
	v_ashrrev_i32_e32 v21, 31, v20
	v_add_nc_u64_e32 v[22:23], s[8:9], v[20:21]
	s_cbranch_scc1 .LBB126_2907
; %bb.2901:
	s_and_b32 s15, 0xffff, s3
	s_mov_b32 s21, 0
	s_cmp_gt_i32 s15, 25
	s_cbranch_scc0 .LBB126_2908
; %bb.2902:
	s_cmp_gt_i32 s15, 28
	s_cbranch_scc0 .LBB126_2909
; %bb.2903:
	;; [unrolled: 3-line block ×4, first 2 shown]
	s_cmp_eq_u32 s15, 46
	s_mov_b32 s23, 0
	s_cbranch_scc0 .LBB126_2913
; %bb.2906:
	global_load_b32 v14, v[22:23], off
	s_mov_b32 s20, 0
	s_mov_b32 s22, -1
	s_wait_loadcnt 0x0
	v_lshlrev_b32_e32 v14, 16, v14
	s_delay_alu instid0(VALU_DEP_1) | instskip(NEXT) | instid1(VALU_DEP_1)
	v_trunc_f32_e32 v14, v14
	v_mul_f32_e64 v15, 0x2f800000, |v14|
	s_delay_alu instid0(VALU_DEP_1) | instskip(NEXT) | instid1(VALU_DEP_1)
	v_floor_f32_e32 v15, v15
	v_fma_f32 v17, 0xcf800000, v15, |v14|
	v_ashrrev_i32_e32 v14, 31, v14
	v_cvt_u32_f32_e32 v19, v15
	s_delay_alu instid0(VALU_DEP_3) | instskip(NEXT) | instid1(VALU_DEP_2)
	v_cvt_u32_f32_e32 v17, v17
	v_dual_mov_b32 v15, v14 :: v_dual_bitop2_b32 v25, v19, v14 bitop3:0x14
	s_delay_alu instid0(VALU_DEP_2) | instskip(NEXT) | instid1(VALU_DEP_1)
	v_xor_b32_e32 v24, v17, v14
	v_sub_nc_u64_e32 v[14:15], v[24:25], v[14:15]
	s_branch .LBB126_2915
.LBB126_2907:
	s_mov_b32 s15, -1
	s_mov_b32 s22, 0
                                        ; implicit-def: $vgpr14_vgpr15
	s_branch .LBB126_2977
.LBB126_2908:
	s_mov_b32 s23, -1
	s_mov_b32 s22, 0
	s_mov_b32 s20, 0
                                        ; implicit-def: $vgpr14_vgpr15
	s_branch .LBB126_2942
.LBB126_2909:
	s_mov_b32 s23, -1
	s_mov_b32 s22, 0
	s_mov_b32 s20, 0
                                        ; implicit-def: $vgpr14_vgpr15
	s_branch .LBB126_2925
.LBB126_2910:
	s_mov_b32 s23, -1
	s_mov_b32 s22, 0
	s_mov_b32 s20, 0
                                        ; implicit-def: $vgpr14_vgpr15
	s_branch .LBB126_2920
.LBB126_2911:
	s_or_b32 s16, s16, exec_lo
	s_trap 2
	s_cbranch_execz .LBB126_2848
	s_branch .LBB126_2849
.LBB126_2912:
	s_mov_b32 s23, -1
	s_mov_b32 s22, 0
	s_mov_b32 s20, 0
	s_branch .LBB126_2914
.LBB126_2913:
	s_mov_b32 s20, -1
	s_mov_b32 s22, 0
.LBB126_2914:
                                        ; implicit-def: $vgpr14_vgpr15
.LBB126_2915:
	s_and_b32 vcc_lo, exec_lo, s23
	s_cbranch_vccz .LBB126_2919
; %bb.2916:
	s_cmp_eq_u32 s15, 44
	s_cbranch_scc0 .LBB126_2918
; %bb.2917:
	global_load_u8 v17, v[22:23], off
	s_mov_b32 s20, 0
	s_mov_b32 s22, -1
	s_wait_loadcnt 0x0
	v_cmp_ne_u32_e32 vcc_lo, 0, v17
	v_lshlrev_b32_e32 v14, 23, v17
	s_delay_alu instid0(VALU_DEP_1) | instskip(NEXT) | instid1(VALU_DEP_1)
	v_trunc_f32_e32 v14, v14
	v_mul_f32_e64 v15, 0x2f800000, |v14|
	s_delay_alu instid0(VALU_DEP_1) | instskip(NEXT) | instid1(VALU_DEP_1)
	v_floor_f32_e32 v15, v15
	v_fma_f32 v19, 0xcf800000, v15, |v14|
	v_ashrrev_i32_e32 v14, 31, v14
	v_cvt_u32_f32_e32 v21, v15
	s_delay_alu instid0(VALU_DEP_3) | instskip(NEXT) | instid1(VALU_DEP_2)
	v_cvt_u32_f32_e32 v19, v19
	v_dual_mov_b32 v15, v14 :: v_dual_bitop2_b32 v25, v21, v14 bitop3:0x14
	s_delay_alu instid0(VALU_DEP_2) | instskip(NEXT) | instid1(VALU_DEP_1)
	v_xor_b32_e32 v24, v19, v14
	v_sub_nc_u64_e32 v[14:15], v[24:25], v[14:15]
	s_delay_alu instid0(VALU_DEP_1)
	v_dual_cndmask_b32 v15, 0, v15 :: v_dual_cndmask_b32 v14, 0, v14
	s_branch .LBB126_2919
.LBB126_2918:
	s_mov_b32 s20, -1
                                        ; implicit-def: $vgpr14_vgpr15
.LBB126_2919:
	s_mov_b32 s23, 0
.LBB126_2920:
	s_delay_alu instid0(SALU_CYCLE_1)
	s_and_b32 vcc_lo, exec_lo, s23
	s_cbranch_vccz .LBB126_2924
; %bb.2921:
	s_cmp_eq_u32 s15, 29
	s_cbranch_scc0 .LBB126_2923
; %bb.2922:
	global_load_b64 v[14:15], v[22:23], off
	s_mov_b32 s20, 0
	s_mov_b32 s22, -1
	s_branch .LBB126_2924
.LBB126_2923:
	s_mov_b32 s20, -1
                                        ; implicit-def: $vgpr14_vgpr15
.LBB126_2924:
	s_mov_b32 s23, 0
.LBB126_2925:
	s_delay_alu instid0(SALU_CYCLE_1)
	s_and_b32 vcc_lo, exec_lo, s23
	s_cbranch_vccz .LBB126_2941
; %bb.2926:
	s_cmp_lt_i32 s15, 27
	s_cbranch_scc1 .LBB126_2929
; %bb.2927:
	s_cmp_gt_i32 s15, 27
	s_cbranch_scc0 .LBB126_2930
; %bb.2928:
	s_wait_loadcnt 0x0
	global_load_b32 v14, v[22:23], off
	v_mov_b32_e32 v15, 0
	s_mov_b32 s22, 0
	s_branch .LBB126_2931
.LBB126_2929:
	s_mov_b32 s22, -1
                                        ; implicit-def: $vgpr14_vgpr15
	s_branch .LBB126_2934
.LBB126_2930:
	s_mov_b32 s22, -1
                                        ; implicit-def: $vgpr14_vgpr15
.LBB126_2931:
	s_delay_alu instid0(SALU_CYCLE_1)
	s_and_not1_b32 vcc_lo, exec_lo, s22
	s_cbranch_vccnz .LBB126_2933
; %bb.2932:
	s_wait_loadcnt 0x0
	global_load_u16 v14, v[22:23], off
	s_mov_b32 s22, 0
	s_delay_alu instid0(SALU_CYCLE_1)
	v_mov_b32_e32 v15, s22
	s_wait_loadcnt 0x0
	v_and_b32_e32 v14, 0xffff, v14
.LBB126_2933:
	s_mov_b32 s22, 0
.LBB126_2934:
	s_delay_alu instid0(SALU_CYCLE_1)
	s_and_not1_b32 vcc_lo, exec_lo, s22
	s_cbranch_vccnz .LBB126_2940
; %bb.2935:
	global_load_u8 v17, v[22:23], off
	s_mov_b32 s23, 0
	s_mov_b32 s22, exec_lo
	s_wait_loadcnt 0x0
	v_cmpx_lt_i16_e32 0x7f, v17
	s_xor_b32 s22, exec_lo, s22
	s_cbranch_execz .LBB126_2952
; %bb.2936:
	v_cmp_ne_u16_e32 vcc_lo, 0x80, v17
	s_and_b32 s23, vcc_lo, exec_lo
	s_and_not1_saveexec_b32 s22, s22
	s_cbranch_execnz .LBB126_2953
.LBB126_2937:
	s_or_b32 exec_lo, exec_lo, s22
	v_mov_b64_e32 v[14:15], 0
	s_and_saveexec_b32 s22, s23
	s_cbranch_execz .LBB126_2939
.LBB126_2938:
	v_and_b32_e32 v14, 0xffff, v17
	s_delay_alu instid0(VALU_DEP_1) | instskip(SKIP_1) | instid1(VALU_DEP_2)
	v_and_b32_e32 v15, 7, v14
	v_bfe_u32 v24, v14, 3, 4
	v_clz_i32_u32_e32 v19, v15
	s_delay_alu instid0(VALU_DEP_2) | instskip(NEXT) | instid1(VALU_DEP_2)
	v_cmp_eq_u32_e32 vcc_lo, 0, v24
	v_min_u32_e32 v19, 32, v19
	s_delay_alu instid0(VALU_DEP_1) | instskip(NEXT) | instid1(VALU_DEP_1)
	v_subrev_nc_u32_e32 v21, 28, v19
	v_dual_lshlrev_b32 v14, v21, v14 :: v_dual_sub_nc_u32 v19, 29, v19
	s_delay_alu instid0(VALU_DEP_1) | instskip(NEXT) | instid1(VALU_DEP_1)
	v_dual_lshlrev_b32 v17, 24, v17 :: v_dual_bitop2_b32 v14, 7, v14 bitop3:0x40
	v_dual_cndmask_b32 v19, v24, v19 :: v_dual_cndmask_b32 v14, v15, v14
	s_delay_alu instid0(VALU_DEP_2) | instskip(NEXT) | instid1(VALU_DEP_2)
	v_and_b32_e32 v15, 0x80000000, v17
	v_lshl_add_u32 v17, v19, 23, 0x3b800000
	s_delay_alu instid0(VALU_DEP_3) | instskip(NEXT) | instid1(VALU_DEP_1)
	v_lshlrev_b32_e32 v14, 20, v14
	v_or3_b32 v14, v15, v17, v14
	s_delay_alu instid0(VALU_DEP_1) | instskip(NEXT) | instid1(VALU_DEP_1)
	v_trunc_f32_e32 v14, v14
	v_mul_f32_e64 v15, 0x2f800000, |v14|
	s_delay_alu instid0(VALU_DEP_1) | instskip(NEXT) | instid1(VALU_DEP_1)
	v_floor_f32_e32 v15, v15
	v_fma_f32 v17, 0xcf800000, v15, |v14|
	v_ashrrev_i32_e32 v14, 31, v14
	v_cvt_u32_f32_e32 v19, v15
	s_delay_alu instid0(VALU_DEP_3) | instskip(NEXT) | instid1(VALU_DEP_2)
	v_cvt_u32_f32_e32 v17, v17
	v_dual_mov_b32 v15, v14 :: v_dual_bitop2_b32 v25, v19, v14 bitop3:0x14
	s_delay_alu instid0(VALU_DEP_2) | instskip(NEXT) | instid1(VALU_DEP_1)
	v_xor_b32_e32 v24, v17, v14
	v_sub_nc_u64_e32 v[14:15], v[24:25], v[14:15]
.LBB126_2939:
	s_or_b32 exec_lo, exec_lo, s22
.LBB126_2940:
	s_mov_b32 s22, -1
.LBB126_2941:
	s_mov_b32 s23, 0
.LBB126_2942:
	s_delay_alu instid0(SALU_CYCLE_1)
	s_and_b32 vcc_lo, exec_lo, s23
	s_cbranch_vccz .LBB126_2973
; %bb.2943:
	s_cmp_gt_i32 s15, 22
	s_cbranch_scc0 .LBB126_2951
; %bb.2944:
	s_cmp_lt_i32 s15, 24
	s_cbranch_scc1 .LBB126_2954
; %bb.2945:
	s_cmp_gt_i32 s15, 24
	s_cbranch_scc0 .LBB126_2955
; %bb.2946:
	global_load_u8 v17, v[22:23], off
	s_mov_b32 s22, 0
	s_mov_b32 s21, exec_lo
	s_wait_loadcnt 0x0
	v_cmpx_lt_i16_e32 0x7f, v17
	s_xor_b32 s21, exec_lo, s21
	s_cbranch_execz .LBB126_2967
; %bb.2947:
	v_cmp_ne_u16_e32 vcc_lo, 0x80, v17
	s_and_b32 s22, vcc_lo, exec_lo
	s_and_not1_saveexec_b32 s21, s21
	s_cbranch_execnz .LBB126_2968
.LBB126_2948:
	s_or_b32 exec_lo, exec_lo, s21
	v_mov_b64_e32 v[14:15], 0
	s_and_saveexec_b32 s21, s22
	s_cbranch_execz .LBB126_2950
.LBB126_2949:
	v_and_b32_e32 v14, 0xffff, v17
	s_delay_alu instid0(VALU_DEP_1) | instskip(SKIP_1) | instid1(VALU_DEP_2)
	v_and_b32_e32 v15, 3, v14
	v_bfe_u32 v24, v14, 2, 5
	v_clz_i32_u32_e32 v19, v15
	s_delay_alu instid0(VALU_DEP_2) | instskip(NEXT) | instid1(VALU_DEP_2)
	v_cmp_eq_u32_e32 vcc_lo, 0, v24
	v_min_u32_e32 v19, 32, v19
	s_delay_alu instid0(VALU_DEP_1) | instskip(NEXT) | instid1(VALU_DEP_1)
	v_subrev_nc_u32_e32 v21, 29, v19
	v_dual_lshlrev_b32 v14, v21, v14 :: v_dual_sub_nc_u32 v19, 30, v19
	s_delay_alu instid0(VALU_DEP_1) | instskip(NEXT) | instid1(VALU_DEP_1)
	v_dual_lshlrev_b32 v17, 24, v17 :: v_dual_bitop2_b32 v14, 3, v14 bitop3:0x40
	v_dual_cndmask_b32 v19, v24, v19 :: v_dual_cndmask_b32 v14, v15, v14
	s_delay_alu instid0(VALU_DEP_2) | instskip(NEXT) | instid1(VALU_DEP_2)
	v_and_b32_e32 v15, 0x80000000, v17
	v_lshl_add_u32 v17, v19, 23, 0x37800000
	s_delay_alu instid0(VALU_DEP_3) | instskip(NEXT) | instid1(VALU_DEP_1)
	v_lshlrev_b32_e32 v14, 21, v14
	v_or3_b32 v14, v15, v17, v14
	s_delay_alu instid0(VALU_DEP_1) | instskip(NEXT) | instid1(VALU_DEP_1)
	v_trunc_f32_e32 v14, v14
	v_mul_f32_e64 v15, 0x2f800000, |v14|
	s_delay_alu instid0(VALU_DEP_1) | instskip(NEXT) | instid1(VALU_DEP_1)
	v_floor_f32_e32 v15, v15
	v_fma_f32 v17, 0xcf800000, v15, |v14|
	v_ashrrev_i32_e32 v14, 31, v14
	v_cvt_u32_f32_e32 v19, v15
	s_delay_alu instid0(VALU_DEP_3) | instskip(NEXT) | instid1(VALU_DEP_2)
	v_cvt_u32_f32_e32 v17, v17
	v_dual_mov_b32 v15, v14 :: v_dual_bitop2_b32 v25, v19, v14 bitop3:0x14
	s_delay_alu instid0(VALU_DEP_2) | instskip(NEXT) | instid1(VALU_DEP_1)
	v_xor_b32_e32 v24, v17, v14
	v_sub_nc_u64_e32 v[14:15], v[24:25], v[14:15]
.LBB126_2950:
	s_or_b32 exec_lo, exec_lo, s21
	s_mov_b32 s21, 0
	s_branch .LBB126_2956
.LBB126_2951:
	s_mov_b32 s21, -1
                                        ; implicit-def: $vgpr14_vgpr15
	s_branch .LBB126_2962
.LBB126_2952:
	s_and_not1_saveexec_b32 s22, s22
	s_cbranch_execz .LBB126_2937
.LBB126_2953:
	v_cmp_ne_u16_e32 vcc_lo, 0, v17
	s_and_not1_b32 s23, s23, exec_lo
	s_and_b32 s24, vcc_lo, exec_lo
	s_delay_alu instid0(SALU_CYCLE_1)
	s_or_b32 s23, s23, s24
	s_or_b32 exec_lo, exec_lo, s22
	v_mov_b64_e32 v[14:15], 0
	s_and_saveexec_b32 s22, s23
	s_cbranch_execnz .LBB126_2938
	s_branch .LBB126_2939
.LBB126_2954:
	s_mov_b32 s21, -1
                                        ; implicit-def: $vgpr14_vgpr15
	s_branch .LBB126_2959
.LBB126_2955:
	s_mov_b32 s21, -1
                                        ; implicit-def: $vgpr14_vgpr15
.LBB126_2956:
	s_delay_alu instid0(SALU_CYCLE_1)
	s_and_b32 vcc_lo, exec_lo, s21
	s_cbranch_vccz .LBB126_2958
; %bb.2957:
	s_wait_loadcnt 0x0
	global_load_u8 v14, v[22:23], off
	s_wait_loadcnt 0x0
	v_lshlrev_b32_e32 v14, 24, v14
	s_delay_alu instid0(VALU_DEP_1) | instskip(NEXT) | instid1(VALU_DEP_1)
	v_and_b32_e32 v15, 0x7f000000, v14
	v_clz_i32_u32_e32 v17, v15
	v_add_nc_u32_e32 v21, 0x1000000, v15
	v_cmp_ne_u32_e32 vcc_lo, 0, v15
	s_delay_alu instid0(VALU_DEP_3) | instskip(NEXT) | instid1(VALU_DEP_1)
	v_min_u32_e32 v17, 32, v17
	v_sub_nc_u32_e64 v17, v17, 4 clamp
	s_delay_alu instid0(VALU_DEP_1) | instskip(NEXT) | instid1(VALU_DEP_1)
	v_dual_lshlrev_b32 v19, v17, v15 :: v_dual_lshlrev_b32 v17, 23, v17
	v_lshrrev_b32_e32 v19, 4, v19
	s_delay_alu instid0(VALU_DEP_1) | instskip(SKIP_1) | instid1(VALU_DEP_2)
	v_sub_nc_u32_e32 v17, v19, v17
	v_ashrrev_i32_e32 v19, 8, v21
	v_add_nc_u32_e32 v17, 0x3c000000, v17
	s_delay_alu instid0(VALU_DEP_1) | instskip(NEXT) | instid1(VALU_DEP_1)
	v_and_or_b32 v17, 0x7f800000, v19, v17
	v_cndmask_b32_e32 v15, 0, v17, vcc_lo
	s_delay_alu instid0(VALU_DEP_1) | instskip(NEXT) | instid1(VALU_DEP_1)
	v_and_or_b32 v14, 0x80000000, v14, v15
	v_trunc_f32_e32 v14, v14
	s_delay_alu instid0(VALU_DEP_1) | instskip(NEXT) | instid1(VALU_DEP_1)
	v_mul_f32_e64 v15, 0x2f800000, |v14|
	v_floor_f32_e32 v15, v15
	s_delay_alu instid0(VALU_DEP_1) | instskip(SKIP_2) | instid1(VALU_DEP_3)
	v_fma_f32 v17, 0xcf800000, v15, |v14|
	v_ashrrev_i32_e32 v14, 31, v14
	v_cvt_u32_f32_e32 v19, v15
	v_cvt_u32_f32_e32 v17, v17
	s_delay_alu instid0(VALU_DEP_2) | instskip(NEXT) | instid1(VALU_DEP_2)
	v_dual_mov_b32 v15, v14 :: v_dual_bitop2_b32 v25, v19, v14 bitop3:0x14
	v_xor_b32_e32 v24, v17, v14
	s_delay_alu instid0(VALU_DEP_1)
	v_sub_nc_u64_e32 v[14:15], v[24:25], v[14:15]
.LBB126_2958:
	s_mov_b32 s21, 0
.LBB126_2959:
	s_delay_alu instid0(SALU_CYCLE_1)
	s_and_not1_b32 vcc_lo, exec_lo, s21
	s_cbranch_vccnz .LBB126_2961
; %bb.2960:
	s_wait_loadcnt 0x0
	global_load_u8 v14, v[22:23], off
	s_wait_loadcnt 0x0
	v_lshlrev_b32_e32 v15, 25, v14
	v_lshlrev_b16 v14, 8, v14
	s_delay_alu instid0(VALU_DEP_1) | instskip(SKIP_1) | instid1(VALU_DEP_2)
	v_and_or_b32 v19, 0x7f00, v14, 0.5
	v_bfe_i32 v14, v14, 0, 16
	v_add_f32_e32 v19, -0.5, v19
	v_lshrrev_b32_e32 v17, 4, v15
	v_cmp_gt_u32_e32 vcc_lo, 0x8000000, v15
	s_delay_alu instid0(VALU_DEP_2) | instskip(NEXT) | instid1(VALU_DEP_1)
	v_or_b32_e32 v17, 0x70000000, v17
	v_mul_f32_e32 v17, 0x7800000, v17
	s_delay_alu instid0(VALU_DEP_1) | instskip(NEXT) | instid1(VALU_DEP_1)
	v_cndmask_b32_e32 v15, v17, v19, vcc_lo
	v_and_or_b32 v14, 0x80000000, v14, v15
	s_delay_alu instid0(VALU_DEP_1) | instskip(NEXT) | instid1(VALU_DEP_1)
	v_trunc_f32_e32 v14, v14
	v_mul_f32_e64 v15, 0x2f800000, |v14|
	s_delay_alu instid0(VALU_DEP_1) | instskip(NEXT) | instid1(VALU_DEP_1)
	v_floor_f32_e32 v15, v15
	v_fma_f32 v17, 0xcf800000, v15, |v14|
	v_ashrrev_i32_e32 v14, 31, v14
	v_cvt_u32_f32_e32 v19, v15
	s_delay_alu instid0(VALU_DEP_3) | instskip(NEXT) | instid1(VALU_DEP_2)
	v_cvt_u32_f32_e32 v17, v17
	v_dual_mov_b32 v15, v14 :: v_dual_bitop2_b32 v25, v19, v14 bitop3:0x14
	s_delay_alu instid0(VALU_DEP_2) | instskip(NEXT) | instid1(VALU_DEP_1)
	v_xor_b32_e32 v24, v17, v14
	v_sub_nc_u64_e32 v[14:15], v[24:25], v[14:15]
.LBB126_2961:
	s_mov_b32 s21, 0
	s_mov_b32 s22, -1
.LBB126_2962:
	s_and_not1_b32 vcc_lo, exec_lo, s21
	s_mov_b32 s21, 0
	s_cbranch_vccnz .LBB126_2973
; %bb.2963:
	s_cmp_gt_i32 s15, 14
	s_cbranch_scc0 .LBB126_2966
; %bb.2964:
	s_cmp_eq_u32 s15, 15
	s_cbranch_scc0 .LBB126_2969
; %bb.2965:
	s_wait_loadcnt 0x0
	global_load_u16 v14, v[22:23], off
	s_mov_b32 s20, 0
	s_mov_b32 s22, -1
	s_wait_loadcnt 0x0
	v_lshlrev_b32_e32 v14, 16, v14
	s_delay_alu instid0(VALU_DEP_1) | instskip(NEXT) | instid1(VALU_DEP_1)
	v_trunc_f32_e32 v14, v14
	v_mul_f32_e64 v15, 0x2f800000, |v14|
	s_delay_alu instid0(VALU_DEP_1) | instskip(NEXT) | instid1(VALU_DEP_1)
	v_floor_f32_e32 v15, v15
	v_fma_f32 v17, 0xcf800000, v15, |v14|
	v_ashrrev_i32_e32 v14, 31, v14
	v_cvt_u32_f32_e32 v19, v15
	s_delay_alu instid0(VALU_DEP_3) | instskip(NEXT) | instid1(VALU_DEP_2)
	v_cvt_u32_f32_e32 v17, v17
	v_dual_mov_b32 v15, v14 :: v_dual_bitop2_b32 v25, v19, v14 bitop3:0x14
	s_delay_alu instid0(VALU_DEP_2) | instskip(NEXT) | instid1(VALU_DEP_1)
	v_xor_b32_e32 v24, v17, v14
	v_sub_nc_u64_e32 v[14:15], v[24:25], v[14:15]
	s_branch .LBB126_2971
.LBB126_2966:
	s_mov_b32 s21, -1
	s_branch .LBB126_2970
.LBB126_2967:
	s_and_not1_saveexec_b32 s21, s21
	s_cbranch_execz .LBB126_2948
.LBB126_2968:
	v_cmp_ne_u16_e32 vcc_lo, 0, v17
	s_and_not1_b32 s22, s22, exec_lo
	s_and_b32 s23, vcc_lo, exec_lo
	s_delay_alu instid0(SALU_CYCLE_1)
	s_or_b32 s22, s22, s23
	s_or_b32 exec_lo, exec_lo, s21
	v_mov_b64_e32 v[14:15], 0
	s_and_saveexec_b32 s21, s22
	s_cbranch_execnz .LBB126_2949
	s_branch .LBB126_2950
.LBB126_2969:
	s_mov_b32 s20, -1
.LBB126_2970:
                                        ; implicit-def: $vgpr14_vgpr15
.LBB126_2971:
	s_and_b32 vcc_lo, exec_lo, s21
	s_mov_b32 s21, 0
	s_cbranch_vccz .LBB126_2973
; %bb.2972:
	s_cmp_lg_u32 s15, 11
	s_mov_b32 s21, -1
	s_cselect_b32 s20, -1, 0
.LBB126_2973:
	s_delay_alu instid0(SALU_CYCLE_1)
	s_and_b32 vcc_lo, exec_lo, s20
	s_cbranch_vccnz .LBB126_3038
; %bb.2974:
	s_and_not1_b32 vcc_lo, exec_lo, s21
	s_cbranch_vccnz .LBB126_2976
.LBB126_2975:
	s_wait_loadcnt 0x0
	global_load_u8 v14, v[22:23], off
	s_mov_b32 s15, 0
	s_mov_b32 s22, -1
	v_mov_b32_e32 v15, s15
	s_wait_loadcnt 0x0
	v_cmp_ne_u16_e32 vcc_lo, 0, v14
	v_cndmask_b32_e64 v14, 0, 1, vcc_lo
.LBB126_2976:
	s_mov_b32 s15, 0
.LBB126_2977:
	s_delay_alu instid0(SALU_CYCLE_1)
	s_and_b32 vcc_lo, exec_lo, s15
	s_cbranch_vccz .LBB126_3026
; %bb.2978:
	s_and_b32 s15, 0xffff, s3
	s_delay_alu instid0(SALU_CYCLE_1)
	s_cmp_lt_i32 s15, 5
	s_cbranch_scc1 .LBB126_2983
; %bb.2979:
	s_cmp_lt_i32 s15, 8
	s_cbranch_scc1 .LBB126_2984
; %bb.2980:
	;; [unrolled: 3-line block ×3, first 2 shown]
	s_cmp_gt_i32 s15, 9
	s_cbranch_scc0 .LBB126_2986
; %bb.2982:
	s_wait_loadcnt 0x0
	global_load_b64 v[14:15], v[22:23], off
	s_mov_b32 s20, 0
	s_wait_loadcnt 0x0
	v_trunc_f64_e32 v[14:15], v[14:15]
	s_delay_alu instid0(VALU_DEP_1) | instskip(NEXT) | instid1(VALU_DEP_1)
	v_ldexp_f64 v[24:25], v[14:15], 0xffffffe0
	v_floor_f64_e32 v[24:25], v[24:25]
	s_delay_alu instid0(VALU_DEP_1) | instskip(SKIP_1) | instid1(VALU_DEP_2)
	v_fmamk_f64 v[28:29], v[24:25], 0xc1f00000, v[14:15]
	v_cvt_i32_f64_e32 v15, v[24:25]
	v_cvt_u32_f64_e32 v14, v[28:29]
	s_branch .LBB126_2987
.LBB126_2983:
	s_mov_b32 s20, -1
                                        ; implicit-def: $vgpr14_vgpr15
	s_branch .LBB126_3005
.LBB126_2984:
	s_mov_b32 s20, -1
                                        ; implicit-def: $vgpr14_vgpr15
	s_branch .LBB126_2993
.LBB126_2985:
	s_mov_b32 s20, -1
                                        ; implicit-def: $vgpr14_vgpr15
	s_branch .LBB126_2990
.LBB126_2986:
	s_mov_b32 s20, -1
                                        ; implicit-def: $vgpr14_vgpr15
.LBB126_2987:
	s_delay_alu instid0(SALU_CYCLE_1)
	s_and_not1_b32 vcc_lo, exec_lo, s20
	s_cbranch_vccnz .LBB126_2989
; %bb.2988:
	s_wait_loadcnt 0x0
	global_load_b32 v14, v[22:23], off
	s_wait_loadcnt 0x0
	v_trunc_f32_e32 v14, v14
	s_delay_alu instid0(VALU_DEP_1) | instskip(NEXT) | instid1(VALU_DEP_1)
	v_mul_f32_e64 v15, 0x2f800000, |v14|
	v_floor_f32_e32 v15, v15
	s_delay_alu instid0(VALU_DEP_1) | instskip(SKIP_2) | instid1(VALU_DEP_3)
	v_fma_f32 v17, 0xcf800000, v15, |v14|
	v_ashrrev_i32_e32 v14, 31, v14
	v_cvt_u32_f32_e32 v19, v15
	v_cvt_u32_f32_e32 v17, v17
	s_delay_alu instid0(VALU_DEP_2) | instskip(NEXT) | instid1(VALU_DEP_2)
	v_dual_mov_b32 v15, v14 :: v_dual_bitop2_b32 v25, v19, v14 bitop3:0x14
	v_xor_b32_e32 v24, v17, v14
	s_delay_alu instid0(VALU_DEP_1)
	v_sub_nc_u64_e32 v[14:15], v[24:25], v[14:15]
.LBB126_2989:
	s_mov_b32 s20, 0
.LBB126_2990:
	s_delay_alu instid0(SALU_CYCLE_1)
	s_and_not1_b32 vcc_lo, exec_lo, s20
	s_cbranch_vccnz .LBB126_2992
; %bb.2991:
	s_wait_loadcnt 0x0
	global_load_b32 v14, v[22:23], off
	s_wait_loadcnt 0x0
	v_cvt_f32_f16_e32 v14, v14
	s_delay_alu instid0(VALU_DEP_1) | instskip(NEXT) | instid1(VALU_DEP_1)
	v_cvt_i32_f32_e32 v14, v14
	v_ashrrev_i32_e32 v15, 31, v14
.LBB126_2992:
	s_mov_b32 s20, 0
.LBB126_2993:
	s_delay_alu instid0(SALU_CYCLE_1)
	s_and_not1_b32 vcc_lo, exec_lo, s20
	s_cbranch_vccnz .LBB126_3004
; %bb.2994:
	s_cmp_lt_i32 s15, 6
	s_cbranch_scc1 .LBB126_2997
; %bb.2995:
	s_cmp_gt_i32 s15, 6
	s_cbranch_scc0 .LBB126_2998
; %bb.2996:
	s_wait_loadcnt 0x0
	global_load_b64 v[14:15], v[22:23], off
	s_mov_b32 s20, 0
	s_wait_loadcnt 0x0
	v_trunc_f64_e32 v[14:15], v[14:15]
	s_delay_alu instid0(VALU_DEP_1) | instskip(NEXT) | instid1(VALU_DEP_1)
	v_ldexp_f64 v[24:25], v[14:15], 0xffffffe0
	v_floor_f64_e32 v[24:25], v[24:25]
	s_delay_alu instid0(VALU_DEP_1) | instskip(SKIP_1) | instid1(VALU_DEP_2)
	v_fmamk_f64 v[28:29], v[24:25], 0xc1f00000, v[14:15]
	v_cvt_i32_f64_e32 v15, v[24:25]
	v_cvt_u32_f64_e32 v14, v[28:29]
	s_branch .LBB126_2999
.LBB126_2997:
	s_mov_b32 s20, -1
                                        ; implicit-def: $vgpr14_vgpr15
	s_branch .LBB126_3002
.LBB126_2998:
	s_mov_b32 s20, -1
                                        ; implicit-def: $vgpr14_vgpr15
.LBB126_2999:
	s_delay_alu instid0(SALU_CYCLE_1)
	s_and_not1_b32 vcc_lo, exec_lo, s20
	s_cbranch_vccnz .LBB126_3001
; %bb.3000:
	s_wait_loadcnt 0x0
	global_load_b32 v14, v[22:23], off
	s_wait_loadcnt 0x0
	v_trunc_f32_e32 v14, v14
	s_delay_alu instid0(VALU_DEP_1) | instskip(NEXT) | instid1(VALU_DEP_1)
	v_mul_f32_e64 v15, 0x2f800000, |v14|
	v_floor_f32_e32 v15, v15
	s_delay_alu instid0(VALU_DEP_1) | instskip(SKIP_2) | instid1(VALU_DEP_3)
	v_fma_f32 v17, 0xcf800000, v15, |v14|
	v_ashrrev_i32_e32 v14, 31, v14
	v_cvt_u32_f32_e32 v19, v15
	v_cvt_u32_f32_e32 v17, v17
	s_delay_alu instid0(VALU_DEP_2) | instskip(NEXT) | instid1(VALU_DEP_2)
	v_dual_mov_b32 v15, v14 :: v_dual_bitop2_b32 v25, v19, v14 bitop3:0x14
	v_xor_b32_e32 v24, v17, v14
	s_delay_alu instid0(VALU_DEP_1)
	v_sub_nc_u64_e32 v[14:15], v[24:25], v[14:15]
.LBB126_3001:
	s_mov_b32 s20, 0
.LBB126_3002:
	s_delay_alu instid0(SALU_CYCLE_1)
	s_and_not1_b32 vcc_lo, exec_lo, s20
	s_cbranch_vccnz .LBB126_3004
; %bb.3003:
	s_wait_loadcnt 0x0
	global_load_u16 v14, v[22:23], off
	s_wait_loadcnt 0x0
	v_cvt_f32_f16_e32 v14, v14
	s_delay_alu instid0(VALU_DEP_1) | instskip(NEXT) | instid1(VALU_DEP_1)
	v_cvt_i32_f32_e32 v14, v14
	v_ashrrev_i32_e32 v15, 31, v14
.LBB126_3004:
	s_mov_b32 s20, 0
.LBB126_3005:
	s_delay_alu instid0(SALU_CYCLE_1)
	s_and_not1_b32 vcc_lo, exec_lo, s20
	s_cbranch_vccnz .LBB126_3025
; %bb.3006:
	s_cmp_lt_i32 s15, 2
	s_cbranch_scc1 .LBB126_3010
; %bb.3007:
	s_cmp_lt_i32 s15, 3
	s_cbranch_scc1 .LBB126_3011
; %bb.3008:
	s_cmp_gt_i32 s15, 3
	s_cbranch_scc0 .LBB126_3012
; %bb.3009:
	s_wait_loadcnt 0x0
	global_load_b64 v[14:15], v[22:23], off
	s_mov_b32 s20, 0
	s_branch .LBB126_3013
.LBB126_3010:
	s_mov_b32 s20, -1
                                        ; implicit-def: $vgpr14_vgpr15
	s_branch .LBB126_3019
.LBB126_3011:
	s_mov_b32 s20, -1
                                        ; implicit-def: $vgpr14_vgpr15
	s_branch .LBB126_3016
.LBB126_3012:
	s_mov_b32 s20, -1
                                        ; implicit-def: $vgpr14_vgpr15
.LBB126_3013:
	s_delay_alu instid0(SALU_CYCLE_1)
	s_and_not1_b32 vcc_lo, exec_lo, s20
	s_cbranch_vccnz .LBB126_3015
; %bb.3014:
	s_wait_loadcnt 0x0
	global_load_b32 v14, v[22:23], off
	s_wait_loadcnt 0x0
	v_ashrrev_i32_e32 v15, 31, v14
.LBB126_3015:
	s_mov_b32 s20, 0
.LBB126_3016:
	s_delay_alu instid0(SALU_CYCLE_1)
	s_and_not1_b32 vcc_lo, exec_lo, s20
	s_cbranch_vccnz .LBB126_3018
; %bb.3017:
	s_wait_loadcnt 0x0
	global_load_u16 v14, v[22:23], off
	s_wait_loadcnt 0x0
	v_bfe_i32 v14, v14, 0, 16
	s_delay_alu instid0(VALU_DEP_1)
	v_ashrrev_i32_e32 v15, 31, v14
.LBB126_3018:
	s_mov_b32 s20, 0
.LBB126_3019:
	s_delay_alu instid0(SALU_CYCLE_1)
	s_and_not1_b32 vcc_lo, exec_lo, s20
	s_cbranch_vccnz .LBB126_3025
; %bb.3020:
	s_cmp_gt_i32 s15, 0
	s_mov_b32 s15, 0
	s_cbranch_scc0 .LBB126_3022
; %bb.3021:
	s_wait_loadcnt 0x0
	global_load_i8 v14, v[22:23], off
	s_wait_loadcnt 0x0
	v_bfe_i32 v14, v14, 0, 16
	s_delay_alu instid0(VALU_DEP_1)
	v_ashrrev_i32_e32 v15, 31, v14
	s_branch .LBB126_3023
.LBB126_3022:
	s_mov_b32 s15, -1
                                        ; implicit-def: $vgpr14_vgpr15
.LBB126_3023:
	s_delay_alu instid0(SALU_CYCLE_1)
	s_and_not1_b32 vcc_lo, exec_lo, s15
	s_cbranch_vccnz .LBB126_3025
; %bb.3024:
	s_wait_loadcnt 0x0
	global_load_u8 v14, v[22:23], off
	s_mov_b32 s15, 0
	s_delay_alu instid0(SALU_CYCLE_1)
	v_mov_b32_e32 v15, s15
	s_wait_loadcnt 0x0
	v_and_b32_e32 v14, 0xffff, v14
.LBB126_3025:
	s_mov_b32 s22, -1
.LBB126_3026:
	s_delay_alu instid0(SALU_CYCLE_1)
	s_and_not1_b32 vcc_lo, exec_lo, s22
	s_cbranch_vccnz .LBB126_3968
; %bb.3027:
	s_wait_xcnt 0x0
	v_add_nc_u32_e32 v22, s14, v16
	s_cmp_lt_i32 s0, 11
	s_delay_alu instid0(VALU_DEP_1) | instskip(NEXT) | instid1(VALU_DEP_1)
	v_ashrrev_i32_e32 v23, 31, v22
	v_add_nc_u64_e32 v[24:25], s[10:11], v[22:23]
	s_cbranch_scc1 .LBB126_3034
; %bb.3028:
	s_cmp_gt_i32 s0, 25
	s_mov_b32 s20, 0
	s_cbranch_scc0 .LBB126_3035
; %bb.3029:
	s_cmp_gt_i32 s0, 28
	s_cbranch_scc0 .LBB126_3036
; %bb.3030:
	s_cmp_gt_i32 s0, 43
	;; [unrolled: 3-line block ×3, first 2 shown]
	s_cbranch_scc0 .LBB126_3039
; %bb.3032:
	s_cmp_eq_u32 s0, 46
	s_mov_b32 s22, 0
	s_cbranch_scc0 .LBB126_3040
; %bb.3033:
	global_load_b32 v16, v[24:25], off
	s_mov_b32 s15, 0
	s_mov_b32 s21, -1
	s_wait_loadcnt 0x0
	v_lshlrev_b32_e32 v16, 16, v16
	s_delay_alu instid0(VALU_DEP_1) | instskip(NEXT) | instid1(VALU_DEP_1)
	v_trunc_f32_e32 v16, v16
	v_mul_f32_e64 v17, 0x2f800000, |v16|
	s_delay_alu instid0(VALU_DEP_1) | instskip(NEXT) | instid1(VALU_DEP_1)
	v_floor_f32_e32 v17, v17
	v_fma_f32 v19, 0xcf800000, v17, |v16|
	v_ashrrev_i32_e32 v16, 31, v16
	v_cvt_u32_f32_e32 v21, v17
	s_delay_alu instid0(VALU_DEP_3) | instskip(NEXT) | instid1(VALU_DEP_2)
	v_cvt_u32_f32_e32 v19, v19
	v_dual_mov_b32 v17, v16 :: v_dual_bitop2_b32 v29, v21, v16 bitop3:0x14
	s_delay_alu instid0(VALU_DEP_2) | instskip(NEXT) | instid1(VALU_DEP_1)
	v_xor_b32_e32 v28, v19, v16
	v_sub_nc_u64_e32 v[16:17], v[28:29], v[16:17]
	s_branch .LBB126_3042
.LBB126_3034:
	s_mov_b32 s15, -1
	s_mov_b32 s21, 0
                                        ; implicit-def: $vgpr16_vgpr17
	s_branch .LBB126_3104
.LBB126_3035:
	s_mov_b32 s22, -1
	s_mov_b32 s21, 0
	s_mov_b32 s15, 0
                                        ; implicit-def: $vgpr16_vgpr17
	s_branch .LBB126_3069
.LBB126_3036:
	s_mov_b32 s22, -1
	s_mov_b32 s21, 0
	s_mov_b32 s15, 0
                                        ; implicit-def: $vgpr16_vgpr17
	s_branch .LBB126_3052
.LBB126_3037:
	s_mov_b32 s22, -1
	s_mov_b32 s21, 0
	s_mov_b32 s15, 0
                                        ; implicit-def: $vgpr16_vgpr17
	s_branch .LBB126_3047
.LBB126_3038:
	s_or_b32 s16, s16, exec_lo
	s_trap 2
	s_cbranch_execz .LBB126_2975
	s_branch .LBB126_2976
.LBB126_3039:
	s_mov_b32 s22, -1
	s_mov_b32 s21, 0
	s_mov_b32 s15, 0
	s_branch .LBB126_3041
.LBB126_3040:
	s_mov_b32 s15, -1
	s_mov_b32 s21, 0
.LBB126_3041:
                                        ; implicit-def: $vgpr16_vgpr17
.LBB126_3042:
	s_and_b32 vcc_lo, exec_lo, s22
	s_cbranch_vccz .LBB126_3046
; %bb.3043:
	s_cmp_eq_u32 s0, 44
	s_cbranch_scc0 .LBB126_3045
; %bb.3044:
	global_load_u8 v19, v[24:25], off
	s_mov_b32 s15, 0
	s_mov_b32 s21, -1
	s_wait_loadcnt 0x0
	v_cmp_ne_u32_e32 vcc_lo, 0, v19
	v_lshlrev_b32_e32 v16, 23, v19
	s_delay_alu instid0(VALU_DEP_1) | instskip(NEXT) | instid1(VALU_DEP_1)
	v_trunc_f32_e32 v16, v16
	v_mul_f32_e64 v17, 0x2f800000, |v16|
	s_delay_alu instid0(VALU_DEP_1) | instskip(NEXT) | instid1(VALU_DEP_1)
	v_floor_f32_e32 v17, v17
	v_fma_f32 v21, 0xcf800000, v17, |v16|
	v_ashrrev_i32_e32 v16, 31, v16
	v_cvt_u32_f32_e32 v23, v17
	s_delay_alu instid0(VALU_DEP_3) | instskip(NEXT) | instid1(VALU_DEP_2)
	v_cvt_u32_f32_e32 v21, v21
	v_dual_mov_b32 v17, v16 :: v_dual_bitop2_b32 v29, v23, v16 bitop3:0x14
	s_delay_alu instid0(VALU_DEP_2) | instskip(NEXT) | instid1(VALU_DEP_1)
	v_xor_b32_e32 v28, v21, v16
	v_sub_nc_u64_e32 v[16:17], v[28:29], v[16:17]
	s_delay_alu instid0(VALU_DEP_1)
	v_dual_cndmask_b32 v17, 0, v17 :: v_dual_cndmask_b32 v16, 0, v16
	s_branch .LBB126_3046
.LBB126_3045:
	s_mov_b32 s15, -1
                                        ; implicit-def: $vgpr16_vgpr17
.LBB126_3046:
	s_mov_b32 s22, 0
.LBB126_3047:
	s_delay_alu instid0(SALU_CYCLE_1)
	s_and_b32 vcc_lo, exec_lo, s22
	s_cbranch_vccz .LBB126_3051
; %bb.3048:
	s_cmp_eq_u32 s0, 29
	s_cbranch_scc0 .LBB126_3050
; %bb.3049:
	global_load_b64 v[16:17], v[24:25], off
	s_mov_b32 s15, 0
	s_mov_b32 s21, -1
	s_branch .LBB126_3051
.LBB126_3050:
	s_mov_b32 s15, -1
                                        ; implicit-def: $vgpr16_vgpr17
.LBB126_3051:
	s_mov_b32 s22, 0
.LBB126_3052:
	s_delay_alu instid0(SALU_CYCLE_1)
	s_and_b32 vcc_lo, exec_lo, s22
	s_cbranch_vccz .LBB126_3068
; %bb.3053:
	s_cmp_lt_i32 s0, 27
	s_cbranch_scc1 .LBB126_3056
; %bb.3054:
	s_cmp_gt_i32 s0, 27
	s_cbranch_scc0 .LBB126_3057
; %bb.3055:
	s_wait_loadcnt 0x0
	global_load_b32 v16, v[24:25], off
	v_mov_b32_e32 v17, 0
	s_mov_b32 s21, 0
	s_branch .LBB126_3058
.LBB126_3056:
	s_mov_b32 s21, -1
                                        ; implicit-def: $vgpr16_vgpr17
	s_branch .LBB126_3061
.LBB126_3057:
	s_mov_b32 s21, -1
                                        ; implicit-def: $vgpr16_vgpr17
.LBB126_3058:
	s_delay_alu instid0(SALU_CYCLE_1)
	s_and_not1_b32 vcc_lo, exec_lo, s21
	s_cbranch_vccnz .LBB126_3060
; %bb.3059:
	s_wait_loadcnt 0x0
	global_load_u16 v16, v[24:25], off
	s_mov_b32 s21, 0
	s_delay_alu instid0(SALU_CYCLE_1)
	v_mov_b32_e32 v17, s21
	s_wait_loadcnt 0x0
	v_and_b32_e32 v16, 0xffff, v16
.LBB126_3060:
	s_mov_b32 s21, 0
.LBB126_3061:
	s_delay_alu instid0(SALU_CYCLE_1)
	s_and_not1_b32 vcc_lo, exec_lo, s21
	s_cbranch_vccnz .LBB126_3067
; %bb.3062:
	global_load_u8 v19, v[24:25], off
	s_mov_b32 s22, 0
	s_mov_b32 s21, exec_lo
	s_wait_loadcnt 0x0
	v_cmpx_lt_i16_e32 0x7f, v19
	s_xor_b32 s21, exec_lo, s21
	s_cbranch_execz .LBB126_3079
; %bb.3063:
	v_cmp_ne_u16_e32 vcc_lo, 0x80, v19
	s_and_b32 s22, vcc_lo, exec_lo
	s_and_not1_saveexec_b32 s21, s21
	s_cbranch_execnz .LBB126_3080
.LBB126_3064:
	s_or_b32 exec_lo, exec_lo, s21
	v_mov_b64_e32 v[16:17], 0
	s_and_saveexec_b32 s21, s22
	s_cbranch_execz .LBB126_3066
.LBB126_3065:
	v_and_b32_e32 v16, 0xffff, v19
	s_delay_alu instid0(VALU_DEP_1) | instskip(SKIP_1) | instid1(VALU_DEP_2)
	v_and_b32_e32 v17, 7, v16
	v_bfe_u32 v27, v16, 3, 4
	v_clz_i32_u32_e32 v21, v17
	s_delay_alu instid0(VALU_DEP_2) | instskip(NEXT) | instid1(VALU_DEP_2)
	v_cmp_eq_u32_e32 vcc_lo, 0, v27
	v_min_u32_e32 v21, 32, v21
	s_delay_alu instid0(VALU_DEP_1) | instskip(NEXT) | instid1(VALU_DEP_1)
	v_subrev_nc_u32_e32 v23, 28, v21
	v_dual_lshlrev_b32 v16, v23, v16 :: v_dual_sub_nc_u32 v21, 29, v21
	s_delay_alu instid0(VALU_DEP_1) | instskip(NEXT) | instid1(VALU_DEP_1)
	v_dual_lshlrev_b32 v19, 24, v19 :: v_dual_bitop2_b32 v16, 7, v16 bitop3:0x40
	v_dual_cndmask_b32 v21, v27, v21 :: v_dual_cndmask_b32 v16, v17, v16
	s_delay_alu instid0(VALU_DEP_2) | instskip(NEXT) | instid1(VALU_DEP_2)
	v_and_b32_e32 v17, 0x80000000, v19
	v_lshl_add_u32 v19, v21, 23, 0x3b800000
	s_delay_alu instid0(VALU_DEP_3) | instskip(NEXT) | instid1(VALU_DEP_1)
	v_lshlrev_b32_e32 v16, 20, v16
	v_or3_b32 v16, v17, v19, v16
	s_delay_alu instid0(VALU_DEP_1) | instskip(NEXT) | instid1(VALU_DEP_1)
	v_trunc_f32_e32 v16, v16
	v_mul_f32_e64 v17, 0x2f800000, |v16|
	s_delay_alu instid0(VALU_DEP_1) | instskip(NEXT) | instid1(VALU_DEP_1)
	v_floor_f32_e32 v17, v17
	v_fma_f32 v19, 0xcf800000, v17, |v16|
	v_ashrrev_i32_e32 v16, 31, v16
	v_cvt_u32_f32_e32 v21, v17
	s_delay_alu instid0(VALU_DEP_3) | instskip(NEXT) | instid1(VALU_DEP_2)
	v_cvt_u32_f32_e32 v19, v19
	v_dual_mov_b32 v17, v16 :: v_dual_bitop2_b32 v29, v21, v16 bitop3:0x14
	s_delay_alu instid0(VALU_DEP_2) | instskip(NEXT) | instid1(VALU_DEP_1)
	v_xor_b32_e32 v28, v19, v16
	v_sub_nc_u64_e32 v[16:17], v[28:29], v[16:17]
.LBB126_3066:
	s_or_b32 exec_lo, exec_lo, s21
.LBB126_3067:
	s_mov_b32 s21, -1
.LBB126_3068:
	s_mov_b32 s22, 0
.LBB126_3069:
	s_delay_alu instid0(SALU_CYCLE_1)
	s_and_b32 vcc_lo, exec_lo, s22
	s_cbranch_vccz .LBB126_3100
; %bb.3070:
	s_cmp_gt_i32 s0, 22
	s_cbranch_scc0 .LBB126_3078
; %bb.3071:
	s_cmp_lt_i32 s0, 24
	s_cbranch_scc1 .LBB126_3081
; %bb.3072:
	s_cmp_gt_i32 s0, 24
	s_cbranch_scc0 .LBB126_3082
; %bb.3073:
	global_load_u8 v19, v[24:25], off
	s_mov_b32 s21, 0
	s_mov_b32 s20, exec_lo
	s_wait_loadcnt 0x0
	v_cmpx_lt_i16_e32 0x7f, v19
	s_xor_b32 s20, exec_lo, s20
	s_cbranch_execz .LBB126_3094
; %bb.3074:
	v_cmp_ne_u16_e32 vcc_lo, 0x80, v19
	s_and_b32 s21, vcc_lo, exec_lo
	s_and_not1_saveexec_b32 s20, s20
	s_cbranch_execnz .LBB126_3095
.LBB126_3075:
	s_or_b32 exec_lo, exec_lo, s20
	v_mov_b64_e32 v[16:17], 0
	s_and_saveexec_b32 s20, s21
	s_cbranch_execz .LBB126_3077
.LBB126_3076:
	v_and_b32_e32 v16, 0xffff, v19
	s_delay_alu instid0(VALU_DEP_1) | instskip(SKIP_1) | instid1(VALU_DEP_2)
	v_and_b32_e32 v17, 3, v16
	v_bfe_u32 v27, v16, 2, 5
	v_clz_i32_u32_e32 v21, v17
	s_delay_alu instid0(VALU_DEP_2) | instskip(NEXT) | instid1(VALU_DEP_2)
	v_cmp_eq_u32_e32 vcc_lo, 0, v27
	v_min_u32_e32 v21, 32, v21
	s_delay_alu instid0(VALU_DEP_1) | instskip(NEXT) | instid1(VALU_DEP_1)
	v_subrev_nc_u32_e32 v23, 29, v21
	v_dual_lshlrev_b32 v16, v23, v16 :: v_dual_sub_nc_u32 v21, 30, v21
	s_delay_alu instid0(VALU_DEP_1) | instskip(NEXT) | instid1(VALU_DEP_1)
	v_dual_lshlrev_b32 v19, 24, v19 :: v_dual_bitop2_b32 v16, 3, v16 bitop3:0x40
	v_dual_cndmask_b32 v21, v27, v21 :: v_dual_cndmask_b32 v16, v17, v16
	s_delay_alu instid0(VALU_DEP_2) | instskip(NEXT) | instid1(VALU_DEP_2)
	v_and_b32_e32 v17, 0x80000000, v19
	v_lshl_add_u32 v19, v21, 23, 0x37800000
	s_delay_alu instid0(VALU_DEP_3) | instskip(NEXT) | instid1(VALU_DEP_1)
	v_lshlrev_b32_e32 v16, 21, v16
	v_or3_b32 v16, v17, v19, v16
	s_delay_alu instid0(VALU_DEP_1) | instskip(NEXT) | instid1(VALU_DEP_1)
	v_trunc_f32_e32 v16, v16
	v_mul_f32_e64 v17, 0x2f800000, |v16|
	s_delay_alu instid0(VALU_DEP_1) | instskip(NEXT) | instid1(VALU_DEP_1)
	v_floor_f32_e32 v17, v17
	v_fma_f32 v19, 0xcf800000, v17, |v16|
	v_ashrrev_i32_e32 v16, 31, v16
	v_cvt_u32_f32_e32 v21, v17
	s_delay_alu instid0(VALU_DEP_3) | instskip(NEXT) | instid1(VALU_DEP_2)
	v_cvt_u32_f32_e32 v19, v19
	v_dual_mov_b32 v17, v16 :: v_dual_bitop2_b32 v29, v21, v16 bitop3:0x14
	s_delay_alu instid0(VALU_DEP_2) | instskip(NEXT) | instid1(VALU_DEP_1)
	v_xor_b32_e32 v28, v19, v16
	v_sub_nc_u64_e32 v[16:17], v[28:29], v[16:17]
.LBB126_3077:
	s_or_b32 exec_lo, exec_lo, s20
	s_mov_b32 s20, 0
	s_branch .LBB126_3083
.LBB126_3078:
	s_mov_b32 s20, -1
                                        ; implicit-def: $vgpr16_vgpr17
	s_branch .LBB126_3089
.LBB126_3079:
	s_and_not1_saveexec_b32 s21, s21
	s_cbranch_execz .LBB126_3064
.LBB126_3080:
	v_cmp_ne_u16_e32 vcc_lo, 0, v19
	s_and_not1_b32 s22, s22, exec_lo
	s_and_b32 s23, vcc_lo, exec_lo
	s_delay_alu instid0(SALU_CYCLE_1)
	s_or_b32 s22, s22, s23
	s_or_b32 exec_lo, exec_lo, s21
	v_mov_b64_e32 v[16:17], 0
	s_and_saveexec_b32 s21, s22
	s_cbranch_execnz .LBB126_3065
	s_branch .LBB126_3066
.LBB126_3081:
	s_mov_b32 s20, -1
                                        ; implicit-def: $vgpr16_vgpr17
	s_branch .LBB126_3086
.LBB126_3082:
	s_mov_b32 s20, -1
                                        ; implicit-def: $vgpr16_vgpr17
.LBB126_3083:
	s_delay_alu instid0(SALU_CYCLE_1)
	s_and_b32 vcc_lo, exec_lo, s20
	s_cbranch_vccz .LBB126_3085
; %bb.3084:
	s_wait_loadcnt 0x0
	global_load_u8 v16, v[24:25], off
	s_wait_loadcnt 0x0
	v_lshlrev_b32_e32 v16, 24, v16
	s_delay_alu instid0(VALU_DEP_1) | instskip(NEXT) | instid1(VALU_DEP_1)
	v_and_b32_e32 v17, 0x7f000000, v16
	v_clz_i32_u32_e32 v19, v17
	v_add_nc_u32_e32 v23, 0x1000000, v17
	v_cmp_ne_u32_e32 vcc_lo, 0, v17
	s_delay_alu instid0(VALU_DEP_3) | instskip(NEXT) | instid1(VALU_DEP_1)
	v_min_u32_e32 v19, 32, v19
	v_sub_nc_u32_e64 v19, v19, 4 clamp
	s_delay_alu instid0(VALU_DEP_1) | instskip(NEXT) | instid1(VALU_DEP_1)
	v_dual_lshlrev_b32 v21, v19, v17 :: v_dual_lshlrev_b32 v19, 23, v19
	v_lshrrev_b32_e32 v21, 4, v21
	s_delay_alu instid0(VALU_DEP_1) | instskip(SKIP_1) | instid1(VALU_DEP_2)
	v_sub_nc_u32_e32 v19, v21, v19
	v_ashrrev_i32_e32 v21, 8, v23
	v_add_nc_u32_e32 v19, 0x3c000000, v19
	s_delay_alu instid0(VALU_DEP_1) | instskip(NEXT) | instid1(VALU_DEP_1)
	v_and_or_b32 v19, 0x7f800000, v21, v19
	v_cndmask_b32_e32 v17, 0, v19, vcc_lo
	s_delay_alu instid0(VALU_DEP_1) | instskip(NEXT) | instid1(VALU_DEP_1)
	v_and_or_b32 v16, 0x80000000, v16, v17
	v_trunc_f32_e32 v16, v16
	s_delay_alu instid0(VALU_DEP_1) | instskip(NEXT) | instid1(VALU_DEP_1)
	v_mul_f32_e64 v17, 0x2f800000, |v16|
	v_floor_f32_e32 v17, v17
	s_delay_alu instid0(VALU_DEP_1) | instskip(SKIP_2) | instid1(VALU_DEP_3)
	v_fma_f32 v19, 0xcf800000, v17, |v16|
	v_ashrrev_i32_e32 v16, 31, v16
	v_cvt_u32_f32_e32 v21, v17
	v_cvt_u32_f32_e32 v19, v19
	s_delay_alu instid0(VALU_DEP_2) | instskip(NEXT) | instid1(VALU_DEP_2)
	v_dual_mov_b32 v17, v16 :: v_dual_bitop2_b32 v29, v21, v16 bitop3:0x14
	v_xor_b32_e32 v28, v19, v16
	s_delay_alu instid0(VALU_DEP_1)
	v_sub_nc_u64_e32 v[16:17], v[28:29], v[16:17]
.LBB126_3085:
	s_mov_b32 s20, 0
.LBB126_3086:
	s_delay_alu instid0(SALU_CYCLE_1)
	s_and_not1_b32 vcc_lo, exec_lo, s20
	s_cbranch_vccnz .LBB126_3088
; %bb.3087:
	s_wait_loadcnt 0x0
	global_load_u8 v16, v[24:25], off
	s_wait_loadcnt 0x0
	v_lshlrev_b32_e32 v17, 25, v16
	v_lshlrev_b16 v16, 8, v16
	s_delay_alu instid0(VALU_DEP_1) | instskip(SKIP_1) | instid1(VALU_DEP_2)
	v_and_or_b32 v21, 0x7f00, v16, 0.5
	v_bfe_i32 v16, v16, 0, 16
	v_add_f32_e32 v21, -0.5, v21
	v_lshrrev_b32_e32 v19, 4, v17
	v_cmp_gt_u32_e32 vcc_lo, 0x8000000, v17
	s_delay_alu instid0(VALU_DEP_2) | instskip(NEXT) | instid1(VALU_DEP_1)
	v_or_b32_e32 v19, 0x70000000, v19
	v_mul_f32_e32 v19, 0x7800000, v19
	s_delay_alu instid0(VALU_DEP_1) | instskip(NEXT) | instid1(VALU_DEP_1)
	v_cndmask_b32_e32 v17, v19, v21, vcc_lo
	v_and_or_b32 v16, 0x80000000, v16, v17
	s_delay_alu instid0(VALU_DEP_1) | instskip(NEXT) | instid1(VALU_DEP_1)
	v_trunc_f32_e32 v16, v16
	v_mul_f32_e64 v17, 0x2f800000, |v16|
	s_delay_alu instid0(VALU_DEP_1) | instskip(NEXT) | instid1(VALU_DEP_1)
	v_floor_f32_e32 v17, v17
	v_fma_f32 v19, 0xcf800000, v17, |v16|
	v_ashrrev_i32_e32 v16, 31, v16
	v_cvt_u32_f32_e32 v21, v17
	s_delay_alu instid0(VALU_DEP_3) | instskip(NEXT) | instid1(VALU_DEP_2)
	v_cvt_u32_f32_e32 v19, v19
	v_dual_mov_b32 v17, v16 :: v_dual_bitop2_b32 v29, v21, v16 bitop3:0x14
	s_delay_alu instid0(VALU_DEP_2) | instskip(NEXT) | instid1(VALU_DEP_1)
	v_xor_b32_e32 v28, v19, v16
	v_sub_nc_u64_e32 v[16:17], v[28:29], v[16:17]
.LBB126_3088:
	s_mov_b32 s20, 0
	s_mov_b32 s21, -1
.LBB126_3089:
	s_and_not1_b32 vcc_lo, exec_lo, s20
	s_mov_b32 s20, 0
	s_cbranch_vccnz .LBB126_3100
; %bb.3090:
	s_cmp_gt_i32 s0, 14
	s_cbranch_scc0 .LBB126_3093
; %bb.3091:
	s_cmp_eq_u32 s0, 15
	s_cbranch_scc0 .LBB126_3096
; %bb.3092:
	s_wait_loadcnt 0x0
	global_load_u16 v16, v[24:25], off
	s_mov_b32 s15, 0
	s_mov_b32 s21, -1
	s_wait_loadcnt 0x0
	v_lshlrev_b32_e32 v16, 16, v16
	s_delay_alu instid0(VALU_DEP_1) | instskip(NEXT) | instid1(VALU_DEP_1)
	v_trunc_f32_e32 v16, v16
	v_mul_f32_e64 v17, 0x2f800000, |v16|
	s_delay_alu instid0(VALU_DEP_1) | instskip(NEXT) | instid1(VALU_DEP_1)
	v_floor_f32_e32 v17, v17
	v_fma_f32 v19, 0xcf800000, v17, |v16|
	v_ashrrev_i32_e32 v16, 31, v16
	v_cvt_u32_f32_e32 v21, v17
	s_delay_alu instid0(VALU_DEP_3) | instskip(NEXT) | instid1(VALU_DEP_2)
	v_cvt_u32_f32_e32 v19, v19
	v_dual_mov_b32 v17, v16 :: v_dual_bitop2_b32 v29, v21, v16 bitop3:0x14
	s_delay_alu instid0(VALU_DEP_2) | instskip(NEXT) | instid1(VALU_DEP_1)
	v_xor_b32_e32 v28, v19, v16
	v_sub_nc_u64_e32 v[16:17], v[28:29], v[16:17]
	s_branch .LBB126_3098
.LBB126_3093:
	s_mov_b32 s20, -1
	s_branch .LBB126_3097
.LBB126_3094:
	s_and_not1_saveexec_b32 s20, s20
	s_cbranch_execz .LBB126_3075
.LBB126_3095:
	v_cmp_ne_u16_e32 vcc_lo, 0, v19
	s_and_not1_b32 s21, s21, exec_lo
	s_and_b32 s22, vcc_lo, exec_lo
	s_delay_alu instid0(SALU_CYCLE_1)
	s_or_b32 s21, s21, s22
	s_or_b32 exec_lo, exec_lo, s20
	v_mov_b64_e32 v[16:17], 0
	s_and_saveexec_b32 s20, s21
	s_cbranch_execnz .LBB126_3076
	s_branch .LBB126_3077
.LBB126_3096:
	s_mov_b32 s15, -1
.LBB126_3097:
                                        ; implicit-def: $vgpr16_vgpr17
.LBB126_3098:
	s_and_b32 vcc_lo, exec_lo, s20
	s_mov_b32 s20, 0
	s_cbranch_vccz .LBB126_3100
; %bb.3099:
	s_cmp_lg_u32 s0, 11
	s_mov_b32 s20, -1
	s_cselect_b32 s15, -1, 0
.LBB126_3100:
	s_delay_alu instid0(SALU_CYCLE_1)
	s_and_b32 vcc_lo, exec_lo, s15
	s_cbranch_vccnz .LBB126_3165
; %bb.3101:
	s_and_not1_b32 vcc_lo, exec_lo, s20
	s_cbranch_vccnz .LBB126_3103
.LBB126_3102:
	s_wait_loadcnt 0x0
	global_load_u8 v16, v[24:25], off
	s_mov_b32 s15, 0
	s_mov_b32 s21, -1
	v_mov_b32_e32 v17, s15
	s_wait_loadcnt 0x0
	v_cmp_ne_u16_e32 vcc_lo, 0, v16
	v_cndmask_b32_e64 v16, 0, 1, vcc_lo
.LBB126_3103:
	s_mov_b32 s15, 0
.LBB126_3104:
	s_delay_alu instid0(SALU_CYCLE_1)
	s_and_b32 vcc_lo, exec_lo, s15
	s_cbranch_vccz .LBB126_3153
; %bb.3105:
	s_cmp_lt_i32 s0, 5
	s_cbranch_scc1 .LBB126_3110
; %bb.3106:
	s_cmp_lt_i32 s0, 8
	s_cbranch_scc1 .LBB126_3111
	;; [unrolled: 3-line block ×3, first 2 shown]
; %bb.3108:
	s_cmp_gt_i32 s0, 9
	s_cbranch_scc0 .LBB126_3113
; %bb.3109:
	s_wait_loadcnt 0x0
	global_load_b64 v[16:17], v[24:25], off
	s_mov_b32 s15, 0
	s_wait_loadcnt 0x0
	v_trunc_f64_e32 v[16:17], v[16:17]
	s_delay_alu instid0(VALU_DEP_1) | instskip(NEXT) | instid1(VALU_DEP_1)
	v_ldexp_f64 v[28:29], v[16:17], 0xffffffe0
	v_floor_f64_e32 v[28:29], v[28:29]
	s_delay_alu instid0(VALU_DEP_1) | instskip(SKIP_1) | instid1(VALU_DEP_2)
	v_fmamk_f64 v[30:31], v[28:29], 0xc1f00000, v[16:17]
	v_cvt_i32_f64_e32 v17, v[28:29]
	v_cvt_u32_f64_e32 v16, v[30:31]
	s_branch .LBB126_3114
.LBB126_3110:
	s_mov_b32 s15, -1
                                        ; implicit-def: $vgpr16_vgpr17
	s_branch .LBB126_3132
.LBB126_3111:
	s_mov_b32 s15, -1
                                        ; implicit-def: $vgpr16_vgpr17
	s_branch .LBB126_3120
.LBB126_3112:
	s_mov_b32 s15, -1
                                        ; implicit-def: $vgpr16_vgpr17
	s_branch .LBB126_3117
.LBB126_3113:
	s_mov_b32 s15, -1
                                        ; implicit-def: $vgpr16_vgpr17
.LBB126_3114:
	s_delay_alu instid0(SALU_CYCLE_1)
	s_and_not1_b32 vcc_lo, exec_lo, s15
	s_cbranch_vccnz .LBB126_3116
; %bb.3115:
	s_wait_loadcnt 0x0
	global_load_b32 v16, v[24:25], off
	s_wait_loadcnt 0x0
	v_trunc_f32_e32 v16, v16
	s_delay_alu instid0(VALU_DEP_1) | instskip(NEXT) | instid1(VALU_DEP_1)
	v_mul_f32_e64 v17, 0x2f800000, |v16|
	v_floor_f32_e32 v17, v17
	s_delay_alu instid0(VALU_DEP_1) | instskip(SKIP_2) | instid1(VALU_DEP_3)
	v_fma_f32 v19, 0xcf800000, v17, |v16|
	v_ashrrev_i32_e32 v16, 31, v16
	v_cvt_u32_f32_e32 v21, v17
	v_cvt_u32_f32_e32 v19, v19
	s_delay_alu instid0(VALU_DEP_2) | instskip(NEXT) | instid1(VALU_DEP_2)
	v_dual_mov_b32 v17, v16 :: v_dual_bitop2_b32 v29, v21, v16 bitop3:0x14
	v_xor_b32_e32 v28, v19, v16
	s_delay_alu instid0(VALU_DEP_1)
	v_sub_nc_u64_e32 v[16:17], v[28:29], v[16:17]
.LBB126_3116:
	s_mov_b32 s15, 0
.LBB126_3117:
	s_delay_alu instid0(SALU_CYCLE_1)
	s_and_not1_b32 vcc_lo, exec_lo, s15
	s_cbranch_vccnz .LBB126_3119
; %bb.3118:
	s_wait_loadcnt 0x0
	global_load_b32 v16, v[24:25], off
	s_wait_loadcnt 0x0
	v_cvt_f32_f16_e32 v16, v16
	s_delay_alu instid0(VALU_DEP_1) | instskip(NEXT) | instid1(VALU_DEP_1)
	v_cvt_i32_f32_e32 v16, v16
	v_ashrrev_i32_e32 v17, 31, v16
.LBB126_3119:
	s_mov_b32 s15, 0
.LBB126_3120:
	s_delay_alu instid0(SALU_CYCLE_1)
	s_and_not1_b32 vcc_lo, exec_lo, s15
	s_cbranch_vccnz .LBB126_3131
; %bb.3121:
	s_cmp_lt_i32 s0, 6
	s_cbranch_scc1 .LBB126_3124
; %bb.3122:
	s_cmp_gt_i32 s0, 6
	s_cbranch_scc0 .LBB126_3125
; %bb.3123:
	s_wait_loadcnt 0x0
	global_load_b64 v[16:17], v[24:25], off
	s_mov_b32 s15, 0
	s_wait_loadcnt 0x0
	v_trunc_f64_e32 v[16:17], v[16:17]
	s_delay_alu instid0(VALU_DEP_1) | instskip(NEXT) | instid1(VALU_DEP_1)
	v_ldexp_f64 v[28:29], v[16:17], 0xffffffe0
	v_floor_f64_e32 v[28:29], v[28:29]
	s_delay_alu instid0(VALU_DEP_1) | instskip(SKIP_1) | instid1(VALU_DEP_2)
	v_fmamk_f64 v[30:31], v[28:29], 0xc1f00000, v[16:17]
	v_cvt_i32_f64_e32 v17, v[28:29]
	v_cvt_u32_f64_e32 v16, v[30:31]
	s_branch .LBB126_3126
.LBB126_3124:
	s_mov_b32 s15, -1
                                        ; implicit-def: $vgpr16_vgpr17
	s_branch .LBB126_3129
.LBB126_3125:
	s_mov_b32 s15, -1
                                        ; implicit-def: $vgpr16_vgpr17
.LBB126_3126:
	s_delay_alu instid0(SALU_CYCLE_1)
	s_and_not1_b32 vcc_lo, exec_lo, s15
	s_cbranch_vccnz .LBB126_3128
; %bb.3127:
	s_wait_loadcnt 0x0
	global_load_b32 v16, v[24:25], off
	s_wait_loadcnt 0x0
	v_trunc_f32_e32 v16, v16
	s_delay_alu instid0(VALU_DEP_1) | instskip(NEXT) | instid1(VALU_DEP_1)
	v_mul_f32_e64 v17, 0x2f800000, |v16|
	v_floor_f32_e32 v17, v17
	s_delay_alu instid0(VALU_DEP_1) | instskip(SKIP_2) | instid1(VALU_DEP_3)
	v_fma_f32 v19, 0xcf800000, v17, |v16|
	v_ashrrev_i32_e32 v16, 31, v16
	v_cvt_u32_f32_e32 v21, v17
	v_cvt_u32_f32_e32 v19, v19
	s_delay_alu instid0(VALU_DEP_2) | instskip(NEXT) | instid1(VALU_DEP_2)
	v_dual_mov_b32 v17, v16 :: v_dual_bitop2_b32 v29, v21, v16 bitop3:0x14
	v_xor_b32_e32 v28, v19, v16
	s_delay_alu instid0(VALU_DEP_1)
	v_sub_nc_u64_e32 v[16:17], v[28:29], v[16:17]
.LBB126_3128:
	s_mov_b32 s15, 0
.LBB126_3129:
	s_delay_alu instid0(SALU_CYCLE_1)
	s_and_not1_b32 vcc_lo, exec_lo, s15
	s_cbranch_vccnz .LBB126_3131
; %bb.3130:
	s_wait_loadcnt 0x0
	global_load_u16 v16, v[24:25], off
	s_wait_loadcnt 0x0
	v_cvt_f32_f16_e32 v16, v16
	s_delay_alu instid0(VALU_DEP_1) | instskip(NEXT) | instid1(VALU_DEP_1)
	v_cvt_i32_f32_e32 v16, v16
	v_ashrrev_i32_e32 v17, 31, v16
.LBB126_3131:
	s_mov_b32 s15, 0
.LBB126_3132:
	s_delay_alu instid0(SALU_CYCLE_1)
	s_and_not1_b32 vcc_lo, exec_lo, s15
	s_cbranch_vccnz .LBB126_3152
; %bb.3133:
	s_cmp_lt_i32 s0, 2
	s_cbranch_scc1 .LBB126_3137
; %bb.3134:
	s_cmp_lt_i32 s0, 3
	s_cbranch_scc1 .LBB126_3138
; %bb.3135:
	s_cmp_gt_i32 s0, 3
	s_cbranch_scc0 .LBB126_3139
; %bb.3136:
	s_wait_loadcnt 0x0
	global_load_b64 v[16:17], v[24:25], off
	s_mov_b32 s15, 0
	s_branch .LBB126_3140
.LBB126_3137:
	s_mov_b32 s15, -1
                                        ; implicit-def: $vgpr16_vgpr17
	s_branch .LBB126_3146
.LBB126_3138:
	s_mov_b32 s15, -1
                                        ; implicit-def: $vgpr16_vgpr17
	s_branch .LBB126_3143
.LBB126_3139:
	s_mov_b32 s15, -1
                                        ; implicit-def: $vgpr16_vgpr17
.LBB126_3140:
	s_delay_alu instid0(SALU_CYCLE_1)
	s_and_not1_b32 vcc_lo, exec_lo, s15
	s_cbranch_vccnz .LBB126_3142
; %bb.3141:
	s_wait_loadcnt 0x0
	global_load_b32 v16, v[24:25], off
	s_wait_loadcnt 0x0
	v_ashrrev_i32_e32 v17, 31, v16
.LBB126_3142:
	s_mov_b32 s15, 0
.LBB126_3143:
	s_delay_alu instid0(SALU_CYCLE_1)
	s_and_not1_b32 vcc_lo, exec_lo, s15
	s_cbranch_vccnz .LBB126_3145
; %bb.3144:
	s_wait_loadcnt 0x0
	global_load_u16 v16, v[24:25], off
	s_wait_loadcnt 0x0
	v_bfe_i32 v16, v16, 0, 16
	s_delay_alu instid0(VALU_DEP_1)
	v_ashrrev_i32_e32 v17, 31, v16
.LBB126_3145:
	s_mov_b32 s15, 0
.LBB126_3146:
	s_delay_alu instid0(SALU_CYCLE_1)
	s_and_not1_b32 vcc_lo, exec_lo, s15
	s_cbranch_vccnz .LBB126_3152
; %bb.3147:
	s_cmp_gt_i32 s0, 0
	s_mov_b32 s15, 0
	s_cbranch_scc0 .LBB126_3149
; %bb.3148:
	s_wait_loadcnt 0x0
	global_load_i8 v16, v[24:25], off
	s_wait_loadcnt 0x0
	v_bfe_i32 v16, v16, 0, 16
	s_delay_alu instid0(VALU_DEP_1)
	v_ashrrev_i32_e32 v17, 31, v16
	s_branch .LBB126_3150
.LBB126_3149:
	s_mov_b32 s15, -1
                                        ; implicit-def: $vgpr16_vgpr17
.LBB126_3150:
	s_delay_alu instid0(SALU_CYCLE_1)
	s_and_not1_b32 vcc_lo, exec_lo, s15
	s_cbranch_vccnz .LBB126_3152
; %bb.3151:
	s_wait_loadcnt 0x0
	global_load_u8 v16, v[24:25], off
	s_mov_b32 s15, 0
	s_delay_alu instid0(SALU_CYCLE_1)
	v_mov_b32_e32 v17, s15
	s_wait_loadcnt 0x0
	v_and_b32_e32 v16, 0xffff, v16
.LBB126_3152:
	s_mov_b32 s21, -1
.LBB126_3153:
	s_delay_alu instid0(SALU_CYCLE_1)
	s_and_not1_b32 vcc_lo, exec_lo, s21
	s_cbranch_vccnz .LBB126_3968
; %bb.3154:
	v_add_nc_u32_e32 v18, s1, v18
	s_cmp_lt_i32 s17, 11
	s_delay_alu instid0(VALU_DEP_1) | instskip(SKIP_1) | instid1(VALU_DEP_1)
	v_ashrrev_i32_e32 v19, 31, v18
	s_wait_xcnt 0x0
	v_add_nc_u64_e32 v[24:25], s[6:7], v[18:19]
	s_cbranch_scc1 .LBB126_3161
; %bb.3155:
	s_and_b32 s1, 0xffff, s17
	s_mov_b32 s7, 0
	s_cmp_gt_i32 s1, 25
	s_cbranch_scc0 .LBB126_3162
; %bb.3156:
	s_cmp_gt_i32 s1, 28
	s_cbranch_scc0 .LBB126_3163
; %bb.3157:
	;; [unrolled: 3-line block ×4, first 2 shown]
	s_cmp_eq_u32 s1, 46
	s_mov_b32 s20, 0
	s_cbranch_scc0 .LBB126_3167
; %bb.3160:
	global_load_b32 v18, v[24:25], off
	s_mov_b32 s6, 0
	s_mov_b32 s15, -1
	s_wait_loadcnt 0x0
	v_lshlrev_b32_e32 v18, 16, v18
	s_delay_alu instid0(VALU_DEP_1) | instskip(NEXT) | instid1(VALU_DEP_1)
	v_trunc_f32_e32 v18, v18
	v_mul_f32_e64 v19, 0x2f800000, |v18|
	s_delay_alu instid0(VALU_DEP_1) | instskip(NEXT) | instid1(VALU_DEP_1)
	v_floor_f32_e32 v19, v19
	v_fma_f32 v21, 0xcf800000, v19, |v18|
	v_ashrrev_i32_e32 v18, 31, v18
	v_cvt_u32_f32_e32 v23, v19
	s_delay_alu instid0(VALU_DEP_3) | instskip(NEXT) | instid1(VALU_DEP_2)
	v_cvt_u32_f32_e32 v21, v21
	v_dual_mov_b32 v19, v18 :: v_dual_bitop2_b32 v29, v23, v18 bitop3:0x14
	s_delay_alu instid0(VALU_DEP_2) | instskip(NEXT) | instid1(VALU_DEP_1)
	v_xor_b32_e32 v28, v21, v18
	v_sub_nc_u64_e32 v[18:19], v[28:29], v[18:19]
	s_branch .LBB126_3169
.LBB126_3161:
	s_mov_b32 s1, -1
	s_mov_b32 s15, 0
                                        ; implicit-def: $vgpr18_vgpr19
	s_branch .LBB126_3231
.LBB126_3162:
	s_mov_b32 s20, -1
	s_mov_b32 s15, 0
	s_mov_b32 s6, 0
                                        ; implicit-def: $vgpr18_vgpr19
	s_branch .LBB126_3196
.LBB126_3163:
	s_mov_b32 s20, -1
	s_mov_b32 s15, 0
	s_mov_b32 s6, 0
                                        ; implicit-def: $vgpr18_vgpr19
	s_branch .LBB126_3179
.LBB126_3164:
	s_mov_b32 s20, -1
	s_mov_b32 s15, 0
	s_mov_b32 s6, 0
                                        ; implicit-def: $vgpr18_vgpr19
	s_branch .LBB126_3174
.LBB126_3165:
	s_or_b32 s16, s16, exec_lo
	s_trap 2
	s_cbranch_execz .LBB126_3102
	s_branch .LBB126_3103
.LBB126_3166:
	s_mov_b32 s20, -1
	s_mov_b32 s15, 0
	s_mov_b32 s6, 0
	s_branch .LBB126_3168
.LBB126_3167:
	s_mov_b32 s6, -1
	s_mov_b32 s15, 0
.LBB126_3168:
                                        ; implicit-def: $vgpr18_vgpr19
.LBB126_3169:
	s_and_b32 vcc_lo, exec_lo, s20
	s_cbranch_vccz .LBB126_3173
; %bb.3170:
	s_cmp_eq_u32 s1, 44
	s_cbranch_scc0 .LBB126_3172
; %bb.3171:
	global_load_u8 v21, v[24:25], off
	s_mov_b32 s6, 0
	s_mov_b32 s15, -1
	s_wait_loadcnt 0x0
	v_cmp_ne_u32_e32 vcc_lo, 0, v21
	v_lshlrev_b32_e32 v18, 23, v21
	s_delay_alu instid0(VALU_DEP_1) | instskip(NEXT) | instid1(VALU_DEP_1)
	v_trunc_f32_e32 v18, v18
	v_mul_f32_e64 v19, 0x2f800000, |v18|
	s_delay_alu instid0(VALU_DEP_1) | instskip(NEXT) | instid1(VALU_DEP_1)
	v_floor_f32_e32 v19, v19
	v_fma_f32 v23, 0xcf800000, v19, |v18|
	v_ashrrev_i32_e32 v18, 31, v18
	v_cvt_u32_f32_e32 v27, v19
	s_delay_alu instid0(VALU_DEP_3) | instskip(NEXT) | instid1(VALU_DEP_2)
	v_cvt_u32_f32_e32 v23, v23
	v_dual_mov_b32 v19, v18 :: v_dual_bitop2_b32 v29, v27, v18 bitop3:0x14
	s_delay_alu instid0(VALU_DEP_2) | instskip(NEXT) | instid1(VALU_DEP_1)
	v_xor_b32_e32 v28, v23, v18
	v_sub_nc_u64_e32 v[18:19], v[28:29], v[18:19]
	s_delay_alu instid0(VALU_DEP_1)
	v_dual_cndmask_b32 v19, 0, v19 :: v_dual_cndmask_b32 v18, 0, v18
	s_branch .LBB126_3173
.LBB126_3172:
	s_mov_b32 s6, -1
                                        ; implicit-def: $vgpr18_vgpr19
.LBB126_3173:
	s_mov_b32 s20, 0
.LBB126_3174:
	s_delay_alu instid0(SALU_CYCLE_1)
	s_and_b32 vcc_lo, exec_lo, s20
	s_cbranch_vccz .LBB126_3178
; %bb.3175:
	s_cmp_eq_u32 s1, 29
	s_cbranch_scc0 .LBB126_3177
; %bb.3176:
	global_load_b64 v[18:19], v[24:25], off
	s_mov_b32 s6, 0
	s_mov_b32 s15, -1
	s_branch .LBB126_3178
.LBB126_3177:
	s_mov_b32 s6, -1
                                        ; implicit-def: $vgpr18_vgpr19
.LBB126_3178:
	s_mov_b32 s20, 0
.LBB126_3179:
	s_delay_alu instid0(SALU_CYCLE_1)
	s_and_b32 vcc_lo, exec_lo, s20
	s_cbranch_vccz .LBB126_3195
; %bb.3180:
	s_cmp_lt_i32 s1, 27
	s_cbranch_scc1 .LBB126_3183
; %bb.3181:
	s_cmp_gt_i32 s1, 27
	s_cbranch_scc0 .LBB126_3184
; %bb.3182:
	s_wait_loadcnt 0x0
	global_load_b32 v18, v[24:25], off
	v_mov_b32_e32 v19, 0
	s_mov_b32 s15, 0
	s_branch .LBB126_3185
.LBB126_3183:
	s_mov_b32 s15, -1
                                        ; implicit-def: $vgpr18_vgpr19
	s_branch .LBB126_3188
.LBB126_3184:
	s_mov_b32 s15, -1
                                        ; implicit-def: $vgpr18_vgpr19
.LBB126_3185:
	s_delay_alu instid0(SALU_CYCLE_1)
	s_and_not1_b32 vcc_lo, exec_lo, s15
	s_cbranch_vccnz .LBB126_3187
; %bb.3186:
	s_wait_loadcnt 0x0
	global_load_u16 v18, v[24:25], off
	s_mov_b32 s15, 0
	s_delay_alu instid0(SALU_CYCLE_1)
	v_mov_b32_e32 v19, s15
	s_wait_loadcnt 0x0
	v_and_b32_e32 v18, 0xffff, v18
.LBB126_3187:
	s_mov_b32 s15, 0
.LBB126_3188:
	s_delay_alu instid0(SALU_CYCLE_1)
	s_and_not1_b32 vcc_lo, exec_lo, s15
	s_cbranch_vccnz .LBB126_3194
; %bb.3189:
	global_load_u8 v21, v[24:25], off
	s_mov_b32 s20, 0
	s_mov_b32 s15, exec_lo
	s_wait_loadcnt 0x0
	v_cmpx_lt_i16_e32 0x7f, v21
	s_xor_b32 s15, exec_lo, s15
	s_cbranch_execz .LBB126_3206
; %bb.3190:
	v_cmp_ne_u16_e32 vcc_lo, 0x80, v21
	s_and_b32 s20, vcc_lo, exec_lo
	s_and_not1_saveexec_b32 s15, s15
	s_cbranch_execnz .LBB126_3207
.LBB126_3191:
	s_or_b32 exec_lo, exec_lo, s15
	v_mov_b64_e32 v[18:19], 0
	s_and_saveexec_b32 s15, s20
	s_cbranch_execz .LBB126_3193
.LBB126_3192:
	v_and_b32_e32 v18, 0xffff, v21
	s_delay_alu instid0(VALU_DEP_1) | instskip(SKIP_1) | instid1(VALU_DEP_2)
	v_and_b32_e32 v19, 7, v18
	v_bfe_u32 v28, v18, 3, 4
	v_clz_i32_u32_e32 v23, v19
	s_delay_alu instid0(VALU_DEP_2) | instskip(NEXT) | instid1(VALU_DEP_2)
	v_cmp_eq_u32_e32 vcc_lo, 0, v28
	v_min_u32_e32 v23, 32, v23
	s_delay_alu instid0(VALU_DEP_1) | instskip(NEXT) | instid1(VALU_DEP_1)
	v_subrev_nc_u32_e32 v27, 28, v23
	v_dual_lshlrev_b32 v18, v27, v18 :: v_dual_sub_nc_u32 v23, 29, v23
	s_delay_alu instid0(VALU_DEP_1) | instskip(NEXT) | instid1(VALU_DEP_1)
	v_dual_lshlrev_b32 v21, 24, v21 :: v_dual_bitop2_b32 v18, 7, v18 bitop3:0x40
	v_dual_cndmask_b32 v23, v28, v23 :: v_dual_cndmask_b32 v18, v19, v18
	s_delay_alu instid0(VALU_DEP_2) | instskip(NEXT) | instid1(VALU_DEP_2)
	v_and_b32_e32 v19, 0x80000000, v21
	v_lshl_add_u32 v21, v23, 23, 0x3b800000
	s_delay_alu instid0(VALU_DEP_3) | instskip(NEXT) | instid1(VALU_DEP_1)
	v_lshlrev_b32_e32 v18, 20, v18
	v_or3_b32 v18, v19, v21, v18
	s_delay_alu instid0(VALU_DEP_1) | instskip(NEXT) | instid1(VALU_DEP_1)
	v_trunc_f32_e32 v18, v18
	v_mul_f32_e64 v19, 0x2f800000, |v18|
	s_delay_alu instid0(VALU_DEP_1) | instskip(NEXT) | instid1(VALU_DEP_1)
	v_floor_f32_e32 v19, v19
	v_fma_f32 v21, 0xcf800000, v19, |v18|
	v_ashrrev_i32_e32 v18, 31, v18
	v_cvt_u32_f32_e32 v23, v19
	s_delay_alu instid0(VALU_DEP_3) | instskip(NEXT) | instid1(VALU_DEP_2)
	v_cvt_u32_f32_e32 v21, v21
	v_dual_mov_b32 v19, v18 :: v_dual_bitop2_b32 v29, v23, v18 bitop3:0x14
	s_delay_alu instid0(VALU_DEP_2) | instskip(NEXT) | instid1(VALU_DEP_1)
	v_xor_b32_e32 v28, v21, v18
	v_sub_nc_u64_e32 v[18:19], v[28:29], v[18:19]
.LBB126_3193:
	s_or_b32 exec_lo, exec_lo, s15
.LBB126_3194:
	s_mov_b32 s15, -1
.LBB126_3195:
	s_mov_b32 s20, 0
.LBB126_3196:
	s_delay_alu instid0(SALU_CYCLE_1)
	s_and_b32 vcc_lo, exec_lo, s20
	s_cbranch_vccz .LBB126_3227
; %bb.3197:
	s_cmp_gt_i32 s1, 22
	s_cbranch_scc0 .LBB126_3205
; %bb.3198:
	s_cmp_lt_i32 s1, 24
	s_cbranch_scc1 .LBB126_3208
; %bb.3199:
	s_cmp_gt_i32 s1, 24
	s_cbranch_scc0 .LBB126_3209
; %bb.3200:
	global_load_u8 v21, v[24:25], off
	s_mov_b32 s15, 0
	s_mov_b32 s7, exec_lo
	s_wait_loadcnt 0x0
	v_cmpx_lt_i16_e32 0x7f, v21
	s_xor_b32 s7, exec_lo, s7
	s_cbranch_execz .LBB126_3221
; %bb.3201:
	v_cmp_ne_u16_e32 vcc_lo, 0x80, v21
	s_and_b32 s15, vcc_lo, exec_lo
	s_and_not1_saveexec_b32 s7, s7
	s_cbranch_execnz .LBB126_3222
.LBB126_3202:
	s_or_b32 exec_lo, exec_lo, s7
	v_mov_b64_e32 v[18:19], 0
	s_and_saveexec_b32 s7, s15
	s_cbranch_execz .LBB126_3204
.LBB126_3203:
	v_and_b32_e32 v18, 0xffff, v21
	s_delay_alu instid0(VALU_DEP_1) | instskip(SKIP_1) | instid1(VALU_DEP_2)
	v_and_b32_e32 v19, 3, v18
	v_bfe_u32 v28, v18, 2, 5
	v_clz_i32_u32_e32 v23, v19
	s_delay_alu instid0(VALU_DEP_2) | instskip(NEXT) | instid1(VALU_DEP_2)
	v_cmp_eq_u32_e32 vcc_lo, 0, v28
	v_min_u32_e32 v23, 32, v23
	s_delay_alu instid0(VALU_DEP_1) | instskip(NEXT) | instid1(VALU_DEP_1)
	v_subrev_nc_u32_e32 v27, 29, v23
	v_dual_lshlrev_b32 v18, v27, v18 :: v_dual_sub_nc_u32 v23, 30, v23
	s_delay_alu instid0(VALU_DEP_1) | instskip(NEXT) | instid1(VALU_DEP_1)
	v_dual_lshlrev_b32 v21, 24, v21 :: v_dual_bitop2_b32 v18, 3, v18 bitop3:0x40
	v_dual_cndmask_b32 v23, v28, v23 :: v_dual_cndmask_b32 v18, v19, v18
	s_delay_alu instid0(VALU_DEP_2) | instskip(NEXT) | instid1(VALU_DEP_2)
	v_and_b32_e32 v19, 0x80000000, v21
	v_lshl_add_u32 v21, v23, 23, 0x37800000
	s_delay_alu instid0(VALU_DEP_3) | instskip(NEXT) | instid1(VALU_DEP_1)
	v_lshlrev_b32_e32 v18, 21, v18
	v_or3_b32 v18, v19, v21, v18
	s_delay_alu instid0(VALU_DEP_1) | instskip(NEXT) | instid1(VALU_DEP_1)
	v_trunc_f32_e32 v18, v18
	v_mul_f32_e64 v19, 0x2f800000, |v18|
	s_delay_alu instid0(VALU_DEP_1) | instskip(NEXT) | instid1(VALU_DEP_1)
	v_floor_f32_e32 v19, v19
	v_fma_f32 v21, 0xcf800000, v19, |v18|
	v_ashrrev_i32_e32 v18, 31, v18
	v_cvt_u32_f32_e32 v23, v19
	s_delay_alu instid0(VALU_DEP_3) | instskip(NEXT) | instid1(VALU_DEP_2)
	v_cvt_u32_f32_e32 v21, v21
	v_dual_mov_b32 v19, v18 :: v_dual_bitop2_b32 v29, v23, v18 bitop3:0x14
	s_delay_alu instid0(VALU_DEP_2) | instskip(NEXT) | instid1(VALU_DEP_1)
	v_xor_b32_e32 v28, v21, v18
	v_sub_nc_u64_e32 v[18:19], v[28:29], v[18:19]
.LBB126_3204:
	s_or_b32 exec_lo, exec_lo, s7
	s_mov_b32 s7, 0
	s_branch .LBB126_3210
.LBB126_3205:
	s_mov_b32 s7, -1
                                        ; implicit-def: $vgpr18_vgpr19
	s_branch .LBB126_3216
.LBB126_3206:
	s_and_not1_saveexec_b32 s15, s15
	s_cbranch_execz .LBB126_3191
.LBB126_3207:
	v_cmp_ne_u16_e32 vcc_lo, 0, v21
	s_and_not1_b32 s20, s20, exec_lo
	s_and_b32 s21, vcc_lo, exec_lo
	s_delay_alu instid0(SALU_CYCLE_1)
	s_or_b32 s20, s20, s21
	s_or_b32 exec_lo, exec_lo, s15
	v_mov_b64_e32 v[18:19], 0
	s_and_saveexec_b32 s15, s20
	s_cbranch_execnz .LBB126_3192
	s_branch .LBB126_3193
.LBB126_3208:
	s_mov_b32 s7, -1
                                        ; implicit-def: $vgpr18_vgpr19
	s_branch .LBB126_3213
.LBB126_3209:
	s_mov_b32 s7, -1
                                        ; implicit-def: $vgpr18_vgpr19
.LBB126_3210:
	s_delay_alu instid0(SALU_CYCLE_1)
	s_and_b32 vcc_lo, exec_lo, s7
	s_cbranch_vccz .LBB126_3212
; %bb.3211:
	s_wait_loadcnt 0x0
	global_load_u8 v18, v[24:25], off
	s_wait_loadcnt 0x0
	v_lshlrev_b32_e32 v18, 24, v18
	s_delay_alu instid0(VALU_DEP_1) | instskip(NEXT) | instid1(VALU_DEP_1)
	v_and_b32_e32 v19, 0x7f000000, v18
	v_clz_i32_u32_e32 v21, v19
	v_add_nc_u32_e32 v27, 0x1000000, v19
	v_cmp_ne_u32_e32 vcc_lo, 0, v19
	s_delay_alu instid0(VALU_DEP_3) | instskip(NEXT) | instid1(VALU_DEP_1)
	v_min_u32_e32 v21, 32, v21
	v_sub_nc_u32_e64 v21, v21, 4 clamp
	s_delay_alu instid0(VALU_DEP_1) | instskip(NEXT) | instid1(VALU_DEP_1)
	v_dual_lshlrev_b32 v23, v21, v19 :: v_dual_lshlrev_b32 v21, 23, v21
	v_lshrrev_b32_e32 v23, 4, v23
	s_delay_alu instid0(VALU_DEP_1) | instskip(NEXT) | instid1(VALU_DEP_1)
	v_dual_sub_nc_u32 v21, v23, v21 :: v_dual_ashrrev_i32 v23, 8, v27
	v_add_nc_u32_e32 v21, 0x3c000000, v21
	s_delay_alu instid0(VALU_DEP_1) | instskip(NEXT) | instid1(VALU_DEP_1)
	v_and_or_b32 v21, 0x7f800000, v23, v21
	v_cndmask_b32_e32 v19, 0, v21, vcc_lo
	s_delay_alu instid0(VALU_DEP_1) | instskip(NEXT) | instid1(VALU_DEP_1)
	v_and_or_b32 v18, 0x80000000, v18, v19
	v_trunc_f32_e32 v18, v18
	s_delay_alu instid0(VALU_DEP_1) | instskip(NEXT) | instid1(VALU_DEP_1)
	v_mul_f32_e64 v19, 0x2f800000, |v18|
	v_floor_f32_e32 v19, v19
	s_delay_alu instid0(VALU_DEP_1) | instskip(SKIP_2) | instid1(VALU_DEP_3)
	v_fma_f32 v21, 0xcf800000, v19, |v18|
	v_ashrrev_i32_e32 v18, 31, v18
	v_cvt_u32_f32_e32 v23, v19
	v_cvt_u32_f32_e32 v21, v21
	s_delay_alu instid0(VALU_DEP_2) | instskip(NEXT) | instid1(VALU_DEP_2)
	v_dual_mov_b32 v19, v18 :: v_dual_bitop2_b32 v29, v23, v18 bitop3:0x14
	v_xor_b32_e32 v28, v21, v18
	s_delay_alu instid0(VALU_DEP_1)
	v_sub_nc_u64_e32 v[18:19], v[28:29], v[18:19]
.LBB126_3212:
	s_mov_b32 s7, 0
.LBB126_3213:
	s_delay_alu instid0(SALU_CYCLE_1)
	s_and_not1_b32 vcc_lo, exec_lo, s7
	s_cbranch_vccnz .LBB126_3215
; %bb.3214:
	s_wait_loadcnt 0x0
	global_load_u8 v18, v[24:25], off
	s_wait_loadcnt 0x0
	v_lshlrev_b32_e32 v19, 25, v18
	v_lshlrev_b16 v18, 8, v18
	s_delay_alu instid0(VALU_DEP_1) | instskip(SKIP_1) | instid1(VALU_DEP_2)
	v_and_or_b32 v23, 0x7f00, v18, 0.5
	v_bfe_i32 v18, v18, 0, 16
	v_add_f32_e32 v23, -0.5, v23
	v_lshrrev_b32_e32 v21, 4, v19
	v_cmp_gt_u32_e32 vcc_lo, 0x8000000, v19
	s_delay_alu instid0(VALU_DEP_2) | instskip(NEXT) | instid1(VALU_DEP_1)
	v_or_b32_e32 v21, 0x70000000, v21
	v_mul_f32_e32 v21, 0x7800000, v21
	s_delay_alu instid0(VALU_DEP_1) | instskip(NEXT) | instid1(VALU_DEP_1)
	v_cndmask_b32_e32 v19, v21, v23, vcc_lo
	v_and_or_b32 v18, 0x80000000, v18, v19
	s_delay_alu instid0(VALU_DEP_1) | instskip(NEXT) | instid1(VALU_DEP_1)
	v_trunc_f32_e32 v18, v18
	v_mul_f32_e64 v19, 0x2f800000, |v18|
	s_delay_alu instid0(VALU_DEP_1) | instskip(NEXT) | instid1(VALU_DEP_1)
	v_floor_f32_e32 v19, v19
	v_fma_f32 v21, 0xcf800000, v19, |v18|
	v_ashrrev_i32_e32 v18, 31, v18
	v_cvt_u32_f32_e32 v23, v19
	s_delay_alu instid0(VALU_DEP_3) | instskip(NEXT) | instid1(VALU_DEP_2)
	v_cvt_u32_f32_e32 v21, v21
	v_dual_mov_b32 v19, v18 :: v_dual_bitop2_b32 v29, v23, v18 bitop3:0x14
	s_delay_alu instid0(VALU_DEP_2) | instskip(NEXT) | instid1(VALU_DEP_1)
	v_xor_b32_e32 v28, v21, v18
	v_sub_nc_u64_e32 v[18:19], v[28:29], v[18:19]
.LBB126_3215:
	s_mov_b32 s7, 0
	s_mov_b32 s15, -1
.LBB126_3216:
	s_and_not1_b32 vcc_lo, exec_lo, s7
	s_mov_b32 s7, 0
	s_cbranch_vccnz .LBB126_3227
; %bb.3217:
	s_cmp_gt_i32 s1, 14
	s_cbranch_scc0 .LBB126_3220
; %bb.3218:
	s_cmp_eq_u32 s1, 15
	s_cbranch_scc0 .LBB126_3223
; %bb.3219:
	s_wait_loadcnt 0x0
	global_load_u16 v18, v[24:25], off
	s_mov_b32 s6, 0
	s_mov_b32 s15, -1
	s_wait_loadcnt 0x0
	v_lshlrev_b32_e32 v18, 16, v18
	s_delay_alu instid0(VALU_DEP_1) | instskip(NEXT) | instid1(VALU_DEP_1)
	v_trunc_f32_e32 v18, v18
	v_mul_f32_e64 v19, 0x2f800000, |v18|
	s_delay_alu instid0(VALU_DEP_1) | instskip(NEXT) | instid1(VALU_DEP_1)
	v_floor_f32_e32 v19, v19
	v_fma_f32 v21, 0xcf800000, v19, |v18|
	v_ashrrev_i32_e32 v18, 31, v18
	v_cvt_u32_f32_e32 v23, v19
	s_delay_alu instid0(VALU_DEP_3) | instskip(NEXT) | instid1(VALU_DEP_2)
	v_cvt_u32_f32_e32 v21, v21
	v_dual_mov_b32 v19, v18 :: v_dual_bitop2_b32 v29, v23, v18 bitop3:0x14
	s_delay_alu instid0(VALU_DEP_2) | instskip(NEXT) | instid1(VALU_DEP_1)
	v_xor_b32_e32 v28, v21, v18
	v_sub_nc_u64_e32 v[18:19], v[28:29], v[18:19]
	s_branch .LBB126_3225
.LBB126_3220:
	s_mov_b32 s7, -1
	s_branch .LBB126_3224
.LBB126_3221:
	s_and_not1_saveexec_b32 s7, s7
	s_cbranch_execz .LBB126_3202
.LBB126_3222:
	v_cmp_ne_u16_e32 vcc_lo, 0, v21
	s_and_not1_b32 s15, s15, exec_lo
	s_and_b32 s20, vcc_lo, exec_lo
	s_delay_alu instid0(SALU_CYCLE_1)
	s_or_b32 s15, s15, s20
	s_or_b32 exec_lo, exec_lo, s7
	v_mov_b64_e32 v[18:19], 0
	s_and_saveexec_b32 s7, s15
	s_cbranch_execnz .LBB126_3203
	s_branch .LBB126_3204
.LBB126_3223:
	s_mov_b32 s6, -1
.LBB126_3224:
                                        ; implicit-def: $vgpr18_vgpr19
.LBB126_3225:
	s_and_b32 vcc_lo, exec_lo, s7
	s_mov_b32 s7, 0
	s_cbranch_vccz .LBB126_3227
; %bb.3226:
	s_cmp_lg_u32 s1, 11
	s_mov_b32 s7, -1
	s_cselect_b32 s6, -1, 0
.LBB126_3227:
	s_delay_alu instid0(SALU_CYCLE_1)
	s_and_b32 vcc_lo, exec_lo, s6
	s_cbranch_vccnz .LBB126_3292
; %bb.3228:
	s_and_not1_b32 vcc_lo, exec_lo, s7
	s_cbranch_vccnz .LBB126_3230
.LBB126_3229:
	s_wait_loadcnt 0x0
	global_load_u8 v18, v[24:25], off
	s_mov_b32 s1, 0
	s_mov_b32 s15, -1
	v_mov_b32_e32 v19, s1
	s_wait_loadcnt 0x0
	v_cmp_ne_u16_e32 vcc_lo, 0, v18
	v_cndmask_b32_e64 v18, 0, 1, vcc_lo
.LBB126_3230:
	s_mov_b32 s1, 0
.LBB126_3231:
	s_delay_alu instid0(SALU_CYCLE_1)
	s_and_b32 vcc_lo, exec_lo, s1
	s_cbranch_vccz .LBB126_3280
; %bb.3232:
	s_and_b32 s1, 0xffff, s17
	s_delay_alu instid0(SALU_CYCLE_1)
	s_cmp_lt_i32 s1, 5
	s_cbranch_scc1 .LBB126_3237
; %bb.3233:
	s_cmp_lt_i32 s1, 8
	s_cbranch_scc1 .LBB126_3238
; %bb.3234:
	;; [unrolled: 3-line block ×3, first 2 shown]
	s_cmp_gt_i32 s1, 9
	s_cbranch_scc0 .LBB126_3240
; %bb.3236:
	s_wait_loadcnt 0x0
	global_load_b64 v[18:19], v[24:25], off
	s_mov_b32 s6, 0
	s_wait_loadcnt 0x0
	v_trunc_f64_e32 v[18:19], v[18:19]
	s_delay_alu instid0(VALU_DEP_1) | instskip(NEXT) | instid1(VALU_DEP_1)
	v_ldexp_f64 v[28:29], v[18:19], 0xffffffe0
	v_floor_f64_e32 v[28:29], v[28:29]
	s_delay_alu instid0(VALU_DEP_1) | instskip(SKIP_1) | instid1(VALU_DEP_2)
	v_fmamk_f64 v[30:31], v[28:29], 0xc1f00000, v[18:19]
	v_cvt_i32_f64_e32 v19, v[28:29]
	v_cvt_u32_f64_e32 v18, v[30:31]
	s_branch .LBB126_3241
.LBB126_3237:
	s_mov_b32 s6, -1
                                        ; implicit-def: $vgpr18_vgpr19
	s_branch .LBB126_3259
.LBB126_3238:
	s_mov_b32 s6, -1
                                        ; implicit-def: $vgpr18_vgpr19
	s_branch .LBB126_3247
.LBB126_3239:
	s_mov_b32 s6, -1
                                        ; implicit-def: $vgpr18_vgpr19
	s_branch .LBB126_3244
.LBB126_3240:
	s_mov_b32 s6, -1
                                        ; implicit-def: $vgpr18_vgpr19
.LBB126_3241:
	s_delay_alu instid0(SALU_CYCLE_1)
	s_and_not1_b32 vcc_lo, exec_lo, s6
	s_cbranch_vccnz .LBB126_3243
; %bb.3242:
	s_wait_loadcnt 0x0
	global_load_b32 v18, v[24:25], off
	s_wait_loadcnt 0x0
	v_trunc_f32_e32 v18, v18
	s_delay_alu instid0(VALU_DEP_1) | instskip(NEXT) | instid1(VALU_DEP_1)
	v_mul_f32_e64 v19, 0x2f800000, |v18|
	v_floor_f32_e32 v19, v19
	s_delay_alu instid0(VALU_DEP_1) | instskip(SKIP_2) | instid1(VALU_DEP_3)
	v_fma_f32 v21, 0xcf800000, v19, |v18|
	v_ashrrev_i32_e32 v18, 31, v18
	v_cvt_u32_f32_e32 v23, v19
	v_cvt_u32_f32_e32 v21, v21
	s_delay_alu instid0(VALU_DEP_2) | instskip(NEXT) | instid1(VALU_DEP_2)
	v_dual_mov_b32 v19, v18 :: v_dual_bitop2_b32 v29, v23, v18 bitop3:0x14
	v_xor_b32_e32 v28, v21, v18
	s_delay_alu instid0(VALU_DEP_1)
	v_sub_nc_u64_e32 v[18:19], v[28:29], v[18:19]
.LBB126_3243:
	s_mov_b32 s6, 0
.LBB126_3244:
	s_delay_alu instid0(SALU_CYCLE_1)
	s_and_not1_b32 vcc_lo, exec_lo, s6
	s_cbranch_vccnz .LBB126_3246
; %bb.3245:
	s_wait_loadcnt 0x0
	global_load_b32 v18, v[24:25], off
	s_wait_loadcnt 0x0
	v_cvt_f32_f16_e32 v18, v18
	s_delay_alu instid0(VALU_DEP_1) | instskip(NEXT) | instid1(VALU_DEP_1)
	v_cvt_i32_f32_e32 v18, v18
	v_ashrrev_i32_e32 v19, 31, v18
.LBB126_3246:
	s_mov_b32 s6, 0
.LBB126_3247:
	s_delay_alu instid0(SALU_CYCLE_1)
	s_and_not1_b32 vcc_lo, exec_lo, s6
	s_cbranch_vccnz .LBB126_3258
; %bb.3248:
	s_cmp_lt_i32 s1, 6
	s_cbranch_scc1 .LBB126_3251
; %bb.3249:
	s_cmp_gt_i32 s1, 6
	s_cbranch_scc0 .LBB126_3252
; %bb.3250:
	s_wait_loadcnt 0x0
	global_load_b64 v[18:19], v[24:25], off
	s_mov_b32 s6, 0
	s_wait_loadcnt 0x0
	v_trunc_f64_e32 v[18:19], v[18:19]
	s_delay_alu instid0(VALU_DEP_1) | instskip(NEXT) | instid1(VALU_DEP_1)
	v_ldexp_f64 v[28:29], v[18:19], 0xffffffe0
	v_floor_f64_e32 v[28:29], v[28:29]
	s_delay_alu instid0(VALU_DEP_1) | instskip(SKIP_1) | instid1(VALU_DEP_2)
	v_fmamk_f64 v[30:31], v[28:29], 0xc1f00000, v[18:19]
	v_cvt_i32_f64_e32 v19, v[28:29]
	v_cvt_u32_f64_e32 v18, v[30:31]
	s_branch .LBB126_3253
.LBB126_3251:
	s_mov_b32 s6, -1
                                        ; implicit-def: $vgpr18_vgpr19
	s_branch .LBB126_3256
.LBB126_3252:
	s_mov_b32 s6, -1
                                        ; implicit-def: $vgpr18_vgpr19
.LBB126_3253:
	s_delay_alu instid0(SALU_CYCLE_1)
	s_and_not1_b32 vcc_lo, exec_lo, s6
	s_cbranch_vccnz .LBB126_3255
; %bb.3254:
	s_wait_loadcnt 0x0
	global_load_b32 v18, v[24:25], off
	s_wait_loadcnt 0x0
	v_trunc_f32_e32 v18, v18
	s_delay_alu instid0(VALU_DEP_1) | instskip(NEXT) | instid1(VALU_DEP_1)
	v_mul_f32_e64 v19, 0x2f800000, |v18|
	v_floor_f32_e32 v19, v19
	s_delay_alu instid0(VALU_DEP_1) | instskip(SKIP_2) | instid1(VALU_DEP_3)
	v_fma_f32 v21, 0xcf800000, v19, |v18|
	v_ashrrev_i32_e32 v18, 31, v18
	v_cvt_u32_f32_e32 v23, v19
	v_cvt_u32_f32_e32 v21, v21
	s_delay_alu instid0(VALU_DEP_2) | instskip(NEXT) | instid1(VALU_DEP_2)
	v_dual_mov_b32 v19, v18 :: v_dual_bitop2_b32 v29, v23, v18 bitop3:0x14
	v_xor_b32_e32 v28, v21, v18
	s_delay_alu instid0(VALU_DEP_1)
	v_sub_nc_u64_e32 v[18:19], v[28:29], v[18:19]
.LBB126_3255:
	s_mov_b32 s6, 0
.LBB126_3256:
	s_delay_alu instid0(SALU_CYCLE_1)
	s_and_not1_b32 vcc_lo, exec_lo, s6
	s_cbranch_vccnz .LBB126_3258
; %bb.3257:
	s_wait_loadcnt 0x0
	global_load_u16 v18, v[24:25], off
	s_wait_loadcnt 0x0
	v_cvt_f32_f16_e32 v18, v18
	s_delay_alu instid0(VALU_DEP_1) | instskip(NEXT) | instid1(VALU_DEP_1)
	v_cvt_i32_f32_e32 v18, v18
	v_ashrrev_i32_e32 v19, 31, v18
.LBB126_3258:
	s_mov_b32 s6, 0
.LBB126_3259:
	s_delay_alu instid0(SALU_CYCLE_1)
	s_and_not1_b32 vcc_lo, exec_lo, s6
	s_cbranch_vccnz .LBB126_3279
; %bb.3260:
	s_cmp_lt_i32 s1, 2
	s_cbranch_scc1 .LBB126_3264
; %bb.3261:
	s_cmp_lt_i32 s1, 3
	s_cbranch_scc1 .LBB126_3265
; %bb.3262:
	s_cmp_gt_i32 s1, 3
	s_cbranch_scc0 .LBB126_3266
; %bb.3263:
	s_wait_loadcnt 0x0
	global_load_b64 v[18:19], v[24:25], off
	s_mov_b32 s6, 0
	s_branch .LBB126_3267
.LBB126_3264:
	s_mov_b32 s6, -1
                                        ; implicit-def: $vgpr18_vgpr19
	s_branch .LBB126_3273
.LBB126_3265:
	s_mov_b32 s6, -1
                                        ; implicit-def: $vgpr18_vgpr19
	s_branch .LBB126_3270
.LBB126_3266:
	s_mov_b32 s6, -1
                                        ; implicit-def: $vgpr18_vgpr19
.LBB126_3267:
	s_delay_alu instid0(SALU_CYCLE_1)
	s_and_not1_b32 vcc_lo, exec_lo, s6
	s_cbranch_vccnz .LBB126_3269
; %bb.3268:
	s_wait_loadcnt 0x0
	global_load_b32 v18, v[24:25], off
	s_wait_loadcnt 0x0
	v_ashrrev_i32_e32 v19, 31, v18
.LBB126_3269:
	s_mov_b32 s6, 0
.LBB126_3270:
	s_delay_alu instid0(SALU_CYCLE_1)
	s_and_not1_b32 vcc_lo, exec_lo, s6
	s_cbranch_vccnz .LBB126_3272
; %bb.3271:
	s_wait_loadcnt 0x0
	global_load_u16 v18, v[24:25], off
	s_wait_loadcnt 0x0
	v_bfe_i32 v18, v18, 0, 16
	s_delay_alu instid0(VALU_DEP_1)
	v_ashrrev_i32_e32 v19, 31, v18
.LBB126_3272:
	s_mov_b32 s6, 0
.LBB126_3273:
	s_delay_alu instid0(SALU_CYCLE_1)
	s_and_not1_b32 vcc_lo, exec_lo, s6
	s_cbranch_vccnz .LBB126_3279
; %bb.3274:
	s_cmp_gt_i32 s1, 0
	s_mov_b32 s1, 0
	s_cbranch_scc0 .LBB126_3276
; %bb.3275:
	s_wait_loadcnt 0x0
	global_load_i8 v18, v[24:25], off
	s_wait_loadcnt 0x0
	v_bfe_i32 v18, v18, 0, 16
	s_delay_alu instid0(VALU_DEP_1)
	v_ashrrev_i32_e32 v19, 31, v18
	s_branch .LBB126_3277
.LBB126_3276:
	s_mov_b32 s1, -1
                                        ; implicit-def: $vgpr18_vgpr19
.LBB126_3277:
	s_delay_alu instid0(SALU_CYCLE_1)
	s_and_not1_b32 vcc_lo, exec_lo, s1
	s_cbranch_vccnz .LBB126_3279
; %bb.3278:
	s_wait_loadcnt 0x0
	global_load_u8 v18, v[24:25], off
	s_mov_b32 s1, 0
	s_delay_alu instid0(SALU_CYCLE_1)
	v_mov_b32_e32 v19, s1
	s_wait_loadcnt 0x0
	v_and_b32_e32 v18, 0xffff, v18
.LBB126_3279:
	s_mov_b32 s15, -1
.LBB126_3280:
	s_delay_alu instid0(SALU_CYCLE_1)
	s_and_not1_b32 vcc_lo, exec_lo, s15
	s_cbranch_vccnz .LBB126_3968
; %bb.3281:
	v_add_nc_u32_e32 v20, s13, v20
	s_cmp_lt_i32 s3, 11
	s_delay_alu instid0(VALU_DEP_1) | instskip(SKIP_1) | instid1(VALU_DEP_1)
	v_ashrrev_i32_e32 v21, 31, v20
	s_wait_xcnt 0x0
	v_add_nc_u64_e32 v[24:25], s[8:9], v[20:21]
	s_cbranch_scc1 .LBB126_3288
; %bb.3282:
	s_and_b32 s1, 0xffff, s3
	s_mov_b32 s7, 0
	s_cmp_gt_i32 s1, 25
	s_cbranch_scc0 .LBB126_3289
; %bb.3283:
	s_cmp_gt_i32 s1, 28
	s_cbranch_scc0 .LBB126_3290
; %bb.3284:
	;; [unrolled: 3-line block ×4, first 2 shown]
	s_cmp_eq_u32 s1, 46
	s_mov_b32 s9, 0
	s_cbranch_scc0 .LBB126_3294
; %bb.3287:
	global_load_b32 v20, v[24:25], off
	s_mov_b32 s6, 0
	s_mov_b32 s8, -1
	s_wait_loadcnt 0x0
	v_lshlrev_b32_e32 v20, 16, v20
	s_delay_alu instid0(VALU_DEP_1) | instskip(NEXT) | instid1(VALU_DEP_1)
	v_trunc_f32_e32 v20, v20
	v_mul_f32_e64 v21, 0x2f800000, |v20|
	s_delay_alu instid0(VALU_DEP_1) | instskip(NEXT) | instid1(VALU_DEP_1)
	v_floor_f32_e32 v21, v21
	v_fma_f32 v23, 0xcf800000, v21, |v20|
	v_ashrrev_i32_e32 v20, 31, v20
	v_cvt_u32_f32_e32 v27, v21
	s_delay_alu instid0(VALU_DEP_3) | instskip(NEXT) | instid1(VALU_DEP_2)
	v_cvt_u32_f32_e32 v23, v23
	v_dual_mov_b32 v21, v20 :: v_dual_bitop2_b32 v29, v27, v20 bitop3:0x14
	s_delay_alu instid0(VALU_DEP_2) | instskip(NEXT) | instid1(VALU_DEP_1)
	v_xor_b32_e32 v28, v23, v20
	v_sub_nc_u64_e32 v[20:21], v[28:29], v[20:21]
	s_branch .LBB126_3296
.LBB126_3288:
	s_mov_b32 s1, -1
	s_mov_b32 s8, 0
                                        ; implicit-def: $vgpr20_vgpr21
	s_branch .LBB126_3358
.LBB126_3289:
	s_mov_b32 s9, -1
	s_mov_b32 s8, 0
	s_mov_b32 s6, 0
                                        ; implicit-def: $vgpr20_vgpr21
	s_branch .LBB126_3323
.LBB126_3290:
	s_mov_b32 s9, -1
	s_mov_b32 s8, 0
	s_mov_b32 s6, 0
                                        ; implicit-def: $vgpr20_vgpr21
	s_branch .LBB126_3306
.LBB126_3291:
	s_mov_b32 s9, -1
	s_mov_b32 s8, 0
	s_mov_b32 s6, 0
                                        ; implicit-def: $vgpr20_vgpr21
	s_branch .LBB126_3301
.LBB126_3292:
	s_or_b32 s16, s16, exec_lo
	s_trap 2
	s_cbranch_execz .LBB126_3229
	s_branch .LBB126_3230
.LBB126_3293:
	s_mov_b32 s9, -1
	s_mov_b32 s8, 0
	s_mov_b32 s6, 0
	s_branch .LBB126_3295
.LBB126_3294:
	s_mov_b32 s6, -1
	s_mov_b32 s8, 0
.LBB126_3295:
                                        ; implicit-def: $vgpr20_vgpr21
.LBB126_3296:
	s_and_b32 vcc_lo, exec_lo, s9
	s_cbranch_vccz .LBB126_3300
; %bb.3297:
	s_cmp_eq_u32 s1, 44
	s_cbranch_scc0 .LBB126_3299
; %bb.3298:
	global_load_u8 v23, v[24:25], off
	s_mov_b32 s6, 0
	s_mov_b32 s8, -1
	s_wait_loadcnt 0x0
	v_cmp_ne_u32_e32 vcc_lo, 0, v23
	v_lshlrev_b32_e32 v20, 23, v23
	s_delay_alu instid0(VALU_DEP_1) | instskip(NEXT) | instid1(VALU_DEP_1)
	v_trunc_f32_e32 v20, v20
	v_mul_f32_e64 v21, 0x2f800000, |v20|
	s_delay_alu instid0(VALU_DEP_1) | instskip(NEXT) | instid1(VALU_DEP_1)
	v_floor_f32_e32 v21, v21
	v_fma_f32 v27, 0xcf800000, v21, |v20|
	v_ashrrev_i32_e32 v20, 31, v20
	v_cvt_u32_f32_e32 v28, v21
	s_delay_alu instid0(VALU_DEP_3) | instskip(NEXT) | instid1(VALU_DEP_3)
	v_cvt_u32_f32_e32 v27, v27
	v_mov_b32_e32 v21, v20
	s_delay_alu instid0(VALU_DEP_3) | instskip(NEXT) | instid1(VALU_DEP_3)
	v_xor_b32_e32 v29, v28, v20
	v_xor_b32_e32 v28, v27, v20
	s_delay_alu instid0(VALU_DEP_1) | instskip(NEXT) | instid1(VALU_DEP_1)
	v_sub_nc_u64_e32 v[20:21], v[28:29], v[20:21]
	v_dual_cndmask_b32 v21, 0, v21 :: v_dual_cndmask_b32 v20, 0, v20
	s_branch .LBB126_3300
.LBB126_3299:
	s_mov_b32 s6, -1
                                        ; implicit-def: $vgpr20_vgpr21
.LBB126_3300:
	s_mov_b32 s9, 0
.LBB126_3301:
	s_delay_alu instid0(SALU_CYCLE_1)
	s_and_b32 vcc_lo, exec_lo, s9
	s_cbranch_vccz .LBB126_3305
; %bb.3302:
	s_cmp_eq_u32 s1, 29
	s_cbranch_scc0 .LBB126_3304
; %bb.3303:
	global_load_b64 v[20:21], v[24:25], off
	s_mov_b32 s6, 0
	s_mov_b32 s8, -1
	s_branch .LBB126_3305
.LBB126_3304:
	s_mov_b32 s6, -1
                                        ; implicit-def: $vgpr20_vgpr21
.LBB126_3305:
	s_mov_b32 s9, 0
.LBB126_3306:
	s_delay_alu instid0(SALU_CYCLE_1)
	s_and_b32 vcc_lo, exec_lo, s9
	s_cbranch_vccz .LBB126_3322
; %bb.3307:
	s_cmp_lt_i32 s1, 27
	s_cbranch_scc1 .LBB126_3310
; %bb.3308:
	s_cmp_gt_i32 s1, 27
	s_cbranch_scc0 .LBB126_3311
; %bb.3309:
	s_wait_loadcnt 0x0
	global_load_b32 v20, v[24:25], off
	v_mov_b32_e32 v21, 0
	s_mov_b32 s8, 0
	s_branch .LBB126_3312
.LBB126_3310:
	s_mov_b32 s8, -1
                                        ; implicit-def: $vgpr20_vgpr21
	s_branch .LBB126_3315
.LBB126_3311:
	s_mov_b32 s8, -1
                                        ; implicit-def: $vgpr20_vgpr21
.LBB126_3312:
	s_delay_alu instid0(SALU_CYCLE_1)
	s_and_not1_b32 vcc_lo, exec_lo, s8
	s_cbranch_vccnz .LBB126_3314
; %bb.3313:
	s_wait_loadcnt 0x0
	global_load_u16 v20, v[24:25], off
	s_mov_b32 s8, 0
	s_delay_alu instid0(SALU_CYCLE_1)
	v_mov_b32_e32 v21, s8
	s_wait_loadcnt 0x0
	v_and_b32_e32 v20, 0xffff, v20
.LBB126_3314:
	s_mov_b32 s8, 0
.LBB126_3315:
	s_delay_alu instid0(SALU_CYCLE_1)
	s_and_not1_b32 vcc_lo, exec_lo, s8
	s_cbranch_vccnz .LBB126_3321
; %bb.3316:
	global_load_u8 v23, v[24:25], off
	s_mov_b32 s9, 0
	s_mov_b32 s8, exec_lo
	s_wait_loadcnt 0x0
	v_cmpx_lt_i16_e32 0x7f, v23
	s_xor_b32 s8, exec_lo, s8
	s_cbranch_execz .LBB126_3333
; %bb.3317:
	v_cmp_ne_u16_e32 vcc_lo, 0x80, v23
	s_and_b32 s9, vcc_lo, exec_lo
	s_and_not1_saveexec_b32 s8, s8
	s_cbranch_execnz .LBB126_3334
.LBB126_3318:
	s_or_b32 exec_lo, exec_lo, s8
	v_mov_b64_e32 v[20:21], 0
	s_and_saveexec_b32 s8, s9
	s_cbranch_execz .LBB126_3320
.LBB126_3319:
	v_and_b32_e32 v20, 0xffff, v23
	s_delay_alu instid0(VALU_DEP_1) | instskip(SKIP_1) | instid1(VALU_DEP_2)
	v_and_b32_e32 v21, 7, v20
	v_bfe_u32 v29, v20, 3, 4
	v_clz_i32_u32_e32 v27, v21
	s_delay_alu instid0(VALU_DEP_2) | instskip(NEXT) | instid1(VALU_DEP_2)
	v_cmp_eq_u32_e32 vcc_lo, 0, v29
	v_min_u32_e32 v27, 32, v27
	s_delay_alu instid0(VALU_DEP_1) | instskip(NEXT) | instid1(VALU_DEP_1)
	v_subrev_nc_u32_e32 v28, 28, v27
	v_dual_lshlrev_b32 v20, v28, v20 :: v_dual_sub_nc_u32 v27, 29, v27
	s_delay_alu instid0(VALU_DEP_1) | instskip(NEXT) | instid1(VALU_DEP_1)
	v_dual_lshlrev_b32 v23, 24, v23 :: v_dual_bitop2_b32 v20, 7, v20 bitop3:0x40
	v_cndmask_b32_e32 v20, v21, v20, vcc_lo
	s_delay_alu instid0(VALU_DEP_3) | instskip(NEXT) | instid1(VALU_DEP_3)
	v_cndmask_b32_e32 v27, v29, v27, vcc_lo
	v_and_b32_e32 v21, 0x80000000, v23
	s_delay_alu instid0(VALU_DEP_3) | instskip(NEXT) | instid1(VALU_DEP_3)
	v_lshlrev_b32_e32 v20, 20, v20
	v_lshl_add_u32 v23, v27, 23, 0x3b800000
	s_delay_alu instid0(VALU_DEP_1) | instskip(NEXT) | instid1(VALU_DEP_1)
	v_or3_b32 v20, v21, v23, v20
	v_trunc_f32_e32 v20, v20
	s_delay_alu instid0(VALU_DEP_1) | instskip(NEXT) | instid1(VALU_DEP_1)
	v_mul_f32_e64 v21, 0x2f800000, |v20|
	v_floor_f32_e32 v21, v21
	s_delay_alu instid0(VALU_DEP_1) | instskip(SKIP_2) | instid1(VALU_DEP_3)
	v_fma_f32 v23, 0xcf800000, v21, |v20|
	v_ashrrev_i32_e32 v20, 31, v20
	v_cvt_u32_f32_e32 v27, v21
	v_cvt_u32_f32_e32 v23, v23
	s_delay_alu instid0(VALU_DEP_2) | instskip(NEXT) | instid1(VALU_DEP_2)
	v_dual_mov_b32 v21, v20 :: v_dual_bitop2_b32 v29, v27, v20 bitop3:0x14
	v_xor_b32_e32 v28, v23, v20
	s_delay_alu instid0(VALU_DEP_1)
	v_sub_nc_u64_e32 v[20:21], v[28:29], v[20:21]
.LBB126_3320:
	s_or_b32 exec_lo, exec_lo, s8
.LBB126_3321:
	s_mov_b32 s8, -1
.LBB126_3322:
	s_mov_b32 s9, 0
.LBB126_3323:
	s_delay_alu instid0(SALU_CYCLE_1)
	s_and_b32 vcc_lo, exec_lo, s9
	s_cbranch_vccz .LBB126_3354
; %bb.3324:
	s_cmp_gt_i32 s1, 22
	s_cbranch_scc0 .LBB126_3332
; %bb.3325:
	s_cmp_lt_i32 s1, 24
	s_cbranch_scc1 .LBB126_3335
; %bb.3326:
	s_cmp_gt_i32 s1, 24
	s_cbranch_scc0 .LBB126_3336
; %bb.3327:
	global_load_u8 v23, v[24:25], off
	s_mov_b32 s8, 0
	s_mov_b32 s7, exec_lo
	s_wait_loadcnt 0x0
	v_cmpx_lt_i16_e32 0x7f, v23
	s_xor_b32 s7, exec_lo, s7
	s_cbranch_execz .LBB126_3348
; %bb.3328:
	v_cmp_ne_u16_e32 vcc_lo, 0x80, v23
	s_and_b32 s8, vcc_lo, exec_lo
	s_and_not1_saveexec_b32 s7, s7
	s_cbranch_execnz .LBB126_3349
.LBB126_3329:
	s_or_b32 exec_lo, exec_lo, s7
	v_mov_b64_e32 v[20:21], 0
	s_and_saveexec_b32 s7, s8
	s_cbranch_execz .LBB126_3331
.LBB126_3330:
	v_and_b32_e32 v20, 0xffff, v23
	s_delay_alu instid0(VALU_DEP_1) | instskip(SKIP_1) | instid1(VALU_DEP_2)
	v_and_b32_e32 v21, 3, v20
	v_bfe_u32 v29, v20, 2, 5
	v_clz_i32_u32_e32 v27, v21
	s_delay_alu instid0(VALU_DEP_2) | instskip(NEXT) | instid1(VALU_DEP_2)
	v_cmp_eq_u32_e32 vcc_lo, 0, v29
	v_min_u32_e32 v27, 32, v27
	s_delay_alu instid0(VALU_DEP_1) | instskip(NEXT) | instid1(VALU_DEP_1)
	v_subrev_nc_u32_e32 v28, 29, v27
	v_dual_lshlrev_b32 v20, v28, v20 :: v_dual_sub_nc_u32 v27, 30, v27
	s_delay_alu instid0(VALU_DEP_1) | instskip(NEXT) | instid1(VALU_DEP_1)
	v_dual_lshlrev_b32 v23, 24, v23 :: v_dual_bitop2_b32 v20, 3, v20 bitop3:0x40
	v_cndmask_b32_e32 v20, v21, v20, vcc_lo
	s_delay_alu instid0(VALU_DEP_3) | instskip(NEXT) | instid1(VALU_DEP_3)
	v_cndmask_b32_e32 v27, v29, v27, vcc_lo
	v_and_b32_e32 v21, 0x80000000, v23
	s_delay_alu instid0(VALU_DEP_3) | instskip(NEXT) | instid1(VALU_DEP_3)
	v_lshlrev_b32_e32 v20, 21, v20
	v_lshl_add_u32 v23, v27, 23, 0x37800000
	s_delay_alu instid0(VALU_DEP_1) | instskip(NEXT) | instid1(VALU_DEP_1)
	v_or3_b32 v20, v21, v23, v20
	v_trunc_f32_e32 v20, v20
	s_delay_alu instid0(VALU_DEP_1) | instskip(NEXT) | instid1(VALU_DEP_1)
	v_mul_f32_e64 v21, 0x2f800000, |v20|
	v_floor_f32_e32 v21, v21
	s_delay_alu instid0(VALU_DEP_1) | instskip(SKIP_2) | instid1(VALU_DEP_3)
	v_fma_f32 v23, 0xcf800000, v21, |v20|
	v_ashrrev_i32_e32 v20, 31, v20
	v_cvt_u32_f32_e32 v27, v21
	v_cvt_u32_f32_e32 v23, v23
	s_delay_alu instid0(VALU_DEP_2) | instskip(NEXT) | instid1(VALU_DEP_2)
	v_dual_mov_b32 v21, v20 :: v_dual_bitop2_b32 v29, v27, v20 bitop3:0x14
	v_xor_b32_e32 v28, v23, v20
	s_delay_alu instid0(VALU_DEP_1)
	v_sub_nc_u64_e32 v[20:21], v[28:29], v[20:21]
.LBB126_3331:
	s_or_b32 exec_lo, exec_lo, s7
	s_mov_b32 s7, 0
	s_branch .LBB126_3337
.LBB126_3332:
	s_mov_b32 s7, -1
                                        ; implicit-def: $vgpr20_vgpr21
	s_branch .LBB126_3343
.LBB126_3333:
	s_and_not1_saveexec_b32 s8, s8
	s_cbranch_execz .LBB126_3318
.LBB126_3334:
	v_cmp_ne_u16_e32 vcc_lo, 0, v23
	s_and_not1_b32 s9, s9, exec_lo
	s_and_b32 s13, vcc_lo, exec_lo
	s_delay_alu instid0(SALU_CYCLE_1)
	s_or_b32 s9, s9, s13
	s_or_b32 exec_lo, exec_lo, s8
	v_mov_b64_e32 v[20:21], 0
	s_and_saveexec_b32 s8, s9
	s_cbranch_execnz .LBB126_3319
	s_branch .LBB126_3320
.LBB126_3335:
	s_mov_b32 s7, -1
                                        ; implicit-def: $vgpr20_vgpr21
	s_branch .LBB126_3340
.LBB126_3336:
	s_mov_b32 s7, -1
                                        ; implicit-def: $vgpr20_vgpr21
.LBB126_3337:
	s_delay_alu instid0(SALU_CYCLE_1)
	s_and_b32 vcc_lo, exec_lo, s7
	s_cbranch_vccz .LBB126_3339
; %bb.3338:
	s_wait_loadcnt 0x0
	global_load_u8 v20, v[24:25], off
	s_wait_loadcnt 0x0
	v_lshlrev_b32_e32 v20, 24, v20
	s_delay_alu instid0(VALU_DEP_1) | instskip(NEXT) | instid1(VALU_DEP_1)
	v_and_b32_e32 v21, 0x7f000000, v20
	v_clz_i32_u32_e32 v23, v21
	v_cmp_ne_u32_e32 vcc_lo, 0, v21
	v_add_nc_u32_e32 v28, 0x1000000, v21
	s_delay_alu instid0(VALU_DEP_3) | instskip(NEXT) | instid1(VALU_DEP_1)
	v_min_u32_e32 v23, 32, v23
	v_sub_nc_u32_e64 v23, v23, 4 clamp
	s_delay_alu instid0(VALU_DEP_1) | instskip(NEXT) | instid1(VALU_DEP_1)
	v_dual_lshlrev_b32 v27, v23, v21 :: v_dual_lshlrev_b32 v23, 23, v23
	v_lshrrev_b32_e32 v27, 4, v27
	s_delay_alu instid0(VALU_DEP_1) | instskip(NEXT) | instid1(VALU_DEP_1)
	v_dual_sub_nc_u32 v23, v27, v23 :: v_dual_ashrrev_i32 v27, 8, v28
	v_add_nc_u32_e32 v23, 0x3c000000, v23
	s_delay_alu instid0(VALU_DEP_1) | instskip(NEXT) | instid1(VALU_DEP_1)
	v_and_or_b32 v23, 0x7f800000, v27, v23
	v_cndmask_b32_e32 v21, 0, v23, vcc_lo
	s_delay_alu instid0(VALU_DEP_1) | instskip(NEXT) | instid1(VALU_DEP_1)
	v_and_or_b32 v20, 0x80000000, v20, v21
	v_trunc_f32_e32 v20, v20
	s_delay_alu instid0(VALU_DEP_1) | instskip(NEXT) | instid1(VALU_DEP_1)
	v_mul_f32_e64 v21, 0x2f800000, |v20|
	v_floor_f32_e32 v21, v21
	s_delay_alu instid0(VALU_DEP_1) | instskip(SKIP_2) | instid1(VALU_DEP_3)
	v_fma_f32 v23, 0xcf800000, v21, |v20|
	v_ashrrev_i32_e32 v20, 31, v20
	v_cvt_u32_f32_e32 v27, v21
	v_cvt_u32_f32_e32 v23, v23
	s_delay_alu instid0(VALU_DEP_2) | instskip(NEXT) | instid1(VALU_DEP_2)
	v_dual_mov_b32 v21, v20 :: v_dual_bitop2_b32 v29, v27, v20 bitop3:0x14
	v_xor_b32_e32 v28, v23, v20
	s_delay_alu instid0(VALU_DEP_1)
	v_sub_nc_u64_e32 v[20:21], v[28:29], v[20:21]
.LBB126_3339:
	s_mov_b32 s7, 0
.LBB126_3340:
	s_delay_alu instid0(SALU_CYCLE_1)
	s_and_not1_b32 vcc_lo, exec_lo, s7
	s_cbranch_vccnz .LBB126_3342
; %bb.3341:
	s_wait_loadcnt 0x0
	global_load_u8 v20, v[24:25], off
	s_wait_loadcnt 0x0
	v_lshlrev_b32_e32 v21, 25, v20
	v_lshlrev_b16 v20, 8, v20
	s_delay_alu instid0(VALU_DEP_1) | instskip(SKIP_1) | instid1(VALU_DEP_2)
	v_and_or_b32 v27, 0x7f00, v20, 0.5
	v_bfe_i32 v20, v20, 0, 16
	v_dual_add_f32 v27, -0.5, v27 :: v_dual_lshrrev_b32 v23, 4, v21
	v_cmp_gt_u32_e32 vcc_lo, 0x8000000, v21
	s_delay_alu instid0(VALU_DEP_2) | instskip(NEXT) | instid1(VALU_DEP_1)
	v_or_b32_e32 v23, 0x70000000, v23
	v_mul_f32_e32 v23, 0x7800000, v23
	s_delay_alu instid0(VALU_DEP_1) | instskip(NEXT) | instid1(VALU_DEP_1)
	v_cndmask_b32_e32 v21, v23, v27, vcc_lo
	v_and_or_b32 v20, 0x80000000, v20, v21
	s_delay_alu instid0(VALU_DEP_1) | instskip(NEXT) | instid1(VALU_DEP_1)
	v_trunc_f32_e32 v20, v20
	v_mul_f32_e64 v21, 0x2f800000, |v20|
	s_delay_alu instid0(VALU_DEP_1) | instskip(NEXT) | instid1(VALU_DEP_1)
	v_floor_f32_e32 v21, v21
	v_fma_f32 v23, 0xcf800000, v21, |v20|
	v_ashrrev_i32_e32 v20, 31, v20
	v_cvt_u32_f32_e32 v27, v21
	s_delay_alu instid0(VALU_DEP_3) | instskip(NEXT) | instid1(VALU_DEP_2)
	v_cvt_u32_f32_e32 v23, v23
	v_dual_mov_b32 v21, v20 :: v_dual_bitop2_b32 v29, v27, v20 bitop3:0x14
	s_delay_alu instid0(VALU_DEP_2) | instskip(NEXT) | instid1(VALU_DEP_1)
	v_xor_b32_e32 v28, v23, v20
	v_sub_nc_u64_e32 v[20:21], v[28:29], v[20:21]
.LBB126_3342:
	s_mov_b32 s7, 0
	s_mov_b32 s8, -1
.LBB126_3343:
	s_and_not1_b32 vcc_lo, exec_lo, s7
	s_mov_b32 s7, 0
	s_cbranch_vccnz .LBB126_3354
; %bb.3344:
	s_cmp_gt_i32 s1, 14
	s_cbranch_scc0 .LBB126_3347
; %bb.3345:
	s_cmp_eq_u32 s1, 15
	s_cbranch_scc0 .LBB126_3350
; %bb.3346:
	s_wait_loadcnt 0x0
	global_load_u16 v20, v[24:25], off
	s_mov_b32 s6, 0
	s_mov_b32 s8, -1
	s_wait_loadcnt 0x0
	v_lshlrev_b32_e32 v20, 16, v20
	s_delay_alu instid0(VALU_DEP_1) | instskip(NEXT) | instid1(VALU_DEP_1)
	v_trunc_f32_e32 v20, v20
	v_mul_f32_e64 v21, 0x2f800000, |v20|
	s_delay_alu instid0(VALU_DEP_1) | instskip(NEXT) | instid1(VALU_DEP_1)
	v_floor_f32_e32 v21, v21
	v_fma_f32 v23, 0xcf800000, v21, |v20|
	v_ashrrev_i32_e32 v20, 31, v20
	v_cvt_u32_f32_e32 v27, v21
	s_delay_alu instid0(VALU_DEP_3) | instskip(NEXT) | instid1(VALU_DEP_2)
	v_cvt_u32_f32_e32 v23, v23
	v_dual_mov_b32 v21, v20 :: v_dual_bitop2_b32 v29, v27, v20 bitop3:0x14
	s_delay_alu instid0(VALU_DEP_2) | instskip(NEXT) | instid1(VALU_DEP_1)
	v_xor_b32_e32 v28, v23, v20
	v_sub_nc_u64_e32 v[20:21], v[28:29], v[20:21]
	s_branch .LBB126_3352
.LBB126_3347:
	s_mov_b32 s7, -1
	s_branch .LBB126_3351
.LBB126_3348:
	s_and_not1_saveexec_b32 s7, s7
	s_cbranch_execz .LBB126_3329
.LBB126_3349:
	v_cmp_ne_u16_e32 vcc_lo, 0, v23
	s_and_not1_b32 s8, s8, exec_lo
	s_and_b32 s9, vcc_lo, exec_lo
	s_delay_alu instid0(SALU_CYCLE_1)
	s_or_b32 s8, s8, s9
	s_or_b32 exec_lo, exec_lo, s7
	v_mov_b64_e32 v[20:21], 0
	s_and_saveexec_b32 s7, s8
	s_cbranch_execnz .LBB126_3330
	s_branch .LBB126_3331
.LBB126_3350:
	s_mov_b32 s6, -1
.LBB126_3351:
                                        ; implicit-def: $vgpr20_vgpr21
.LBB126_3352:
	s_and_b32 vcc_lo, exec_lo, s7
	s_mov_b32 s7, 0
	s_cbranch_vccz .LBB126_3354
; %bb.3353:
	s_cmp_lg_u32 s1, 11
	s_mov_b32 s7, -1
	s_cselect_b32 s6, -1, 0
.LBB126_3354:
	s_delay_alu instid0(SALU_CYCLE_1)
	s_and_b32 vcc_lo, exec_lo, s6
	s_cbranch_vccnz .LBB126_3419
; %bb.3355:
	s_and_not1_b32 vcc_lo, exec_lo, s7
	s_cbranch_vccnz .LBB126_3357
.LBB126_3356:
	s_wait_loadcnt 0x0
	global_load_u8 v20, v[24:25], off
	s_mov_b32 s1, 0
	s_mov_b32 s8, -1
	v_mov_b32_e32 v21, s1
	s_wait_loadcnt 0x0
	v_cmp_ne_u16_e32 vcc_lo, 0, v20
	v_cndmask_b32_e64 v20, 0, 1, vcc_lo
.LBB126_3357:
	s_mov_b32 s1, 0
.LBB126_3358:
	s_delay_alu instid0(SALU_CYCLE_1)
	s_and_b32 vcc_lo, exec_lo, s1
	s_cbranch_vccz .LBB126_3407
; %bb.3359:
	s_and_b32 s1, 0xffff, s3
	s_delay_alu instid0(SALU_CYCLE_1)
	s_cmp_lt_i32 s1, 5
	s_cbranch_scc1 .LBB126_3364
; %bb.3360:
	s_cmp_lt_i32 s1, 8
	s_cbranch_scc1 .LBB126_3365
; %bb.3361:
	s_cmp_lt_i32 s1, 9
	s_cbranch_scc1 .LBB126_3366
; %bb.3362:
	s_cmp_gt_i32 s1, 9
	s_cbranch_scc0 .LBB126_3367
; %bb.3363:
	s_wait_loadcnt 0x0
	global_load_b64 v[20:21], v[24:25], off
	s_mov_b32 s3, 0
	s_wait_loadcnt 0x0
	v_trunc_f64_e32 v[20:21], v[20:21]
	s_delay_alu instid0(VALU_DEP_1) | instskip(NEXT) | instid1(VALU_DEP_1)
	v_ldexp_f64 v[28:29], v[20:21], 0xffffffe0
	v_floor_f64_e32 v[28:29], v[28:29]
	s_delay_alu instid0(VALU_DEP_1) | instskip(SKIP_1) | instid1(VALU_DEP_2)
	v_fmamk_f64 v[30:31], v[28:29], 0xc1f00000, v[20:21]
	v_cvt_i32_f64_e32 v21, v[28:29]
	v_cvt_u32_f64_e32 v20, v[30:31]
	s_branch .LBB126_3368
.LBB126_3364:
	s_mov_b32 s3, -1
                                        ; implicit-def: $vgpr20_vgpr21
	s_branch .LBB126_3386
.LBB126_3365:
	s_mov_b32 s3, -1
                                        ; implicit-def: $vgpr20_vgpr21
	s_branch .LBB126_3374
.LBB126_3366:
	s_mov_b32 s3, -1
                                        ; implicit-def: $vgpr20_vgpr21
	s_branch .LBB126_3371
.LBB126_3367:
	s_mov_b32 s3, -1
                                        ; implicit-def: $vgpr20_vgpr21
.LBB126_3368:
	s_delay_alu instid0(SALU_CYCLE_1)
	s_and_not1_b32 vcc_lo, exec_lo, s3
	s_cbranch_vccnz .LBB126_3370
; %bb.3369:
	s_wait_loadcnt 0x0
	global_load_b32 v20, v[24:25], off
	s_wait_loadcnt 0x0
	v_trunc_f32_e32 v20, v20
	s_delay_alu instid0(VALU_DEP_1) | instskip(NEXT) | instid1(VALU_DEP_1)
	v_mul_f32_e64 v21, 0x2f800000, |v20|
	v_floor_f32_e32 v21, v21
	s_delay_alu instid0(VALU_DEP_1) | instskip(SKIP_2) | instid1(VALU_DEP_3)
	v_fma_f32 v23, 0xcf800000, v21, |v20|
	v_ashrrev_i32_e32 v20, 31, v20
	v_cvt_u32_f32_e32 v27, v21
	v_cvt_u32_f32_e32 v23, v23
	s_delay_alu instid0(VALU_DEP_2) | instskip(NEXT) | instid1(VALU_DEP_2)
	v_dual_mov_b32 v21, v20 :: v_dual_bitop2_b32 v29, v27, v20 bitop3:0x14
	v_xor_b32_e32 v28, v23, v20
	s_delay_alu instid0(VALU_DEP_1)
	v_sub_nc_u64_e32 v[20:21], v[28:29], v[20:21]
.LBB126_3370:
	s_mov_b32 s3, 0
.LBB126_3371:
	s_delay_alu instid0(SALU_CYCLE_1)
	s_and_not1_b32 vcc_lo, exec_lo, s3
	s_cbranch_vccnz .LBB126_3373
; %bb.3372:
	s_wait_loadcnt 0x0
	global_load_b32 v20, v[24:25], off
	s_wait_loadcnt 0x0
	v_cvt_f32_f16_e32 v20, v20
	s_delay_alu instid0(VALU_DEP_1) | instskip(NEXT) | instid1(VALU_DEP_1)
	v_cvt_i32_f32_e32 v20, v20
	v_ashrrev_i32_e32 v21, 31, v20
.LBB126_3373:
	s_mov_b32 s3, 0
.LBB126_3374:
	s_delay_alu instid0(SALU_CYCLE_1)
	s_and_not1_b32 vcc_lo, exec_lo, s3
	s_cbranch_vccnz .LBB126_3385
; %bb.3375:
	s_cmp_lt_i32 s1, 6
	s_cbranch_scc1 .LBB126_3378
; %bb.3376:
	s_cmp_gt_i32 s1, 6
	s_cbranch_scc0 .LBB126_3379
; %bb.3377:
	s_wait_loadcnt 0x0
	global_load_b64 v[20:21], v[24:25], off
	s_mov_b32 s3, 0
	s_wait_loadcnt 0x0
	v_trunc_f64_e32 v[20:21], v[20:21]
	s_delay_alu instid0(VALU_DEP_1) | instskip(NEXT) | instid1(VALU_DEP_1)
	v_ldexp_f64 v[28:29], v[20:21], 0xffffffe0
	v_floor_f64_e32 v[28:29], v[28:29]
	s_delay_alu instid0(VALU_DEP_1) | instskip(SKIP_1) | instid1(VALU_DEP_2)
	v_fmamk_f64 v[30:31], v[28:29], 0xc1f00000, v[20:21]
	v_cvt_i32_f64_e32 v21, v[28:29]
	v_cvt_u32_f64_e32 v20, v[30:31]
	s_branch .LBB126_3380
.LBB126_3378:
	s_mov_b32 s3, -1
                                        ; implicit-def: $vgpr20_vgpr21
	s_branch .LBB126_3383
.LBB126_3379:
	s_mov_b32 s3, -1
                                        ; implicit-def: $vgpr20_vgpr21
.LBB126_3380:
	s_delay_alu instid0(SALU_CYCLE_1)
	s_and_not1_b32 vcc_lo, exec_lo, s3
	s_cbranch_vccnz .LBB126_3382
; %bb.3381:
	s_wait_loadcnt 0x0
	global_load_b32 v20, v[24:25], off
	s_wait_loadcnt 0x0
	v_trunc_f32_e32 v20, v20
	s_delay_alu instid0(VALU_DEP_1) | instskip(NEXT) | instid1(VALU_DEP_1)
	v_mul_f32_e64 v21, 0x2f800000, |v20|
	v_floor_f32_e32 v21, v21
	s_delay_alu instid0(VALU_DEP_1) | instskip(SKIP_2) | instid1(VALU_DEP_3)
	v_fma_f32 v23, 0xcf800000, v21, |v20|
	v_ashrrev_i32_e32 v20, 31, v20
	v_cvt_u32_f32_e32 v27, v21
	v_cvt_u32_f32_e32 v23, v23
	s_delay_alu instid0(VALU_DEP_2) | instskip(NEXT) | instid1(VALU_DEP_2)
	v_dual_mov_b32 v21, v20 :: v_dual_bitop2_b32 v29, v27, v20 bitop3:0x14
	v_xor_b32_e32 v28, v23, v20
	s_delay_alu instid0(VALU_DEP_1)
	v_sub_nc_u64_e32 v[20:21], v[28:29], v[20:21]
.LBB126_3382:
	s_mov_b32 s3, 0
.LBB126_3383:
	s_delay_alu instid0(SALU_CYCLE_1)
	s_and_not1_b32 vcc_lo, exec_lo, s3
	s_cbranch_vccnz .LBB126_3385
; %bb.3384:
	s_wait_loadcnt 0x0
	global_load_u16 v20, v[24:25], off
	s_wait_loadcnt 0x0
	v_cvt_f32_f16_e32 v20, v20
	s_delay_alu instid0(VALU_DEP_1) | instskip(NEXT) | instid1(VALU_DEP_1)
	v_cvt_i32_f32_e32 v20, v20
	v_ashrrev_i32_e32 v21, 31, v20
.LBB126_3385:
	s_mov_b32 s3, 0
.LBB126_3386:
	s_delay_alu instid0(SALU_CYCLE_1)
	s_and_not1_b32 vcc_lo, exec_lo, s3
	s_cbranch_vccnz .LBB126_3406
; %bb.3387:
	s_cmp_lt_i32 s1, 2
	s_cbranch_scc1 .LBB126_3391
; %bb.3388:
	s_cmp_lt_i32 s1, 3
	s_cbranch_scc1 .LBB126_3392
; %bb.3389:
	s_cmp_gt_i32 s1, 3
	s_cbranch_scc0 .LBB126_3393
; %bb.3390:
	s_wait_loadcnt 0x0
	global_load_b64 v[20:21], v[24:25], off
	s_mov_b32 s3, 0
	s_branch .LBB126_3394
.LBB126_3391:
	s_mov_b32 s3, -1
                                        ; implicit-def: $vgpr20_vgpr21
	s_branch .LBB126_3400
.LBB126_3392:
	s_mov_b32 s3, -1
                                        ; implicit-def: $vgpr20_vgpr21
	s_branch .LBB126_3397
.LBB126_3393:
	s_mov_b32 s3, -1
                                        ; implicit-def: $vgpr20_vgpr21
.LBB126_3394:
	s_delay_alu instid0(SALU_CYCLE_1)
	s_and_not1_b32 vcc_lo, exec_lo, s3
	s_cbranch_vccnz .LBB126_3396
; %bb.3395:
	s_wait_loadcnt 0x0
	global_load_b32 v20, v[24:25], off
	s_wait_loadcnt 0x0
	v_ashrrev_i32_e32 v21, 31, v20
.LBB126_3396:
	s_mov_b32 s3, 0
.LBB126_3397:
	s_delay_alu instid0(SALU_CYCLE_1)
	s_and_not1_b32 vcc_lo, exec_lo, s3
	s_cbranch_vccnz .LBB126_3399
; %bb.3398:
	s_wait_loadcnt 0x0
	global_load_u16 v20, v[24:25], off
	s_wait_loadcnt 0x0
	v_bfe_i32 v20, v20, 0, 16
	s_delay_alu instid0(VALU_DEP_1)
	v_ashrrev_i32_e32 v21, 31, v20
.LBB126_3399:
	s_mov_b32 s3, 0
.LBB126_3400:
	s_delay_alu instid0(SALU_CYCLE_1)
	s_and_not1_b32 vcc_lo, exec_lo, s3
	s_cbranch_vccnz .LBB126_3406
; %bb.3401:
	s_cmp_gt_i32 s1, 0
	s_mov_b32 s1, 0
	s_cbranch_scc0 .LBB126_3403
; %bb.3402:
	s_wait_loadcnt 0x0
	global_load_i8 v20, v[24:25], off
	s_wait_loadcnt 0x0
	v_bfe_i32 v20, v20, 0, 16
	s_delay_alu instid0(VALU_DEP_1)
	v_ashrrev_i32_e32 v21, 31, v20
	s_branch .LBB126_3404
.LBB126_3403:
	s_mov_b32 s1, -1
                                        ; implicit-def: $vgpr20_vgpr21
.LBB126_3404:
	s_delay_alu instid0(SALU_CYCLE_1)
	s_and_not1_b32 vcc_lo, exec_lo, s1
	s_cbranch_vccnz .LBB126_3406
; %bb.3405:
	s_wait_loadcnt 0x0
	global_load_u8 v20, v[24:25], off
	s_mov_b32 s1, 0
	s_delay_alu instid0(SALU_CYCLE_1)
	v_mov_b32_e32 v21, s1
	s_wait_loadcnt 0x0
	v_and_b32_e32 v20, 0xffff, v20
.LBB126_3406:
	s_mov_b32 s8, -1
.LBB126_3407:
	s_delay_alu instid0(SALU_CYCLE_1)
	s_and_not1_b32 vcc_lo, exec_lo, s8
	s_cbranch_vccnz .LBB126_3968
; %bb.3408:
	v_add_nc_u32_e32 v22, s14, v22
	s_cmp_lt_i32 s0, 11
	s_delay_alu instid0(VALU_DEP_1) | instskip(SKIP_1) | instid1(VALU_DEP_1)
	v_ashrrev_i32_e32 v23, 31, v22
	s_wait_xcnt 0x0
	v_add_nc_u64_e32 v[24:25], s[10:11], v[22:23]
	s_cbranch_scc1 .LBB126_3415
; %bb.3409:
	s_cmp_gt_i32 s0, 25
	s_mov_b32 s3, 0
	s_cbranch_scc0 .LBB126_3416
; %bb.3410:
	s_cmp_gt_i32 s0, 28
	s_cbranch_scc0 .LBB126_3417
; %bb.3411:
	s_cmp_gt_i32 s0, 43
	;; [unrolled: 3-line block ×3, first 2 shown]
	s_cbranch_scc0 .LBB126_3420
; %bb.3413:
	s_cmp_eq_u32 s0, 46
	s_mov_b32 s7, 0
	s_cbranch_scc0 .LBB126_3421
; %bb.3414:
	global_load_b32 v22, v[24:25], off
	s_mov_b32 s1, 0
	s_mov_b32 s6, -1
	s_wait_loadcnt 0x0
	v_lshlrev_b32_e32 v22, 16, v22
	s_delay_alu instid0(VALU_DEP_1) | instskip(NEXT) | instid1(VALU_DEP_1)
	v_trunc_f32_e32 v22, v22
	v_mul_f32_e64 v23, 0x2f800000, |v22|
	s_delay_alu instid0(VALU_DEP_1) | instskip(NEXT) | instid1(VALU_DEP_1)
	v_floor_f32_e32 v23, v23
	v_fma_f32 v27, 0xcf800000, v23, |v22|
	v_ashrrev_i32_e32 v22, 31, v22
	v_cvt_u32_f32_e32 v28, v23
	s_delay_alu instid0(VALU_DEP_3) | instskip(NEXT) | instid1(VALU_DEP_2)
	v_cvt_u32_f32_e32 v27, v27
	v_dual_mov_b32 v23, v22 :: v_dual_bitop2_b32 v29, v28, v22 bitop3:0x14
	s_delay_alu instid0(VALU_DEP_2) | instskip(NEXT) | instid1(VALU_DEP_1)
	v_xor_b32_e32 v28, v27, v22
	v_sub_nc_u64_e32 v[22:23], v[28:29], v[22:23]
	s_branch .LBB126_3423
.LBB126_3415:
	s_mov_b32 s1, -1
	s_mov_b32 s6, 0
                                        ; implicit-def: $vgpr22_vgpr23
	s_branch .LBB126_3485
.LBB126_3416:
	s_mov_b32 s7, -1
	s_mov_b32 s6, 0
	s_mov_b32 s1, 0
                                        ; implicit-def: $vgpr22_vgpr23
	s_branch .LBB126_3450
.LBB126_3417:
	s_mov_b32 s7, -1
	s_mov_b32 s6, 0
	s_mov_b32 s1, 0
                                        ; implicit-def: $vgpr22_vgpr23
	s_branch .LBB126_3433
.LBB126_3418:
	s_mov_b32 s7, -1
	s_mov_b32 s6, 0
	s_mov_b32 s1, 0
                                        ; implicit-def: $vgpr22_vgpr23
	s_branch .LBB126_3428
.LBB126_3419:
	s_or_b32 s16, s16, exec_lo
	s_trap 2
	s_cbranch_execz .LBB126_3356
	s_branch .LBB126_3357
.LBB126_3420:
	s_mov_b32 s7, -1
	s_mov_b32 s6, 0
	s_mov_b32 s1, 0
	s_branch .LBB126_3422
.LBB126_3421:
	s_mov_b32 s1, -1
	s_mov_b32 s6, 0
.LBB126_3422:
                                        ; implicit-def: $vgpr22_vgpr23
.LBB126_3423:
	s_and_b32 vcc_lo, exec_lo, s7
	s_cbranch_vccz .LBB126_3427
; %bb.3424:
	s_cmp_eq_u32 s0, 44
	s_cbranch_scc0 .LBB126_3426
; %bb.3425:
	global_load_u8 v27, v[24:25], off
	s_mov_b32 s1, 0
	s_mov_b32 s6, -1
	s_wait_loadcnt 0x0
	v_lshlrev_b32_e32 v22, 23, v27
	v_cmp_ne_u32_e32 vcc_lo, 0, v27
	s_delay_alu instid0(VALU_DEP_2) | instskip(NEXT) | instid1(VALU_DEP_1)
	v_trunc_f32_e32 v22, v22
	v_mul_f32_e64 v23, 0x2f800000, |v22|
	s_delay_alu instid0(VALU_DEP_1) | instskip(NEXT) | instid1(VALU_DEP_1)
	v_floor_f32_e32 v23, v23
	v_fma_f32 v28, 0xcf800000, v23, |v22|
	v_ashrrev_i32_e32 v22, 31, v22
	v_cvt_u32_f32_e32 v29, v23
	s_delay_alu instid0(VALU_DEP_3) | instskip(NEXT) | instid1(VALU_DEP_2)
	v_cvt_u32_f32_e32 v28, v28
	v_dual_mov_b32 v23, v22 :: v_dual_bitop2_b32 v29, v29, v22 bitop3:0x14
	s_delay_alu instid0(VALU_DEP_2) | instskip(NEXT) | instid1(VALU_DEP_1)
	v_xor_b32_e32 v28, v28, v22
	v_sub_nc_u64_e32 v[22:23], v[28:29], v[22:23]
	s_delay_alu instid0(VALU_DEP_1)
	v_dual_cndmask_b32 v23, 0, v23 :: v_dual_cndmask_b32 v22, 0, v22
	s_branch .LBB126_3427
.LBB126_3426:
	s_mov_b32 s1, -1
                                        ; implicit-def: $vgpr22_vgpr23
.LBB126_3427:
	s_mov_b32 s7, 0
.LBB126_3428:
	s_delay_alu instid0(SALU_CYCLE_1)
	s_and_b32 vcc_lo, exec_lo, s7
	s_cbranch_vccz .LBB126_3432
; %bb.3429:
	s_cmp_eq_u32 s0, 29
	s_cbranch_scc0 .LBB126_3431
; %bb.3430:
	global_load_b64 v[22:23], v[24:25], off
	s_mov_b32 s1, 0
	s_mov_b32 s6, -1
	s_branch .LBB126_3432
.LBB126_3431:
	s_mov_b32 s1, -1
                                        ; implicit-def: $vgpr22_vgpr23
.LBB126_3432:
	s_mov_b32 s7, 0
.LBB126_3433:
	s_delay_alu instid0(SALU_CYCLE_1)
	s_and_b32 vcc_lo, exec_lo, s7
	s_cbranch_vccz .LBB126_3449
; %bb.3434:
	s_cmp_lt_i32 s0, 27
	s_cbranch_scc1 .LBB126_3437
; %bb.3435:
	s_cmp_gt_i32 s0, 27
	s_cbranch_scc0 .LBB126_3438
; %bb.3436:
	s_wait_loadcnt 0x0
	global_load_b32 v22, v[24:25], off
	v_mov_b32_e32 v23, 0
	s_mov_b32 s6, 0
	s_branch .LBB126_3439
.LBB126_3437:
	s_mov_b32 s6, -1
                                        ; implicit-def: $vgpr22_vgpr23
	s_branch .LBB126_3442
.LBB126_3438:
	s_mov_b32 s6, -1
                                        ; implicit-def: $vgpr22_vgpr23
.LBB126_3439:
	s_delay_alu instid0(SALU_CYCLE_1)
	s_and_not1_b32 vcc_lo, exec_lo, s6
	s_cbranch_vccnz .LBB126_3441
; %bb.3440:
	s_wait_loadcnt 0x0
	global_load_u16 v22, v[24:25], off
	s_mov_b32 s6, 0
	s_delay_alu instid0(SALU_CYCLE_1)
	v_mov_b32_e32 v23, s6
	s_wait_loadcnt 0x0
	v_and_b32_e32 v22, 0xffff, v22
.LBB126_3441:
	s_mov_b32 s6, 0
.LBB126_3442:
	s_delay_alu instid0(SALU_CYCLE_1)
	s_and_not1_b32 vcc_lo, exec_lo, s6
	s_cbranch_vccnz .LBB126_3448
; %bb.3443:
	global_load_u8 v27, v[24:25], off
	s_mov_b32 s7, 0
	s_mov_b32 s6, exec_lo
	s_wait_loadcnt 0x0
	v_cmpx_lt_i16_e32 0x7f, v27
	s_xor_b32 s6, exec_lo, s6
	s_cbranch_execz .LBB126_3460
; %bb.3444:
	v_cmp_ne_u16_e32 vcc_lo, 0x80, v27
	s_and_b32 s7, vcc_lo, exec_lo
	s_and_not1_saveexec_b32 s6, s6
	s_cbranch_execnz .LBB126_3461
.LBB126_3445:
	s_or_b32 exec_lo, exec_lo, s6
	v_mov_b64_e32 v[22:23], 0
	s_and_saveexec_b32 s6, s7
	s_cbranch_execz .LBB126_3447
.LBB126_3446:
	v_and_b32_e32 v22, 0xffff, v27
	s_delay_alu instid0(VALU_DEP_1) | instskip(SKIP_1) | instid1(VALU_DEP_2)
	v_and_b32_e32 v23, 7, v22
	v_bfe_u32 v30, v22, 3, 4
	v_clz_i32_u32_e32 v28, v23
	s_delay_alu instid0(VALU_DEP_2) | instskip(NEXT) | instid1(VALU_DEP_2)
	v_cmp_eq_u32_e32 vcc_lo, 0, v30
	v_min_u32_e32 v28, 32, v28
	s_delay_alu instid0(VALU_DEP_1) | instskip(NEXT) | instid1(VALU_DEP_1)
	v_subrev_nc_u32_e32 v29, 28, v28
	v_dual_lshlrev_b32 v22, v29, v22 :: v_dual_sub_nc_u32 v28, 29, v28
	s_delay_alu instid0(VALU_DEP_1) | instskip(NEXT) | instid1(VALU_DEP_1)
	v_dual_lshlrev_b32 v27, 24, v27 :: v_dual_bitop2_b32 v22, 7, v22 bitop3:0x40
	v_dual_cndmask_b32 v28, v30, v28, vcc_lo :: v_dual_cndmask_b32 v22, v23, v22, vcc_lo
	s_delay_alu instid0(VALU_DEP_2) | instskip(NEXT) | instid1(VALU_DEP_2)
	v_and_b32_e32 v23, 0x80000000, v27
	v_lshl_add_u32 v27, v28, 23, 0x3b800000
	s_delay_alu instid0(VALU_DEP_3) | instskip(NEXT) | instid1(VALU_DEP_1)
	v_lshlrev_b32_e32 v22, 20, v22
	v_or3_b32 v22, v23, v27, v22
	s_delay_alu instid0(VALU_DEP_1) | instskip(NEXT) | instid1(VALU_DEP_1)
	v_trunc_f32_e32 v22, v22
	v_mul_f32_e64 v23, 0x2f800000, |v22|
	s_delay_alu instid0(VALU_DEP_1) | instskip(NEXT) | instid1(VALU_DEP_1)
	v_floor_f32_e32 v23, v23
	v_fma_f32 v27, 0xcf800000, v23, |v22|
	v_ashrrev_i32_e32 v22, 31, v22
	v_cvt_u32_f32_e32 v28, v23
	s_delay_alu instid0(VALU_DEP_3) | instskip(NEXT) | instid1(VALU_DEP_2)
	v_cvt_u32_f32_e32 v27, v27
	v_dual_mov_b32 v23, v22 :: v_dual_bitop2_b32 v29, v28, v22 bitop3:0x14
	s_delay_alu instid0(VALU_DEP_2) | instskip(NEXT) | instid1(VALU_DEP_1)
	v_xor_b32_e32 v28, v27, v22
	v_sub_nc_u64_e32 v[22:23], v[28:29], v[22:23]
.LBB126_3447:
	s_or_b32 exec_lo, exec_lo, s6
.LBB126_3448:
	s_mov_b32 s6, -1
.LBB126_3449:
	s_mov_b32 s7, 0
.LBB126_3450:
	s_delay_alu instid0(SALU_CYCLE_1)
	s_and_b32 vcc_lo, exec_lo, s7
	s_cbranch_vccz .LBB126_3481
; %bb.3451:
	s_cmp_gt_i32 s0, 22
	s_cbranch_scc0 .LBB126_3459
; %bb.3452:
	s_cmp_lt_i32 s0, 24
	s_cbranch_scc1 .LBB126_3462
; %bb.3453:
	s_cmp_gt_i32 s0, 24
	s_cbranch_scc0 .LBB126_3463
; %bb.3454:
	global_load_u8 v27, v[24:25], off
	s_mov_b32 s6, 0
	s_mov_b32 s3, exec_lo
	s_wait_loadcnt 0x0
	v_cmpx_lt_i16_e32 0x7f, v27
	s_xor_b32 s3, exec_lo, s3
	s_cbranch_execz .LBB126_3475
; %bb.3455:
	v_cmp_ne_u16_e32 vcc_lo, 0x80, v27
	s_and_b32 s6, vcc_lo, exec_lo
	s_and_not1_saveexec_b32 s3, s3
	s_cbranch_execnz .LBB126_3476
.LBB126_3456:
	s_or_b32 exec_lo, exec_lo, s3
	v_mov_b64_e32 v[22:23], 0
	s_and_saveexec_b32 s3, s6
	s_cbranch_execz .LBB126_3458
.LBB126_3457:
	v_and_b32_e32 v22, 0xffff, v27
	s_delay_alu instid0(VALU_DEP_1) | instskip(SKIP_1) | instid1(VALU_DEP_2)
	v_and_b32_e32 v23, 3, v22
	v_bfe_u32 v30, v22, 2, 5
	v_clz_i32_u32_e32 v28, v23
	s_delay_alu instid0(VALU_DEP_2) | instskip(NEXT) | instid1(VALU_DEP_2)
	v_cmp_eq_u32_e32 vcc_lo, 0, v30
	v_min_u32_e32 v28, 32, v28
	s_delay_alu instid0(VALU_DEP_1) | instskip(NEXT) | instid1(VALU_DEP_1)
	v_subrev_nc_u32_e32 v29, 29, v28
	v_dual_lshlrev_b32 v22, v29, v22 :: v_dual_sub_nc_u32 v28, 30, v28
	s_delay_alu instid0(VALU_DEP_1) | instskip(NEXT) | instid1(VALU_DEP_1)
	v_dual_lshlrev_b32 v27, 24, v27 :: v_dual_bitop2_b32 v22, 3, v22 bitop3:0x40
	v_dual_cndmask_b32 v28, v30, v28, vcc_lo :: v_dual_cndmask_b32 v22, v23, v22, vcc_lo
	s_delay_alu instid0(VALU_DEP_2) | instskip(NEXT) | instid1(VALU_DEP_2)
	v_and_b32_e32 v23, 0x80000000, v27
	v_lshl_add_u32 v27, v28, 23, 0x37800000
	s_delay_alu instid0(VALU_DEP_3) | instskip(NEXT) | instid1(VALU_DEP_1)
	v_lshlrev_b32_e32 v22, 21, v22
	v_or3_b32 v22, v23, v27, v22
	s_delay_alu instid0(VALU_DEP_1) | instskip(NEXT) | instid1(VALU_DEP_1)
	v_trunc_f32_e32 v22, v22
	v_mul_f32_e64 v23, 0x2f800000, |v22|
	s_delay_alu instid0(VALU_DEP_1) | instskip(NEXT) | instid1(VALU_DEP_1)
	v_floor_f32_e32 v23, v23
	v_fma_f32 v27, 0xcf800000, v23, |v22|
	v_ashrrev_i32_e32 v22, 31, v22
	v_cvt_u32_f32_e32 v28, v23
	s_delay_alu instid0(VALU_DEP_3) | instskip(NEXT) | instid1(VALU_DEP_2)
	v_cvt_u32_f32_e32 v27, v27
	v_dual_mov_b32 v23, v22 :: v_dual_bitop2_b32 v29, v28, v22 bitop3:0x14
	s_delay_alu instid0(VALU_DEP_2) | instskip(NEXT) | instid1(VALU_DEP_1)
	v_xor_b32_e32 v28, v27, v22
	v_sub_nc_u64_e32 v[22:23], v[28:29], v[22:23]
.LBB126_3458:
	s_or_b32 exec_lo, exec_lo, s3
	s_mov_b32 s3, 0
	s_branch .LBB126_3464
.LBB126_3459:
	s_mov_b32 s3, -1
                                        ; implicit-def: $vgpr22_vgpr23
	s_branch .LBB126_3470
.LBB126_3460:
	s_and_not1_saveexec_b32 s6, s6
	s_cbranch_execz .LBB126_3445
.LBB126_3461:
	v_cmp_ne_u16_e32 vcc_lo, 0, v27
	s_and_not1_b32 s7, s7, exec_lo
	s_and_b32 s8, vcc_lo, exec_lo
	s_delay_alu instid0(SALU_CYCLE_1)
	s_or_b32 s7, s7, s8
	s_or_b32 exec_lo, exec_lo, s6
	v_mov_b64_e32 v[22:23], 0
	s_and_saveexec_b32 s6, s7
	s_cbranch_execnz .LBB126_3446
	s_branch .LBB126_3447
.LBB126_3462:
	s_mov_b32 s3, -1
                                        ; implicit-def: $vgpr22_vgpr23
	s_branch .LBB126_3467
.LBB126_3463:
	s_mov_b32 s3, -1
                                        ; implicit-def: $vgpr22_vgpr23
.LBB126_3464:
	s_delay_alu instid0(SALU_CYCLE_1)
	s_and_b32 vcc_lo, exec_lo, s3
	s_cbranch_vccz .LBB126_3466
; %bb.3465:
	s_wait_loadcnt 0x0
	global_load_u8 v22, v[24:25], off
	s_wait_loadcnt 0x0
	v_lshlrev_b32_e32 v22, 24, v22
	s_delay_alu instid0(VALU_DEP_1) | instskip(NEXT) | instid1(VALU_DEP_1)
	v_and_b32_e32 v23, 0x7f000000, v22
	v_clz_i32_u32_e32 v27, v23
	v_add_nc_u32_e32 v29, 0x1000000, v23
	v_cmp_ne_u32_e32 vcc_lo, 0, v23
	s_delay_alu instid0(VALU_DEP_3) | instskip(NEXT) | instid1(VALU_DEP_1)
	v_min_u32_e32 v27, 32, v27
	v_sub_nc_u32_e64 v27, v27, 4 clamp
	s_delay_alu instid0(VALU_DEP_1) | instskip(NEXT) | instid1(VALU_DEP_1)
	v_lshlrev_b32_e32 v28, v27, v23
	v_dual_lshlrev_b32 v27, 23, v27 :: v_dual_lshrrev_b32 v28, 4, v28
	s_delay_alu instid0(VALU_DEP_1) | instskip(NEXT) | instid1(VALU_DEP_1)
	v_dual_sub_nc_u32 v27, v28, v27 :: v_dual_ashrrev_i32 v28, 8, v29
	v_add_nc_u32_e32 v27, 0x3c000000, v27
	s_delay_alu instid0(VALU_DEP_1) | instskip(NEXT) | instid1(VALU_DEP_1)
	v_and_or_b32 v27, 0x7f800000, v28, v27
	v_cndmask_b32_e32 v23, 0, v27, vcc_lo
	s_delay_alu instid0(VALU_DEP_1) | instskip(NEXT) | instid1(VALU_DEP_1)
	v_and_or_b32 v22, 0x80000000, v22, v23
	v_trunc_f32_e32 v22, v22
	s_delay_alu instid0(VALU_DEP_1) | instskip(NEXT) | instid1(VALU_DEP_1)
	v_mul_f32_e64 v23, 0x2f800000, |v22|
	v_floor_f32_e32 v23, v23
	s_delay_alu instid0(VALU_DEP_1) | instskip(SKIP_2) | instid1(VALU_DEP_3)
	v_fma_f32 v27, 0xcf800000, v23, |v22|
	v_ashrrev_i32_e32 v22, 31, v22
	v_cvt_u32_f32_e32 v28, v23
	v_cvt_u32_f32_e32 v27, v27
	s_delay_alu instid0(VALU_DEP_2) | instskip(NEXT) | instid1(VALU_DEP_2)
	v_dual_mov_b32 v23, v22 :: v_dual_bitop2_b32 v29, v28, v22 bitop3:0x14
	v_xor_b32_e32 v28, v27, v22
	s_delay_alu instid0(VALU_DEP_1)
	v_sub_nc_u64_e32 v[22:23], v[28:29], v[22:23]
.LBB126_3466:
	s_mov_b32 s3, 0
.LBB126_3467:
	s_delay_alu instid0(SALU_CYCLE_1)
	s_and_not1_b32 vcc_lo, exec_lo, s3
	s_cbranch_vccnz .LBB126_3469
; %bb.3468:
	s_wait_loadcnt 0x0
	global_load_u8 v22, v[24:25], off
	s_wait_loadcnt 0x0
	v_lshlrev_b32_e32 v23, 25, v22
	v_lshlrev_b16 v22, 8, v22
	s_delay_alu instid0(VALU_DEP_1) | instskip(SKIP_1) | instid1(VALU_DEP_2)
	v_and_or_b32 v28, 0x7f00, v22, 0.5
	v_bfe_i32 v22, v22, 0, 16
	v_dual_add_f32 v28, -0.5, v28 :: v_dual_lshrrev_b32 v27, 4, v23
	v_cmp_gt_u32_e32 vcc_lo, 0x8000000, v23
	s_delay_alu instid0(VALU_DEP_2) | instskip(NEXT) | instid1(VALU_DEP_1)
	v_or_b32_e32 v27, 0x70000000, v27
	v_mul_f32_e32 v27, 0x7800000, v27
	s_delay_alu instid0(VALU_DEP_1) | instskip(NEXT) | instid1(VALU_DEP_1)
	v_cndmask_b32_e32 v23, v27, v28, vcc_lo
	v_and_or_b32 v22, 0x80000000, v22, v23
	s_delay_alu instid0(VALU_DEP_1) | instskip(NEXT) | instid1(VALU_DEP_1)
	v_trunc_f32_e32 v22, v22
	v_mul_f32_e64 v23, 0x2f800000, |v22|
	s_delay_alu instid0(VALU_DEP_1) | instskip(NEXT) | instid1(VALU_DEP_1)
	v_floor_f32_e32 v23, v23
	v_fma_f32 v27, 0xcf800000, v23, |v22|
	v_ashrrev_i32_e32 v22, 31, v22
	v_cvt_u32_f32_e32 v28, v23
	s_delay_alu instid0(VALU_DEP_3) | instskip(NEXT) | instid1(VALU_DEP_2)
	v_cvt_u32_f32_e32 v27, v27
	v_dual_mov_b32 v23, v22 :: v_dual_bitop2_b32 v29, v28, v22 bitop3:0x14
	s_delay_alu instid0(VALU_DEP_2) | instskip(NEXT) | instid1(VALU_DEP_1)
	v_xor_b32_e32 v28, v27, v22
	v_sub_nc_u64_e32 v[22:23], v[28:29], v[22:23]
.LBB126_3469:
	s_mov_b32 s3, 0
	s_mov_b32 s6, -1
.LBB126_3470:
	s_and_not1_b32 vcc_lo, exec_lo, s3
	s_mov_b32 s3, 0
	s_cbranch_vccnz .LBB126_3481
; %bb.3471:
	s_cmp_gt_i32 s0, 14
	s_cbranch_scc0 .LBB126_3474
; %bb.3472:
	s_cmp_eq_u32 s0, 15
	s_cbranch_scc0 .LBB126_3477
; %bb.3473:
	s_wait_loadcnt 0x0
	global_load_u16 v22, v[24:25], off
	s_mov_b32 s1, 0
	s_mov_b32 s6, -1
	s_wait_loadcnt 0x0
	v_lshlrev_b32_e32 v22, 16, v22
	s_delay_alu instid0(VALU_DEP_1) | instskip(NEXT) | instid1(VALU_DEP_1)
	v_trunc_f32_e32 v22, v22
	v_mul_f32_e64 v23, 0x2f800000, |v22|
	s_delay_alu instid0(VALU_DEP_1) | instskip(NEXT) | instid1(VALU_DEP_1)
	v_floor_f32_e32 v23, v23
	v_fma_f32 v27, 0xcf800000, v23, |v22|
	v_ashrrev_i32_e32 v22, 31, v22
	v_cvt_u32_f32_e32 v28, v23
	s_delay_alu instid0(VALU_DEP_3) | instskip(NEXT) | instid1(VALU_DEP_2)
	v_cvt_u32_f32_e32 v27, v27
	v_dual_mov_b32 v23, v22 :: v_dual_bitop2_b32 v29, v28, v22 bitop3:0x14
	s_delay_alu instid0(VALU_DEP_2) | instskip(NEXT) | instid1(VALU_DEP_1)
	v_xor_b32_e32 v28, v27, v22
	v_sub_nc_u64_e32 v[22:23], v[28:29], v[22:23]
	s_branch .LBB126_3479
.LBB126_3474:
	s_mov_b32 s3, -1
	s_branch .LBB126_3478
.LBB126_3475:
	s_and_not1_saveexec_b32 s3, s3
	s_cbranch_execz .LBB126_3456
.LBB126_3476:
	v_cmp_ne_u16_e32 vcc_lo, 0, v27
	s_and_not1_b32 s6, s6, exec_lo
	s_and_b32 s7, vcc_lo, exec_lo
	s_delay_alu instid0(SALU_CYCLE_1)
	s_or_b32 s6, s6, s7
	s_or_b32 exec_lo, exec_lo, s3
	v_mov_b64_e32 v[22:23], 0
	s_and_saveexec_b32 s3, s6
	s_cbranch_execnz .LBB126_3457
	s_branch .LBB126_3458
.LBB126_3477:
	s_mov_b32 s1, -1
.LBB126_3478:
                                        ; implicit-def: $vgpr22_vgpr23
.LBB126_3479:
	s_and_b32 vcc_lo, exec_lo, s3
	s_mov_b32 s3, 0
	s_cbranch_vccz .LBB126_3481
; %bb.3480:
	s_cmp_lg_u32 s0, 11
	s_mov_b32 s3, -1
	s_cselect_b32 s1, -1, 0
.LBB126_3481:
	s_delay_alu instid0(SALU_CYCLE_1)
	s_and_b32 vcc_lo, exec_lo, s1
	s_cbranch_vccnz .LBB126_4014
; %bb.3482:
	s_and_not1_b32 vcc_lo, exec_lo, s3
	s_cbranch_vccnz .LBB126_3484
.LBB126_3483:
	s_wait_loadcnt 0x0
	global_load_u8 v22, v[24:25], off
	s_mov_b32 s1, 0
	s_mov_b32 s6, -1
	v_mov_b32_e32 v23, s1
	s_wait_loadcnt 0x0
	v_cmp_ne_u16_e32 vcc_lo, 0, v22
	v_cndmask_b32_e64 v22, 0, 1, vcc_lo
.LBB126_3484:
	s_mov_b32 s1, 0
.LBB126_3485:
	s_delay_alu instid0(SALU_CYCLE_1)
	s_and_b32 vcc_lo, exec_lo, s1
	s_cbranch_vccz .LBB126_3534
; %bb.3486:
	s_cmp_lt_i32 s0, 5
	s_cbranch_scc1 .LBB126_3491
; %bb.3487:
	s_cmp_lt_i32 s0, 8
	s_cbranch_scc1 .LBB126_3492
	;; [unrolled: 3-line block ×3, first 2 shown]
; %bb.3489:
	s_cmp_gt_i32 s0, 9
	s_cbranch_scc0 .LBB126_3494
; %bb.3490:
	s_wait_loadcnt 0x0
	global_load_b64 v[22:23], v[24:25], off
	s_mov_b32 s1, 0
	s_wait_loadcnt 0x0
	v_trunc_f64_e32 v[22:23], v[22:23]
	s_delay_alu instid0(VALU_DEP_1) | instskip(NEXT) | instid1(VALU_DEP_1)
	v_ldexp_f64 v[28:29], v[22:23], 0xffffffe0
	v_floor_f64_e32 v[28:29], v[28:29]
	s_delay_alu instid0(VALU_DEP_1) | instskip(SKIP_1) | instid1(VALU_DEP_2)
	v_fmamk_f64 v[30:31], v[28:29], 0xc1f00000, v[22:23]
	v_cvt_i32_f64_e32 v23, v[28:29]
	v_cvt_u32_f64_e32 v22, v[30:31]
	s_branch .LBB126_3495
.LBB126_3491:
	s_mov_b32 s1, -1
                                        ; implicit-def: $vgpr22_vgpr23
	s_branch .LBB126_3513
.LBB126_3492:
	s_mov_b32 s1, -1
                                        ; implicit-def: $vgpr22_vgpr23
	s_branch .LBB126_3501
.LBB126_3493:
	s_mov_b32 s1, -1
                                        ; implicit-def: $vgpr22_vgpr23
	s_branch .LBB126_3498
.LBB126_3494:
	s_mov_b32 s1, -1
                                        ; implicit-def: $vgpr22_vgpr23
.LBB126_3495:
	s_delay_alu instid0(SALU_CYCLE_1)
	s_and_not1_b32 vcc_lo, exec_lo, s1
	s_cbranch_vccnz .LBB126_3497
; %bb.3496:
	s_wait_loadcnt 0x0
	global_load_b32 v22, v[24:25], off
	s_wait_loadcnt 0x0
	v_trunc_f32_e32 v22, v22
	s_delay_alu instid0(VALU_DEP_1) | instskip(NEXT) | instid1(VALU_DEP_1)
	v_mul_f32_e64 v23, 0x2f800000, |v22|
	v_floor_f32_e32 v23, v23
	s_delay_alu instid0(VALU_DEP_1) | instskip(SKIP_2) | instid1(VALU_DEP_3)
	v_fma_f32 v27, 0xcf800000, v23, |v22|
	v_ashrrev_i32_e32 v22, 31, v22
	v_cvt_u32_f32_e32 v28, v23
	v_cvt_u32_f32_e32 v27, v27
	s_delay_alu instid0(VALU_DEP_2) | instskip(NEXT) | instid1(VALU_DEP_2)
	v_dual_mov_b32 v23, v22 :: v_dual_bitop2_b32 v29, v28, v22 bitop3:0x14
	v_xor_b32_e32 v28, v27, v22
	s_delay_alu instid0(VALU_DEP_1)
	v_sub_nc_u64_e32 v[22:23], v[28:29], v[22:23]
.LBB126_3497:
	s_mov_b32 s1, 0
.LBB126_3498:
	s_delay_alu instid0(SALU_CYCLE_1)
	s_and_not1_b32 vcc_lo, exec_lo, s1
	s_cbranch_vccnz .LBB126_3500
; %bb.3499:
	s_wait_loadcnt 0x0
	global_load_b32 v22, v[24:25], off
	s_wait_loadcnt 0x0
	v_cvt_f32_f16_e32 v22, v22
	s_delay_alu instid0(VALU_DEP_1) | instskip(NEXT) | instid1(VALU_DEP_1)
	v_cvt_i32_f32_e32 v22, v22
	v_ashrrev_i32_e32 v23, 31, v22
.LBB126_3500:
	s_mov_b32 s1, 0
.LBB126_3501:
	s_delay_alu instid0(SALU_CYCLE_1)
	s_and_not1_b32 vcc_lo, exec_lo, s1
	s_cbranch_vccnz .LBB126_3512
; %bb.3502:
	s_cmp_lt_i32 s0, 6
	s_cbranch_scc1 .LBB126_3505
; %bb.3503:
	s_cmp_gt_i32 s0, 6
	s_cbranch_scc0 .LBB126_3506
; %bb.3504:
	s_wait_loadcnt 0x0
	global_load_b64 v[22:23], v[24:25], off
	s_mov_b32 s1, 0
	s_wait_loadcnt 0x0
	v_trunc_f64_e32 v[22:23], v[22:23]
	s_delay_alu instid0(VALU_DEP_1) | instskip(NEXT) | instid1(VALU_DEP_1)
	v_ldexp_f64 v[28:29], v[22:23], 0xffffffe0
	v_floor_f64_e32 v[28:29], v[28:29]
	s_delay_alu instid0(VALU_DEP_1) | instskip(SKIP_1) | instid1(VALU_DEP_2)
	v_fmamk_f64 v[30:31], v[28:29], 0xc1f00000, v[22:23]
	v_cvt_i32_f64_e32 v23, v[28:29]
	v_cvt_u32_f64_e32 v22, v[30:31]
	s_branch .LBB126_3507
.LBB126_3505:
	s_mov_b32 s1, -1
                                        ; implicit-def: $vgpr22_vgpr23
	s_branch .LBB126_3510
.LBB126_3506:
	s_mov_b32 s1, -1
                                        ; implicit-def: $vgpr22_vgpr23
.LBB126_3507:
	s_delay_alu instid0(SALU_CYCLE_1)
	s_and_not1_b32 vcc_lo, exec_lo, s1
	s_cbranch_vccnz .LBB126_3509
; %bb.3508:
	s_wait_loadcnt 0x0
	global_load_b32 v22, v[24:25], off
	s_wait_loadcnt 0x0
	v_trunc_f32_e32 v22, v22
	s_delay_alu instid0(VALU_DEP_1) | instskip(NEXT) | instid1(VALU_DEP_1)
	v_mul_f32_e64 v23, 0x2f800000, |v22|
	v_floor_f32_e32 v23, v23
	s_delay_alu instid0(VALU_DEP_1) | instskip(SKIP_2) | instid1(VALU_DEP_3)
	v_fma_f32 v27, 0xcf800000, v23, |v22|
	v_ashrrev_i32_e32 v22, 31, v22
	v_cvt_u32_f32_e32 v28, v23
	v_cvt_u32_f32_e32 v27, v27
	s_delay_alu instid0(VALU_DEP_2) | instskip(NEXT) | instid1(VALU_DEP_2)
	v_dual_mov_b32 v23, v22 :: v_dual_bitop2_b32 v29, v28, v22 bitop3:0x14
	v_xor_b32_e32 v28, v27, v22
	s_delay_alu instid0(VALU_DEP_1)
	v_sub_nc_u64_e32 v[22:23], v[28:29], v[22:23]
.LBB126_3509:
	s_mov_b32 s1, 0
.LBB126_3510:
	s_delay_alu instid0(SALU_CYCLE_1)
	s_and_not1_b32 vcc_lo, exec_lo, s1
	s_cbranch_vccnz .LBB126_3512
; %bb.3511:
	s_wait_loadcnt 0x0
	global_load_u16 v22, v[24:25], off
	s_wait_loadcnt 0x0
	v_cvt_f32_f16_e32 v22, v22
	s_delay_alu instid0(VALU_DEP_1) | instskip(NEXT) | instid1(VALU_DEP_1)
	v_cvt_i32_f32_e32 v22, v22
	v_ashrrev_i32_e32 v23, 31, v22
.LBB126_3512:
	s_mov_b32 s1, 0
.LBB126_3513:
	s_delay_alu instid0(SALU_CYCLE_1)
	s_and_not1_b32 vcc_lo, exec_lo, s1
	s_cbranch_vccnz .LBB126_3533
; %bb.3514:
	s_cmp_lt_i32 s0, 2
	s_cbranch_scc1 .LBB126_3518
; %bb.3515:
	s_cmp_lt_i32 s0, 3
	s_cbranch_scc1 .LBB126_3519
; %bb.3516:
	s_cmp_gt_i32 s0, 3
	s_cbranch_scc0 .LBB126_3520
; %bb.3517:
	s_wait_loadcnt 0x0
	global_load_b64 v[22:23], v[24:25], off
	s_mov_b32 s1, 0
	s_branch .LBB126_3521
.LBB126_3518:
	s_mov_b32 s1, -1
                                        ; implicit-def: $vgpr22_vgpr23
	s_branch .LBB126_3527
.LBB126_3519:
	s_mov_b32 s1, -1
                                        ; implicit-def: $vgpr22_vgpr23
	s_branch .LBB126_3524
.LBB126_3520:
	s_mov_b32 s1, -1
                                        ; implicit-def: $vgpr22_vgpr23
.LBB126_3521:
	s_delay_alu instid0(SALU_CYCLE_1)
	s_and_not1_b32 vcc_lo, exec_lo, s1
	s_cbranch_vccnz .LBB126_3523
; %bb.3522:
	s_wait_loadcnt 0x0
	global_load_b32 v22, v[24:25], off
	s_wait_loadcnt 0x0
	v_ashrrev_i32_e32 v23, 31, v22
.LBB126_3523:
	s_mov_b32 s1, 0
.LBB126_3524:
	s_delay_alu instid0(SALU_CYCLE_1)
	s_and_not1_b32 vcc_lo, exec_lo, s1
	s_cbranch_vccnz .LBB126_3526
; %bb.3525:
	s_wait_loadcnt 0x0
	global_load_u16 v22, v[24:25], off
	s_wait_loadcnt 0x0
	v_bfe_i32 v22, v22, 0, 16
	s_delay_alu instid0(VALU_DEP_1)
	v_ashrrev_i32_e32 v23, 31, v22
.LBB126_3526:
	s_mov_b32 s1, 0
.LBB126_3527:
	s_delay_alu instid0(SALU_CYCLE_1)
	s_and_not1_b32 vcc_lo, exec_lo, s1
	s_cbranch_vccnz .LBB126_3533
; %bb.3528:
	s_cmp_gt_i32 s0, 0
	s_mov_b32 s0, 0
	s_cbranch_scc0 .LBB126_3530
; %bb.3529:
	s_wait_loadcnt 0x0
	global_load_i8 v22, v[24:25], off
	s_wait_loadcnt 0x0
	v_bfe_i32 v22, v22, 0, 16
	s_delay_alu instid0(VALU_DEP_1)
	v_ashrrev_i32_e32 v23, 31, v22
	s_branch .LBB126_3531
.LBB126_3530:
	s_mov_b32 s0, -1
                                        ; implicit-def: $vgpr22_vgpr23
.LBB126_3531:
	s_delay_alu instid0(SALU_CYCLE_1)
	s_and_not1_b32 vcc_lo, exec_lo, s0
	s_cbranch_vccnz .LBB126_3533
; %bb.3532:
	s_wait_loadcnt 0x0
	global_load_u8 v22, v[24:25], off
	s_mov_b32 s0, 0
	s_delay_alu instid0(SALU_CYCLE_1)
	v_mov_b32_e32 v23, s0
	s_wait_loadcnt 0x0
	v_and_b32_e32 v22, 0xffff, v22
.LBB126_3533:
	s_mov_b32 s6, -1
.LBB126_3534:
	s_delay_alu instid0(SALU_CYCLE_1)
	s_and_not1_b32 vcc_lo, exec_lo, s6
	s_cbranch_vccnz .LBB126_3968
; %bb.3535:
	s_wait_loadcnt 0x0
	v_max_i64 v[0:1], v[0:1], v[2:3]
	s_and_b32 s20, s2, 0xff
	s_delay_alu instid0(SALU_CYCLE_1) | instskip(NEXT) | instid1(VALU_DEP_1)
	s_cmp_lt_i32 s20, 11
	v_min_i64 v[2:3], v[0:1], v[4:5]
	v_mul_lo_u32 v0, s12, v26
	s_delay_alu instid0(VALU_DEP_1) | instskip(NEXT) | instid1(VALU_DEP_1)
	v_ashrrev_i32_e32 v1, 31, v0
	v_add_nc_u64_e32 v[4:5], s[4:5], v[0:1]
	s_cbranch_scc1 .LBB126_3613
; %bb.3536:
	s_and_b32 s1, 0xffff, s20
	s_mov_b32 s6, -1
	s_mov_b32 s2, 0
	s_cmp_gt_i32 s1, 25
	s_mov_b32 s3, 0
	s_mov_b32 s0, 0
	s_cbranch_scc0 .LBB126_3569
; %bb.3537:
	s_cmp_gt_i32 s1, 28
	s_cbranch_scc0 .LBB126_3552
; %bb.3538:
	s_cmp_gt_i32 s1, 43
	;; [unrolled: 3-line block ×3, first 2 shown]
	s_cbranch_scc0 .LBB126_3542
; %bb.3540:
	s_mov_b32 s0, -1
	s_mov_b32 s6, 0
	s_cmp_eq_u32 s1, 46
	s_cbranch_scc0 .LBB126_3542
; %bb.3541:
	s_delay_alu instid0(VALU_DEP_4)
	v_xor_b32_e32 v1, v2, v3
	s_wait_xcnt 0x0
	v_cls_i32_e32 v24, v3
	s_mov_b32 s3, -1
	s_mov_b32 s0, 0
	v_ashrrev_i32_e32 v1, 31, v1
	s_delay_alu instid0(VALU_DEP_1) | instskip(NEXT) | instid1(VALU_DEP_1)
	v_add_nc_u32_e32 v1, 32, v1
	v_add_min_u32_e64 v1, v24, -1, v1
	s_delay_alu instid0(VALU_DEP_1) | instskip(SKIP_1) | instid1(VALU_DEP_2)
	v_lshlrev_b64_e32 v[24:25], v1, v[2:3]
	v_sub_nc_u32_e32 v1, 32, v1
	v_min_u32_e32 v24, 1, v24
	s_delay_alu instid0(VALU_DEP_1) | instskip(NEXT) | instid1(VALU_DEP_1)
	v_or_b32_e32 v24, v25, v24
	v_cvt_f32_i32_e32 v24, v24
	s_delay_alu instid0(VALU_DEP_1) | instskip(NEXT) | instid1(VALU_DEP_1)
	v_ldexp_f32 v1, v24, v1
	v_bfe_u32 v24, v1, 16, 1
	s_delay_alu instid0(VALU_DEP_1) | instskip(NEXT) | instid1(VALU_DEP_1)
	v_add3_u32 v1, v1, v24, 0x7fff
	v_lshrrev_b32_e32 v1, 16, v1
	global_store_b32 v[4:5], v1, off
.LBB126_3542:
	s_and_b32 vcc_lo, exec_lo, s6
	s_cbranch_vccz .LBB126_3547
; %bb.3543:
	s_cmp_eq_u32 s1, 44
	s_mov_b32 s0, -1
	s_cbranch_scc0 .LBB126_3547
; %bb.3544:
	s_wait_xcnt 0x0
	s_delay_alu instid0(VALU_DEP_4) | instskip(SKIP_3) | instid1(VALU_DEP_2)
	v_xor_b32_e32 v1, v2, v3
	v_cls_i32_e32 v24, v3
	s_mov_b32 s3, -1
	s_mov_b32 s6, exec_lo
	v_ashrrev_i32_e32 v1, 31, v1
	s_delay_alu instid0(VALU_DEP_1) | instskip(NEXT) | instid1(VALU_DEP_1)
	v_add_nc_u32_e32 v1, 32, v1
	v_add_min_u32_e64 v1, v24, -1, v1
	s_delay_alu instid0(VALU_DEP_1) | instskip(SKIP_1) | instid1(VALU_DEP_2)
	v_lshlrev_b64_e32 v[24:25], v1, v[2:3]
	v_sub_nc_u32_e32 v1, 32, v1
	v_min_u32_e32 v24, 1, v24
	s_delay_alu instid0(VALU_DEP_1) | instskip(NEXT) | instid1(VALU_DEP_1)
	v_or_b32_e32 v24, v25, v24
	v_cvt_f32_i32_e32 v24, v24
	s_delay_alu instid0(VALU_DEP_1) | instskip(SKIP_1) | instid1(VALU_DEP_2)
	v_ldexp_f32 v1, v24, v1
	v_mov_b32_e32 v24, 0xff
	v_bfe_u32 v25, v1, 23, 8
	s_delay_alu instid0(VALU_DEP_1)
	v_cmpx_ne_u32_e32 0xff, v25
	s_cbranch_execz .LBB126_3546
; %bb.3545:
	v_and_b32_e32 v24, 0x400000, v1
	v_and_or_b32 v25, 0x3fffff, v1, v25
	v_lshrrev_b32_e32 v1, 23, v1
	s_delay_alu instid0(VALU_DEP_3) | instskip(NEXT) | instid1(VALU_DEP_3)
	v_cmp_ne_u32_e32 vcc_lo, 0, v24
	v_cmp_ne_u32_e64 s0, 0, v25
	s_and_b32 s0, vcc_lo, s0
	s_delay_alu instid0(SALU_CYCLE_1) | instskip(NEXT) | instid1(VALU_DEP_1)
	v_cndmask_b32_e64 v24, 0, 1, s0
	v_add_nc_u32_e32 v24, v1, v24
.LBB126_3546:
	s_or_b32 exec_lo, exec_lo, s6
	s_mov_b32 s0, 0
	global_store_b8 v[4:5], v24, off
.LBB126_3547:
	s_mov_b32 s6, 0
.LBB126_3548:
	s_delay_alu instid0(SALU_CYCLE_1)
	s_and_b32 vcc_lo, exec_lo, s6
	s_cbranch_vccz .LBB126_3551
; %bb.3549:
	s_cmp_eq_u32 s1, 29
	s_mov_b32 s0, -1
	s_cbranch_scc0 .LBB126_3551
; %bb.3550:
	s_mov_b32 s0, 0
	s_mov_b32 s3, -1
	global_store_b64 v[4:5], v[2:3], off
.LBB126_3551:
	s_mov_b32 s6, 0
.LBB126_3552:
	s_delay_alu instid0(SALU_CYCLE_1)
	s_and_b32 vcc_lo, exec_lo, s6
	s_cbranch_vccz .LBB126_3568
; %bb.3553:
	s_cmp_lt_i32 s1, 27
	s_mov_b32 s3, -1
	s_cbranch_scc1 .LBB126_3559
; %bb.3554:
	s_cmp_gt_i32 s1, 27
	s_cbranch_scc0 .LBB126_3556
; %bb.3555:
	s_mov_b32 s3, 0
	global_store_b32 v[4:5], v2, off
.LBB126_3556:
	s_and_not1_b32 vcc_lo, exec_lo, s3
	s_cbranch_vccnz .LBB126_3558
; %bb.3557:
	global_store_b16 v[4:5], v2, off
.LBB126_3558:
	s_mov_b32 s3, 0
.LBB126_3559:
	s_delay_alu instid0(SALU_CYCLE_1)
	s_and_not1_b32 vcc_lo, exec_lo, s3
	s_cbranch_vccnz .LBB126_3567
; %bb.3560:
	s_wait_xcnt 0x0
	s_delay_alu instid0(VALU_DEP_4) | instskip(SKIP_2) | instid1(VALU_DEP_2)
	v_xor_b32_e32 v1, v2, v3
	v_cls_i32_e32 v24, v3
	s_mov_b32 s3, exec_lo
	v_ashrrev_i32_e32 v1, 31, v1
	s_delay_alu instid0(VALU_DEP_1) | instskip(NEXT) | instid1(VALU_DEP_1)
	v_add_nc_u32_e32 v1, 32, v1
	v_add_min_u32_e64 v1, v24, -1, v1
	s_delay_alu instid0(VALU_DEP_1) | instskip(SKIP_1) | instid1(VALU_DEP_2)
	v_lshlrev_b64_e32 v[24:25], v1, v[2:3]
	v_sub_nc_u32_e32 v1, 32, v1
	v_min_u32_e32 v24, 1, v24
	s_delay_alu instid0(VALU_DEP_1) | instskip(SKIP_1) | instid1(VALU_DEP_2)
	v_or_b32_e32 v24, v25, v24
	v_mov_b32_e32 v25, 0x80
	v_cvt_f32_i32_e32 v24, v24
	s_delay_alu instid0(VALU_DEP_1) | instskip(NEXT) | instid1(VALU_DEP_1)
	v_ldexp_f32 v1, v24, v1
	v_and_b32_e32 v24, 0x7fffffff, v1
	s_delay_alu instid0(VALU_DEP_1)
	v_cmpx_gt_u32_e32 0x43800000, v24
	s_cbranch_execz .LBB126_3566
; %bb.3561:
	v_cmp_lt_u32_e32 vcc_lo, 0x3bffffff, v24
	s_mov_b32 s6, 0
                                        ; implicit-def: $vgpr24
	s_and_saveexec_b32 s7, vcc_lo
	s_delay_alu instid0(SALU_CYCLE_1)
	s_xor_b32 s7, exec_lo, s7
	s_cbranch_execz .LBB126_4015
; %bb.3562:
	v_bfe_u32 v24, v1, 20, 1
	s_mov_b32 s6, exec_lo
	s_delay_alu instid0(VALU_DEP_1) | instskip(NEXT) | instid1(VALU_DEP_1)
	v_add3_u32 v24, v1, v24, 0x487ffff
	v_lshrrev_b32_e32 v24, 20, v24
	s_and_not1_saveexec_b32 s7, s7
	s_cbranch_execnz .LBB126_4016
.LBB126_3563:
	s_or_b32 exec_lo, exec_lo, s7
	v_mov_b32_e32 v25, 0
	s_and_saveexec_b32 s7, s6
.LBB126_3564:
	v_lshrrev_b32_e32 v1, 24, v1
	s_delay_alu instid0(VALU_DEP_1)
	v_and_or_b32 v25, 0x80, v1, v24
.LBB126_3565:
	s_or_b32 exec_lo, exec_lo, s7
.LBB126_3566:
	s_delay_alu instid0(SALU_CYCLE_1)
	s_or_b32 exec_lo, exec_lo, s3
	global_store_b8 v[4:5], v25, off
.LBB126_3567:
	s_mov_b32 s3, -1
.LBB126_3568:
	s_mov_b32 s6, 0
.LBB126_3569:
	s_delay_alu instid0(SALU_CYCLE_1)
	s_and_b32 vcc_lo, exec_lo, s6
	s_cbranch_vccz .LBB126_3609
; %bb.3570:
	s_cmp_gt_i32 s1, 22
	s_mov_b32 s2, -1
	s_cbranch_scc0 .LBB126_3602
; %bb.3571:
	s_cmp_lt_i32 s1, 24
	s_cbranch_scc1 .LBB126_3591
; %bb.3572:
	s_cmp_gt_i32 s1, 24
	s_cbranch_scc0 .LBB126_3580
; %bb.3573:
	s_wait_xcnt 0x0
	s_delay_alu instid0(VALU_DEP_4) | instskip(SKIP_2) | instid1(VALU_DEP_2)
	v_xor_b32_e32 v1, v2, v3
	v_cls_i32_e32 v24, v3
	s_mov_b32 s2, exec_lo
	v_ashrrev_i32_e32 v1, 31, v1
	s_delay_alu instid0(VALU_DEP_1) | instskip(NEXT) | instid1(VALU_DEP_1)
	v_add_nc_u32_e32 v1, 32, v1
	v_add_min_u32_e64 v1, v24, -1, v1
	s_delay_alu instid0(VALU_DEP_1) | instskip(SKIP_1) | instid1(VALU_DEP_2)
	v_lshlrev_b64_e32 v[24:25], v1, v[2:3]
	v_sub_nc_u32_e32 v1, 32, v1
	v_min_u32_e32 v24, 1, v24
	s_delay_alu instid0(VALU_DEP_1) | instskip(SKIP_1) | instid1(VALU_DEP_2)
	v_or_b32_e32 v24, v25, v24
	v_mov_b32_e32 v25, 0x80
	v_cvt_f32_i32_e32 v24, v24
	s_delay_alu instid0(VALU_DEP_1) | instskip(NEXT) | instid1(VALU_DEP_1)
	v_ldexp_f32 v1, v24, v1
	v_and_b32_e32 v24, 0x7fffffff, v1
	s_delay_alu instid0(VALU_DEP_1)
	v_cmpx_gt_u32_e32 0x47800000, v24
	s_cbranch_execz .LBB126_3579
; %bb.3574:
	v_cmp_lt_u32_e32 vcc_lo, 0x37ffffff, v24
	s_mov_b32 s3, 0
                                        ; implicit-def: $vgpr24
	s_and_saveexec_b32 s6, vcc_lo
	s_delay_alu instid0(SALU_CYCLE_1)
	s_xor_b32 s6, exec_lo, s6
	s_cbranch_execz .LBB126_4018
; %bb.3575:
	v_bfe_u32 v24, v1, 21, 1
	s_mov_b32 s3, exec_lo
	s_delay_alu instid0(VALU_DEP_1) | instskip(NEXT) | instid1(VALU_DEP_1)
	v_add3_u32 v24, v1, v24, 0x88fffff
	v_lshrrev_b32_e32 v24, 21, v24
	s_and_not1_saveexec_b32 s6, s6
	s_cbranch_execnz .LBB126_4019
.LBB126_3576:
	s_or_b32 exec_lo, exec_lo, s6
	v_mov_b32_e32 v25, 0
	s_and_saveexec_b32 s6, s3
.LBB126_3577:
	v_lshrrev_b32_e32 v1, 24, v1
	s_delay_alu instid0(VALU_DEP_1)
	v_and_or_b32 v25, 0x80, v1, v24
.LBB126_3578:
	s_or_b32 exec_lo, exec_lo, s6
.LBB126_3579:
	s_delay_alu instid0(SALU_CYCLE_1)
	s_or_b32 exec_lo, exec_lo, s2
	s_mov_b32 s2, 0
	global_store_b8 v[4:5], v25, off
.LBB126_3580:
	s_and_b32 vcc_lo, exec_lo, s2
	s_cbranch_vccz .LBB126_3590
; %bb.3581:
	s_wait_xcnt 0x0
	s_delay_alu instid0(VALU_DEP_4) | instskip(SKIP_2) | instid1(VALU_DEP_2)
	v_xor_b32_e32 v1, v2, v3
	v_cls_i32_e32 v24, v3
	s_mov_b32 s2, exec_lo
	v_ashrrev_i32_e32 v1, 31, v1
	s_delay_alu instid0(VALU_DEP_1) | instskip(NEXT) | instid1(VALU_DEP_1)
	v_add_nc_u32_e32 v1, 32, v1
	v_add_min_u32_e64 v1, v24, -1, v1
	s_delay_alu instid0(VALU_DEP_1) | instskip(SKIP_1) | instid1(VALU_DEP_2)
	v_lshlrev_b64_e32 v[24:25], v1, v[2:3]
	v_sub_nc_u32_e32 v1, 32, v1
	v_min_u32_e32 v24, 1, v24
	s_delay_alu instid0(VALU_DEP_1) | instskip(NEXT) | instid1(VALU_DEP_1)
	v_or_b32_e32 v24, v25, v24
	v_cvt_f32_i32_e32 v24, v24
	s_delay_alu instid0(VALU_DEP_1) | instskip(NEXT) | instid1(VALU_DEP_1)
	v_ldexp_f32 v1, v24, v1
                                        ; implicit-def: $vgpr24
	v_and_b32_e32 v25, 0x7fffffff, v1
	s_delay_alu instid0(VALU_DEP_1)
	v_cmpx_gt_u32_e32 0x43f00000, v25
	s_xor_b32 s2, exec_lo, s2
	s_cbranch_execz .LBB126_3587
; %bb.3582:
	s_mov_b32 s3, exec_lo
                                        ; implicit-def: $vgpr24
	v_cmpx_lt_u32_e32 0x3c7fffff, v25
	s_xor_b32 s3, exec_lo, s3
; %bb.3583:
	v_bfe_u32 v24, v1, 20, 1
	s_delay_alu instid0(VALU_DEP_1) | instskip(NEXT) | instid1(VALU_DEP_1)
	v_add3_u32 v24, v1, v24, 0x407ffff
	v_and_b32_e32 v25, 0xff00000, v24
	v_lshrrev_b32_e32 v24, 20, v24
	s_delay_alu instid0(VALU_DEP_2) | instskip(NEXT) | instid1(VALU_DEP_2)
	v_cmp_ne_u32_e32 vcc_lo, 0x7f00000, v25
	v_cndmask_b32_e32 v24, 0x7e, v24, vcc_lo
; %bb.3584:
	s_and_not1_saveexec_b32 s3, s3
; %bb.3585:
	v_add_f32_e64 v24, 0x46800000, |v1|
; %bb.3586:
	s_or_b32 exec_lo, exec_lo, s3
                                        ; implicit-def: $vgpr25
.LBB126_3587:
	s_and_not1_saveexec_b32 s2, s2
; %bb.3588:
	v_mov_b32_e32 v24, 0x7f
	v_cmp_lt_u32_e32 vcc_lo, 0x7f800000, v25
	s_delay_alu instid0(VALU_DEP_2)
	v_cndmask_b32_e32 v24, 0x7e, v24, vcc_lo
; %bb.3589:
	s_or_b32 exec_lo, exec_lo, s2
	v_lshrrev_b32_e32 v1, 24, v1
	s_delay_alu instid0(VALU_DEP_1)
	v_and_or_b32 v1, 0x80, v1, v24
	global_store_b8 v[4:5], v1, off
.LBB126_3590:
	s_mov_b32 s2, 0
.LBB126_3591:
	s_delay_alu instid0(SALU_CYCLE_1)
	s_and_not1_b32 vcc_lo, exec_lo, s2
	s_cbranch_vccnz .LBB126_3601
; %bb.3592:
	s_wait_xcnt 0x0
	s_delay_alu instid0(VALU_DEP_4) | instskip(SKIP_2) | instid1(VALU_DEP_2)
	v_xor_b32_e32 v1, v2, v3
	v_cls_i32_e32 v24, v3
	s_mov_b32 s2, exec_lo
	v_ashrrev_i32_e32 v1, 31, v1
	s_delay_alu instid0(VALU_DEP_1) | instskip(NEXT) | instid1(VALU_DEP_1)
	v_add_nc_u32_e32 v1, 32, v1
	v_add_min_u32_e64 v1, v24, -1, v1
	s_delay_alu instid0(VALU_DEP_1) | instskip(SKIP_1) | instid1(VALU_DEP_2)
	v_lshlrev_b64_e32 v[24:25], v1, v[2:3]
	v_sub_nc_u32_e32 v1, 32, v1
	v_min_u32_e32 v24, 1, v24
	s_delay_alu instid0(VALU_DEP_1) | instskip(NEXT) | instid1(VALU_DEP_1)
	v_or_b32_e32 v24, v25, v24
	v_cvt_f32_i32_e32 v24, v24
	s_delay_alu instid0(VALU_DEP_1) | instskip(NEXT) | instid1(VALU_DEP_1)
	v_ldexp_f32 v1, v24, v1
                                        ; implicit-def: $vgpr24
	v_and_b32_e32 v25, 0x7fffffff, v1
	s_delay_alu instid0(VALU_DEP_1)
	v_cmpx_gt_u32_e32 0x47800000, v25
	s_xor_b32 s2, exec_lo, s2
	s_cbranch_execz .LBB126_3598
; %bb.3593:
	s_mov_b32 s3, exec_lo
                                        ; implicit-def: $vgpr24
	v_cmpx_lt_u32_e32 0x387fffff, v25
	s_xor_b32 s3, exec_lo, s3
; %bb.3594:
	v_bfe_u32 v24, v1, 21, 1
	s_delay_alu instid0(VALU_DEP_1) | instskip(NEXT) | instid1(VALU_DEP_1)
	v_add3_u32 v24, v1, v24, 0x80fffff
	v_lshrrev_b32_e32 v24, 21, v24
; %bb.3595:
	s_and_not1_saveexec_b32 s3, s3
; %bb.3596:
	v_add_f32_e64 v24, 0x43000000, |v1|
; %bb.3597:
	s_or_b32 exec_lo, exec_lo, s3
                                        ; implicit-def: $vgpr25
.LBB126_3598:
	s_and_not1_saveexec_b32 s2, s2
; %bb.3599:
	v_mov_b32_e32 v24, 0x7f
	v_cmp_lt_u32_e32 vcc_lo, 0x7f800000, v25
	s_delay_alu instid0(VALU_DEP_2)
	v_cndmask_b32_e32 v24, 0x7c, v24, vcc_lo
; %bb.3600:
	s_or_b32 exec_lo, exec_lo, s2
	v_lshrrev_b32_e32 v1, 24, v1
	s_delay_alu instid0(VALU_DEP_1)
	v_and_or_b32 v1, 0x80, v1, v24
	global_store_b8 v[4:5], v1, off
.LBB126_3601:
	s_mov_b32 s2, 0
	s_mov_b32 s3, -1
.LBB126_3602:
	s_and_not1_b32 vcc_lo, exec_lo, s2
	s_mov_b32 s2, 0
	s_cbranch_vccnz .LBB126_3609
; %bb.3603:
	s_cmp_gt_i32 s1, 14
	s_mov_b32 s2, -1
	s_cbranch_scc0 .LBB126_3607
; %bb.3604:
	s_cmp_eq_u32 s1, 15
	s_mov_b32 s0, -1
	s_cbranch_scc0 .LBB126_3606
; %bb.3605:
	s_wait_xcnt 0x0
	s_delay_alu instid0(VALU_DEP_4) | instskip(SKIP_3) | instid1(VALU_DEP_2)
	v_xor_b32_e32 v1, v2, v3
	v_cls_i32_e32 v24, v3
	s_mov_b32 s3, -1
	s_mov_b32 s0, 0
	v_ashrrev_i32_e32 v1, 31, v1
	s_delay_alu instid0(VALU_DEP_1) | instskip(NEXT) | instid1(VALU_DEP_1)
	v_add_nc_u32_e32 v1, 32, v1
	v_add_min_u32_e64 v1, v24, -1, v1
	s_delay_alu instid0(VALU_DEP_1) | instskip(SKIP_1) | instid1(VALU_DEP_2)
	v_lshlrev_b64_e32 v[24:25], v1, v[2:3]
	v_sub_nc_u32_e32 v1, 32, v1
	v_min_u32_e32 v24, 1, v24
	s_delay_alu instid0(VALU_DEP_1) | instskip(NEXT) | instid1(VALU_DEP_1)
	v_or_b32_e32 v24, v25, v24
	v_cvt_f32_i32_e32 v24, v24
	s_delay_alu instid0(VALU_DEP_1) | instskip(NEXT) | instid1(VALU_DEP_1)
	v_ldexp_f32 v1, v24, v1
	v_bfe_u32 v24, v1, 16, 1
	s_delay_alu instid0(VALU_DEP_1)
	v_add3_u32 v1, v1, v24, 0x7fff
	global_store_d16_hi_b16 v[4:5], v1, off
.LBB126_3606:
	s_mov_b32 s2, 0
.LBB126_3607:
	s_delay_alu instid0(SALU_CYCLE_1)
	s_and_b32 vcc_lo, exec_lo, s2
	s_mov_b32 s2, 0
	s_cbranch_vccz .LBB126_3609
; %bb.3608:
	s_cmp_lg_u32 s1, 11
	s_mov_b32 s2, -1
	s_cselect_b32 s0, -1, 0
.LBB126_3609:
	s_delay_alu instid0(SALU_CYCLE_1)
	s_and_b32 vcc_lo, exec_lo, s0
	s_cbranch_vccnz .LBB126_4017
; %bb.3610:
	s_and_not1_b32 vcc_lo, exec_lo, s2
	s_cbranch_vccnz .LBB126_3612
.LBB126_3611:
	s_delay_alu instid0(VALU_DEP_4)
	v_cmp_ne_u64_e32 vcc_lo, 0, v[2:3]
	s_mov_b32 s3, -1
	s_wait_xcnt 0x0
	v_cndmask_b32_e64 v1, 0, 1, vcc_lo
	global_store_b8 v[4:5], v1, off
.LBB126_3612:
	s_mov_b32 s0, 0
	s_branch .LBB126_3614
.LBB126_3613:
	s_mov_b32 s0, -1
	s_mov_b32 s3, 0
.LBB126_3614:
	s_and_b32 vcc_lo, exec_lo, s0
	s_cbranch_vccz .LBB126_3653
; %bb.3615:
	s_and_b32 s0, 0xffff, s20
	s_mov_b32 s1, -1
	s_cmp_lt_i32 s0, 5
	s_cbranch_scc1 .LBB126_3636
; %bb.3616:
	s_cmp_lt_i32 s0, 8
	s_cbranch_scc1 .LBB126_3626
; %bb.3617:
	;; [unrolled: 3-line block ×3, first 2 shown]
	s_cmp_gt_i32 s0, 9
	s_cbranch_scc0 .LBB126_3620
; %bb.3619:
	s_wait_xcnt 0x0
	s_delay_alu instid0(VALU_DEP_4) | instskip(SKIP_2) | instid1(VALU_DEP_2)
	v_cvt_f64_i32_e32 v[24:25], v3
	v_cvt_f64_u32_e32 v[26:27], v2
	s_mov_b32 s1, 0
	v_ldexp_f64 v[24:25], v[24:25], 32
	s_delay_alu instid0(VALU_DEP_1) | instskip(NEXT) | instid1(VALU_DEP_1)
	v_dual_add_f64 v[24:25], v[24:25], v[26:27] :: v_dual_mov_b32 v26, 0
	v_mov_b32_e32 v27, v26
	global_store_b128 v[4:5], v[24:27], off
.LBB126_3620:
	s_and_not1_b32 vcc_lo, exec_lo, s1
	s_cbranch_vccnz .LBB126_3622
; %bb.3621:
	s_wait_xcnt 0x0
	s_delay_alu instid0(VALU_DEP_4) | instskip(SKIP_1) | instid1(VALU_DEP_2)
	v_xor_b32_e32 v1, v2, v3
	v_cls_i32_e32 v24, v3
	v_ashrrev_i32_e32 v1, 31, v1
	s_delay_alu instid0(VALU_DEP_1) | instskip(NEXT) | instid1(VALU_DEP_1)
	v_add_nc_u32_e32 v1, 32, v1
	v_add_min_u32_e64 v1, v24, -1, v1
	s_delay_alu instid0(VALU_DEP_1) | instskip(SKIP_1) | instid1(VALU_DEP_2)
	v_lshlrev_b64_e32 v[24:25], v1, v[2:3]
	v_sub_nc_u32_e32 v1, 32, v1
	v_min_u32_e32 v24, 1, v24
	s_delay_alu instid0(VALU_DEP_1) | instskip(NEXT) | instid1(VALU_DEP_1)
	v_dual_mov_b32 v25, 0 :: v_dual_bitop2_b32 v24, v25, v24 bitop3:0x54
	v_cvt_f32_i32_e32 v24, v24
	s_delay_alu instid0(VALU_DEP_1)
	v_ldexp_f32 v24, v24, v1
	global_store_b64 v[4:5], v[24:25], off
.LBB126_3622:
	s_mov_b32 s1, 0
.LBB126_3623:
	s_delay_alu instid0(SALU_CYCLE_1)
	s_and_not1_b32 vcc_lo, exec_lo, s1
	s_cbranch_vccnz .LBB126_3625
; %bb.3624:
	s_wait_xcnt 0x0
	s_delay_alu instid0(VALU_DEP_4) | instskip(SKIP_1) | instid1(VALU_DEP_2)
	v_xor_b32_e32 v1, v2, v3
	v_cls_i32_e32 v24, v3
	v_ashrrev_i32_e32 v1, 31, v1
	s_delay_alu instid0(VALU_DEP_1) | instskip(NEXT) | instid1(VALU_DEP_1)
	v_add_nc_u32_e32 v1, 32, v1
	v_add_min_u32_e64 v1, v24, -1, v1
	s_delay_alu instid0(VALU_DEP_1) | instskip(SKIP_1) | instid1(VALU_DEP_2)
	v_lshlrev_b64_e32 v[24:25], v1, v[2:3]
	v_sub_nc_u32_e32 v1, 32, v1
	v_min_u32_e32 v24, 1, v24
	s_delay_alu instid0(VALU_DEP_1) | instskip(NEXT) | instid1(VALU_DEP_1)
	v_or_b32_e32 v24, v25, v24
	v_cvt_f32_i32_e32 v24, v24
	s_delay_alu instid0(VALU_DEP_1) | instskip(NEXT) | instid1(VALU_DEP_1)
	v_ldexp_f32 v1, v24, v1
	v_cvt_f16_f32_e32 v1, v1
	s_delay_alu instid0(VALU_DEP_1)
	v_and_b32_e32 v1, 0xffff, v1
	global_store_b32 v[4:5], v1, off
.LBB126_3625:
	s_mov_b32 s1, 0
.LBB126_3626:
	s_delay_alu instid0(SALU_CYCLE_1)
	s_and_not1_b32 vcc_lo, exec_lo, s1
	s_cbranch_vccnz .LBB126_3635
; %bb.3627:
	s_cmp_lt_i32 s0, 6
	s_mov_b32 s1, -1
	s_cbranch_scc1 .LBB126_3633
; %bb.3628:
	s_cmp_gt_i32 s0, 6
	s_cbranch_scc0 .LBB126_3630
; %bb.3629:
	s_wait_xcnt 0x0
	s_delay_alu instid0(VALU_DEP_4) | instskip(SKIP_2) | instid1(VALU_DEP_2)
	v_cvt_f64_i32_e32 v[24:25], v3
	v_cvt_f64_u32_e32 v[26:27], v2
	s_mov_b32 s1, 0
	v_ldexp_f64 v[24:25], v[24:25], 32
	s_delay_alu instid0(VALU_DEP_1)
	v_add_f64_e32 v[24:25], v[24:25], v[26:27]
	global_store_b64 v[4:5], v[24:25], off
.LBB126_3630:
	s_and_not1_b32 vcc_lo, exec_lo, s1
	s_cbranch_vccnz .LBB126_3632
; %bb.3631:
	s_wait_xcnt 0x0
	s_delay_alu instid0(VALU_DEP_4) | instskip(SKIP_1) | instid1(VALU_DEP_2)
	v_xor_b32_e32 v1, v2, v3
	v_cls_i32_e32 v24, v3
	v_ashrrev_i32_e32 v1, 31, v1
	s_delay_alu instid0(VALU_DEP_1) | instskip(NEXT) | instid1(VALU_DEP_1)
	v_add_nc_u32_e32 v1, 32, v1
	v_add_min_u32_e64 v1, v24, -1, v1
	s_delay_alu instid0(VALU_DEP_1) | instskip(SKIP_1) | instid1(VALU_DEP_2)
	v_lshlrev_b64_e32 v[24:25], v1, v[2:3]
	v_sub_nc_u32_e32 v1, 32, v1
	v_min_u32_e32 v24, 1, v24
	s_delay_alu instid0(VALU_DEP_1) | instskip(NEXT) | instid1(VALU_DEP_1)
	v_or_b32_e32 v24, v25, v24
	v_cvt_f32_i32_e32 v24, v24
	s_delay_alu instid0(VALU_DEP_1)
	v_ldexp_f32 v1, v24, v1
	global_store_b32 v[4:5], v1, off
.LBB126_3632:
	s_mov_b32 s1, 0
.LBB126_3633:
	s_delay_alu instid0(SALU_CYCLE_1)
	s_and_not1_b32 vcc_lo, exec_lo, s1
	s_cbranch_vccnz .LBB126_3635
; %bb.3634:
	s_wait_xcnt 0x0
	s_delay_alu instid0(VALU_DEP_4) | instskip(SKIP_1) | instid1(VALU_DEP_2)
	v_xor_b32_e32 v1, v2, v3
	v_cls_i32_e32 v24, v3
	v_ashrrev_i32_e32 v1, 31, v1
	s_delay_alu instid0(VALU_DEP_1) | instskip(NEXT) | instid1(VALU_DEP_1)
	v_add_nc_u32_e32 v1, 32, v1
	v_add_min_u32_e64 v1, v24, -1, v1
	s_delay_alu instid0(VALU_DEP_1) | instskip(SKIP_1) | instid1(VALU_DEP_2)
	v_lshlrev_b64_e32 v[24:25], v1, v[2:3]
	v_sub_nc_u32_e32 v1, 32, v1
	v_min_u32_e32 v24, 1, v24
	s_delay_alu instid0(VALU_DEP_1) | instskip(NEXT) | instid1(VALU_DEP_1)
	v_or_b32_e32 v24, v25, v24
	v_cvt_f32_i32_e32 v24, v24
	s_delay_alu instid0(VALU_DEP_1) | instskip(NEXT) | instid1(VALU_DEP_1)
	v_ldexp_f32 v1, v24, v1
	v_cvt_f16_f32_e32 v1, v1
	global_store_b16 v[4:5], v1, off
.LBB126_3635:
	s_mov_b32 s1, 0
.LBB126_3636:
	s_delay_alu instid0(SALU_CYCLE_1)
	s_and_not1_b32 vcc_lo, exec_lo, s1
	s_cbranch_vccnz .LBB126_3652
; %bb.3637:
	s_cmp_lt_i32 s0, 2
	s_mov_b32 s1, -1
	s_cbranch_scc1 .LBB126_3647
; %bb.3638:
	s_cmp_lt_i32 s0, 3
	s_cbranch_scc1 .LBB126_3644
; %bb.3639:
	s_cmp_gt_i32 s0, 3
	s_cbranch_scc0 .LBB126_3641
; %bb.3640:
	s_mov_b32 s1, 0
	global_store_b64 v[4:5], v[2:3], off
.LBB126_3641:
	s_and_not1_b32 vcc_lo, exec_lo, s1
	s_cbranch_vccnz .LBB126_3643
; %bb.3642:
	global_store_b32 v[4:5], v2, off
.LBB126_3643:
	s_mov_b32 s1, 0
.LBB126_3644:
	s_delay_alu instid0(SALU_CYCLE_1)
	s_and_not1_b32 vcc_lo, exec_lo, s1
	s_cbranch_vccnz .LBB126_3646
; %bb.3645:
	global_store_b16 v[4:5], v2, off
.LBB126_3646:
	s_mov_b32 s1, 0
.LBB126_3647:
	s_delay_alu instid0(SALU_CYCLE_1)
	s_and_not1_b32 vcc_lo, exec_lo, s1
	s_cbranch_vccnz .LBB126_3652
; %bb.3648:
	s_cmp_gt_i32 s0, 0
	s_mov_b32 s0, -1
	s_cbranch_scc0 .LBB126_3650
; %bb.3649:
	s_mov_b32 s0, 0
	global_store_b8 v[4:5], v2, off
.LBB126_3650:
	s_and_not1_b32 vcc_lo, exec_lo, s0
	s_cbranch_vccnz .LBB126_3652
; %bb.3651:
	global_store_b8 v[4:5], v2, off
.LBB126_3652:
	s_mov_b32 s3, -1
.LBB126_3653:
	s_delay_alu instid0(SALU_CYCLE_1)
	s_and_not1_b32 vcc_lo, exec_lo, s3
	s_cbranch_vccnz .LBB126_3968
; %bb.3654:
	s_wait_xcnt 0x0
	v_max_i64 v[2:3], v[6:7], v[8:9]
	s_lshl_b32 s1, s12, 7
	s_cmp_lt_i32 s20, 11
	v_add_nc_u32_e32 v0, s1, v0
	s_delay_alu instid0(VALU_DEP_1) | instskip(NEXT) | instid1(VALU_DEP_1)
	v_ashrrev_i32_e32 v1, 31, v0
	v_add_nc_u64_e32 v[4:5], s[4:5], v[0:1]
	s_delay_alu instid0(VALU_DEP_4)
	v_min_i64 v[2:3], v[2:3], v[10:11]
	s_cbranch_scc1 .LBB126_3732
; %bb.3655:
	s_and_b32 s2, 0xffff, s20
	s_mov_b32 s7, -1
	s_mov_b32 s3, 0
	s_cmp_gt_i32 s2, 25
	s_mov_b32 s6, 0
	s_mov_b32 s0, 0
	s_cbranch_scc0 .LBB126_3688
; %bb.3656:
	s_cmp_gt_i32 s2, 28
	s_cbranch_scc0 .LBB126_3671
; %bb.3657:
	s_cmp_gt_i32 s2, 43
	;; [unrolled: 3-line block ×3, first 2 shown]
	s_cbranch_scc0 .LBB126_3661
; %bb.3659:
	s_mov_b32 s0, -1
	s_mov_b32 s7, 0
	s_cmp_eq_u32 s2, 46
	s_cbranch_scc0 .LBB126_3661
; %bb.3660:
	s_delay_alu instid0(VALU_DEP_1) | instskip(SKIP_3) | instid1(VALU_DEP_2)
	v_xor_b32_e32 v1, v2, v3
	v_cls_i32_e32 v6, v3
	s_mov_b32 s6, -1
	s_mov_b32 s0, 0
	v_ashrrev_i32_e32 v1, 31, v1
	s_delay_alu instid0(VALU_DEP_1) | instskip(NEXT) | instid1(VALU_DEP_1)
	v_add_nc_u32_e32 v1, 32, v1
	v_add_min_u32_e64 v1, v6, -1, v1
	s_delay_alu instid0(VALU_DEP_1) | instskip(SKIP_1) | instid1(VALU_DEP_2)
	v_lshlrev_b64_e32 v[6:7], v1, v[2:3]
	v_sub_nc_u32_e32 v1, 32, v1
	v_min_u32_e32 v6, 1, v6
	s_delay_alu instid0(VALU_DEP_1) | instskip(NEXT) | instid1(VALU_DEP_1)
	v_or_b32_e32 v6, v7, v6
	v_cvt_f32_i32_e32 v6, v6
	s_delay_alu instid0(VALU_DEP_1) | instskip(NEXT) | instid1(VALU_DEP_1)
	v_ldexp_f32 v1, v6, v1
	v_bfe_u32 v6, v1, 16, 1
	s_delay_alu instid0(VALU_DEP_1) | instskip(NEXT) | instid1(VALU_DEP_1)
	v_add3_u32 v1, v1, v6, 0x7fff
	v_lshrrev_b32_e32 v1, 16, v1
	global_store_b32 v[4:5], v1, off
.LBB126_3661:
	s_and_b32 vcc_lo, exec_lo, s7
	s_cbranch_vccz .LBB126_3666
; %bb.3662:
	s_cmp_eq_u32 s2, 44
	s_mov_b32 s0, -1
	s_cbranch_scc0 .LBB126_3666
; %bb.3663:
	s_wait_xcnt 0x0
	s_delay_alu instid0(VALU_DEP_1) | instskip(SKIP_3) | instid1(VALU_DEP_2)
	v_xor_b32_e32 v1, v2, v3
	v_cls_i32_e32 v6, v3
	s_mov_b32 s6, -1
	s_mov_b32 s7, exec_lo
	v_ashrrev_i32_e32 v1, 31, v1
	s_delay_alu instid0(VALU_DEP_1) | instskip(NEXT) | instid1(VALU_DEP_1)
	v_add_nc_u32_e32 v1, 32, v1
	v_add_min_u32_e64 v1, v6, -1, v1
	s_delay_alu instid0(VALU_DEP_1) | instskip(SKIP_1) | instid1(VALU_DEP_2)
	v_lshlrev_b64_e32 v[6:7], v1, v[2:3]
	v_sub_nc_u32_e32 v1, 32, v1
	v_min_u32_e32 v6, 1, v6
	s_delay_alu instid0(VALU_DEP_1) | instskip(NEXT) | instid1(VALU_DEP_1)
	v_or_b32_e32 v6, v7, v6
	v_cvt_f32_i32_e32 v6, v6
	s_delay_alu instid0(VALU_DEP_1) | instskip(SKIP_1) | instid1(VALU_DEP_2)
	v_ldexp_f32 v1, v6, v1
	v_mov_b32_e32 v6, 0xff
	v_bfe_u32 v7, v1, 23, 8
	s_delay_alu instid0(VALU_DEP_1)
	v_cmpx_ne_u32_e32 0xff, v7
	s_cbranch_execz .LBB126_3665
; %bb.3664:
	v_and_b32_e32 v6, 0x400000, v1
	v_and_or_b32 v7, 0x3fffff, v1, v7
	v_lshrrev_b32_e32 v1, 23, v1
	s_delay_alu instid0(VALU_DEP_3) | instskip(NEXT) | instid1(VALU_DEP_3)
	v_cmp_ne_u32_e32 vcc_lo, 0, v6
	v_cmp_ne_u32_e64 s0, 0, v7
	s_and_b32 s0, vcc_lo, s0
	s_delay_alu instid0(SALU_CYCLE_1) | instskip(NEXT) | instid1(VALU_DEP_1)
	v_cndmask_b32_e64 v6, 0, 1, s0
	v_add_nc_u32_e32 v6, v1, v6
.LBB126_3665:
	s_or_b32 exec_lo, exec_lo, s7
	s_mov_b32 s0, 0
	global_store_b8 v[4:5], v6, off
.LBB126_3666:
	s_mov_b32 s7, 0
.LBB126_3667:
	s_delay_alu instid0(SALU_CYCLE_1)
	s_and_b32 vcc_lo, exec_lo, s7
	s_cbranch_vccz .LBB126_3670
; %bb.3668:
	s_cmp_eq_u32 s2, 29
	s_mov_b32 s0, -1
	s_cbranch_scc0 .LBB126_3670
; %bb.3669:
	s_mov_b32 s0, 0
	s_mov_b32 s6, -1
	global_store_b64 v[4:5], v[2:3], off
.LBB126_3670:
	s_mov_b32 s7, 0
.LBB126_3671:
	s_delay_alu instid0(SALU_CYCLE_1)
	s_and_b32 vcc_lo, exec_lo, s7
	s_cbranch_vccz .LBB126_3687
; %bb.3672:
	s_cmp_lt_i32 s2, 27
	s_mov_b32 s6, -1
	s_cbranch_scc1 .LBB126_3678
; %bb.3673:
	s_cmp_gt_i32 s2, 27
	s_cbranch_scc0 .LBB126_3675
; %bb.3674:
	s_mov_b32 s6, 0
	global_store_b32 v[4:5], v2, off
.LBB126_3675:
	s_and_not1_b32 vcc_lo, exec_lo, s6
	s_cbranch_vccnz .LBB126_3677
; %bb.3676:
	global_store_b16 v[4:5], v2, off
.LBB126_3677:
	s_mov_b32 s6, 0
.LBB126_3678:
	s_delay_alu instid0(SALU_CYCLE_1)
	s_and_not1_b32 vcc_lo, exec_lo, s6
	s_cbranch_vccnz .LBB126_3686
; %bb.3679:
	s_wait_xcnt 0x0
	s_delay_alu instid0(VALU_DEP_1) | instskip(SKIP_2) | instid1(VALU_DEP_2)
	v_xor_b32_e32 v1, v2, v3
	v_cls_i32_e32 v6, v3
	s_mov_b32 s6, exec_lo
	v_ashrrev_i32_e32 v1, 31, v1
	s_delay_alu instid0(VALU_DEP_1) | instskip(NEXT) | instid1(VALU_DEP_1)
	v_add_nc_u32_e32 v1, 32, v1
	v_add_min_u32_e64 v1, v6, -1, v1
	s_delay_alu instid0(VALU_DEP_1) | instskip(SKIP_1) | instid1(VALU_DEP_2)
	v_lshlrev_b64_e32 v[6:7], v1, v[2:3]
	v_sub_nc_u32_e32 v1, 32, v1
	v_min_u32_e32 v6, 1, v6
	s_delay_alu instid0(VALU_DEP_1) | instskip(SKIP_1) | instid1(VALU_DEP_2)
	v_or_b32_e32 v6, v7, v6
	v_mov_b32_e32 v7, 0x80
	v_cvt_f32_i32_e32 v6, v6
	s_delay_alu instid0(VALU_DEP_1) | instskip(NEXT) | instid1(VALU_DEP_1)
	v_ldexp_f32 v1, v6, v1
	v_and_b32_e32 v6, 0x7fffffff, v1
	s_delay_alu instid0(VALU_DEP_1)
	v_cmpx_gt_u32_e32 0x43800000, v6
	s_cbranch_execz .LBB126_3685
; %bb.3680:
	v_cmp_lt_u32_e32 vcc_lo, 0x3bffffff, v6
	s_mov_b32 s7, 0
                                        ; implicit-def: $vgpr6
	s_and_saveexec_b32 s8, vcc_lo
	s_delay_alu instid0(SALU_CYCLE_1)
	s_xor_b32 s8, exec_lo, s8
	s_cbranch_execz .LBB126_4020
; %bb.3681:
	v_bfe_u32 v6, v1, 20, 1
	s_mov_b32 s7, exec_lo
	s_delay_alu instid0(VALU_DEP_1) | instskip(NEXT) | instid1(VALU_DEP_1)
	v_add3_u32 v6, v1, v6, 0x487ffff
	v_lshrrev_b32_e32 v6, 20, v6
	s_and_not1_saveexec_b32 s8, s8
	s_cbranch_execnz .LBB126_4021
.LBB126_3682:
	s_or_b32 exec_lo, exec_lo, s8
	v_mov_b32_e32 v7, 0
	s_and_saveexec_b32 s8, s7
.LBB126_3683:
	v_lshrrev_b32_e32 v1, 24, v1
	s_delay_alu instid0(VALU_DEP_1)
	v_and_or_b32 v7, 0x80, v1, v6
.LBB126_3684:
	s_or_b32 exec_lo, exec_lo, s8
.LBB126_3685:
	s_delay_alu instid0(SALU_CYCLE_1)
	s_or_b32 exec_lo, exec_lo, s6
	global_store_b8 v[4:5], v7, off
.LBB126_3686:
	s_mov_b32 s6, -1
.LBB126_3687:
	s_mov_b32 s7, 0
.LBB126_3688:
	s_delay_alu instid0(SALU_CYCLE_1)
	s_and_b32 vcc_lo, exec_lo, s7
	s_cbranch_vccz .LBB126_3728
; %bb.3689:
	s_cmp_gt_i32 s2, 22
	s_mov_b32 s3, -1
	s_cbranch_scc0 .LBB126_3721
; %bb.3690:
	s_cmp_lt_i32 s2, 24
	s_cbranch_scc1 .LBB126_3710
; %bb.3691:
	s_cmp_gt_i32 s2, 24
	s_cbranch_scc0 .LBB126_3699
; %bb.3692:
	s_wait_xcnt 0x0
	s_delay_alu instid0(VALU_DEP_1) | instskip(SKIP_2) | instid1(VALU_DEP_2)
	v_xor_b32_e32 v1, v2, v3
	v_cls_i32_e32 v6, v3
	s_mov_b32 s3, exec_lo
	v_ashrrev_i32_e32 v1, 31, v1
	s_delay_alu instid0(VALU_DEP_1) | instskip(NEXT) | instid1(VALU_DEP_1)
	v_add_nc_u32_e32 v1, 32, v1
	v_add_min_u32_e64 v1, v6, -1, v1
	s_delay_alu instid0(VALU_DEP_1) | instskip(SKIP_1) | instid1(VALU_DEP_2)
	v_lshlrev_b64_e32 v[6:7], v1, v[2:3]
	v_sub_nc_u32_e32 v1, 32, v1
	v_min_u32_e32 v6, 1, v6
	s_delay_alu instid0(VALU_DEP_1) | instskip(SKIP_1) | instid1(VALU_DEP_2)
	v_or_b32_e32 v6, v7, v6
	v_mov_b32_e32 v7, 0x80
	v_cvt_f32_i32_e32 v6, v6
	s_delay_alu instid0(VALU_DEP_1) | instskip(NEXT) | instid1(VALU_DEP_1)
	v_ldexp_f32 v1, v6, v1
	v_and_b32_e32 v6, 0x7fffffff, v1
	s_delay_alu instid0(VALU_DEP_1)
	v_cmpx_gt_u32_e32 0x47800000, v6
	s_cbranch_execz .LBB126_3698
; %bb.3693:
	v_cmp_lt_u32_e32 vcc_lo, 0x37ffffff, v6
	s_mov_b32 s6, 0
                                        ; implicit-def: $vgpr6
	s_and_saveexec_b32 s7, vcc_lo
	s_delay_alu instid0(SALU_CYCLE_1)
	s_xor_b32 s7, exec_lo, s7
	s_cbranch_execz .LBB126_4023
; %bb.3694:
	v_bfe_u32 v6, v1, 21, 1
	s_mov_b32 s6, exec_lo
	s_delay_alu instid0(VALU_DEP_1) | instskip(NEXT) | instid1(VALU_DEP_1)
	v_add3_u32 v6, v1, v6, 0x88fffff
	v_lshrrev_b32_e32 v6, 21, v6
	s_and_not1_saveexec_b32 s7, s7
	s_cbranch_execnz .LBB126_4024
.LBB126_3695:
	s_or_b32 exec_lo, exec_lo, s7
	v_mov_b32_e32 v7, 0
	s_and_saveexec_b32 s7, s6
.LBB126_3696:
	v_lshrrev_b32_e32 v1, 24, v1
	s_delay_alu instid0(VALU_DEP_1)
	v_and_or_b32 v7, 0x80, v1, v6
.LBB126_3697:
	s_or_b32 exec_lo, exec_lo, s7
.LBB126_3698:
	s_delay_alu instid0(SALU_CYCLE_1)
	s_or_b32 exec_lo, exec_lo, s3
	s_mov_b32 s3, 0
	global_store_b8 v[4:5], v7, off
.LBB126_3699:
	s_and_b32 vcc_lo, exec_lo, s3
	s_cbranch_vccz .LBB126_3709
; %bb.3700:
	s_wait_xcnt 0x0
	s_delay_alu instid0(VALU_DEP_1) | instskip(SKIP_2) | instid1(VALU_DEP_2)
	v_xor_b32_e32 v1, v2, v3
	v_cls_i32_e32 v6, v3
	s_mov_b32 s3, exec_lo
	v_ashrrev_i32_e32 v1, 31, v1
	s_delay_alu instid0(VALU_DEP_1) | instskip(NEXT) | instid1(VALU_DEP_1)
	v_add_nc_u32_e32 v1, 32, v1
	v_add_min_u32_e64 v1, v6, -1, v1
	s_delay_alu instid0(VALU_DEP_1) | instskip(SKIP_1) | instid1(VALU_DEP_2)
	v_lshlrev_b64_e32 v[6:7], v1, v[2:3]
	v_sub_nc_u32_e32 v1, 32, v1
	v_min_u32_e32 v6, 1, v6
	s_delay_alu instid0(VALU_DEP_1) | instskip(NEXT) | instid1(VALU_DEP_1)
	v_or_b32_e32 v6, v7, v6
	v_cvt_f32_i32_e32 v6, v6
	s_delay_alu instid0(VALU_DEP_1) | instskip(NEXT) | instid1(VALU_DEP_1)
	v_ldexp_f32 v1, v6, v1
                                        ; implicit-def: $vgpr6
	v_and_b32_e32 v7, 0x7fffffff, v1
	s_delay_alu instid0(VALU_DEP_1)
	v_cmpx_gt_u32_e32 0x43f00000, v7
	s_xor_b32 s3, exec_lo, s3
	s_cbranch_execz .LBB126_3706
; %bb.3701:
	s_mov_b32 s6, exec_lo
                                        ; implicit-def: $vgpr6
	v_cmpx_lt_u32_e32 0x3c7fffff, v7
	s_xor_b32 s6, exec_lo, s6
; %bb.3702:
	v_bfe_u32 v6, v1, 20, 1
	s_delay_alu instid0(VALU_DEP_1) | instskip(NEXT) | instid1(VALU_DEP_1)
	v_add3_u32 v6, v1, v6, 0x407ffff
	v_and_b32_e32 v7, 0xff00000, v6
	v_lshrrev_b32_e32 v6, 20, v6
	s_delay_alu instid0(VALU_DEP_2) | instskip(NEXT) | instid1(VALU_DEP_2)
	v_cmp_ne_u32_e32 vcc_lo, 0x7f00000, v7
	v_cndmask_b32_e32 v6, 0x7e, v6, vcc_lo
; %bb.3703:
	s_and_not1_saveexec_b32 s6, s6
; %bb.3704:
	v_add_f32_e64 v6, 0x46800000, |v1|
; %bb.3705:
	s_or_b32 exec_lo, exec_lo, s6
                                        ; implicit-def: $vgpr7
.LBB126_3706:
	s_and_not1_saveexec_b32 s3, s3
; %bb.3707:
	v_mov_b32_e32 v6, 0x7f
	v_cmp_lt_u32_e32 vcc_lo, 0x7f800000, v7
	s_delay_alu instid0(VALU_DEP_2)
	v_cndmask_b32_e32 v6, 0x7e, v6, vcc_lo
; %bb.3708:
	s_or_b32 exec_lo, exec_lo, s3
	v_lshrrev_b32_e32 v1, 24, v1
	s_delay_alu instid0(VALU_DEP_1)
	v_and_or_b32 v1, 0x80, v1, v6
	global_store_b8 v[4:5], v1, off
.LBB126_3709:
	s_mov_b32 s3, 0
.LBB126_3710:
	s_delay_alu instid0(SALU_CYCLE_1)
	s_and_not1_b32 vcc_lo, exec_lo, s3
	s_cbranch_vccnz .LBB126_3720
; %bb.3711:
	s_wait_xcnt 0x0
	s_delay_alu instid0(VALU_DEP_1) | instskip(SKIP_2) | instid1(VALU_DEP_2)
	v_xor_b32_e32 v1, v2, v3
	v_cls_i32_e32 v6, v3
	s_mov_b32 s3, exec_lo
	v_ashrrev_i32_e32 v1, 31, v1
	s_delay_alu instid0(VALU_DEP_1) | instskip(NEXT) | instid1(VALU_DEP_1)
	v_add_nc_u32_e32 v1, 32, v1
	v_add_min_u32_e64 v1, v6, -1, v1
	s_delay_alu instid0(VALU_DEP_1) | instskip(SKIP_1) | instid1(VALU_DEP_2)
	v_lshlrev_b64_e32 v[6:7], v1, v[2:3]
	v_sub_nc_u32_e32 v1, 32, v1
	v_min_u32_e32 v6, 1, v6
	s_delay_alu instid0(VALU_DEP_1) | instskip(NEXT) | instid1(VALU_DEP_1)
	v_or_b32_e32 v6, v7, v6
	v_cvt_f32_i32_e32 v6, v6
	s_delay_alu instid0(VALU_DEP_1) | instskip(NEXT) | instid1(VALU_DEP_1)
	v_ldexp_f32 v1, v6, v1
                                        ; implicit-def: $vgpr6
	v_and_b32_e32 v7, 0x7fffffff, v1
	s_delay_alu instid0(VALU_DEP_1)
	v_cmpx_gt_u32_e32 0x47800000, v7
	s_xor_b32 s3, exec_lo, s3
	s_cbranch_execz .LBB126_3717
; %bb.3712:
	s_mov_b32 s6, exec_lo
                                        ; implicit-def: $vgpr6
	v_cmpx_lt_u32_e32 0x387fffff, v7
	s_xor_b32 s6, exec_lo, s6
; %bb.3713:
	v_bfe_u32 v6, v1, 21, 1
	s_delay_alu instid0(VALU_DEP_1) | instskip(NEXT) | instid1(VALU_DEP_1)
	v_add3_u32 v6, v1, v6, 0x80fffff
	v_lshrrev_b32_e32 v6, 21, v6
; %bb.3714:
	s_and_not1_saveexec_b32 s6, s6
; %bb.3715:
	v_add_f32_e64 v6, 0x43000000, |v1|
; %bb.3716:
	s_or_b32 exec_lo, exec_lo, s6
                                        ; implicit-def: $vgpr7
.LBB126_3717:
	s_and_not1_saveexec_b32 s3, s3
; %bb.3718:
	v_mov_b32_e32 v6, 0x7f
	v_cmp_lt_u32_e32 vcc_lo, 0x7f800000, v7
	s_delay_alu instid0(VALU_DEP_2)
	v_cndmask_b32_e32 v6, 0x7c, v6, vcc_lo
; %bb.3719:
	s_or_b32 exec_lo, exec_lo, s3
	v_lshrrev_b32_e32 v1, 24, v1
	s_delay_alu instid0(VALU_DEP_1)
	v_and_or_b32 v1, 0x80, v1, v6
	global_store_b8 v[4:5], v1, off
.LBB126_3720:
	s_mov_b32 s3, 0
	s_mov_b32 s6, -1
.LBB126_3721:
	s_and_not1_b32 vcc_lo, exec_lo, s3
	s_mov_b32 s3, 0
	s_cbranch_vccnz .LBB126_3728
; %bb.3722:
	s_cmp_gt_i32 s2, 14
	s_mov_b32 s3, -1
	s_cbranch_scc0 .LBB126_3726
; %bb.3723:
	s_cmp_eq_u32 s2, 15
	s_mov_b32 s0, -1
	s_cbranch_scc0 .LBB126_3725
; %bb.3724:
	s_wait_xcnt 0x0
	s_delay_alu instid0(VALU_DEP_1) | instskip(SKIP_3) | instid1(VALU_DEP_2)
	v_xor_b32_e32 v1, v2, v3
	v_cls_i32_e32 v6, v3
	s_mov_b32 s6, -1
	s_mov_b32 s0, 0
	v_ashrrev_i32_e32 v1, 31, v1
	s_delay_alu instid0(VALU_DEP_1) | instskip(NEXT) | instid1(VALU_DEP_1)
	v_add_nc_u32_e32 v1, 32, v1
	v_add_min_u32_e64 v1, v6, -1, v1
	s_delay_alu instid0(VALU_DEP_1) | instskip(SKIP_1) | instid1(VALU_DEP_2)
	v_lshlrev_b64_e32 v[6:7], v1, v[2:3]
	v_sub_nc_u32_e32 v1, 32, v1
	v_min_u32_e32 v6, 1, v6
	s_delay_alu instid0(VALU_DEP_1) | instskip(NEXT) | instid1(VALU_DEP_1)
	v_or_b32_e32 v6, v7, v6
	v_cvt_f32_i32_e32 v6, v6
	s_delay_alu instid0(VALU_DEP_1) | instskip(NEXT) | instid1(VALU_DEP_1)
	v_ldexp_f32 v1, v6, v1
	v_bfe_u32 v6, v1, 16, 1
	s_delay_alu instid0(VALU_DEP_1)
	v_add3_u32 v1, v1, v6, 0x7fff
	global_store_d16_hi_b16 v[4:5], v1, off
.LBB126_3725:
	s_mov_b32 s3, 0
.LBB126_3726:
	s_delay_alu instid0(SALU_CYCLE_1)
	s_and_b32 vcc_lo, exec_lo, s3
	s_mov_b32 s3, 0
	s_cbranch_vccz .LBB126_3728
; %bb.3727:
	s_cmp_lg_u32 s2, 11
	s_mov_b32 s3, -1
	s_cselect_b32 s0, -1, 0
.LBB126_3728:
	s_delay_alu instid0(SALU_CYCLE_1)
	s_and_b32 vcc_lo, exec_lo, s0
	s_cbranch_vccnz .LBB126_4022
; %bb.3729:
	s_and_not1_b32 vcc_lo, exec_lo, s3
	s_cbranch_vccnz .LBB126_3731
.LBB126_3730:
	s_delay_alu instid0(VALU_DEP_1)
	v_cmp_ne_u64_e32 vcc_lo, 0, v[2:3]
	s_mov_b32 s6, -1
	s_wait_xcnt 0x0
	v_cndmask_b32_e64 v1, 0, 1, vcc_lo
	global_store_b8 v[4:5], v1, off
.LBB126_3731:
	s_mov_b32 s0, 0
	s_branch .LBB126_3733
.LBB126_3732:
	s_mov_b32 s0, -1
	s_mov_b32 s6, 0
.LBB126_3733:
	s_and_b32 vcc_lo, exec_lo, s0
	s_cbranch_vccz .LBB126_3772
; %bb.3734:
	s_and_b32 s0, 0xffff, s20
	s_mov_b32 s2, -1
	s_cmp_lt_i32 s0, 5
	s_cbranch_scc1 .LBB126_3755
; %bb.3735:
	s_cmp_lt_i32 s0, 8
	s_cbranch_scc1 .LBB126_3745
; %bb.3736:
	;; [unrolled: 3-line block ×3, first 2 shown]
	s_cmp_gt_i32 s0, 9
	s_cbranch_scc0 .LBB126_3739
; %bb.3738:
	s_wait_xcnt 0x0
	s_delay_alu instid0(VALU_DEP_1) | instskip(NEXT) | instid1(VALU_DEP_2)
	v_cvt_f64_i32_e32 v[6:7], v3
	v_cvt_f64_u32_e32 v[8:9], v2
	s_mov_b32 s2, 0
	s_delay_alu instid0(VALU_DEP_2) | instskip(NEXT) | instid1(VALU_DEP_1)
	v_ldexp_f64 v[6:7], v[6:7], 32
	v_dual_add_f64 v[6:7], v[6:7], v[8:9] :: v_dual_mov_b32 v8, 0
	s_delay_alu instid0(VALU_DEP_1)
	v_mov_b32_e32 v9, v8
	global_store_b128 v[4:5], v[6:9], off
.LBB126_3739:
	s_and_not1_b32 vcc_lo, exec_lo, s2
	s_cbranch_vccnz .LBB126_3741
; %bb.3740:
	s_wait_xcnt 0x0
	s_delay_alu instid0(VALU_DEP_1) | instskip(SKIP_1) | instid1(VALU_DEP_2)
	v_xor_b32_e32 v1, v2, v3
	v_cls_i32_e32 v6, v3
	v_ashrrev_i32_e32 v1, 31, v1
	s_delay_alu instid0(VALU_DEP_1) | instskip(NEXT) | instid1(VALU_DEP_1)
	v_add_nc_u32_e32 v1, 32, v1
	v_add_min_u32_e64 v1, v6, -1, v1
	s_delay_alu instid0(VALU_DEP_1) | instskip(SKIP_1) | instid1(VALU_DEP_2)
	v_lshlrev_b64_e32 v[6:7], v1, v[2:3]
	v_sub_nc_u32_e32 v1, 32, v1
	v_min_u32_e32 v6, 1, v6
	s_delay_alu instid0(VALU_DEP_1) | instskip(NEXT) | instid1(VALU_DEP_1)
	v_dual_mov_b32 v7, 0 :: v_dual_bitop2_b32 v6, v7, v6 bitop3:0x54
	v_cvt_f32_i32_e32 v6, v6
	s_delay_alu instid0(VALU_DEP_1)
	v_ldexp_f32 v6, v6, v1
	global_store_b64 v[4:5], v[6:7], off
.LBB126_3741:
	s_mov_b32 s2, 0
.LBB126_3742:
	s_delay_alu instid0(SALU_CYCLE_1)
	s_and_not1_b32 vcc_lo, exec_lo, s2
	s_cbranch_vccnz .LBB126_3744
; %bb.3743:
	s_wait_xcnt 0x0
	s_delay_alu instid0(VALU_DEP_1) | instskip(SKIP_1) | instid1(VALU_DEP_2)
	v_xor_b32_e32 v1, v2, v3
	v_cls_i32_e32 v6, v3
	v_ashrrev_i32_e32 v1, 31, v1
	s_delay_alu instid0(VALU_DEP_1) | instskip(NEXT) | instid1(VALU_DEP_1)
	v_add_nc_u32_e32 v1, 32, v1
	v_add_min_u32_e64 v1, v6, -1, v1
	s_delay_alu instid0(VALU_DEP_1) | instskip(SKIP_1) | instid1(VALU_DEP_2)
	v_lshlrev_b64_e32 v[6:7], v1, v[2:3]
	v_sub_nc_u32_e32 v1, 32, v1
	v_min_u32_e32 v6, 1, v6
	s_delay_alu instid0(VALU_DEP_1) | instskip(NEXT) | instid1(VALU_DEP_1)
	v_or_b32_e32 v6, v7, v6
	v_cvt_f32_i32_e32 v6, v6
	s_delay_alu instid0(VALU_DEP_1) | instskip(NEXT) | instid1(VALU_DEP_1)
	v_ldexp_f32 v1, v6, v1
	v_cvt_f16_f32_e32 v1, v1
	s_delay_alu instid0(VALU_DEP_1)
	v_and_b32_e32 v1, 0xffff, v1
	global_store_b32 v[4:5], v1, off
.LBB126_3744:
	s_mov_b32 s2, 0
.LBB126_3745:
	s_delay_alu instid0(SALU_CYCLE_1)
	s_and_not1_b32 vcc_lo, exec_lo, s2
	s_cbranch_vccnz .LBB126_3754
; %bb.3746:
	s_cmp_lt_i32 s0, 6
	s_mov_b32 s2, -1
	s_cbranch_scc1 .LBB126_3752
; %bb.3747:
	s_cmp_gt_i32 s0, 6
	s_cbranch_scc0 .LBB126_3749
; %bb.3748:
	s_wait_xcnt 0x0
	s_delay_alu instid0(VALU_DEP_1) | instskip(NEXT) | instid1(VALU_DEP_2)
	v_cvt_f64_i32_e32 v[6:7], v3
	v_cvt_f64_u32_e32 v[8:9], v2
	s_mov_b32 s2, 0
	s_delay_alu instid0(VALU_DEP_2) | instskip(NEXT) | instid1(VALU_DEP_1)
	v_ldexp_f64 v[6:7], v[6:7], 32
	v_add_f64_e32 v[6:7], v[6:7], v[8:9]
	global_store_b64 v[4:5], v[6:7], off
.LBB126_3749:
	s_and_not1_b32 vcc_lo, exec_lo, s2
	s_cbranch_vccnz .LBB126_3751
; %bb.3750:
	s_wait_xcnt 0x0
	s_delay_alu instid0(VALU_DEP_1) | instskip(SKIP_1) | instid1(VALU_DEP_2)
	v_xor_b32_e32 v1, v2, v3
	v_cls_i32_e32 v6, v3
	v_ashrrev_i32_e32 v1, 31, v1
	s_delay_alu instid0(VALU_DEP_1) | instskip(NEXT) | instid1(VALU_DEP_1)
	v_add_nc_u32_e32 v1, 32, v1
	v_add_min_u32_e64 v1, v6, -1, v1
	s_delay_alu instid0(VALU_DEP_1) | instskip(SKIP_1) | instid1(VALU_DEP_2)
	v_lshlrev_b64_e32 v[6:7], v1, v[2:3]
	v_sub_nc_u32_e32 v1, 32, v1
	v_min_u32_e32 v6, 1, v6
	s_delay_alu instid0(VALU_DEP_1) | instskip(NEXT) | instid1(VALU_DEP_1)
	v_or_b32_e32 v6, v7, v6
	v_cvt_f32_i32_e32 v6, v6
	s_delay_alu instid0(VALU_DEP_1)
	v_ldexp_f32 v1, v6, v1
	global_store_b32 v[4:5], v1, off
.LBB126_3751:
	s_mov_b32 s2, 0
.LBB126_3752:
	s_delay_alu instid0(SALU_CYCLE_1)
	s_and_not1_b32 vcc_lo, exec_lo, s2
	s_cbranch_vccnz .LBB126_3754
; %bb.3753:
	s_wait_xcnt 0x0
	s_delay_alu instid0(VALU_DEP_1) | instskip(SKIP_1) | instid1(VALU_DEP_2)
	v_xor_b32_e32 v1, v2, v3
	v_cls_i32_e32 v6, v3
	v_ashrrev_i32_e32 v1, 31, v1
	s_delay_alu instid0(VALU_DEP_1) | instskip(NEXT) | instid1(VALU_DEP_1)
	v_add_nc_u32_e32 v1, 32, v1
	v_add_min_u32_e64 v1, v6, -1, v1
	s_delay_alu instid0(VALU_DEP_1) | instskip(SKIP_1) | instid1(VALU_DEP_2)
	v_lshlrev_b64_e32 v[6:7], v1, v[2:3]
	v_sub_nc_u32_e32 v1, 32, v1
	v_min_u32_e32 v6, 1, v6
	s_delay_alu instid0(VALU_DEP_1) | instskip(NEXT) | instid1(VALU_DEP_1)
	v_or_b32_e32 v6, v7, v6
	v_cvt_f32_i32_e32 v6, v6
	s_delay_alu instid0(VALU_DEP_1) | instskip(NEXT) | instid1(VALU_DEP_1)
	v_ldexp_f32 v1, v6, v1
	v_cvt_f16_f32_e32 v1, v1
	global_store_b16 v[4:5], v1, off
.LBB126_3754:
	s_mov_b32 s2, 0
.LBB126_3755:
	s_delay_alu instid0(SALU_CYCLE_1)
	s_and_not1_b32 vcc_lo, exec_lo, s2
	s_cbranch_vccnz .LBB126_3771
; %bb.3756:
	s_cmp_lt_i32 s0, 2
	s_mov_b32 s2, -1
	s_cbranch_scc1 .LBB126_3766
; %bb.3757:
	s_cmp_lt_i32 s0, 3
	s_cbranch_scc1 .LBB126_3763
; %bb.3758:
	s_cmp_gt_i32 s0, 3
	s_cbranch_scc0 .LBB126_3760
; %bb.3759:
	s_mov_b32 s2, 0
	global_store_b64 v[4:5], v[2:3], off
.LBB126_3760:
	s_and_not1_b32 vcc_lo, exec_lo, s2
	s_cbranch_vccnz .LBB126_3762
; %bb.3761:
	global_store_b32 v[4:5], v2, off
.LBB126_3762:
	s_mov_b32 s2, 0
.LBB126_3763:
	s_delay_alu instid0(SALU_CYCLE_1)
	s_and_not1_b32 vcc_lo, exec_lo, s2
	s_cbranch_vccnz .LBB126_3765
; %bb.3764:
	global_store_b16 v[4:5], v2, off
.LBB126_3765:
	s_mov_b32 s2, 0
.LBB126_3766:
	s_delay_alu instid0(SALU_CYCLE_1)
	s_and_not1_b32 vcc_lo, exec_lo, s2
	s_cbranch_vccnz .LBB126_3771
; %bb.3767:
	s_cmp_gt_i32 s0, 0
	s_mov_b32 s0, -1
	s_cbranch_scc0 .LBB126_3769
; %bb.3768:
	s_mov_b32 s0, 0
	global_store_b8 v[4:5], v2, off
.LBB126_3769:
	s_and_not1_b32 vcc_lo, exec_lo, s0
	s_cbranch_vccnz .LBB126_3771
; %bb.3770:
	global_store_b8 v[4:5], v2, off
.LBB126_3771:
	s_mov_b32 s6, -1
.LBB126_3772:
	s_delay_alu instid0(SALU_CYCLE_1)
	s_and_not1_b32 vcc_lo, exec_lo, s6
	s_cbranch_vccnz .LBB126_3968
; %bb.3773:
	s_wait_xcnt 0x0
	v_max_i64 v[2:3], v[12:13], v[14:15]
	v_add_nc_u32_e32 v0, s1, v0
	s_cmp_lt_i32 s20, 11
	s_delay_alu instid0(VALU_DEP_1) | instskip(NEXT) | instid1(VALU_DEP_1)
	v_ashrrev_i32_e32 v1, 31, v0
	v_add_nc_u64_e32 v[4:5], s[4:5], v[0:1]
	s_delay_alu instid0(VALU_DEP_4)
	v_min_i64 v[2:3], v[2:3], v[16:17]
	s_cbranch_scc1 .LBB126_3851
; %bb.3774:
	s_and_b32 s2, 0xffff, s20
	s_mov_b32 s7, -1
	s_mov_b32 s3, 0
	s_cmp_gt_i32 s2, 25
	s_mov_b32 s6, 0
	s_mov_b32 s0, 0
	s_cbranch_scc0 .LBB126_3807
; %bb.3775:
	s_cmp_gt_i32 s2, 28
	s_cbranch_scc0 .LBB126_3790
; %bb.3776:
	s_cmp_gt_i32 s2, 43
	;; [unrolled: 3-line block ×3, first 2 shown]
	s_cbranch_scc0 .LBB126_3780
; %bb.3778:
	s_mov_b32 s0, -1
	s_mov_b32 s7, 0
	s_cmp_eq_u32 s2, 46
	s_cbranch_scc0 .LBB126_3780
; %bb.3779:
	s_delay_alu instid0(VALU_DEP_1) | instskip(SKIP_3) | instid1(VALU_DEP_2)
	v_xor_b32_e32 v1, v2, v3
	v_cls_i32_e32 v6, v3
	s_mov_b32 s6, -1
	s_mov_b32 s0, 0
	v_ashrrev_i32_e32 v1, 31, v1
	s_delay_alu instid0(VALU_DEP_1) | instskip(NEXT) | instid1(VALU_DEP_1)
	v_add_nc_u32_e32 v1, 32, v1
	v_add_min_u32_e64 v1, v6, -1, v1
	s_delay_alu instid0(VALU_DEP_1) | instskip(SKIP_1) | instid1(VALU_DEP_2)
	v_lshlrev_b64_e32 v[6:7], v1, v[2:3]
	v_sub_nc_u32_e32 v1, 32, v1
	v_min_u32_e32 v6, 1, v6
	s_delay_alu instid0(VALU_DEP_1) | instskip(NEXT) | instid1(VALU_DEP_1)
	v_or_b32_e32 v6, v7, v6
	v_cvt_f32_i32_e32 v6, v6
	s_delay_alu instid0(VALU_DEP_1) | instskip(NEXT) | instid1(VALU_DEP_1)
	v_ldexp_f32 v1, v6, v1
	v_bfe_u32 v6, v1, 16, 1
	s_delay_alu instid0(VALU_DEP_1) | instskip(NEXT) | instid1(VALU_DEP_1)
	v_add3_u32 v1, v1, v6, 0x7fff
	v_lshrrev_b32_e32 v1, 16, v1
	global_store_b32 v[4:5], v1, off
.LBB126_3780:
	s_and_b32 vcc_lo, exec_lo, s7
	s_cbranch_vccz .LBB126_3785
; %bb.3781:
	s_cmp_eq_u32 s2, 44
	s_mov_b32 s0, -1
	s_cbranch_scc0 .LBB126_3785
; %bb.3782:
	s_wait_xcnt 0x0
	s_delay_alu instid0(VALU_DEP_1) | instskip(SKIP_3) | instid1(VALU_DEP_2)
	v_xor_b32_e32 v1, v2, v3
	v_cls_i32_e32 v6, v3
	s_mov_b32 s6, -1
	s_mov_b32 s7, exec_lo
	v_ashrrev_i32_e32 v1, 31, v1
	s_delay_alu instid0(VALU_DEP_1) | instskip(NEXT) | instid1(VALU_DEP_1)
	v_add_nc_u32_e32 v1, 32, v1
	v_add_min_u32_e64 v1, v6, -1, v1
	s_delay_alu instid0(VALU_DEP_1) | instskip(SKIP_1) | instid1(VALU_DEP_2)
	v_lshlrev_b64_e32 v[6:7], v1, v[2:3]
	v_sub_nc_u32_e32 v1, 32, v1
	v_min_u32_e32 v6, 1, v6
	s_delay_alu instid0(VALU_DEP_1) | instskip(NEXT) | instid1(VALU_DEP_1)
	v_or_b32_e32 v6, v7, v6
	v_cvt_f32_i32_e32 v6, v6
	s_delay_alu instid0(VALU_DEP_1) | instskip(SKIP_1) | instid1(VALU_DEP_2)
	v_ldexp_f32 v1, v6, v1
	v_mov_b32_e32 v6, 0xff
	v_bfe_u32 v7, v1, 23, 8
	s_delay_alu instid0(VALU_DEP_1)
	v_cmpx_ne_u32_e32 0xff, v7
	s_cbranch_execz .LBB126_3784
; %bb.3783:
	v_and_b32_e32 v6, 0x400000, v1
	v_and_or_b32 v7, 0x3fffff, v1, v7
	v_lshrrev_b32_e32 v1, 23, v1
	s_delay_alu instid0(VALU_DEP_3) | instskip(NEXT) | instid1(VALU_DEP_3)
	v_cmp_ne_u32_e32 vcc_lo, 0, v6
	v_cmp_ne_u32_e64 s0, 0, v7
	s_and_b32 s0, vcc_lo, s0
	s_delay_alu instid0(SALU_CYCLE_1) | instskip(NEXT) | instid1(VALU_DEP_1)
	v_cndmask_b32_e64 v6, 0, 1, s0
	v_add_nc_u32_e32 v6, v1, v6
.LBB126_3784:
	s_or_b32 exec_lo, exec_lo, s7
	s_mov_b32 s0, 0
	global_store_b8 v[4:5], v6, off
.LBB126_3785:
	s_mov_b32 s7, 0
.LBB126_3786:
	s_delay_alu instid0(SALU_CYCLE_1)
	s_and_b32 vcc_lo, exec_lo, s7
	s_cbranch_vccz .LBB126_3789
; %bb.3787:
	s_cmp_eq_u32 s2, 29
	s_mov_b32 s0, -1
	s_cbranch_scc0 .LBB126_3789
; %bb.3788:
	s_mov_b32 s0, 0
	s_mov_b32 s6, -1
	global_store_b64 v[4:5], v[2:3], off
.LBB126_3789:
	s_mov_b32 s7, 0
.LBB126_3790:
	s_delay_alu instid0(SALU_CYCLE_1)
	s_and_b32 vcc_lo, exec_lo, s7
	s_cbranch_vccz .LBB126_3806
; %bb.3791:
	s_cmp_lt_i32 s2, 27
	s_mov_b32 s6, -1
	s_cbranch_scc1 .LBB126_3797
; %bb.3792:
	s_cmp_gt_i32 s2, 27
	s_cbranch_scc0 .LBB126_3794
; %bb.3793:
	s_mov_b32 s6, 0
	global_store_b32 v[4:5], v2, off
.LBB126_3794:
	s_and_not1_b32 vcc_lo, exec_lo, s6
	s_cbranch_vccnz .LBB126_3796
; %bb.3795:
	global_store_b16 v[4:5], v2, off
.LBB126_3796:
	s_mov_b32 s6, 0
.LBB126_3797:
	s_delay_alu instid0(SALU_CYCLE_1)
	s_and_not1_b32 vcc_lo, exec_lo, s6
	s_cbranch_vccnz .LBB126_3805
; %bb.3798:
	s_wait_xcnt 0x0
	s_delay_alu instid0(VALU_DEP_1) | instskip(SKIP_2) | instid1(VALU_DEP_2)
	v_xor_b32_e32 v1, v2, v3
	v_cls_i32_e32 v6, v3
	s_mov_b32 s6, exec_lo
	v_ashrrev_i32_e32 v1, 31, v1
	s_delay_alu instid0(VALU_DEP_1) | instskip(NEXT) | instid1(VALU_DEP_1)
	v_add_nc_u32_e32 v1, 32, v1
	v_add_min_u32_e64 v1, v6, -1, v1
	s_delay_alu instid0(VALU_DEP_1) | instskip(SKIP_1) | instid1(VALU_DEP_2)
	v_lshlrev_b64_e32 v[6:7], v1, v[2:3]
	v_sub_nc_u32_e32 v1, 32, v1
	v_min_u32_e32 v6, 1, v6
	s_delay_alu instid0(VALU_DEP_1) | instskip(SKIP_1) | instid1(VALU_DEP_2)
	v_or_b32_e32 v6, v7, v6
	v_mov_b32_e32 v7, 0x80
	v_cvt_f32_i32_e32 v6, v6
	s_delay_alu instid0(VALU_DEP_1) | instskip(NEXT) | instid1(VALU_DEP_1)
	v_ldexp_f32 v1, v6, v1
	v_and_b32_e32 v6, 0x7fffffff, v1
	s_delay_alu instid0(VALU_DEP_1)
	v_cmpx_gt_u32_e32 0x43800000, v6
	s_cbranch_execz .LBB126_3804
; %bb.3799:
	v_cmp_lt_u32_e32 vcc_lo, 0x3bffffff, v6
	s_mov_b32 s7, 0
                                        ; implicit-def: $vgpr6
	s_and_saveexec_b32 s8, vcc_lo
	s_delay_alu instid0(SALU_CYCLE_1)
	s_xor_b32 s8, exec_lo, s8
	s_cbranch_execz .LBB126_4025
; %bb.3800:
	v_bfe_u32 v6, v1, 20, 1
	s_mov_b32 s7, exec_lo
	s_delay_alu instid0(VALU_DEP_1) | instskip(NEXT) | instid1(VALU_DEP_1)
	v_add3_u32 v6, v1, v6, 0x487ffff
	v_lshrrev_b32_e32 v6, 20, v6
	s_and_not1_saveexec_b32 s8, s8
	s_cbranch_execnz .LBB126_4026
.LBB126_3801:
	s_or_b32 exec_lo, exec_lo, s8
	v_mov_b32_e32 v7, 0
	s_and_saveexec_b32 s8, s7
.LBB126_3802:
	v_lshrrev_b32_e32 v1, 24, v1
	s_delay_alu instid0(VALU_DEP_1)
	v_and_or_b32 v7, 0x80, v1, v6
.LBB126_3803:
	s_or_b32 exec_lo, exec_lo, s8
.LBB126_3804:
	s_delay_alu instid0(SALU_CYCLE_1)
	s_or_b32 exec_lo, exec_lo, s6
	global_store_b8 v[4:5], v7, off
.LBB126_3805:
	s_mov_b32 s6, -1
.LBB126_3806:
	s_mov_b32 s7, 0
.LBB126_3807:
	s_delay_alu instid0(SALU_CYCLE_1)
	s_and_b32 vcc_lo, exec_lo, s7
	s_cbranch_vccz .LBB126_3847
; %bb.3808:
	s_cmp_gt_i32 s2, 22
	s_mov_b32 s3, -1
	s_cbranch_scc0 .LBB126_3840
; %bb.3809:
	s_cmp_lt_i32 s2, 24
	s_cbranch_scc1 .LBB126_3829
; %bb.3810:
	s_cmp_gt_i32 s2, 24
	s_cbranch_scc0 .LBB126_3818
; %bb.3811:
	s_wait_xcnt 0x0
	s_delay_alu instid0(VALU_DEP_1) | instskip(SKIP_2) | instid1(VALU_DEP_2)
	v_xor_b32_e32 v1, v2, v3
	v_cls_i32_e32 v6, v3
	s_mov_b32 s3, exec_lo
	v_ashrrev_i32_e32 v1, 31, v1
	s_delay_alu instid0(VALU_DEP_1) | instskip(NEXT) | instid1(VALU_DEP_1)
	v_add_nc_u32_e32 v1, 32, v1
	v_add_min_u32_e64 v1, v6, -1, v1
	s_delay_alu instid0(VALU_DEP_1) | instskip(SKIP_1) | instid1(VALU_DEP_2)
	v_lshlrev_b64_e32 v[6:7], v1, v[2:3]
	v_sub_nc_u32_e32 v1, 32, v1
	v_min_u32_e32 v6, 1, v6
	s_delay_alu instid0(VALU_DEP_1) | instskip(SKIP_1) | instid1(VALU_DEP_2)
	v_or_b32_e32 v6, v7, v6
	v_mov_b32_e32 v7, 0x80
	v_cvt_f32_i32_e32 v6, v6
	s_delay_alu instid0(VALU_DEP_1) | instskip(NEXT) | instid1(VALU_DEP_1)
	v_ldexp_f32 v1, v6, v1
	v_and_b32_e32 v6, 0x7fffffff, v1
	s_delay_alu instid0(VALU_DEP_1)
	v_cmpx_gt_u32_e32 0x47800000, v6
	s_cbranch_execz .LBB126_3817
; %bb.3812:
	v_cmp_lt_u32_e32 vcc_lo, 0x37ffffff, v6
	s_mov_b32 s6, 0
                                        ; implicit-def: $vgpr6
	s_and_saveexec_b32 s7, vcc_lo
	s_delay_alu instid0(SALU_CYCLE_1)
	s_xor_b32 s7, exec_lo, s7
	s_cbranch_execz .LBB126_4028
; %bb.3813:
	v_bfe_u32 v6, v1, 21, 1
	s_mov_b32 s6, exec_lo
	s_delay_alu instid0(VALU_DEP_1) | instskip(NEXT) | instid1(VALU_DEP_1)
	v_add3_u32 v6, v1, v6, 0x88fffff
	v_lshrrev_b32_e32 v6, 21, v6
	s_and_not1_saveexec_b32 s7, s7
	s_cbranch_execnz .LBB126_4029
.LBB126_3814:
	s_or_b32 exec_lo, exec_lo, s7
	v_mov_b32_e32 v7, 0
	s_and_saveexec_b32 s7, s6
.LBB126_3815:
	v_lshrrev_b32_e32 v1, 24, v1
	s_delay_alu instid0(VALU_DEP_1)
	v_and_or_b32 v7, 0x80, v1, v6
.LBB126_3816:
	s_or_b32 exec_lo, exec_lo, s7
.LBB126_3817:
	s_delay_alu instid0(SALU_CYCLE_1)
	s_or_b32 exec_lo, exec_lo, s3
	s_mov_b32 s3, 0
	global_store_b8 v[4:5], v7, off
.LBB126_3818:
	s_and_b32 vcc_lo, exec_lo, s3
	s_cbranch_vccz .LBB126_3828
; %bb.3819:
	s_wait_xcnt 0x0
	s_delay_alu instid0(VALU_DEP_1) | instskip(SKIP_2) | instid1(VALU_DEP_2)
	v_xor_b32_e32 v1, v2, v3
	v_cls_i32_e32 v6, v3
	s_mov_b32 s3, exec_lo
	v_ashrrev_i32_e32 v1, 31, v1
	s_delay_alu instid0(VALU_DEP_1) | instskip(NEXT) | instid1(VALU_DEP_1)
	v_add_nc_u32_e32 v1, 32, v1
	v_add_min_u32_e64 v1, v6, -1, v1
	s_delay_alu instid0(VALU_DEP_1) | instskip(SKIP_1) | instid1(VALU_DEP_2)
	v_lshlrev_b64_e32 v[6:7], v1, v[2:3]
	v_sub_nc_u32_e32 v1, 32, v1
	v_min_u32_e32 v6, 1, v6
	s_delay_alu instid0(VALU_DEP_1) | instskip(NEXT) | instid1(VALU_DEP_1)
	v_or_b32_e32 v6, v7, v6
	v_cvt_f32_i32_e32 v6, v6
	s_delay_alu instid0(VALU_DEP_1) | instskip(NEXT) | instid1(VALU_DEP_1)
	v_ldexp_f32 v1, v6, v1
                                        ; implicit-def: $vgpr6
	v_and_b32_e32 v7, 0x7fffffff, v1
	s_delay_alu instid0(VALU_DEP_1)
	v_cmpx_gt_u32_e32 0x43f00000, v7
	s_xor_b32 s3, exec_lo, s3
	s_cbranch_execz .LBB126_3825
; %bb.3820:
	s_mov_b32 s6, exec_lo
                                        ; implicit-def: $vgpr6
	v_cmpx_lt_u32_e32 0x3c7fffff, v7
	s_xor_b32 s6, exec_lo, s6
; %bb.3821:
	v_bfe_u32 v6, v1, 20, 1
	s_delay_alu instid0(VALU_DEP_1) | instskip(NEXT) | instid1(VALU_DEP_1)
	v_add3_u32 v6, v1, v6, 0x407ffff
	v_and_b32_e32 v7, 0xff00000, v6
	v_lshrrev_b32_e32 v6, 20, v6
	s_delay_alu instid0(VALU_DEP_2) | instskip(NEXT) | instid1(VALU_DEP_2)
	v_cmp_ne_u32_e32 vcc_lo, 0x7f00000, v7
	v_cndmask_b32_e32 v6, 0x7e, v6, vcc_lo
; %bb.3822:
	s_and_not1_saveexec_b32 s6, s6
; %bb.3823:
	v_add_f32_e64 v6, 0x46800000, |v1|
; %bb.3824:
	s_or_b32 exec_lo, exec_lo, s6
                                        ; implicit-def: $vgpr7
.LBB126_3825:
	s_and_not1_saveexec_b32 s3, s3
; %bb.3826:
	v_mov_b32_e32 v6, 0x7f
	v_cmp_lt_u32_e32 vcc_lo, 0x7f800000, v7
	s_delay_alu instid0(VALU_DEP_2)
	v_cndmask_b32_e32 v6, 0x7e, v6, vcc_lo
; %bb.3827:
	s_or_b32 exec_lo, exec_lo, s3
	v_lshrrev_b32_e32 v1, 24, v1
	s_delay_alu instid0(VALU_DEP_1)
	v_and_or_b32 v1, 0x80, v1, v6
	global_store_b8 v[4:5], v1, off
.LBB126_3828:
	s_mov_b32 s3, 0
.LBB126_3829:
	s_delay_alu instid0(SALU_CYCLE_1)
	s_and_not1_b32 vcc_lo, exec_lo, s3
	s_cbranch_vccnz .LBB126_3839
; %bb.3830:
	s_wait_xcnt 0x0
	s_delay_alu instid0(VALU_DEP_1) | instskip(SKIP_2) | instid1(VALU_DEP_2)
	v_xor_b32_e32 v1, v2, v3
	v_cls_i32_e32 v6, v3
	s_mov_b32 s3, exec_lo
	v_ashrrev_i32_e32 v1, 31, v1
	s_delay_alu instid0(VALU_DEP_1) | instskip(NEXT) | instid1(VALU_DEP_1)
	v_add_nc_u32_e32 v1, 32, v1
	v_add_min_u32_e64 v1, v6, -1, v1
	s_delay_alu instid0(VALU_DEP_1) | instskip(SKIP_1) | instid1(VALU_DEP_2)
	v_lshlrev_b64_e32 v[6:7], v1, v[2:3]
	v_sub_nc_u32_e32 v1, 32, v1
	v_min_u32_e32 v6, 1, v6
	s_delay_alu instid0(VALU_DEP_1) | instskip(NEXT) | instid1(VALU_DEP_1)
	v_or_b32_e32 v6, v7, v6
	v_cvt_f32_i32_e32 v6, v6
	s_delay_alu instid0(VALU_DEP_1) | instskip(NEXT) | instid1(VALU_DEP_1)
	v_ldexp_f32 v1, v6, v1
                                        ; implicit-def: $vgpr6
	v_and_b32_e32 v7, 0x7fffffff, v1
	s_delay_alu instid0(VALU_DEP_1)
	v_cmpx_gt_u32_e32 0x47800000, v7
	s_xor_b32 s3, exec_lo, s3
	s_cbranch_execz .LBB126_3836
; %bb.3831:
	s_mov_b32 s6, exec_lo
                                        ; implicit-def: $vgpr6
	v_cmpx_lt_u32_e32 0x387fffff, v7
	s_xor_b32 s6, exec_lo, s6
; %bb.3832:
	v_bfe_u32 v6, v1, 21, 1
	s_delay_alu instid0(VALU_DEP_1) | instskip(NEXT) | instid1(VALU_DEP_1)
	v_add3_u32 v6, v1, v6, 0x80fffff
	v_lshrrev_b32_e32 v6, 21, v6
; %bb.3833:
	s_and_not1_saveexec_b32 s6, s6
; %bb.3834:
	v_add_f32_e64 v6, 0x43000000, |v1|
; %bb.3835:
	s_or_b32 exec_lo, exec_lo, s6
                                        ; implicit-def: $vgpr7
.LBB126_3836:
	s_and_not1_saveexec_b32 s3, s3
; %bb.3837:
	v_mov_b32_e32 v6, 0x7f
	v_cmp_lt_u32_e32 vcc_lo, 0x7f800000, v7
	s_delay_alu instid0(VALU_DEP_2)
	v_cndmask_b32_e32 v6, 0x7c, v6, vcc_lo
; %bb.3838:
	s_or_b32 exec_lo, exec_lo, s3
	v_lshrrev_b32_e32 v1, 24, v1
	s_delay_alu instid0(VALU_DEP_1)
	v_and_or_b32 v1, 0x80, v1, v6
	global_store_b8 v[4:5], v1, off
.LBB126_3839:
	s_mov_b32 s3, 0
	s_mov_b32 s6, -1
.LBB126_3840:
	s_and_not1_b32 vcc_lo, exec_lo, s3
	s_mov_b32 s3, 0
	s_cbranch_vccnz .LBB126_3847
; %bb.3841:
	s_cmp_gt_i32 s2, 14
	s_mov_b32 s3, -1
	s_cbranch_scc0 .LBB126_3845
; %bb.3842:
	s_cmp_eq_u32 s2, 15
	s_mov_b32 s0, -1
	s_cbranch_scc0 .LBB126_3844
; %bb.3843:
	s_wait_xcnt 0x0
	s_delay_alu instid0(VALU_DEP_1) | instskip(SKIP_3) | instid1(VALU_DEP_2)
	v_xor_b32_e32 v1, v2, v3
	v_cls_i32_e32 v6, v3
	s_mov_b32 s6, -1
	s_mov_b32 s0, 0
	v_ashrrev_i32_e32 v1, 31, v1
	s_delay_alu instid0(VALU_DEP_1) | instskip(NEXT) | instid1(VALU_DEP_1)
	v_add_nc_u32_e32 v1, 32, v1
	v_add_min_u32_e64 v1, v6, -1, v1
	s_delay_alu instid0(VALU_DEP_1) | instskip(SKIP_1) | instid1(VALU_DEP_2)
	v_lshlrev_b64_e32 v[6:7], v1, v[2:3]
	v_sub_nc_u32_e32 v1, 32, v1
	v_min_u32_e32 v6, 1, v6
	s_delay_alu instid0(VALU_DEP_1) | instskip(NEXT) | instid1(VALU_DEP_1)
	v_or_b32_e32 v6, v7, v6
	v_cvt_f32_i32_e32 v6, v6
	s_delay_alu instid0(VALU_DEP_1) | instskip(NEXT) | instid1(VALU_DEP_1)
	v_ldexp_f32 v1, v6, v1
	v_bfe_u32 v6, v1, 16, 1
	s_delay_alu instid0(VALU_DEP_1)
	v_add3_u32 v1, v1, v6, 0x7fff
	global_store_d16_hi_b16 v[4:5], v1, off
.LBB126_3844:
	s_mov_b32 s3, 0
.LBB126_3845:
	s_delay_alu instid0(SALU_CYCLE_1)
	s_and_b32 vcc_lo, exec_lo, s3
	s_mov_b32 s3, 0
	s_cbranch_vccz .LBB126_3847
; %bb.3846:
	s_cmp_lg_u32 s2, 11
	s_mov_b32 s3, -1
	s_cselect_b32 s0, -1, 0
.LBB126_3847:
	s_delay_alu instid0(SALU_CYCLE_1)
	s_and_b32 vcc_lo, exec_lo, s0
	s_cbranch_vccnz .LBB126_4027
; %bb.3848:
	s_and_not1_b32 vcc_lo, exec_lo, s3
	s_cbranch_vccnz .LBB126_3850
.LBB126_3849:
	s_delay_alu instid0(VALU_DEP_1)
	v_cmp_ne_u64_e32 vcc_lo, 0, v[2:3]
	s_mov_b32 s6, -1
	s_wait_xcnt 0x0
	v_cndmask_b32_e64 v1, 0, 1, vcc_lo
	global_store_b8 v[4:5], v1, off
.LBB126_3850:
	s_mov_b32 s0, 0
	s_branch .LBB126_3852
.LBB126_3851:
	s_mov_b32 s0, -1
	s_mov_b32 s6, 0
.LBB126_3852:
	s_and_b32 vcc_lo, exec_lo, s0
	s_cbranch_vccz .LBB126_3891
; %bb.3853:
	s_and_b32 s0, 0xffff, s20
	s_mov_b32 s2, -1
	s_cmp_lt_i32 s0, 5
	s_cbranch_scc1 .LBB126_3874
; %bb.3854:
	s_cmp_lt_i32 s0, 8
	s_cbranch_scc1 .LBB126_3864
; %bb.3855:
	;; [unrolled: 3-line block ×3, first 2 shown]
	s_cmp_gt_i32 s0, 9
	s_cbranch_scc0 .LBB126_3858
; %bb.3857:
	s_wait_xcnt 0x0
	s_delay_alu instid0(VALU_DEP_1) | instskip(NEXT) | instid1(VALU_DEP_2)
	v_cvt_f64_i32_e32 v[6:7], v3
	v_cvt_f64_u32_e32 v[8:9], v2
	s_mov_b32 s2, 0
	s_delay_alu instid0(VALU_DEP_2) | instskip(NEXT) | instid1(VALU_DEP_1)
	v_ldexp_f64 v[6:7], v[6:7], 32
	v_dual_add_f64 v[6:7], v[6:7], v[8:9] :: v_dual_mov_b32 v8, 0
	s_delay_alu instid0(VALU_DEP_1)
	v_mov_b32_e32 v9, v8
	global_store_b128 v[4:5], v[6:9], off
.LBB126_3858:
	s_and_not1_b32 vcc_lo, exec_lo, s2
	s_cbranch_vccnz .LBB126_3860
; %bb.3859:
	s_wait_xcnt 0x0
	s_delay_alu instid0(VALU_DEP_1) | instskip(SKIP_1) | instid1(VALU_DEP_2)
	v_xor_b32_e32 v1, v2, v3
	v_cls_i32_e32 v6, v3
	v_ashrrev_i32_e32 v1, 31, v1
	s_delay_alu instid0(VALU_DEP_1) | instskip(NEXT) | instid1(VALU_DEP_1)
	v_add_nc_u32_e32 v1, 32, v1
	v_add_min_u32_e64 v1, v6, -1, v1
	s_delay_alu instid0(VALU_DEP_1) | instskip(SKIP_1) | instid1(VALU_DEP_2)
	v_lshlrev_b64_e32 v[6:7], v1, v[2:3]
	v_sub_nc_u32_e32 v1, 32, v1
	v_min_u32_e32 v6, 1, v6
	s_delay_alu instid0(VALU_DEP_1) | instskip(NEXT) | instid1(VALU_DEP_1)
	v_dual_mov_b32 v7, 0 :: v_dual_bitop2_b32 v6, v7, v6 bitop3:0x54
	v_cvt_f32_i32_e32 v6, v6
	s_delay_alu instid0(VALU_DEP_1)
	v_ldexp_f32 v6, v6, v1
	global_store_b64 v[4:5], v[6:7], off
.LBB126_3860:
	s_mov_b32 s2, 0
.LBB126_3861:
	s_delay_alu instid0(SALU_CYCLE_1)
	s_and_not1_b32 vcc_lo, exec_lo, s2
	s_cbranch_vccnz .LBB126_3863
; %bb.3862:
	s_wait_xcnt 0x0
	s_delay_alu instid0(VALU_DEP_1) | instskip(SKIP_1) | instid1(VALU_DEP_2)
	v_xor_b32_e32 v1, v2, v3
	v_cls_i32_e32 v6, v3
	v_ashrrev_i32_e32 v1, 31, v1
	s_delay_alu instid0(VALU_DEP_1) | instskip(NEXT) | instid1(VALU_DEP_1)
	v_add_nc_u32_e32 v1, 32, v1
	v_add_min_u32_e64 v1, v6, -1, v1
	s_delay_alu instid0(VALU_DEP_1) | instskip(SKIP_1) | instid1(VALU_DEP_2)
	v_lshlrev_b64_e32 v[6:7], v1, v[2:3]
	v_sub_nc_u32_e32 v1, 32, v1
	v_min_u32_e32 v6, 1, v6
	s_delay_alu instid0(VALU_DEP_1) | instskip(NEXT) | instid1(VALU_DEP_1)
	v_or_b32_e32 v6, v7, v6
	v_cvt_f32_i32_e32 v6, v6
	s_delay_alu instid0(VALU_DEP_1) | instskip(NEXT) | instid1(VALU_DEP_1)
	v_ldexp_f32 v1, v6, v1
	v_cvt_f16_f32_e32 v1, v1
	s_delay_alu instid0(VALU_DEP_1)
	v_and_b32_e32 v1, 0xffff, v1
	global_store_b32 v[4:5], v1, off
.LBB126_3863:
	s_mov_b32 s2, 0
.LBB126_3864:
	s_delay_alu instid0(SALU_CYCLE_1)
	s_and_not1_b32 vcc_lo, exec_lo, s2
	s_cbranch_vccnz .LBB126_3873
; %bb.3865:
	s_cmp_lt_i32 s0, 6
	s_mov_b32 s2, -1
	s_cbranch_scc1 .LBB126_3871
; %bb.3866:
	s_cmp_gt_i32 s0, 6
	s_cbranch_scc0 .LBB126_3868
; %bb.3867:
	s_wait_xcnt 0x0
	s_delay_alu instid0(VALU_DEP_1) | instskip(NEXT) | instid1(VALU_DEP_2)
	v_cvt_f64_i32_e32 v[6:7], v3
	v_cvt_f64_u32_e32 v[8:9], v2
	s_mov_b32 s2, 0
	s_delay_alu instid0(VALU_DEP_2) | instskip(NEXT) | instid1(VALU_DEP_1)
	v_ldexp_f64 v[6:7], v[6:7], 32
	v_add_f64_e32 v[6:7], v[6:7], v[8:9]
	global_store_b64 v[4:5], v[6:7], off
.LBB126_3868:
	s_and_not1_b32 vcc_lo, exec_lo, s2
	s_cbranch_vccnz .LBB126_3870
; %bb.3869:
	s_wait_xcnt 0x0
	s_delay_alu instid0(VALU_DEP_1) | instskip(SKIP_1) | instid1(VALU_DEP_2)
	v_xor_b32_e32 v1, v2, v3
	v_cls_i32_e32 v6, v3
	v_ashrrev_i32_e32 v1, 31, v1
	s_delay_alu instid0(VALU_DEP_1) | instskip(NEXT) | instid1(VALU_DEP_1)
	v_add_nc_u32_e32 v1, 32, v1
	v_add_min_u32_e64 v1, v6, -1, v1
	s_delay_alu instid0(VALU_DEP_1) | instskip(SKIP_1) | instid1(VALU_DEP_2)
	v_lshlrev_b64_e32 v[6:7], v1, v[2:3]
	v_sub_nc_u32_e32 v1, 32, v1
	v_min_u32_e32 v6, 1, v6
	s_delay_alu instid0(VALU_DEP_1) | instskip(NEXT) | instid1(VALU_DEP_1)
	v_or_b32_e32 v6, v7, v6
	v_cvt_f32_i32_e32 v6, v6
	s_delay_alu instid0(VALU_DEP_1)
	v_ldexp_f32 v1, v6, v1
	global_store_b32 v[4:5], v1, off
.LBB126_3870:
	s_mov_b32 s2, 0
.LBB126_3871:
	s_delay_alu instid0(SALU_CYCLE_1)
	s_and_not1_b32 vcc_lo, exec_lo, s2
	s_cbranch_vccnz .LBB126_3873
; %bb.3872:
	s_wait_xcnt 0x0
	s_delay_alu instid0(VALU_DEP_1) | instskip(SKIP_1) | instid1(VALU_DEP_2)
	v_xor_b32_e32 v1, v2, v3
	v_cls_i32_e32 v6, v3
	v_ashrrev_i32_e32 v1, 31, v1
	s_delay_alu instid0(VALU_DEP_1) | instskip(NEXT) | instid1(VALU_DEP_1)
	v_add_nc_u32_e32 v1, 32, v1
	v_add_min_u32_e64 v1, v6, -1, v1
	s_delay_alu instid0(VALU_DEP_1) | instskip(SKIP_1) | instid1(VALU_DEP_2)
	v_lshlrev_b64_e32 v[6:7], v1, v[2:3]
	v_sub_nc_u32_e32 v1, 32, v1
	v_min_u32_e32 v6, 1, v6
	s_delay_alu instid0(VALU_DEP_1) | instskip(NEXT) | instid1(VALU_DEP_1)
	v_or_b32_e32 v6, v7, v6
	v_cvt_f32_i32_e32 v6, v6
	s_delay_alu instid0(VALU_DEP_1) | instskip(NEXT) | instid1(VALU_DEP_1)
	v_ldexp_f32 v1, v6, v1
	v_cvt_f16_f32_e32 v1, v1
	global_store_b16 v[4:5], v1, off
.LBB126_3873:
	s_mov_b32 s2, 0
.LBB126_3874:
	s_delay_alu instid0(SALU_CYCLE_1)
	s_and_not1_b32 vcc_lo, exec_lo, s2
	s_cbranch_vccnz .LBB126_3890
; %bb.3875:
	s_cmp_lt_i32 s0, 2
	s_mov_b32 s2, -1
	s_cbranch_scc1 .LBB126_3885
; %bb.3876:
	s_cmp_lt_i32 s0, 3
	s_cbranch_scc1 .LBB126_3882
; %bb.3877:
	s_cmp_gt_i32 s0, 3
	s_cbranch_scc0 .LBB126_3879
; %bb.3878:
	s_mov_b32 s2, 0
	global_store_b64 v[4:5], v[2:3], off
.LBB126_3879:
	s_and_not1_b32 vcc_lo, exec_lo, s2
	s_cbranch_vccnz .LBB126_3881
; %bb.3880:
	global_store_b32 v[4:5], v2, off
.LBB126_3881:
	s_mov_b32 s2, 0
.LBB126_3882:
	s_delay_alu instid0(SALU_CYCLE_1)
	s_and_not1_b32 vcc_lo, exec_lo, s2
	s_cbranch_vccnz .LBB126_3884
; %bb.3883:
	global_store_b16 v[4:5], v2, off
.LBB126_3884:
	s_mov_b32 s2, 0
.LBB126_3885:
	s_delay_alu instid0(SALU_CYCLE_1)
	s_and_not1_b32 vcc_lo, exec_lo, s2
	s_cbranch_vccnz .LBB126_3890
; %bb.3886:
	s_cmp_gt_i32 s0, 0
	s_mov_b32 s0, -1
	s_cbranch_scc0 .LBB126_3888
; %bb.3887:
	s_mov_b32 s0, 0
	global_store_b8 v[4:5], v2, off
.LBB126_3888:
	s_and_not1_b32 vcc_lo, exec_lo, s0
	s_cbranch_vccnz .LBB126_3890
; %bb.3889:
	global_store_b8 v[4:5], v2, off
.LBB126_3890:
	s_mov_b32 s6, -1
.LBB126_3891:
	s_delay_alu instid0(SALU_CYCLE_1)
	s_and_not1_b32 vcc_lo, exec_lo, s6
	s_cbranch_vccnz .LBB126_3968
; %bb.3892:
	s_wait_xcnt 0x0
	v_max_i64 v[2:3], v[18:19], v[20:21]
	v_add_nc_u32_e32 v0, s1, v0
	s_cmp_lt_i32 s20, 11
	s_delay_alu instid0(VALU_DEP_1) | instskip(NEXT) | instid1(VALU_DEP_1)
	v_ashrrev_i32_e32 v1, 31, v0
	v_add_nc_u64_e32 v[0:1], s[4:5], v[0:1]
	s_delay_alu instid0(VALU_DEP_4)
	v_min_i64 v[2:3], v[2:3], v[22:23]
	s_cbranch_scc1 .LBB126_4013
; %bb.3893:
	s_and_b32 s1, 0xffff, s20
	s_mov_b32 s3, -1
	s_mov_b32 s2, 0
	s_cmp_gt_i32 s1, 25
	s_mov_b32 s0, 0
	s_cbranch_scc0 .LBB126_3926
; %bb.3894:
	s_cmp_gt_i32 s1, 28
	s_cbranch_scc0 .LBB126_3910
; %bb.3895:
	s_cmp_gt_i32 s1, 43
	;; [unrolled: 3-line block ×3, first 2 shown]
	s_cbranch_scc0 .LBB126_3900
; %bb.3897:
	s_cmp_eq_u32 s1, 46
	s_mov_b32 s0, -1
	s_cbranch_scc0 .LBB126_3899
; %bb.3898:
	s_delay_alu instid0(VALU_DEP_1) | instskip(SKIP_2) | instid1(VALU_DEP_2)
	v_xor_b32_e32 v4, v2, v3
	v_cls_i32_e32 v5, v3
	s_mov_b32 s0, 0
	v_ashrrev_i32_e32 v4, 31, v4
	s_delay_alu instid0(VALU_DEP_1) | instskip(NEXT) | instid1(VALU_DEP_1)
	v_add_nc_u32_e32 v4, 32, v4
	v_add_min_u32_e64 v6, v5, -1, v4
	s_delay_alu instid0(VALU_DEP_1) | instskip(NEXT) | instid1(VALU_DEP_1)
	v_lshlrev_b64_e32 v[4:5], v6, v[2:3]
	v_min_u32_e32 v4, 1, v4
	s_delay_alu instid0(VALU_DEP_1) | instskip(NEXT) | instid1(VALU_DEP_1)
	v_dual_sub_nc_u32 v5, 32, v6 :: v_dual_bitop2_b32 v4, v5, v4 bitop3:0x54
	v_cvt_f32_i32_e32 v4, v4
	s_delay_alu instid0(VALU_DEP_1) | instskip(NEXT) | instid1(VALU_DEP_1)
	v_ldexp_f32 v4, v4, v5
	v_bfe_u32 v5, v4, 16, 1
	s_delay_alu instid0(VALU_DEP_1) | instskip(NEXT) | instid1(VALU_DEP_1)
	v_add3_u32 v4, v4, v5, 0x7fff
	v_lshrrev_b32_e32 v4, 16, v4
	global_store_b32 v[0:1], v4, off
.LBB126_3899:
	s_mov_b32 s3, 0
.LBB126_3900:
	s_delay_alu instid0(SALU_CYCLE_1)
	s_and_b32 vcc_lo, exec_lo, s3
	s_cbranch_vccz .LBB126_3905
; %bb.3901:
	s_cmp_eq_u32 s1, 44
	s_mov_b32 s0, -1
	s_cbranch_scc0 .LBB126_3905
; %bb.3902:
	s_wait_xcnt 0x0
	s_delay_alu instid0(VALU_DEP_1) | instskip(SKIP_2) | instid1(VALU_DEP_2)
	v_xor_b32_e32 v4, v2, v3
	v_cls_i32_e32 v5, v3
	s_mov_b32 s3, exec_lo
	v_ashrrev_i32_e32 v4, 31, v4
	s_delay_alu instid0(VALU_DEP_1) | instskip(NEXT) | instid1(VALU_DEP_1)
	v_add_nc_u32_e32 v4, 32, v4
	v_add_min_u32_e64 v6, v5, -1, v4
	s_delay_alu instid0(VALU_DEP_1) | instskip(NEXT) | instid1(VALU_DEP_1)
	v_lshlrev_b64_e32 v[4:5], v6, v[2:3]
	v_min_u32_e32 v4, 1, v4
	s_delay_alu instid0(VALU_DEP_1) | instskip(NEXT) | instid1(VALU_DEP_1)
	v_dual_sub_nc_u32 v5, 32, v6 :: v_dual_bitop2_b32 v4, v5, v4 bitop3:0x54
	v_cvt_f32_i32_e32 v4, v4
	s_delay_alu instid0(VALU_DEP_1) | instskip(SKIP_1) | instid1(VALU_DEP_2)
	v_ldexp_f32 v4, v4, v5
	v_mov_b32_e32 v5, 0xff
	v_bfe_u32 v6, v4, 23, 8
	s_delay_alu instid0(VALU_DEP_1)
	v_cmpx_ne_u32_e32 0xff, v6
	s_cbranch_execz .LBB126_3904
; %bb.3903:
	v_and_b32_e32 v5, 0x400000, v4
	v_and_or_b32 v6, 0x3fffff, v4, v6
	v_lshrrev_b32_e32 v4, 23, v4
	s_delay_alu instid0(VALU_DEP_3) | instskip(NEXT) | instid1(VALU_DEP_3)
	v_cmp_ne_u32_e32 vcc_lo, 0, v5
	v_cmp_ne_u32_e64 s0, 0, v6
	s_and_b32 s0, vcc_lo, s0
	s_delay_alu instid0(SALU_CYCLE_1) | instskip(NEXT) | instid1(VALU_DEP_1)
	v_cndmask_b32_e64 v5, 0, 1, s0
	v_add_nc_u32_e32 v5, v4, v5
.LBB126_3904:
	s_or_b32 exec_lo, exec_lo, s3
	s_mov_b32 s0, 0
	global_store_b8 v[0:1], v5, off
.LBB126_3905:
	s_mov_b32 s3, 0
.LBB126_3906:
	s_delay_alu instid0(SALU_CYCLE_1)
	s_and_b32 vcc_lo, exec_lo, s3
	s_cbranch_vccz .LBB126_3909
; %bb.3907:
	s_cmp_eq_u32 s1, 29
	s_mov_b32 s0, -1
	s_cbranch_scc0 .LBB126_3909
; %bb.3908:
	s_mov_b32 s0, 0
	global_store_b64 v[0:1], v[2:3], off
.LBB126_3909:
	s_mov_b32 s3, 0
.LBB126_3910:
	s_delay_alu instid0(SALU_CYCLE_1)
	s_and_b32 vcc_lo, exec_lo, s3
	s_cbranch_vccz .LBB126_3925
; %bb.3911:
	s_cmp_lt_i32 s1, 27
	s_mov_b32 s3, -1
	s_cbranch_scc1 .LBB126_3917
; %bb.3912:
	s_cmp_gt_i32 s1, 27
	s_cbranch_scc0 .LBB126_3914
; %bb.3913:
	s_mov_b32 s3, 0
	global_store_b32 v[0:1], v2, off
.LBB126_3914:
	s_and_not1_b32 vcc_lo, exec_lo, s3
	s_cbranch_vccnz .LBB126_3916
; %bb.3915:
	global_store_b16 v[0:1], v2, off
.LBB126_3916:
	s_mov_b32 s3, 0
.LBB126_3917:
	s_delay_alu instid0(SALU_CYCLE_1)
	s_and_not1_b32 vcc_lo, exec_lo, s3
	s_cbranch_vccnz .LBB126_3925
; %bb.3918:
	s_wait_xcnt 0x0
	s_delay_alu instid0(VALU_DEP_1) | instskip(SKIP_2) | instid1(VALU_DEP_2)
	v_xor_b32_e32 v4, v2, v3
	v_cls_i32_e32 v5, v3
	s_mov_b32 s3, exec_lo
	v_ashrrev_i32_e32 v4, 31, v4
	s_delay_alu instid0(VALU_DEP_1) | instskip(NEXT) | instid1(VALU_DEP_1)
	v_add_nc_u32_e32 v4, 32, v4
	v_add_min_u32_e64 v6, v5, -1, v4
	s_delay_alu instid0(VALU_DEP_1) | instskip(NEXT) | instid1(VALU_DEP_1)
	v_lshlrev_b64_e32 v[4:5], v6, v[2:3]
	v_min_u32_e32 v4, 1, v4
	s_delay_alu instid0(VALU_DEP_1) | instskip(SKIP_1) | instid1(VALU_DEP_2)
	v_dual_sub_nc_u32 v5, 32, v6 :: v_dual_bitop2_b32 v4, v5, v4 bitop3:0x54
	v_mov_b32_e32 v6, 0x80
	v_cvt_f32_i32_e32 v4, v4
	s_delay_alu instid0(VALU_DEP_1) | instskip(NEXT) | instid1(VALU_DEP_1)
	v_ldexp_f32 v4, v4, v5
	v_and_b32_e32 v5, 0x7fffffff, v4
	s_delay_alu instid0(VALU_DEP_1)
	v_cmpx_gt_u32_e32 0x43800000, v5
	s_cbranch_execz .LBB126_3924
; %bb.3919:
	v_cmp_lt_u32_e32 vcc_lo, 0x3bffffff, v5
	s_mov_b32 s4, 0
                                        ; implicit-def: $vgpr5
	s_and_saveexec_b32 s5, vcc_lo
	s_delay_alu instid0(SALU_CYCLE_1)
	s_xor_b32 s5, exec_lo, s5
	s_cbranch_execz .LBB126_4030
; %bb.3920:
	v_bfe_u32 v5, v4, 20, 1
	s_mov_b32 s4, exec_lo
	s_delay_alu instid0(VALU_DEP_1) | instskip(NEXT) | instid1(VALU_DEP_1)
	v_add3_u32 v5, v4, v5, 0x487ffff
	v_lshrrev_b32_e32 v5, 20, v5
	s_and_not1_saveexec_b32 s5, s5
	s_cbranch_execnz .LBB126_4031
.LBB126_3921:
	s_or_b32 exec_lo, exec_lo, s5
	v_mov_b32_e32 v6, 0
	s_and_saveexec_b32 s5, s4
.LBB126_3922:
	v_lshrrev_b32_e32 v4, 24, v4
	s_delay_alu instid0(VALU_DEP_1)
	v_and_or_b32 v6, 0x80, v4, v5
.LBB126_3923:
	s_or_b32 exec_lo, exec_lo, s5
.LBB126_3924:
	s_delay_alu instid0(SALU_CYCLE_1)
	s_or_b32 exec_lo, exec_lo, s3
	global_store_b8 v[0:1], v6, off
.LBB126_3925:
	s_mov_b32 s3, 0
.LBB126_3926:
	s_delay_alu instid0(SALU_CYCLE_1)
	s_and_b32 vcc_lo, exec_lo, s3
	s_cbranch_vccz .LBB126_3966
; %bb.3927:
	s_cmp_gt_i32 s1, 22
	s_mov_b32 s2, -1
	s_cbranch_scc0 .LBB126_3959
; %bb.3928:
	s_cmp_lt_i32 s1, 24
	s_cbranch_scc1 .LBB126_3948
; %bb.3929:
	s_cmp_gt_i32 s1, 24
	s_cbranch_scc0 .LBB126_3937
; %bb.3930:
	s_wait_xcnt 0x0
	s_delay_alu instid0(VALU_DEP_1) | instskip(SKIP_2) | instid1(VALU_DEP_2)
	v_xor_b32_e32 v4, v2, v3
	v_cls_i32_e32 v5, v3
	s_mov_b32 s2, exec_lo
	v_ashrrev_i32_e32 v4, 31, v4
	s_delay_alu instid0(VALU_DEP_1) | instskip(NEXT) | instid1(VALU_DEP_1)
	v_add_nc_u32_e32 v4, 32, v4
	v_add_min_u32_e64 v6, v5, -1, v4
	s_delay_alu instid0(VALU_DEP_1) | instskip(NEXT) | instid1(VALU_DEP_1)
	v_lshlrev_b64_e32 v[4:5], v6, v[2:3]
	v_min_u32_e32 v4, 1, v4
	s_delay_alu instid0(VALU_DEP_1) | instskip(SKIP_1) | instid1(VALU_DEP_2)
	v_dual_sub_nc_u32 v5, 32, v6 :: v_dual_bitop2_b32 v4, v5, v4 bitop3:0x54
	v_mov_b32_e32 v6, 0x80
	v_cvt_f32_i32_e32 v4, v4
	s_delay_alu instid0(VALU_DEP_1) | instskip(NEXT) | instid1(VALU_DEP_1)
	v_ldexp_f32 v4, v4, v5
	v_and_b32_e32 v5, 0x7fffffff, v4
	s_delay_alu instid0(VALU_DEP_1)
	v_cmpx_gt_u32_e32 0x47800000, v5
	s_cbranch_execz .LBB126_3936
; %bb.3931:
	v_cmp_lt_u32_e32 vcc_lo, 0x37ffffff, v5
	s_mov_b32 s3, 0
                                        ; implicit-def: $vgpr5
	s_and_saveexec_b32 s4, vcc_lo
	s_delay_alu instid0(SALU_CYCLE_1)
	s_xor_b32 s4, exec_lo, s4
	s_cbranch_execz .LBB126_4033
; %bb.3932:
	v_bfe_u32 v5, v4, 21, 1
	s_mov_b32 s3, exec_lo
	s_delay_alu instid0(VALU_DEP_1) | instskip(NEXT) | instid1(VALU_DEP_1)
	v_add3_u32 v5, v4, v5, 0x88fffff
	v_lshrrev_b32_e32 v5, 21, v5
	s_and_not1_saveexec_b32 s4, s4
	s_cbranch_execnz .LBB126_4034
.LBB126_3933:
	s_or_b32 exec_lo, exec_lo, s4
	v_mov_b32_e32 v6, 0
	s_and_saveexec_b32 s4, s3
.LBB126_3934:
	v_lshrrev_b32_e32 v4, 24, v4
	s_delay_alu instid0(VALU_DEP_1)
	v_and_or_b32 v6, 0x80, v4, v5
.LBB126_3935:
	s_or_b32 exec_lo, exec_lo, s4
.LBB126_3936:
	s_delay_alu instid0(SALU_CYCLE_1)
	s_or_b32 exec_lo, exec_lo, s2
	s_mov_b32 s2, 0
	global_store_b8 v[0:1], v6, off
.LBB126_3937:
	s_and_b32 vcc_lo, exec_lo, s2
	s_cbranch_vccz .LBB126_3947
; %bb.3938:
	s_wait_xcnt 0x0
	s_delay_alu instid0(VALU_DEP_1) | instskip(SKIP_2) | instid1(VALU_DEP_2)
	v_xor_b32_e32 v4, v2, v3
	v_cls_i32_e32 v5, v3
	s_mov_b32 s2, exec_lo
	v_ashrrev_i32_e32 v4, 31, v4
	s_delay_alu instid0(VALU_DEP_1) | instskip(NEXT) | instid1(VALU_DEP_1)
	v_add_nc_u32_e32 v4, 32, v4
	v_add_min_u32_e64 v6, v5, -1, v4
	s_delay_alu instid0(VALU_DEP_1) | instskip(NEXT) | instid1(VALU_DEP_1)
	v_lshlrev_b64_e32 v[4:5], v6, v[2:3]
	v_min_u32_e32 v4, 1, v4
	s_delay_alu instid0(VALU_DEP_1) | instskip(NEXT) | instid1(VALU_DEP_1)
	v_dual_sub_nc_u32 v5, 32, v6 :: v_dual_bitop2_b32 v4, v5, v4 bitop3:0x54
	v_cvt_f32_i32_e32 v4, v4
	s_delay_alu instid0(VALU_DEP_1) | instskip(NEXT) | instid1(VALU_DEP_1)
	v_ldexp_f32 v4, v4, v5
                                        ; implicit-def: $vgpr5
	v_and_b32_e32 v6, 0x7fffffff, v4
	s_delay_alu instid0(VALU_DEP_1)
	v_cmpx_gt_u32_e32 0x43f00000, v6
	s_xor_b32 s2, exec_lo, s2
	s_cbranch_execz .LBB126_3944
; %bb.3939:
	s_mov_b32 s3, exec_lo
                                        ; implicit-def: $vgpr5
	v_cmpx_lt_u32_e32 0x3c7fffff, v6
	s_xor_b32 s3, exec_lo, s3
; %bb.3940:
	v_bfe_u32 v5, v4, 20, 1
	s_delay_alu instid0(VALU_DEP_1) | instskip(NEXT) | instid1(VALU_DEP_1)
	v_add3_u32 v5, v4, v5, 0x407ffff
	v_and_b32_e32 v6, 0xff00000, v5
	v_lshrrev_b32_e32 v5, 20, v5
	s_delay_alu instid0(VALU_DEP_2) | instskip(NEXT) | instid1(VALU_DEP_2)
	v_cmp_ne_u32_e32 vcc_lo, 0x7f00000, v6
	v_cndmask_b32_e32 v5, 0x7e, v5, vcc_lo
; %bb.3941:
	s_and_not1_saveexec_b32 s3, s3
; %bb.3942:
	v_add_f32_e64 v5, 0x46800000, |v4|
; %bb.3943:
	s_or_b32 exec_lo, exec_lo, s3
                                        ; implicit-def: $vgpr6
.LBB126_3944:
	s_and_not1_saveexec_b32 s2, s2
; %bb.3945:
	v_mov_b32_e32 v5, 0x7f
	v_cmp_lt_u32_e32 vcc_lo, 0x7f800000, v6
	s_delay_alu instid0(VALU_DEP_2)
	v_cndmask_b32_e32 v5, 0x7e, v5, vcc_lo
; %bb.3946:
	s_or_b32 exec_lo, exec_lo, s2
	v_lshrrev_b32_e32 v4, 24, v4
	s_delay_alu instid0(VALU_DEP_1)
	v_and_or_b32 v4, 0x80, v4, v5
	global_store_b8 v[0:1], v4, off
.LBB126_3947:
	s_mov_b32 s2, 0
.LBB126_3948:
	s_delay_alu instid0(SALU_CYCLE_1)
	s_and_not1_b32 vcc_lo, exec_lo, s2
	s_cbranch_vccnz .LBB126_3958
; %bb.3949:
	s_wait_xcnt 0x0
	s_delay_alu instid0(VALU_DEP_1) | instskip(SKIP_2) | instid1(VALU_DEP_2)
	v_xor_b32_e32 v4, v2, v3
	v_cls_i32_e32 v5, v3
	s_mov_b32 s2, exec_lo
	v_ashrrev_i32_e32 v4, 31, v4
	s_delay_alu instid0(VALU_DEP_1) | instskip(NEXT) | instid1(VALU_DEP_1)
	v_add_nc_u32_e32 v4, 32, v4
	v_add_min_u32_e64 v6, v5, -1, v4
	s_delay_alu instid0(VALU_DEP_1) | instskip(NEXT) | instid1(VALU_DEP_1)
	v_lshlrev_b64_e32 v[4:5], v6, v[2:3]
	v_min_u32_e32 v4, 1, v4
	s_delay_alu instid0(VALU_DEP_1) | instskip(NEXT) | instid1(VALU_DEP_1)
	v_dual_sub_nc_u32 v5, 32, v6 :: v_dual_bitop2_b32 v4, v5, v4 bitop3:0x54
	v_cvt_f32_i32_e32 v4, v4
	s_delay_alu instid0(VALU_DEP_1) | instskip(NEXT) | instid1(VALU_DEP_1)
	v_ldexp_f32 v4, v4, v5
                                        ; implicit-def: $vgpr5
	v_and_b32_e32 v6, 0x7fffffff, v4
	s_delay_alu instid0(VALU_DEP_1)
	v_cmpx_gt_u32_e32 0x47800000, v6
	s_xor_b32 s2, exec_lo, s2
	s_cbranch_execz .LBB126_3955
; %bb.3950:
	s_mov_b32 s3, exec_lo
                                        ; implicit-def: $vgpr5
	v_cmpx_lt_u32_e32 0x387fffff, v6
	s_xor_b32 s3, exec_lo, s3
; %bb.3951:
	v_bfe_u32 v5, v4, 21, 1
	s_delay_alu instid0(VALU_DEP_1) | instskip(NEXT) | instid1(VALU_DEP_1)
	v_add3_u32 v5, v4, v5, 0x80fffff
	v_lshrrev_b32_e32 v5, 21, v5
; %bb.3952:
	s_and_not1_saveexec_b32 s3, s3
; %bb.3953:
	v_add_f32_e64 v5, 0x43000000, |v4|
; %bb.3954:
	s_or_b32 exec_lo, exec_lo, s3
                                        ; implicit-def: $vgpr6
.LBB126_3955:
	s_and_not1_saveexec_b32 s2, s2
; %bb.3956:
	v_mov_b32_e32 v5, 0x7f
	v_cmp_lt_u32_e32 vcc_lo, 0x7f800000, v6
	s_delay_alu instid0(VALU_DEP_2)
	v_cndmask_b32_e32 v5, 0x7c, v5, vcc_lo
; %bb.3957:
	s_or_b32 exec_lo, exec_lo, s2
	v_lshrrev_b32_e32 v4, 24, v4
	s_delay_alu instid0(VALU_DEP_1)
	v_and_or_b32 v4, 0x80, v4, v5
	global_store_b8 v[0:1], v4, off
.LBB126_3958:
	s_mov_b32 s2, 0
.LBB126_3959:
	s_delay_alu instid0(SALU_CYCLE_1)
	s_and_not1_b32 vcc_lo, exec_lo, s2
	s_mov_b32 s2, 0
	s_cbranch_vccnz .LBB126_3966
; %bb.3960:
	s_cmp_gt_i32 s1, 14
	s_mov_b32 s2, -1
	s_cbranch_scc0 .LBB126_3964
; %bb.3961:
	s_cmp_eq_u32 s1, 15
	s_mov_b32 s0, -1
	s_cbranch_scc0 .LBB126_3963
; %bb.3962:
	s_wait_xcnt 0x0
	s_delay_alu instid0(VALU_DEP_1) | instskip(SKIP_2) | instid1(VALU_DEP_2)
	v_xor_b32_e32 v4, v2, v3
	v_cls_i32_e32 v5, v3
	s_mov_b32 s0, 0
	v_ashrrev_i32_e32 v4, 31, v4
	s_delay_alu instid0(VALU_DEP_1) | instskip(NEXT) | instid1(VALU_DEP_1)
	v_add_nc_u32_e32 v4, 32, v4
	v_add_min_u32_e64 v6, v5, -1, v4
	s_delay_alu instid0(VALU_DEP_1) | instskip(NEXT) | instid1(VALU_DEP_1)
	v_lshlrev_b64_e32 v[4:5], v6, v[2:3]
	v_min_u32_e32 v4, 1, v4
	s_delay_alu instid0(VALU_DEP_1) | instskip(NEXT) | instid1(VALU_DEP_1)
	v_dual_sub_nc_u32 v5, 32, v6 :: v_dual_bitop2_b32 v4, v5, v4 bitop3:0x54
	v_cvt_f32_i32_e32 v4, v4
	s_delay_alu instid0(VALU_DEP_1) | instskip(NEXT) | instid1(VALU_DEP_1)
	v_ldexp_f32 v4, v4, v5
	v_bfe_u32 v5, v4, 16, 1
	s_delay_alu instid0(VALU_DEP_1)
	v_add3_u32 v4, v4, v5, 0x7fff
	global_store_d16_hi_b16 v[0:1], v4, off
.LBB126_3963:
	s_mov_b32 s2, 0
.LBB126_3964:
	s_delay_alu instid0(SALU_CYCLE_1)
	s_and_b32 vcc_lo, exec_lo, s2
	s_mov_b32 s2, 0
	s_cbranch_vccz .LBB126_3966
; %bb.3965:
	s_cmp_lg_u32 s1, 11
	s_mov_b32 s2, -1
	s_cselect_b32 s0, -1, 0
.LBB126_3966:
	s_delay_alu instid0(SALU_CYCLE_1)
	s_and_b32 vcc_lo, exec_lo, s0
	s_cbranch_vccnz .LBB126_4032
.LBB126_3967:
	s_mov_b32 s0, 0
	s_branch .LBB126_3969
.LBB126_3968:
	s_mov_b32 s0, 0
	s_mov_b32 s2, 0
                                        ; implicit-def: $sgpr20
                                        ; implicit-def: $vgpr0_vgpr1
                                        ; implicit-def: $vgpr2_vgpr3
.LBB126_3969:
	s_and_not1_b32 s1, s19, exec_lo
	s_and_b32 s3, s16, exec_lo
	s_and_b32 s0, s0, exec_lo
	;; [unrolled: 1-line block ×3, first 2 shown]
	s_or_b32 s19, s1, s3
.LBB126_3970:
	s_wait_xcnt 0x0
	s_or_b32 exec_lo, exec_lo, s18
	s_and_saveexec_b32 s1, s19
	s_cbranch_execz .LBB126_3973
; %bb.3971:
	; divergent unreachable
	s_or_b32 exec_lo, exec_lo, s1
	s_and_saveexec_b32 s1, s16
	s_delay_alu instid0(SALU_CYCLE_1)
	s_xor_b32 s1, exec_lo, s1
	s_cbranch_execnz .LBB126_3974
.LBB126_3972:
	s_or_b32 exec_lo, exec_lo, s1
	s_and_saveexec_b32 s1, s0
	s_cbranch_execnz .LBB126_3975
	s_branch .LBB126_4012
.LBB126_3973:
	s_or_b32 exec_lo, exec_lo, s1
	s_and_saveexec_b32 s1, s16
	s_delay_alu instid0(SALU_CYCLE_1)
	s_xor_b32 s1, exec_lo, s1
	s_cbranch_execz .LBB126_3972
.LBB126_3974:
	s_wait_loadcnt 0x0
	s_delay_alu instid0(VALU_DEP_1)
	v_cmp_ne_u64_e32 vcc_lo, 0, v[2:3]
	v_cndmask_b32_e64 v4, 0, 1, vcc_lo
	global_store_b8 v[0:1], v4, off
	s_wait_xcnt 0x0
	s_or_b32 exec_lo, exec_lo, s1
	s_and_saveexec_b32 s1, s0
	s_cbranch_execz .LBB126_4012
.LBB126_3975:
	s_sext_i32_i16 s1, s20
	s_mov_b32 s0, -1
	s_cmp_lt_i32 s1, 5
	s_cbranch_scc1 .LBB126_3996
; %bb.3976:
	s_cmp_lt_i32 s1, 8
	s_cbranch_scc1 .LBB126_3986
; %bb.3977:
	;; [unrolled: 3-line block ×3, first 2 shown]
	s_cmp_gt_i32 s1, 9
	s_cbranch_scc0 .LBB126_3980
; %bb.3979:
	s_wait_loadcnt 0x0
	v_cvt_f64_i32_e32 v[4:5], v3
	v_cvt_f64_u32_e32 v[6:7], v2
	s_mov_b32 s0, 0
	s_delay_alu instid0(VALU_DEP_2) | instskip(NEXT) | instid1(VALU_DEP_1)
	v_ldexp_f64 v[4:5], v[4:5], 32
	v_dual_add_f64 v[4:5], v[4:5], v[6:7] :: v_dual_mov_b32 v6, 0
	s_delay_alu instid0(VALU_DEP_1)
	v_mov_b32_e32 v7, v6
	global_store_b128 v[0:1], v[4:7], off
.LBB126_3980:
	s_and_not1_b32 vcc_lo, exec_lo, s0
	s_cbranch_vccnz .LBB126_3982
; %bb.3981:
	s_wait_loadcnt 0x0
	v_xor_b32_e32 v4, v2, v3
	v_cls_i32_e32 v5, v3
	s_delay_alu instid0(VALU_DEP_2) | instskip(NEXT) | instid1(VALU_DEP_1)
	v_ashrrev_i32_e32 v4, 31, v4
	v_add_nc_u32_e32 v4, 32, v4
	s_delay_alu instid0(VALU_DEP_1) | instskip(NEXT) | instid1(VALU_DEP_1)
	v_add_min_u32_e64 v6, v5, -1, v4
	v_lshlrev_b64_e32 v[4:5], v6, v[2:3]
	s_delay_alu instid0(VALU_DEP_1) | instskip(NEXT) | instid1(VALU_DEP_1)
	v_min_u32_e32 v4, 1, v4
	v_dual_sub_nc_u32 v5, 32, v6 :: v_dual_bitop2_b32 v4, v5, v4 bitop3:0x54
	s_delay_alu instid0(VALU_DEP_1) | instskip(NEXT) | instid1(VALU_DEP_1)
	v_cvt_f32_i32_e32 v4, v4
	v_ldexp_f32 v4, v4, v5
	v_mov_b32_e32 v5, 0
	global_store_b64 v[0:1], v[4:5], off
.LBB126_3982:
	s_mov_b32 s0, 0
.LBB126_3983:
	s_delay_alu instid0(SALU_CYCLE_1)
	s_and_not1_b32 vcc_lo, exec_lo, s0
	s_cbranch_vccnz .LBB126_3985
; %bb.3984:
	s_wait_loadcnt 0x0
	v_xor_b32_e32 v4, v2, v3
	v_cls_i32_e32 v5, v3
	s_delay_alu instid0(VALU_DEP_2) | instskip(NEXT) | instid1(VALU_DEP_1)
	v_ashrrev_i32_e32 v4, 31, v4
	v_add_nc_u32_e32 v4, 32, v4
	s_delay_alu instid0(VALU_DEP_1) | instskip(NEXT) | instid1(VALU_DEP_1)
	v_add_min_u32_e64 v6, v5, -1, v4
	v_lshlrev_b64_e32 v[4:5], v6, v[2:3]
	s_delay_alu instid0(VALU_DEP_1) | instskip(NEXT) | instid1(VALU_DEP_1)
	v_min_u32_e32 v4, 1, v4
	v_dual_sub_nc_u32 v5, 32, v6 :: v_dual_bitop2_b32 v4, v5, v4 bitop3:0x54
	s_delay_alu instid0(VALU_DEP_1) | instskip(NEXT) | instid1(VALU_DEP_1)
	v_cvt_f32_i32_e32 v4, v4
	v_ldexp_f32 v4, v4, v5
	s_delay_alu instid0(VALU_DEP_1) | instskip(NEXT) | instid1(VALU_DEP_1)
	v_cvt_f16_f32_e32 v4, v4
	v_and_b32_e32 v4, 0xffff, v4
	global_store_b32 v[0:1], v4, off
.LBB126_3985:
	s_mov_b32 s0, 0
.LBB126_3986:
	s_delay_alu instid0(SALU_CYCLE_1)
	s_and_not1_b32 vcc_lo, exec_lo, s0
	s_cbranch_vccnz .LBB126_3995
; %bb.3987:
	s_sext_i32_i16 s1, s20
	s_mov_b32 s0, -1
	s_cmp_lt_i32 s1, 6
	s_cbranch_scc1 .LBB126_3993
; %bb.3988:
	s_cmp_gt_i32 s1, 6
	s_cbranch_scc0 .LBB126_3990
; %bb.3989:
	s_wait_loadcnt 0x0
	v_cvt_f64_i32_e32 v[4:5], v3
	v_cvt_f64_u32_e32 v[6:7], v2
	s_mov_b32 s0, 0
	s_delay_alu instid0(VALU_DEP_2) | instskip(NEXT) | instid1(VALU_DEP_1)
	v_ldexp_f64 v[4:5], v[4:5], 32
	v_add_f64_e32 v[4:5], v[4:5], v[6:7]
	global_store_b64 v[0:1], v[4:5], off
.LBB126_3990:
	s_and_not1_b32 vcc_lo, exec_lo, s0
	s_cbranch_vccnz .LBB126_3992
; %bb.3991:
	s_wait_loadcnt 0x0
	v_xor_b32_e32 v4, v2, v3
	v_cls_i32_e32 v5, v3
	s_delay_alu instid0(VALU_DEP_2) | instskip(NEXT) | instid1(VALU_DEP_1)
	v_ashrrev_i32_e32 v4, 31, v4
	v_add_nc_u32_e32 v4, 32, v4
	s_delay_alu instid0(VALU_DEP_1) | instskip(NEXT) | instid1(VALU_DEP_1)
	v_add_min_u32_e64 v6, v5, -1, v4
	v_lshlrev_b64_e32 v[4:5], v6, v[2:3]
	s_delay_alu instid0(VALU_DEP_1) | instskip(NEXT) | instid1(VALU_DEP_1)
	v_min_u32_e32 v4, 1, v4
	v_dual_sub_nc_u32 v5, 32, v6 :: v_dual_bitop2_b32 v4, v5, v4 bitop3:0x54
	s_delay_alu instid0(VALU_DEP_1) | instskip(NEXT) | instid1(VALU_DEP_1)
	v_cvt_f32_i32_e32 v4, v4
	v_ldexp_f32 v4, v4, v5
	global_store_b32 v[0:1], v4, off
.LBB126_3992:
	s_mov_b32 s0, 0
.LBB126_3993:
	s_delay_alu instid0(SALU_CYCLE_1)
	s_and_not1_b32 vcc_lo, exec_lo, s0
	s_cbranch_vccnz .LBB126_3995
; %bb.3994:
	s_wait_loadcnt 0x0
	v_xor_b32_e32 v4, v2, v3
	v_cls_i32_e32 v5, v3
	s_delay_alu instid0(VALU_DEP_2) | instskip(NEXT) | instid1(VALU_DEP_1)
	v_ashrrev_i32_e32 v4, 31, v4
	v_add_nc_u32_e32 v4, 32, v4
	s_delay_alu instid0(VALU_DEP_1) | instskip(NEXT) | instid1(VALU_DEP_1)
	v_add_min_u32_e64 v6, v5, -1, v4
	v_lshlrev_b64_e32 v[4:5], v6, v[2:3]
	s_delay_alu instid0(VALU_DEP_1) | instskip(NEXT) | instid1(VALU_DEP_1)
	v_min_u32_e32 v4, 1, v4
	v_dual_sub_nc_u32 v5, 32, v6 :: v_dual_bitop2_b32 v4, v5, v4 bitop3:0x54
	s_delay_alu instid0(VALU_DEP_1) | instskip(NEXT) | instid1(VALU_DEP_1)
	v_cvt_f32_i32_e32 v4, v4
	v_ldexp_f32 v4, v4, v5
	s_delay_alu instid0(VALU_DEP_1)
	v_cvt_f16_f32_e32 v4, v4
	global_store_b16 v[0:1], v4, off
.LBB126_3995:
	s_mov_b32 s0, 0
.LBB126_3996:
	s_delay_alu instid0(SALU_CYCLE_1)
	s_and_not1_b32 vcc_lo, exec_lo, s0
	s_cbranch_vccnz .LBB126_4012
; %bb.3997:
	s_sext_i32_i16 s1, s20
	s_mov_b32 s0, -1
	s_cmp_lt_i32 s1, 2
	s_cbranch_scc1 .LBB126_4007
; %bb.3998:
	s_cmp_lt_i32 s1, 3
	s_cbranch_scc1 .LBB126_4004
; %bb.3999:
	s_cmp_gt_i32 s1, 3
	s_cbranch_scc0 .LBB126_4001
; %bb.4000:
	s_mov_b32 s0, 0
	s_wait_loadcnt 0x0
	global_store_b64 v[0:1], v[2:3], off
.LBB126_4001:
	s_and_not1_b32 vcc_lo, exec_lo, s0
	s_cbranch_vccnz .LBB126_4003
; %bb.4002:
	s_wait_loadcnt 0x0
	global_store_b32 v[0:1], v2, off
.LBB126_4003:
	s_mov_b32 s0, 0
.LBB126_4004:
	s_delay_alu instid0(SALU_CYCLE_1)
	s_and_not1_b32 vcc_lo, exec_lo, s0
	s_cbranch_vccnz .LBB126_4006
; %bb.4005:
	s_wait_loadcnt 0x0
	global_store_b16 v[0:1], v2, off
.LBB126_4006:
	s_mov_b32 s0, 0
.LBB126_4007:
	s_delay_alu instid0(SALU_CYCLE_1)
	s_and_not1_b32 vcc_lo, exec_lo, s0
	s_cbranch_vccnz .LBB126_4012
; %bb.4008:
	s_sext_i32_i16 s0, s20
	s_delay_alu instid0(SALU_CYCLE_1)
	s_cmp_gt_i32 s0, 0
	s_mov_b32 s0, -1
	s_cbranch_scc0 .LBB126_4010
; %bb.4009:
	s_mov_b32 s0, 0
	s_wait_loadcnt 0x0
	global_store_b8 v[0:1], v2, off
.LBB126_4010:
	s_and_not1_b32 vcc_lo, exec_lo, s0
	s_cbranch_vccnz .LBB126_4012
; %bb.4011:
	s_wait_loadcnt 0x0
	global_store_b8 v[0:1], v2, off
	s_endpgm
.LBB126_4012:
	s_endpgm
.LBB126_4013:
	s_mov_b32 s2, 0
	s_mov_b32 s0, -1
	s_branch .LBB126_3969
.LBB126_4014:
	s_or_b32 s16, s16, exec_lo
	s_trap 2
	s_cbranch_execz .LBB126_3483
	s_branch .LBB126_3484
.LBB126_4015:
	s_and_not1_saveexec_b32 s7, s7
	s_cbranch_execz .LBB126_3563
.LBB126_4016:
	v_add_f32_e64 v24, 0x46000000, |v1|
	s_and_not1_b32 s6, s6, exec_lo
	s_delay_alu instid0(VALU_DEP_1) | instskip(NEXT) | instid1(VALU_DEP_1)
	v_and_b32_e32 v24, 0xff, v24
	v_cmp_ne_u32_e32 vcc_lo, 0, v24
	s_and_b32 s8, vcc_lo, exec_lo
	s_delay_alu instid0(SALU_CYCLE_1)
	s_or_b32 s6, s6, s8
	s_or_b32 exec_lo, exec_lo, s7
	v_mov_b32_e32 v25, 0
	s_and_saveexec_b32 s7, s6
	s_cbranch_execnz .LBB126_3564
	s_branch .LBB126_3565
.LBB126_4017:
	s_or_b32 s16, s16, exec_lo
	s_trap 2
	s_cbranch_execz .LBB126_3611
	s_branch .LBB126_3612
.LBB126_4018:
	s_and_not1_saveexec_b32 s6, s6
	s_cbranch_execz .LBB126_3576
.LBB126_4019:
	v_add_f32_e64 v24, 0x42800000, |v1|
	s_and_not1_b32 s3, s3, exec_lo
	s_delay_alu instid0(VALU_DEP_1) | instskip(NEXT) | instid1(VALU_DEP_1)
	v_and_b32_e32 v24, 0xff, v24
	v_cmp_ne_u32_e32 vcc_lo, 0, v24
	s_and_b32 s7, vcc_lo, exec_lo
	s_delay_alu instid0(SALU_CYCLE_1)
	s_or_b32 s3, s3, s7
	s_or_b32 exec_lo, exec_lo, s6
	v_mov_b32_e32 v25, 0
	s_and_saveexec_b32 s6, s3
	s_cbranch_execnz .LBB126_3577
	s_branch .LBB126_3578
.LBB126_4020:
	s_and_not1_saveexec_b32 s8, s8
	s_cbranch_execz .LBB126_3682
.LBB126_4021:
	v_add_f32_e64 v6, 0x46000000, |v1|
	s_and_not1_b32 s7, s7, exec_lo
	s_delay_alu instid0(VALU_DEP_1) | instskip(NEXT) | instid1(VALU_DEP_1)
	v_and_b32_e32 v6, 0xff, v6
	v_cmp_ne_u32_e32 vcc_lo, 0, v6
	s_and_b32 s9, vcc_lo, exec_lo
	s_delay_alu instid0(SALU_CYCLE_1)
	s_or_b32 s7, s7, s9
	s_or_b32 exec_lo, exec_lo, s8
	v_mov_b32_e32 v7, 0
	s_and_saveexec_b32 s8, s7
	s_cbranch_execnz .LBB126_3683
	s_branch .LBB126_3684
.LBB126_4022:
	s_or_b32 s16, s16, exec_lo
	s_trap 2
	s_cbranch_execz .LBB126_3730
	s_branch .LBB126_3731
.LBB126_4023:
	s_and_not1_saveexec_b32 s7, s7
	s_cbranch_execz .LBB126_3695
.LBB126_4024:
	v_add_f32_e64 v6, 0x42800000, |v1|
	s_and_not1_b32 s6, s6, exec_lo
	s_delay_alu instid0(VALU_DEP_1) | instskip(NEXT) | instid1(VALU_DEP_1)
	v_and_b32_e32 v6, 0xff, v6
	v_cmp_ne_u32_e32 vcc_lo, 0, v6
	s_and_b32 s8, vcc_lo, exec_lo
	s_delay_alu instid0(SALU_CYCLE_1)
	s_or_b32 s6, s6, s8
	s_or_b32 exec_lo, exec_lo, s7
	v_mov_b32_e32 v7, 0
	s_and_saveexec_b32 s7, s6
	s_cbranch_execnz .LBB126_3696
	s_branch .LBB126_3697
.LBB126_4025:
	s_and_not1_saveexec_b32 s8, s8
	s_cbranch_execz .LBB126_3801
.LBB126_4026:
	v_add_f32_e64 v6, 0x46000000, |v1|
	s_and_not1_b32 s7, s7, exec_lo
	s_delay_alu instid0(VALU_DEP_1) | instskip(NEXT) | instid1(VALU_DEP_1)
	v_and_b32_e32 v6, 0xff, v6
	v_cmp_ne_u32_e32 vcc_lo, 0, v6
	s_and_b32 s9, vcc_lo, exec_lo
	s_delay_alu instid0(SALU_CYCLE_1)
	s_or_b32 s7, s7, s9
	s_or_b32 exec_lo, exec_lo, s8
	v_mov_b32_e32 v7, 0
	s_and_saveexec_b32 s8, s7
	s_cbranch_execnz .LBB126_3802
	s_branch .LBB126_3803
.LBB126_4027:
	s_or_b32 s16, s16, exec_lo
	s_trap 2
	s_cbranch_execz .LBB126_3849
	s_branch .LBB126_3850
.LBB126_4028:
	s_and_not1_saveexec_b32 s7, s7
	s_cbranch_execz .LBB126_3814
.LBB126_4029:
	v_add_f32_e64 v6, 0x42800000, |v1|
	s_and_not1_b32 s6, s6, exec_lo
	s_delay_alu instid0(VALU_DEP_1) | instskip(NEXT) | instid1(VALU_DEP_1)
	v_and_b32_e32 v6, 0xff, v6
	v_cmp_ne_u32_e32 vcc_lo, 0, v6
	s_and_b32 s8, vcc_lo, exec_lo
	s_delay_alu instid0(SALU_CYCLE_1)
	s_or_b32 s6, s6, s8
	s_or_b32 exec_lo, exec_lo, s7
	v_mov_b32_e32 v7, 0
	s_and_saveexec_b32 s7, s6
	s_cbranch_execnz .LBB126_3815
	s_branch .LBB126_3816
.LBB126_4030:
	s_and_not1_saveexec_b32 s5, s5
	s_cbranch_execz .LBB126_3921
.LBB126_4031:
	v_add_f32_e64 v5, 0x46000000, |v4|
	s_and_not1_b32 s4, s4, exec_lo
	s_delay_alu instid0(VALU_DEP_1) | instskip(NEXT) | instid1(VALU_DEP_1)
	v_and_b32_e32 v5, 0xff, v5
	v_cmp_ne_u32_e32 vcc_lo, 0, v5
	s_and_b32 s6, vcc_lo, exec_lo
	s_delay_alu instid0(SALU_CYCLE_1)
	s_or_b32 s4, s4, s6
	s_or_b32 exec_lo, exec_lo, s5
	v_mov_b32_e32 v6, 0
	s_and_saveexec_b32 s5, s4
	s_cbranch_execnz .LBB126_3922
	s_branch .LBB126_3923
.LBB126_4032:
	s_mov_b32 s2, 0
	s_or_b32 s16, s16, exec_lo
	s_trap 2
	s_branch .LBB126_3967
.LBB126_4033:
	s_and_not1_saveexec_b32 s4, s4
	s_cbranch_execz .LBB126_3933
.LBB126_4034:
	v_add_f32_e64 v5, 0x42800000, |v4|
	s_and_not1_b32 s3, s3, exec_lo
	s_delay_alu instid0(VALU_DEP_1) | instskip(NEXT) | instid1(VALU_DEP_1)
	v_and_b32_e32 v5, 0xff, v5
	v_cmp_ne_u32_e32 vcc_lo, 0, v5
	s_and_b32 s5, vcc_lo, exec_lo
	s_delay_alu instid0(SALU_CYCLE_1)
	s_or_b32 s3, s3, s5
	s_or_b32 exec_lo, exec_lo, s4
	v_mov_b32_e32 v6, 0
	s_and_saveexec_b32 s4, s3
	s_cbranch_execnz .LBB126_3934
	s_branch .LBB126_3935
	.section	.rodata,"a",@progbits
	.p2align	6, 0x0
	.amdhsa_kernel _ZN2at6native32elementwise_kernel_manual_unrollILi128ELi4EZNS0_15gpu_kernel_implIZZZNS0_12_GLOBAL__N_117clamp_kernel_implERNS_18TensorIteratorBaseEENKUlvE_clEvENKUlvE2_clEvEUllllE_EEvS5_RKT_EUlibE_EEviT1_
		.amdhsa_group_segment_fixed_size 0
		.amdhsa_private_segment_fixed_size 0
		.amdhsa_kernarg_size 64
		.amdhsa_user_sgpr_count 2
		.amdhsa_user_sgpr_dispatch_ptr 0
		.amdhsa_user_sgpr_queue_ptr 0
		.amdhsa_user_sgpr_kernarg_segment_ptr 1
		.amdhsa_user_sgpr_dispatch_id 0
		.amdhsa_user_sgpr_kernarg_preload_length 0
		.amdhsa_user_sgpr_kernarg_preload_offset 0
		.amdhsa_user_sgpr_private_segment_size 0
		.amdhsa_wavefront_size32 1
		.amdhsa_uses_dynamic_stack 0
		.amdhsa_enable_private_segment 0
		.amdhsa_system_sgpr_workgroup_id_x 1
		.amdhsa_system_sgpr_workgroup_id_y 0
		.amdhsa_system_sgpr_workgroup_id_z 0
		.amdhsa_system_sgpr_workgroup_info 0
		.amdhsa_system_vgpr_workitem_id 0
		.amdhsa_next_free_vgpr 32
		.amdhsa_next_free_sgpr 42
		.amdhsa_named_barrier_count 0
		.amdhsa_reserve_vcc 1
		.amdhsa_float_round_mode_32 0
		.amdhsa_float_round_mode_16_64 0
		.amdhsa_float_denorm_mode_32 3
		.amdhsa_float_denorm_mode_16_64 3
		.amdhsa_fp16_overflow 0
		.amdhsa_memory_ordered 1
		.amdhsa_forward_progress 1
		.amdhsa_inst_pref_size 255
		.amdhsa_round_robin_scheduling 0
		.amdhsa_exception_fp_ieee_invalid_op 0
		.amdhsa_exception_fp_denorm_src 0
		.amdhsa_exception_fp_ieee_div_zero 0
		.amdhsa_exception_fp_ieee_overflow 0
		.amdhsa_exception_fp_ieee_underflow 0
		.amdhsa_exception_fp_ieee_inexact 0
		.amdhsa_exception_int_div_zero 0
	.end_amdhsa_kernel
	.section	.text._ZN2at6native32elementwise_kernel_manual_unrollILi128ELi4EZNS0_15gpu_kernel_implIZZZNS0_12_GLOBAL__N_117clamp_kernel_implERNS_18TensorIteratorBaseEENKUlvE_clEvENKUlvE2_clEvEUllllE_EEvS5_RKT_EUlibE_EEviT1_,"axG",@progbits,_ZN2at6native32elementwise_kernel_manual_unrollILi128ELi4EZNS0_15gpu_kernel_implIZZZNS0_12_GLOBAL__N_117clamp_kernel_implERNS_18TensorIteratorBaseEENKUlvE_clEvENKUlvE2_clEvEUllllE_EEvS5_RKT_EUlibE_EEviT1_,comdat
.Lfunc_end126:
	.size	_ZN2at6native32elementwise_kernel_manual_unrollILi128ELi4EZNS0_15gpu_kernel_implIZZZNS0_12_GLOBAL__N_117clamp_kernel_implERNS_18TensorIteratorBaseEENKUlvE_clEvENKUlvE2_clEvEUllllE_EEvS5_RKT_EUlibE_EEviT1_, .Lfunc_end126-_ZN2at6native32elementwise_kernel_manual_unrollILi128ELi4EZNS0_15gpu_kernel_implIZZZNS0_12_GLOBAL__N_117clamp_kernel_implERNS_18TensorIteratorBaseEENKUlvE_clEvENKUlvE2_clEvEUllllE_EEvS5_RKT_EUlibE_EEviT1_
                                        ; -- End function
	.set _ZN2at6native32elementwise_kernel_manual_unrollILi128ELi4EZNS0_15gpu_kernel_implIZZZNS0_12_GLOBAL__N_117clamp_kernel_implERNS_18TensorIteratorBaseEENKUlvE_clEvENKUlvE2_clEvEUllllE_EEvS5_RKT_EUlibE_EEviT1_.num_vgpr, 32
	.set _ZN2at6native32elementwise_kernel_manual_unrollILi128ELi4EZNS0_15gpu_kernel_implIZZZNS0_12_GLOBAL__N_117clamp_kernel_implERNS_18TensorIteratorBaseEENKUlvE_clEvENKUlvE2_clEvEUllllE_EEvS5_RKT_EUlibE_EEviT1_.num_agpr, 0
	.set _ZN2at6native32elementwise_kernel_manual_unrollILi128ELi4EZNS0_15gpu_kernel_implIZZZNS0_12_GLOBAL__N_117clamp_kernel_implERNS_18TensorIteratorBaseEENKUlvE_clEvENKUlvE2_clEvEUllllE_EEvS5_RKT_EUlibE_EEviT1_.numbered_sgpr, 42
	.set _ZN2at6native32elementwise_kernel_manual_unrollILi128ELi4EZNS0_15gpu_kernel_implIZZZNS0_12_GLOBAL__N_117clamp_kernel_implERNS_18TensorIteratorBaseEENKUlvE_clEvENKUlvE2_clEvEUllllE_EEvS5_RKT_EUlibE_EEviT1_.num_named_barrier, 0
	.set _ZN2at6native32elementwise_kernel_manual_unrollILi128ELi4EZNS0_15gpu_kernel_implIZZZNS0_12_GLOBAL__N_117clamp_kernel_implERNS_18TensorIteratorBaseEENKUlvE_clEvENKUlvE2_clEvEUllllE_EEvS5_RKT_EUlibE_EEviT1_.private_seg_size, 0
	.set _ZN2at6native32elementwise_kernel_manual_unrollILi128ELi4EZNS0_15gpu_kernel_implIZZZNS0_12_GLOBAL__N_117clamp_kernel_implERNS_18TensorIteratorBaseEENKUlvE_clEvENKUlvE2_clEvEUllllE_EEvS5_RKT_EUlibE_EEviT1_.uses_vcc, 1
	.set _ZN2at6native32elementwise_kernel_manual_unrollILi128ELi4EZNS0_15gpu_kernel_implIZZZNS0_12_GLOBAL__N_117clamp_kernel_implERNS_18TensorIteratorBaseEENKUlvE_clEvENKUlvE2_clEvEUllllE_EEvS5_RKT_EUlibE_EEviT1_.uses_flat_scratch, 0
	.set _ZN2at6native32elementwise_kernel_manual_unrollILi128ELi4EZNS0_15gpu_kernel_implIZZZNS0_12_GLOBAL__N_117clamp_kernel_implERNS_18TensorIteratorBaseEENKUlvE_clEvENKUlvE2_clEvEUllllE_EEvS5_RKT_EUlibE_EEviT1_.has_dyn_sized_stack, 0
	.set _ZN2at6native32elementwise_kernel_manual_unrollILi128ELi4EZNS0_15gpu_kernel_implIZZZNS0_12_GLOBAL__N_117clamp_kernel_implERNS_18TensorIteratorBaseEENKUlvE_clEvENKUlvE2_clEvEUllllE_EEvS5_RKT_EUlibE_EEviT1_.has_recursion, 0
	.set _ZN2at6native32elementwise_kernel_manual_unrollILi128ELi4EZNS0_15gpu_kernel_implIZZZNS0_12_GLOBAL__N_117clamp_kernel_implERNS_18TensorIteratorBaseEENKUlvE_clEvENKUlvE2_clEvEUllllE_EEvS5_RKT_EUlibE_EEviT1_.has_indirect_call, 0
	.section	.AMDGPU.csdata,"",@progbits
; Kernel info:
; codeLenInByte = 96184
; TotalNumSgprs: 44
; NumVgprs: 32
; ScratchSize: 0
; MemoryBound: 1
; FloatMode: 240
; IeeeMode: 1
; LDSByteSize: 0 bytes/workgroup (compile time only)
; SGPRBlocks: 0
; VGPRBlocks: 1
; NumSGPRsForWavesPerEU: 44
; NumVGPRsForWavesPerEU: 32
; NamedBarCnt: 0
; Occupancy: 16
; WaveLimiterHint : 0
; COMPUTE_PGM_RSRC2:SCRATCH_EN: 0
; COMPUTE_PGM_RSRC2:USER_SGPR: 2
; COMPUTE_PGM_RSRC2:TRAP_HANDLER: 0
; COMPUTE_PGM_RSRC2:TGID_X_EN: 1
; COMPUTE_PGM_RSRC2:TGID_Y_EN: 0
; COMPUTE_PGM_RSRC2:TGID_Z_EN: 0
; COMPUTE_PGM_RSRC2:TIDIG_COMP_CNT: 0
	.section	.text._ZN2at6native32elementwise_kernel_manual_unrollILi128ELi4EZNS0_15gpu_kernel_implIZZZNS0_12_GLOBAL__N_117clamp_kernel_implERNS_18TensorIteratorBaseEENKUlvE_clEvENKUlvE2_clEvEUllllE_EEvS5_RKT_EUlibE0_EEviT1_,"axG",@progbits,_ZN2at6native32elementwise_kernel_manual_unrollILi128ELi4EZNS0_15gpu_kernel_implIZZZNS0_12_GLOBAL__N_117clamp_kernel_implERNS_18TensorIteratorBaseEENKUlvE_clEvENKUlvE2_clEvEUllllE_EEvS5_RKT_EUlibE0_EEviT1_,comdat
	.globl	_ZN2at6native32elementwise_kernel_manual_unrollILi128ELi4EZNS0_15gpu_kernel_implIZZZNS0_12_GLOBAL__N_117clamp_kernel_implERNS_18TensorIteratorBaseEENKUlvE_clEvENKUlvE2_clEvEUllllE_EEvS5_RKT_EUlibE0_EEviT1_ ; -- Begin function _ZN2at6native32elementwise_kernel_manual_unrollILi128ELi4EZNS0_15gpu_kernel_implIZZZNS0_12_GLOBAL__N_117clamp_kernel_implERNS_18TensorIteratorBaseEENKUlvE_clEvENKUlvE2_clEvEUllllE_EEvS5_RKT_EUlibE0_EEviT1_
	.p2align	8
	.type	_ZN2at6native32elementwise_kernel_manual_unrollILi128ELi4EZNS0_15gpu_kernel_implIZZZNS0_12_GLOBAL__N_117clamp_kernel_implERNS_18TensorIteratorBaseEENKUlvE_clEvENKUlvE2_clEvEUllllE_EEvS5_RKT_EUlibE0_EEviT1_,@function
_ZN2at6native32elementwise_kernel_manual_unrollILi128ELi4EZNS0_15gpu_kernel_implIZZZNS0_12_GLOBAL__N_117clamp_kernel_implERNS_18TensorIteratorBaseEENKUlvE_clEvENKUlvE2_clEvEUllllE_EEvS5_RKT_EUlibE0_EEviT1_: ; @_ZN2at6native32elementwise_kernel_manual_unrollILi128ELi4EZNS0_15gpu_kernel_implIZZZNS0_12_GLOBAL__N_117clamp_kernel_implERNS_18TensorIteratorBaseEENKUlvE_clEvENKUlvE2_clEvEUllllE_EEvS5_RKT_EUlibE0_EEviT1_
; %bb.0:
	s_clause 0x1
	s_load_b32 s33, s[0:1], 0x8
	s_load_b32 s43, s[0:1], 0x0
	s_bfe_u32 s2, ttmp6, 0x4000c
	s_and_b32 s3, ttmp6, 15
	s_add_co_i32 s2, s2, 1
	s_getreg_b32 s4, hwreg(HW_REG_IB_STS2, 6, 4)
	s_mul_i32 s2, ttmp9, s2
	s_mov_b32 s35, 0
	s_add_co_i32 s3, s3, s2
	s_cmp_eq_u32 s4, 0
	s_mov_b32 s29, -1
	s_cselect_b32 s2, ttmp9, s3
	s_mov_b32 s10, 0
	v_lshl_or_b32 v0, s2, 9, v0
	s_add_nc_u64 s[2:3], s[0:1], 8
	s_wait_xcnt 0x0
	s_mov_b32 s0, exec_lo
	s_delay_alu instid0(VALU_DEP_1) | instskip(SKIP_2) | instid1(SALU_CYCLE_1)
	v_or_b32_e32 v1, 0x180, v0
	s_wait_kmcnt 0x0
	s_add_co_i32 s34, s33, -1
	s_cmp_gt_u32 s34, 1
	s_cselect_b32 s36, -1, 0
	v_cmpx_le_i32_e64 s43, v1
	s_xor_b32 s37, exec_lo, s0
	s_cbranch_execz .LBB127_2061
; %bb.1:
	v_mov_b32_e32 v1, 0
	s_clause 0x3
	s_load_b128 s[20:23], s[2:3], 0x4
	s_load_b64 s[0:1], s[2:3], 0x14
	s_load_b256 s[12:19], s[2:3], 0xc4
	s_load_b256 s[4:11], s[2:3], 0x1c8
	s_cmp_lg_u32 s33, 0
	s_mov_b32 s25, 0
	s_cselect_b32 s45, -1, 0
	global_load_b32 v1, v1, s[2:3] offset:489
	s_min_u32 s42, s34, 15
	s_cmp_gt_u32 s33, 1
	s_mov_b32 s27, s25
	s_mov_b32 s48, s25
	;; [unrolled: 1-line block ×4, first 2 shown]
	s_cselect_b32 s41, -1, 0
	s_mov_b32 s44, s25
	s_mov_b32 s49, exec_lo
	s_wait_kmcnt 0x0
	s_mov_b32 s24, s21
	s_mov_b32 s26, s0
	s_wait_loadcnt 0x0
	v_readfirstlane_b32 s38, v1
	s_lshr_b32 s39, s38, 16
	s_lshr_b32 s40, s38, 8
	;; [unrolled: 1-line block ×3, first 2 shown]
	v_cmpx_gt_i32_e64 s43, v0
	s_cbranch_execz .LBB127_511
; %bb.2:
	s_and_not1_b32 vcc_lo, exec_lo, s36
	s_cbranch_vccnz .LBB127_8
; %bb.3:
	s_and_not1_b32 vcc_lo, exec_lo, s45
	s_cbranch_vccnz .LBB127_9
; %bb.4:
	v_dual_mov_b32 v8, 0 :: v_dual_mov_b32 v1, v0
	v_dual_mov_b32 v6, 0 :: v_dual_mov_b32 v2, 0
	v_mov_b32_e32 v4, 0
	s_add_co_i32 s0, s42, 1
	s_mov_b64 s[28:29], 0xffffffffffffffe0
	s_and_b32 s0, s0, 30
	s_add_nc_u64 s[28:29], s[2:3], s[28:29]
	s_mov_b64 s[30:31], s[2:3]
.LBB127_5:                              ; =>This Inner Loop Header: Depth=1
	s_clause 0x1
	s_load_b128 s[60:63], s[30:31], 0x4
	s_load_b64 s[46:47], s[30:31], 0x14
	s_load_b256 s[52:59], s[28:29], 0xe4
	s_add_co_i32 s0, s0, -2
	s_wait_xcnt 0x0
	s_add_nc_u64 s[30:31], s[30:31], 24
	s_cmp_lg_u32 s0, 0
	s_add_nc_u64 s[28:29], s[28:29], 32
	s_wait_kmcnt 0x0
	v_mul_hi_u32 v3, s61, v1
	s_delay_alu instid0(VALU_DEP_1) | instskip(NEXT) | instid1(VALU_DEP_1)
	v_add_nc_u32_e32 v3, v1, v3
	v_lshrrev_b32_e32 v3, s62, v3
	s_delay_alu instid0(VALU_DEP_1) | instskip(SKIP_1) | instid1(VALU_DEP_1)
	v_mul_hi_u32 v5, s46, v3
	v_mul_lo_u32 v7, v3, s60
	v_dual_add_nc_u32 v5, v3, v5 :: v_dual_sub_nc_u32 v7, v1, v7
	s_delay_alu instid0(VALU_DEP_1) | instskip(NEXT) | instid1(VALU_DEP_2)
	v_lshrrev_b32_e32 v1, s47, v5
	v_mad_u32 v4, v7, s53, v4
	v_mad_u32 v2, v7, s52, v2
	v_mad_u32 v6, v7, s55, v6
	v_mad_u32 v7, v7, s54, v8
	v_mul_lo_u32 v5, v1, s63
	s_delay_alu instid0(VALU_DEP_1) | instskip(NEXT) | instid1(VALU_DEP_1)
	v_sub_nc_u32_e32 v3, v3, v5
	v_mad_u32 v4, v3, s57, v4
	v_mad_u32 v2, v3, s56, v2
	;; [unrolled: 1-line block ×4, first 2 shown]
	s_cbranch_scc1 .LBB127_5
; %bb.6:
	s_bitcmp1_b32 s42, 0
	s_cselect_b32 s0, -1, 0
	s_delay_alu instid0(SALU_CYCLE_1)
	s_and_b32 vcc_lo, exec_lo, s0
	s_cbranch_vccnz .LBB127_10
; %bb.7:
	s_load_b96 s[56:58], s[30:31], 0x4
	s_load_b128 s[52:55], s[28:29], 0xe4
	s_wait_kmcnt 0x0
	v_mul_hi_u32 v3, s57, v1
	s_delay_alu instid0(VALU_DEP_1) | instskip(NEXT) | instid1(VALU_DEP_1)
	v_add_nc_u32_e32 v3, v1, v3
	v_lshrrev_b32_e32 v3, s58, v3
	s_delay_alu instid0(VALU_DEP_1) | instskip(NEXT) | instid1(VALU_DEP_1)
	v_mul_lo_u32 v3, v3, s56
	v_sub_nc_u32_e32 v1, v1, v3
	s_delay_alu instid0(VALU_DEP_1)
	v_mad_u32 v2, v1, s52, v2
	v_mad_u32 v4, v1, s53, v4
	;; [unrolled: 1-line block ×4, first 2 shown]
	s_cbranch_execz .LBB127_11
	s_branch .LBB127_13
.LBB127_8:
                                        ; implicit-def: $vgpr4
                                        ; implicit-def: $vgpr2
                                        ; implicit-def: $vgpr6
                                        ; implicit-def: $vgpr8
	s_branch .LBB127_11
.LBB127_9:
	v_dual_mov_b32 v4, 0 :: v_dual_mov_b32 v2, 0
	v_dual_mov_b32 v6, 0 :: v_dual_mov_b32 v8, 0
.LBB127_10:
	s_cbranch_execnz .LBB127_13
.LBB127_11:
	v_mov_b32_e32 v1, 0
	s_and_not1_b32 vcc_lo, exec_lo, s41
	s_delay_alu instid0(VALU_DEP_1) | instskip(NEXT) | instid1(VALU_DEP_1)
	v_mul_u64_e32 v[2:3], s[24:25], v[0:1]
	v_add_nc_u32_e32 v2, v0, v3
	s_delay_alu instid0(VALU_DEP_1) | instskip(NEXT) | instid1(VALU_DEP_1)
	v_lshrrev_b32_e32 v10, s22, v2
	v_mul_lo_u32 v2, v10, s20
	s_delay_alu instid0(VALU_DEP_1) | instskip(NEXT) | instid1(VALU_DEP_1)
	v_sub_nc_u32_e32 v3, v0, v2
	v_mul_lo_u32 v4, v3, s13
	v_mul_lo_u32 v2, v3, s12
	;; [unrolled: 1-line block ×4, first 2 shown]
	s_cbranch_vccnz .LBB127_13
; %bb.12:
	v_mov_b32_e32 v11, v1
	s_delay_alu instid0(VALU_DEP_1) | instskip(NEXT) | instid1(VALU_DEP_1)
	v_mul_u64_e32 v[12:13], s[26:27], v[10:11]
	v_add_nc_u32_e32 v1, v10, v13
	s_delay_alu instid0(VALU_DEP_1) | instskip(NEXT) | instid1(VALU_DEP_1)
	v_lshrrev_b32_e32 v1, s1, v1
	v_mul_lo_u32 v1, v1, s23
	s_delay_alu instid0(VALU_DEP_1) | instskip(NEXT) | instid1(VALU_DEP_1)
	v_sub_nc_u32_e32 v1, v10, v1
	v_mad_u32 v2, v1, s16, v2
	v_mad_u32 v4, v1, s17, v4
	;; [unrolled: 1-line block ×4, first 2 shown]
.LBB127_13:
	v_mov_b32_e32 v5, 0
	s_and_b32 s0, s40, 0xff
	s_delay_alu instid0(SALU_CYCLE_1) | instskip(NEXT) | instid1(VALU_DEP_1)
	s_cmp_lt_i32 s0, 11
	v_add_nc_u64_e32 v[10:11], s[6:7], v[4:5]
	s_cbranch_scc1 .LBB127_20
; %bb.14:
	s_and_b32 s29, 0xffff, s0
	s_delay_alu instid0(SALU_CYCLE_1)
	s_cmp_gt_i32 s29, 25
	s_cbranch_scc0 .LBB127_29
; %bb.15:
	s_cmp_gt_i32 s29, 28
	s_cbranch_scc0 .LBB127_39
; %bb.16:
	s_cmp_gt_i32 s29, 43
	s_cbranch_scc0 .LBB127_42
; %bb.17:
	s_cmp_gt_i32 s29, 45
	s_cbranch_scc0 .LBB127_45
; %bb.18:
	s_cmp_eq_u32 s29, 46
	s_mov_b32 s31, 0
	s_cbranch_scc0 .LBB127_48
; %bb.19:
	global_load_b32 v1, v[10:11], off
	s_mov_b32 s30, -1
	s_mov_b32 s28, 0
	s_wait_loadcnt 0x0
	v_lshlrev_b32_e32 v1, 16, v1
	s_delay_alu instid0(VALU_DEP_1) | instskip(NEXT) | instid1(VALU_DEP_1)
	v_trunc_f32_e32 v1, v1
	v_mul_f32_e64 v3, 0x2f800000, |v1|
	v_ashrrev_i32_e32 v4, 31, v1
	s_delay_alu instid0(VALU_DEP_2) | instskip(NEXT) | instid1(VALU_DEP_1)
	v_floor_f32_e32 v3, v3
	v_fma_f32 v5, 0xcf800000, v3, |v1|
	v_cvt_u32_f32_e32 v1, v3
	s_delay_alu instid0(VALU_DEP_2) | instskip(NEXT) | instid1(VALU_DEP_2)
	v_cvt_u32_f32_e32 v3, v5
	v_dual_mov_b32 v5, v4 :: v_dual_bitop2_b32 v13, v1, v4 bitop3:0x14
	s_delay_alu instid0(VALU_DEP_2) | instskip(NEXT) | instid1(VALU_DEP_1)
	v_xor_b32_e32 v12, v3, v4
	v_sub_nc_u64_e32 v[4:5], v[12:13], v[4:5]
	s_branch .LBB127_50
.LBB127_20:
	s_mov_b32 s28, 0
	s_mov_b32 s30, 0
                                        ; implicit-def: $vgpr4_vgpr5
	s_cbranch_execnz .LBB127_112
.LBB127_21:
	s_and_not1_b32 vcc_lo, exec_lo, s30
	s_cbranch_vccnz .LBB127_159
.LBB127_22:
	v_mov_b32_e32 v9, 0
	s_and_b32 s0, s39, 0xff
	s_delay_alu instid0(SALU_CYCLE_1) | instskip(SKIP_1) | instid1(VALU_DEP_1)
	s_cmp_lt_i32 s0, 11
	s_wait_xcnt 0x0
	v_add_nc_u64_e32 v[10:11], s[8:9], v[8:9]
	s_cbranch_scc1 .LBB127_30
; %bb.23:
	s_and_b32 s30, 0xffff, s0
	s_delay_alu instid0(SALU_CYCLE_1)
	s_cmp_gt_i32 s30, 25
	s_cbranch_scc0 .LBB127_40
; %bb.24:
	s_cmp_gt_i32 s30, 28
	s_cbranch_scc0 .LBB127_43
; %bb.25:
	;; [unrolled: 3-line block ×4, first 2 shown]
	s_cmp_eq_u32 s30, 46
	s_mov_b32 s44, 0
	s_cbranch_scc0 .LBB127_160
; %bb.28:
	global_load_b32 v1, v[10:11], off
	s_mov_b32 s31, -1
	s_mov_b32 s29, 0
	s_wait_loadcnt 0x0
	v_lshlrev_b32_e32 v1, 16, v1
	s_delay_alu instid0(VALU_DEP_1) | instskip(NEXT) | instid1(VALU_DEP_1)
	v_trunc_f32_e32 v1, v1
	v_mul_f32_e64 v3, 0x2f800000, |v1|
	v_ashrrev_i32_e32 v8, 31, v1
	s_delay_alu instid0(VALU_DEP_2) | instskip(NEXT) | instid1(VALU_DEP_2)
	v_floor_f32_e32 v3, v3
	v_mov_b32_e32 v9, v8
	s_delay_alu instid0(VALU_DEP_2) | instskip(SKIP_1) | instid1(VALU_DEP_2)
	v_fma_f32 v7, 0xcf800000, v3, |v1|
	v_cvt_u32_f32_e32 v1, v3
	v_cvt_u32_f32_e32 v3, v7
	s_delay_alu instid0(VALU_DEP_2) | instskip(NEXT) | instid1(VALU_DEP_2)
	v_xor_b32_e32 v13, v1, v8
	v_xor_b32_e32 v12, v3, v8
	s_delay_alu instid0(VALU_DEP_1)
	v_sub_nc_u64_e32 v[8:9], v[12:13], v[8:9]
	s_branch .LBB127_162
.LBB127_29:
	s_mov_b32 s28, 0
	s_mov_b32 s30, 0
                                        ; implicit-def: $vgpr4_vgpr5
	s_cbranch_execnz .LBB127_79
	s_branch .LBB127_111
.LBB127_30:
	s_mov_b32 s29, 0
	s_mov_b32 s31, 0
                                        ; implicit-def: $vgpr8_vgpr9
	s_cbranch_execnz .LBB127_224
.LBB127_31:
	s_and_not1_b32 vcc_lo, exec_lo, s31
	s_cbranch_vccnz .LBB127_272
.LBB127_32:
	v_mov_b32_e32 v7, 0
	s_and_b32 s0, 0xffff, s21
	s_delay_alu instid0(SALU_CYCLE_1) | instskip(NEXT) | instid1(VALU_DEP_1)
	s_cmp_lt_i32 s0, 11
	v_add_nc_u64_e32 v[6:7], s[10:11], v[6:7]
	s_cbranch_scc1 .LBB127_41
; %bb.33:
	s_cmp_gt_i32 s0, 25
	s_cbranch_scc0 .LBB127_44
; %bb.34:
	s_cmp_gt_i32 s0, 28
	s_cbranch_scc0 .LBB127_47
	;; [unrolled: 3-line block ×4, first 2 shown]
; %bb.37:
	s_cmp_eq_u32 s0, 46
	s_mov_b32 s44, 0
	s_cbranch_scc0 .LBB127_273
; %bb.38:
	global_load_b32 v1, v[6:7], off
	s_mov_b32 s31, -1
	s_mov_b32 s30, 0
	s_wait_loadcnt 0x0
	v_lshlrev_b32_e32 v1, 16, v1
	s_delay_alu instid0(VALU_DEP_1) | instskip(NEXT) | instid1(VALU_DEP_1)
	v_trunc_f32_e32 v1, v1
	v_mul_f32_e64 v3, 0x2f800000, |v1|
	v_ashrrev_i32_e32 v10, 31, v1
	s_delay_alu instid0(VALU_DEP_2) | instskip(NEXT) | instid1(VALU_DEP_1)
	v_floor_f32_e32 v3, v3
	v_fma_f32 v11, 0xcf800000, v3, |v1|
	v_cvt_u32_f32_e32 v1, v3
	s_delay_alu instid0(VALU_DEP_2) | instskip(NEXT) | instid1(VALU_DEP_2)
	v_cvt_u32_f32_e32 v3, v11
	v_dual_mov_b32 v11, v10 :: v_dual_bitop2_b32 v13, v1, v10 bitop3:0x14
	s_delay_alu instid0(VALU_DEP_2) | instskip(NEXT) | instid1(VALU_DEP_1)
	v_xor_b32_e32 v12, v3, v10
	v_sub_nc_u64_e32 v[10:11], v[12:13], v[10:11]
	s_branch .LBB127_275
.LBB127_39:
	s_mov_b32 s31, -1
	s_mov_b32 s28, 0
	s_mov_b32 s30, 0
                                        ; implicit-def: $vgpr4_vgpr5
	s_branch .LBB127_62
.LBB127_40:
	s_mov_b32 s44, -1
	s_mov_b32 s29, 0
	s_mov_b32 s31, 0
                                        ; implicit-def: $vgpr8_vgpr9
	s_branch .LBB127_190
.LBB127_41:
	s_mov_b32 s44, -1
	s_mov_b32 s30, 0
	s_mov_b32 s31, 0
                                        ; implicit-def: $vgpr10_vgpr11
	s_branch .LBB127_336
.LBB127_42:
	s_mov_b32 s31, -1
	s_mov_b32 s28, 0
	s_mov_b32 s30, 0
                                        ; implicit-def: $vgpr4_vgpr5
	s_branch .LBB127_57
.LBB127_43:
	s_mov_b32 s44, -1
	s_mov_b32 s29, 0
	s_mov_b32 s31, 0
                                        ; implicit-def: $vgpr8_vgpr9
	s_branch .LBB127_173
.LBB127_44:
	s_mov_b32 s44, -1
	s_mov_b32 s30, 0
	s_mov_b32 s31, 0
                                        ; implicit-def: $vgpr10_vgpr11
	s_branch .LBB127_302
.LBB127_45:
	s_mov_b32 s31, -1
	s_mov_b32 s28, 0
	s_branch .LBB127_49
.LBB127_46:
	s_mov_b32 s44, -1
	s_mov_b32 s29, 0
	s_mov_b32 s31, 0
                                        ; implicit-def: $vgpr8_vgpr9
	s_branch .LBB127_168
.LBB127_47:
	s_mov_b32 s44, -1
	s_mov_b32 s30, 0
	s_mov_b32 s31, 0
                                        ; implicit-def: $vgpr10_vgpr11
	s_branch .LBB127_285
.LBB127_48:
	s_mov_b32 s28, -1
.LBB127_49:
	s_mov_b32 s30, 0
                                        ; implicit-def: $vgpr4_vgpr5
.LBB127_50:
	s_and_b32 vcc_lo, exec_lo, s31
	s_cbranch_vccz .LBB127_56
; %bb.51:
	s_cmp_eq_u32 s29, 44
	s_cbranch_scc0 .LBB127_55
; %bb.52:
	global_load_u8 v1, v[10:11], off
	s_mov_b32 s28, 0
	s_mov_b32 s30, -1
	s_wait_loadcnt 0x0
	v_lshlrev_b32_e32 v3, 23, v1
	v_cmp_ne_u32_e32 vcc_lo, 0, v1
	s_delay_alu instid0(VALU_DEP_2) | instskip(NEXT) | instid1(VALU_DEP_1)
	v_trunc_f32_e32 v3, v3
	v_mul_f32_e64 v4, 0x2f800000, |v3|
	s_delay_alu instid0(VALU_DEP_1) | instskip(SKIP_1) | instid1(VALU_DEP_2)
	v_floor_f32_e32 v5, v4
	v_ashrrev_i32_e32 v4, 31, v3
	v_fma_f32 v7, 0xcf800000, v5, |v3|
	v_cvt_u32_f32_e32 v3, v5
	s_delay_alu instid0(VALU_DEP_3) | instskip(NEXT) | instid1(VALU_DEP_3)
	v_mov_b32_e32 v5, v4
	v_cvt_u32_f32_e32 v7, v7
	s_delay_alu instid0(VALU_DEP_3) | instskip(NEXT) | instid1(VALU_DEP_2)
	v_xor_b32_e32 v13, v3, v4
	v_xor_b32_e32 v12, v7, v4
	s_delay_alu instid0(VALU_DEP_1) | instskip(NEXT) | instid1(VALU_DEP_1)
	v_sub_nc_u64_e32 v[4:5], v[12:13], v[4:5]
	v_dual_cndmask_b32 v5, 0, v5 :: v_dual_cndmask_b32 v4, 0, v4
	s_branch .LBB127_56
.LBB127_53:
	s_mov_b32 s44, -1
	s_mov_b32 s29, 0
	s_branch .LBB127_161
.LBB127_54:
	s_mov_b32 s44, -1
	s_mov_b32 s30, 0
	s_mov_b32 s31, 0
                                        ; implicit-def: $vgpr10_vgpr11
	s_branch .LBB127_280
.LBB127_55:
	s_mov_b32 s28, -1
                                        ; implicit-def: $vgpr4_vgpr5
.LBB127_56:
	s_mov_b32 s31, 0
.LBB127_57:
	s_delay_alu instid0(SALU_CYCLE_1)
	s_and_b32 vcc_lo, exec_lo, s31
	s_cbranch_vccz .LBB127_61
; %bb.58:
	s_cmp_eq_u32 s29, 29
	s_cbranch_scc0 .LBB127_60
; %bb.59:
	global_load_b64 v[4:5], v[10:11], off
	s_mov_b32 s30, -1
	s_mov_b32 s28, 0
	s_branch .LBB127_61
.LBB127_60:
	s_mov_b32 s28, -1
                                        ; implicit-def: $vgpr4_vgpr5
.LBB127_61:
	s_mov_b32 s31, 0
.LBB127_62:
	s_delay_alu instid0(SALU_CYCLE_1)
	s_and_b32 vcc_lo, exec_lo, s31
	s_cbranch_vccz .LBB127_78
; %bb.63:
	s_cmp_lt_i32 s29, 27
	s_cbranch_scc1 .LBB127_66
; %bb.64:
	s_cmp_gt_i32 s29, 27
	s_cbranch_scc0 .LBB127_67
; %bb.65:
	s_wait_loadcnt 0x0
	global_load_b32 v4, v[10:11], off
	v_mov_b32_e32 v5, 0
	s_mov_b32 s30, 0
	s_branch .LBB127_68
.LBB127_66:
	s_mov_b32 s30, -1
                                        ; implicit-def: $vgpr4_vgpr5
	s_branch .LBB127_71
.LBB127_67:
	s_mov_b32 s30, -1
                                        ; implicit-def: $vgpr4_vgpr5
.LBB127_68:
	s_delay_alu instid0(SALU_CYCLE_1)
	s_and_not1_b32 vcc_lo, exec_lo, s30
	s_cbranch_vccnz .LBB127_70
; %bb.69:
	global_load_u16 v1, v[10:11], off
	s_mov_b32 s30, 0
	s_wait_loadcnt 0x1
	v_mov_b32_e32 v5, s30
	s_wait_loadcnt 0x0
	v_and_b32_e32 v4, 0xffff, v1
.LBB127_70:
	s_mov_b32 s30, 0
.LBB127_71:
	s_delay_alu instid0(SALU_CYCLE_1)
	s_and_not1_b32 vcc_lo, exec_lo, s30
	s_cbranch_vccnz .LBB127_77
; %bb.72:
	global_load_u8 v1, v[10:11], off
	s_mov_b32 s31, 0
	s_mov_b32 s30, exec_lo
	s_wait_loadcnt 0x0
	v_cmpx_lt_i16_e32 0x7f, v1
	s_xor_b32 s30, exec_lo, s30
	s_cbranch_execz .LBB127_88
; %bb.73:
	v_cmp_ne_u16_e32 vcc_lo, 0x80, v1
	s_and_b32 s31, vcc_lo, exec_lo
	s_and_not1_saveexec_b32 s30, s30
	s_cbranch_execnz .LBB127_89
.LBB127_74:
	s_or_b32 exec_lo, exec_lo, s30
	v_mov_b64_e32 v[4:5], 0
	s_and_saveexec_b32 s30, s31
	s_cbranch_execz .LBB127_76
.LBB127_75:
	v_and_b32_e32 v3, 0xffff, v1
	s_delay_alu instid0(VALU_DEP_1) | instskip(SKIP_1) | instid1(VALU_DEP_2)
	v_and_b32_e32 v4, 7, v3
	v_bfe_u32 v9, v3, 3, 4
	v_clz_i32_u32_e32 v5, v4
	s_delay_alu instid0(VALU_DEP_2) | instskip(NEXT) | instid1(VALU_DEP_2)
	v_cmp_eq_u32_e32 vcc_lo, 0, v9
	v_min_u32_e32 v5, 32, v5
	s_delay_alu instid0(VALU_DEP_1) | instskip(NEXT) | instid1(VALU_DEP_1)
	v_subrev_nc_u32_e32 v7, 28, v5
	v_dual_lshlrev_b32 v3, v7, v3 :: v_dual_sub_nc_u32 v5, 29, v5
	s_delay_alu instid0(VALU_DEP_1) | instskip(NEXT) | instid1(VALU_DEP_1)
	v_dual_lshlrev_b32 v1, 24, v1 :: v_dual_bitop2_b32 v3, 7, v3 bitop3:0x40
	v_dual_cndmask_b32 v3, v4, v3, vcc_lo :: v_dual_cndmask_b32 v5, v9, v5, vcc_lo
	s_delay_alu instid0(VALU_DEP_2) | instskip(NEXT) | instid1(VALU_DEP_2)
	v_and_b32_e32 v1, 0x80000000, v1
	v_lshlrev_b32_e32 v3, 20, v3
	s_delay_alu instid0(VALU_DEP_3) | instskip(NEXT) | instid1(VALU_DEP_1)
	v_lshl_add_u32 v4, v5, 23, 0x3b800000
	v_or3_b32 v1, v1, v4, v3
	s_delay_alu instid0(VALU_DEP_1) | instskip(NEXT) | instid1(VALU_DEP_1)
	v_trunc_f32_e32 v1, v1
	v_mul_f32_e64 v3, 0x2f800000, |v1|
	v_ashrrev_i32_e32 v4, 31, v1
	s_delay_alu instid0(VALU_DEP_2) | instskip(NEXT) | instid1(VALU_DEP_1)
	v_floor_f32_e32 v3, v3
	v_fma_f32 v5, 0xcf800000, v3, |v1|
	v_cvt_u32_f32_e32 v1, v3
	s_delay_alu instid0(VALU_DEP_2) | instskip(NEXT) | instid1(VALU_DEP_2)
	v_cvt_u32_f32_e32 v3, v5
	v_dual_mov_b32 v5, v4 :: v_dual_bitop2_b32 v13, v1, v4 bitop3:0x14
	s_delay_alu instid0(VALU_DEP_2) | instskip(NEXT) | instid1(VALU_DEP_1)
	v_xor_b32_e32 v12, v3, v4
	v_sub_nc_u64_e32 v[4:5], v[12:13], v[4:5]
.LBB127_76:
	s_or_b32 exec_lo, exec_lo, s30
.LBB127_77:
	s_mov_b32 s30, -1
.LBB127_78:
	s_branch .LBB127_111
.LBB127_79:
	s_cmp_gt_i32 s29, 22
	s_cbranch_scc0 .LBB127_87
; %bb.80:
	s_cmp_lt_i32 s29, 24
	s_cbranch_scc1 .LBB127_90
; %bb.81:
	s_cmp_gt_i32 s29, 24
	s_cbranch_scc0 .LBB127_91
; %bb.82:
	global_load_u8 v1, v[10:11], off
	s_mov_b32 s31, 0
	s_mov_b32 s30, exec_lo
	s_wait_loadcnt 0x0
	v_cmpx_lt_i16_e32 0x7f, v1
	s_xor_b32 s30, exec_lo, s30
	s_cbranch_execz .LBB127_103
; %bb.83:
	v_cmp_ne_u16_e32 vcc_lo, 0x80, v1
	s_and_b32 s31, vcc_lo, exec_lo
	s_and_not1_saveexec_b32 s30, s30
	s_cbranch_execnz .LBB127_104
.LBB127_84:
	s_or_b32 exec_lo, exec_lo, s30
	v_mov_b64_e32 v[4:5], 0
	s_and_saveexec_b32 s30, s31
	s_cbranch_execz .LBB127_86
.LBB127_85:
	v_and_b32_e32 v3, 0xffff, v1
	s_delay_alu instid0(VALU_DEP_1) | instskip(SKIP_1) | instid1(VALU_DEP_2)
	v_and_b32_e32 v4, 3, v3
	v_bfe_u32 v9, v3, 2, 5
	v_clz_i32_u32_e32 v5, v4
	s_delay_alu instid0(VALU_DEP_2) | instskip(NEXT) | instid1(VALU_DEP_2)
	v_cmp_eq_u32_e32 vcc_lo, 0, v9
	v_min_u32_e32 v5, 32, v5
	s_delay_alu instid0(VALU_DEP_1) | instskip(NEXT) | instid1(VALU_DEP_1)
	v_subrev_nc_u32_e32 v7, 29, v5
	v_dual_lshlrev_b32 v3, v7, v3 :: v_dual_sub_nc_u32 v5, 30, v5
	s_delay_alu instid0(VALU_DEP_1) | instskip(NEXT) | instid1(VALU_DEP_1)
	v_dual_lshlrev_b32 v1, 24, v1 :: v_dual_bitop2_b32 v3, 3, v3 bitop3:0x40
	v_dual_cndmask_b32 v3, v4, v3, vcc_lo :: v_dual_cndmask_b32 v5, v9, v5, vcc_lo
	s_delay_alu instid0(VALU_DEP_2) | instskip(NEXT) | instid1(VALU_DEP_2)
	v_and_b32_e32 v1, 0x80000000, v1
	v_lshlrev_b32_e32 v3, 21, v3
	s_delay_alu instid0(VALU_DEP_3) | instskip(NEXT) | instid1(VALU_DEP_1)
	v_lshl_add_u32 v4, v5, 23, 0x37800000
	v_or3_b32 v1, v1, v4, v3
	s_delay_alu instid0(VALU_DEP_1) | instskip(NEXT) | instid1(VALU_DEP_1)
	v_trunc_f32_e32 v1, v1
	v_mul_f32_e64 v3, 0x2f800000, |v1|
	v_ashrrev_i32_e32 v4, 31, v1
	s_delay_alu instid0(VALU_DEP_2) | instskip(NEXT) | instid1(VALU_DEP_1)
	v_floor_f32_e32 v3, v3
	v_fma_f32 v5, 0xcf800000, v3, |v1|
	v_cvt_u32_f32_e32 v1, v3
	s_delay_alu instid0(VALU_DEP_2) | instskip(NEXT) | instid1(VALU_DEP_2)
	v_cvt_u32_f32_e32 v3, v5
	v_dual_mov_b32 v5, v4 :: v_dual_bitop2_b32 v13, v1, v4 bitop3:0x14
	s_delay_alu instid0(VALU_DEP_2) | instskip(NEXT) | instid1(VALU_DEP_1)
	v_xor_b32_e32 v12, v3, v4
	v_sub_nc_u64_e32 v[4:5], v[12:13], v[4:5]
.LBB127_86:
	s_or_b32 exec_lo, exec_lo, s30
	s_mov_b32 s30, 0
	s_branch .LBB127_92
.LBB127_87:
	s_mov_b32 s31, -1
                                        ; implicit-def: $vgpr4_vgpr5
	s_branch .LBB127_98
.LBB127_88:
	s_and_not1_saveexec_b32 s30, s30
	s_cbranch_execz .LBB127_74
.LBB127_89:
	v_cmp_ne_u16_e32 vcc_lo, 0, v1
	s_and_not1_b32 s31, s31, exec_lo
	s_and_b32 s44, vcc_lo, exec_lo
	s_delay_alu instid0(SALU_CYCLE_1)
	s_or_b32 s31, s31, s44
	s_or_b32 exec_lo, exec_lo, s30
	v_mov_b64_e32 v[4:5], 0
	s_and_saveexec_b32 s30, s31
	s_cbranch_execnz .LBB127_75
	s_branch .LBB127_76
.LBB127_90:
	s_mov_b32 s30, -1
                                        ; implicit-def: $vgpr4_vgpr5
	s_branch .LBB127_95
.LBB127_91:
	s_mov_b32 s30, -1
                                        ; implicit-def: $vgpr4_vgpr5
.LBB127_92:
	s_delay_alu instid0(SALU_CYCLE_1)
	s_and_b32 vcc_lo, exec_lo, s30
	s_cbranch_vccz .LBB127_94
; %bb.93:
	global_load_u8 v1, v[10:11], off
	s_wait_loadcnt 0x0
	v_lshlrev_b32_e32 v1, 24, v1
	s_delay_alu instid0(VALU_DEP_1) | instskip(NEXT) | instid1(VALU_DEP_1)
	v_and_b32_e32 v3, 0x7f000000, v1
	v_clz_i32_u32_e32 v4, v3
	v_add_nc_u32_e32 v7, 0x1000000, v3
	v_cmp_ne_u32_e32 vcc_lo, 0, v3
	s_delay_alu instid0(VALU_DEP_3) | instskip(NEXT) | instid1(VALU_DEP_1)
	v_min_u32_e32 v4, 32, v4
	v_sub_nc_u32_e64 v4, v4, 4 clamp
	s_delay_alu instid0(VALU_DEP_1) | instskip(NEXT) | instid1(VALU_DEP_1)
	v_dual_lshlrev_b32 v5, v4, v3 :: v_dual_lshlrev_b32 v4, 23, v4
	v_lshrrev_b32_e32 v5, 4, v5
	s_delay_alu instid0(VALU_DEP_1) | instskip(NEXT) | instid1(VALU_DEP_1)
	v_dual_sub_nc_u32 v4, v5, v4 :: v_dual_ashrrev_i32 v5, 8, v7
	v_add_nc_u32_e32 v4, 0x3c000000, v4
	s_delay_alu instid0(VALU_DEP_1) | instskip(NEXT) | instid1(VALU_DEP_1)
	v_and_or_b32 v4, 0x7f800000, v5, v4
	v_cndmask_b32_e32 v3, 0, v4, vcc_lo
	s_delay_alu instid0(VALU_DEP_1) | instskip(NEXT) | instid1(VALU_DEP_1)
	v_and_or_b32 v1, 0x80000000, v1, v3
	v_trunc_f32_e32 v1, v1
	s_delay_alu instid0(VALU_DEP_1) | instskip(SKIP_1) | instid1(VALU_DEP_2)
	v_mul_f32_e64 v3, 0x2f800000, |v1|
	v_ashrrev_i32_e32 v4, 31, v1
	v_floor_f32_e32 v3, v3
	s_delay_alu instid0(VALU_DEP_1) | instskip(SKIP_1) | instid1(VALU_DEP_2)
	v_fma_f32 v5, 0xcf800000, v3, |v1|
	v_cvt_u32_f32_e32 v1, v3
	v_cvt_u32_f32_e32 v3, v5
	s_delay_alu instid0(VALU_DEP_2) | instskip(NEXT) | instid1(VALU_DEP_2)
	v_dual_mov_b32 v5, v4 :: v_dual_bitop2_b32 v13, v1, v4 bitop3:0x14
	v_xor_b32_e32 v12, v3, v4
	s_delay_alu instid0(VALU_DEP_1)
	v_sub_nc_u64_e32 v[4:5], v[12:13], v[4:5]
.LBB127_94:
	s_mov_b32 s30, 0
.LBB127_95:
	s_delay_alu instid0(SALU_CYCLE_1)
	s_and_not1_b32 vcc_lo, exec_lo, s30
	s_cbranch_vccnz .LBB127_97
; %bb.96:
	global_load_u8 v1, v[10:11], off
	s_wait_loadcnt 0x0
	v_lshlrev_b32_e32 v3, 25, v1
	v_lshlrev_b16 v1, 8, v1
	s_delay_alu instid0(VALU_DEP_1) | instskip(NEXT) | instid1(VALU_DEP_3)
	v_and_or_b32 v5, 0x7f00, v1, 0.5
	v_lshrrev_b32_e32 v4, 4, v3
	v_bfe_i32 v1, v1, 0, 16
	s_delay_alu instid0(VALU_DEP_3) | instskip(NEXT) | instid1(VALU_DEP_3)
	v_add_f32_e32 v5, -0.5, v5
	v_or_b32_e32 v4, 0x70000000, v4
	s_delay_alu instid0(VALU_DEP_1) | instskip(SKIP_1) | instid1(VALU_DEP_2)
	v_mul_f32_e32 v4, 0x7800000, v4
	v_cmp_gt_u32_e32 vcc_lo, 0x8000000, v3
	v_cndmask_b32_e32 v3, v4, v5, vcc_lo
	s_delay_alu instid0(VALU_DEP_1) | instskip(NEXT) | instid1(VALU_DEP_1)
	v_and_or_b32 v1, 0x80000000, v1, v3
	v_trunc_f32_e32 v1, v1
	s_delay_alu instid0(VALU_DEP_1) | instskip(SKIP_1) | instid1(VALU_DEP_2)
	v_mul_f32_e64 v3, 0x2f800000, |v1|
	v_ashrrev_i32_e32 v4, 31, v1
	v_floor_f32_e32 v3, v3
	s_delay_alu instid0(VALU_DEP_1) | instskip(SKIP_1) | instid1(VALU_DEP_2)
	v_fma_f32 v5, 0xcf800000, v3, |v1|
	v_cvt_u32_f32_e32 v1, v3
	v_cvt_u32_f32_e32 v3, v5
	s_delay_alu instid0(VALU_DEP_2) | instskip(NEXT) | instid1(VALU_DEP_2)
	v_dual_mov_b32 v5, v4 :: v_dual_bitop2_b32 v13, v1, v4 bitop3:0x14
	v_xor_b32_e32 v12, v3, v4
	s_delay_alu instid0(VALU_DEP_1)
	v_sub_nc_u64_e32 v[4:5], v[12:13], v[4:5]
.LBB127_97:
	s_mov_b32 s31, 0
	s_mov_b32 s30, -1
.LBB127_98:
	s_and_not1_b32 vcc_lo, exec_lo, s31
	s_cbranch_vccnz .LBB127_111
; %bb.99:
	s_cmp_gt_i32 s29, 14
	s_cbranch_scc0 .LBB127_102
; %bb.100:
	s_cmp_eq_u32 s29, 15
	s_cbranch_scc0 .LBB127_105
; %bb.101:
	global_load_u16 v1, v[10:11], off
	s_mov_b32 s30, -1
	s_mov_b32 s28, 0
	s_wait_loadcnt 0x0
	v_lshlrev_b32_e32 v1, 16, v1
	s_delay_alu instid0(VALU_DEP_1) | instskip(NEXT) | instid1(VALU_DEP_1)
	v_trunc_f32_e32 v1, v1
	v_mul_f32_e64 v3, 0x2f800000, |v1|
	v_ashrrev_i32_e32 v4, 31, v1
	s_delay_alu instid0(VALU_DEP_2) | instskip(NEXT) | instid1(VALU_DEP_1)
	v_floor_f32_e32 v3, v3
	v_fma_f32 v5, 0xcf800000, v3, |v1|
	v_cvt_u32_f32_e32 v1, v3
	s_delay_alu instid0(VALU_DEP_2) | instskip(NEXT) | instid1(VALU_DEP_2)
	v_cvt_u32_f32_e32 v3, v5
	v_dual_mov_b32 v5, v4 :: v_dual_bitop2_b32 v13, v1, v4 bitop3:0x14
	s_delay_alu instid0(VALU_DEP_2) | instskip(NEXT) | instid1(VALU_DEP_1)
	v_xor_b32_e32 v12, v3, v4
	v_sub_nc_u64_e32 v[4:5], v[12:13], v[4:5]
	s_branch .LBB127_106
.LBB127_102:
	s_mov_b32 s31, -1
                                        ; implicit-def: $vgpr4_vgpr5
	s_branch .LBB127_107
.LBB127_103:
	s_and_not1_saveexec_b32 s30, s30
	s_cbranch_execz .LBB127_84
.LBB127_104:
	v_cmp_ne_u16_e32 vcc_lo, 0, v1
	s_and_not1_b32 s31, s31, exec_lo
	s_and_b32 s44, vcc_lo, exec_lo
	s_delay_alu instid0(SALU_CYCLE_1)
	s_or_b32 s31, s31, s44
	s_or_b32 exec_lo, exec_lo, s30
	v_mov_b64_e32 v[4:5], 0
	s_and_saveexec_b32 s30, s31
	s_cbranch_execnz .LBB127_85
	s_branch .LBB127_86
.LBB127_105:
	s_mov_b32 s28, -1
                                        ; implicit-def: $vgpr4_vgpr5
.LBB127_106:
	s_mov_b32 s31, 0
.LBB127_107:
	s_delay_alu instid0(SALU_CYCLE_1)
	s_and_b32 vcc_lo, exec_lo, s31
	s_cbranch_vccz .LBB127_111
; %bb.108:
	s_cmp_eq_u32 s29, 11
	s_cbranch_scc0 .LBB127_110
; %bb.109:
	global_load_u8 v1, v[10:11], off
	s_mov_b32 s28, 0
	s_mov_b32 s30, -1
	s_wait_loadcnt 0x1
	v_mov_b32_e32 v5, s28
	s_wait_loadcnt 0x0
	v_cmp_ne_u16_e32 vcc_lo, 0, v1
	v_cndmask_b32_e64 v4, 0, 1, vcc_lo
	s_branch .LBB127_111
.LBB127_110:
	s_mov_b32 s28, -1
                                        ; implicit-def: $vgpr4_vgpr5
.LBB127_111:
	s_branch .LBB127_21
.LBB127_112:
	s_and_b32 s0, 0xffff, s0
	s_delay_alu instid0(SALU_CYCLE_1)
	s_cmp_lt_i32 s0, 5
	s_cbranch_scc1 .LBB127_117
; %bb.113:
	s_cmp_lt_i32 s0, 8
	s_cbranch_scc1 .LBB127_118
; %bb.114:
	;; [unrolled: 3-line block ×3, first 2 shown]
	s_cmp_gt_i32 s0, 9
	s_cbranch_scc0 .LBB127_120
; %bb.116:
	s_wait_loadcnt 0x0
	global_load_b64 v[4:5], v[10:11], off
	s_mov_b32 s29, 0
	s_wait_loadcnt 0x0
	v_trunc_f64_e32 v[4:5], v[4:5]
	s_delay_alu instid0(VALU_DEP_1) | instskip(NEXT) | instid1(VALU_DEP_1)
	v_ldexp_f64 v[12:13], v[4:5], 0xffffffe0
	v_floor_f64_e32 v[12:13], v[12:13]
	s_delay_alu instid0(VALU_DEP_1) | instskip(SKIP_1) | instid1(VALU_DEP_2)
	v_fmamk_f64 v[14:15], v[12:13], 0xc1f00000, v[4:5]
	v_cvt_i32_f64_e32 v5, v[12:13]
	v_cvt_u32_f64_e32 v4, v[14:15]
	s_branch .LBB127_121
.LBB127_117:
                                        ; implicit-def: $vgpr4_vgpr5
	s_branch .LBB127_139
.LBB127_118:
	s_mov_b32 s29, -1
                                        ; implicit-def: $vgpr4_vgpr5
	s_branch .LBB127_127
.LBB127_119:
	s_mov_b32 s29, -1
                                        ; implicit-def: $vgpr4_vgpr5
	s_branch .LBB127_124
.LBB127_120:
	s_mov_b32 s29, -1
                                        ; implicit-def: $vgpr4_vgpr5
.LBB127_121:
	s_delay_alu instid0(SALU_CYCLE_1)
	s_and_not1_b32 vcc_lo, exec_lo, s29
	s_cbranch_vccnz .LBB127_123
; %bb.122:
	global_load_b32 v1, v[10:11], off
	s_wait_loadcnt 0x0
	v_trunc_f32_e32 v1, v1
	s_delay_alu instid0(VALU_DEP_1) | instskip(SKIP_1) | instid1(VALU_DEP_2)
	v_mul_f32_e64 v3, 0x2f800000, |v1|
	v_ashrrev_i32_e32 v4, 31, v1
	v_floor_f32_e32 v3, v3
	s_delay_alu instid0(VALU_DEP_1) | instskip(SKIP_1) | instid1(VALU_DEP_2)
	v_fma_f32 v5, 0xcf800000, v3, |v1|
	v_cvt_u32_f32_e32 v1, v3
	v_cvt_u32_f32_e32 v3, v5
	s_delay_alu instid0(VALU_DEP_2) | instskip(NEXT) | instid1(VALU_DEP_2)
	v_dual_mov_b32 v5, v4 :: v_dual_bitop2_b32 v13, v1, v4 bitop3:0x14
	v_xor_b32_e32 v12, v3, v4
	s_delay_alu instid0(VALU_DEP_1)
	v_sub_nc_u64_e32 v[4:5], v[12:13], v[4:5]
.LBB127_123:
	s_mov_b32 s29, 0
.LBB127_124:
	s_delay_alu instid0(SALU_CYCLE_1)
	s_and_not1_b32 vcc_lo, exec_lo, s29
	s_cbranch_vccnz .LBB127_126
; %bb.125:
	global_load_b32 v1, v[10:11], off
	s_wait_loadcnt 0x0
	v_cvt_f32_f16_e32 v1, v1
	s_delay_alu instid0(VALU_DEP_1) | instskip(NEXT) | instid1(VALU_DEP_1)
	v_cvt_i32_f32_e32 v4, v1
	v_ashrrev_i32_e32 v5, 31, v4
.LBB127_126:
	s_mov_b32 s29, 0
.LBB127_127:
	s_delay_alu instid0(SALU_CYCLE_1)
	s_and_not1_b32 vcc_lo, exec_lo, s29
	s_cbranch_vccnz .LBB127_138
; %bb.128:
	s_cmp_lt_i32 s0, 6
	s_cbranch_scc1 .LBB127_131
; %bb.129:
	s_cmp_gt_i32 s0, 6
	s_cbranch_scc0 .LBB127_132
; %bb.130:
	s_wait_loadcnt 0x0
	global_load_b64 v[4:5], v[10:11], off
	s_mov_b32 s29, 0
	s_wait_loadcnt 0x0
	v_trunc_f64_e32 v[4:5], v[4:5]
	s_delay_alu instid0(VALU_DEP_1) | instskip(NEXT) | instid1(VALU_DEP_1)
	v_ldexp_f64 v[12:13], v[4:5], 0xffffffe0
	v_floor_f64_e32 v[12:13], v[12:13]
	s_delay_alu instid0(VALU_DEP_1) | instskip(SKIP_1) | instid1(VALU_DEP_2)
	v_fmamk_f64 v[14:15], v[12:13], 0xc1f00000, v[4:5]
	v_cvt_i32_f64_e32 v5, v[12:13]
	v_cvt_u32_f64_e32 v4, v[14:15]
	s_branch .LBB127_133
.LBB127_131:
	s_mov_b32 s29, -1
                                        ; implicit-def: $vgpr4_vgpr5
	s_branch .LBB127_136
.LBB127_132:
	s_mov_b32 s29, -1
                                        ; implicit-def: $vgpr4_vgpr5
.LBB127_133:
	s_delay_alu instid0(SALU_CYCLE_1)
	s_and_not1_b32 vcc_lo, exec_lo, s29
	s_cbranch_vccnz .LBB127_135
; %bb.134:
	global_load_b32 v1, v[10:11], off
	s_wait_loadcnt 0x0
	v_trunc_f32_e32 v1, v1
	s_delay_alu instid0(VALU_DEP_1) | instskip(SKIP_1) | instid1(VALU_DEP_2)
	v_mul_f32_e64 v3, 0x2f800000, |v1|
	v_ashrrev_i32_e32 v4, 31, v1
	v_floor_f32_e32 v3, v3
	s_delay_alu instid0(VALU_DEP_1) | instskip(SKIP_1) | instid1(VALU_DEP_2)
	v_fma_f32 v5, 0xcf800000, v3, |v1|
	v_cvt_u32_f32_e32 v1, v3
	v_cvt_u32_f32_e32 v3, v5
	s_delay_alu instid0(VALU_DEP_2) | instskip(NEXT) | instid1(VALU_DEP_2)
	v_dual_mov_b32 v5, v4 :: v_dual_bitop2_b32 v13, v1, v4 bitop3:0x14
	v_xor_b32_e32 v12, v3, v4
	s_delay_alu instid0(VALU_DEP_1)
	v_sub_nc_u64_e32 v[4:5], v[12:13], v[4:5]
.LBB127_135:
	s_mov_b32 s29, 0
.LBB127_136:
	s_delay_alu instid0(SALU_CYCLE_1)
	s_and_not1_b32 vcc_lo, exec_lo, s29
	s_cbranch_vccnz .LBB127_138
; %bb.137:
	global_load_u16 v1, v[10:11], off
	s_wait_loadcnt 0x0
	v_cvt_f32_f16_e32 v1, v1
	s_delay_alu instid0(VALU_DEP_1) | instskip(NEXT) | instid1(VALU_DEP_1)
	v_cvt_i32_f32_e32 v4, v1
	v_ashrrev_i32_e32 v5, 31, v4
.LBB127_138:
	s_cbranch_execnz .LBB127_158
.LBB127_139:
	s_cmp_lt_i32 s0, 2
	s_cbranch_scc1 .LBB127_143
; %bb.140:
	s_cmp_lt_i32 s0, 3
	s_cbranch_scc1 .LBB127_144
; %bb.141:
	s_cmp_gt_i32 s0, 3
	s_cbranch_scc0 .LBB127_145
; %bb.142:
	s_wait_loadcnt 0x0
	global_load_b64 v[4:5], v[10:11], off
	s_mov_b32 s29, 0
	s_branch .LBB127_146
.LBB127_143:
	s_mov_b32 s29, -1
                                        ; implicit-def: $vgpr4_vgpr5
	s_branch .LBB127_152
.LBB127_144:
	s_mov_b32 s29, -1
                                        ; implicit-def: $vgpr4_vgpr5
	s_branch .LBB127_149
.LBB127_145:
	s_mov_b32 s29, -1
                                        ; implicit-def: $vgpr4_vgpr5
.LBB127_146:
	s_delay_alu instid0(SALU_CYCLE_1)
	s_and_not1_b32 vcc_lo, exec_lo, s29
	s_cbranch_vccnz .LBB127_148
; %bb.147:
	s_wait_loadcnt 0x0
	global_load_b32 v4, v[10:11], off
	s_wait_loadcnt 0x0
	v_ashrrev_i32_e32 v5, 31, v4
.LBB127_148:
	s_mov_b32 s29, 0
.LBB127_149:
	s_delay_alu instid0(SALU_CYCLE_1)
	s_and_not1_b32 vcc_lo, exec_lo, s29
	s_cbranch_vccnz .LBB127_151
; %bb.150:
	global_load_u16 v1, v[10:11], off
	s_wait_loadcnt 0x0
	v_bfe_i32 v4, v1, 0, 16
	s_delay_alu instid0(VALU_DEP_1)
	v_ashrrev_i32_e32 v5, 31, v4
.LBB127_151:
	s_mov_b32 s29, 0
.LBB127_152:
	s_delay_alu instid0(SALU_CYCLE_1)
	s_and_not1_b32 vcc_lo, exec_lo, s29
	s_cbranch_vccnz .LBB127_158
; %bb.153:
	s_cmp_gt_i32 s0, 0
	s_mov_b32 s0, 0
	s_cbranch_scc0 .LBB127_155
; %bb.154:
	global_load_i8 v1, v[10:11], off
	s_wait_loadcnt 0x0
	v_bfe_i32 v4, v1, 0, 16
	s_delay_alu instid0(VALU_DEP_1)
	v_ashrrev_i32_e32 v5, 31, v4
	s_branch .LBB127_156
.LBB127_155:
	s_mov_b32 s0, -1
                                        ; implicit-def: $vgpr4_vgpr5
.LBB127_156:
	s_delay_alu instid0(SALU_CYCLE_1)
	s_and_not1_b32 vcc_lo, exec_lo, s0
	s_cbranch_vccnz .LBB127_158
; %bb.157:
	global_load_u8 v1, v[10:11], off
	s_mov_b32 s0, 0
	s_wait_loadcnt 0x1
	v_mov_b32_e32 v5, s0
	s_wait_loadcnt 0x0
	v_and_b32_e32 v4, 0xffff, v1
.LBB127_158:
	s_branch .LBB127_22
.LBB127_159:
	s_mov_b32 s0, 0
	s_mov_b32 s30, 0
	s_mov_b32 s29, 0
	s_branch .LBB127_509
.LBB127_160:
	s_mov_b32 s29, -1
.LBB127_161:
	s_mov_b32 s31, 0
                                        ; implicit-def: $vgpr8_vgpr9
.LBB127_162:
	s_and_b32 vcc_lo, exec_lo, s44
	s_cbranch_vccz .LBB127_167
; %bb.163:
	s_cmp_eq_u32 s30, 44
	s_cbranch_scc0 .LBB127_166
; %bb.164:
	global_load_u8 v1, v[10:11], off
	s_mov_b32 s29, 0
	s_mov_b32 s31, -1
	s_wait_loadcnt 0x0
	v_lshlrev_b32_e32 v3, 23, v1
	v_cmp_ne_u32_e32 vcc_lo, 0, v1
	s_delay_alu instid0(VALU_DEP_2) | instskip(NEXT) | instid1(VALU_DEP_1)
	v_trunc_f32_e32 v3, v3
	v_mul_f32_e64 v7, 0x2f800000, |v3|
	v_ashrrev_i32_e32 v8, 31, v3
	s_delay_alu instid0(VALU_DEP_2) | instskip(NEXT) | instid1(VALU_DEP_1)
	v_floor_f32_e32 v7, v7
	v_fma_f32 v9, 0xcf800000, v7, |v3|
	v_cvt_u32_f32_e32 v3, v7
	s_delay_alu instid0(VALU_DEP_2) | instskip(NEXT) | instid1(VALU_DEP_2)
	v_cvt_u32_f32_e32 v7, v9
	v_dual_mov_b32 v9, v8 :: v_dual_bitop2_b32 v13, v3, v8 bitop3:0x14
	s_delay_alu instid0(VALU_DEP_2) | instskip(NEXT) | instid1(VALU_DEP_1)
	v_xor_b32_e32 v12, v7, v8
	v_sub_nc_u64_e32 v[8:9], v[12:13], v[8:9]
	s_delay_alu instid0(VALU_DEP_1)
	v_dual_cndmask_b32 v9, 0, v9 :: v_dual_cndmask_b32 v8, 0, v8
	s_branch .LBB127_167
.LBB127_165:
	s_mov_b32 s44, -1
	s_mov_b32 s30, 0
	s_branch .LBB127_274
.LBB127_166:
	s_mov_b32 s29, -1
                                        ; implicit-def: $vgpr8_vgpr9
.LBB127_167:
	s_mov_b32 s44, 0
.LBB127_168:
	s_delay_alu instid0(SALU_CYCLE_1)
	s_and_b32 vcc_lo, exec_lo, s44
	s_cbranch_vccz .LBB127_172
; %bb.169:
	s_cmp_eq_u32 s30, 29
	s_cbranch_scc0 .LBB127_171
; %bb.170:
	global_load_b64 v[8:9], v[10:11], off
	s_mov_b32 s31, -1
	s_mov_b32 s29, 0
	s_branch .LBB127_172
.LBB127_171:
	s_mov_b32 s29, -1
                                        ; implicit-def: $vgpr8_vgpr9
.LBB127_172:
	s_mov_b32 s44, 0
.LBB127_173:
	s_delay_alu instid0(SALU_CYCLE_1)
	s_and_b32 vcc_lo, exec_lo, s44
	s_cbranch_vccz .LBB127_189
; %bb.174:
	s_cmp_lt_i32 s30, 27
	s_cbranch_scc1 .LBB127_177
; %bb.175:
	s_cmp_gt_i32 s30, 27
	s_cbranch_scc0 .LBB127_178
; %bb.176:
	s_wait_loadcnt 0x0
	global_load_b32 v8, v[10:11], off
	v_mov_b32_e32 v9, 0
	s_mov_b32 s31, 0
	s_branch .LBB127_179
.LBB127_177:
	s_mov_b32 s31, -1
                                        ; implicit-def: $vgpr8_vgpr9
	s_branch .LBB127_182
.LBB127_178:
	s_mov_b32 s31, -1
                                        ; implicit-def: $vgpr8_vgpr9
.LBB127_179:
	s_delay_alu instid0(SALU_CYCLE_1)
	s_and_not1_b32 vcc_lo, exec_lo, s31
	s_cbranch_vccnz .LBB127_181
; %bb.180:
	global_load_u16 v1, v[10:11], off
	s_mov_b32 s31, 0
	s_wait_loadcnt 0x1
	v_mov_b32_e32 v9, s31
	s_wait_loadcnt 0x0
	v_and_b32_e32 v8, 0xffff, v1
.LBB127_181:
	s_mov_b32 s31, 0
.LBB127_182:
	s_delay_alu instid0(SALU_CYCLE_1)
	s_and_not1_b32 vcc_lo, exec_lo, s31
	s_cbranch_vccnz .LBB127_188
; %bb.183:
	global_load_u8 v1, v[10:11], off
	s_mov_b32 s44, 0
	s_mov_b32 s31, exec_lo
	s_wait_loadcnt 0x0
	v_cmpx_lt_i16_e32 0x7f, v1
	s_xor_b32 s31, exec_lo, s31
	s_cbranch_execz .LBB127_200
; %bb.184:
	v_cmp_ne_u16_e32 vcc_lo, 0x80, v1
	s_and_b32 s44, vcc_lo, exec_lo
	s_and_not1_saveexec_b32 s31, s31
	s_cbranch_execnz .LBB127_201
.LBB127_185:
	s_or_b32 exec_lo, exec_lo, s31
	v_mov_b64_e32 v[8:9], 0
	s_and_saveexec_b32 s31, s44
	s_cbranch_execz .LBB127_187
.LBB127_186:
	v_and_b32_e32 v3, 0xffff, v1
	s_delay_alu instid0(VALU_DEP_1) | instskip(SKIP_1) | instid1(VALU_DEP_2)
	v_and_b32_e32 v7, 7, v3
	v_bfe_u32 v12, v3, 3, 4
	v_clz_i32_u32_e32 v8, v7
	s_delay_alu instid0(VALU_DEP_2) | instskip(NEXT) | instid1(VALU_DEP_2)
	v_cmp_eq_u32_e32 vcc_lo, 0, v12
	v_min_u32_e32 v8, 32, v8
	s_delay_alu instid0(VALU_DEP_1) | instskip(NEXT) | instid1(VALU_DEP_1)
	v_subrev_nc_u32_e32 v9, 28, v8
	v_dual_lshlrev_b32 v3, v9, v3 :: v_dual_sub_nc_u32 v8, 29, v8
	s_delay_alu instid0(VALU_DEP_1) | instskip(NEXT) | instid1(VALU_DEP_1)
	v_dual_lshlrev_b32 v1, 24, v1 :: v_dual_bitop2_b32 v3, 7, v3 bitop3:0x40
	v_dual_cndmask_b32 v8, v12, v8 :: v_dual_cndmask_b32 v3, v7, v3
	s_delay_alu instid0(VALU_DEP_2) | instskip(NEXT) | instid1(VALU_DEP_2)
	v_and_b32_e32 v1, 0x80000000, v1
	v_lshl_add_u32 v7, v8, 23, 0x3b800000
	s_delay_alu instid0(VALU_DEP_3) | instskip(NEXT) | instid1(VALU_DEP_1)
	v_lshlrev_b32_e32 v3, 20, v3
	v_or3_b32 v1, v1, v7, v3
	s_delay_alu instid0(VALU_DEP_1) | instskip(NEXT) | instid1(VALU_DEP_1)
	v_trunc_f32_e32 v1, v1
	v_mul_f32_e64 v3, 0x2f800000, |v1|
	v_ashrrev_i32_e32 v8, 31, v1
	s_delay_alu instid0(VALU_DEP_2) | instskip(NEXT) | instid1(VALU_DEP_2)
	v_floor_f32_e32 v3, v3
	v_mov_b32_e32 v9, v8
	s_delay_alu instid0(VALU_DEP_2) | instskip(SKIP_1) | instid1(VALU_DEP_2)
	v_fma_f32 v7, 0xcf800000, v3, |v1|
	v_cvt_u32_f32_e32 v1, v3
	v_cvt_u32_f32_e32 v3, v7
	s_delay_alu instid0(VALU_DEP_2) | instskip(NEXT) | instid1(VALU_DEP_2)
	v_xor_b32_e32 v13, v1, v8
	v_xor_b32_e32 v12, v3, v8
	s_delay_alu instid0(VALU_DEP_1)
	v_sub_nc_u64_e32 v[8:9], v[12:13], v[8:9]
.LBB127_187:
	s_or_b32 exec_lo, exec_lo, s31
.LBB127_188:
	s_mov_b32 s31, -1
.LBB127_189:
	s_mov_b32 s44, 0
.LBB127_190:
	s_delay_alu instid0(SALU_CYCLE_1)
	s_and_b32 vcc_lo, exec_lo, s44
	s_cbranch_vccz .LBB127_223
; %bb.191:
	s_cmp_gt_i32 s30, 22
	s_cbranch_scc0 .LBB127_199
; %bb.192:
	s_cmp_lt_i32 s30, 24
	s_cbranch_scc1 .LBB127_202
; %bb.193:
	s_cmp_gt_i32 s30, 24
	s_cbranch_scc0 .LBB127_203
; %bb.194:
	global_load_u8 v1, v[10:11], off
	s_mov_b32 s44, 0
	s_mov_b32 s31, exec_lo
	s_wait_loadcnt 0x0
	v_cmpx_lt_i16_e32 0x7f, v1
	s_xor_b32 s31, exec_lo, s31
	s_cbranch_execz .LBB127_215
; %bb.195:
	v_cmp_ne_u16_e32 vcc_lo, 0x80, v1
	s_and_b32 s44, vcc_lo, exec_lo
	s_and_not1_saveexec_b32 s31, s31
	s_cbranch_execnz .LBB127_216
.LBB127_196:
	s_or_b32 exec_lo, exec_lo, s31
	v_mov_b64_e32 v[8:9], 0
	s_and_saveexec_b32 s31, s44
	s_cbranch_execz .LBB127_198
.LBB127_197:
	v_and_b32_e32 v3, 0xffff, v1
	s_delay_alu instid0(VALU_DEP_1) | instskip(SKIP_1) | instid1(VALU_DEP_2)
	v_and_b32_e32 v7, 3, v3
	v_bfe_u32 v12, v3, 2, 5
	v_clz_i32_u32_e32 v8, v7
	s_delay_alu instid0(VALU_DEP_2) | instskip(NEXT) | instid1(VALU_DEP_2)
	v_cmp_eq_u32_e32 vcc_lo, 0, v12
	v_min_u32_e32 v8, 32, v8
	s_delay_alu instid0(VALU_DEP_1) | instskip(NEXT) | instid1(VALU_DEP_1)
	v_subrev_nc_u32_e32 v9, 29, v8
	v_dual_lshlrev_b32 v3, v9, v3 :: v_dual_sub_nc_u32 v8, 30, v8
	s_delay_alu instid0(VALU_DEP_1) | instskip(NEXT) | instid1(VALU_DEP_1)
	v_dual_lshlrev_b32 v1, 24, v1 :: v_dual_bitop2_b32 v3, 3, v3 bitop3:0x40
	v_dual_cndmask_b32 v8, v12, v8 :: v_dual_cndmask_b32 v3, v7, v3
	s_delay_alu instid0(VALU_DEP_2) | instskip(NEXT) | instid1(VALU_DEP_2)
	v_and_b32_e32 v1, 0x80000000, v1
	v_lshl_add_u32 v7, v8, 23, 0x37800000
	s_delay_alu instid0(VALU_DEP_3) | instskip(NEXT) | instid1(VALU_DEP_1)
	v_lshlrev_b32_e32 v3, 21, v3
	v_or3_b32 v1, v1, v7, v3
	s_delay_alu instid0(VALU_DEP_1) | instskip(NEXT) | instid1(VALU_DEP_1)
	v_trunc_f32_e32 v1, v1
	v_mul_f32_e64 v3, 0x2f800000, |v1|
	v_ashrrev_i32_e32 v8, 31, v1
	s_delay_alu instid0(VALU_DEP_2) | instskip(NEXT) | instid1(VALU_DEP_2)
	v_floor_f32_e32 v3, v3
	v_mov_b32_e32 v9, v8
	s_delay_alu instid0(VALU_DEP_2) | instskip(SKIP_1) | instid1(VALU_DEP_2)
	v_fma_f32 v7, 0xcf800000, v3, |v1|
	v_cvt_u32_f32_e32 v1, v3
	v_cvt_u32_f32_e32 v3, v7
	s_delay_alu instid0(VALU_DEP_2) | instskip(NEXT) | instid1(VALU_DEP_2)
	v_xor_b32_e32 v13, v1, v8
	v_xor_b32_e32 v12, v3, v8
	s_delay_alu instid0(VALU_DEP_1)
	v_sub_nc_u64_e32 v[8:9], v[12:13], v[8:9]
.LBB127_198:
	s_or_b32 exec_lo, exec_lo, s31
	s_mov_b32 s31, 0
	s_branch .LBB127_204
.LBB127_199:
	s_mov_b32 s44, -1
                                        ; implicit-def: $vgpr8_vgpr9
	s_branch .LBB127_210
.LBB127_200:
	s_and_not1_saveexec_b32 s31, s31
	s_cbranch_execz .LBB127_185
.LBB127_201:
	v_cmp_ne_u16_e32 vcc_lo, 0, v1
	s_and_not1_b32 s44, s44, exec_lo
	s_and_b32 s46, vcc_lo, exec_lo
	s_delay_alu instid0(SALU_CYCLE_1)
	s_or_b32 s44, s44, s46
	s_or_b32 exec_lo, exec_lo, s31
	v_mov_b64_e32 v[8:9], 0
	s_and_saveexec_b32 s31, s44
	s_cbranch_execnz .LBB127_186
	s_branch .LBB127_187
.LBB127_202:
	s_mov_b32 s31, -1
                                        ; implicit-def: $vgpr8_vgpr9
	s_branch .LBB127_207
.LBB127_203:
	s_mov_b32 s31, -1
                                        ; implicit-def: $vgpr8_vgpr9
.LBB127_204:
	s_delay_alu instid0(SALU_CYCLE_1)
	s_and_b32 vcc_lo, exec_lo, s31
	s_cbranch_vccz .LBB127_206
; %bb.205:
	global_load_u8 v1, v[10:11], off
	s_wait_loadcnt 0x0
	v_lshlrev_b32_e32 v1, 24, v1
	s_delay_alu instid0(VALU_DEP_1) | instskip(NEXT) | instid1(VALU_DEP_1)
	v_and_b32_e32 v3, 0x7f000000, v1
	v_clz_i32_u32_e32 v7, v3
	v_add_nc_u32_e32 v9, 0x1000000, v3
	v_cmp_ne_u32_e32 vcc_lo, 0, v3
	s_delay_alu instid0(VALU_DEP_3) | instskip(NEXT) | instid1(VALU_DEP_1)
	v_min_u32_e32 v7, 32, v7
	v_sub_nc_u32_e64 v7, v7, 4 clamp
	s_delay_alu instid0(VALU_DEP_1) | instskip(NEXT) | instid1(VALU_DEP_1)
	v_lshlrev_b32_e32 v8, v7, v3
	v_dual_lshlrev_b32 v7, 23, v7 :: v_dual_lshrrev_b32 v8, 4, v8
	s_delay_alu instid0(VALU_DEP_1) | instskip(NEXT) | instid1(VALU_DEP_1)
	v_dual_sub_nc_u32 v7, v8, v7 :: v_dual_ashrrev_i32 v8, 8, v9
	v_add_nc_u32_e32 v7, 0x3c000000, v7
	s_delay_alu instid0(VALU_DEP_1) | instskip(NEXT) | instid1(VALU_DEP_1)
	v_and_or_b32 v7, 0x7f800000, v8, v7
	v_cndmask_b32_e32 v3, 0, v7, vcc_lo
	s_delay_alu instid0(VALU_DEP_1) | instskip(NEXT) | instid1(VALU_DEP_1)
	v_and_or_b32 v1, 0x80000000, v1, v3
	v_trunc_f32_e32 v1, v1
	s_delay_alu instid0(VALU_DEP_1) | instskip(SKIP_1) | instid1(VALU_DEP_2)
	v_mul_f32_e64 v3, 0x2f800000, |v1|
	v_ashrrev_i32_e32 v8, 31, v1
	v_floor_f32_e32 v3, v3
	s_delay_alu instid0(VALU_DEP_1) | instskip(SKIP_1) | instid1(VALU_DEP_4)
	v_fma_f32 v7, 0xcf800000, v3, |v1|
	v_cvt_u32_f32_e32 v1, v3
	v_mov_b32_e32 v9, v8
	s_delay_alu instid0(VALU_DEP_3) | instskip(NEXT) | instid1(VALU_DEP_3)
	v_cvt_u32_f32_e32 v3, v7
	v_xor_b32_e32 v13, v1, v8
	s_delay_alu instid0(VALU_DEP_2) | instskip(NEXT) | instid1(VALU_DEP_1)
	v_xor_b32_e32 v12, v3, v8
	v_sub_nc_u64_e32 v[8:9], v[12:13], v[8:9]
.LBB127_206:
	s_mov_b32 s31, 0
.LBB127_207:
	s_delay_alu instid0(SALU_CYCLE_1)
	s_and_not1_b32 vcc_lo, exec_lo, s31
	s_cbranch_vccnz .LBB127_209
; %bb.208:
	global_load_u8 v1, v[10:11], off
	s_wait_loadcnt 0x0
	v_lshlrev_b32_e32 v3, 25, v1
	v_lshlrev_b16 v1, 8, v1
	s_delay_alu instid0(VALU_DEP_1) | instskip(SKIP_1) | instid1(VALU_DEP_2)
	v_and_or_b32 v8, 0x7f00, v1, 0.5
	v_bfe_i32 v1, v1, 0, 16
	v_dual_add_f32 v8, -0.5, v8 :: v_dual_lshrrev_b32 v7, 4, v3
	v_cmp_gt_u32_e32 vcc_lo, 0x8000000, v3
	s_delay_alu instid0(VALU_DEP_2) | instskip(NEXT) | instid1(VALU_DEP_1)
	v_or_b32_e32 v7, 0x70000000, v7
	v_mul_f32_e32 v7, 0x7800000, v7
	s_delay_alu instid0(VALU_DEP_1) | instskip(NEXT) | instid1(VALU_DEP_1)
	v_cndmask_b32_e32 v3, v7, v8, vcc_lo
	v_and_or_b32 v1, 0x80000000, v1, v3
	s_delay_alu instid0(VALU_DEP_1) | instskip(NEXT) | instid1(VALU_DEP_1)
	v_trunc_f32_e32 v1, v1
	v_mul_f32_e64 v3, 0x2f800000, |v1|
	v_ashrrev_i32_e32 v8, 31, v1
	s_delay_alu instid0(VALU_DEP_2) | instskip(NEXT) | instid1(VALU_DEP_2)
	v_floor_f32_e32 v3, v3
	v_mov_b32_e32 v9, v8
	s_delay_alu instid0(VALU_DEP_2) | instskip(SKIP_1) | instid1(VALU_DEP_2)
	v_fma_f32 v7, 0xcf800000, v3, |v1|
	v_cvt_u32_f32_e32 v1, v3
	v_cvt_u32_f32_e32 v3, v7
	s_delay_alu instid0(VALU_DEP_2) | instskip(NEXT) | instid1(VALU_DEP_2)
	v_xor_b32_e32 v13, v1, v8
	v_xor_b32_e32 v12, v3, v8
	s_delay_alu instid0(VALU_DEP_1)
	v_sub_nc_u64_e32 v[8:9], v[12:13], v[8:9]
.LBB127_209:
	s_mov_b32 s44, 0
	s_mov_b32 s31, -1
.LBB127_210:
	s_and_not1_b32 vcc_lo, exec_lo, s44
	s_cbranch_vccnz .LBB127_223
; %bb.211:
	s_cmp_gt_i32 s30, 14
	s_cbranch_scc0 .LBB127_214
; %bb.212:
	s_cmp_eq_u32 s30, 15
	s_cbranch_scc0 .LBB127_217
; %bb.213:
	global_load_u16 v1, v[10:11], off
	s_mov_b32 s31, -1
	s_mov_b32 s29, 0
	s_wait_loadcnt 0x0
	v_lshlrev_b32_e32 v1, 16, v1
	s_delay_alu instid0(VALU_DEP_1) | instskip(NEXT) | instid1(VALU_DEP_1)
	v_trunc_f32_e32 v1, v1
	v_mul_f32_e64 v3, 0x2f800000, |v1|
	v_ashrrev_i32_e32 v8, 31, v1
	s_delay_alu instid0(VALU_DEP_2) | instskip(NEXT) | instid1(VALU_DEP_2)
	v_floor_f32_e32 v3, v3
	v_mov_b32_e32 v9, v8
	s_delay_alu instid0(VALU_DEP_2) | instskip(SKIP_1) | instid1(VALU_DEP_2)
	v_fma_f32 v7, 0xcf800000, v3, |v1|
	v_cvt_u32_f32_e32 v1, v3
	v_cvt_u32_f32_e32 v3, v7
	s_delay_alu instid0(VALU_DEP_2) | instskip(NEXT) | instid1(VALU_DEP_2)
	v_xor_b32_e32 v13, v1, v8
	v_xor_b32_e32 v12, v3, v8
	s_delay_alu instid0(VALU_DEP_1)
	v_sub_nc_u64_e32 v[8:9], v[12:13], v[8:9]
	s_branch .LBB127_218
.LBB127_214:
	s_mov_b32 s44, -1
                                        ; implicit-def: $vgpr8_vgpr9
	s_branch .LBB127_219
.LBB127_215:
	s_and_not1_saveexec_b32 s31, s31
	s_cbranch_execz .LBB127_196
.LBB127_216:
	v_cmp_ne_u16_e32 vcc_lo, 0, v1
	s_and_not1_b32 s44, s44, exec_lo
	s_and_b32 s46, vcc_lo, exec_lo
	s_delay_alu instid0(SALU_CYCLE_1)
	s_or_b32 s44, s44, s46
	s_or_b32 exec_lo, exec_lo, s31
	v_mov_b64_e32 v[8:9], 0
	s_and_saveexec_b32 s31, s44
	s_cbranch_execnz .LBB127_197
	s_branch .LBB127_198
.LBB127_217:
	s_mov_b32 s29, -1
                                        ; implicit-def: $vgpr8_vgpr9
.LBB127_218:
	s_mov_b32 s44, 0
.LBB127_219:
	s_delay_alu instid0(SALU_CYCLE_1)
	s_and_b32 vcc_lo, exec_lo, s44
	s_cbranch_vccz .LBB127_223
; %bb.220:
	s_cmp_eq_u32 s30, 11
	s_cbranch_scc0 .LBB127_222
; %bb.221:
	global_load_u8 v1, v[10:11], off
	s_mov_b32 s29, 0
	s_mov_b32 s31, -1
	s_wait_loadcnt 0x1
	v_mov_b32_e32 v9, s29
	s_wait_loadcnt 0x0
	v_cmp_ne_u16_e32 vcc_lo, 0, v1
	v_cndmask_b32_e64 v8, 0, 1, vcc_lo
	s_branch .LBB127_223
.LBB127_222:
	s_mov_b32 s29, -1
                                        ; implicit-def: $vgpr8_vgpr9
.LBB127_223:
	s_branch .LBB127_31
.LBB127_224:
	s_and_b32 s0, 0xffff, s0
	s_delay_alu instid0(SALU_CYCLE_1)
	s_cmp_lt_i32 s0, 5
	s_cbranch_scc1 .LBB127_229
; %bb.225:
	s_cmp_lt_i32 s0, 8
	s_cbranch_scc1 .LBB127_230
; %bb.226:
	;; [unrolled: 3-line block ×3, first 2 shown]
	s_cmp_gt_i32 s0, 9
	s_cbranch_scc0 .LBB127_232
; %bb.228:
	s_wait_loadcnt 0x0
	global_load_b64 v[8:9], v[10:11], off
	s_mov_b32 s30, 0
	s_wait_loadcnt 0x0
	v_trunc_f64_e32 v[8:9], v[8:9]
	s_delay_alu instid0(VALU_DEP_1) | instskip(NEXT) | instid1(VALU_DEP_1)
	v_ldexp_f64 v[12:13], v[8:9], 0xffffffe0
	v_floor_f64_e32 v[12:13], v[12:13]
	s_delay_alu instid0(VALU_DEP_1) | instskip(SKIP_1) | instid1(VALU_DEP_2)
	v_fmamk_f64 v[14:15], v[12:13], 0xc1f00000, v[8:9]
	v_cvt_i32_f64_e32 v9, v[12:13]
	v_cvt_u32_f64_e32 v8, v[14:15]
	s_branch .LBB127_233
.LBB127_229:
	s_mov_b32 s30, -1
                                        ; implicit-def: $vgpr8_vgpr9
	s_branch .LBB127_251
.LBB127_230:
	s_mov_b32 s30, -1
                                        ; implicit-def: $vgpr8_vgpr9
	s_branch .LBB127_239
.LBB127_231:
	s_mov_b32 s30, -1
                                        ; implicit-def: $vgpr8_vgpr9
	s_branch .LBB127_236
.LBB127_232:
	s_mov_b32 s30, -1
                                        ; implicit-def: $vgpr8_vgpr9
.LBB127_233:
	s_delay_alu instid0(SALU_CYCLE_1)
	s_and_not1_b32 vcc_lo, exec_lo, s30
	s_cbranch_vccnz .LBB127_235
; %bb.234:
	global_load_b32 v1, v[10:11], off
	s_wait_loadcnt 0x0
	v_trunc_f32_e32 v1, v1
	s_delay_alu instid0(VALU_DEP_1) | instskip(SKIP_1) | instid1(VALU_DEP_2)
	v_mul_f32_e64 v3, 0x2f800000, |v1|
	v_ashrrev_i32_e32 v8, 31, v1
	v_floor_f32_e32 v3, v3
	s_delay_alu instid0(VALU_DEP_1) | instskip(SKIP_1) | instid1(VALU_DEP_4)
	v_fma_f32 v7, 0xcf800000, v3, |v1|
	v_cvt_u32_f32_e32 v1, v3
	v_mov_b32_e32 v9, v8
	s_delay_alu instid0(VALU_DEP_3) | instskip(NEXT) | instid1(VALU_DEP_3)
	v_cvt_u32_f32_e32 v3, v7
	v_xor_b32_e32 v13, v1, v8
	s_delay_alu instid0(VALU_DEP_2) | instskip(NEXT) | instid1(VALU_DEP_1)
	v_xor_b32_e32 v12, v3, v8
	v_sub_nc_u64_e32 v[8:9], v[12:13], v[8:9]
.LBB127_235:
	s_mov_b32 s30, 0
.LBB127_236:
	s_delay_alu instid0(SALU_CYCLE_1)
	s_and_not1_b32 vcc_lo, exec_lo, s30
	s_cbranch_vccnz .LBB127_238
; %bb.237:
	global_load_b32 v1, v[10:11], off
	s_wait_loadcnt 0x0
	v_cvt_f32_f16_e32 v1, v1
	s_delay_alu instid0(VALU_DEP_1) | instskip(NEXT) | instid1(VALU_DEP_1)
	v_cvt_i32_f32_e32 v8, v1
	v_ashrrev_i32_e32 v9, 31, v8
.LBB127_238:
	s_mov_b32 s30, 0
.LBB127_239:
	s_delay_alu instid0(SALU_CYCLE_1)
	s_and_not1_b32 vcc_lo, exec_lo, s30
	s_cbranch_vccnz .LBB127_250
; %bb.240:
	s_cmp_lt_i32 s0, 6
	s_cbranch_scc1 .LBB127_243
; %bb.241:
	s_cmp_gt_i32 s0, 6
	s_cbranch_scc0 .LBB127_244
; %bb.242:
	s_wait_loadcnt 0x0
	global_load_b64 v[8:9], v[10:11], off
	s_mov_b32 s30, 0
	s_wait_loadcnt 0x0
	v_trunc_f64_e32 v[8:9], v[8:9]
	s_delay_alu instid0(VALU_DEP_1) | instskip(NEXT) | instid1(VALU_DEP_1)
	v_ldexp_f64 v[12:13], v[8:9], 0xffffffe0
	v_floor_f64_e32 v[12:13], v[12:13]
	s_delay_alu instid0(VALU_DEP_1) | instskip(SKIP_1) | instid1(VALU_DEP_2)
	v_fmamk_f64 v[14:15], v[12:13], 0xc1f00000, v[8:9]
	v_cvt_i32_f64_e32 v9, v[12:13]
	v_cvt_u32_f64_e32 v8, v[14:15]
	s_branch .LBB127_245
.LBB127_243:
	s_mov_b32 s30, -1
                                        ; implicit-def: $vgpr8_vgpr9
	s_branch .LBB127_248
.LBB127_244:
	s_mov_b32 s30, -1
                                        ; implicit-def: $vgpr8_vgpr9
.LBB127_245:
	s_delay_alu instid0(SALU_CYCLE_1)
	s_and_not1_b32 vcc_lo, exec_lo, s30
	s_cbranch_vccnz .LBB127_247
; %bb.246:
	global_load_b32 v1, v[10:11], off
	s_wait_loadcnt 0x0
	v_trunc_f32_e32 v1, v1
	s_delay_alu instid0(VALU_DEP_1) | instskip(SKIP_1) | instid1(VALU_DEP_2)
	v_mul_f32_e64 v3, 0x2f800000, |v1|
	v_ashrrev_i32_e32 v8, 31, v1
	v_floor_f32_e32 v3, v3
	s_delay_alu instid0(VALU_DEP_1) | instskip(SKIP_1) | instid1(VALU_DEP_4)
	v_fma_f32 v7, 0xcf800000, v3, |v1|
	v_cvt_u32_f32_e32 v1, v3
	v_mov_b32_e32 v9, v8
	s_delay_alu instid0(VALU_DEP_3) | instskip(NEXT) | instid1(VALU_DEP_3)
	v_cvt_u32_f32_e32 v3, v7
	v_xor_b32_e32 v13, v1, v8
	s_delay_alu instid0(VALU_DEP_2) | instskip(NEXT) | instid1(VALU_DEP_1)
	v_xor_b32_e32 v12, v3, v8
	v_sub_nc_u64_e32 v[8:9], v[12:13], v[8:9]
.LBB127_247:
	s_mov_b32 s30, 0
.LBB127_248:
	s_delay_alu instid0(SALU_CYCLE_1)
	s_and_not1_b32 vcc_lo, exec_lo, s30
	s_cbranch_vccnz .LBB127_250
; %bb.249:
	global_load_u16 v1, v[10:11], off
	s_wait_loadcnt 0x0
	v_cvt_f32_f16_e32 v1, v1
	s_delay_alu instid0(VALU_DEP_1) | instskip(NEXT) | instid1(VALU_DEP_1)
	v_cvt_i32_f32_e32 v8, v1
	v_ashrrev_i32_e32 v9, 31, v8
.LBB127_250:
	s_mov_b32 s30, 0
.LBB127_251:
	s_delay_alu instid0(SALU_CYCLE_1)
	s_and_not1_b32 vcc_lo, exec_lo, s30
	s_cbranch_vccnz .LBB127_271
; %bb.252:
	s_cmp_lt_i32 s0, 2
	s_cbranch_scc1 .LBB127_256
; %bb.253:
	s_cmp_lt_i32 s0, 3
	s_cbranch_scc1 .LBB127_257
; %bb.254:
	s_cmp_gt_i32 s0, 3
	s_cbranch_scc0 .LBB127_258
; %bb.255:
	s_wait_loadcnt 0x0
	global_load_b64 v[8:9], v[10:11], off
	s_mov_b32 s30, 0
	s_branch .LBB127_259
.LBB127_256:
	s_mov_b32 s30, -1
                                        ; implicit-def: $vgpr8_vgpr9
	s_branch .LBB127_265
.LBB127_257:
	s_mov_b32 s30, -1
                                        ; implicit-def: $vgpr8_vgpr9
	s_branch .LBB127_262
.LBB127_258:
	s_mov_b32 s30, -1
                                        ; implicit-def: $vgpr8_vgpr9
.LBB127_259:
	s_delay_alu instid0(SALU_CYCLE_1)
	s_and_not1_b32 vcc_lo, exec_lo, s30
	s_cbranch_vccnz .LBB127_261
; %bb.260:
	s_wait_loadcnt 0x0
	global_load_b32 v8, v[10:11], off
	s_wait_loadcnt 0x0
	v_ashrrev_i32_e32 v9, 31, v8
.LBB127_261:
	s_mov_b32 s30, 0
.LBB127_262:
	s_delay_alu instid0(SALU_CYCLE_1)
	s_and_not1_b32 vcc_lo, exec_lo, s30
	s_cbranch_vccnz .LBB127_264
; %bb.263:
	global_load_u16 v1, v[10:11], off
	s_wait_loadcnt 0x0
	v_bfe_i32 v8, v1, 0, 16
	s_delay_alu instid0(VALU_DEP_1)
	v_ashrrev_i32_e32 v9, 31, v8
.LBB127_264:
	s_mov_b32 s30, 0
.LBB127_265:
	s_delay_alu instid0(SALU_CYCLE_1)
	s_and_not1_b32 vcc_lo, exec_lo, s30
	s_cbranch_vccnz .LBB127_271
; %bb.266:
	s_cmp_gt_i32 s0, 0
	s_mov_b32 s0, 0
	s_cbranch_scc0 .LBB127_268
; %bb.267:
	global_load_i8 v1, v[10:11], off
	s_wait_loadcnt 0x0
	v_bfe_i32 v8, v1, 0, 16
	s_delay_alu instid0(VALU_DEP_1)
	v_ashrrev_i32_e32 v9, 31, v8
	s_branch .LBB127_269
.LBB127_268:
	s_mov_b32 s0, -1
                                        ; implicit-def: $vgpr8_vgpr9
.LBB127_269:
	s_delay_alu instid0(SALU_CYCLE_1)
	s_and_not1_b32 vcc_lo, exec_lo, s0
	s_cbranch_vccnz .LBB127_271
; %bb.270:
	global_load_u8 v1, v[10:11], off
	s_mov_b32 s0, 0
	s_wait_loadcnt 0x1
	v_mov_b32_e32 v9, s0
	s_wait_loadcnt 0x0
	v_and_b32_e32 v8, 0xffff, v1
.LBB127_271:
	s_branch .LBB127_32
.LBB127_272:
	s_mov_b32 s0, 0
	s_mov_b32 s30, 0
	s_branch .LBB127_509
.LBB127_273:
	s_mov_b32 s30, -1
.LBB127_274:
	s_mov_b32 s31, 0
                                        ; implicit-def: $vgpr10_vgpr11
.LBB127_275:
	s_and_b32 vcc_lo, exec_lo, s44
	s_cbranch_vccz .LBB127_279
; %bb.276:
	s_cmp_eq_u32 s0, 44
	s_cbranch_scc0 .LBB127_278
; %bb.277:
	global_load_u8 v1, v[6:7], off
	s_mov_b32 s30, 0
	s_mov_b32 s31, -1
	s_wait_loadcnt 0x0
	v_lshlrev_b32_e32 v3, 23, v1
	v_cmp_ne_u32_e32 vcc_lo, 0, v1
	s_delay_alu instid0(VALU_DEP_2) | instskip(NEXT) | instid1(VALU_DEP_1)
	v_trunc_f32_e32 v3, v3
	v_mul_f32_e64 v10, 0x2f800000, |v3|
	s_delay_alu instid0(VALU_DEP_1) | instskip(SKIP_1) | instid1(VALU_DEP_2)
	v_floor_f32_e32 v11, v10
	v_ashrrev_i32_e32 v10, 31, v3
	v_fma_f32 v12, 0xcf800000, v11, |v3|
	v_cvt_u32_f32_e32 v3, v11
	s_delay_alu instid0(VALU_DEP_3) | instskip(NEXT) | instid1(VALU_DEP_3)
	v_mov_b32_e32 v11, v10
	v_cvt_u32_f32_e32 v12, v12
	s_delay_alu instid0(VALU_DEP_3) | instskip(NEXT) | instid1(VALU_DEP_2)
	v_xor_b32_e32 v13, v3, v10
	v_xor_b32_e32 v12, v12, v10
	s_delay_alu instid0(VALU_DEP_1) | instskip(NEXT) | instid1(VALU_DEP_1)
	v_sub_nc_u64_e32 v[10:11], v[12:13], v[10:11]
	v_dual_cndmask_b32 v11, 0, v11 :: v_dual_cndmask_b32 v10, 0, v10
	s_branch .LBB127_279
.LBB127_278:
	s_mov_b32 s30, -1
                                        ; implicit-def: $vgpr10_vgpr11
.LBB127_279:
	s_mov_b32 s44, 0
.LBB127_280:
	s_delay_alu instid0(SALU_CYCLE_1)
	s_and_b32 vcc_lo, exec_lo, s44
	s_cbranch_vccz .LBB127_284
; %bb.281:
	s_cmp_eq_u32 s0, 29
	s_cbranch_scc0 .LBB127_283
; %bb.282:
	global_load_b64 v[10:11], v[6:7], off
	s_mov_b32 s31, -1
	s_mov_b32 s30, 0
	s_branch .LBB127_284
.LBB127_283:
	s_mov_b32 s30, -1
                                        ; implicit-def: $vgpr10_vgpr11
.LBB127_284:
	s_mov_b32 s44, 0
.LBB127_285:
	s_delay_alu instid0(SALU_CYCLE_1)
	s_and_b32 vcc_lo, exec_lo, s44
	s_cbranch_vccz .LBB127_301
; %bb.286:
	s_cmp_lt_i32 s0, 27
	s_cbranch_scc1 .LBB127_289
; %bb.287:
	s_cmp_gt_i32 s0, 27
	s_cbranch_scc0 .LBB127_290
; %bb.288:
	s_wait_loadcnt 0x0
	global_load_b32 v10, v[6:7], off
	v_mov_b32_e32 v11, 0
	s_mov_b32 s31, 0
	s_branch .LBB127_291
.LBB127_289:
	s_mov_b32 s31, -1
                                        ; implicit-def: $vgpr10_vgpr11
	s_branch .LBB127_294
.LBB127_290:
	s_mov_b32 s31, -1
                                        ; implicit-def: $vgpr10_vgpr11
.LBB127_291:
	s_delay_alu instid0(SALU_CYCLE_1)
	s_and_not1_b32 vcc_lo, exec_lo, s31
	s_cbranch_vccnz .LBB127_293
; %bb.292:
	global_load_u16 v1, v[6:7], off
	s_mov_b32 s31, 0
	s_wait_loadcnt 0x1
	s_wait_xcnt 0x1
	v_mov_b32_e32 v11, s31
	s_wait_loadcnt 0x0
	v_and_b32_e32 v10, 0xffff, v1
.LBB127_293:
	s_mov_b32 s31, 0
.LBB127_294:
	s_delay_alu instid0(SALU_CYCLE_1)
	s_and_not1_b32 vcc_lo, exec_lo, s31
	s_cbranch_vccnz .LBB127_300
; %bb.295:
	global_load_u8 v1, v[6:7], off
	s_mov_b32 s44, 0
	s_mov_b32 s31, exec_lo
	s_wait_loadcnt 0x0
	v_cmpx_lt_i16_e32 0x7f, v1
	s_xor_b32 s31, exec_lo, s31
	s_cbranch_execz .LBB127_312
; %bb.296:
	v_cmp_ne_u16_e32 vcc_lo, 0x80, v1
	s_and_b32 s44, vcc_lo, exec_lo
	s_and_not1_saveexec_b32 s31, s31
	s_cbranch_execnz .LBB127_313
.LBB127_297:
	s_or_b32 exec_lo, exec_lo, s31
	v_mov_b64_e32 v[10:11], 0
	s_and_saveexec_b32 s31, s44
	s_cbranch_execz .LBB127_299
.LBB127_298:
	v_and_b32_e32 v3, 0xffff, v1
	s_delay_alu instid0(VALU_DEP_1) | instskip(SKIP_1) | instid1(VALU_DEP_2)
	v_dual_lshlrev_b32 v1, 24, v1 :: v_dual_bitop2_b32 v10, 7, v3 bitop3:0x40
	v_bfe_u32 v13, v3, 3, 4
	v_and_b32_e32 v1, 0x80000000, v1
	s_delay_alu instid0(VALU_DEP_3) | instskip(NEXT) | instid1(VALU_DEP_3)
	v_clz_i32_u32_e32 v11, v10
	v_cmp_eq_u32_e32 vcc_lo, 0, v13
	s_delay_alu instid0(VALU_DEP_2) | instskip(NEXT) | instid1(VALU_DEP_1)
	v_min_u32_e32 v11, 32, v11
	v_subrev_nc_u32_e32 v12, 28, v11
	v_sub_nc_u32_e32 v11, 29, v11
	s_delay_alu instid0(VALU_DEP_2) | instskip(NEXT) | instid1(VALU_DEP_2)
	v_lshlrev_b32_e32 v3, v12, v3
	v_cndmask_b32_e32 v11, v13, v11, vcc_lo
	s_delay_alu instid0(VALU_DEP_2) | instskip(NEXT) | instid1(VALU_DEP_1)
	v_and_b32_e32 v3, 7, v3
	v_cndmask_b32_e32 v3, v10, v3, vcc_lo
	s_delay_alu instid0(VALU_DEP_3) | instskip(NEXT) | instid1(VALU_DEP_2)
	v_lshl_add_u32 v10, v11, 23, 0x3b800000
	v_lshlrev_b32_e32 v3, 20, v3
	s_delay_alu instid0(VALU_DEP_1) | instskip(NEXT) | instid1(VALU_DEP_1)
	v_or3_b32 v1, v1, v10, v3
	v_trunc_f32_e32 v1, v1
	s_delay_alu instid0(VALU_DEP_1) | instskip(SKIP_1) | instid1(VALU_DEP_2)
	v_mul_f32_e64 v3, 0x2f800000, |v1|
	v_ashrrev_i32_e32 v10, 31, v1
	v_floor_f32_e32 v3, v3
	s_delay_alu instid0(VALU_DEP_1) | instskip(SKIP_1) | instid1(VALU_DEP_2)
	v_fma_f32 v11, 0xcf800000, v3, |v1|
	v_cvt_u32_f32_e32 v1, v3
	v_cvt_u32_f32_e32 v3, v11
	s_delay_alu instid0(VALU_DEP_2) | instskip(NEXT) | instid1(VALU_DEP_2)
	v_dual_mov_b32 v11, v10 :: v_dual_bitop2_b32 v13, v1, v10 bitop3:0x14
	v_xor_b32_e32 v12, v3, v10
	s_delay_alu instid0(VALU_DEP_1)
	v_sub_nc_u64_e32 v[10:11], v[12:13], v[10:11]
.LBB127_299:
	s_or_b32 exec_lo, exec_lo, s31
.LBB127_300:
	s_mov_b32 s31, -1
.LBB127_301:
	s_mov_b32 s44, 0
.LBB127_302:
	s_delay_alu instid0(SALU_CYCLE_1)
	s_and_b32 vcc_lo, exec_lo, s44
	s_cbranch_vccz .LBB127_335
; %bb.303:
	s_cmp_gt_i32 s0, 22
	s_cbranch_scc0 .LBB127_311
; %bb.304:
	s_cmp_lt_i32 s0, 24
	s_cbranch_scc1 .LBB127_314
; %bb.305:
	s_cmp_gt_i32 s0, 24
	s_cbranch_scc0 .LBB127_315
; %bb.306:
	global_load_u8 v1, v[6:7], off
	s_mov_b32 s44, 0
	s_mov_b32 s31, exec_lo
	s_wait_loadcnt 0x0
	v_cmpx_lt_i16_e32 0x7f, v1
	s_xor_b32 s31, exec_lo, s31
	s_cbranch_execz .LBB127_327
; %bb.307:
	v_cmp_ne_u16_e32 vcc_lo, 0x80, v1
	s_and_b32 s44, vcc_lo, exec_lo
	s_and_not1_saveexec_b32 s31, s31
	s_cbranch_execnz .LBB127_328
.LBB127_308:
	s_or_b32 exec_lo, exec_lo, s31
	v_mov_b64_e32 v[10:11], 0
	s_and_saveexec_b32 s31, s44
	s_cbranch_execz .LBB127_310
.LBB127_309:
	v_and_b32_e32 v3, 0xffff, v1
	s_delay_alu instid0(VALU_DEP_1) | instskip(SKIP_1) | instid1(VALU_DEP_2)
	v_dual_lshlrev_b32 v1, 24, v1 :: v_dual_bitop2_b32 v10, 3, v3 bitop3:0x40
	v_bfe_u32 v13, v3, 2, 5
	v_and_b32_e32 v1, 0x80000000, v1
	s_delay_alu instid0(VALU_DEP_3) | instskip(NEXT) | instid1(VALU_DEP_3)
	v_clz_i32_u32_e32 v11, v10
	v_cmp_eq_u32_e32 vcc_lo, 0, v13
	s_delay_alu instid0(VALU_DEP_2) | instskip(NEXT) | instid1(VALU_DEP_1)
	v_min_u32_e32 v11, 32, v11
	v_subrev_nc_u32_e32 v12, 29, v11
	v_sub_nc_u32_e32 v11, 30, v11
	s_delay_alu instid0(VALU_DEP_2) | instskip(NEXT) | instid1(VALU_DEP_2)
	v_lshlrev_b32_e32 v3, v12, v3
	v_cndmask_b32_e32 v11, v13, v11, vcc_lo
	s_delay_alu instid0(VALU_DEP_2) | instskip(NEXT) | instid1(VALU_DEP_1)
	v_and_b32_e32 v3, 3, v3
	v_cndmask_b32_e32 v3, v10, v3, vcc_lo
	s_delay_alu instid0(VALU_DEP_3) | instskip(NEXT) | instid1(VALU_DEP_2)
	v_lshl_add_u32 v10, v11, 23, 0x37800000
	v_lshlrev_b32_e32 v3, 21, v3
	s_delay_alu instid0(VALU_DEP_1) | instskip(NEXT) | instid1(VALU_DEP_1)
	v_or3_b32 v1, v1, v10, v3
	v_trunc_f32_e32 v1, v1
	s_delay_alu instid0(VALU_DEP_1) | instskip(SKIP_1) | instid1(VALU_DEP_2)
	v_mul_f32_e64 v3, 0x2f800000, |v1|
	v_ashrrev_i32_e32 v10, 31, v1
	v_floor_f32_e32 v3, v3
	s_delay_alu instid0(VALU_DEP_1) | instskip(SKIP_1) | instid1(VALU_DEP_2)
	v_fma_f32 v11, 0xcf800000, v3, |v1|
	v_cvt_u32_f32_e32 v1, v3
	v_cvt_u32_f32_e32 v3, v11
	s_delay_alu instid0(VALU_DEP_2) | instskip(NEXT) | instid1(VALU_DEP_2)
	v_dual_mov_b32 v11, v10 :: v_dual_bitop2_b32 v13, v1, v10 bitop3:0x14
	v_xor_b32_e32 v12, v3, v10
	s_delay_alu instid0(VALU_DEP_1)
	v_sub_nc_u64_e32 v[10:11], v[12:13], v[10:11]
.LBB127_310:
	s_or_b32 exec_lo, exec_lo, s31
	s_mov_b32 s31, 0
	s_branch .LBB127_316
.LBB127_311:
	s_mov_b32 s44, -1
                                        ; implicit-def: $vgpr10_vgpr11
	s_branch .LBB127_322
.LBB127_312:
	s_and_not1_saveexec_b32 s31, s31
	s_cbranch_execz .LBB127_297
.LBB127_313:
	v_cmp_ne_u16_e32 vcc_lo, 0, v1
	s_and_not1_b32 s44, s44, exec_lo
	s_and_b32 s46, vcc_lo, exec_lo
	s_delay_alu instid0(SALU_CYCLE_1)
	s_or_b32 s44, s44, s46
	s_or_b32 exec_lo, exec_lo, s31
	v_mov_b64_e32 v[10:11], 0
	s_and_saveexec_b32 s31, s44
	s_cbranch_execnz .LBB127_298
	s_branch .LBB127_299
.LBB127_314:
	s_mov_b32 s31, -1
                                        ; implicit-def: $vgpr10_vgpr11
	s_branch .LBB127_319
.LBB127_315:
	s_mov_b32 s31, -1
                                        ; implicit-def: $vgpr10_vgpr11
.LBB127_316:
	s_delay_alu instid0(SALU_CYCLE_1)
	s_and_b32 vcc_lo, exec_lo, s31
	s_cbranch_vccz .LBB127_318
; %bb.317:
	global_load_u8 v1, v[6:7], off
	s_wait_loadcnt 0x0
	v_lshlrev_b32_e32 v1, 24, v1
	s_delay_alu instid0(VALU_DEP_1) | instskip(NEXT) | instid1(VALU_DEP_1)
	v_and_b32_e32 v3, 0x7f000000, v1
	v_clz_i32_u32_e32 v10, v3
	v_cmp_ne_u32_e32 vcc_lo, 0, v3
	v_add_nc_u32_e32 v12, 0x1000000, v3
	s_delay_alu instid0(VALU_DEP_3) | instskip(NEXT) | instid1(VALU_DEP_1)
	v_min_u32_e32 v10, 32, v10
	v_sub_nc_u32_e64 v10, v10, 4 clamp
	s_delay_alu instid0(VALU_DEP_1) | instskip(NEXT) | instid1(VALU_DEP_1)
	v_dual_lshlrev_b32 v11, v10, v3 :: v_dual_lshlrev_b32 v10, 23, v10
	v_lshrrev_b32_e32 v11, 4, v11
	s_delay_alu instid0(VALU_DEP_1) | instskip(NEXT) | instid1(VALU_DEP_1)
	v_dual_sub_nc_u32 v10, v11, v10 :: v_dual_ashrrev_i32 v11, 8, v12
	v_add_nc_u32_e32 v10, 0x3c000000, v10
	s_delay_alu instid0(VALU_DEP_1) | instskip(NEXT) | instid1(VALU_DEP_1)
	v_and_or_b32 v10, 0x7f800000, v11, v10
	v_cndmask_b32_e32 v3, 0, v10, vcc_lo
	s_delay_alu instid0(VALU_DEP_1) | instskip(NEXT) | instid1(VALU_DEP_1)
	v_and_or_b32 v1, 0x80000000, v1, v3
	v_trunc_f32_e32 v1, v1
	s_delay_alu instid0(VALU_DEP_1) | instskip(SKIP_1) | instid1(VALU_DEP_2)
	v_mul_f32_e64 v3, 0x2f800000, |v1|
	v_ashrrev_i32_e32 v10, 31, v1
	v_floor_f32_e32 v3, v3
	s_delay_alu instid0(VALU_DEP_1) | instskip(SKIP_1) | instid1(VALU_DEP_2)
	v_fma_f32 v11, 0xcf800000, v3, |v1|
	v_cvt_u32_f32_e32 v1, v3
	v_cvt_u32_f32_e32 v3, v11
	s_delay_alu instid0(VALU_DEP_2) | instskip(NEXT) | instid1(VALU_DEP_2)
	v_dual_mov_b32 v11, v10 :: v_dual_bitop2_b32 v13, v1, v10 bitop3:0x14
	v_xor_b32_e32 v12, v3, v10
	s_delay_alu instid0(VALU_DEP_1)
	v_sub_nc_u64_e32 v[10:11], v[12:13], v[10:11]
.LBB127_318:
	s_mov_b32 s31, 0
.LBB127_319:
	s_delay_alu instid0(SALU_CYCLE_1)
	s_and_not1_b32 vcc_lo, exec_lo, s31
	s_cbranch_vccnz .LBB127_321
; %bb.320:
	global_load_u8 v1, v[6:7], off
	s_wait_loadcnt 0x0
	v_lshlrev_b32_e32 v3, 25, v1
	v_lshlrev_b16 v1, 8, v1
	s_delay_alu instid0(VALU_DEP_1) | instskip(SKIP_1) | instid1(VALU_DEP_2)
	v_and_or_b32 v11, 0x7f00, v1, 0.5
	v_bfe_i32 v1, v1, 0, 16
	v_add_f32_e32 v11, -0.5, v11
	v_lshrrev_b32_e32 v10, 4, v3
	v_cmp_gt_u32_e32 vcc_lo, 0x8000000, v3
	s_delay_alu instid0(VALU_DEP_2) | instskip(NEXT) | instid1(VALU_DEP_1)
	v_or_b32_e32 v10, 0x70000000, v10
	v_mul_f32_e32 v10, 0x7800000, v10
	s_delay_alu instid0(VALU_DEP_1) | instskip(NEXT) | instid1(VALU_DEP_1)
	v_cndmask_b32_e32 v3, v10, v11, vcc_lo
	v_and_or_b32 v1, 0x80000000, v1, v3
	s_delay_alu instid0(VALU_DEP_1) | instskip(NEXT) | instid1(VALU_DEP_1)
	v_trunc_f32_e32 v1, v1
	v_mul_f32_e64 v3, 0x2f800000, |v1|
	v_ashrrev_i32_e32 v10, 31, v1
	s_delay_alu instid0(VALU_DEP_2) | instskip(NEXT) | instid1(VALU_DEP_1)
	v_floor_f32_e32 v3, v3
	v_fma_f32 v11, 0xcf800000, v3, |v1|
	v_cvt_u32_f32_e32 v1, v3
	s_delay_alu instid0(VALU_DEP_2) | instskip(NEXT) | instid1(VALU_DEP_2)
	v_cvt_u32_f32_e32 v3, v11
	v_dual_mov_b32 v11, v10 :: v_dual_bitop2_b32 v13, v1, v10 bitop3:0x14
	s_delay_alu instid0(VALU_DEP_2) | instskip(NEXT) | instid1(VALU_DEP_1)
	v_xor_b32_e32 v12, v3, v10
	v_sub_nc_u64_e32 v[10:11], v[12:13], v[10:11]
.LBB127_321:
	s_mov_b32 s44, 0
	s_mov_b32 s31, -1
.LBB127_322:
	s_and_not1_b32 vcc_lo, exec_lo, s44
	s_cbranch_vccnz .LBB127_335
; %bb.323:
	s_cmp_gt_i32 s0, 14
	s_cbranch_scc0 .LBB127_326
; %bb.324:
	s_cmp_eq_u32 s0, 15
	s_cbranch_scc0 .LBB127_329
; %bb.325:
	global_load_u16 v1, v[6:7], off
	s_mov_b32 s31, -1
	s_mov_b32 s30, 0
	s_wait_loadcnt 0x0
	v_lshlrev_b32_e32 v1, 16, v1
	s_delay_alu instid0(VALU_DEP_1) | instskip(NEXT) | instid1(VALU_DEP_1)
	v_trunc_f32_e32 v1, v1
	v_mul_f32_e64 v3, 0x2f800000, |v1|
	v_ashrrev_i32_e32 v10, 31, v1
	s_delay_alu instid0(VALU_DEP_2) | instskip(NEXT) | instid1(VALU_DEP_1)
	v_floor_f32_e32 v3, v3
	v_fma_f32 v11, 0xcf800000, v3, |v1|
	v_cvt_u32_f32_e32 v1, v3
	s_delay_alu instid0(VALU_DEP_2) | instskip(NEXT) | instid1(VALU_DEP_2)
	v_cvt_u32_f32_e32 v3, v11
	v_dual_mov_b32 v11, v10 :: v_dual_bitop2_b32 v13, v1, v10 bitop3:0x14
	s_delay_alu instid0(VALU_DEP_2) | instskip(NEXT) | instid1(VALU_DEP_1)
	v_xor_b32_e32 v12, v3, v10
	v_sub_nc_u64_e32 v[10:11], v[12:13], v[10:11]
	s_branch .LBB127_330
.LBB127_326:
	s_mov_b32 s44, -1
                                        ; implicit-def: $vgpr10_vgpr11
	s_branch .LBB127_331
.LBB127_327:
	s_and_not1_saveexec_b32 s31, s31
	s_cbranch_execz .LBB127_308
.LBB127_328:
	v_cmp_ne_u16_e32 vcc_lo, 0, v1
	s_and_not1_b32 s44, s44, exec_lo
	s_and_b32 s46, vcc_lo, exec_lo
	s_delay_alu instid0(SALU_CYCLE_1)
	s_or_b32 s44, s44, s46
	s_or_b32 exec_lo, exec_lo, s31
	v_mov_b64_e32 v[10:11], 0
	s_and_saveexec_b32 s31, s44
	s_cbranch_execnz .LBB127_309
	s_branch .LBB127_310
.LBB127_329:
	s_mov_b32 s30, -1
                                        ; implicit-def: $vgpr10_vgpr11
.LBB127_330:
	s_mov_b32 s44, 0
.LBB127_331:
	s_delay_alu instid0(SALU_CYCLE_1)
	s_and_b32 vcc_lo, exec_lo, s44
	s_cbranch_vccz .LBB127_335
; %bb.332:
	s_cmp_eq_u32 s0, 11
	s_cbranch_scc0 .LBB127_334
; %bb.333:
	global_load_u8 v1, v[6:7], off
	s_mov_b32 s30, 0
	s_mov_b32 s31, -1
	s_wait_loadcnt 0x1
	s_wait_xcnt 0x1
	v_mov_b32_e32 v11, s30
	s_wait_loadcnt 0x0
	v_cmp_ne_u16_e32 vcc_lo, 0, v1
	v_cndmask_b32_e64 v10, 0, 1, vcc_lo
	s_branch .LBB127_335
.LBB127_334:
	s_mov_b32 s30, -1
                                        ; implicit-def: $vgpr10_vgpr11
.LBB127_335:
	s_mov_b32 s44, 0
.LBB127_336:
	s_delay_alu instid0(SALU_CYCLE_1)
	s_and_b32 vcc_lo, exec_lo, s44
	s_cbranch_vccz .LBB127_385
; %bb.337:
	s_cmp_lt_i32 s0, 5
	s_cbranch_scc1 .LBB127_342
; %bb.338:
	s_cmp_lt_i32 s0, 8
	s_cbranch_scc1 .LBB127_343
	;; [unrolled: 3-line block ×3, first 2 shown]
; %bb.340:
	s_cmp_gt_i32 s0, 9
	s_cbranch_scc0 .LBB127_345
; %bb.341:
	s_wait_loadcnt 0x0
	global_load_b64 v[10:11], v[6:7], off
	s_mov_b32 s31, 0
	s_wait_loadcnt 0x0
	v_trunc_f64_e32 v[10:11], v[10:11]
	s_delay_alu instid0(VALU_DEP_1) | instskip(NEXT) | instid1(VALU_DEP_1)
	v_ldexp_f64 v[12:13], v[10:11], 0xffffffe0
	v_floor_f64_e32 v[12:13], v[12:13]
	s_delay_alu instid0(VALU_DEP_1) | instskip(SKIP_1) | instid1(VALU_DEP_2)
	v_fmamk_f64 v[14:15], v[12:13], 0xc1f00000, v[10:11]
	v_cvt_i32_f64_e32 v11, v[12:13]
	v_cvt_u32_f64_e32 v10, v[14:15]
	s_branch .LBB127_346
.LBB127_342:
	s_mov_b32 s31, -1
                                        ; implicit-def: $vgpr10_vgpr11
	s_branch .LBB127_364
.LBB127_343:
	s_mov_b32 s31, -1
                                        ; implicit-def: $vgpr10_vgpr11
	s_branch .LBB127_352
.LBB127_344:
	s_mov_b32 s31, -1
                                        ; implicit-def: $vgpr10_vgpr11
	s_branch .LBB127_349
.LBB127_345:
	s_mov_b32 s31, -1
                                        ; implicit-def: $vgpr10_vgpr11
.LBB127_346:
	s_delay_alu instid0(SALU_CYCLE_1)
	s_and_not1_b32 vcc_lo, exec_lo, s31
	s_cbranch_vccnz .LBB127_348
; %bb.347:
	global_load_b32 v1, v[6:7], off
	s_wait_loadcnt 0x0
	v_trunc_f32_e32 v1, v1
	s_delay_alu instid0(VALU_DEP_1) | instskip(SKIP_1) | instid1(VALU_DEP_2)
	v_mul_f32_e64 v3, 0x2f800000, |v1|
	v_ashrrev_i32_e32 v10, 31, v1
	v_floor_f32_e32 v3, v3
	s_delay_alu instid0(VALU_DEP_1) | instskip(SKIP_1) | instid1(VALU_DEP_2)
	v_fma_f32 v11, 0xcf800000, v3, |v1|
	v_cvt_u32_f32_e32 v1, v3
	v_cvt_u32_f32_e32 v3, v11
	s_delay_alu instid0(VALU_DEP_2) | instskip(NEXT) | instid1(VALU_DEP_2)
	v_dual_mov_b32 v11, v10 :: v_dual_bitop2_b32 v13, v1, v10 bitop3:0x14
	v_xor_b32_e32 v12, v3, v10
	s_delay_alu instid0(VALU_DEP_1)
	v_sub_nc_u64_e32 v[10:11], v[12:13], v[10:11]
.LBB127_348:
	s_mov_b32 s31, 0
.LBB127_349:
	s_delay_alu instid0(SALU_CYCLE_1)
	s_and_not1_b32 vcc_lo, exec_lo, s31
	s_cbranch_vccnz .LBB127_351
; %bb.350:
	global_load_b32 v1, v[6:7], off
	s_wait_loadcnt 0x0
	v_cvt_f32_f16_e32 v1, v1
	s_delay_alu instid0(VALU_DEP_1) | instskip(NEXT) | instid1(VALU_DEP_1)
	v_cvt_i32_f32_e32 v10, v1
	v_ashrrev_i32_e32 v11, 31, v10
.LBB127_351:
	s_mov_b32 s31, 0
.LBB127_352:
	s_delay_alu instid0(SALU_CYCLE_1)
	s_and_not1_b32 vcc_lo, exec_lo, s31
	s_cbranch_vccnz .LBB127_363
; %bb.353:
	s_cmp_lt_i32 s0, 6
	s_cbranch_scc1 .LBB127_356
; %bb.354:
	s_cmp_gt_i32 s0, 6
	s_cbranch_scc0 .LBB127_357
; %bb.355:
	s_wait_loadcnt 0x0
	global_load_b64 v[10:11], v[6:7], off
	s_mov_b32 s31, 0
	s_wait_loadcnt 0x0
	v_trunc_f64_e32 v[10:11], v[10:11]
	s_delay_alu instid0(VALU_DEP_1) | instskip(NEXT) | instid1(VALU_DEP_1)
	v_ldexp_f64 v[12:13], v[10:11], 0xffffffe0
	v_floor_f64_e32 v[12:13], v[12:13]
	s_delay_alu instid0(VALU_DEP_1) | instskip(SKIP_1) | instid1(VALU_DEP_2)
	v_fmamk_f64 v[14:15], v[12:13], 0xc1f00000, v[10:11]
	v_cvt_i32_f64_e32 v11, v[12:13]
	v_cvt_u32_f64_e32 v10, v[14:15]
	s_branch .LBB127_358
.LBB127_356:
	s_mov_b32 s31, -1
                                        ; implicit-def: $vgpr10_vgpr11
	s_branch .LBB127_361
.LBB127_357:
	s_mov_b32 s31, -1
                                        ; implicit-def: $vgpr10_vgpr11
.LBB127_358:
	s_delay_alu instid0(SALU_CYCLE_1)
	s_and_not1_b32 vcc_lo, exec_lo, s31
	s_cbranch_vccnz .LBB127_360
; %bb.359:
	global_load_b32 v1, v[6:7], off
	s_wait_loadcnt 0x0
	v_trunc_f32_e32 v1, v1
	s_delay_alu instid0(VALU_DEP_1) | instskip(SKIP_1) | instid1(VALU_DEP_2)
	v_mul_f32_e64 v3, 0x2f800000, |v1|
	v_ashrrev_i32_e32 v10, 31, v1
	v_floor_f32_e32 v3, v3
	s_delay_alu instid0(VALU_DEP_1) | instskip(SKIP_1) | instid1(VALU_DEP_2)
	v_fma_f32 v11, 0xcf800000, v3, |v1|
	v_cvt_u32_f32_e32 v1, v3
	v_cvt_u32_f32_e32 v3, v11
	s_delay_alu instid0(VALU_DEP_2) | instskip(NEXT) | instid1(VALU_DEP_2)
	v_dual_mov_b32 v11, v10 :: v_dual_bitop2_b32 v13, v1, v10 bitop3:0x14
	v_xor_b32_e32 v12, v3, v10
	s_delay_alu instid0(VALU_DEP_1)
	v_sub_nc_u64_e32 v[10:11], v[12:13], v[10:11]
.LBB127_360:
	s_mov_b32 s31, 0
.LBB127_361:
	s_delay_alu instid0(SALU_CYCLE_1)
	s_and_not1_b32 vcc_lo, exec_lo, s31
	s_cbranch_vccnz .LBB127_363
; %bb.362:
	global_load_u16 v1, v[6:7], off
	s_wait_loadcnt 0x0
	v_cvt_f32_f16_e32 v1, v1
	s_delay_alu instid0(VALU_DEP_1) | instskip(NEXT) | instid1(VALU_DEP_1)
	v_cvt_i32_f32_e32 v10, v1
	v_ashrrev_i32_e32 v11, 31, v10
.LBB127_363:
	s_mov_b32 s31, 0
.LBB127_364:
	s_delay_alu instid0(SALU_CYCLE_1)
	s_and_not1_b32 vcc_lo, exec_lo, s31
	s_cbranch_vccnz .LBB127_384
; %bb.365:
	s_cmp_lt_i32 s0, 2
	s_cbranch_scc1 .LBB127_369
; %bb.366:
	s_cmp_lt_i32 s0, 3
	s_cbranch_scc1 .LBB127_370
; %bb.367:
	s_cmp_gt_i32 s0, 3
	s_cbranch_scc0 .LBB127_371
; %bb.368:
	s_wait_loadcnt 0x0
	global_load_b64 v[10:11], v[6:7], off
	s_mov_b32 s31, 0
	s_branch .LBB127_372
.LBB127_369:
	s_mov_b32 s31, -1
                                        ; implicit-def: $vgpr10_vgpr11
	s_branch .LBB127_378
.LBB127_370:
	s_mov_b32 s31, -1
                                        ; implicit-def: $vgpr10_vgpr11
	s_branch .LBB127_375
.LBB127_371:
	s_mov_b32 s31, -1
                                        ; implicit-def: $vgpr10_vgpr11
.LBB127_372:
	s_delay_alu instid0(SALU_CYCLE_1)
	s_and_not1_b32 vcc_lo, exec_lo, s31
	s_cbranch_vccnz .LBB127_374
; %bb.373:
	s_wait_loadcnt 0x0
	global_load_b32 v10, v[6:7], off
	s_wait_loadcnt 0x0
	v_ashrrev_i32_e32 v11, 31, v10
.LBB127_374:
	s_mov_b32 s31, 0
.LBB127_375:
	s_delay_alu instid0(SALU_CYCLE_1)
	s_and_not1_b32 vcc_lo, exec_lo, s31
	s_cbranch_vccnz .LBB127_377
; %bb.376:
	global_load_u16 v1, v[6:7], off
	s_wait_loadcnt 0x0
	v_bfe_i32 v10, v1, 0, 16
	s_delay_alu instid0(VALU_DEP_1)
	v_ashrrev_i32_e32 v11, 31, v10
.LBB127_377:
	s_mov_b32 s31, 0
.LBB127_378:
	s_delay_alu instid0(SALU_CYCLE_1)
	s_and_not1_b32 vcc_lo, exec_lo, s31
	s_cbranch_vccnz .LBB127_384
; %bb.379:
	s_cmp_gt_i32 s0, 0
	s_mov_b32 s0, 0
	s_cbranch_scc0 .LBB127_381
; %bb.380:
	global_load_i8 v1, v[6:7], off
	s_wait_loadcnt 0x0
	v_bfe_i32 v10, v1, 0, 16
	s_delay_alu instid0(VALU_DEP_1)
	v_ashrrev_i32_e32 v11, 31, v10
	s_branch .LBB127_382
.LBB127_381:
	s_mov_b32 s0, -1
                                        ; implicit-def: $vgpr10_vgpr11
.LBB127_382:
	s_delay_alu instid0(SALU_CYCLE_1)
	s_and_not1_b32 vcc_lo, exec_lo, s0
	s_cbranch_vccnz .LBB127_384
; %bb.383:
	global_load_u8 v1, v[6:7], off
	s_mov_b32 s0, 0
	s_wait_loadcnt 0x1
	s_wait_xcnt 0x1
	v_mov_b32_e32 v11, s0
	s_wait_loadcnt 0x0
	v_and_b32_e32 v10, 0xffff, v1
.LBB127_384:
	s_mov_b32 s31, -1
.LBB127_385:
	s_delay_alu instid0(SALU_CYCLE_1)
	s_and_not1_b32 vcc_lo, exec_lo, s31
	s_cbranch_vccnz .LBB127_393
; %bb.386:
	s_wait_loadcnt 0x0
	s_delay_alu instid0(VALU_DEP_3) | instskip(SKIP_2) | instid1(SALU_CYCLE_1)
	v_max_i64 v[4:5], v[4:5], v[8:9]
	v_mov_b32_e32 v3, 0
	s_and_b32 s31, s38, 0xff
	s_cmp_lt_i32 s31, 11
	s_delay_alu instid0(VALU_DEP_1) | instskip(NEXT) | instid1(VALU_DEP_3)
	v_add_nc_u64_e32 v[2:3], s[4:5], v[2:3]
	v_min_i64 v[4:5], v[4:5], v[10:11]
	s_cbranch_scc1 .LBB127_394
; %bb.387:
	s_and_b32 s44, 0xffff, s31
	s_delay_alu instid0(SALU_CYCLE_1)
	s_cmp_gt_i32 s44, 25
	s_cbranch_scc0 .LBB127_395
; %bb.388:
	s_cmp_gt_i32 s44, 28
	s_cbranch_scc0 .LBB127_396
; %bb.389:
	;; [unrolled: 3-line block ×4, first 2 shown]
	s_mov_b32 s47, 0
	s_mov_b32 s0, -1
	s_cmp_eq_u32 s44, 46
	s_mov_b32 s46, 0
	s_cbranch_scc0 .LBB127_399
; %bb.392:
	s_delay_alu instid0(VALU_DEP_1) | instskip(SKIP_3) | instid1(VALU_DEP_2)
	v_xor_b32_e32 v1, v4, v5
	v_cls_i32_e32 v6, v5
	s_mov_b32 s46, -1
	s_mov_b32 s0, 0
	v_ashrrev_i32_e32 v1, 31, v1
	s_delay_alu instid0(VALU_DEP_1) | instskip(NEXT) | instid1(VALU_DEP_1)
	v_add_nc_u32_e32 v1, 32, v1
	v_add_min_u32_e64 v1, v6, -1, v1
	s_delay_alu instid0(VALU_DEP_1) | instskip(SKIP_1) | instid1(VALU_DEP_2)
	v_lshlrev_b64_e32 v[6:7], v1, v[4:5]
	v_sub_nc_u32_e32 v1, 32, v1
	v_min_u32_e32 v6, 1, v6
	s_delay_alu instid0(VALU_DEP_1) | instskip(NEXT) | instid1(VALU_DEP_1)
	v_or_b32_e32 v6, v7, v6
	v_cvt_f32_i32_e32 v6, v6
	s_delay_alu instid0(VALU_DEP_1) | instskip(NEXT) | instid1(VALU_DEP_1)
	v_ldexp_f32 v1, v6, v1
	v_bfe_u32 v6, v1, 16, 1
	s_delay_alu instid0(VALU_DEP_1) | instskip(NEXT) | instid1(VALU_DEP_1)
	v_add3_u32 v1, v1, v6, 0x7fff
	v_lshrrev_b32_e32 v1, 16, v1
	global_store_b32 v[2:3], v1, off
	s_branch .LBB127_399
.LBB127_393:
	s_mov_b32 s0, 0
	s_branch .LBB127_509
.LBB127_394:
	s_mov_b32 s44, -1
	s_mov_b32 s0, 0
	s_mov_b32 s46, 0
	s_branch .LBB127_468
.LBB127_395:
	s_mov_b32 s47, -1
	s_mov_b32 s0, 0
	s_mov_b32 s46, 0
	s_branch .LBB127_426
.LBB127_396:
	s_mov_b32 s47, -1
	s_mov_b32 s0, 0
	s_mov_b32 s46, 0
	s_branch .LBB127_409
.LBB127_397:
	s_mov_b32 s47, -1
	s_mov_b32 s0, 0
	s_mov_b32 s46, 0
	s_branch .LBB127_405
.LBB127_398:
	s_mov_b32 s47, -1
	s_mov_b32 s0, 0
	s_mov_b32 s46, 0
.LBB127_399:
	s_and_b32 vcc_lo, exec_lo, s47
	s_cbranch_vccz .LBB127_404
; %bb.400:
	s_cmp_eq_u32 s44, 44
	s_mov_b32 s0, -1
	s_cbranch_scc0 .LBB127_404
; %bb.401:
	s_wait_xcnt 0x0
	s_delay_alu instid0(VALU_DEP_1) | instskip(SKIP_3) | instid1(VALU_DEP_2)
	v_xor_b32_e32 v1, v4, v5
	v_cls_i32_e32 v6, v5
	s_mov_b32 s46, -1
	s_mov_b32 s47, exec_lo
	v_ashrrev_i32_e32 v1, 31, v1
	s_delay_alu instid0(VALU_DEP_1) | instskip(NEXT) | instid1(VALU_DEP_1)
	v_add_nc_u32_e32 v1, 32, v1
	v_add_min_u32_e64 v1, v6, -1, v1
	s_delay_alu instid0(VALU_DEP_1) | instskip(SKIP_1) | instid1(VALU_DEP_2)
	v_lshlrev_b64_e32 v[6:7], v1, v[4:5]
	v_sub_nc_u32_e32 v1, 32, v1
	v_min_u32_e32 v6, 1, v6
	s_delay_alu instid0(VALU_DEP_1) | instskip(NEXT) | instid1(VALU_DEP_1)
	v_or_b32_e32 v6, v7, v6
	v_cvt_f32_i32_e32 v6, v6
	s_delay_alu instid0(VALU_DEP_1) | instskip(SKIP_1) | instid1(VALU_DEP_2)
	v_ldexp_f32 v1, v6, v1
	v_mov_b32_e32 v6, 0xff
	v_bfe_u32 v7, v1, 23, 8
	s_delay_alu instid0(VALU_DEP_1)
	v_cmpx_ne_u32_e32 0xff, v7
	s_cbranch_execz .LBB127_403
; %bb.402:
	v_and_b32_e32 v6, 0x400000, v1
	v_and_or_b32 v7, 0x3fffff, v1, v7
	v_lshrrev_b32_e32 v1, 23, v1
	s_delay_alu instid0(VALU_DEP_3) | instskip(NEXT) | instid1(VALU_DEP_3)
	v_cmp_ne_u32_e32 vcc_lo, 0, v6
	v_cmp_ne_u32_e64 s0, 0, v7
	s_and_b32 s0, vcc_lo, s0
	s_delay_alu instid0(SALU_CYCLE_1) | instskip(NEXT) | instid1(VALU_DEP_1)
	v_cndmask_b32_e64 v6, 0, 1, s0
	v_add_nc_u32_e32 v6, v1, v6
.LBB127_403:
	s_or_b32 exec_lo, exec_lo, s47
	s_mov_b32 s0, 0
	global_store_b8 v[2:3], v6, off
.LBB127_404:
	s_mov_b32 s47, 0
.LBB127_405:
	s_delay_alu instid0(SALU_CYCLE_1)
	s_and_b32 vcc_lo, exec_lo, s47
	s_cbranch_vccz .LBB127_408
; %bb.406:
	s_cmp_eq_u32 s44, 29
	s_mov_b32 s0, -1
	s_cbranch_scc0 .LBB127_408
; %bb.407:
	s_mov_b32 s46, -1
	s_mov_b32 s0, 0
	global_store_b64 v[2:3], v[4:5], off
.LBB127_408:
	s_mov_b32 s47, 0
.LBB127_409:
	s_delay_alu instid0(SALU_CYCLE_1)
	s_and_b32 vcc_lo, exec_lo, s47
	s_cbranch_vccz .LBB127_425
; %bb.410:
	s_cmp_lt_i32 s44, 27
	s_mov_b32 s46, -1
	s_cbranch_scc1 .LBB127_416
; %bb.411:
	s_cmp_gt_i32 s44, 27
	s_cbranch_scc0 .LBB127_413
; %bb.412:
	s_mov_b32 s46, 0
	global_store_b32 v[2:3], v4, off
.LBB127_413:
	s_and_not1_b32 vcc_lo, exec_lo, s46
	s_cbranch_vccnz .LBB127_415
; %bb.414:
	global_store_b16 v[2:3], v4, off
.LBB127_415:
	s_mov_b32 s46, 0
.LBB127_416:
	s_delay_alu instid0(SALU_CYCLE_1)
	s_and_not1_b32 vcc_lo, exec_lo, s46
	s_cbranch_vccnz .LBB127_424
; %bb.417:
	s_wait_xcnt 0x0
	s_delay_alu instid0(VALU_DEP_1) | instskip(SKIP_2) | instid1(VALU_DEP_2)
	v_xor_b32_e32 v1, v4, v5
	v_cls_i32_e32 v6, v5
	s_mov_b32 s46, exec_lo
	v_ashrrev_i32_e32 v1, 31, v1
	s_delay_alu instid0(VALU_DEP_1) | instskip(NEXT) | instid1(VALU_DEP_1)
	v_add_nc_u32_e32 v1, 32, v1
	v_add_min_u32_e64 v1, v6, -1, v1
	s_delay_alu instid0(VALU_DEP_1) | instskip(SKIP_1) | instid1(VALU_DEP_2)
	v_lshlrev_b64_e32 v[6:7], v1, v[4:5]
	v_sub_nc_u32_e32 v1, 32, v1
	v_min_u32_e32 v6, 1, v6
	s_delay_alu instid0(VALU_DEP_1) | instskip(SKIP_1) | instid1(VALU_DEP_2)
	v_or_b32_e32 v6, v7, v6
	v_mov_b32_e32 v7, 0x80
	v_cvt_f32_i32_e32 v6, v6
	s_delay_alu instid0(VALU_DEP_1) | instskip(NEXT) | instid1(VALU_DEP_1)
	v_ldexp_f32 v1, v6, v1
	v_and_b32_e32 v6, 0x7fffffff, v1
	s_delay_alu instid0(VALU_DEP_1)
	v_cmpx_gt_u32_e32 0x43800000, v6
	s_cbranch_execz .LBB127_423
; %bb.418:
	v_cmp_lt_u32_e32 vcc_lo, 0x3bffffff, v6
	s_mov_b32 s47, 0
                                        ; implicit-def: $vgpr6
	s_and_saveexec_b32 s48, vcc_lo
	s_delay_alu instid0(SALU_CYCLE_1)
	s_xor_b32 s48, exec_lo, s48
	s_cbranch_execz .LBB127_664
; %bb.419:
	v_bfe_u32 v6, v1, 20, 1
	s_mov_b32 s47, exec_lo
	s_delay_alu instid0(VALU_DEP_1) | instskip(NEXT) | instid1(VALU_DEP_1)
	v_add3_u32 v6, v1, v6, 0x487ffff
	v_lshrrev_b32_e32 v6, 20, v6
	s_and_not1_saveexec_b32 s48, s48
	s_cbranch_execnz .LBB127_665
.LBB127_420:
	s_or_b32 exec_lo, exec_lo, s48
	v_mov_b32_e32 v7, 0
	s_and_saveexec_b32 s48, s47
.LBB127_421:
	v_lshrrev_b32_e32 v1, 24, v1
	s_delay_alu instid0(VALU_DEP_1)
	v_and_or_b32 v7, 0x80, v1, v6
.LBB127_422:
	s_or_b32 exec_lo, exec_lo, s48
.LBB127_423:
	s_delay_alu instid0(SALU_CYCLE_1)
	s_or_b32 exec_lo, exec_lo, s46
	global_store_b8 v[2:3], v7, off
.LBB127_424:
	s_mov_b32 s46, -1
.LBB127_425:
	s_mov_b32 s47, 0
.LBB127_426:
	s_delay_alu instid0(SALU_CYCLE_1)
	s_and_b32 vcc_lo, exec_lo, s47
	s_cbranch_vccz .LBB127_467
; %bb.427:
	s_cmp_gt_i32 s44, 22
	s_mov_b32 s47, -1
	s_cbranch_scc0 .LBB127_459
; %bb.428:
	s_cmp_lt_i32 s44, 24
	s_mov_b32 s46, -1
	s_cbranch_scc1 .LBB127_448
; %bb.429:
	s_cmp_gt_i32 s44, 24
	s_cbranch_scc0 .LBB127_437
; %bb.430:
	s_wait_xcnt 0x0
	s_delay_alu instid0(VALU_DEP_1) | instskip(SKIP_2) | instid1(VALU_DEP_2)
	v_xor_b32_e32 v1, v4, v5
	v_cls_i32_e32 v6, v5
	s_mov_b32 s46, exec_lo
	v_ashrrev_i32_e32 v1, 31, v1
	s_delay_alu instid0(VALU_DEP_1) | instskip(NEXT) | instid1(VALU_DEP_1)
	v_add_nc_u32_e32 v1, 32, v1
	v_add_min_u32_e64 v1, v6, -1, v1
	s_delay_alu instid0(VALU_DEP_1) | instskip(SKIP_1) | instid1(VALU_DEP_2)
	v_lshlrev_b64_e32 v[6:7], v1, v[4:5]
	v_sub_nc_u32_e32 v1, 32, v1
	v_min_u32_e32 v6, 1, v6
	s_delay_alu instid0(VALU_DEP_1) | instskip(SKIP_1) | instid1(VALU_DEP_2)
	v_or_b32_e32 v6, v7, v6
	v_mov_b32_e32 v7, 0x80
	v_cvt_f32_i32_e32 v6, v6
	s_delay_alu instid0(VALU_DEP_1) | instskip(NEXT) | instid1(VALU_DEP_1)
	v_ldexp_f32 v1, v6, v1
	v_and_b32_e32 v6, 0x7fffffff, v1
	s_delay_alu instid0(VALU_DEP_1)
	v_cmpx_gt_u32_e32 0x47800000, v6
	s_cbranch_execz .LBB127_436
; %bb.431:
	v_cmp_lt_u32_e32 vcc_lo, 0x37ffffff, v6
	s_mov_b32 s47, 0
                                        ; implicit-def: $vgpr6
	s_and_saveexec_b32 s48, vcc_lo
	s_delay_alu instid0(SALU_CYCLE_1)
	s_xor_b32 s48, exec_lo, s48
	s_cbranch_execz .LBB127_792
; %bb.432:
	v_bfe_u32 v6, v1, 21, 1
	s_mov_b32 s47, exec_lo
	s_delay_alu instid0(VALU_DEP_1) | instskip(NEXT) | instid1(VALU_DEP_1)
	v_add3_u32 v6, v1, v6, 0x88fffff
	v_lshrrev_b32_e32 v6, 21, v6
	s_and_not1_saveexec_b32 s48, s48
	s_cbranch_execnz .LBB127_793
.LBB127_433:
	s_or_b32 exec_lo, exec_lo, s48
	v_mov_b32_e32 v7, 0
	s_and_saveexec_b32 s48, s47
.LBB127_434:
	v_lshrrev_b32_e32 v1, 24, v1
	s_delay_alu instid0(VALU_DEP_1)
	v_and_or_b32 v7, 0x80, v1, v6
.LBB127_435:
	s_or_b32 exec_lo, exec_lo, s48
.LBB127_436:
	s_delay_alu instid0(SALU_CYCLE_1)
	s_or_b32 exec_lo, exec_lo, s46
	s_mov_b32 s46, 0
	global_store_b8 v[2:3], v7, off
.LBB127_437:
	s_and_b32 vcc_lo, exec_lo, s46
	s_cbranch_vccz .LBB127_447
; %bb.438:
	s_wait_xcnt 0x0
	s_delay_alu instid0(VALU_DEP_1) | instskip(SKIP_2) | instid1(VALU_DEP_2)
	v_xor_b32_e32 v1, v4, v5
	v_cls_i32_e32 v6, v5
	s_mov_b32 s46, exec_lo
	v_ashrrev_i32_e32 v1, 31, v1
	s_delay_alu instid0(VALU_DEP_1) | instskip(NEXT) | instid1(VALU_DEP_1)
	v_add_nc_u32_e32 v1, 32, v1
	v_add_min_u32_e64 v1, v6, -1, v1
	s_delay_alu instid0(VALU_DEP_1) | instskip(SKIP_1) | instid1(VALU_DEP_2)
	v_lshlrev_b64_e32 v[6:7], v1, v[4:5]
	v_sub_nc_u32_e32 v1, 32, v1
	v_min_u32_e32 v6, 1, v6
	s_delay_alu instid0(VALU_DEP_1) | instskip(NEXT) | instid1(VALU_DEP_1)
	v_or_b32_e32 v6, v7, v6
	v_cvt_f32_i32_e32 v6, v6
	s_delay_alu instid0(VALU_DEP_1) | instskip(NEXT) | instid1(VALU_DEP_1)
	v_ldexp_f32 v1, v6, v1
                                        ; implicit-def: $vgpr6
	v_and_b32_e32 v7, 0x7fffffff, v1
	s_delay_alu instid0(VALU_DEP_1)
	v_cmpx_gt_u32_e32 0x43f00000, v7
	s_xor_b32 s46, exec_lo, s46
	s_cbranch_execz .LBB127_444
; %bb.439:
	s_mov_b32 s47, exec_lo
                                        ; implicit-def: $vgpr6
	v_cmpx_lt_u32_e32 0x3c7fffff, v7
	s_xor_b32 s47, exec_lo, s47
; %bb.440:
	v_bfe_u32 v6, v1, 20, 1
	s_delay_alu instid0(VALU_DEP_1) | instskip(NEXT) | instid1(VALU_DEP_1)
	v_add3_u32 v6, v1, v6, 0x407ffff
	v_and_b32_e32 v7, 0xff00000, v6
	v_lshrrev_b32_e32 v6, 20, v6
	s_delay_alu instid0(VALU_DEP_2) | instskip(NEXT) | instid1(VALU_DEP_2)
	v_cmp_ne_u32_e32 vcc_lo, 0x7f00000, v7
	v_cndmask_b32_e32 v6, 0x7e, v6, vcc_lo
; %bb.441:
	s_and_not1_saveexec_b32 s47, s47
; %bb.442:
	v_add_f32_e64 v6, 0x46800000, |v1|
; %bb.443:
	s_or_b32 exec_lo, exec_lo, s47
                                        ; implicit-def: $vgpr7
.LBB127_444:
	s_and_not1_saveexec_b32 s46, s46
; %bb.445:
	v_mov_b32_e32 v6, 0x7f
	v_cmp_lt_u32_e32 vcc_lo, 0x7f800000, v7
	s_delay_alu instid0(VALU_DEP_2)
	v_cndmask_b32_e32 v6, 0x7e, v6, vcc_lo
; %bb.446:
	s_or_b32 exec_lo, exec_lo, s46
	v_lshrrev_b32_e32 v1, 24, v1
	s_delay_alu instid0(VALU_DEP_1)
	v_and_or_b32 v1, 0x80, v1, v6
	global_store_b8 v[2:3], v1, off
.LBB127_447:
	s_mov_b32 s46, 0
.LBB127_448:
	s_delay_alu instid0(SALU_CYCLE_1)
	s_and_not1_b32 vcc_lo, exec_lo, s46
	s_cbranch_vccnz .LBB127_458
; %bb.449:
	s_wait_xcnt 0x0
	s_delay_alu instid0(VALU_DEP_1) | instskip(SKIP_2) | instid1(VALU_DEP_2)
	v_xor_b32_e32 v1, v4, v5
	v_cls_i32_e32 v6, v5
	s_mov_b32 s46, exec_lo
	v_ashrrev_i32_e32 v1, 31, v1
	s_delay_alu instid0(VALU_DEP_1) | instskip(NEXT) | instid1(VALU_DEP_1)
	v_add_nc_u32_e32 v1, 32, v1
	v_add_min_u32_e64 v1, v6, -1, v1
	s_delay_alu instid0(VALU_DEP_1) | instskip(SKIP_1) | instid1(VALU_DEP_2)
	v_lshlrev_b64_e32 v[6:7], v1, v[4:5]
	v_sub_nc_u32_e32 v1, 32, v1
	v_min_u32_e32 v6, 1, v6
	s_delay_alu instid0(VALU_DEP_1) | instskip(NEXT) | instid1(VALU_DEP_1)
	v_or_b32_e32 v6, v7, v6
	v_cvt_f32_i32_e32 v6, v6
	s_delay_alu instid0(VALU_DEP_1) | instskip(NEXT) | instid1(VALU_DEP_1)
	v_ldexp_f32 v1, v6, v1
                                        ; implicit-def: $vgpr6
	v_and_b32_e32 v7, 0x7fffffff, v1
	s_delay_alu instid0(VALU_DEP_1)
	v_cmpx_gt_u32_e32 0x47800000, v7
	s_xor_b32 s46, exec_lo, s46
	s_cbranch_execz .LBB127_455
; %bb.450:
	s_mov_b32 s47, exec_lo
                                        ; implicit-def: $vgpr6
	v_cmpx_lt_u32_e32 0x387fffff, v7
	s_xor_b32 s47, exec_lo, s47
; %bb.451:
	v_bfe_u32 v6, v1, 21, 1
	s_delay_alu instid0(VALU_DEP_1) | instskip(NEXT) | instid1(VALU_DEP_1)
	v_add3_u32 v6, v1, v6, 0x80fffff
	v_lshrrev_b32_e32 v6, 21, v6
; %bb.452:
	s_and_not1_saveexec_b32 s47, s47
; %bb.453:
	v_add_f32_e64 v6, 0x43000000, |v1|
; %bb.454:
	s_or_b32 exec_lo, exec_lo, s47
                                        ; implicit-def: $vgpr7
.LBB127_455:
	s_and_not1_saveexec_b32 s46, s46
; %bb.456:
	v_mov_b32_e32 v6, 0x7f
	v_cmp_lt_u32_e32 vcc_lo, 0x7f800000, v7
	s_delay_alu instid0(VALU_DEP_2)
	v_cndmask_b32_e32 v6, 0x7c, v6, vcc_lo
; %bb.457:
	s_or_b32 exec_lo, exec_lo, s46
	v_lshrrev_b32_e32 v1, 24, v1
	s_delay_alu instid0(VALU_DEP_1)
	v_and_or_b32 v1, 0x80, v1, v6
	global_store_b8 v[2:3], v1, off
.LBB127_458:
	s_mov_b32 s47, 0
	s_mov_b32 s46, -1
.LBB127_459:
	s_and_not1_b32 vcc_lo, exec_lo, s47
	s_cbranch_vccnz .LBB127_467
; %bb.460:
	s_cmp_gt_i32 s44, 14
	s_mov_b32 s47, -1
	s_cbranch_scc0 .LBB127_464
; %bb.461:
	s_cmp_eq_u32 s44, 15
	s_mov_b32 s0, -1
	s_cbranch_scc0 .LBB127_463
; %bb.462:
	s_wait_xcnt 0x0
	s_delay_alu instid0(VALU_DEP_1) | instskip(SKIP_3) | instid1(VALU_DEP_2)
	v_xor_b32_e32 v1, v4, v5
	v_cls_i32_e32 v6, v5
	s_mov_b32 s46, -1
	s_mov_b32 s0, 0
	v_ashrrev_i32_e32 v1, 31, v1
	s_delay_alu instid0(VALU_DEP_1) | instskip(NEXT) | instid1(VALU_DEP_1)
	v_add_nc_u32_e32 v1, 32, v1
	v_add_min_u32_e64 v1, v6, -1, v1
	s_delay_alu instid0(VALU_DEP_1) | instskip(SKIP_1) | instid1(VALU_DEP_2)
	v_lshlrev_b64_e32 v[6:7], v1, v[4:5]
	v_sub_nc_u32_e32 v1, 32, v1
	v_min_u32_e32 v6, 1, v6
	s_delay_alu instid0(VALU_DEP_1) | instskip(NEXT) | instid1(VALU_DEP_1)
	v_or_b32_e32 v6, v7, v6
	v_cvt_f32_i32_e32 v6, v6
	s_delay_alu instid0(VALU_DEP_1) | instskip(NEXT) | instid1(VALU_DEP_1)
	v_ldexp_f32 v1, v6, v1
	v_bfe_u32 v6, v1, 16, 1
	s_delay_alu instid0(VALU_DEP_1)
	v_add3_u32 v1, v1, v6, 0x7fff
	global_store_d16_hi_b16 v[2:3], v1, off
.LBB127_463:
	s_mov_b32 s47, 0
.LBB127_464:
	s_delay_alu instid0(SALU_CYCLE_1)
	s_and_b32 vcc_lo, exec_lo, s47
	s_cbranch_vccz .LBB127_467
; %bb.465:
	s_cmp_eq_u32 s44, 11
	s_mov_b32 s0, -1
	s_cbranch_scc0 .LBB127_467
; %bb.466:
	s_delay_alu instid0(VALU_DEP_1)
	v_cmp_ne_u64_e32 vcc_lo, 0, v[4:5]
	s_mov_b32 s46, -1
	s_mov_b32 s0, 0
	s_wait_xcnt 0x0
	v_cndmask_b32_e64 v1, 0, 1, vcc_lo
	global_store_b8 v[2:3], v1, off
.LBB127_467:
	s_mov_b32 s44, 0
.LBB127_468:
	s_delay_alu instid0(SALU_CYCLE_1)
	s_and_b32 vcc_lo, exec_lo, s44
	s_cbranch_vccz .LBB127_507
; %bb.469:
	s_and_b32 s31, 0xffff, s31
	s_mov_b32 s44, -1
	s_cmp_lt_i32 s31, 5
	s_cbranch_scc1 .LBB127_490
; %bb.470:
	s_cmp_lt_i32 s31, 8
	s_cbranch_scc1 .LBB127_480
; %bb.471:
	;; [unrolled: 3-line block ×3, first 2 shown]
	s_cmp_gt_i32 s31, 9
	s_cbranch_scc0 .LBB127_474
; %bb.473:
	s_wait_xcnt 0x0
	s_delay_alu instid0(VALU_DEP_1) | instskip(NEXT) | instid1(VALU_DEP_2)
	v_cvt_f64_i32_e32 v[6:7], v5
	v_cvt_f64_u32_e32 v[8:9], v4
	s_mov_b32 s44, 0
	s_delay_alu instid0(VALU_DEP_2) | instskip(NEXT) | instid1(VALU_DEP_1)
	v_ldexp_f64 v[6:7], v[6:7], 32
	v_dual_add_f64 v[6:7], v[6:7], v[8:9] :: v_dual_mov_b32 v8, 0
	s_delay_alu instid0(VALU_DEP_1)
	v_mov_b32_e32 v9, v8
	global_store_b128 v[2:3], v[6:9], off
.LBB127_474:
	s_and_not1_b32 vcc_lo, exec_lo, s44
	s_cbranch_vccnz .LBB127_476
; %bb.475:
	s_wait_xcnt 0x0
	s_delay_alu instid0(VALU_DEP_1) | instskip(SKIP_1) | instid1(VALU_DEP_2)
	v_xor_b32_e32 v1, v4, v5
	v_cls_i32_e32 v6, v5
	v_ashrrev_i32_e32 v1, 31, v1
	s_delay_alu instid0(VALU_DEP_1) | instskip(NEXT) | instid1(VALU_DEP_1)
	v_add_nc_u32_e32 v1, 32, v1
	v_add_min_u32_e64 v1, v6, -1, v1
	s_delay_alu instid0(VALU_DEP_1) | instskip(SKIP_1) | instid1(VALU_DEP_2)
	v_lshlrev_b64_e32 v[6:7], v1, v[4:5]
	v_sub_nc_u32_e32 v1, 32, v1
	v_min_u32_e32 v6, 1, v6
	s_delay_alu instid0(VALU_DEP_1) | instskip(NEXT) | instid1(VALU_DEP_1)
	v_dual_mov_b32 v7, 0 :: v_dual_bitop2_b32 v6, v7, v6 bitop3:0x54
	v_cvt_f32_i32_e32 v6, v6
	s_delay_alu instid0(VALU_DEP_1)
	v_ldexp_f32 v6, v6, v1
	global_store_b64 v[2:3], v[6:7], off
.LBB127_476:
	s_mov_b32 s44, 0
.LBB127_477:
	s_delay_alu instid0(SALU_CYCLE_1)
	s_and_not1_b32 vcc_lo, exec_lo, s44
	s_cbranch_vccnz .LBB127_479
; %bb.478:
	s_wait_xcnt 0x0
	s_delay_alu instid0(VALU_DEP_1) | instskip(SKIP_1) | instid1(VALU_DEP_2)
	v_xor_b32_e32 v1, v4, v5
	v_cls_i32_e32 v6, v5
	v_ashrrev_i32_e32 v1, 31, v1
	s_delay_alu instid0(VALU_DEP_1) | instskip(NEXT) | instid1(VALU_DEP_1)
	v_add_nc_u32_e32 v1, 32, v1
	v_add_min_u32_e64 v1, v6, -1, v1
	s_delay_alu instid0(VALU_DEP_1) | instskip(SKIP_1) | instid1(VALU_DEP_2)
	v_lshlrev_b64_e32 v[6:7], v1, v[4:5]
	v_sub_nc_u32_e32 v1, 32, v1
	v_min_u32_e32 v6, 1, v6
	s_delay_alu instid0(VALU_DEP_1) | instskip(NEXT) | instid1(VALU_DEP_1)
	v_or_b32_e32 v6, v7, v6
	v_cvt_f32_i32_e32 v6, v6
	s_delay_alu instid0(VALU_DEP_1) | instskip(NEXT) | instid1(VALU_DEP_1)
	v_ldexp_f32 v1, v6, v1
	v_cvt_f16_f32_e32 v1, v1
	s_delay_alu instid0(VALU_DEP_1)
	v_and_b32_e32 v1, 0xffff, v1
	global_store_b32 v[2:3], v1, off
.LBB127_479:
	s_mov_b32 s44, 0
.LBB127_480:
	s_delay_alu instid0(SALU_CYCLE_1)
	s_and_not1_b32 vcc_lo, exec_lo, s44
	s_cbranch_vccnz .LBB127_489
; %bb.481:
	s_cmp_lt_i32 s31, 6
	s_mov_b32 s44, -1
	s_cbranch_scc1 .LBB127_487
; %bb.482:
	s_cmp_gt_i32 s31, 6
	s_cbranch_scc0 .LBB127_484
; %bb.483:
	s_wait_xcnt 0x0
	s_delay_alu instid0(VALU_DEP_1) | instskip(NEXT) | instid1(VALU_DEP_2)
	v_cvt_f64_i32_e32 v[6:7], v5
	v_cvt_f64_u32_e32 v[8:9], v4
	s_mov_b32 s44, 0
	s_delay_alu instid0(VALU_DEP_2) | instskip(NEXT) | instid1(VALU_DEP_1)
	v_ldexp_f64 v[6:7], v[6:7], 32
	v_add_f64_e32 v[6:7], v[6:7], v[8:9]
	global_store_b64 v[2:3], v[6:7], off
.LBB127_484:
	s_and_not1_b32 vcc_lo, exec_lo, s44
	s_cbranch_vccnz .LBB127_486
; %bb.485:
	s_wait_xcnt 0x0
	s_delay_alu instid0(VALU_DEP_1) | instskip(SKIP_1) | instid1(VALU_DEP_2)
	v_xor_b32_e32 v1, v4, v5
	v_cls_i32_e32 v6, v5
	v_ashrrev_i32_e32 v1, 31, v1
	s_delay_alu instid0(VALU_DEP_1) | instskip(NEXT) | instid1(VALU_DEP_1)
	v_add_nc_u32_e32 v1, 32, v1
	v_add_min_u32_e64 v1, v6, -1, v1
	s_delay_alu instid0(VALU_DEP_1) | instskip(SKIP_1) | instid1(VALU_DEP_2)
	v_lshlrev_b64_e32 v[6:7], v1, v[4:5]
	v_sub_nc_u32_e32 v1, 32, v1
	v_min_u32_e32 v6, 1, v6
	s_delay_alu instid0(VALU_DEP_1) | instskip(NEXT) | instid1(VALU_DEP_1)
	v_or_b32_e32 v6, v7, v6
	v_cvt_f32_i32_e32 v6, v6
	s_delay_alu instid0(VALU_DEP_1)
	v_ldexp_f32 v1, v6, v1
	global_store_b32 v[2:3], v1, off
.LBB127_486:
	s_mov_b32 s44, 0
.LBB127_487:
	s_delay_alu instid0(SALU_CYCLE_1)
	s_and_not1_b32 vcc_lo, exec_lo, s44
	s_cbranch_vccnz .LBB127_489
; %bb.488:
	s_wait_xcnt 0x0
	s_delay_alu instid0(VALU_DEP_1) | instskip(SKIP_1) | instid1(VALU_DEP_2)
	v_xor_b32_e32 v1, v4, v5
	v_cls_i32_e32 v6, v5
	v_ashrrev_i32_e32 v1, 31, v1
	s_delay_alu instid0(VALU_DEP_1) | instskip(NEXT) | instid1(VALU_DEP_1)
	v_add_nc_u32_e32 v1, 32, v1
	v_add_min_u32_e64 v1, v6, -1, v1
	s_delay_alu instid0(VALU_DEP_1) | instskip(SKIP_1) | instid1(VALU_DEP_2)
	v_lshlrev_b64_e32 v[6:7], v1, v[4:5]
	v_sub_nc_u32_e32 v1, 32, v1
	v_min_u32_e32 v6, 1, v6
	s_delay_alu instid0(VALU_DEP_1) | instskip(NEXT) | instid1(VALU_DEP_1)
	v_or_b32_e32 v6, v7, v6
	v_cvt_f32_i32_e32 v6, v6
	s_delay_alu instid0(VALU_DEP_1) | instskip(NEXT) | instid1(VALU_DEP_1)
	v_ldexp_f32 v1, v6, v1
	v_cvt_f16_f32_e32 v1, v1
	global_store_b16 v[2:3], v1, off
.LBB127_489:
	s_mov_b32 s44, 0
.LBB127_490:
	s_delay_alu instid0(SALU_CYCLE_1)
	s_and_not1_b32 vcc_lo, exec_lo, s44
	s_cbranch_vccnz .LBB127_506
; %bb.491:
	s_cmp_lt_i32 s31, 2
	s_mov_b32 s44, -1
	s_cbranch_scc1 .LBB127_501
; %bb.492:
	s_cmp_lt_i32 s31, 3
	s_cbranch_scc1 .LBB127_498
; %bb.493:
	s_cmp_gt_i32 s31, 3
	s_cbranch_scc0 .LBB127_495
; %bb.494:
	s_mov_b32 s44, 0
	global_store_b64 v[2:3], v[4:5], off
.LBB127_495:
	s_and_not1_b32 vcc_lo, exec_lo, s44
	s_cbranch_vccnz .LBB127_497
; %bb.496:
	global_store_b32 v[2:3], v4, off
.LBB127_497:
	s_mov_b32 s44, 0
.LBB127_498:
	s_delay_alu instid0(SALU_CYCLE_1)
	s_and_not1_b32 vcc_lo, exec_lo, s44
	s_cbranch_vccnz .LBB127_500
; %bb.499:
	global_store_b16 v[2:3], v4, off
.LBB127_500:
	s_mov_b32 s44, 0
.LBB127_501:
	s_delay_alu instid0(SALU_CYCLE_1)
	s_and_not1_b32 vcc_lo, exec_lo, s44
	s_cbranch_vccnz .LBB127_506
; %bb.502:
	s_cmp_gt_i32 s31, 0
	s_mov_b32 s31, -1
	s_cbranch_scc0 .LBB127_504
; %bb.503:
	s_mov_b32 s31, 0
	global_store_b8 v[2:3], v4, off
.LBB127_504:
	s_and_not1_b32 vcc_lo, exec_lo, s31
	s_cbranch_vccnz .LBB127_506
; %bb.505:
	global_store_b8 v[2:3], v4, off
.LBB127_506:
	s_mov_b32 s46, -1
.LBB127_507:
	s_delay_alu instid0(SALU_CYCLE_1)
	s_and_not1_b32 vcc_lo, exec_lo, s46
	s_cbranch_vccnz .LBB127_509
; %bb.508:
	v_add_nc_u32_e32 v0, 0x80, v0
	s_mov_b32 s31, -1
	s_branch .LBB127_510
.LBB127_509:
	s_mov_b32 s31, 0
                                        ; implicit-def: $vgpr0
.LBB127_510:
	s_and_b32 s44, s0, exec_lo
	s_and_b32 s46, s30, exec_lo
	;; [unrolled: 1-line block ×4, first 2 shown]
	s_or_not1_b32 s29, s31, exec_lo
.LBB127_511:
	s_wait_xcnt 0x0
	s_or_b32 exec_lo, exec_lo, s49
	s_mov_b32 s30, 0
	s_mov_b32 s28, 0
                                        ; implicit-def: $sgpr0
                                        ; implicit-def: $vgpr10_vgpr11
                                        ; implicit-def: $vgpr2
                                        ; implicit-def: $vgpr6
                                        ; implicit-def: $vgpr8
                                        ; implicit-def: $vgpr4_vgpr5
	s_and_saveexec_b32 s49, s29
	s_cbranch_execz .LBB127_519
; %bb.512:
	s_mov_b32 s31, -1
	s_mov_b32 s50, s48
	s_mov_b32 s53, s47
	;; [unrolled: 1-line block ×4, first 2 shown]
	s_mov_b32 s54, exec_lo
	v_cmpx_gt_i32_e64 s43, v0
	s_cbranch_execz .LBB127_1033
; %bb.513:
	s_and_not1_b32 vcc_lo, exec_lo, s36
	s_cbranch_vccnz .LBB127_522
; %bb.514:
	s_and_not1_b32 vcc_lo, exec_lo, s45
	s_cbranch_vccnz .LBB127_523
; %bb.515:
	s_wait_loadcnt 0x0
	v_dual_mov_b32 v8, 0 :: v_dual_mov_b32 v1, v0
	v_dual_mov_b32 v6, 0 :: v_dual_mov_b32 v2, 0
	v_mov_b32_e32 v4, 0
	s_add_co_i32 s0, s42, 1
	s_mov_b64 s[28:29], 0xffffffffffffffe0
	s_and_b32 s0, s0, 30
	s_add_nc_u64 s[28:29], s[2:3], s[28:29]
	s_mov_b64 s[30:31], s[2:3]
.LBB127_516:                            ; =>This Inner Loop Header: Depth=1
	s_clause 0x1
	s_load_b128 s[64:67], s[30:31], 0x4
	s_load_b64 s[50:51], s[30:31], 0x14
	s_load_b256 s[56:63], s[28:29], 0xe4
	s_add_co_i32 s0, s0, -2
	s_wait_xcnt 0x0
	s_add_nc_u64 s[30:31], s[30:31], 24
	s_cmp_eq_u32 s0, 0
	s_add_nc_u64 s[28:29], s[28:29], 32
	s_wait_kmcnt 0x0
	v_mul_hi_u32 v3, s65, v1
	s_delay_alu instid0(VALU_DEP_1) | instskip(NEXT) | instid1(VALU_DEP_1)
	v_add_nc_u32_e32 v3, v1, v3
	v_lshrrev_b32_e32 v3, s66, v3
	s_delay_alu instid0(VALU_DEP_1) | instskip(SKIP_1) | instid1(VALU_DEP_1)
	v_mul_hi_u32 v5, s50, v3
	v_mul_lo_u32 v7, v3, s64
	v_dual_add_nc_u32 v5, v3, v5 :: v_dual_sub_nc_u32 v7, v1, v7
	s_delay_alu instid0(VALU_DEP_1) | instskip(NEXT) | instid1(VALU_DEP_2)
	v_lshrrev_b32_e32 v1, s51, v5
	v_mad_u32 v4, v7, s57, v4
	v_mad_u32 v2, v7, s56, v2
	;; [unrolled: 1-line block ×4, first 2 shown]
	v_mul_lo_u32 v5, v1, s67
	s_delay_alu instid0(VALU_DEP_1) | instskip(NEXT) | instid1(VALU_DEP_1)
	v_sub_nc_u32_e32 v3, v3, v5
	v_mad_u32 v4, v3, s61, v4
	v_mad_u32 v2, v3, s60, v2
	;; [unrolled: 1-line block ×4, first 2 shown]
	s_cbranch_scc0 .LBB127_516
; %bb.517:
	s_bitcmp1_b32 s42, 0
	s_cselect_b32 s0, -1, 0
	s_delay_alu instid0(SALU_CYCLE_1)
	s_and_b32 vcc_lo, exec_lo, s0
	s_cbranch_vccnz .LBB127_524
; %bb.518:
	s_load_b96 s[60:62], s[30:31], 0x4
	s_load_b128 s[56:59], s[28:29], 0xe4
	s_wait_kmcnt 0x0
	v_mul_hi_u32 v3, s61, v1
	s_delay_alu instid0(VALU_DEP_1) | instskip(NEXT) | instid1(VALU_DEP_1)
	v_add_nc_u32_e32 v3, v1, v3
	v_lshrrev_b32_e32 v3, s62, v3
	s_delay_alu instid0(VALU_DEP_1) | instskip(NEXT) | instid1(VALU_DEP_1)
	v_mul_lo_u32 v3, v3, s60
	v_sub_nc_u32_e32 v1, v1, v3
	s_delay_alu instid0(VALU_DEP_1)
	v_mad_u32 v2, v1, s56, v2
	v_mad_u32 v4, v1, s57, v4
	;; [unrolled: 1-line block ×4, first 2 shown]
	s_branch .LBB127_524
.LBB127_519:
	s_or_b32 exec_lo, exec_lo, s49
	s_mov_b32 s1, 0
	s_and_saveexec_b32 s6, s48
	s_cbranch_execnz .LBB127_1645
.LBB127_520:
	s_or_b32 exec_lo, exec_lo, s6
	s_and_saveexec_b32 s6, s25
	s_delay_alu instid0(SALU_CYCLE_1)
	s_xor_b32 s6, exec_lo, s6
	s_cbranch_execz .LBB127_1646
.LBB127_521:
	s_wait_loadcnt 0x0
	global_load_u8 v0, v[10:11], off
	s_mov_b32 s7, 0
	s_or_b32 s28, s28, exec_lo
	v_mov_b32_e32 v5, s7
	s_wait_loadcnt 0x0
	v_cmp_ne_u16_e32 vcc_lo, 0, v0
	v_cndmask_b32_e64 v4, 0, 1, vcc_lo
	s_wait_xcnt 0x0
	s_or_b32 exec_lo, exec_lo, s6
	s_and_saveexec_b32 s6, s30
	s_cbranch_execz .LBB127_1692
	s_branch .LBB127_1647
.LBB127_522:
                                        ; implicit-def: $vgpr4
                                        ; implicit-def: $vgpr2
                                        ; implicit-def: $vgpr6
                                        ; implicit-def: $vgpr8
	s_branch .LBB127_525
.LBB127_523:
	s_wait_loadcnt 0x0
	v_dual_mov_b32 v4, 0 :: v_dual_mov_b32 v2, 0
	v_dual_mov_b32 v6, 0 :: v_dual_mov_b32 v8, 0
.LBB127_524:
	s_cbranch_execnz .LBB127_527
.LBB127_525:
	v_mov_b32_e32 v1, 0
	s_and_not1_b32 vcc_lo, exec_lo, s41
	s_delay_alu instid0(VALU_DEP_1) | instskip(NEXT) | instid1(VALU_DEP_1)
	v_mul_u64_e32 v[2:3], s[24:25], v[0:1]
	v_add_nc_u32_e32 v2, v0, v3
	s_wait_loadcnt 0x0
	s_delay_alu instid0(VALU_DEP_1) | instskip(NEXT) | instid1(VALU_DEP_1)
	v_lshrrev_b32_e32 v10, s22, v2
	v_mul_lo_u32 v2, v10, s20
	s_delay_alu instid0(VALU_DEP_1) | instskip(NEXT) | instid1(VALU_DEP_1)
	v_sub_nc_u32_e32 v3, v0, v2
	v_mul_lo_u32 v4, v3, s13
	v_mul_lo_u32 v2, v3, s12
	;; [unrolled: 1-line block ×4, first 2 shown]
	s_cbranch_vccnz .LBB127_527
; %bb.526:
	v_mov_b32_e32 v11, v1
	s_delay_alu instid0(VALU_DEP_1) | instskip(NEXT) | instid1(VALU_DEP_1)
	v_mul_u64_e32 v[12:13], s[26:27], v[10:11]
	v_add_nc_u32_e32 v1, v10, v13
	s_delay_alu instid0(VALU_DEP_1) | instskip(NEXT) | instid1(VALU_DEP_1)
	v_lshrrev_b32_e32 v1, s1, v1
	v_mul_lo_u32 v1, v1, s23
	s_delay_alu instid0(VALU_DEP_1) | instskip(NEXT) | instid1(VALU_DEP_1)
	v_sub_nc_u32_e32 v1, v10, v1
	v_mad_u32 v2, v1, s16, v2
	v_mad_u32 v4, v1, s17, v4
	v_mad_u32 v8, v1, s18, v8
	v_mad_u32 v6, v1, s19, v6
.LBB127_527:
	s_wait_loadcnt 0x0
	v_mov_b32_e32 v5, 0
	s_and_b32 s0, s40, 0xff
	s_delay_alu instid0(SALU_CYCLE_1) | instskip(NEXT) | instid1(VALU_DEP_1)
	s_cmp_lt_i32 s0, 11
	v_add_nc_u64_e32 v[10:11], s[6:7], v[4:5]
	s_cbranch_scc1 .LBB127_534
; %bb.528:
	s_and_b32 s29, 0xffff, s0
	s_delay_alu instid0(SALU_CYCLE_1)
	s_cmp_gt_i32 s29, 25
	s_cbranch_scc0 .LBB127_543
; %bb.529:
	s_cmp_gt_i32 s29, 28
	s_cbranch_scc0 .LBB127_545
; %bb.530:
	;; [unrolled: 3-line block ×4, first 2 shown]
	s_cmp_eq_u32 s29, 46
	s_mov_b32 s31, 0
	s_cbranch_scc0 .LBB127_551
; %bb.533:
	global_load_b32 v1, v[10:11], off
	s_mov_b32 s30, -1
	s_mov_b32 s28, 0
	s_wait_loadcnt 0x0
	v_lshlrev_b32_e32 v1, 16, v1
	s_delay_alu instid0(VALU_DEP_1) | instskip(NEXT) | instid1(VALU_DEP_1)
	v_trunc_f32_e32 v1, v1
	v_mul_f32_e64 v3, 0x2f800000, |v1|
	v_ashrrev_i32_e32 v4, 31, v1
	s_delay_alu instid0(VALU_DEP_2) | instskip(NEXT) | instid1(VALU_DEP_1)
	v_floor_f32_e32 v3, v3
	v_fma_f32 v5, 0xcf800000, v3, |v1|
	v_cvt_u32_f32_e32 v1, v3
	s_delay_alu instid0(VALU_DEP_2) | instskip(NEXT) | instid1(VALU_DEP_2)
	v_cvt_u32_f32_e32 v3, v5
	v_dual_mov_b32 v5, v4 :: v_dual_bitop2_b32 v13, v1, v4 bitop3:0x14
	s_delay_alu instid0(VALU_DEP_2) | instskip(NEXT) | instid1(VALU_DEP_1)
	v_xor_b32_e32 v12, v3, v4
	v_sub_nc_u64_e32 v[4:5], v[12:13], v[4:5]
	s_branch .LBB127_553
.LBB127_534:
	s_mov_b32 s30, 0
	s_mov_b32 s28, s48
                                        ; implicit-def: $vgpr4_vgpr5
	s_cbranch_execnz .LBB127_615
.LBB127_535:
	s_and_not1_b32 vcc_lo, exec_lo, s30
	s_cbranch_vccnz .LBB127_663
.LBB127_536:
	v_mov_b32_e32 v9, 0
	s_and_b32 s0, s39, 0xff
	s_delay_alu instid0(SALU_CYCLE_1) | instskip(SKIP_1) | instid1(VALU_DEP_1)
	s_cmp_lt_i32 s0, 11
	s_wait_xcnt 0x0
	v_add_nc_u64_e32 v[10:11], s[8:9], v[8:9]
	s_cbranch_scc1 .LBB127_544
; %bb.537:
	s_and_b32 s30, 0xffff, s0
	s_delay_alu instid0(SALU_CYCLE_1)
	s_cmp_gt_i32 s30, 25
	s_cbranch_scc0 .LBB127_546
; %bb.538:
	s_cmp_gt_i32 s30, 28
	s_cbranch_scc0 .LBB127_548
; %bb.539:
	;; [unrolled: 3-line block ×4, first 2 shown]
	s_cmp_eq_u32 s30, 46
	s_mov_b32 s50, 0
	s_cbranch_scc0 .LBB127_666
; %bb.542:
	global_load_b32 v1, v[10:11], off
	s_mov_b32 s31, -1
	s_mov_b32 s29, 0
	s_wait_loadcnt 0x0
	v_lshlrev_b32_e32 v1, 16, v1
	s_delay_alu instid0(VALU_DEP_1) | instskip(NEXT) | instid1(VALU_DEP_1)
	v_trunc_f32_e32 v1, v1
	v_mul_f32_e64 v3, 0x2f800000, |v1|
	v_ashrrev_i32_e32 v8, 31, v1
	s_delay_alu instid0(VALU_DEP_2) | instskip(NEXT) | instid1(VALU_DEP_2)
	v_floor_f32_e32 v3, v3
	v_mov_b32_e32 v9, v8
	s_delay_alu instid0(VALU_DEP_2) | instskip(SKIP_1) | instid1(VALU_DEP_2)
	v_fma_f32 v7, 0xcf800000, v3, |v1|
	v_cvt_u32_f32_e32 v1, v3
	v_cvt_u32_f32_e32 v3, v7
	s_delay_alu instid0(VALU_DEP_2) | instskip(NEXT) | instid1(VALU_DEP_2)
	v_xor_b32_e32 v13, v1, v8
	v_xor_b32_e32 v12, v3, v8
	s_delay_alu instid0(VALU_DEP_1)
	v_sub_nc_u64_e32 v[8:9], v[12:13], v[8:9]
	s_branch .LBB127_668
.LBB127_543:
	s_mov_b32 s31, -1
	s_mov_b32 s30, 0
	s_mov_b32 s28, s48
                                        ; implicit-def: $vgpr4_vgpr5
	s_branch .LBB127_581
.LBB127_544:
	s_mov_b32 s30, -1
	s_mov_b32 s31, 0
	s_mov_b32 s29, s47
                                        ; implicit-def: $vgpr8_vgpr9
	s_branch .LBB127_729
.LBB127_545:
	s_mov_b32 s31, -1
	s_mov_b32 s30, 0
	s_mov_b32 s28, s48
                                        ; implicit-def: $vgpr4_vgpr5
	s_branch .LBB127_564
.LBB127_546:
	s_mov_b32 s50, -1
	s_mov_b32 s31, 0
	s_mov_b32 s29, s47
                                        ; implicit-def: $vgpr8_vgpr9
	s_branch .LBB127_695
.LBB127_547:
	s_mov_b32 s31, -1
	s_mov_b32 s30, 0
	s_mov_b32 s28, s48
                                        ; implicit-def: $vgpr4_vgpr5
	s_branch .LBB127_559
.LBB127_548:
	s_mov_b32 s50, -1
	s_mov_b32 s31, 0
	s_mov_b32 s29, s47
                                        ; implicit-def: $vgpr8_vgpr9
	s_branch .LBB127_678
.LBB127_549:
	s_mov_b32 s31, -1
	s_mov_b32 s30, 0
	s_mov_b32 s28, s48
	s_branch .LBB127_552
.LBB127_550:
	s_mov_b32 s50, -1
	s_mov_b32 s31, 0
	s_mov_b32 s29, s47
                                        ; implicit-def: $vgpr8_vgpr9
	s_branch .LBB127_673
.LBB127_551:
	s_mov_b32 s28, -1
	s_mov_b32 s30, 0
.LBB127_552:
                                        ; implicit-def: $vgpr4_vgpr5
.LBB127_553:
	s_and_b32 vcc_lo, exec_lo, s31
	s_cbranch_vccz .LBB127_558
; %bb.554:
	s_cmp_eq_u32 s29, 44
	s_cbranch_scc0 .LBB127_557
; %bb.555:
	global_load_u8 v1, v[10:11], off
	s_mov_b32 s28, 0
	s_mov_b32 s30, -1
	s_wait_loadcnt 0x0
	v_lshlrev_b32_e32 v3, 23, v1
	v_cmp_ne_u32_e32 vcc_lo, 0, v1
	s_delay_alu instid0(VALU_DEP_2) | instskip(NEXT) | instid1(VALU_DEP_1)
	v_trunc_f32_e32 v3, v3
	v_mul_f32_e64 v4, 0x2f800000, |v3|
	s_delay_alu instid0(VALU_DEP_1) | instskip(SKIP_1) | instid1(VALU_DEP_2)
	v_floor_f32_e32 v5, v4
	v_ashrrev_i32_e32 v4, 31, v3
	v_fma_f32 v7, 0xcf800000, v5, |v3|
	v_cvt_u32_f32_e32 v3, v5
	s_delay_alu instid0(VALU_DEP_3) | instskip(NEXT) | instid1(VALU_DEP_3)
	v_mov_b32_e32 v5, v4
	v_cvt_u32_f32_e32 v7, v7
	s_delay_alu instid0(VALU_DEP_3) | instskip(NEXT) | instid1(VALU_DEP_2)
	v_xor_b32_e32 v13, v3, v4
	v_xor_b32_e32 v12, v7, v4
	s_delay_alu instid0(VALU_DEP_1) | instskip(NEXT) | instid1(VALU_DEP_1)
	v_sub_nc_u64_e32 v[4:5], v[12:13], v[4:5]
	v_dual_cndmask_b32 v5, 0, v5 :: v_dual_cndmask_b32 v4, 0, v4
	s_branch .LBB127_558
.LBB127_556:
	s_mov_b32 s50, -1
	s_mov_b32 s31, 0
	s_mov_b32 s29, s47
	s_branch .LBB127_667
.LBB127_557:
	s_mov_b32 s28, -1
                                        ; implicit-def: $vgpr4_vgpr5
.LBB127_558:
	s_mov_b32 s31, 0
.LBB127_559:
	s_delay_alu instid0(SALU_CYCLE_1)
	s_and_b32 vcc_lo, exec_lo, s31
	s_cbranch_vccz .LBB127_563
; %bb.560:
	s_cmp_eq_u32 s29, 29
	s_cbranch_scc0 .LBB127_562
; %bb.561:
	global_load_b64 v[4:5], v[10:11], off
	s_mov_b32 s30, -1
	s_mov_b32 s28, 0
	s_branch .LBB127_563
.LBB127_562:
	s_mov_b32 s28, -1
                                        ; implicit-def: $vgpr4_vgpr5
.LBB127_563:
	s_mov_b32 s31, 0
.LBB127_564:
	s_delay_alu instid0(SALU_CYCLE_1)
	s_and_b32 vcc_lo, exec_lo, s31
	s_cbranch_vccz .LBB127_580
; %bb.565:
	s_cmp_lt_i32 s29, 27
	s_cbranch_scc1 .LBB127_568
; %bb.566:
	s_cmp_gt_i32 s29, 27
	s_cbranch_scc0 .LBB127_569
; %bb.567:
	s_wait_loadcnt 0x0
	global_load_b32 v4, v[10:11], off
	v_mov_b32_e32 v5, 0
	s_mov_b32 s30, 0
	s_branch .LBB127_570
.LBB127_568:
	s_mov_b32 s30, -1
                                        ; implicit-def: $vgpr4_vgpr5
	s_branch .LBB127_573
.LBB127_569:
	s_mov_b32 s30, -1
                                        ; implicit-def: $vgpr4_vgpr5
.LBB127_570:
	s_delay_alu instid0(SALU_CYCLE_1)
	s_and_not1_b32 vcc_lo, exec_lo, s30
	s_cbranch_vccnz .LBB127_572
; %bb.571:
	global_load_u16 v1, v[10:11], off
	s_mov_b32 s30, 0
	s_wait_loadcnt 0x1
	v_mov_b32_e32 v5, s30
	s_wait_loadcnt 0x0
	v_and_b32_e32 v4, 0xffff, v1
.LBB127_572:
	s_mov_b32 s30, 0
.LBB127_573:
	s_delay_alu instid0(SALU_CYCLE_1)
	s_and_not1_b32 vcc_lo, exec_lo, s30
	s_cbranch_vccnz .LBB127_579
; %bb.574:
	global_load_u8 v1, v[10:11], off
	s_mov_b32 s31, 0
	s_mov_b32 s30, exec_lo
	s_wait_loadcnt 0x0
	v_cmpx_lt_i16_e32 0x7f, v1
	s_xor_b32 s30, exec_lo, s30
	s_cbranch_execz .LBB127_591
; %bb.575:
	v_cmp_ne_u16_e32 vcc_lo, 0x80, v1
	s_and_b32 s31, vcc_lo, exec_lo
	s_and_not1_saveexec_b32 s30, s30
	s_cbranch_execnz .LBB127_592
.LBB127_576:
	s_or_b32 exec_lo, exec_lo, s30
	v_mov_b64_e32 v[4:5], 0
	s_and_saveexec_b32 s30, s31
	s_cbranch_execz .LBB127_578
.LBB127_577:
	v_and_b32_e32 v3, 0xffff, v1
	s_delay_alu instid0(VALU_DEP_1) | instskip(SKIP_1) | instid1(VALU_DEP_2)
	v_and_b32_e32 v4, 7, v3
	v_bfe_u32 v9, v3, 3, 4
	v_clz_i32_u32_e32 v5, v4
	s_delay_alu instid0(VALU_DEP_2) | instskip(NEXT) | instid1(VALU_DEP_2)
	v_cmp_eq_u32_e32 vcc_lo, 0, v9
	v_min_u32_e32 v5, 32, v5
	s_delay_alu instid0(VALU_DEP_1) | instskip(NEXT) | instid1(VALU_DEP_1)
	v_subrev_nc_u32_e32 v7, 28, v5
	v_dual_lshlrev_b32 v3, v7, v3 :: v_dual_sub_nc_u32 v5, 29, v5
	s_delay_alu instid0(VALU_DEP_1) | instskip(NEXT) | instid1(VALU_DEP_1)
	v_dual_lshlrev_b32 v1, 24, v1 :: v_dual_bitop2_b32 v3, 7, v3 bitop3:0x40
	v_dual_cndmask_b32 v3, v4, v3, vcc_lo :: v_dual_cndmask_b32 v5, v9, v5, vcc_lo
	s_delay_alu instid0(VALU_DEP_2) | instskip(NEXT) | instid1(VALU_DEP_2)
	v_and_b32_e32 v1, 0x80000000, v1
	v_lshlrev_b32_e32 v3, 20, v3
	s_delay_alu instid0(VALU_DEP_3) | instskip(NEXT) | instid1(VALU_DEP_1)
	v_lshl_add_u32 v4, v5, 23, 0x3b800000
	v_or3_b32 v1, v1, v4, v3
	s_delay_alu instid0(VALU_DEP_1) | instskip(NEXT) | instid1(VALU_DEP_1)
	v_trunc_f32_e32 v1, v1
	v_mul_f32_e64 v3, 0x2f800000, |v1|
	v_ashrrev_i32_e32 v4, 31, v1
	s_delay_alu instid0(VALU_DEP_2) | instskip(NEXT) | instid1(VALU_DEP_1)
	v_floor_f32_e32 v3, v3
	v_fma_f32 v5, 0xcf800000, v3, |v1|
	v_cvt_u32_f32_e32 v1, v3
	s_delay_alu instid0(VALU_DEP_2) | instskip(NEXT) | instid1(VALU_DEP_2)
	v_cvt_u32_f32_e32 v3, v5
	v_dual_mov_b32 v5, v4 :: v_dual_bitop2_b32 v13, v1, v4 bitop3:0x14
	s_delay_alu instid0(VALU_DEP_2) | instskip(NEXT) | instid1(VALU_DEP_1)
	v_xor_b32_e32 v12, v3, v4
	v_sub_nc_u64_e32 v[4:5], v[12:13], v[4:5]
.LBB127_578:
	s_or_b32 exec_lo, exec_lo, s30
.LBB127_579:
	s_mov_b32 s30, -1
.LBB127_580:
	s_mov_b32 s31, 0
.LBB127_581:
	s_delay_alu instid0(SALU_CYCLE_1)
	s_and_b32 vcc_lo, exec_lo, s31
	s_cbranch_vccz .LBB127_614
; %bb.582:
	s_cmp_gt_i32 s29, 22
	s_cbranch_scc0 .LBB127_590
; %bb.583:
	s_cmp_lt_i32 s29, 24
	s_cbranch_scc1 .LBB127_593
; %bb.584:
	s_cmp_gt_i32 s29, 24
	s_cbranch_scc0 .LBB127_594
; %bb.585:
	global_load_u8 v1, v[10:11], off
	s_mov_b32 s31, 0
	s_mov_b32 s30, exec_lo
	s_wait_loadcnt 0x0
	v_cmpx_lt_i16_e32 0x7f, v1
	s_xor_b32 s30, exec_lo, s30
	s_cbranch_execz .LBB127_606
; %bb.586:
	v_cmp_ne_u16_e32 vcc_lo, 0x80, v1
	s_and_b32 s31, vcc_lo, exec_lo
	s_and_not1_saveexec_b32 s30, s30
	s_cbranch_execnz .LBB127_607
.LBB127_587:
	s_or_b32 exec_lo, exec_lo, s30
	v_mov_b64_e32 v[4:5], 0
	s_and_saveexec_b32 s30, s31
	s_cbranch_execz .LBB127_589
.LBB127_588:
	v_and_b32_e32 v3, 0xffff, v1
	s_delay_alu instid0(VALU_DEP_1) | instskip(SKIP_1) | instid1(VALU_DEP_2)
	v_and_b32_e32 v4, 3, v3
	v_bfe_u32 v9, v3, 2, 5
	v_clz_i32_u32_e32 v5, v4
	s_delay_alu instid0(VALU_DEP_2) | instskip(NEXT) | instid1(VALU_DEP_2)
	v_cmp_eq_u32_e32 vcc_lo, 0, v9
	v_min_u32_e32 v5, 32, v5
	s_delay_alu instid0(VALU_DEP_1) | instskip(NEXT) | instid1(VALU_DEP_1)
	v_subrev_nc_u32_e32 v7, 29, v5
	v_dual_lshlrev_b32 v3, v7, v3 :: v_dual_sub_nc_u32 v5, 30, v5
	s_delay_alu instid0(VALU_DEP_1) | instskip(NEXT) | instid1(VALU_DEP_1)
	v_dual_lshlrev_b32 v1, 24, v1 :: v_dual_bitop2_b32 v3, 3, v3 bitop3:0x40
	v_dual_cndmask_b32 v3, v4, v3, vcc_lo :: v_dual_cndmask_b32 v5, v9, v5, vcc_lo
	s_delay_alu instid0(VALU_DEP_2) | instskip(NEXT) | instid1(VALU_DEP_2)
	v_and_b32_e32 v1, 0x80000000, v1
	v_lshlrev_b32_e32 v3, 21, v3
	s_delay_alu instid0(VALU_DEP_3) | instskip(NEXT) | instid1(VALU_DEP_1)
	v_lshl_add_u32 v4, v5, 23, 0x37800000
	v_or3_b32 v1, v1, v4, v3
	s_delay_alu instid0(VALU_DEP_1) | instskip(NEXT) | instid1(VALU_DEP_1)
	v_trunc_f32_e32 v1, v1
	v_mul_f32_e64 v3, 0x2f800000, |v1|
	v_ashrrev_i32_e32 v4, 31, v1
	s_delay_alu instid0(VALU_DEP_2) | instskip(NEXT) | instid1(VALU_DEP_1)
	v_floor_f32_e32 v3, v3
	v_fma_f32 v5, 0xcf800000, v3, |v1|
	v_cvt_u32_f32_e32 v1, v3
	s_delay_alu instid0(VALU_DEP_2) | instskip(NEXT) | instid1(VALU_DEP_2)
	v_cvt_u32_f32_e32 v3, v5
	v_dual_mov_b32 v5, v4 :: v_dual_bitop2_b32 v13, v1, v4 bitop3:0x14
	s_delay_alu instid0(VALU_DEP_2) | instskip(NEXT) | instid1(VALU_DEP_1)
	v_xor_b32_e32 v12, v3, v4
	v_sub_nc_u64_e32 v[4:5], v[12:13], v[4:5]
.LBB127_589:
	s_or_b32 exec_lo, exec_lo, s30
	s_mov_b32 s30, 0
	s_branch .LBB127_595
.LBB127_590:
	s_mov_b32 s31, -1
                                        ; implicit-def: $vgpr4_vgpr5
	s_branch .LBB127_601
.LBB127_591:
	s_and_not1_saveexec_b32 s30, s30
	s_cbranch_execz .LBB127_576
.LBB127_592:
	v_cmp_ne_u16_e32 vcc_lo, 0, v1
	s_and_not1_b32 s31, s31, exec_lo
	s_and_b32 s50, vcc_lo, exec_lo
	s_delay_alu instid0(SALU_CYCLE_1)
	s_or_b32 s31, s31, s50
	s_or_b32 exec_lo, exec_lo, s30
	v_mov_b64_e32 v[4:5], 0
	s_and_saveexec_b32 s30, s31
	s_cbranch_execnz .LBB127_577
	s_branch .LBB127_578
.LBB127_593:
	s_mov_b32 s30, -1
                                        ; implicit-def: $vgpr4_vgpr5
	s_branch .LBB127_598
.LBB127_594:
	s_mov_b32 s30, -1
                                        ; implicit-def: $vgpr4_vgpr5
.LBB127_595:
	s_delay_alu instid0(SALU_CYCLE_1)
	s_and_b32 vcc_lo, exec_lo, s30
	s_cbranch_vccz .LBB127_597
; %bb.596:
	global_load_u8 v1, v[10:11], off
	s_wait_loadcnt 0x0
	v_lshlrev_b32_e32 v1, 24, v1
	s_delay_alu instid0(VALU_DEP_1) | instskip(NEXT) | instid1(VALU_DEP_1)
	v_and_b32_e32 v3, 0x7f000000, v1
	v_clz_i32_u32_e32 v4, v3
	v_add_nc_u32_e32 v7, 0x1000000, v3
	v_cmp_ne_u32_e32 vcc_lo, 0, v3
	s_delay_alu instid0(VALU_DEP_3) | instskip(NEXT) | instid1(VALU_DEP_1)
	v_min_u32_e32 v4, 32, v4
	v_sub_nc_u32_e64 v4, v4, 4 clamp
	s_delay_alu instid0(VALU_DEP_1) | instskip(NEXT) | instid1(VALU_DEP_1)
	v_dual_lshlrev_b32 v5, v4, v3 :: v_dual_lshlrev_b32 v4, 23, v4
	v_lshrrev_b32_e32 v5, 4, v5
	s_delay_alu instid0(VALU_DEP_1) | instskip(NEXT) | instid1(VALU_DEP_1)
	v_dual_sub_nc_u32 v4, v5, v4 :: v_dual_ashrrev_i32 v5, 8, v7
	v_add_nc_u32_e32 v4, 0x3c000000, v4
	s_delay_alu instid0(VALU_DEP_1) | instskip(NEXT) | instid1(VALU_DEP_1)
	v_and_or_b32 v4, 0x7f800000, v5, v4
	v_cndmask_b32_e32 v3, 0, v4, vcc_lo
	s_delay_alu instid0(VALU_DEP_1) | instskip(NEXT) | instid1(VALU_DEP_1)
	v_and_or_b32 v1, 0x80000000, v1, v3
	v_trunc_f32_e32 v1, v1
	s_delay_alu instid0(VALU_DEP_1) | instskip(SKIP_1) | instid1(VALU_DEP_2)
	v_mul_f32_e64 v3, 0x2f800000, |v1|
	v_ashrrev_i32_e32 v4, 31, v1
	v_floor_f32_e32 v3, v3
	s_delay_alu instid0(VALU_DEP_1) | instskip(SKIP_1) | instid1(VALU_DEP_2)
	v_fma_f32 v5, 0xcf800000, v3, |v1|
	v_cvt_u32_f32_e32 v1, v3
	v_cvt_u32_f32_e32 v3, v5
	s_delay_alu instid0(VALU_DEP_2) | instskip(NEXT) | instid1(VALU_DEP_2)
	v_dual_mov_b32 v5, v4 :: v_dual_bitop2_b32 v13, v1, v4 bitop3:0x14
	v_xor_b32_e32 v12, v3, v4
	s_delay_alu instid0(VALU_DEP_1)
	v_sub_nc_u64_e32 v[4:5], v[12:13], v[4:5]
.LBB127_597:
	s_mov_b32 s30, 0
.LBB127_598:
	s_delay_alu instid0(SALU_CYCLE_1)
	s_and_not1_b32 vcc_lo, exec_lo, s30
	s_cbranch_vccnz .LBB127_600
; %bb.599:
	global_load_u8 v1, v[10:11], off
	s_wait_loadcnt 0x0
	v_lshlrev_b32_e32 v3, 25, v1
	v_lshlrev_b16 v1, 8, v1
	s_delay_alu instid0(VALU_DEP_1) | instskip(NEXT) | instid1(VALU_DEP_3)
	v_and_or_b32 v5, 0x7f00, v1, 0.5
	v_lshrrev_b32_e32 v4, 4, v3
	v_bfe_i32 v1, v1, 0, 16
	s_delay_alu instid0(VALU_DEP_3) | instskip(NEXT) | instid1(VALU_DEP_3)
	v_add_f32_e32 v5, -0.5, v5
	v_or_b32_e32 v4, 0x70000000, v4
	s_delay_alu instid0(VALU_DEP_1) | instskip(SKIP_1) | instid1(VALU_DEP_2)
	v_mul_f32_e32 v4, 0x7800000, v4
	v_cmp_gt_u32_e32 vcc_lo, 0x8000000, v3
	v_cndmask_b32_e32 v3, v4, v5, vcc_lo
	s_delay_alu instid0(VALU_DEP_1) | instskip(NEXT) | instid1(VALU_DEP_1)
	v_and_or_b32 v1, 0x80000000, v1, v3
	v_trunc_f32_e32 v1, v1
	s_delay_alu instid0(VALU_DEP_1) | instskip(SKIP_1) | instid1(VALU_DEP_2)
	v_mul_f32_e64 v3, 0x2f800000, |v1|
	v_ashrrev_i32_e32 v4, 31, v1
	v_floor_f32_e32 v3, v3
	s_delay_alu instid0(VALU_DEP_1) | instskip(SKIP_1) | instid1(VALU_DEP_2)
	v_fma_f32 v5, 0xcf800000, v3, |v1|
	v_cvt_u32_f32_e32 v1, v3
	v_cvt_u32_f32_e32 v3, v5
	s_delay_alu instid0(VALU_DEP_2) | instskip(NEXT) | instid1(VALU_DEP_2)
	v_dual_mov_b32 v5, v4 :: v_dual_bitop2_b32 v13, v1, v4 bitop3:0x14
	v_xor_b32_e32 v12, v3, v4
	s_delay_alu instid0(VALU_DEP_1)
	v_sub_nc_u64_e32 v[4:5], v[12:13], v[4:5]
.LBB127_600:
	s_mov_b32 s31, 0
	s_mov_b32 s30, -1
.LBB127_601:
	s_and_not1_b32 vcc_lo, exec_lo, s31
	s_cbranch_vccnz .LBB127_614
; %bb.602:
	s_cmp_gt_i32 s29, 14
	s_cbranch_scc0 .LBB127_605
; %bb.603:
	s_cmp_eq_u32 s29, 15
	s_cbranch_scc0 .LBB127_608
; %bb.604:
	global_load_u16 v1, v[10:11], off
	s_mov_b32 s30, -1
	s_mov_b32 s28, 0
	s_wait_loadcnt 0x0
	v_lshlrev_b32_e32 v1, 16, v1
	s_delay_alu instid0(VALU_DEP_1) | instskip(NEXT) | instid1(VALU_DEP_1)
	v_trunc_f32_e32 v1, v1
	v_mul_f32_e64 v3, 0x2f800000, |v1|
	v_ashrrev_i32_e32 v4, 31, v1
	s_delay_alu instid0(VALU_DEP_2) | instskip(NEXT) | instid1(VALU_DEP_1)
	v_floor_f32_e32 v3, v3
	v_fma_f32 v5, 0xcf800000, v3, |v1|
	v_cvt_u32_f32_e32 v1, v3
	s_delay_alu instid0(VALU_DEP_2) | instskip(NEXT) | instid1(VALU_DEP_2)
	v_cvt_u32_f32_e32 v3, v5
	v_dual_mov_b32 v5, v4 :: v_dual_bitop2_b32 v13, v1, v4 bitop3:0x14
	s_delay_alu instid0(VALU_DEP_2) | instskip(NEXT) | instid1(VALU_DEP_1)
	v_xor_b32_e32 v12, v3, v4
	v_sub_nc_u64_e32 v[4:5], v[12:13], v[4:5]
	s_branch .LBB127_609
.LBB127_605:
	s_mov_b32 s31, -1
                                        ; implicit-def: $vgpr4_vgpr5
	s_branch .LBB127_610
.LBB127_606:
	s_and_not1_saveexec_b32 s30, s30
	s_cbranch_execz .LBB127_587
.LBB127_607:
	v_cmp_ne_u16_e32 vcc_lo, 0, v1
	s_and_not1_b32 s31, s31, exec_lo
	s_and_b32 s50, vcc_lo, exec_lo
	s_delay_alu instid0(SALU_CYCLE_1)
	s_or_b32 s31, s31, s50
	s_or_b32 exec_lo, exec_lo, s30
	v_mov_b64_e32 v[4:5], 0
	s_and_saveexec_b32 s30, s31
	s_cbranch_execnz .LBB127_588
	s_branch .LBB127_589
.LBB127_608:
	s_mov_b32 s28, -1
                                        ; implicit-def: $vgpr4_vgpr5
.LBB127_609:
	s_mov_b32 s31, 0
.LBB127_610:
	s_delay_alu instid0(SALU_CYCLE_1)
	s_and_b32 vcc_lo, exec_lo, s31
	s_cbranch_vccz .LBB127_614
; %bb.611:
	s_cmp_eq_u32 s29, 11
	s_cbranch_scc0 .LBB127_613
; %bb.612:
	global_load_u8 v1, v[10:11], off
	s_mov_b32 s28, 0
	s_mov_b32 s30, -1
	s_wait_loadcnt 0x1
	v_mov_b32_e32 v5, s28
	s_wait_loadcnt 0x0
	v_cmp_ne_u16_e32 vcc_lo, 0, v1
	v_cndmask_b32_e64 v4, 0, 1, vcc_lo
	s_branch .LBB127_614
.LBB127_613:
	s_mov_b32 s28, -1
                                        ; implicit-def: $vgpr4_vgpr5
.LBB127_614:
	s_branch .LBB127_535
.LBB127_615:
	s_and_b32 s0, 0xffff, s0
	s_delay_alu instid0(SALU_CYCLE_1)
	s_cmp_lt_i32 s0, 5
	s_cbranch_scc1 .LBB127_620
; %bb.616:
	s_cmp_lt_i32 s0, 8
	s_cbranch_scc1 .LBB127_621
; %bb.617:
	;; [unrolled: 3-line block ×3, first 2 shown]
	s_cmp_gt_i32 s0, 9
	s_cbranch_scc0 .LBB127_623
; %bb.619:
	s_wait_loadcnt 0x0
	global_load_b64 v[4:5], v[10:11], off
	s_mov_b32 s29, 0
	s_wait_loadcnt 0x0
	v_trunc_f64_e32 v[4:5], v[4:5]
	s_delay_alu instid0(VALU_DEP_1) | instskip(NEXT) | instid1(VALU_DEP_1)
	v_ldexp_f64 v[12:13], v[4:5], 0xffffffe0
	v_floor_f64_e32 v[12:13], v[12:13]
	s_delay_alu instid0(VALU_DEP_1) | instskip(SKIP_1) | instid1(VALU_DEP_2)
	v_fmamk_f64 v[14:15], v[12:13], 0xc1f00000, v[4:5]
	v_cvt_i32_f64_e32 v5, v[12:13]
	v_cvt_u32_f64_e32 v4, v[14:15]
	s_branch .LBB127_624
.LBB127_620:
	s_mov_b32 s29, -1
                                        ; implicit-def: $vgpr4_vgpr5
	s_branch .LBB127_642
.LBB127_621:
	s_mov_b32 s29, -1
                                        ; implicit-def: $vgpr4_vgpr5
	s_branch .LBB127_630
.LBB127_622:
	s_mov_b32 s29, -1
                                        ; implicit-def: $vgpr4_vgpr5
	s_branch .LBB127_627
.LBB127_623:
	s_mov_b32 s29, -1
                                        ; implicit-def: $vgpr4_vgpr5
.LBB127_624:
	s_delay_alu instid0(SALU_CYCLE_1)
	s_and_not1_b32 vcc_lo, exec_lo, s29
	s_cbranch_vccnz .LBB127_626
; %bb.625:
	global_load_b32 v1, v[10:11], off
	s_wait_loadcnt 0x0
	v_trunc_f32_e32 v1, v1
	s_delay_alu instid0(VALU_DEP_1) | instskip(SKIP_1) | instid1(VALU_DEP_2)
	v_mul_f32_e64 v3, 0x2f800000, |v1|
	v_ashrrev_i32_e32 v4, 31, v1
	v_floor_f32_e32 v3, v3
	s_delay_alu instid0(VALU_DEP_1) | instskip(SKIP_1) | instid1(VALU_DEP_2)
	v_fma_f32 v5, 0xcf800000, v3, |v1|
	v_cvt_u32_f32_e32 v1, v3
	v_cvt_u32_f32_e32 v3, v5
	s_delay_alu instid0(VALU_DEP_2) | instskip(NEXT) | instid1(VALU_DEP_2)
	v_dual_mov_b32 v5, v4 :: v_dual_bitop2_b32 v13, v1, v4 bitop3:0x14
	v_xor_b32_e32 v12, v3, v4
	s_delay_alu instid0(VALU_DEP_1)
	v_sub_nc_u64_e32 v[4:5], v[12:13], v[4:5]
.LBB127_626:
	s_mov_b32 s29, 0
.LBB127_627:
	s_delay_alu instid0(SALU_CYCLE_1)
	s_and_not1_b32 vcc_lo, exec_lo, s29
	s_cbranch_vccnz .LBB127_629
; %bb.628:
	global_load_b32 v1, v[10:11], off
	s_wait_loadcnt 0x0
	v_cvt_f32_f16_e32 v1, v1
	s_delay_alu instid0(VALU_DEP_1) | instskip(NEXT) | instid1(VALU_DEP_1)
	v_cvt_i32_f32_e32 v4, v1
	v_ashrrev_i32_e32 v5, 31, v4
.LBB127_629:
	s_mov_b32 s29, 0
.LBB127_630:
	s_delay_alu instid0(SALU_CYCLE_1)
	s_and_not1_b32 vcc_lo, exec_lo, s29
	s_cbranch_vccnz .LBB127_641
; %bb.631:
	s_cmp_lt_i32 s0, 6
	s_cbranch_scc1 .LBB127_634
; %bb.632:
	s_cmp_gt_i32 s0, 6
	s_cbranch_scc0 .LBB127_635
; %bb.633:
	s_wait_loadcnt 0x0
	global_load_b64 v[4:5], v[10:11], off
	s_mov_b32 s29, 0
	s_wait_loadcnt 0x0
	v_trunc_f64_e32 v[4:5], v[4:5]
	s_delay_alu instid0(VALU_DEP_1) | instskip(NEXT) | instid1(VALU_DEP_1)
	v_ldexp_f64 v[12:13], v[4:5], 0xffffffe0
	v_floor_f64_e32 v[12:13], v[12:13]
	s_delay_alu instid0(VALU_DEP_1) | instskip(SKIP_1) | instid1(VALU_DEP_2)
	v_fmamk_f64 v[14:15], v[12:13], 0xc1f00000, v[4:5]
	v_cvt_i32_f64_e32 v5, v[12:13]
	v_cvt_u32_f64_e32 v4, v[14:15]
	s_branch .LBB127_636
.LBB127_634:
	s_mov_b32 s29, -1
                                        ; implicit-def: $vgpr4_vgpr5
	s_branch .LBB127_639
.LBB127_635:
	s_mov_b32 s29, -1
                                        ; implicit-def: $vgpr4_vgpr5
.LBB127_636:
	s_delay_alu instid0(SALU_CYCLE_1)
	s_and_not1_b32 vcc_lo, exec_lo, s29
	s_cbranch_vccnz .LBB127_638
; %bb.637:
	global_load_b32 v1, v[10:11], off
	s_wait_loadcnt 0x0
	v_trunc_f32_e32 v1, v1
	s_delay_alu instid0(VALU_DEP_1) | instskip(SKIP_1) | instid1(VALU_DEP_2)
	v_mul_f32_e64 v3, 0x2f800000, |v1|
	v_ashrrev_i32_e32 v4, 31, v1
	v_floor_f32_e32 v3, v3
	s_delay_alu instid0(VALU_DEP_1) | instskip(SKIP_1) | instid1(VALU_DEP_2)
	v_fma_f32 v5, 0xcf800000, v3, |v1|
	v_cvt_u32_f32_e32 v1, v3
	v_cvt_u32_f32_e32 v3, v5
	s_delay_alu instid0(VALU_DEP_2) | instskip(NEXT) | instid1(VALU_DEP_2)
	v_dual_mov_b32 v5, v4 :: v_dual_bitop2_b32 v13, v1, v4 bitop3:0x14
	v_xor_b32_e32 v12, v3, v4
	s_delay_alu instid0(VALU_DEP_1)
	v_sub_nc_u64_e32 v[4:5], v[12:13], v[4:5]
.LBB127_638:
	s_mov_b32 s29, 0
.LBB127_639:
	s_delay_alu instid0(SALU_CYCLE_1)
	s_and_not1_b32 vcc_lo, exec_lo, s29
	s_cbranch_vccnz .LBB127_641
; %bb.640:
	global_load_u16 v1, v[10:11], off
	s_wait_loadcnt 0x0
	v_cvt_f32_f16_e32 v1, v1
	s_delay_alu instid0(VALU_DEP_1) | instskip(NEXT) | instid1(VALU_DEP_1)
	v_cvt_i32_f32_e32 v4, v1
	v_ashrrev_i32_e32 v5, 31, v4
.LBB127_641:
	s_mov_b32 s29, 0
.LBB127_642:
	s_delay_alu instid0(SALU_CYCLE_1)
	s_and_not1_b32 vcc_lo, exec_lo, s29
	s_cbranch_vccnz .LBB127_662
; %bb.643:
	s_cmp_lt_i32 s0, 2
	s_cbranch_scc1 .LBB127_647
; %bb.644:
	s_cmp_lt_i32 s0, 3
	s_cbranch_scc1 .LBB127_648
; %bb.645:
	s_cmp_gt_i32 s0, 3
	s_cbranch_scc0 .LBB127_649
; %bb.646:
	s_wait_loadcnt 0x0
	global_load_b64 v[4:5], v[10:11], off
	s_mov_b32 s29, 0
	s_branch .LBB127_650
.LBB127_647:
	s_mov_b32 s29, -1
                                        ; implicit-def: $vgpr4_vgpr5
	s_branch .LBB127_656
.LBB127_648:
	s_mov_b32 s29, -1
                                        ; implicit-def: $vgpr4_vgpr5
	s_branch .LBB127_653
.LBB127_649:
	s_mov_b32 s29, -1
                                        ; implicit-def: $vgpr4_vgpr5
.LBB127_650:
	s_delay_alu instid0(SALU_CYCLE_1)
	s_and_not1_b32 vcc_lo, exec_lo, s29
	s_cbranch_vccnz .LBB127_652
; %bb.651:
	s_wait_loadcnt 0x0
	global_load_b32 v4, v[10:11], off
	s_wait_loadcnt 0x0
	v_ashrrev_i32_e32 v5, 31, v4
.LBB127_652:
	s_mov_b32 s29, 0
.LBB127_653:
	s_delay_alu instid0(SALU_CYCLE_1)
	s_and_not1_b32 vcc_lo, exec_lo, s29
	s_cbranch_vccnz .LBB127_655
; %bb.654:
	global_load_u16 v1, v[10:11], off
	s_wait_loadcnt 0x0
	v_bfe_i32 v4, v1, 0, 16
	s_delay_alu instid0(VALU_DEP_1)
	v_ashrrev_i32_e32 v5, 31, v4
.LBB127_655:
	s_mov_b32 s29, 0
.LBB127_656:
	s_delay_alu instid0(SALU_CYCLE_1)
	s_and_not1_b32 vcc_lo, exec_lo, s29
	s_cbranch_vccnz .LBB127_662
; %bb.657:
	s_cmp_gt_i32 s0, 0
	s_mov_b32 s0, 0
	s_cbranch_scc0 .LBB127_659
; %bb.658:
	global_load_i8 v1, v[10:11], off
	s_wait_loadcnt 0x0
	v_bfe_i32 v4, v1, 0, 16
	s_delay_alu instid0(VALU_DEP_1)
	v_ashrrev_i32_e32 v5, 31, v4
	s_branch .LBB127_660
.LBB127_659:
	s_mov_b32 s0, -1
                                        ; implicit-def: $vgpr4_vgpr5
.LBB127_660:
	s_delay_alu instid0(SALU_CYCLE_1)
	s_and_not1_b32 vcc_lo, exec_lo, s0
	s_cbranch_vccnz .LBB127_662
; %bb.661:
	global_load_u8 v1, v[10:11], off
	s_mov_b32 s0, 0
	s_wait_loadcnt 0x1
	v_mov_b32_e32 v5, s0
	s_wait_loadcnt 0x0
	v_and_b32_e32 v4, 0xffff, v1
.LBB127_662:
	s_branch .LBB127_536
.LBB127_663:
	s_mov_b32 s31, 0
	s_mov_b32 s0, s44
	;; [unrolled: 1-line block ×4, first 2 shown]
	s_branch .LBB127_1031
.LBB127_664:
	s_and_not1_saveexec_b32 s48, s48
	s_cbranch_execz .LBB127_420
.LBB127_665:
	v_add_f32_e64 v6, 0x46000000, |v1|
	s_and_not1_b32 s47, s47, exec_lo
	s_delay_alu instid0(VALU_DEP_1) | instskip(NEXT) | instid1(VALU_DEP_1)
	v_and_b32_e32 v6, 0xff, v6
	v_cmp_ne_u32_e32 vcc_lo, 0, v6
	s_and_b32 s50, vcc_lo, exec_lo
	s_delay_alu instid0(SALU_CYCLE_1)
	s_or_b32 s47, s47, s50
	s_or_b32 exec_lo, exec_lo, s48
	v_mov_b32_e32 v7, 0
	s_and_saveexec_b32 s48, s47
	s_cbranch_execnz .LBB127_421
	s_branch .LBB127_422
.LBB127_666:
	s_mov_b32 s29, -1
	s_mov_b32 s31, 0
.LBB127_667:
                                        ; implicit-def: $vgpr8_vgpr9
.LBB127_668:
	s_and_b32 vcc_lo, exec_lo, s50
	s_cbranch_vccz .LBB127_672
; %bb.669:
	s_cmp_eq_u32 s30, 44
	s_cbranch_scc0 .LBB127_671
; %bb.670:
	global_load_u8 v1, v[10:11], off
	s_mov_b32 s29, 0
	s_mov_b32 s31, -1
	s_wait_loadcnt 0x0
	v_lshlrev_b32_e32 v3, 23, v1
	v_cmp_ne_u32_e32 vcc_lo, 0, v1
	s_delay_alu instid0(VALU_DEP_2) | instskip(NEXT) | instid1(VALU_DEP_1)
	v_trunc_f32_e32 v3, v3
	v_mul_f32_e64 v7, 0x2f800000, |v3|
	v_ashrrev_i32_e32 v8, 31, v3
	s_delay_alu instid0(VALU_DEP_2) | instskip(NEXT) | instid1(VALU_DEP_1)
	v_floor_f32_e32 v7, v7
	v_fma_f32 v9, 0xcf800000, v7, |v3|
	v_cvt_u32_f32_e32 v3, v7
	s_delay_alu instid0(VALU_DEP_2) | instskip(NEXT) | instid1(VALU_DEP_2)
	v_cvt_u32_f32_e32 v7, v9
	v_dual_mov_b32 v9, v8 :: v_dual_bitop2_b32 v13, v3, v8 bitop3:0x14
	s_delay_alu instid0(VALU_DEP_2) | instskip(NEXT) | instid1(VALU_DEP_1)
	v_xor_b32_e32 v12, v7, v8
	v_sub_nc_u64_e32 v[8:9], v[12:13], v[8:9]
	s_delay_alu instid0(VALU_DEP_1)
	v_dual_cndmask_b32 v9, 0, v9 :: v_dual_cndmask_b32 v8, 0, v8
	s_branch .LBB127_672
.LBB127_671:
	s_mov_b32 s29, -1
                                        ; implicit-def: $vgpr8_vgpr9
.LBB127_672:
	s_mov_b32 s50, 0
.LBB127_673:
	s_delay_alu instid0(SALU_CYCLE_1)
	s_and_b32 vcc_lo, exec_lo, s50
	s_cbranch_vccz .LBB127_677
; %bb.674:
	s_cmp_eq_u32 s30, 29
	s_cbranch_scc0 .LBB127_676
; %bb.675:
	global_load_b64 v[8:9], v[10:11], off
	s_mov_b32 s31, -1
	s_mov_b32 s29, 0
	s_branch .LBB127_677
.LBB127_676:
	s_mov_b32 s29, -1
                                        ; implicit-def: $vgpr8_vgpr9
.LBB127_677:
	s_mov_b32 s50, 0
.LBB127_678:
	s_delay_alu instid0(SALU_CYCLE_1)
	s_and_b32 vcc_lo, exec_lo, s50
	s_cbranch_vccz .LBB127_694
; %bb.679:
	s_cmp_lt_i32 s30, 27
	s_cbranch_scc1 .LBB127_682
; %bb.680:
	s_cmp_gt_i32 s30, 27
	s_cbranch_scc0 .LBB127_683
; %bb.681:
	s_wait_loadcnt 0x0
	global_load_b32 v8, v[10:11], off
	v_mov_b32_e32 v9, 0
	s_mov_b32 s31, 0
	s_branch .LBB127_684
.LBB127_682:
	s_mov_b32 s31, -1
                                        ; implicit-def: $vgpr8_vgpr9
	s_branch .LBB127_687
.LBB127_683:
	s_mov_b32 s31, -1
                                        ; implicit-def: $vgpr8_vgpr9
.LBB127_684:
	s_delay_alu instid0(SALU_CYCLE_1)
	s_and_not1_b32 vcc_lo, exec_lo, s31
	s_cbranch_vccnz .LBB127_686
; %bb.685:
	global_load_u16 v1, v[10:11], off
	s_mov_b32 s31, 0
	s_wait_loadcnt 0x1
	v_mov_b32_e32 v9, s31
	s_wait_loadcnt 0x0
	v_and_b32_e32 v8, 0xffff, v1
.LBB127_686:
	s_mov_b32 s31, 0
.LBB127_687:
	s_delay_alu instid0(SALU_CYCLE_1)
	s_and_not1_b32 vcc_lo, exec_lo, s31
	s_cbranch_vccnz .LBB127_693
; %bb.688:
	global_load_u8 v1, v[10:11], off
	s_mov_b32 s50, 0
	s_mov_b32 s31, exec_lo
	s_wait_loadcnt 0x0
	v_cmpx_lt_i16_e32 0x7f, v1
	s_xor_b32 s31, exec_lo, s31
	s_cbranch_execz .LBB127_705
; %bb.689:
	v_cmp_ne_u16_e32 vcc_lo, 0x80, v1
	s_and_b32 s50, vcc_lo, exec_lo
	s_and_not1_saveexec_b32 s31, s31
	s_cbranch_execnz .LBB127_706
.LBB127_690:
	s_or_b32 exec_lo, exec_lo, s31
	v_mov_b64_e32 v[8:9], 0
	s_and_saveexec_b32 s31, s50
	s_cbranch_execz .LBB127_692
.LBB127_691:
	v_and_b32_e32 v3, 0xffff, v1
	s_delay_alu instid0(VALU_DEP_1) | instskip(SKIP_1) | instid1(VALU_DEP_2)
	v_and_b32_e32 v7, 7, v3
	v_bfe_u32 v12, v3, 3, 4
	v_clz_i32_u32_e32 v8, v7
	s_delay_alu instid0(VALU_DEP_2) | instskip(NEXT) | instid1(VALU_DEP_2)
	v_cmp_eq_u32_e32 vcc_lo, 0, v12
	v_min_u32_e32 v8, 32, v8
	s_delay_alu instid0(VALU_DEP_1) | instskip(NEXT) | instid1(VALU_DEP_1)
	v_subrev_nc_u32_e32 v9, 28, v8
	v_dual_lshlrev_b32 v3, v9, v3 :: v_dual_sub_nc_u32 v8, 29, v8
	s_delay_alu instid0(VALU_DEP_1) | instskip(NEXT) | instid1(VALU_DEP_1)
	v_dual_lshlrev_b32 v1, 24, v1 :: v_dual_bitop2_b32 v3, 7, v3 bitop3:0x40
	v_dual_cndmask_b32 v8, v12, v8 :: v_dual_cndmask_b32 v3, v7, v3
	s_delay_alu instid0(VALU_DEP_2) | instskip(NEXT) | instid1(VALU_DEP_2)
	v_and_b32_e32 v1, 0x80000000, v1
	v_lshl_add_u32 v7, v8, 23, 0x3b800000
	s_delay_alu instid0(VALU_DEP_3) | instskip(NEXT) | instid1(VALU_DEP_1)
	v_lshlrev_b32_e32 v3, 20, v3
	v_or3_b32 v1, v1, v7, v3
	s_delay_alu instid0(VALU_DEP_1) | instskip(NEXT) | instid1(VALU_DEP_1)
	v_trunc_f32_e32 v1, v1
	v_mul_f32_e64 v3, 0x2f800000, |v1|
	v_ashrrev_i32_e32 v8, 31, v1
	s_delay_alu instid0(VALU_DEP_2) | instskip(NEXT) | instid1(VALU_DEP_2)
	v_floor_f32_e32 v3, v3
	v_mov_b32_e32 v9, v8
	s_delay_alu instid0(VALU_DEP_2) | instskip(SKIP_1) | instid1(VALU_DEP_2)
	v_fma_f32 v7, 0xcf800000, v3, |v1|
	v_cvt_u32_f32_e32 v1, v3
	v_cvt_u32_f32_e32 v3, v7
	s_delay_alu instid0(VALU_DEP_2) | instskip(NEXT) | instid1(VALU_DEP_2)
	v_xor_b32_e32 v13, v1, v8
	v_xor_b32_e32 v12, v3, v8
	s_delay_alu instid0(VALU_DEP_1)
	v_sub_nc_u64_e32 v[8:9], v[12:13], v[8:9]
.LBB127_692:
	s_or_b32 exec_lo, exec_lo, s31
.LBB127_693:
	s_mov_b32 s31, -1
.LBB127_694:
	s_mov_b32 s50, 0
.LBB127_695:
	s_delay_alu instid0(SALU_CYCLE_1)
	s_and_b32 vcc_lo, exec_lo, s50
	s_cbranch_vccz .LBB127_728
; %bb.696:
	s_cmp_gt_i32 s30, 22
	s_cbranch_scc0 .LBB127_704
; %bb.697:
	s_cmp_lt_i32 s30, 24
	s_cbranch_scc1 .LBB127_707
; %bb.698:
	s_cmp_gt_i32 s30, 24
	s_cbranch_scc0 .LBB127_708
; %bb.699:
	global_load_u8 v1, v[10:11], off
	s_mov_b32 s50, 0
	s_mov_b32 s31, exec_lo
	s_wait_loadcnt 0x0
	v_cmpx_lt_i16_e32 0x7f, v1
	s_xor_b32 s31, exec_lo, s31
	s_cbranch_execz .LBB127_720
; %bb.700:
	v_cmp_ne_u16_e32 vcc_lo, 0x80, v1
	s_and_b32 s50, vcc_lo, exec_lo
	s_and_not1_saveexec_b32 s31, s31
	s_cbranch_execnz .LBB127_721
.LBB127_701:
	s_or_b32 exec_lo, exec_lo, s31
	v_mov_b64_e32 v[8:9], 0
	s_and_saveexec_b32 s31, s50
	s_cbranch_execz .LBB127_703
.LBB127_702:
	v_and_b32_e32 v3, 0xffff, v1
	s_delay_alu instid0(VALU_DEP_1) | instskip(SKIP_1) | instid1(VALU_DEP_2)
	v_and_b32_e32 v7, 3, v3
	v_bfe_u32 v12, v3, 2, 5
	v_clz_i32_u32_e32 v8, v7
	s_delay_alu instid0(VALU_DEP_2) | instskip(NEXT) | instid1(VALU_DEP_2)
	v_cmp_eq_u32_e32 vcc_lo, 0, v12
	v_min_u32_e32 v8, 32, v8
	s_delay_alu instid0(VALU_DEP_1) | instskip(NEXT) | instid1(VALU_DEP_1)
	v_subrev_nc_u32_e32 v9, 29, v8
	v_dual_lshlrev_b32 v3, v9, v3 :: v_dual_sub_nc_u32 v8, 30, v8
	s_delay_alu instid0(VALU_DEP_1) | instskip(NEXT) | instid1(VALU_DEP_1)
	v_dual_lshlrev_b32 v1, 24, v1 :: v_dual_bitop2_b32 v3, 3, v3 bitop3:0x40
	v_dual_cndmask_b32 v8, v12, v8 :: v_dual_cndmask_b32 v3, v7, v3
	s_delay_alu instid0(VALU_DEP_2) | instskip(NEXT) | instid1(VALU_DEP_2)
	v_and_b32_e32 v1, 0x80000000, v1
	v_lshl_add_u32 v7, v8, 23, 0x37800000
	s_delay_alu instid0(VALU_DEP_3) | instskip(NEXT) | instid1(VALU_DEP_1)
	v_lshlrev_b32_e32 v3, 21, v3
	v_or3_b32 v1, v1, v7, v3
	s_delay_alu instid0(VALU_DEP_1) | instskip(NEXT) | instid1(VALU_DEP_1)
	v_trunc_f32_e32 v1, v1
	v_mul_f32_e64 v3, 0x2f800000, |v1|
	v_ashrrev_i32_e32 v8, 31, v1
	s_delay_alu instid0(VALU_DEP_2) | instskip(NEXT) | instid1(VALU_DEP_2)
	v_floor_f32_e32 v3, v3
	v_mov_b32_e32 v9, v8
	s_delay_alu instid0(VALU_DEP_2) | instskip(SKIP_1) | instid1(VALU_DEP_2)
	v_fma_f32 v7, 0xcf800000, v3, |v1|
	v_cvt_u32_f32_e32 v1, v3
	v_cvt_u32_f32_e32 v3, v7
	s_delay_alu instid0(VALU_DEP_2) | instskip(NEXT) | instid1(VALU_DEP_2)
	v_xor_b32_e32 v13, v1, v8
	v_xor_b32_e32 v12, v3, v8
	s_delay_alu instid0(VALU_DEP_1)
	v_sub_nc_u64_e32 v[8:9], v[12:13], v[8:9]
.LBB127_703:
	s_or_b32 exec_lo, exec_lo, s31
	s_mov_b32 s31, 0
	s_branch .LBB127_709
.LBB127_704:
	s_mov_b32 s50, -1
                                        ; implicit-def: $vgpr8_vgpr9
	s_branch .LBB127_715
.LBB127_705:
	s_and_not1_saveexec_b32 s31, s31
	s_cbranch_execz .LBB127_690
.LBB127_706:
	v_cmp_ne_u16_e32 vcc_lo, 0, v1
	s_and_not1_b32 s50, s50, exec_lo
	s_and_b32 s51, vcc_lo, exec_lo
	s_delay_alu instid0(SALU_CYCLE_1)
	s_or_b32 s50, s50, s51
	s_or_b32 exec_lo, exec_lo, s31
	v_mov_b64_e32 v[8:9], 0
	s_and_saveexec_b32 s31, s50
	s_cbranch_execnz .LBB127_691
	s_branch .LBB127_692
.LBB127_707:
	s_mov_b32 s31, -1
                                        ; implicit-def: $vgpr8_vgpr9
	s_branch .LBB127_712
.LBB127_708:
	s_mov_b32 s31, -1
                                        ; implicit-def: $vgpr8_vgpr9
.LBB127_709:
	s_delay_alu instid0(SALU_CYCLE_1)
	s_and_b32 vcc_lo, exec_lo, s31
	s_cbranch_vccz .LBB127_711
; %bb.710:
	global_load_u8 v1, v[10:11], off
	s_wait_loadcnt 0x0
	v_lshlrev_b32_e32 v1, 24, v1
	s_delay_alu instid0(VALU_DEP_1) | instskip(NEXT) | instid1(VALU_DEP_1)
	v_and_b32_e32 v3, 0x7f000000, v1
	v_clz_i32_u32_e32 v7, v3
	v_add_nc_u32_e32 v9, 0x1000000, v3
	v_cmp_ne_u32_e32 vcc_lo, 0, v3
	s_delay_alu instid0(VALU_DEP_3) | instskip(NEXT) | instid1(VALU_DEP_1)
	v_min_u32_e32 v7, 32, v7
	v_sub_nc_u32_e64 v7, v7, 4 clamp
	s_delay_alu instid0(VALU_DEP_1) | instskip(NEXT) | instid1(VALU_DEP_1)
	v_lshlrev_b32_e32 v8, v7, v3
	v_dual_lshlrev_b32 v7, 23, v7 :: v_dual_lshrrev_b32 v8, 4, v8
	s_delay_alu instid0(VALU_DEP_1) | instskip(NEXT) | instid1(VALU_DEP_1)
	v_dual_sub_nc_u32 v7, v8, v7 :: v_dual_ashrrev_i32 v8, 8, v9
	v_add_nc_u32_e32 v7, 0x3c000000, v7
	s_delay_alu instid0(VALU_DEP_1) | instskip(NEXT) | instid1(VALU_DEP_1)
	v_and_or_b32 v7, 0x7f800000, v8, v7
	v_cndmask_b32_e32 v3, 0, v7, vcc_lo
	s_delay_alu instid0(VALU_DEP_1) | instskip(NEXT) | instid1(VALU_DEP_1)
	v_and_or_b32 v1, 0x80000000, v1, v3
	v_trunc_f32_e32 v1, v1
	s_delay_alu instid0(VALU_DEP_1) | instskip(SKIP_1) | instid1(VALU_DEP_2)
	v_mul_f32_e64 v3, 0x2f800000, |v1|
	v_ashrrev_i32_e32 v8, 31, v1
	v_floor_f32_e32 v3, v3
	s_delay_alu instid0(VALU_DEP_1) | instskip(SKIP_1) | instid1(VALU_DEP_4)
	v_fma_f32 v7, 0xcf800000, v3, |v1|
	v_cvt_u32_f32_e32 v1, v3
	v_mov_b32_e32 v9, v8
	s_delay_alu instid0(VALU_DEP_3) | instskip(NEXT) | instid1(VALU_DEP_3)
	v_cvt_u32_f32_e32 v3, v7
	v_xor_b32_e32 v13, v1, v8
	s_delay_alu instid0(VALU_DEP_2) | instskip(NEXT) | instid1(VALU_DEP_1)
	v_xor_b32_e32 v12, v3, v8
	v_sub_nc_u64_e32 v[8:9], v[12:13], v[8:9]
.LBB127_711:
	s_mov_b32 s31, 0
.LBB127_712:
	s_delay_alu instid0(SALU_CYCLE_1)
	s_and_not1_b32 vcc_lo, exec_lo, s31
	s_cbranch_vccnz .LBB127_714
; %bb.713:
	global_load_u8 v1, v[10:11], off
	s_wait_loadcnt 0x0
	v_lshlrev_b32_e32 v3, 25, v1
	v_lshlrev_b16 v1, 8, v1
	s_delay_alu instid0(VALU_DEP_1) | instskip(SKIP_1) | instid1(VALU_DEP_2)
	v_and_or_b32 v8, 0x7f00, v1, 0.5
	v_bfe_i32 v1, v1, 0, 16
	v_dual_add_f32 v8, -0.5, v8 :: v_dual_lshrrev_b32 v7, 4, v3
	v_cmp_gt_u32_e32 vcc_lo, 0x8000000, v3
	s_delay_alu instid0(VALU_DEP_2) | instskip(NEXT) | instid1(VALU_DEP_1)
	v_or_b32_e32 v7, 0x70000000, v7
	v_mul_f32_e32 v7, 0x7800000, v7
	s_delay_alu instid0(VALU_DEP_1) | instskip(NEXT) | instid1(VALU_DEP_1)
	v_cndmask_b32_e32 v3, v7, v8, vcc_lo
	v_and_or_b32 v1, 0x80000000, v1, v3
	s_delay_alu instid0(VALU_DEP_1) | instskip(NEXT) | instid1(VALU_DEP_1)
	v_trunc_f32_e32 v1, v1
	v_mul_f32_e64 v3, 0x2f800000, |v1|
	v_ashrrev_i32_e32 v8, 31, v1
	s_delay_alu instid0(VALU_DEP_2) | instskip(NEXT) | instid1(VALU_DEP_2)
	v_floor_f32_e32 v3, v3
	v_mov_b32_e32 v9, v8
	s_delay_alu instid0(VALU_DEP_2) | instskip(SKIP_1) | instid1(VALU_DEP_2)
	v_fma_f32 v7, 0xcf800000, v3, |v1|
	v_cvt_u32_f32_e32 v1, v3
	v_cvt_u32_f32_e32 v3, v7
	s_delay_alu instid0(VALU_DEP_2) | instskip(NEXT) | instid1(VALU_DEP_2)
	v_xor_b32_e32 v13, v1, v8
	v_xor_b32_e32 v12, v3, v8
	s_delay_alu instid0(VALU_DEP_1)
	v_sub_nc_u64_e32 v[8:9], v[12:13], v[8:9]
.LBB127_714:
	s_mov_b32 s50, 0
	s_mov_b32 s31, -1
.LBB127_715:
	s_and_not1_b32 vcc_lo, exec_lo, s50
	s_cbranch_vccnz .LBB127_728
; %bb.716:
	s_cmp_gt_i32 s30, 14
	s_cbranch_scc0 .LBB127_719
; %bb.717:
	s_cmp_eq_u32 s30, 15
	s_cbranch_scc0 .LBB127_722
; %bb.718:
	global_load_u16 v1, v[10:11], off
	s_mov_b32 s31, -1
	s_mov_b32 s29, 0
	s_wait_loadcnt 0x0
	v_lshlrev_b32_e32 v1, 16, v1
	s_delay_alu instid0(VALU_DEP_1) | instskip(NEXT) | instid1(VALU_DEP_1)
	v_trunc_f32_e32 v1, v1
	v_mul_f32_e64 v3, 0x2f800000, |v1|
	v_ashrrev_i32_e32 v8, 31, v1
	s_delay_alu instid0(VALU_DEP_2) | instskip(NEXT) | instid1(VALU_DEP_2)
	v_floor_f32_e32 v3, v3
	v_mov_b32_e32 v9, v8
	s_delay_alu instid0(VALU_DEP_2) | instskip(SKIP_1) | instid1(VALU_DEP_2)
	v_fma_f32 v7, 0xcf800000, v3, |v1|
	v_cvt_u32_f32_e32 v1, v3
	v_cvt_u32_f32_e32 v3, v7
	s_delay_alu instid0(VALU_DEP_2) | instskip(NEXT) | instid1(VALU_DEP_2)
	v_xor_b32_e32 v13, v1, v8
	v_xor_b32_e32 v12, v3, v8
	s_delay_alu instid0(VALU_DEP_1)
	v_sub_nc_u64_e32 v[8:9], v[12:13], v[8:9]
	s_branch .LBB127_723
.LBB127_719:
	s_mov_b32 s50, -1
                                        ; implicit-def: $vgpr8_vgpr9
	s_branch .LBB127_724
.LBB127_720:
	s_and_not1_saveexec_b32 s31, s31
	s_cbranch_execz .LBB127_701
.LBB127_721:
	v_cmp_ne_u16_e32 vcc_lo, 0, v1
	s_and_not1_b32 s50, s50, exec_lo
	s_and_b32 s51, vcc_lo, exec_lo
	s_delay_alu instid0(SALU_CYCLE_1)
	s_or_b32 s50, s50, s51
	s_or_b32 exec_lo, exec_lo, s31
	v_mov_b64_e32 v[8:9], 0
	s_and_saveexec_b32 s31, s50
	s_cbranch_execnz .LBB127_702
	s_branch .LBB127_703
.LBB127_722:
	s_mov_b32 s29, -1
                                        ; implicit-def: $vgpr8_vgpr9
.LBB127_723:
	s_mov_b32 s50, 0
.LBB127_724:
	s_delay_alu instid0(SALU_CYCLE_1)
	s_and_b32 vcc_lo, exec_lo, s50
	s_cbranch_vccz .LBB127_728
; %bb.725:
	s_cmp_eq_u32 s30, 11
	s_cbranch_scc0 .LBB127_727
; %bb.726:
	global_load_u8 v1, v[10:11], off
	s_mov_b32 s29, 0
	s_mov_b32 s31, -1
	s_wait_loadcnt 0x1
	v_mov_b32_e32 v9, s29
	s_wait_loadcnt 0x0
	v_cmp_ne_u16_e32 vcc_lo, 0, v1
	v_cndmask_b32_e64 v8, 0, 1, vcc_lo
	s_branch .LBB127_728
.LBB127_727:
	s_mov_b32 s29, -1
                                        ; implicit-def: $vgpr8_vgpr9
.LBB127_728:
	s_mov_b32 s30, 0
.LBB127_729:
	s_delay_alu instid0(SALU_CYCLE_1)
	s_and_b32 vcc_lo, exec_lo, s30
	s_cbranch_vccz .LBB127_778
; %bb.730:
	s_and_b32 s0, 0xffff, s0
	s_delay_alu instid0(SALU_CYCLE_1)
	s_cmp_lt_i32 s0, 5
	s_cbranch_scc1 .LBB127_735
; %bb.731:
	s_cmp_lt_i32 s0, 8
	s_cbranch_scc1 .LBB127_736
; %bb.732:
	;; [unrolled: 3-line block ×3, first 2 shown]
	s_cmp_gt_i32 s0, 9
	s_cbranch_scc0 .LBB127_738
; %bb.734:
	s_wait_loadcnt 0x0
	global_load_b64 v[8:9], v[10:11], off
	s_mov_b32 s30, 0
	s_wait_loadcnt 0x0
	v_trunc_f64_e32 v[8:9], v[8:9]
	s_delay_alu instid0(VALU_DEP_1) | instskip(NEXT) | instid1(VALU_DEP_1)
	v_ldexp_f64 v[12:13], v[8:9], 0xffffffe0
	v_floor_f64_e32 v[12:13], v[12:13]
	s_delay_alu instid0(VALU_DEP_1) | instskip(SKIP_1) | instid1(VALU_DEP_2)
	v_fmamk_f64 v[14:15], v[12:13], 0xc1f00000, v[8:9]
	v_cvt_i32_f64_e32 v9, v[12:13]
	v_cvt_u32_f64_e32 v8, v[14:15]
	s_branch .LBB127_739
.LBB127_735:
	s_mov_b32 s30, -1
                                        ; implicit-def: $vgpr8_vgpr9
	s_branch .LBB127_757
.LBB127_736:
	s_mov_b32 s30, -1
                                        ; implicit-def: $vgpr8_vgpr9
	s_branch .LBB127_745
.LBB127_737:
	s_mov_b32 s30, -1
                                        ; implicit-def: $vgpr8_vgpr9
	s_branch .LBB127_742
.LBB127_738:
	s_mov_b32 s30, -1
                                        ; implicit-def: $vgpr8_vgpr9
.LBB127_739:
	s_delay_alu instid0(SALU_CYCLE_1)
	s_and_not1_b32 vcc_lo, exec_lo, s30
	s_cbranch_vccnz .LBB127_741
; %bb.740:
	global_load_b32 v1, v[10:11], off
	s_wait_loadcnt 0x0
	v_trunc_f32_e32 v1, v1
	s_delay_alu instid0(VALU_DEP_1) | instskip(SKIP_1) | instid1(VALU_DEP_2)
	v_mul_f32_e64 v3, 0x2f800000, |v1|
	v_ashrrev_i32_e32 v8, 31, v1
	v_floor_f32_e32 v3, v3
	s_delay_alu instid0(VALU_DEP_1) | instskip(SKIP_1) | instid1(VALU_DEP_4)
	v_fma_f32 v7, 0xcf800000, v3, |v1|
	v_cvt_u32_f32_e32 v1, v3
	v_mov_b32_e32 v9, v8
	s_delay_alu instid0(VALU_DEP_3) | instskip(NEXT) | instid1(VALU_DEP_3)
	v_cvt_u32_f32_e32 v3, v7
	v_xor_b32_e32 v13, v1, v8
	s_delay_alu instid0(VALU_DEP_2) | instskip(NEXT) | instid1(VALU_DEP_1)
	v_xor_b32_e32 v12, v3, v8
	v_sub_nc_u64_e32 v[8:9], v[12:13], v[8:9]
.LBB127_741:
	s_mov_b32 s30, 0
.LBB127_742:
	s_delay_alu instid0(SALU_CYCLE_1)
	s_and_not1_b32 vcc_lo, exec_lo, s30
	s_cbranch_vccnz .LBB127_744
; %bb.743:
	global_load_b32 v1, v[10:11], off
	s_wait_loadcnt 0x0
	v_cvt_f32_f16_e32 v1, v1
	s_delay_alu instid0(VALU_DEP_1) | instskip(NEXT) | instid1(VALU_DEP_1)
	v_cvt_i32_f32_e32 v8, v1
	v_ashrrev_i32_e32 v9, 31, v8
.LBB127_744:
	s_mov_b32 s30, 0
.LBB127_745:
	s_delay_alu instid0(SALU_CYCLE_1)
	s_and_not1_b32 vcc_lo, exec_lo, s30
	s_cbranch_vccnz .LBB127_756
; %bb.746:
	s_cmp_lt_i32 s0, 6
	s_cbranch_scc1 .LBB127_749
; %bb.747:
	s_cmp_gt_i32 s0, 6
	s_cbranch_scc0 .LBB127_750
; %bb.748:
	s_wait_loadcnt 0x0
	global_load_b64 v[8:9], v[10:11], off
	s_mov_b32 s30, 0
	s_wait_loadcnt 0x0
	v_trunc_f64_e32 v[8:9], v[8:9]
	s_delay_alu instid0(VALU_DEP_1) | instskip(NEXT) | instid1(VALU_DEP_1)
	v_ldexp_f64 v[12:13], v[8:9], 0xffffffe0
	v_floor_f64_e32 v[12:13], v[12:13]
	s_delay_alu instid0(VALU_DEP_1) | instskip(SKIP_1) | instid1(VALU_DEP_2)
	v_fmamk_f64 v[14:15], v[12:13], 0xc1f00000, v[8:9]
	v_cvt_i32_f64_e32 v9, v[12:13]
	v_cvt_u32_f64_e32 v8, v[14:15]
	s_branch .LBB127_751
.LBB127_749:
	s_mov_b32 s30, -1
                                        ; implicit-def: $vgpr8_vgpr9
	s_branch .LBB127_754
.LBB127_750:
	s_mov_b32 s30, -1
                                        ; implicit-def: $vgpr8_vgpr9
.LBB127_751:
	s_delay_alu instid0(SALU_CYCLE_1)
	s_and_not1_b32 vcc_lo, exec_lo, s30
	s_cbranch_vccnz .LBB127_753
; %bb.752:
	global_load_b32 v1, v[10:11], off
	s_wait_loadcnt 0x0
	v_trunc_f32_e32 v1, v1
	s_delay_alu instid0(VALU_DEP_1) | instskip(SKIP_1) | instid1(VALU_DEP_2)
	v_mul_f32_e64 v3, 0x2f800000, |v1|
	v_ashrrev_i32_e32 v8, 31, v1
	v_floor_f32_e32 v3, v3
	s_delay_alu instid0(VALU_DEP_1) | instskip(SKIP_1) | instid1(VALU_DEP_4)
	v_fma_f32 v7, 0xcf800000, v3, |v1|
	v_cvt_u32_f32_e32 v1, v3
	v_mov_b32_e32 v9, v8
	s_delay_alu instid0(VALU_DEP_3) | instskip(NEXT) | instid1(VALU_DEP_3)
	v_cvt_u32_f32_e32 v3, v7
	v_xor_b32_e32 v13, v1, v8
	s_delay_alu instid0(VALU_DEP_2) | instskip(NEXT) | instid1(VALU_DEP_1)
	v_xor_b32_e32 v12, v3, v8
	v_sub_nc_u64_e32 v[8:9], v[12:13], v[8:9]
.LBB127_753:
	s_mov_b32 s30, 0
.LBB127_754:
	s_delay_alu instid0(SALU_CYCLE_1)
	s_and_not1_b32 vcc_lo, exec_lo, s30
	s_cbranch_vccnz .LBB127_756
; %bb.755:
	global_load_u16 v1, v[10:11], off
	s_wait_loadcnt 0x0
	v_cvt_f32_f16_e32 v1, v1
	s_delay_alu instid0(VALU_DEP_1) | instskip(NEXT) | instid1(VALU_DEP_1)
	v_cvt_i32_f32_e32 v8, v1
	v_ashrrev_i32_e32 v9, 31, v8
.LBB127_756:
	s_mov_b32 s30, 0
.LBB127_757:
	s_delay_alu instid0(SALU_CYCLE_1)
	s_and_not1_b32 vcc_lo, exec_lo, s30
	s_cbranch_vccnz .LBB127_777
; %bb.758:
	s_cmp_lt_i32 s0, 2
	s_cbranch_scc1 .LBB127_762
; %bb.759:
	s_cmp_lt_i32 s0, 3
	s_cbranch_scc1 .LBB127_763
; %bb.760:
	s_cmp_gt_i32 s0, 3
	s_cbranch_scc0 .LBB127_764
; %bb.761:
	s_wait_loadcnt 0x0
	global_load_b64 v[8:9], v[10:11], off
	s_mov_b32 s30, 0
	s_branch .LBB127_765
.LBB127_762:
	s_mov_b32 s30, -1
                                        ; implicit-def: $vgpr8_vgpr9
	s_branch .LBB127_771
.LBB127_763:
	s_mov_b32 s30, -1
                                        ; implicit-def: $vgpr8_vgpr9
	s_branch .LBB127_768
.LBB127_764:
	s_mov_b32 s30, -1
                                        ; implicit-def: $vgpr8_vgpr9
.LBB127_765:
	s_delay_alu instid0(SALU_CYCLE_1)
	s_and_not1_b32 vcc_lo, exec_lo, s30
	s_cbranch_vccnz .LBB127_767
; %bb.766:
	s_wait_loadcnt 0x0
	global_load_b32 v8, v[10:11], off
	s_wait_loadcnt 0x0
	v_ashrrev_i32_e32 v9, 31, v8
.LBB127_767:
	s_mov_b32 s30, 0
.LBB127_768:
	s_delay_alu instid0(SALU_CYCLE_1)
	s_and_not1_b32 vcc_lo, exec_lo, s30
	s_cbranch_vccnz .LBB127_770
; %bb.769:
	global_load_u16 v1, v[10:11], off
	s_wait_loadcnt 0x0
	v_bfe_i32 v8, v1, 0, 16
	s_delay_alu instid0(VALU_DEP_1)
	v_ashrrev_i32_e32 v9, 31, v8
.LBB127_770:
	s_mov_b32 s30, 0
.LBB127_771:
	s_delay_alu instid0(SALU_CYCLE_1)
	s_and_not1_b32 vcc_lo, exec_lo, s30
	s_cbranch_vccnz .LBB127_777
; %bb.772:
	s_cmp_gt_i32 s0, 0
	s_mov_b32 s0, 0
	s_cbranch_scc0 .LBB127_774
; %bb.773:
	global_load_i8 v1, v[10:11], off
	s_wait_loadcnt 0x0
	v_bfe_i32 v8, v1, 0, 16
	s_delay_alu instid0(VALU_DEP_1)
	v_ashrrev_i32_e32 v9, 31, v8
	s_branch .LBB127_775
.LBB127_774:
	s_mov_b32 s0, -1
                                        ; implicit-def: $vgpr8_vgpr9
.LBB127_775:
	s_delay_alu instid0(SALU_CYCLE_1)
	s_and_not1_b32 vcc_lo, exec_lo, s0
	s_cbranch_vccnz .LBB127_777
; %bb.776:
	global_load_u8 v1, v[10:11], off
	s_mov_b32 s0, 0
	s_wait_loadcnt 0x1
	v_mov_b32_e32 v9, s0
	s_wait_loadcnt 0x0
	v_and_b32_e32 v8, 0xffff, v1
.LBB127_777:
	s_mov_b32 s31, -1
.LBB127_778:
	s_delay_alu instid0(SALU_CYCLE_1)
	s_and_not1_b32 vcc_lo, exec_lo, s31
	s_cbranch_vccnz .LBB127_786
; %bb.779:
	v_mov_b32_e32 v7, 0
	s_and_b32 s0, 0xffff, s21
	s_delay_alu instid0(SALU_CYCLE_1) | instskip(NEXT) | instid1(VALU_DEP_1)
	s_cmp_lt_i32 s0, 11
	v_add_nc_u64_e32 v[6:7], s[10:11], v[6:7]
	s_cbranch_scc1 .LBB127_787
; %bb.780:
	s_cmp_gt_i32 s0, 25
	s_cbranch_scc0 .LBB127_788
; %bb.781:
	s_cmp_gt_i32 s0, 28
	s_cbranch_scc0 .LBB127_789
	;; [unrolled: 3-line block ×4, first 2 shown]
; %bb.784:
	s_cmp_eq_u32 s0, 46
	s_mov_b32 s50, 0
	s_cbranch_scc0 .LBB127_794
; %bb.785:
	global_load_b32 v1, v[6:7], off
	s_mov_b32 s31, -1
	s_mov_b32 s30, 0
	s_wait_loadcnt 0x0
	v_lshlrev_b32_e32 v1, 16, v1
	s_delay_alu instid0(VALU_DEP_1) | instskip(NEXT) | instid1(VALU_DEP_1)
	v_trunc_f32_e32 v1, v1
	v_mul_f32_e64 v3, 0x2f800000, |v1|
	s_wait_xcnt 0x1
	v_ashrrev_i32_e32 v10, 31, v1
	s_delay_alu instid0(VALU_DEP_2) | instskip(NEXT) | instid1(VALU_DEP_1)
	v_floor_f32_e32 v3, v3
	v_fma_f32 v11, 0xcf800000, v3, |v1|
	v_cvt_u32_f32_e32 v1, v3
	s_delay_alu instid0(VALU_DEP_2) | instskip(NEXT) | instid1(VALU_DEP_2)
	v_cvt_u32_f32_e32 v3, v11
	v_dual_mov_b32 v11, v10 :: v_dual_bitop2_b32 v13, v1, v10 bitop3:0x14
	s_delay_alu instid0(VALU_DEP_2) | instskip(NEXT) | instid1(VALU_DEP_1)
	v_xor_b32_e32 v12, v3, v10
	v_sub_nc_u64_e32 v[10:11], v[12:13], v[10:11]
	s_branch .LBB127_796
.LBB127_786:
	s_mov_b32 s31, 0
	s_mov_b32 s0, s44
	;; [unrolled: 1-line block ×3, first 2 shown]
	s_branch .LBB127_1031
.LBB127_787:
	s_mov_b32 s50, -1
	s_mov_b32 s31, 0
	s_mov_b32 s30, s46
                                        ; implicit-def: $vgpr10_vgpr11
	s_branch .LBB127_857
.LBB127_788:
	s_mov_b32 s50, -1
	s_mov_b32 s31, 0
	s_mov_b32 s30, s46
                                        ; implicit-def: $vgpr10_vgpr11
	s_branch .LBB127_823
.LBB127_789:
	s_mov_b32 s50, -1
	s_mov_b32 s31, 0
	s_mov_b32 s30, s46
                                        ; implicit-def: $vgpr10_vgpr11
	s_branch .LBB127_806
.LBB127_790:
	s_mov_b32 s50, -1
	s_mov_b32 s31, 0
	s_mov_b32 s30, s46
                                        ; implicit-def: $vgpr10_vgpr11
	s_branch .LBB127_801
.LBB127_791:
	s_mov_b32 s50, -1
	s_mov_b32 s31, 0
	s_mov_b32 s30, s46
	s_branch .LBB127_795
.LBB127_792:
	s_and_not1_saveexec_b32 s48, s48
	s_cbranch_execz .LBB127_433
.LBB127_793:
	v_add_f32_e64 v6, 0x42800000, |v1|
	s_and_not1_b32 s47, s47, exec_lo
	s_delay_alu instid0(VALU_DEP_1) | instskip(NEXT) | instid1(VALU_DEP_1)
	v_and_b32_e32 v6, 0xff, v6
	v_cmp_ne_u32_e32 vcc_lo, 0, v6
	s_and_b32 s50, vcc_lo, exec_lo
	s_delay_alu instid0(SALU_CYCLE_1)
	s_or_b32 s47, s47, s50
	s_or_b32 exec_lo, exec_lo, s48
	v_mov_b32_e32 v7, 0
	s_and_saveexec_b32 s48, s47
	s_cbranch_execnz .LBB127_434
	s_branch .LBB127_435
.LBB127_794:
	s_mov_b32 s30, -1
	s_mov_b32 s31, 0
.LBB127_795:
                                        ; implicit-def: $vgpr10_vgpr11
.LBB127_796:
	s_and_b32 vcc_lo, exec_lo, s50
	s_cbranch_vccz .LBB127_800
; %bb.797:
	s_cmp_eq_u32 s0, 44
	s_cbranch_scc0 .LBB127_799
; %bb.798:
	global_load_u8 v1, v[6:7], off
	s_mov_b32 s30, 0
	s_mov_b32 s31, -1
	s_wait_loadcnt 0x0
	v_lshlrev_b32_e32 v3, 23, v1
	v_cmp_ne_u32_e32 vcc_lo, 0, v1
	s_delay_alu instid0(VALU_DEP_2) | instskip(SKIP_1) | instid1(VALU_DEP_1)
	v_trunc_f32_e32 v3, v3
	s_wait_xcnt 0x1
	v_mul_f32_e64 v10, 0x2f800000, |v3|
	s_delay_alu instid0(VALU_DEP_1) | instskip(SKIP_1) | instid1(VALU_DEP_2)
	v_floor_f32_e32 v11, v10
	v_ashrrev_i32_e32 v10, 31, v3
	v_fma_f32 v12, 0xcf800000, v11, |v3|
	v_cvt_u32_f32_e32 v3, v11
	s_delay_alu instid0(VALU_DEP_3) | instskip(NEXT) | instid1(VALU_DEP_3)
	v_mov_b32_e32 v11, v10
	v_cvt_u32_f32_e32 v12, v12
	s_delay_alu instid0(VALU_DEP_3) | instskip(NEXT) | instid1(VALU_DEP_2)
	v_xor_b32_e32 v13, v3, v10
	v_xor_b32_e32 v12, v12, v10
	s_delay_alu instid0(VALU_DEP_1) | instskip(NEXT) | instid1(VALU_DEP_1)
	v_sub_nc_u64_e32 v[10:11], v[12:13], v[10:11]
	v_dual_cndmask_b32 v11, 0, v11 :: v_dual_cndmask_b32 v10, 0, v10
	s_branch .LBB127_800
.LBB127_799:
	s_mov_b32 s30, -1
                                        ; implicit-def: $vgpr10_vgpr11
.LBB127_800:
	s_mov_b32 s50, 0
.LBB127_801:
	s_delay_alu instid0(SALU_CYCLE_1)
	s_and_b32 vcc_lo, exec_lo, s50
	s_cbranch_vccz .LBB127_805
; %bb.802:
	s_cmp_eq_u32 s0, 29
	s_cbranch_scc0 .LBB127_804
; %bb.803:
	global_load_b64 v[10:11], v[6:7], off
	s_mov_b32 s31, -1
	s_mov_b32 s30, 0
	s_branch .LBB127_805
.LBB127_804:
	s_mov_b32 s30, -1
                                        ; implicit-def: $vgpr10_vgpr11
.LBB127_805:
	s_mov_b32 s50, 0
.LBB127_806:
	s_delay_alu instid0(SALU_CYCLE_1)
	s_and_b32 vcc_lo, exec_lo, s50
	s_cbranch_vccz .LBB127_822
; %bb.807:
	s_cmp_lt_i32 s0, 27
	s_cbranch_scc1 .LBB127_810
; %bb.808:
	s_cmp_gt_i32 s0, 27
	s_cbranch_scc0 .LBB127_811
; %bb.809:
	s_wait_loadcnt 0x0
	global_load_b32 v10, v[6:7], off
	v_mov_b32_e32 v11, 0
	s_mov_b32 s31, 0
	s_branch .LBB127_812
.LBB127_810:
	s_mov_b32 s31, -1
                                        ; implicit-def: $vgpr10_vgpr11
	s_branch .LBB127_815
.LBB127_811:
	s_mov_b32 s31, -1
                                        ; implicit-def: $vgpr10_vgpr11
.LBB127_812:
	s_delay_alu instid0(SALU_CYCLE_1)
	s_and_not1_b32 vcc_lo, exec_lo, s31
	s_cbranch_vccnz .LBB127_814
; %bb.813:
	global_load_u16 v1, v[6:7], off
	s_mov_b32 s31, 0
	s_wait_loadcnt 0x1
	s_wait_xcnt 0x1
	v_mov_b32_e32 v11, s31
	s_wait_loadcnt 0x0
	v_and_b32_e32 v10, 0xffff, v1
.LBB127_814:
	s_mov_b32 s31, 0
.LBB127_815:
	s_delay_alu instid0(SALU_CYCLE_1)
	s_and_not1_b32 vcc_lo, exec_lo, s31
	s_cbranch_vccnz .LBB127_821
; %bb.816:
	global_load_u8 v1, v[6:7], off
	s_mov_b32 s50, 0
	s_mov_b32 s31, exec_lo
	s_wait_loadcnt 0x0
	v_cmpx_lt_i16_e32 0x7f, v1
	s_xor_b32 s31, exec_lo, s31
	s_cbranch_execz .LBB127_833
; %bb.817:
	v_cmp_ne_u16_e32 vcc_lo, 0x80, v1
	s_and_b32 s50, vcc_lo, exec_lo
	s_and_not1_saveexec_b32 s31, s31
	s_cbranch_execnz .LBB127_834
.LBB127_818:
	s_or_b32 exec_lo, exec_lo, s31
	v_mov_b64_e32 v[10:11], 0
	s_and_saveexec_b32 s31, s50
	s_cbranch_execz .LBB127_820
.LBB127_819:
	v_and_b32_e32 v3, 0xffff, v1
	s_delay_alu instid0(VALU_DEP_1) | instskip(SKIP_1) | instid1(VALU_DEP_2)
	v_dual_lshlrev_b32 v1, 24, v1 :: v_dual_bitop2_b32 v10, 7, v3 bitop3:0x40
	v_bfe_u32 v13, v3, 3, 4
	v_and_b32_e32 v1, 0x80000000, v1
	s_delay_alu instid0(VALU_DEP_3) | instskip(NEXT) | instid1(VALU_DEP_3)
	v_clz_i32_u32_e32 v11, v10
	v_cmp_eq_u32_e32 vcc_lo, 0, v13
	s_delay_alu instid0(VALU_DEP_2) | instskip(NEXT) | instid1(VALU_DEP_1)
	v_min_u32_e32 v11, 32, v11
	v_subrev_nc_u32_e32 v12, 28, v11
	v_sub_nc_u32_e32 v11, 29, v11
	s_delay_alu instid0(VALU_DEP_2) | instskip(NEXT) | instid1(VALU_DEP_2)
	v_lshlrev_b32_e32 v3, v12, v3
	v_cndmask_b32_e32 v11, v13, v11, vcc_lo
	s_delay_alu instid0(VALU_DEP_2) | instskip(NEXT) | instid1(VALU_DEP_1)
	v_and_b32_e32 v3, 7, v3
	v_cndmask_b32_e32 v3, v10, v3, vcc_lo
	s_delay_alu instid0(VALU_DEP_3) | instskip(NEXT) | instid1(VALU_DEP_2)
	v_lshl_add_u32 v10, v11, 23, 0x3b800000
	v_lshlrev_b32_e32 v3, 20, v3
	s_delay_alu instid0(VALU_DEP_1) | instskip(NEXT) | instid1(VALU_DEP_1)
	v_or3_b32 v1, v1, v10, v3
	v_trunc_f32_e32 v1, v1
	s_delay_alu instid0(VALU_DEP_1) | instskip(SKIP_1) | instid1(VALU_DEP_2)
	v_mul_f32_e64 v3, 0x2f800000, |v1|
	v_ashrrev_i32_e32 v10, 31, v1
	v_floor_f32_e32 v3, v3
	s_delay_alu instid0(VALU_DEP_1) | instskip(SKIP_1) | instid1(VALU_DEP_2)
	v_fma_f32 v11, 0xcf800000, v3, |v1|
	v_cvt_u32_f32_e32 v1, v3
	v_cvt_u32_f32_e32 v3, v11
	s_delay_alu instid0(VALU_DEP_2) | instskip(NEXT) | instid1(VALU_DEP_2)
	v_dual_mov_b32 v11, v10 :: v_dual_bitop2_b32 v13, v1, v10 bitop3:0x14
	v_xor_b32_e32 v12, v3, v10
	s_delay_alu instid0(VALU_DEP_1)
	v_sub_nc_u64_e32 v[10:11], v[12:13], v[10:11]
.LBB127_820:
	s_or_b32 exec_lo, exec_lo, s31
.LBB127_821:
	s_mov_b32 s31, -1
.LBB127_822:
	s_mov_b32 s50, 0
.LBB127_823:
	s_delay_alu instid0(SALU_CYCLE_1)
	s_and_b32 vcc_lo, exec_lo, s50
	s_cbranch_vccz .LBB127_856
; %bb.824:
	s_cmp_gt_i32 s0, 22
	s_cbranch_scc0 .LBB127_832
; %bb.825:
	s_cmp_lt_i32 s0, 24
	s_cbranch_scc1 .LBB127_835
; %bb.826:
	s_cmp_gt_i32 s0, 24
	s_cbranch_scc0 .LBB127_836
; %bb.827:
	global_load_u8 v1, v[6:7], off
	s_mov_b32 s50, 0
	s_mov_b32 s31, exec_lo
	s_wait_loadcnt 0x0
	v_cmpx_lt_i16_e32 0x7f, v1
	s_xor_b32 s31, exec_lo, s31
	s_cbranch_execz .LBB127_848
; %bb.828:
	v_cmp_ne_u16_e32 vcc_lo, 0x80, v1
	s_and_b32 s50, vcc_lo, exec_lo
	s_and_not1_saveexec_b32 s31, s31
	s_cbranch_execnz .LBB127_849
.LBB127_829:
	s_or_b32 exec_lo, exec_lo, s31
	v_mov_b64_e32 v[10:11], 0
	s_and_saveexec_b32 s31, s50
	s_cbranch_execz .LBB127_831
.LBB127_830:
	v_and_b32_e32 v3, 0xffff, v1
	s_delay_alu instid0(VALU_DEP_1) | instskip(SKIP_1) | instid1(VALU_DEP_2)
	v_dual_lshlrev_b32 v1, 24, v1 :: v_dual_bitop2_b32 v10, 3, v3 bitop3:0x40
	v_bfe_u32 v13, v3, 2, 5
	v_and_b32_e32 v1, 0x80000000, v1
	s_delay_alu instid0(VALU_DEP_3) | instskip(NEXT) | instid1(VALU_DEP_3)
	v_clz_i32_u32_e32 v11, v10
	v_cmp_eq_u32_e32 vcc_lo, 0, v13
	s_delay_alu instid0(VALU_DEP_2) | instskip(NEXT) | instid1(VALU_DEP_1)
	v_min_u32_e32 v11, 32, v11
	v_subrev_nc_u32_e32 v12, 29, v11
	v_sub_nc_u32_e32 v11, 30, v11
	s_delay_alu instid0(VALU_DEP_2) | instskip(NEXT) | instid1(VALU_DEP_2)
	v_lshlrev_b32_e32 v3, v12, v3
	v_cndmask_b32_e32 v11, v13, v11, vcc_lo
	s_delay_alu instid0(VALU_DEP_2) | instskip(NEXT) | instid1(VALU_DEP_1)
	v_and_b32_e32 v3, 3, v3
	v_cndmask_b32_e32 v3, v10, v3, vcc_lo
	s_delay_alu instid0(VALU_DEP_3) | instskip(NEXT) | instid1(VALU_DEP_2)
	v_lshl_add_u32 v10, v11, 23, 0x37800000
	v_lshlrev_b32_e32 v3, 21, v3
	s_delay_alu instid0(VALU_DEP_1) | instskip(NEXT) | instid1(VALU_DEP_1)
	v_or3_b32 v1, v1, v10, v3
	v_trunc_f32_e32 v1, v1
	s_delay_alu instid0(VALU_DEP_1) | instskip(SKIP_1) | instid1(VALU_DEP_2)
	v_mul_f32_e64 v3, 0x2f800000, |v1|
	v_ashrrev_i32_e32 v10, 31, v1
	v_floor_f32_e32 v3, v3
	s_delay_alu instid0(VALU_DEP_1) | instskip(SKIP_1) | instid1(VALU_DEP_2)
	v_fma_f32 v11, 0xcf800000, v3, |v1|
	v_cvt_u32_f32_e32 v1, v3
	v_cvt_u32_f32_e32 v3, v11
	s_delay_alu instid0(VALU_DEP_2) | instskip(NEXT) | instid1(VALU_DEP_2)
	v_dual_mov_b32 v11, v10 :: v_dual_bitop2_b32 v13, v1, v10 bitop3:0x14
	v_xor_b32_e32 v12, v3, v10
	s_delay_alu instid0(VALU_DEP_1)
	v_sub_nc_u64_e32 v[10:11], v[12:13], v[10:11]
.LBB127_831:
	s_or_b32 exec_lo, exec_lo, s31
	s_mov_b32 s31, 0
	s_branch .LBB127_837
.LBB127_832:
	s_mov_b32 s50, -1
                                        ; implicit-def: $vgpr10_vgpr11
	s_branch .LBB127_843
.LBB127_833:
	s_and_not1_saveexec_b32 s31, s31
	s_cbranch_execz .LBB127_818
.LBB127_834:
	v_cmp_ne_u16_e32 vcc_lo, 0, v1
	s_and_not1_b32 s50, s50, exec_lo
	s_and_b32 s51, vcc_lo, exec_lo
	s_delay_alu instid0(SALU_CYCLE_1)
	s_or_b32 s50, s50, s51
	s_or_b32 exec_lo, exec_lo, s31
	v_mov_b64_e32 v[10:11], 0
	s_and_saveexec_b32 s31, s50
	s_cbranch_execnz .LBB127_819
	s_branch .LBB127_820
.LBB127_835:
	s_mov_b32 s31, -1
                                        ; implicit-def: $vgpr10_vgpr11
	s_branch .LBB127_840
.LBB127_836:
	s_mov_b32 s31, -1
                                        ; implicit-def: $vgpr10_vgpr11
.LBB127_837:
	s_delay_alu instid0(SALU_CYCLE_1)
	s_and_b32 vcc_lo, exec_lo, s31
	s_cbranch_vccz .LBB127_839
; %bb.838:
	global_load_u8 v1, v[6:7], off
	s_wait_loadcnt 0x0
	v_lshlrev_b32_e32 v1, 24, v1
	s_delay_alu instid0(VALU_DEP_1) | instskip(SKIP_1) | instid1(VALU_DEP_1)
	v_and_b32_e32 v3, 0x7f000000, v1
	s_wait_xcnt 0x1
	v_clz_i32_u32_e32 v10, v3
	v_cmp_ne_u32_e32 vcc_lo, 0, v3
	v_add_nc_u32_e32 v12, 0x1000000, v3
	s_delay_alu instid0(VALU_DEP_3) | instskip(NEXT) | instid1(VALU_DEP_1)
	v_min_u32_e32 v10, 32, v10
	v_sub_nc_u32_e64 v10, v10, 4 clamp
	s_delay_alu instid0(VALU_DEP_1) | instskip(NEXT) | instid1(VALU_DEP_1)
	v_dual_lshlrev_b32 v11, v10, v3 :: v_dual_lshlrev_b32 v10, 23, v10
	v_lshrrev_b32_e32 v11, 4, v11
	s_delay_alu instid0(VALU_DEP_1) | instskip(NEXT) | instid1(VALU_DEP_1)
	v_dual_sub_nc_u32 v10, v11, v10 :: v_dual_ashrrev_i32 v11, 8, v12
	v_add_nc_u32_e32 v10, 0x3c000000, v10
	s_delay_alu instid0(VALU_DEP_1) | instskip(NEXT) | instid1(VALU_DEP_1)
	v_and_or_b32 v10, 0x7f800000, v11, v10
	v_cndmask_b32_e32 v3, 0, v10, vcc_lo
	s_delay_alu instid0(VALU_DEP_1) | instskip(NEXT) | instid1(VALU_DEP_1)
	v_and_or_b32 v1, 0x80000000, v1, v3
	v_trunc_f32_e32 v1, v1
	s_delay_alu instid0(VALU_DEP_1) | instskip(SKIP_1) | instid1(VALU_DEP_2)
	v_mul_f32_e64 v3, 0x2f800000, |v1|
	v_ashrrev_i32_e32 v10, 31, v1
	v_floor_f32_e32 v3, v3
	s_delay_alu instid0(VALU_DEP_1) | instskip(SKIP_1) | instid1(VALU_DEP_2)
	v_fma_f32 v11, 0xcf800000, v3, |v1|
	v_cvt_u32_f32_e32 v1, v3
	v_cvt_u32_f32_e32 v3, v11
	s_delay_alu instid0(VALU_DEP_2) | instskip(NEXT) | instid1(VALU_DEP_2)
	v_dual_mov_b32 v11, v10 :: v_dual_bitop2_b32 v13, v1, v10 bitop3:0x14
	v_xor_b32_e32 v12, v3, v10
	s_delay_alu instid0(VALU_DEP_1)
	v_sub_nc_u64_e32 v[10:11], v[12:13], v[10:11]
.LBB127_839:
	s_mov_b32 s31, 0
.LBB127_840:
	s_delay_alu instid0(SALU_CYCLE_1)
	s_and_not1_b32 vcc_lo, exec_lo, s31
	s_cbranch_vccnz .LBB127_842
; %bb.841:
	global_load_u8 v1, v[6:7], off
	s_wait_loadcnt 0x0
	v_lshlrev_b32_e32 v3, 25, v1
	v_lshlrev_b16 v1, 8, v1
	s_wait_xcnt 0x1
	s_delay_alu instid0(VALU_DEP_1) | instskip(SKIP_1) | instid1(VALU_DEP_2)
	v_and_or_b32 v11, 0x7f00, v1, 0.5
	v_bfe_i32 v1, v1, 0, 16
	v_add_f32_e32 v11, -0.5, v11
	v_lshrrev_b32_e32 v10, 4, v3
	v_cmp_gt_u32_e32 vcc_lo, 0x8000000, v3
	s_delay_alu instid0(VALU_DEP_2) | instskip(NEXT) | instid1(VALU_DEP_1)
	v_or_b32_e32 v10, 0x70000000, v10
	v_mul_f32_e32 v10, 0x7800000, v10
	s_delay_alu instid0(VALU_DEP_1) | instskip(NEXT) | instid1(VALU_DEP_1)
	v_cndmask_b32_e32 v3, v10, v11, vcc_lo
	v_and_or_b32 v1, 0x80000000, v1, v3
	s_delay_alu instid0(VALU_DEP_1) | instskip(NEXT) | instid1(VALU_DEP_1)
	v_trunc_f32_e32 v1, v1
	v_mul_f32_e64 v3, 0x2f800000, |v1|
	v_ashrrev_i32_e32 v10, 31, v1
	s_delay_alu instid0(VALU_DEP_2) | instskip(NEXT) | instid1(VALU_DEP_1)
	v_floor_f32_e32 v3, v3
	v_fma_f32 v11, 0xcf800000, v3, |v1|
	v_cvt_u32_f32_e32 v1, v3
	s_delay_alu instid0(VALU_DEP_2) | instskip(NEXT) | instid1(VALU_DEP_2)
	v_cvt_u32_f32_e32 v3, v11
	v_dual_mov_b32 v11, v10 :: v_dual_bitop2_b32 v13, v1, v10 bitop3:0x14
	s_delay_alu instid0(VALU_DEP_2) | instskip(NEXT) | instid1(VALU_DEP_1)
	v_xor_b32_e32 v12, v3, v10
	v_sub_nc_u64_e32 v[10:11], v[12:13], v[10:11]
.LBB127_842:
	s_mov_b32 s50, 0
	s_mov_b32 s31, -1
.LBB127_843:
	s_and_not1_b32 vcc_lo, exec_lo, s50
	s_cbranch_vccnz .LBB127_856
; %bb.844:
	s_cmp_gt_i32 s0, 14
	s_cbranch_scc0 .LBB127_847
; %bb.845:
	s_cmp_eq_u32 s0, 15
	s_cbranch_scc0 .LBB127_850
; %bb.846:
	global_load_u16 v1, v[6:7], off
	s_mov_b32 s31, -1
	s_mov_b32 s30, 0
	s_wait_loadcnt 0x0
	v_lshlrev_b32_e32 v1, 16, v1
	s_delay_alu instid0(VALU_DEP_1) | instskip(NEXT) | instid1(VALU_DEP_1)
	v_trunc_f32_e32 v1, v1
	v_mul_f32_e64 v3, 0x2f800000, |v1|
	s_wait_xcnt 0x1
	v_ashrrev_i32_e32 v10, 31, v1
	s_delay_alu instid0(VALU_DEP_2) | instskip(NEXT) | instid1(VALU_DEP_1)
	v_floor_f32_e32 v3, v3
	v_fma_f32 v11, 0xcf800000, v3, |v1|
	v_cvt_u32_f32_e32 v1, v3
	s_delay_alu instid0(VALU_DEP_2) | instskip(NEXT) | instid1(VALU_DEP_2)
	v_cvt_u32_f32_e32 v3, v11
	v_dual_mov_b32 v11, v10 :: v_dual_bitop2_b32 v13, v1, v10 bitop3:0x14
	s_delay_alu instid0(VALU_DEP_2) | instskip(NEXT) | instid1(VALU_DEP_1)
	v_xor_b32_e32 v12, v3, v10
	v_sub_nc_u64_e32 v[10:11], v[12:13], v[10:11]
	s_branch .LBB127_851
.LBB127_847:
	s_mov_b32 s50, -1
                                        ; implicit-def: $vgpr10_vgpr11
	s_branch .LBB127_852
.LBB127_848:
	s_and_not1_saveexec_b32 s31, s31
	s_cbranch_execz .LBB127_829
.LBB127_849:
	v_cmp_ne_u16_e32 vcc_lo, 0, v1
	s_and_not1_b32 s50, s50, exec_lo
	s_and_b32 s51, vcc_lo, exec_lo
	s_delay_alu instid0(SALU_CYCLE_1)
	s_or_b32 s50, s50, s51
	s_or_b32 exec_lo, exec_lo, s31
	v_mov_b64_e32 v[10:11], 0
	s_and_saveexec_b32 s31, s50
	s_cbranch_execnz .LBB127_830
	s_branch .LBB127_831
.LBB127_850:
	s_mov_b32 s30, -1
                                        ; implicit-def: $vgpr10_vgpr11
.LBB127_851:
	s_mov_b32 s50, 0
.LBB127_852:
	s_delay_alu instid0(SALU_CYCLE_1)
	s_and_b32 vcc_lo, exec_lo, s50
	s_cbranch_vccz .LBB127_856
; %bb.853:
	s_cmp_eq_u32 s0, 11
	s_cbranch_scc0 .LBB127_855
; %bb.854:
	global_load_u8 v1, v[6:7], off
	s_mov_b32 s30, 0
	s_mov_b32 s31, -1
	s_wait_loadcnt 0x1
	s_wait_xcnt 0x1
	v_mov_b32_e32 v11, s30
	s_wait_loadcnt 0x0
	v_cmp_ne_u16_e32 vcc_lo, 0, v1
	v_cndmask_b32_e64 v10, 0, 1, vcc_lo
	s_branch .LBB127_856
.LBB127_855:
	s_mov_b32 s30, -1
                                        ; implicit-def: $vgpr10_vgpr11
.LBB127_856:
	s_mov_b32 s50, 0
.LBB127_857:
	s_delay_alu instid0(SALU_CYCLE_1)
	s_and_b32 vcc_lo, exec_lo, s50
	s_cbranch_vccz .LBB127_906
; %bb.858:
	s_cmp_lt_i32 s0, 5
	s_cbranch_scc1 .LBB127_863
; %bb.859:
	s_cmp_lt_i32 s0, 8
	s_cbranch_scc1 .LBB127_864
	;; [unrolled: 3-line block ×3, first 2 shown]
; %bb.861:
	s_cmp_gt_i32 s0, 9
	s_cbranch_scc0 .LBB127_866
; %bb.862:
	s_wait_loadcnt 0x0
	global_load_b64 v[10:11], v[6:7], off
	s_mov_b32 s31, 0
	s_wait_loadcnt 0x0
	v_trunc_f64_e32 v[10:11], v[10:11]
	s_delay_alu instid0(VALU_DEP_1) | instskip(NEXT) | instid1(VALU_DEP_1)
	v_ldexp_f64 v[12:13], v[10:11], 0xffffffe0
	v_floor_f64_e32 v[12:13], v[12:13]
	s_delay_alu instid0(VALU_DEP_1) | instskip(SKIP_1) | instid1(VALU_DEP_2)
	v_fmamk_f64 v[14:15], v[12:13], 0xc1f00000, v[10:11]
	v_cvt_i32_f64_e32 v11, v[12:13]
	v_cvt_u32_f64_e32 v10, v[14:15]
	s_branch .LBB127_867
.LBB127_863:
	s_mov_b32 s31, -1
                                        ; implicit-def: $vgpr10_vgpr11
	s_branch .LBB127_885
.LBB127_864:
	s_mov_b32 s31, -1
                                        ; implicit-def: $vgpr10_vgpr11
	s_branch .LBB127_873
.LBB127_865:
	s_mov_b32 s31, -1
                                        ; implicit-def: $vgpr10_vgpr11
	s_branch .LBB127_870
.LBB127_866:
	s_mov_b32 s31, -1
                                        ; implicit-def: $vgpr10_vgpr11
.LBB127_867:
	s_delay_alu instid0(SALU_CYCLE_1)
	s_and_not1_b32 vcc_lo, exec_lo, s31
	s_cbranch_vccnz .LBB127_869
; %bb.868:
	global_load_b32 v1, v[6:7], off
	s_wait_loadcnt 0x0
	v_trunc_f32_e32 v1, v1
	s_delay_alu instid0(VALU_DEP_1) | instskip(SKIP_2) | instid1(VALU_DEP_2)
	v_mul_f32_e64 v3, 0x2f800000, |v1|
	s_wait_xcnt 0x1
	v_ashrrev_i32_e32 v10, 31, v1
	v_floor_f32_e32 v3, v3
	s_delay_alu instid0(VALU_DEP_1) | instskip(SKIP_1) | instid1(VALU_DEP_2)
	v_fma_f32 v11, 0xcf800000, v3, |v1|
	v_cvt_u32_f32_e32 v1, v3
	v_cvt_u32_f32_e32 v3, v11
	s_delay_alu instid0(VALU_DEP_2) | instskip(NEXT) | instid1(VALU_DEP_2)
	v_dual_mov_b32 v11, v10 :: v_dual_bitop2_b32 v13, v1, v10 bitop3:0x14
	v_xor_b32_e32 v12, v3, v10
	s_delay_alu instid0(VALU_DEP_1)
	v_sub_nc_u64_e32 v[10:11], v[12:13], v[10:11]
.LBB127_869:
	s_mov_b32 s31, 0
.LBB127_870:
	s_delay_alu instid0(SALU_CYCLE_1)
	s_and_not1_b32 vcc_lo, exec_lo, s31
	s_cbranch_vccnz .LBB127_872
; %bb.871:
	global_load_b32 v1, v[6:7], off
	s_wait_loadcnt 0x0
	v_cvt_f32_f16_e32 v1, v1
	s_wait_xcnt 0x1
	s_delay_alu instid0(VALU_DEP_1) | instskip(NEXT) | instid1(VALU_DEP_1)
	v_cvt_i32_f32_e32 v10, v1
	v_ashrrev_i32_e32 v11, 31, v10
.LBB127_872:
	s_mov_b32 s31, 0
.LBB127_873:
	s_delay_alu instid0(SALU_CYCLE_1)
	s_and_not1_b32 vcc_lo, exec_lo, s31
	s_cbranch_vccnz .LBB127_884
; %bb.874:
	s_cmp_lt_i32 s0, 6
	s_cbranch_scc1 .LBB127_877
; %bb.875:
	s_cmp_gt_i32 s0, 6
	s_cbranch_scc0 .LBB127_878
; %bb.876:
	s_wait_loadcnt 0x0
	global_load_b64 v[10:11], v[6:7], off
	s_mov_b32 s31, 0
	s_wait_loadcnt 0x0
	v_trunc_f64_e32 v[10:11], v[10:11]
	s_delay_alu instid0(VALU_DEP_1) | instskip(NEXT) | instid1(VALU_DEP_1)
	v_ldexp_f64 v[12:13], v[10:11], 0xffffffe0
	v_floor_f64_e32 v[12:13], v[12:13]
	s_delay_alu instid0(VALU_DEP_1) | instskip(SKIP_1) | instid1(VALU_DEP_2)
	v_fmamk_f64 v[14:15], v[12:13], 0xc1f00000, v[10:11]
	v_cvt_i32_f64_e32 v11, v[12:13]
	v_cvt_u32_f64_e32 v10, v[14:15]
	s_branch .LBB127_879
.LBB127_877:
	s_mov_b32 s31, -1
                                        ; implicit-def: $vgpr10_vgpr11
	s_branch .LBB127_882
.LBB127_878:
	s_mov_b32 s31, -1
                                        ; implicit-def: $vgpr10_vgpr11
.LBB127_879:
	s_delay_alu instid0(SALU_CYCLE_1)
	s_and_not1_b32 vcc_lo, exec_lo, s31
	s_cbranch_vccnz .LBB127_881
; %bb.880:
	global_load_b32 v1, v[6:7], off
	s_wait_loadcnt 0x0
	v_trunc_f32_e32 v1, v1
	s_delay_alu instid0(VALU_DEP_1) | instskip(SKIP_2) | instid1(VALU_DEP_2)
	v_mul_f32_e64 v3, 0x2f800000, |v1|
	s_wait_xcnt 0x1
	v_ashrrev_i32_e32 v10, 31, v1
	v_floor_f32_e32 v3, v3
	s_delay_alu instid0(VALU_DEP_1) | instskip(SKIP_1) | instid1(VALU_DEP_2)
	v_fma_f32 v11, 0xcf800000, v3, |v1|
	v_cvt_u32_f32_e32 v1, v3
	v_cvt_u32_f32_e32 v3, v11
	s_delay_alu instid0(VALU_DEP_2) | instskip(NEXT) | instid1(VALU_DEP_2)
	v_dual_mov_b32 v11, v10 :: v_dual_bitop2_b32 v13, v1, v10 bitop3:0x14
	v_xor_b32_e32 v12, v3, v10
	s_delay_alu instid0(VALU_DEP_1)
	v_sub_nc_u64_e32 v[10:11], v[12:13], v[10:11]
.LBB127_881:
	s_mov_b32 s31, 0
.LBB127_882:
	s_delay_alu instid0(SALU_CYCLE_1)
	s_and_not1_b32 vcc_lo, exec_lo, s31
	s_cbranch_vccnz .LBB127_884
; %bb.883:
	global_load_u16 v1, v[6:7], off
	s_wait_loadcnt 0x0
	v_cvt_f32_f16_e32 v1, v1
	s_wait_xcnt 0x1
	s_delay_alu instid0(VALU_DEP_1) | instskip(NEXT) | instid1(VALU_DEP_1)
	v_cvt_i32_f32_e32 v10, v1
	v_ashrrev_i32_e32 v11, 31, v10
.LBB127_884:
	s_mov_b32 s31, 0
.LBB127_885:
	s_delay_alu instid0(SALU_CYCLE_1)
	s_and_not1_b32 vcc_lo, exec_lo, s31
	s_cbranch_vccnz .LBB127_905
; %bb.886:
	s_cmp_lt_i32 s0, 2
	s_cbranch_scc1 .LBB127_890
; %bb.887:
	s_cmp_lt_i32 s0, 3
	s_cbranch_scc1 .LBB127_891
; %bb.888:
	s_cmp_gt_i32 s0, 3
	s_cbranch_scc0 .LBB127_892
; %bb.889:
	s_wait_loadcnt 0x0
	global_load_b64 v[10:11], v[6:7], off
	s_mov_b32 s31, 0
	s_branch .LBB127_893
.LBB127_890:
	s_mov_b32 s31, -1
                                        ; implicit-def: $vgpr10_vgpr11
	s_branch .LBB127_899
.LBB127_891:
	s_mov_b32 s31, -1
                                        ; implicit-def: $vgpr10_vgpr11
	s_branch .LBB127_896
.LBB127_892:
	s_mov_b32 s31, -1
                                        ; implicit-def: $vgpr10_vgpr11
.LBB127_893:
	s_delay_alu instid0(SALU_CYCLE_1)
	s_and_not1_b32 vcc_lo, exec_lo, s31
	s_cbranch_vccnz .LBB127_895
; %bb.894:
	s_wait_loadcnt 0x0
	global_load_b32 v10, v[6:7], off
	s_wait_loadcnt 0x0
	v_ashrrev_i32_e32 v11, 31, v10
.LBB127_895:
	s_mov_b32 s31, 0
.LBB127_896:
	s_delay_alu instid0(SALU_CYCLE_1)
	s_and_not1_b32 vcc_lo, exec_lo, s31
	s_cbranch_vccnz .LBB127_898
; %bb.897:
	global_load_u16 v1, v[6:7], off
	s_wait_loadcnt 0x0
	s_wait_xcnt 0x1
	v_bfe_i32 v10, v1, 0, 16
	s_delay_alu instid0(VALU_DEP_1)
	v_ashrrev_i32_e32 v11, 31, v10
.LBB127_898:
	s_mov_b32 s31, 0
.LBB127_899:
	s_delay_alu instid0(SALU_CYCLE_1)
	s_and_not1_b32 vcc_lo, exec_lo, s31
	s_cbranch_vccnz .LBB127_905
; %bb.900:
	s_cmp_gt_i32 s0, 0
	s_mov_b32 s0, 0
	s_cbranch_scc0 .LBB127_902
; %bb.901:
	global_load_i8 v1, v[6:7], off
	s_wait_loadcnt 0x0
	s_wait_xcnt 0x1
	v_bfe_i32 v10, v1, 0, 16
	s_delay_alu instid0(VALU_DEP_1)
	v_ashrrev_i32_e32 v11, 31, v10
	s_branch .LBB127_903
.LBB127_902:
	s_mov_b32 s0, -1
                                        ; implicit-def: $vgpr10_vgpr11
.LBB127_903:
	s_delay_alu instid0(SALU_CYCLE_1)
	s_and_not1_b32 vcc_lo, exec_lo, s0
	s_cbranch_vccnz .LBB127_905
; %bb.904:
	global_load_u8 v1, v[6:7], off
	s_mov_b32 s0, 0
	s_wait_loadcnt 0x1
	s_wait_xcnt 0x1
	v_mov_b32_e32 v11, s0
	s_wait_loadcnt 0x0
	v_and_b32_e32 v10, 0xffff, v1
.LBB127_905:
	s_mov_b32 s31, -1
.LBB127_906:
	s_delay_alu instid0(SALU_CYCLE_1)
	s_and_not1_b32 vcc_lo, exec_lo, s31
	s_cbranch_vccnz .LBB127_914
; %bb.907:
	s_wait_loadcnt 0x0
	s_delay_alu instid0(VALU_DEP_3) | instskip(SKIP_2) | instid1(SALU_CYCLE_1)
	v_max_i64 v[4:5], v[4:5], v[8:9]
	v_mov_b32_e32 v3, 0
	s_and_b32 s31, s38, 0xff
	s_cmp_lt_i32 s31, 11
	s_delay_alu instid0(VALU_DEP_1) | instskip(NEXT) | instid1(VALU_DEP_3)
	v_add_nc_u64_e32 v[2:3], s[4:5], v[2:3]
	v_min_i64 v[4:5], v[4:5], v[10:11]
	s_cbranch_scc1 .LBB127_915
; %bb.908:
	s_and_b32 s50, 0xffff, s31
	s_delay_alu instid0(SALU_CYCLE_1)
	s_cmp_gt_i32 s50, 25
	s_cbranch_scc0 .LBB127_916
; %bb.909:
	s_cmp_gt_i32 s50, 28
	s_cbranch_scc0 .LBB127_917
; %bb.910:
	;; [unrolled: 3-line block ×4, first 2 shown]
	s_mov_b32 s52, 0
	s_mov_b32 s0, -1
	s_cmp_eq_u32 s50, 46
	s_mov_b32 s51, 0
	s_cbranch_scc0 .LBB127_920
; %bb.913:
	s_delay_alu instid0(VALU_DEP_1)
	v_xor_b32_e32 v1, v4, v5
	s_wait_xcnt 0x0
	v_cls_i32_e32 v6, v5
	s_mov_b32 s51, -1
	s_mov_b32 s0, 0
	v_ashrrev_i32_e32 v1, 31, v1
	s_delay_alu instid0(VALU_DEP_1) | instskip(NEXT) | instid1(VALU_DEP_1)
	v_add_nc_u32_e32 v1, 32, v1
	v_add_min_u32_e64 v1, v6, -1, v1
	s_delay_alu instid0(VALU_DEP_1) | instskip(SKIP_1) | instid1(VALU_DEP_2)
	v_lshlrev_b64_e32 v[6:7], v1, v[4:5]
	v_sub_nc_u32_e32 v1, 32, v1
	v_min_u32_e32 v6, 1, v6
	s_delay_alu instid0(VALU_DEP_1) | instskip(NEXT) | instid1(VALU_DEP_1)
	v_or_b32_e32 v6, v7, v6
	v_cvt_f32_i32_e32 v6, v6
	s_delay_alu instid0(VALU_DEP_1) | instskip(NEXT) | instid1(VALU_DEP_1)
	v_ldexp_f32 v1, v6, v1
	v_bfe_u32 v6, v1, 16, 1
	s_delay_alu instid0(VALU_DEP_1) | instskip(NEXT) | instid1(VALU_DEP_1)
	v_add3_u32 v1, v1, v6, 0x7fff
	v_lshrrev_b32_e32 v1, 16, v1
	global_store_b32 v[2:3], v1, off
	s_branch .LBB127_920
.LBB127_914:
	s_mov_b32 s31, 0
	s_mov_b32 s0, s44
	s_branch .LBB127_1031
.LBB127_915:
	s_mov_b32 s50, -1
	s_mov_b32 s51, 0
	s_mov_b32 s0, s44
	s_branch .LBB127_989
.LBB127_916:
	s_mov_b32 s52, -1
	s_mov_b32 s51, 0
	s_mov_b32 s0, s44
	s_branch .LBB127_947
.LBB127_917:
	s_mov_b32 s52, -1
	s_mov_b32 s51, 0
	s_mov_b32 s0, s44
	s_branch .LBB127_930
.LBB127_918:
	s_mov_b32 s52, -1
	s_mov_b32 s51, 0
	s_mov_b32 s0, s44
	s_branch .LBB127_926
.LBB127_919:
	s_mov_b32 s52, -1
	s_mov_b32 s51, 0
	s_mov_b32 s0, s44
.LBB127_920:
	s_and_b32 vcc_lo, exec_lo, s52
	s_cbranch_vccz .LBB127_925
; %bb.921:
	s_cmp_eq_u32 s50, 44
	s_mov_b32 s0, -1
	s_cbranch_scc0 .LBB127_925
; %bb.922:
	s_wait_xcnt 0x0
	s_delay_alu instid0(VALU_DEP_1) | instskip(SKIP_3) | instid1(VALU_DEP_2)
	v_xor_b32_e32 v1, v4, v5
	v_cls_i32_e32 v6, v5
	s_mov_b32 s51, -1
	s_mov_b32 s52, exec_lo
	v_ashrrev_i32_e32 v1, 31, v1
	s_delay_alu instid0(VALU_DEP_1) | instskip(NEXT) | instid1(VALU_DEP_1)
	v_add_nc_u32_e32 v1, 32, v1
	v_add_min_u32_e64 v1, v6, -1, v1
	s_delay_alu instid0(VALU_DEP_1) | instskip(SKIP_1) | instid1(VALU_DEP_2)
	v_lshlrev_b64_e32 v[6:7], v1, v[4:5]
	v_sub_nc_u32_e32 v1, 32, v1
	v_min_u32_e32 v6, 1, v6
	s_delay_alu instid0(VALU_DEP_1) | instskip(NEXT) | instid1(VALU_DEP_1)
	v_or_b32_e32 v6, v7, v6
	v_cvt_f32_i32_e32 v6, v6
	s_delay_alu instid0(VALU_DEP_1) | instskip(SKIP_1) | instid1(VALU_DEP_2)
	v_ldexp_f32 v1, v6, v1
	v_mov_b32_e32 v6, 0xff
	v_bfe_u32 v7, v1, 23, 8
	s_delay_alu instid0(VALU_DEP_1)
	v_cmpx_ne_u32_e32 0xff, v7
	s_cbranch_execz .LBB127_924
; %bb.923:
	v_and_b32_e32 v6, 0x400000, v1
	v_and_or_b32 v7, 0x3fffff, v1, v7
	v_lshrrev_b32_e32 v1, 23, v1
	s_delay_alu instid0(VALU_DEP_3) | instskip(NEXT) | instid1(VALU_DEP_3)
	v_cmp_ne_u32_e32 vcc_lo, 0, v6
	v_cmp_ne_u32_e64 s0, 0, v7
	s_and_b32 s0, vcc_lo, s0
	s_delay_alu instid0(SALU_CYCLE_1) | instskip(NEXT) | instid1(VALU_DEP_1)
	v_cndmask_b32_e64 v6, 0, 1, s0
	v_add_nc_u32_e32 v6, v1, v6
.LBB127_924:
	s_or_b32 exec_lo, exec_lo, s52
	s_mov_b32 s0, 0
	global_store_b8 v[2:3], v6, off
.LBB127_925:
	s_mov_b32 s52, 0
.LBB127_926:
	s_delay_alu instid0(SALU_CYCLE_1)
	s_and_b32 vcc_lo, exec_lo, s52
	s_cbranch_vccz .LBB127_929
; %bb.927:
	s_cmp_eq_u32 s50, 29
	s_mov_b32 s0, -1
	s_cbranch_scc0 .LBB127_929
; %bb.928:
	s_mov_b32 s51, -1
	s_mov_b32 s0, 0
	global_store_b64 v[2:3], v[4:5], off
.LBB127_929:
	s_mov_b32 s52, 0
.LBB127_930:
	s_delay_alu instid0(SALU_CYCLE_1)
	s_and_b32 vcc_lo, exec_lo, s52
	s_cbranch_vccz .LBB127_946
; %bb.931:
	s_cmp_lt_i32 s50, 27
	s_mov_b32 s51, -1
	s_cbranch_scc1 .LBB127_937
; %bb.932:
	s_cmp_gt_i32 s50, 27
	s_cbranch_scc0 .LBB127_934
; %bb.933:
	s_mov_b32 s51, 0
	global_store_b32 v[2:3], v4, off
.LBB127_934:
	s_and_not1_b32 vcc_lo, exec_lo, s51
	s_cbranch_vccnz .LBB127_936
; %bb.935:
	global_store_b16 v[2:3], v4, off
.LBB127_936:
	s_mov_b32 s51, 0
.LBB127_937:
	s_delay_alu instid0(SALU_CYCLE_1)
	s_and_not1_b32 vcc_lo, exec_lo, s51
	s_cbranch_vccnz .LBB127_945
; %bb.938:
	s_wait_xcnt 0x0
	s_delay_alu instid0(VALU_DEP_1) | instskip(SKIP_2) | instid1(VALU_DEP_2)
	v_xor_b32_e32 v1, v4, v5
	v_cls_i32_e32 v6, v5
	s_mov_b32 s51, exec_lo
	v_ashrrev_i32_e32 v1, 31, v1
	s_delay_alu instid0(VALU_DEP_1) | instskip(NEXT) | instid1(VALU_DEP_1)
	v_add_nc_u32_e32 v1, 32, v1
	v_add_min_u32_e64 v1, v6, -1, v1
	s_delay_alu instid0(VALU_DEP_1) | instskip(SKIP_1) | instid1(VALU_DEP_2)
	v_lshlrev_b64_e32 v[6:7], v1, v[4:5]
	v_sub_nc_u32_e32 v1, 32, v1
	v_min_u32_e32 v6, 1, v6
	s_delay_alu instid0(VALU_DEP_1) | instskip(SKIP_1) | instid1(VALU_DEP_2)
	v_or_b32_e32 v6, v7, v6
	v_mov_b32_e32 v7, 0x80
	v_cvt_f32_i32_e32 v6, v6
	s_delay_alu instid0(VALU_DEP_1) | instskip(NEXT) | instid1(VALU_DEP_1)
	v_ldexp_f32 v1, v6, v1
	v_and_b32_e32 v6, 0x7fffffff, v1
	s_delay_alu instid0(VALU_DEP_1)
	v_cmpx_gt_u32_e32 0x43800000, v6
	s_cbranch_execz .LBB127_944
; %bb.939:
	v_cmp_lt_u32_e32 vcc_lo, 0x3bffffff, v6
	s_mov_b32 s52, 0
                                        ; implicit-def: $vgpr6
	s_and_saveexec_b32 s53, vcc_lo
	s_delay_alu instid0(SALU_CYCLE_1)
	s_xor_b32 s53, exec_lo, s53
	s_cbranch_execz .LBB127_1185
; %bb.940:
	v_bfe_u32 v6, v1, 20, 1
	s_mov_b32 s52, exec_lo
	s_delay_alu instid0(VALU_DEP_1) | instskip(NEXT) | instid1(VALU_DEP_1)
	v_add3_u32 v6, v1, v6, 0x487ffff
	v_lshrrev_b32_e32 v6, 20, v6
	s_and_not1_saveexec_b32 s53, s53
	s_cbranch_execnz .LBB127_1186
.LBB127_941:
	s_or_b32 exec_lo, exec_lo, s53
	v_mov_b32_e32 v7, 0
	s_and_saveexec_b32 s53, s52
.LBB127_942:
	v_lshrrev_b32_e32 v1, 24, v1
	s_delay_alu instid0(VALU_DEP_1)
	v_and_or_b32 v7, 0x80, v1, v6
.LBB127_943:
	s_or_b32 exec_lo, exec_lo, s53
.LBB127_944:
	s_delay_alu instid0(SALU_CYCLE_1)
	s_or_b32 exec_lo, exec_lo, s51
	global_store_b8 v[2:3], v7, off
.LBB127_945:
	s_mov_b32 s51, -1
.LBB127_946:
	s_mov_b32 s52, 0
.LBB127_947:
	s_delay_alu instid0(SALU_CYCLE_1)
	s_and_b32 vcc_lo, exec_lo, s52
	s_cbranch_vccz .LBB127_988
; %bb.948:
	s_cmp_gt_i32 s50, 22
	s_mov_b32 s52, -1
	s_cbranch_scc0 .LBB127_980
; %bb.949:
	s_cmp_lt_i32 s50, 24
	s_mov_b32 s51, -1
	s_cbranch_scc1 .LBB127_969
; %bb.950:
	s_cmp_gt_i32 s50, 24
	s_cbranch_scc0 .LBB127_958
; %bb.951:
	s_wait_xcnt 0x0
	s_delay_alu instid0(VALU_DEP_1) | instskip(SKIP_2) | instid1(VALU_DEP_2)
	v_xor_b32_e32 v1, v4, v5
	v_cls_i32_e32 v6, v5
	s_mov_b32 s51, exec_lo
	v_ashrrev_i32_e32 v1, 31, v1
	s_delay_alu instid0(VALU_DEP_1) | instskip(NEXT) | instid1(VALU_DEP_1)
	v_add_nc_u32_e32 v1, 32, v1
	v_add_min_u32_e64 v1, v6, -1, v1
	s_delay_alu instid0(VALU_DEP_1) | instskip(SKIP_1) | instid1(VALU_DEP_2)
	v_lshlrev_b64_e32 v[6:7], v1, v[4:5]
	v_sub_nc_u32_e32 v1, 32, v1
	v_min_u32_e32 v6, 1, v6
	s_delay_alu instid0(VALU_DEP_1) | instskip(SKIP_1) | instid1(VALU_DEP_2)
	v_or_b32_e32 v6, v7, v6
	v_mov_b32_e32 v7, 0x80
	v_cvt_f32_i32_e32 v6, v6
	s_delay_alu instid0(VALU_DEP_1) | instskip(NEXT) | instid1(VALU_DEP_1)
	v_ldexp_f32 v1, v6, v1
	v_and_b32_e32 v6, 0x7fffffff, v1
	s_delay_alu instid0(VALU_DEP_1)
	v_cmpx_gt_u32_e32 0x47800000, v6
	s_cbranch_execz .LBB127_957
; %bb.952:
	v_cmp_lt_u32_e32 vcc_lo, 0x37ffffff, v6
	s_mov_b32 s52, 0
                                        ; implicit-def: $vgpr6
	s_and_saveexec_b32 s53, vcc_lo
	s_delay_alu instid0(SALU_CYCLE_1)
	s_xor_b32 s53, exec_lo, s53
	s_cbranch_execz .LBB127_1313
; %bb.953:
	v_bfe_u32 v6, v1, 21, 1
	s_mov_b32 s52, exec_lo
	s_delay_alu instid0(VALU_DEP_1) | instskip(NEXT) | instid1(VALU_DEP_1)
	v_add3_u32 v6, v1, v6, 0x88fffff
	v_lshrrev_b32_e32 v6, 21, v6
	s_and_not1_saveexec_b32 s53, s53
	s_cbranch_execnz .LBB127_1314
.LBB127_954:
	s_or_b32 exec_lo, exec_lo, s53
	v_mov_b32_e32 v7, 0
	s_and_saveexec_b32 s53, s52
.LBB127_955:
	v_lshrrev_b32_e32 v1, 24, v1
	s_delay_alu instid0(VALU_DEP_1)
	v_and_or_b32 v7, 0x80, v1, v6
.LBB127_956:
	s_or_b32 exec_lo, exec_lo, s53
.LBB127_957:
	s_delay_alu instid0(SALU_CYCLE_1)
	s_or_b32 exec_lo, exec_lo, s51
	s_mov_b32 s51, 0
	global_store_b8 v[2:3], v7, off
.LBB127_958:
	s_and_b32 vcc_lo, exec_lo, s51
	s_cbranch_vccz .LBB127_968
; %bb.959:
	s_wait_xcnt 0x0
	s_delay_alu instid0(VALU_DEP_1) | instskip(SKIP_2) | instid1(VALU_DEP_2)
	v_xor_b32_e32 v1, v4, v5
	v_cls_i32_e32 v6, v5
	s_mov_b32 s51, exec_lo
	v_ashrrev_i32_e32 v1, 31, v1
	s_delay_alu instid0(VALU_DEP_1) | instskip(NEXT) | instid1(VALU_DEP_1)
	v_add_nc_u32_e32 v1, 32, v1
	v_add_min_u32_e64 v1, v6, -1, v1
	s_delay_alu instid0(VALU_DEP_1) | instskip(SKIP_1) | instid1(VALU_DEP_2)
	v_lshlrev_b64_e32 v[6:7], v1, v[4:5]
	v_sub_nc_u32_e32 v1, 32, v1
	v_min_u32_e32 v6, 1, v6
	s_delay_alu instid0(VALU_DEP_1) | instskip(NEXT) | instid1(VALU_DEP_1)
	v_or_b32_e32 v6, v7, v6
	v_cvt_f32_i32_e32 v6, v6
	s_delay_alu instid0(VALU_DEP_1) | instskip(NEXT) | instid1(VALU_DEP_1)
	v_ldexp_f32 v1, v6, v1
                                        ; implicit-def: $vgpr6
	v_and_b32_e32 v7, 0x7fffffff, v1
	s_delay_alu instid0(VALU_DEP_1)
	v_cmpx_gt_u32_e32 0x43f00000, v7
	s_xor_b32 s51, exec_lo, s51
	s_cbranch_execz .LBB127_965
; %bb.960:
	s_mov_b32 s52, exec_lo
                                        ; implicit-def: $vgpr6
	v_cmpx_lt_u32_e32 0x3c7fffff, v7
	s_xor_b32 s52, exec_lo, s52
; %bb.961:
	v_bfe_u32 v6, v1, 20, 1
	s_delay_alu instid0(VALU_DEP_1) | instskip(NEXT) | instid1(VALU_DEP_1)
	v_add3_u32 v6, v1, v6, 0x407ffff
	v_and_b32_e32 v7, 0xff00000, v6
	v_lshrrev_b32_e32 v6, 20, v6
	s_delay_alu instid0(VALU_DEP_2) | instskip(NEXT) | instid1(VALU_DEP_2)
	v_cmp_ne_u32_e32 vcc_lo, 0x7f00000, v7
	v_cndmask_b32_e32 v6, 0x7e, v6, vcc_lo
; %bb.962:
	s_and_not1_saveexec_b32 s52, s52
; %bb.963:
	v_add_f32_e64 v6, 0x46800000, |v1|
; %bb.964:
	s_or_b32 exec_lo, exec_lo, s52
                                        ; implicit-def: $vgpr7
.LBB127_965:
	s_and_not1_saveexec_b32 s51, s51
; %bb.966:
	v_mov_b32_e32 v6, 0x7f
	v_cmp_lt_u32_e32 vcc_lo, 0x7f800000, v7
	s_delay_alu instid0(VALU_DEP_2)
	v_cndmask_b32_e32 v6, 0x7e, v6, vcc_lo
; %bb.967:
	s_or_b32 exec_lo, exec_lo, s51
	v_lshrrev_b32_e32 v1, 24, v1
	s_delay_alu instid0(VALU_DEP_1)
	v_and_or_b32 v1, 0x80, v1, v6
	global_store_b8 v[2:3], v1, off
.LBB127_968:
	s_mov_b32 s51, 0
.LBB127_969:
	s_delay_alu instid0(SALU_CYCLE_1)
	s_and_not1_b32 vcc_lo, exec_lo, s51
	s_cbranch_vccnz .LBB127_979
; %bb.970:
	s_wait_xcnt 0x0
	s_delay_alu instid0(VALU_DEP_1) | instskip(SKIP_2) | instid1(VALU_DEP_2)
	v_xor_b32_e32 v1, v4, v5
	v_cls_i32_e32 v6, v5
	s_mov_b32 s51, exec_lo
	v_ashrrev_i32_e32 v1, 31, v1
	s_delay_alu instid0(VALU_DEP_1) | instskip(NEXT) | instid1(VALU_DEP_1)
	v_add_nc_u32_e32 v1, 32, v1
	v_add_min_u32_e64 v1, v6, -1, v1
	s_delay_alu instid0(VALU_DEP_1) | instskip(SKIP_1) | instid1(VALU_DEP_2)
	v_lshlrev_b64_e32 v[6:7], v1, v[4:5]
	v_sub_nc_u32_e32 v1, 32, v1
	v_min_u32_e32 v6, 1, v6
	s_delay_alu instid0(VALU_DEP_1) | instskip(NEXT) | instid1(VALU_DEP_1)
	v_or_b32_e32 v6, v7, v6
	v_cvt_f32_i32_e32 v6, v6
	s_delay_alu instid0(VALU_DEP_1) | instskip(NEXT) | instid1(VALU_DEP_1)
	v_ldexp_f32 v1, v6, v1
                                        ; implicit-def: $vgpr6
	v_and_b32_e32 v7, 0x7fffffff, v1
	s_delay_alu instid0(VALU_DEP_1)
	v_cmpx_gt_u32_e32 0x47800000, v7
	s_xor_b32 s51, exec_lo, s51
	s_cbranch_execz .LBB127_976
; %bb.971:
	s_mov_b32 s52, exec_lo
                                        ; implicit-def: $vgpr6
	v_cmpx_lt_u32_e32 0x387fffff, v7
	s_xor_b32 s52, exec_lo, s52
; %bb.972:
	v_bfe_u32 v6, v1, 21, 1
	s_delay_alu instid0(VALU_DEP_1) | instskip(NEXT) | instid1(VALU_DEP_1)
	v_add3_u32 v6, v1, v6, 0x80fffff
	v_lshrrev_b32_e32 v6, 21, v6
; %bb.973:
	s_and_not1_saveexec_b32 s52, s52
; %bb.974:
	v_add_f32_e64 v6, 0x43000000, |v1|
; %bb.975:
	s_or_b32 exec_lo, exec_lo, s52
                                        ; implicit-def: $vgpr7
.LBB127_976:
	s_and_not1_saveexec_b32 s51, s51
; %bb.977:
	v_mov_b32_e32 v6, 0x7f
	v_cmp_lt_u32_e32 vcc_lo, 0x7f800000, v7
	s_delay_alu instid0(VALU_DEP_2)
	v_cndmask_b32_e32 v6, 0x7c, v6, vcc_lo
; %bb.978:
	s_or_b32 exec_lo, exec_lo, s51
	v_lshrrev_b32_e32 v1, 24, v1
	s_delay_alu instid0(VALU_DEP_1)
	v_and_or_b32 v1, 0x80, v1, v6
	global_store_b8 v[2:3], v1, off
.LBB127_979:
	s_mov_b32 s52, 0
	s_mov_b32 s51, -1
.LBB127_980:
	s_and_not1_b32 vcc_lo, exec_lo, s52
	s_cbranch_vccnz .LBB127_988
; %bb.981:
	s_cmp_gt_i32 s50, 14
	s_mov_b32 s52, -1
	s_cbranch_scc0 .LBB127_985
; %bb.982:
	s_cmp_eq_u32 s50, 15
	s_mov_b32 s0, -1
	s_cbranch_scc0 .LBB127_984
; %bb.983:
	s_wait_xcnt 0x0
	s_delay_alu instid0(VALU_DEP_1) | instskip(SKIP_3) | instid1(VALU_DEP_2)
	v_xor_b32_e32 v1, v4, v5
	v_cls_i32_e32 v6, v5
	s_mov_b32 s51, -1
	s_mov_b32 s0, 0
	v_ashrrev_i32_e32 v1, 31, v1
	s_delay_alu instid0(VALU_DEP_1) | instskip(NEXT) | instid1(VALU_DEP_1)
	v_add_nc_u32_e32 v1, 32, v1
	v_add_min_u32_e64 v1, v6, -1, v1
	s_delay_alu instid0(VALU_DEP_1) | instskip(SKIP_1) | instid1(VALU_DEP_2)
	v_lshlrev_b64_e32 v[6:7], v1, v[4:5]
	v_sub_nc_u32_e32 v1, 32, v1
	v_min_u32_e32 v6, 1, v6
	s_delay_alu instid0(VALU_DEP_1) | instskip(NEXT) | instid1(VALU_DEP_1)
	v_or_b32_e32 v6, v7, v6
	v_cvt_f32_i32_e32 v6, v6
	s_delay_alu instid0(VALU_DEP_1) | instskip(NEXT) | instid1(VALU_DEP_1)
	v_ldexp_f32 v1, v6, v1
	v_bfe_u32 v6, v1, 16, 1
	s_delay_alu instid0(VALU_DEP_1)
	v_add3_u32 v1, v1, v6, 0x7fff
	global_store_d16_hi_b16 v[2:3], v1, off
.LBB127_984:
	s_mov_b32 s52, 0
.LBB127_985:
	s_delay_alu instid0(SALU_CYCLE_1)
	s_and_b32 vcc_lo, exec_lo, s52
	s_cbranch_vccz .LBB127_988
; %bb.986:
	s_cmp_eq_u32 s50, 11
	s_mov_b32 s0, -1
	s_cbranch_scc0 .LBB127_988
; %bb.987:
	s_delay_alu instid0(VALU_DEP_1)
	v_cmp_ne_u64_e32 vcc_lo, 0, v[4:5]
	s_mov_b32 s51, -1
	s_mov_b32 s0, 0
	s_wait_xcnt 0x0
	v_cndmask_b32_e64 v1, 0, 1, vcc_lo
	global_store_b8 v[2:3], v1, off
.LBB127_988:
	s_mov_b32 s50, 0
.LBB127_989:
	s_delay_alu instid0(SALU_CYCLE_1)
	s_and_b32 vcc_lo, exec_lo, s50
	s_cbranch_vccz .LBB127_1028
; %bb.990:
	s_and_b32 s31, 0xffff, s31
	s_mov_b32 s50, -1
	s_cmp_lt_i32 s31, 5
	s_cbranch_scc1 .LBB127_1011
; %bb.991:
	s_cmp_lt_i32 s31, 8
	s_cbranch_scc1 .LBB127_1001
; %bb.992:
	;; [unrolled: 3-line block ×3, first 2 shown]
	s_cmp_gt_i32 s31, 9
	s_cbranch_scc0 .LBB127_995
; %bb.994:
	s_wait_xcnt 0x0
	s_delay_alu instid0(VALU_DEP_1) | instskip(NEXT) | instid1(VALU_DEP_2)
	v_cvt_f64_i32_e32 v[6:7], v5
	v_cvt_f64_u32_e32 v[8:9], v4
	s_mov_b32 s50, 0
	s_delay_alu instid0(VALU_DEP_2) | instskip(NEXT) | instid1(VALU_DEP_1)
	v_ldexp_f64 v[6:7], v[6:7], 32
	v_dual_add_f64 v[6:7], v[6:7], v[8:9] :: v_dual_mov_b32 v8, 0
	s_delay_alu instid0(VALU_DEP_1)
	v_mov_b32_e32 v9, v8
	global_store_b128 v[2:3], v[6:9], off
.LBB127_995:
	s_and_not1_b32 vcc_lo, exec_lo, s50
	s_cbranch_vccnz .LBB127_997
; %bb.996:
	s_wait_xcnt 0x0
	s_delay_alu instid0(VALU_DEP_1) | instskip(SKIP_1) | instid1(VALU_DEP_2)
	v_xor_b32_e32 v1, v4, v5
	v_cls_i32_e32 v6, v5
	v_ashrrev_i32_e32 v1, 31, v1
	s_delay_alu instid0(VALU_DEP_1) | instskip(NEXT) | instid1(VALU_DEP_1)
	v_add_nc_u32_e32 v1, 32, v1
	v_add_min_u32_e64 v1, v6, -1, v1
	s_delay_alu instid0(VALU_DEP_1) | instskip(SKIP_1) | instid1(VALU_DEP_2)
	v_lshlrev_b64_e32 v[6:7], v1, v[4:5]
	v_sub_nc_u32_e32 v1, 32, v1
	v_min_u32_e32 v6, 1, v6
	s_delay_alu instid0(VALU_DEP_1) | instskip(NEXT) | instid1(VALU_DEP_1)
	v_dual_mov_b32 v7, 0 :: v_dual_bitop2_b32 v6, v7, v6 bitop3:0x54
	v_cvt_f32_i32_e32 v6, v6
	s_delay_alu instid0(VALU_DEP_1)
	v_ldexp_f32 v6, v6, v1
	global_store_b64 v[2:3], v[6:7], off
.LBB127_997:
	s_mov_b32 s50, 0
.LBB127_998:
	s_delay_alu instid0(SALU_CYCLE_1)
	s_and_not1_b32 vcc_lo, exec_lo, s50
	s_cbranch_vccnz .LBB127_1000
; %bb.999:
	s_wait_xcnt 0x0
	s_delay_alu instid0(VALU_DEP_1) | instskip(SKIP_1) | instid1(VALU_DEP_2)
	v_xor_b32_e32 v1, v4, v5
	v_cls_i32_e32 v6, v5
	v_ashrrev_i32_e32 v1, 31, v1
	s_delay_alu instid0(VALU_DEP_1) | instskip(NEXT) | instid1(VALU_DEP_1)
	v_add_nc_u32_e32 v1, 32, v1
	v_add_min_u32_e64 v1, v6, -1, v1
	s_delay_alu instid0(VALU_DEP_1) | instskip(SKIP_1) | instid1(VALU_DEP_2)
	v_lshlrev_b64_e32 v[6:7], v1, v[4:5]
	v_sub_nc_u32_e32 v1, 32, v1
	v_min_u32_e32 v6, 1, v6
	s_delay_alu instid0(VALU_DEP_1) | instskip(NEXT) | instid1(VALU_DEP_1)
	v_or_b32_e32 v6, v7, v6
	v_cvt_f32_i32_e32 v6, v6
	s_delay_alu instid0(VALU_DEP_1) | instskip(NEXT) | instid1(VALU_DEP_1)
	v_ldexp_f32 v1, v6, v1
	v_cvt_f16_f32_e32 v1, v1
	s_delay_alu instid0(VALU_DEP_1)
	v_and_b32_e32 v1, 0xffff, v1
	global_store_b32 v[2:3], v1, off
.LBB127_1000:
	s_mov_b32 s50, 0
.LBB127_1001:
	s_delay_alu instid0(SALU_CYCLE_1)
	s_and_not1_b32 vcc_lo, exec_lo, s50
	s_cbranch_vccnz .LBB127_1010
; %bb.1002:
	s_cmp_lt_i32 s31, 6
	s_mov_b32 s50, -1
	s_cbranch_scc1 .LBB127_1008
; %bb.1003:
	s_cmp_gt_i32 s31, 6
	s_cbranch_scc0 .LBB127_1005
; %bb.1004:
	s_wait_xcnt 0x0
	s_delay_alu instid0(VALU_DEP_1) | instskip(NEXT) | instid1(VALU_DEP_2)
	v_cvt_f64_i32_e32 v[6:7], v5
	v_cvt_f64_u32_e32 v[8:9], v4
	s_mov_b32 s50, 0
	s_delay_alu instid0(VALU_DEP_2) | instskip(NEXT) | instid1(VALU_DEP_1)
	v_ldexp_f64 v[6:7], v[6:7], 32
	v_add_f64_e32 v[6:7], v[6:7], v[8:9]
	global_store_b64 v[2:3], v[6:7], off
.LBB127_1005:
	s_and_not1_b32 vcc_lo, exec_lo, s50
	s_cbranch_vccnz .LBB127_1007
; %bb.1006:
	s_wait_xcnt 0x0
	s_delay_alu instid0(VALU_DEP_1) | instskip(SKIP_1) | instid1(VALU_DEP_2)
	v_xor_b32_e32 v1, v4, v5
	v_cls_i32_e32 v6, v5
	v_ashrrev_i32_e32 v1, 31, v1
	s_delay_alu instid0(VALU_DEP_1) | instskip(NEXT) | instid1(VALU_DEP_1)
	v_add_nc_u32_e32 v1, 32, v1
	v_add_min_u32_e64 v1, v6, -1, v1
	s_delay_alu instid0(VALU_DEP_1) | instskip(SKIP_1) | instid1(VALU_DEP_2)
	v_lshlrev_b64_e32 v[6:7], v1, v[4:5]
	v_sub_nc_u32_e32 v1, 32, v1
	v_min_u32_e32 v6, 1, v6
	s_delay_alu instid0(VALU_DEP_1) | instskip(NEXT) | instid1(VALU_DEP_1)
	v_or_b32_e32 v6, v7, v6
	v_cvt_f32_i32_e32 v6, v6
	s_delay_alu instid0(VALU_DEP_1)
	v_ldexp_f32 v1, v6, v1
	global_store_b32 v[2:3], v1, off
.LBB127_1007:
	s_mov_b32 s50, 0
.LBB127_1008:
	s_delay_alu instid0(SALU_CYCLE_1)
	s_and_not1_b32 vcc_lo, exec_lo, s50
	s_cbranch_vccnz .LBB127_1010
; %bb.1009:
	s_wait_xcnt 0x0
	s_delay_alu instid0(VALU_DEP_1) | instskip(SKIP_1) | instid1(VALU_DEP_2)
	v_xor_b32_e32 v1, v4, v5
	v_cls_i32_e32 v6, v5
	v_ashrrev_i32_e32 v1, 31, v1
	s_delay_alu instid0(VALU_DEP_1) | instskip(NEXT) | instid1(VALU_DEP_1)
	v_add_nc_u32_e32 v1, 32, v1
	v_add_min_u32_e64 v1, v6, -1, v1
	s_delay_alu instid0(VALU_DEP_1) | instskip(SKIP_1) | instid1(VALU_DEP_2)
	v_lshlrev_b64_e32 v[6:7], v1, v[4:5]
	v_sub_nc_u32_e32 v1, 32, v1
	v_min_u32_e32 v6, 1, v6
	s_delay_alu instid0(VALU_DEP_1) | instskip(NEXT) | instid1(VALU_DEP_1)
	v_or_b32_e32 v6, v7, v6
	v_cvt_f32_i32_e32 v6, v6
	s_delay_alu instid0(VALU_DEP_1) | instskip(NEXT) | instid1(VALU_DEP_1)
	v_ldexp_f32 v1, v6, v1
	v_cvt_f16_f32_e32 v1, v1
	global_store_b16 v[2:3], v1, off
.LBB127_1010:
	s_mov_b32 s50, 0
.LBB127_1011:
	s_delay_alu instid0(SALU_CYCLE_1)
	s_and_not1_b32 vcc_lo, exec_lo, s50
	s_cbranch_vccnz .LBB127_1027
; %bb.1012:
	s_cmp_lt_i32 s31, 2
	s_mov_b32 s50, -1
	s_cbranch_scc1 .LBB127_1022
; %bb.1013:
	s_cmp_lt_i32 s31, 3
	s_cbranch_scc1 .LBB127_1019
; %bb.1014:
	s_cmp_gt_i32 s31, 3
	s_cbranch_scc0 .LBB127_1016
; %bb.1015:
	s_mov_b32 s50, 0
	global_store_b64 v[2:3], v[4:5], off
.LBB127_1016:
	s_and_not1_b32 vcc_lo, exec_lo, s50
	s_cbranch_vccnz .LBB127_1018
; %bb.1017:
	global_store_b32 v[2:3], v4, off
.LBB127_1018:
	s_mov_b32 s50, 0
.LBB127_1019:
	s_delay_alu instid0(SALU_CYCLE_1)
	s_and_not1_b32 vcc_lo, exec_lo, s50
	s_cbranch_vccnz .LBB127_1021
; %bb.1020:
	global_store_b16 v[2:3], v4, off
.LBB127_1021:
	s_mov_b32 s50, 0
.LBB127_1022:
	s_delay_alu instid0(SALU_CYCLE_1)
	s_and_not1_b32 vcc_lo, exec_lo, s50
	s_cbranch_vccnz .LBB127_1027
; %bb.1023:
	s_cmp_gt_i32 s31, 0
	s_mov_b32 s31, -1
	s_cbranch_scc0 .LBB127_1025
; %bb.1024:
	s_mov_b32 s31, 0
	global_store_b8 v[2:3], v4, off
.LBB127_1025:
	s_and_not1_b32 vcc_lo, exec_lo, s31
	s_cbranch_vccnz .LBB127_1027
; %bb.1026:
	global_store_b8 v[2:3], v4, off
.LBB127_1027:
	s_mov_b32 s51, -1
.LBB127_1028:
	s_delay_alu instid0(SALU_CYCLE_1)
	s_and_not1_b32 vcc_lo, exec_lo, s51
	s_cbranch_vccnz .LBB127_1030
; %bb.1029:
	v_add_nc_u32_e32 v0, 0x80, v0
	s_mov_b32 s31, -1
	s_branch .LBB127_1032
.LBB127_1030:
	s_mov_b32 s31, 0
.LBB127_1031:
                                        ; implicit-def: $vgpr0
.LBB127_1032:
	s_and_not1_b32 s50, s44, exec_lo
	s_and_b32 s0, s0, exec_lo
	s_and_not1_b32 s52, s46, exec_lo
	s_and_b32 s30, s30, exec_lo
	s_or_b32 s51, s50, s0
	s_or_b32 s52, s52, s30
	s_and_not1_b32 s0, s47, exec_lo
	s_and_b32 s29, s29, exec_lo
	s_and_not1_b32 s30, s48, exec_lo
	s_and_b32 s28, s28, exec_lo
	s_or_b32 s53, s0, s29
	s_or_b32 s50, s30, s28
	s_or_not1_b32 s31, s31, exec_lo
.LBB127_1033:
	s_wait_xcnt 0x0
	s_or_b32 exec_lo, exec_lo, s54
	s_mov_b32 s29, 0
	s_mov_b32 s30, 0
	;; [unrolled: 1-line block ×3, first 2 shown]
                                        ; implicit-def: $sgpr0
                                        ; implicit-def: $vgpr10_vgpr11
                                        ; implicit-def: $vgpr2
                                        ; implicit-def: $vgpr6
                                        ; implicit-def: $vgpr8
                                        ; implicit-def: $vgpr4_vgpr5
	s_and_saveexec_b32 s54, s31
	s_cbranch_execz .LBB127_1644
; %bb.1034:
	s_mov_b32 s31, -1
	s_mov_b32 s56, s50
	s_mov_b32 s58, s53
	;; [unrolled: 1-line block ×4, first 2 shown]
	s_mov_b32 s55, exec_lo
	v_cmpx_gt_i32_e64 s43, v0
	s_cbranch_execz .LBB127_1554
; %bb.1035:
	s_and_not1_b32 vcc_lo, exec_lo, s36
	s_cbranch_vccnz .LBB127_1041
; %bb.1036:
	s_and_not1_b32 vcc_lo, exec_lo, s45
	s_cbranch_vccnz .LBB127_1042
; %bb.1037:
	s_wait_loadcnt 0x0
	v_dual_mov_b32 v8, 0 :: v_dual_mov_b32 v1, v0
	v_dual_mov_b32 v6, 0 :: v_dual_mov_b32 v2, 0
	v_mov_b32_e32 v4, 0
	s_add_co_i32 s0, s42, 1
	s_mov_b64 s[28:29], 0xffffffffffffffe0
	s_and_b32 s0, s0, 30
	s_add_nc_u64 s[28:29], s[2:3], s[28:29]
	s_mov_b64 s[30:31], s[2:3]
.LBB127_1038:                           ; =>This Inner Loop Header: Depth=1
	s_clause 0x1
	s_load_b128 s[64:67], s[30:31], 0x4
	s_load_b64 s[68:69], s[30:31], 0x14
	s_load_b256 s[56:63], s[28:29], 0xe4
	s_add_co_i32 s0, s0, -2
	s_wait_xcnt 0x0
	s_add_nc_u64 s[30:31], s[30:31], 24
	s_cmp_eq_u32 s0, 0
	s_add_nc_u64 s[28:29], s[28:29], 32
	s_wait_kmcnt 0x0
	v_mul_hi_u32 v3, s65, v1
	s_delay_alu instid0(VALU_DEP_1) | instskip(NEXT) | instid1(VALU_DEP_1)
	v_add_nc_u32_e32 v3, v1, v3
	v_lshrrev_b32_e32 v3, s66, v3
	s_delay_alu instid0(VALU_DEP_1) | instskip(SKIP_1) | instid1(VALU_DEP_1)
	v_mul_hi_u32 v5, s68, v3
	v_mul_lo_u32 v7, v3, s64
	v_dual_add_nc_u32 v5, v3, v5 :: v_dual_sub_nc_u32 v7, v1, v7
	s_delay_alu instid0(VALU_DEP_1) | instskip(NEXT) | instid1(VALU_DEP_2)
	v_lshrrev_b32_e32 v1, s69, v5
	v_mad_u32 v4, v7, s57, v4
	v_mad_u32 v2, v7, s56, v2
	;; [unrolled: 1-line block ×4, first 2 shown]
	v_mul_lo_u32 v5, v1, s67
	s_delay_alu instid0(VALU_DEP_1) | instskip(NEXT) | instid1(VALU_DEP_1)
	v_sub_nc_u32_e32 v3, v3, v5
	v_mad_u32 v4, v3, s61, v4
	v_mad_u32 v2, v3, s60, v2
	;; [unrolled: 1-line block ×4, first 2 shown]
	s_cbranch_scc0 .LBB127_1038
; %bb.1039:
	s_bitcmp1_b32 s42, 0
	s_cselect_b32 s0, -1, 0
	s_delay_alu instid0(SALU_CYCLE_1)
	s_and_b32 vcc_lo, exec_lo, s0
	s_cbranch_vccnz .LBB127_1043
; %bb.1040:
	s_load_b96 s[60:62], s[30:31], 0x4
	s_load_b128 s[56:59], s[28:29], 0xe4
	s_wait_kmcnt 0x0
	v_mul_hi_u32 v3, s61, v1
	s_delay_alu instid0(VALU_DEP_1) | instskip(NEXT) | instid1(VALU_DEP_1)
	v_add_nc_u32_e32 v3, v1, v3
	v_lshrrev_b32_e32 v3, s62, v3
	s_delay_alu instid0(VALU_DEP_1) | instskip(NEXT) | instid1(VALU_DEP_1)
	v_mul_lo_u32 v3, v3, s60
	v_sub_nc_u32_e32 v1, v1, v3
	s_delay_alu instid0(VALU_DEP_1)
	v_mad_u32 v2, v1, s56, v2
	v_mad_u32 v4, v1, s57, v4
	;; [unrolled: 1-line block ×4, first 2 shown]
	s_branch .LBB127_1043
.LBB127_1041:
	s_mov_b32 s0, -1
                                        ; implicit-def: $vgpr4
                                        ; implicit-def: $vgpr2
                                        ; implicit-def: $vgpr6
                                        ; implicit-def: $vgpr8
	s_branch .LBB127_1044
.LBB127_1042:
	s_wait_loadcnt 0x0
	v_dual_mov_b32 v4, 0 :: v_dual_mov_b32 v2, 0
	v_dual_mov_b32 v6, 0 :: v_dual_mov_b32 v8, 0
.LBB127_1043:
	s_mov_b32 s0, 0
.LBB127_1044:
	s_delay_alu instid0(SALU_CYCLE_1)
	s_and_not1_b32 vcc_lo, exec_lo, s0
	s_cbranch_vccnz .LBB127_1047
; %bb.1045:
	v_mov_b32_e32 v1, 0
	s_and_not1_b32 vcc_lo, exec_lo, s41
	s_delay_alu instid0(VALU_DEP_1) | instskip(NEXT) | instid1(VALU_DEP_1)
	v_mul_u64_e32 v[2:3], s[24:25], v[0:1]
	v_add_nc_u32_e32 v2, v0, v3
	s_wait_loadcnt 0x0
	s_delay_alu instid0(VALU_DEP_1) | instskip(NEXT) | instid1(VALU_DEP_1)
	v_lshrrev_b32_e32 v10, s22, v2
	v_mul_lo_u32 v2, v10, s20
	s_delay_alu instid0(VALU_DEP_1) | instskip(NEXT) | instid1(VALU_DEP_1)
	v_sub_nc_u32_e32 v3, v0, v2
	v_mul_lo_u32 v4, v3, s13
	v_mul_lo_u32 v2, v3, s12
	;; [unrolled: 1-line block ×4, first 2 shown]
	s_cbranch_vccnz .LBB127_1047
; %bb.1046:
	v_mov_b32_e32 v11, v1
	s_delay_alu instid0(VALU_DEP_1) | instskip(NEXT) | instid1(VALU_DEP_1)
	v_mul_u64_e32 v[12:13], s[26:27], v[10:11]
	v_add_nc_u32_e32 v1, v10, v13
	s_delay_alu instid0(VALU_DEP_1) | instskip(NEXT) | instid1(VALU_DEP_1)
	v_lshrrev_b32_e32 v1, s1, v1
	v_mul_lo_u32 v1, v1, s23
	s_delay_alu instid0(VALU_DEP_1) | instskip(NEXT) | instid1(VALU_DEP_1)
	v_sub_nc_u32_e32 v1, v10, v1
	v_mad_u32 v2, v1, s16, v2
	v_mad_u32 v4, v1, s17, v4
	;; [unrolled: 1-line block ×4, first 2 shown]
.LBB127_1047:
	s_wait_loadcnt 0x0
	v_mov_b32_e32 v5, 0
	s_and_b32 s0, s40, 0xff
	s_delay_alu instid0(SALU_CYCLE_1) | instskip(NEXT) | instid1(VALU_DEP_1)
	s_cmp_lt_i32 s0, 11
	v_add_nc_u64_e32 v[10:11], s[6:7], v[4:5]
	s_cbranch_scc1 .LBB127_1054
; %bb.1048:
	s_and_b32 s29, 0xffff, s0
	s_delay_alu instid0(SALU_CYCLE_1)
	s_cmp_gt_i32 s29, 25
	s_cbranch_scc0 .LBB127_1055
; %bb.1049:
	s_cmp_gt_i32 s29, 28
	s_cbranch_scc0 .LBB127_1056
; %bb.1050:
	;; [unrolled: 3-line block ×4, first 2 shown]
	s_cmp_eq_u32 s29, 46
	s_mov_b32 s31, 0
	s_cbranch_scc0 .LBB127_1059
; %bb.1053:
	global_load_b32 v1, v[10:11], off
	s_mov_b32 s30, -1
	s_mov_b32 s28, 0
	s_wait_loadcnt 0x0
	v_lshlrev_b32_e32 v1, 16, v1
	s_delay_alu instid0(VALU_DEP_1) | instskip(NEXT) | instid1(VALU_DEP_1)
	v_trunc_f32_e32 v1, v1
	v_mul_f32_e64 v3, 0x2f800000, |v1|
	v_ashrrev_i32_e32 v4, 31, v1
	s_delay_alu instid0(VALU_DEP_2) | instskip(NEXT) | instid1(VALU_DEP_1)
	v_floor_f32_e32 v3, v3
	v_fma_f32 v5, 0xcf800000, v3, |v1|
	v_cvt_u32_f32_e32 v1, v3
	s_delay_alu instid0(VALU_DEP_2) | instskip(NEXT) | instid1(VALU_DEP_2)
	v_cvt_u32_f32_e32 v3, v5
	v_dual_mov_b32 v5, v4 :: v_dual_bitop2_b32 v13, v1, v4 bitop3:0x14
	s_delay_alu instid0(VALU_DEP_2) | instskip(NEXT) | instid1(VALU_DEP_1)
	v_xor_b32_e32 v12, v3, v4
	v_sub_nc_u64_e32 v[4:5], v[12:13], v[4:5]
	s_branch .LBB127_1061
.LBB127_1054:
	s_mov_b32 s29, -1
	s_mov_b32 s30, 0
	s_mov_b32 s28, s50
                                        ; implicit-def: $vgpr4_vgpr5
	s_branch .LBB127_1122
.LBB127_1055:
	s_mov_b32 s31, -1
	s_mov_b32 s30, 0
	s_mov_b32 s28, s50
                                        ; implicit-def: $vgpr4_vgpr5
	s_branch .LBB127_1088
.LBB127_1056:
	s_mov_b32 s31, -1
	s_mov_b32 s30, 0
	s_mov_b32 s28, s50
                                        ; implicit-def: $vgpr4_vgpr5
	s_branch .LBB127_1071
.LBB127_1057:
	s_mov_b32 s31, -1
	s_mov_b32 s30, 0
	s_mov_b32 s28, s50
                                        ; implicit-def: $vgpr4_vgpr5
	s_branch .LBB127_1066
.LBB127_1058:
	s_mov_b32 s31, -1
	s_mov_b32 s30, 0
	s_mov_b32 s28, s50
	s_branch .LBB127_1060
.LBB127_1059:
	s_mov_b32 s28, -1
	s_mov_b32 s30, 0
.LBB127_1060:
                                        ; implicit-def: $vgpr4_vgpr5
.LBB127_1061:
	s_and_b32 vcc_lo, exec_lo, s31
	s_cbranch_vccz .LBB127_1065
; %bb.1062:
	s_cmp_eq_u32 s29, 44
	s_cbranch_scc0 .LBB127_1064
; %bb.1063:
	global_load_u8 v1, v[10:11], off
	s_mov_b32 s28, 0
	s_mov_b32 s30, -1
	s_wait_loadcnt 0x0
	v_lshlrev_b32_e32 v3, 23, v1
	v_cmp_ne_u32_e32 vcc_lo, 0, v1
	s_delay_alu instid0(VALU_DEP_2) | instskip(NEXT) | instid1(VALU_DEP_1)
	v_trunc_f32_e32 v3, v3
	v_mul_f32_e64 v4, 0x2f800000, |v3|
	s_delay_alu instid0(VALU_DEP_1) | instskip(SKIP_1) | instid1(VALU_DEP_2)
	v_floor_f32_e32 v5, v4
	v_ashrrev_i32_e32 v4, 31, v3
	v_fma_f32 v7, 0xcf800000, v5, |v3|
	v_cvt_u32_f32_e32 v3, v5
	s_delay_alu instid0(VALU_DEP_3) | instskip(NEXT) | instid1(VALU_DEP_3)
	v_mov_b32_e32 v5, v4
	v_cvt_u32_f32_e32 v7, v7
	s_delay_alu instid0(VALU_DEP_3) | instskip(NEXT) | instid1(VALU_DEP_2)
	v_xor_b32_e32 v13, v3, v4
	v_xor_b32_e32 v12, v7, v4
	s_delay_alu instid0(VALU_DEP_1) | instskip(NEXT) | instid1(VALU_DEP_1)
	v_sub_nc_u64_e32 v[4:5], v[12:13], v[4:5]
	v_dual_cndmask_b32 v5, 0, v5 :: v_dual_cndmask_b32 v4, 0, v4
	s_branch .LBB127_1065
.LBB127_1064:
	s_mov_b32 s28, -1
                                        ; implicit-def: $vgpr4_vgpr5
.LBB127_1065:
	s_mov_b32 s31, 0
.LBB127_1066:
	s_delay_alu instid0(SALU_CYCLE_1)
	s_and_b32 vcc_lo, exec_lo, s31
	s_cbranch_vccz .LBB127_1070
; %bb.1067:
	s_cmp_eq_u32 s29, 29
	s_cbranch_scc0 .LBB127_1069
; %bb.1068:
	global_load_b64 v[4:5], v[10:11], off
	s_mov_b32 s30, -1
	s_mov_b32 s28, 0
	s_branch .LBB127_1070
.LBB127_1069:
	s_mov_b32 s28, -1
                                        ; implicit-def: $vgpr4_vgpr5
.LBB127_1070:
	s_mov_b32 s31, 0
.LBB127_1071:
	s_delay_alu instid0(SALU_CYCLE_1)
	s_and_b32 vcc_lo, exec_lo, s31
	s_cbranch_vccz .LBB127_1087
; %bb.1072:
	s_cmp_lt_i32 s29, 27
	s_cbranch_scc1 .LBB127_1075
; %bb.1073:
	s_cmp_gt_i32 s29, 27
	s_cbranch_scc0 .LBB127_1076
; %bb.1074:
	s_wait_loadcnt 0x0
	global_load_b32 v4, v[10:11], off
	v_mov_b32_e32 v5, 0
	s_mov_b32 s30, 0
	s_branch .LBB127_1077
.LBB127_1075:
	s_mov_b32 s30, -1
                                        ; implicit-def: $vgpr4_vgpr5
	s_branch .LBB127_1080
.LBB127_1076:
	s_mov_b32 s30, -1
                                        ; implicit-def: $vgpr4_vgpr5
.LBB127_1077:
	s_delay_alu instid0(SALU_CYCLE_1)
	s_and_not1_b32 vcc_lo, exec_lo, s30
	s_cbranch_vccnz .LBB127_1079
; %bb.1078:
	global_load_u16 v1, v[10:11], off
	s_mov_b32 s30, 0
	s_wait_loadcnt 0x1
	v_mov_b32_e32 v5, s30
	s_wait_loadcnt 0x0
	v_and_b32_e32 v4, 0xffff, v1
.LBB127_1079:
	s_mov_b32 s30, 0
.LBB127_1080:
	s_delay_alu instid0(SALU_CYCLE_1)
	s_and_not1_b32 vcc_lo, exec_lo, s30
	s_cbranch_vccnz .LBB127_1086
; %bb.1081:
	global_load_u8 v1, v[10:11], off
	s_mov_b32 s31, 0
	s_mov_b32 s30, exec_lo
	s_wait_loadcnt 0x0
	v_cmpx_lt_i16_e32 0x7f, v1
	s_xor_b32 s30, exec_lo, s30
	s_cbranch_execz .LBB127_1098
; %bb.1082:
	v_cmp_ne_u16_e32 vcc_lo, 0x80, v1
	s_and_b32 s31, vcc_lo, exec_lo
	s_and_not1_saveexec_b32 s30, s30
	s_cbranch_execnz .LBB127_1099
.LBB127_1083:
	s_or_b32 exec_lo, exec_lo, s30
	v_mov_b64_e32 v[4:5], 0
	s_and_saveexec_b32 s30, s31
	s_cbranch_execz .LBB127_1085
.LBB127_1084:
	v_and_b32_e32 v3, 0xffff, v1
	s_delay_alu instid0(VALU_DEP_1) | instskip(SKIP_1) | instid1(VALU_DEP_2)
	v_and_b32_e32 v4, 7, v3
	v_bfe_u32 v9, v3, 3, 4
	v_clz_i32_u32_e32 v5, v4
	s_delay_alu instid0(VALU_DEP_2) | instskip(NEXT) | instid1(VALU_DEP_2)
	v_cmp_eq_u32_e32 vcc_lo, 0, v9
	v_min_u32_e32 v5, 32, v5
	s_delay_alu instid0(VALU_DEP_1) | instskip(NEXT) | instid1(VALU_DEP_1)
	v_subrev_nc_u32_e32 v7, 28, v5
	v_dual_lshlrev_b32 v3, v7, v3 :: v_dual_sub_nc_u32 v5, 29, v5
	s_delay_alu instid0(VALU_DEP_1) | instskip(NEXT) | instid1(VALU_DEP_1)
	v_dual_lshlrev_b32 v1, 24, v1 :: v_dual_bitop2_b32 v3, 7, v3 bitop3:0x40
	v_dual_cndmask_b32 v3, v4, v3, vcc_lo :: v_dual_cndmask_b32 v5, v9, v5, vcc_lo
	s_delay_alu instid0(VALU_DEP_2) | instskip(NEXT) | instid1(VALU_DEP_2)
	v_and_b32_e32 v1, 0x80000000, v1
	v_lshlrev_b32_e32 v3, 20, v3
	s_delay_alu instid0(VALU_DEP_3) | instskip(NEXT) | instid1(VALU_DEP_1)
	v_lshl_add_u32 v4, v5, 23, 0x3b800000
	v_or3_b32 v1, v1, v4, v3
	s_delay_alu instid0(VALU_DEP_1) | instskip(NEXT) | instid1(VALU_DEP_1)
	v_trunc_f32_e32 v1, v1
	v_mul_f32_e64 v3, 0x2f800000, |v1|
	v_ashrrev_i32_e32 v4, 31, v1
	s_delay_alu instid0(VALU_DEP_2) | instskip(NEXT) | instid1(VALU_DEP_1)
	v_floor_f32_e32 v3, v3
	v_fma_f32 v5, 0xcf800000, v3, |v1|
	v_cvt_u32_f32_e32 v1, v3
	s_delay_alu instid0(VALU_DEP_2) | instskip(NEXT) | instid1(VALU_DEP_2)
	v_cvt_u32_f32_e32 v3, v5
	v_dual_mov_b32 v5, v4 :: v_dual_bitop2_b32 v13, v1, v4 bitop3:0x14
	s_delay_alu instid0(VALU_DEP_2) | instskip(NEXT) | instid1(VALU_DEP_1)
	v_xor_b32_e32 v12, v3, v4
	v_sub_nc_u64_e32 v[4:5], v[12:13], v[4:5]
.LBB127_1085:
	s_or_b32 exec_lo, exec_lo, s30
.LBB127_1086:
	s_mov_b32 s30, -1
.LBB127_1087:
	s_mov_b32 s31, 0
.LBB127_1088:
	s_delay_alu instid0(SALU_CYCLE_1)
	s_and_b32 vcc_lo, exec_lo, s31
	s_cbranch_vccz .LBB127_1121
; %bb.1089:
	s_cmp_gt_i32 s29, 22
	s_cbranch_scc0 .LBB127_1097
; %bb.1090:
	s_cmp_lt_i32 s29, 24
	s_cbranch_scc1 .LBB127_1100
; %bb.1091:
	s_cmp_gt_i32 s29, 24
	s_cbranch_scc0 .LBB127_1101
; %bb.1092:
	global_load_u8 v1, v[10:11], off
	s_mov_b32 s31, 0
	s_mov_b32 s30, exec_lo
	s_wait_loadcnt 0x0
	v_cmpx_lt_i16_e32 0x7f, v1
	s_xor_b32 s30, exec_lo, s30
	s_cbranch_execz .LBB127_1113
; %bb.1093:
	v_cmp_ne_u16_e32 vcc_lo, 0x80, v1
	s_and_b32 s31, vcc_lo, exec_lo
	s_and_not1_saveexec_b32 s30, s30
	s_cbranch_execnz .LBB127_1114
.LBB127_1094:
	s_or_b32 exec_lo, exec_lo, s30
	v_mov_b64_e32 v[4:5], 0
	s_and_saveexec_b32 s30, s31
	s_cbranch_execz .LBB127_1096
.LBB127_1095:
	v_and_b32_e32 v3, 0xffff, v1
	s_delay_alu instid0(VALU_DEP_1) | instskip(SKIP_1) | instid1(VALU_DEP_2)
	v_and_b32_e32 v4, 3, v3
	v_bfe_u32 v9, v3, 2, 5
	v_clz_i32_u32_e32 v5, v4
	s_delay_alu instid0(VALU_DEP_2) | instskip(NEXT) | instid1(VALU_DEP_2)
	v_cmp_eq_u32_e32 vcc_lo, 0, v9
	v_min_u32_e32 v5, 32, v5
	s_delay_alu instid0(VALU_DEP_1) | instskip(NEXT) | instid1(VALU_DEP_1)
	v_subrev_nc_u32_e32 v7, 29, v5
	v_dual_lshlrev_b32 v3, v7, v3 :: v_dual_sub_nc_u32 v5, 30, v5
	s_delay_alu instid0(VALU_DEP_1) | instskip(NEXT) | instid1(VALU_DEP_1)
	v_dual_lshlrev_b32 v1, 24, v1 :: v_dual_bitop2_b32 v3, 3, v3 bitop3:0x40
	v_dual_cndmask_b32 v3, v4, v3, vcc_lo :: v_dual_cndmask_b32 v5, v9, v5, vcc_lo
	s_delay_alu instid0(VALU_DEP_2) | instskip(NEXT) | instid1(VALU_DEP_2)
	v_and_b32_e32 v1, 0x80000000, v1
	v_lshlrev_b32_e32 v3, 21, v3
	s_delay_alu instid0(VALU_DEP_3) | instskip(NEXT) | instid1(VALU_DEP_1)
	v_lshl_add_u32 v4, v5, 23, 0x37800000
	v_or3_b32 v1, v1, v4, v3
	s_delay_alu instid0(VALU_DEP_1) | instskip(NEXT) | instid1(VALU_DEP_1)
	v_trunc_f32_e32 v1, v1
	v_mul_f32_e64 v3, 0x2f800000, |v1|
	v_ashrrev_i32_e32 v4, 31, v1
	s_delay_alu instid0(VALU_DEP_2) | instskip(NEXT) | instid1(VALU_DEP_1)
	v_floor_f32_e32 v3, v3
	v_fma_f32 v5, 0xcf800000, v3, |v1|
	v_cvt_u32_f32_e32 v1, v3
	s_delay_alu instid0(VALU_DEP_2) | instskip(NEXT) | instid1(VALU_DEP_2)
	v_cvt_u32_f32_e32 v3, v5
	v_dual_mov_b32 v5, v4 :: v_dual_bitop2_b32 v13, v1, v4 bitop3:0x14
	s_delay_alu instid0(VALU_DEP_2) | instskip(NEXT) | instid1(VALU_DEP_1)
	v_xor_b32_e32 v12, v3, v4
	v_sub_nc_u64_e32 v[4:5], v[12:13], v[4:5]
.LBB127_1096:
	s_or_b32 exec_lo, exec_lo, s30
	s_mov_b32 s30, 0
	s_branch .LBB127_1102
.LBB127_1097:
	s_mov_b32 s31, -1
                                        ; implicit-def: $vgpr4_vgpr5
	s_branch .LBB127_1108
.LBB127_1098:
	s_and_not1_saveexec_b32 s30, s30
	s_cbranch_execz .LBB127_1083
.LBB127_1099:
	v_cmp_ne_u16_e32 vcc_lo, 0, v1
	s_and_not1_b32 s31, s31, exec_lo
	s_and_b32 s56, vcc_lo, exec_lo
	s_delay_alu instid0(SALU_CYCLE_1)
	s_or_b32 s31, s31, s56
	s_or_b32 exec_lo, exec_lo, s30
	v_mov_b64_e32 v[4:5], 0
	s_and_saveexec_b32 s30, s31
	s_cbranch_execnz .LBB127_1084
	s_branch .LBB127_1085
.LBB127_1100:
	s_mov_b32 s30, -1
                                        ; implicit-def: $vgpr4_vgpr5
	s_branch .LBB127_1105
.LBB127_1101:
	s_mov_b32 s30, -1
                                        ; implicit-def: $vgpr4_vgpr5
.LBB127_1102:
	s_delay_alu instid0(SALU_CYCLE_1)
	s_and_b32 vcc_lo, exec_lo, s30
	s_cbranch_vccz .LBB127_1104
; %bb.1103:
	global_load_u8 v1, v[10:11], off
	s_wait_loadcnt 0x0
	v_lshlrev_b32_e32 v1, 24, v1
	s_delay_alu instid0(VALU_DEP_1) | instskip(NEXT) | instid1(VALU_DEP_1)
	v_and_b32_e32 v3, 0x7f000000, v1
	v_clz_i32_u32_e32 v4, v3
	v_add_nc_u32_e32 v7, 0x1000000, v3
	v_cmp_ne_u32_e32 vcc_lo, 0, v3
	s_delay_alu instid0(VALU_DEP_3) | instskip(NEXT) | instid1(VALU_DEP_1)
	v_min_u32_e32 v4, 32, v4
	v_sub_nc_u32_e64 v4, v4, 4 clamp
	s_delay_alu instid0(VALU_DEP_1) | instskip(NEXT) | instid1(VALU_DEP_1)
	v_dual_lshlrev_b32 v5, v4, v3 :: v_dual_lshlrev_b32 v4, 23, v4
	v_lshrrev_b32_e32 v5, 4, v5
	s_delay_alu instid0(VALU_DEP_1) | instskip(NEXT) | instid1(VALU_DEP_1)
	v_dual_sub_nc_u32 v4, v5, v4 :: v_dual_ashrrev_i32 v5, 8, v7
	v_add_nc_u32_e32 v4, 0x3c000000, v4
	s_delay_alu instid0(VALU_DEP_1) | instskip(NEXT) | instid1(VALU_DEP_1)
	v_and_or_b32 v4, 0x7f800000, v5, v4
	v_cndmask_b32_e32 v3, 0, v4, vcc_lo
	s_delay_alu instid0(VALU_DEP_1) | instskip(NEXT) | instid1(VALU_DEP_1)
	v_and_or_b32 v1, 0x80000000, v1, v3
	v_trunc_f32_e32 v1, v1
	s_delay_alu instid0(VALU_DEP_1) | instskip(SKIP_1) | instid1(VALU_DEP_2)
	v_mul_f32_e64 v3, 0x2f800000, |v1|
	v_ashrrev_i32_e32 v4, 31, v1
	v_floor_f32_e32 v3, v3
	s_delay_alu instid0(VALU_DEP_1) | instskip(SKIP_1) | instid1(VALU_DEP_2)
	v_fma_f32 v5, 0xcf800000, v3, |v1|
	v_cvt_u32_f32_e32 v1, v3
	v_cvt_u32_f32_e32 v3, v5
	s_delay_alu instid0(VALU_DEP_2) | instskip(NEXT) | instid1(VALU_DEP_2)
	v_dual_mov_b32 v5, v4 :: v_dual_bitop2_b32 v13, v1, v4 bitop3:0x14
	v_xor_b32_e32 v12, v3, v4
	s_delay_alu instid0(VALU_DEP_1)
	v_sub_nc_u64_e32 v[4:5], v[12:13], v[4:5]
.LBB127_1104:
	s_mov_b32 s30, 0
.LBB127_1105:
	s_delay_alu instid0(SALU_CYCLE_1)
	s_and_not1_b32 vcc_lo, exec_lo, s30
	s_cbranch_vccnz .LBB127_1107
; %bb.1106:
	global_load_u8 v1, v[10:11], off
	s_wait_loadcnt 0x0
	v_lshlrev_b32_e32 v3, 25, v1
	v_lshlrev_b16 v1, 8, v1
	s_delay_alu instid0(VALU_DEP_1) | instskip(NEXT) | instid1(VALU_DEP_3)
	v_and_or_b32 v5, 0x7f00, v1, 0.5
	v_lshrrev_b32_e32 v4, 4, v3
	v_bfe_i32 v1, v1, 0, 16
	s_delay_alu instid0(VALU_DEP_3) | instskip(NEXT) | instid1(VALU_DEP_3)
	v_add_f32_e32 v5, -0.5, v5
	v_or_b32_e32 v4, 0x70000000, v4
	s_delay_alu instid0(VALU_DEP_1) | instskip(SKIP_1) | instid1(VALU_DEP_2)
	v_mul_f32_e32 v4, 0x7800000, v4
	v_cmp_gt_u32_e32 vcc_lo, 0x8000000, v3
	v_cndmask_b32_e32 v3, v4, v5, vcc_lo
	s_delay_alu instid0(VALU_DEP_1) | instskip(NEXT) | instid1(VALU_DEP_1)
	v_and_or_b32 v1, 0x80000000, v1, v3
	v_trunc_f32_e32 v1, v1
	s_delay_alu instid0(VALU_DEP_1) | instskip(SKIP_1) | instid1(VALU_DEP_2)
	v_mul_f32_e64 v3, 0x2f800000, |v1|
	v_ashrrev_i32_e32 v4, 31, v1
	v_floor_f32_e32 v3, v3
	s_delay_alu instid0(VALU_DEP_1) | instskip(SKIP_1) | instid1(VALU_DEP_2)
	v_fma_f32 v5, 0xcf800000, v3, |v1|
	v_cvt_u32_f32_e32 v1, v3
	v_cvt_u32_f32_e32 v3, v5
	s_delay_alu instid0(VALU_DEP_2) | instskip(NEXT) | instid1(VALU_DEP_2)
	v_dual_mov_b32 v5, v4 :: v_dual_bitop2_b32 v13, v1, v4 bitop3:0x14
	v_xor_b32_e32 v12, v3, v4
	s_delay_alu instid0(VALU_DEP_1)
	v_sub_nc_u64_e32 v[4:5], v[12:13], v[4:5]
.LBB127_1107:
	s_mov_b32 s31, 0
	s_mov_b32 s30, -1
.LBB127_1108:
	s_and_not1_b32 vcc_lo, exec_lo, s31
	s_cbranch_vccnz .LBB127_1121
; %bb.1109:
	s_cmp_gt_i32 s29, 14
	s_cbranch_scc0 .LBB127_1112
; %bb.1110:
	s_cmp_eq_u32 s29, 15
	s_cbranch_scc0 .LBB127_1115
; %bb.1111:
	global_load_u16 v1, v[10:11], off
	s_mov_b32 s30, -1
	s_mov_b32 s28, 0
	s_wait_loadcnt 0x0
	v_lshlrev_b32_e32 v1, 16, v1
	s_delay_alu instid0(VALU_DEP_1) | instskip(NEXT) | instid1(VALU_DEP_1)
	v_trunc_f32_e32 v1, v1
	v_mul_f32_e64 v3, 0x2f800000, |v1|
	v_ashrrev_i32_e32 v4, 31, v1
	s_delay_alu instid0(VALU_DEP_2) | instskip(NEXT) | instid1(VALU_DEP_1)
	v_floor_f32_e32 v3, v3
	v_fma_f32 v5, 0xcf800000, v3, |v1|
	v_cvt_u32_f32_e32 v1, v3
	s_delay_alu instid0(VALU_DEP_2) | instskip(NEXT) | instid1(VALU_DEP_2)
	v_cvt_u32_f32_e32 v3, v5
	v_dual_mov_b32 v5, v4 :: v_dual_bitop2_b32 v13, v1, v4 bitop3:0x14
	s_delay_alu instid0(VALU_DEP_2) | instskip(NEXT) | instid1(VALU_DEP_1)
	v_xor_b32_e32 v12, v3, v4
	v_sub_nc_u64_e32 v[4:5], v[12:13], v[4:5]
	s_branch .LBB127_1116
.LBB127_1112:
	s_mov_b32 s31, -1
                                        ; implicit-def: $vgpr4_vgpr5
	s_branch .LBB127_1117
.LBB127_1113:
	s_and_not1_saveexec_b32 s30, s30
	s_cbranch_execz .LBB127_1094
.LBB127_1114:
	v_cmp_ne_u16_e32 vcc_lo, 0, v1
	s_and_not1_b32 s31, s31, exec_lo
	s_and_b32 s56, vcc_lo, exec_lo
	s_delay_alu instid0(SALU_CYCLE_1)
	s_or_b32 s31, s31, s56
	s_or_b32 exec_lo, exec_lo, s30
	v_mov_b64_e32 v[4:5], 0
	s_and_saveexec_b32 s30, s31
	s_cbranch_execnz .LBB127_1095
	s_branch .LBB127_1096
.LBB127_1115:
	s_mov_b32 s28, -1
                                        ; implicit-def: $vgpr4_vgpr5
.LBB127_1116:
	s_mov_b32 s31, 0
.LBB127_1117:
	s_delay_alu instid0(SALU_CYCLE_1)
	s_and_b32 vcc_lo, exec_lo, s31
	s_cbranch_vccz .LBB127_1121
; %bb.1118:
	s_cmp_eq_u32 s29, 11
	s_cbranch_scc0 .LBB127_1120
; %bb.1119:
	global_load_u8 v1, v[10:11], off
	s_mov_b32 s28, 0
	s_mov_b32 s30, -1
	s_wait_loadcnt 0x1
	v_mov_b32_e32 v5, s28
	s_wait_loadcnt 0x0
	v_cmp_ne_u16_e32 vcc_lo, 0, v1
	v_cndmask_b32_e64 v4, 0, 1, vcc_lo
	s_branch .LBB127_1121
.LBB127_1120:
	s_mov_b32 s28, -1
                                        ; implicit-def: $vgpr4_vgpr5
.LBB127_1121:
	s_mov_b32 s29, 0
.LBB127_1122:
	s_delay_alu instid0(SALU_CYCLE_1)
	s_and_b32 vcc_lo, exec_lo, s29
	s_cbranch_vccz .LBB127_1171
; %bb.1123:
	s_and_b32 s0, 0xffff, s0
	s_delay_alu instid0(SALU_CYCLE_1)
	s_cmp_lt_i32 s0, 5
	s_cbranch_scc1 .LBB127_1128
; %bb.1124:
	s_cmp_lt_i32 s0, 8
	s_cbranch_scc1 .LBB127_1129
; %bb.1125:
	;; [unrolled: 3-line block ×3, first 2 shown]
	s_cmp_gt_i32 s0, 9
	s_cbranch_scc0 .LBB127_1131
; %bb.1127:
	s_wait_loadcnt 0x0
	global_load_b64 v[4:5], v[10:11], off
	s_mov_b32 s29, 0
	s_wait_loadcnt 0x0
	v_trunc_f64_e32 v[4:5], v[4:5]
	s_delay_alu instid0(VALU_DEP_1) | instskip(NEXT) | instid1(VALU_DEP_1)
	v_ldexp_f64 v[12:13], v[4:5], 0xffffffe0
	v_floor_f64_e32 v[12:13], v[12:13]
	s_delay_alu instid0(VALU_DEP_1) | instskip(SKIP_1) | instid1(VALU_DEP_2)
	v_fmamk_f64 v[14:15], v[12:13], 0xc1f00000, v[4:5]
	v_cvt_i32_f64_e32 v5, v[12:13]
	v_cvt_u32_f64_e32 v4, v[14:15]
	s_branch .LBB127_1132
.LBB127_1128:
	s_mov_b32 s29, -1
                                        ; implicit-def: $vgpr4_vgpr5
	s_branch .LBB127_1150
.LBB127_1129:
	s_mov_b32 s29, -1
                                        ; implicit-def: $vgpr4_vgpr5
	s_branch .LBB127_1138
.LBB127_1130:
	s_mov_b32 s29, -1
                                        ; implicit-def: $vgpr4_vgpr5
	s_branch .LBB127_1135
.LBB127_1131:
	s_mov_b32 s29, -1
                                        ; implicit-def: $vgpr4_vgpr5
.LBB127_1132:
	s_delay_alu instid0(SALU_CYCLE_1)
	s_and_not1_b32 vcc_lo, exec_lo, s29
	s_cbranch_vccnz .LBB127_1134
; %bb.1133:
	global_load_b32 v1, v[10:11], off
	s_wait_loadcnt 0x0
	v_trunc_f32_e32 v1, v1
	s_delay_alu instid0(VALU_DEP_1) | instskip(SKIP_1) | instid1(VALU_DEP_2)
	v_mul_f32_e64 v3, 0x2f800000, |v1|
	v_ashrrev_i32_e32 v4, 31, v1
	v_floor_f32_e32 v3, v3
	s_delay_alu instid0(VALU_DEP_1) | instskip(SKIP_1) | instid1(VALU_DEP_2)
	v_fma_f32 v5, 0xcf800000, v3, |v1|
	v_cvt_u32_f32_e32 v1, v3
	v_cvt_u32_f32_e32 v3, v5
	s_delay_alu instid0(VALU_DEP_2) | instskip(NEXT) | instid1(VALU_DEP_2)
	v_dual_mov_b32 v5, v4 :: v_dual_bitop2_b32 v13, v1, v4 bitop3:0x14
	v_xor_b32_e32 v12, v3, v4
	s_delay_alu instid0(VALU_DEP_1)
	v_sub_nc_u64_e32 v[4:5], v[12:13], v[4:5]
.LBB127_1134:
	s_mov_b32 s29, 0
.LBB127_1135:
	s_delay_alu instid0(SALU_CYCLE_1)
	s_and_not1_b32 vcc_lo, exec_lo, s29
	s_cbranch_vccnz .LBB127_1137
; %bb.1136:
	global_load_b32 v1, v[10:11], off
	s_wait_loadcnt 0x0
	v_cvt_f32_f16_e32 v1, v1
	s_delay_alu instid0(VALU_DEP_1) | instskip(NEXT) | instid1(VALU_DEP_1)
	v_cvt_i32_f32_e32 v4, v1
	v_ashrrev_i32_e32 v5, 31, v4
.LBB127_1137:
	s_mov_b32 s29, 0
.LBB127_1138:
	s_delay_alu instid0(SALU_CYCLE_1)
	s_and_not1_b32 vcc_lo, exec_lo, s29
	s_cbranch_vccnz .LBB127_1149
; %bb.1139:
	s_cmp_lt_i32 s0, 6
	s_cbranch_scc1 .LBB127_1142
; %bb.1140:
	s_cmp_gt_i32 s0, 6
	s_cbranch_scc0 .LBB127_1143
; %bb.1141:
	s_wait_loadcnt 0x0
	global_load_b64 v[4:5], v[10:11], off
	s_mov_b32 s29, 0
	s_wait_loadcnt 0x0
	v_trunc_f64_e32 v[4:5], v[4:5]
	s_delay_alu instid0(VALU_DEP_1) | instskip(NEXT) | instid1(VALU_DEP_1)
	v_ldexp_f64 v[12:13], v[4:5], 0xffffffe0
	v_floor_f64_e32 v[12:13], v[12:13]
	s_delay_alu instid0(VALU_DEP_1) | instskip(SKIP_1) | instid1(VALU_DEP_2)
	v_fmamk_f64 v[14:15], v[12:13], 0xc1f00000, v[4:5]
	v_cvt_i32_f64_e32 v5, v[12:13]
	v_cvt_u32_f64_e32 v4, v[14:15]
	s_branch .LBB127_1144
.LBB127_1142:
	s_mov_b32 s29, -1
                                        ; implicit-def: $vgpr4_vgpr5
	s_branch .LBB127_1147
.LBB127_1143:
	s_mov_b32 s29, -1
                                        ; implicit-def: $vgpr4_vgpr5
.LBB127_1144:
	s_delay_alu instid0(SALU_CYCLE_1)
	s_and_not1_b32 vcc_lo, exec_lo, s29
	s_cbranch_vccnz .LBB127_1146
; %bb.1145:
	global_load_b32 v1, v[10:11], off
	s_wait_loadcnt 0x0
	v_trunc_f32_e32 v1, v1
	s_delay_alu instid0(VALU_DEP_1) | instskip(SKIP_1) | instid1(VALU_DEP_2)
	v_mul_f32_e64 v3, 0x2f800000, |v1|
	v_ashrrev_i32_e32 v4, 31, v1
	v_floor_f32_e32 v3, v3
	s_delay_alu instid0(VALU_DEP_1) | instskip(SKIP_1) | instid1(VALU_DEP_2)
	v_fma_f32 v5, 0xcf800000, v3, |v1|
	v_cvt_u32_f32_e32 v1, v3
	v_cvt_u32_f32_e32 v3, v5
	s_delay_alu instid0(VALU_DEP_2) | instskip(NEXT) | instid1(VALU_DEP_2)
	v_dual_mov_b32 v5, v4 :: v_dual_bitop2_b32 v13, v1, v4 bitop3:0x14
	v_xor_b32_e32 v12, v3, v4
	s_delay_alu instid0(VALU_DEP_1)
	v_sub_nc_u64_e32 v[4:5], v[12:13], v[4:5]
.LBB127_1146:
	s_mov_b32 s29, 0
.LBB127_1147:
	s_delay_alu instid0(SALU_CYCLE_1)
	s_and_not1_b32 vcc_lo, exec_lo, s29
	s_cbranch_vccnz .LBB127_1149
; %bb.1148:
	global_load_u16 v1, v[10:11], off
	s_wait_loadcnt 0x0
	v_cvt_f32_f16_e32 v1, v1
	s_delay_alu instid0(VALU_DEP_1) | instskip(NEXT) | instid1(VALU_DEP_1)
	v_cvt_i32_f32_e32 v4, v1
	v_ashrrev_i32_e32 v5, 31, v4
.LBB127_1149:
	s_mov_b32 s29, 0
.LBB127_1150:
	s_delay_alu instid0(SALU_CYCLE_1)
	s_and_not1_b32 vcc_lo, exec_lo, s29
	s_cbranch_vccnz .LBB127_1170
; %bb.1151:
	s_cmp_lt_i32 s0, 2
	s_cbranch_scc1 .LBB127_1155
; %bb.1152:
	s_cmp_lt_i32 s0, 3
	s_cbranch_scc1 .LBB127_1156
; %bb.1153:
	s_cmp_gt_i32 s0, 3
	s_cbranch_scc0 .LBB127_1157
; %bb.1154:
	s_wait_loadcnt 0x0
	global_load_b64 v[4:5], v[10:11], off
	s_mov_b32 s29, 0
	s_branch .LBB127_1158
.LBB127_1155:
	s_mov_b32 s29, -1
                                        ; implicit-def: $vgpr4_vgpr5
	s_branch .LBB127_1164
.LBB127_1156:
	s_mov_b32 s29, -1
                                        ; implicit-def: $vgpr4_vgpr5
	s_branch .LBB127_1161
.LBB127_1157:
	s_mov_b32 s29, -1
                                        ; implicit-def: $vgpr4_vgpr5
.LBB127_1158:
	s_delay_alu instid0(SALU_CYCLE_1)
	s_and_not1_b32 vcc_lo, exec_lo, s29
	s_cbranch_vccnz .LBB127_1160
; %bb.1159:
	s_wait_loadcnt 0x0
	global_load_b32 v4, v[10:11], off
	s_wait_loadcnt 0x0
	v_ashrrev_i32_e32 v5, 31, v4
.LBB127_1160:
	s_mov_b32 s29, 0
.LBB127_1161:
	s_delay_alu instid0(SALU_CYCLE_1)
	s_and_not1_b32 vcc_lo, exec_lo, s29
	s_cbranch_vccnz .LBB127_1163
; %bb.1162:
	global_load_u16 v1, v[10:11], off
	s_wait_loadcnt 0x0
	v_bfe_i32 v4, v1, 0, 16
	s_delay_alu instid0(VALU_DEP_1)
	v_ashrrev_i32_e32 v5, 31, v4
.LBB127_1163:
	s_mov_b32 s29, 0
.LBB127_1164:
	s_delay_alu instid0(SALU_CYCLE_1)
	s_and_not1_b32 vcc_lo, exec_lo, s29
	s_cbranch_vccnz .LBB127_1170
; %bb.1165:
	s_cmp_gt_i32 s0, 0
	s_mov_b32 s0, 0
	s_cbranch_scc0 .LBB127_1167
; %bb.1166:
	global_load_i8 v1, v[10:11], off
	s_wait_loadcnt 0x0
	v_bfe_i32 v4, v1, 0, 16
	s_delay_alu instid0(VALU_DEP_1)
	v_ashrrev_i32_e32 v5, 31, v4
	s_branch .LBB127_1168
.LBB127_1167:
	s_mov_b32 s0, -1
                                        ; implicit-def: $vgpr4_vgpr5
.LBB127_1168:
	s_delay_alu instid0(SALU_CYCLE_1)
	s_and_not1_b32 vcc_lo, exec_lo, s0
	s_cbranch_vccnz .LBB127_1170
; %bb.1169:
	global_load_u8 v1, v[10:11], off
	s_mov_b32 s0, 0
	s_wait_loadcnt 0x1
	v_mov_b32_e32 v5, s0
	s_wait_loadcnt 0x0
	v_and_b32_e32 v4, 0xffff, v1
.LBB127_1170:
	s_mov_b32 s30, -1
.LBB127_1171:
	s_delay_alu instid0(SALU_CYCLE_1)
	s_and_not1_b32 vcc_lo, exec_lo, s30
	s_cbranch_vccnz .LBB127_1179
; %bb.1172:
	v_mov_b32_e32 v9, 0
	s_and_b32 s0, s39, 0xff
	s_delay_alu instid0(SALU_CYCLE_1) | instskip(SKIP_1) | instid1(VALU_DEP_1)
	s_cmp_lt_i32 s0, 11
	s_wait_xcnt 0x0
	v_add_nc_u64_e32 v[10:11], s[8:9], v[8:9]
	s_cbranch_scc1 .LBB127_1180
; %bb.1173:
	s_and_b32 s30, 0xffff, s0
	s_delay_alu instid0(SALU_CYCLE_1)
	s_cmp_gt_i32 s30, 25
	s_cbranch_scc0 .LBB127_1181
; %bb.1174:
	s_cmp_gt_i32 s30, 28
	s_cbranch_scc0 .LBB127_1182
; %bb.1175:
	;; [unrolled: 3-line block ×4, first 2 shown]
	s_cmp_eq_u32 s30, 46
	s_mov_b32 s56, 0
	s_cbranch_scc0 .LBB127_1187
; %bb.1178:
	global_load_b32 v1, v[10:11], off
	s_mov_b32 s31, -1
	s_mov_b32 s29, 0
	s_wait_loadcnt 0x0
	v_lshlrev_b32_e32 v1, 16, v1
	s_delay_alu instid0(VALU_DEP_1) | instskip(NEXT) | instid1(VALU_DEP_1)
	v_trunc_f32_e32 v1, v1
	v_mul_f32_e64 v3, 0x2f800000, |v1|
	v_ashrrev_i32_e32 v8, 31, v1
	s_delay_alu instid0(VALU_DEP_2) | instskip(NEXT) | instid1(VALU_DEP_2)
	v_floor_f32_e32 v3, v3
	v_mov_b32_e32 v9, v8
	s_delay_alu instid0(VALU_DEP_2) | instskip(SKIP_1) | instid1(VALU_DEP_2)
	v_fma_f32 v7, 0xcf800000, v3, |v1|
	v_cvt_u32_f32_e32 v1, v3
	v_cvt_u32_f32_e32 v3, v7
	s_delay_alu instid0(VALU_DEP_2) | instskip(NEXT) | instid1(VALU_DEP_2)
	v_xor_b32_e32 v13, v1, v8
	v_xor_b32_e32 v12, v3, v8
	s_delay_alu instid0(VALU_DEP_1)
	v_sub_nc_u64_e32 v[8:9], v[12:13], v[8:9]
	s_branch .LBB127_1189
.LBB127_1179:
	s_mov_b32 s31, 0
	s_mov_b32 s0, s51
	;; [unrolled: 1-line block ×4, first 2 shown]
	s_branch .LBB127_1552
.LBB127_1180:
	s_mov_b32 s30, -1
	s_mov_b32 s31, 0
	s_mov_b32 s29, s53
                                        ; implicit-def: $vgpr8_vgpr9
	s_branch .LBB127_1250
.LBB127_1181:
	s_mov_b32 s56, -1
	s_mov_b32 s31, 0
	s_mov_b32 s29, s53
                                        ; implicit-def: $vgpr8_vgpr9
	s_branch .LBB127_1216
.LBB127_1182:
	s_mov_b32 s56, -1
	s_mov_b32 s31, 0
	s_mov_b32 s29, s53
                                        ; implicit-def: $vgpr8_vgpr9
	s_branch .LBB127_1199
.LBB127_1183:
	s_mov_b32 s56, -1
	s_mov_b32 s31, 0
	s_mov_b32 s29, s53
                                        ; implicit-def: $vgpr8_vgpr9
	s_branch .LBB127_1194
.LBB127_1184:
	s_mov_b32 s56, -1
	s_mov_b32 s31, 0
	s_mov_b32 s29, s53
	s_branch .LBB127_1188
.LBB127_1185:
	s_and_not1_saveexec_b32 s53, s53
	s_cbranch_execz .LBB127_941
.LBB127_1186:
	v_add_f32_e64 v6, 0x46000000, |v1|
	s_and_not1_b32 s52, s52, exec_lo
	s_delay_alu instid0(VALU_DEP_1) | instskip(NEXT) | instid1(VALU_DEP_1)
	v_and_b32_e32 v6, 0xff, v6
	v_cmp_ne_u32_e32 vcc_lo, 0, v6
	s_and_b32 s55, vcc_lo, exec_lo
	s_delay_alu instid0(SALU_CYCLE_1)
	s_or_b32 s52, s52, s55
	s_or_b32 exec_lo, exec_lo, s53
	v_mov_b32_e32 v7, 0
	s_and_saveexec_b32 s53, s52
	s_cbranch_execnz .LBB127_942
	s_branch .LBB127_943
.LBB127_1187:
	s_mov_b32 s29, -1
	s_mov_b32 s31, 0
.LBB127_1188:
                                        ; implicit-def: $vgpr8_vgpr9
.LBB127_1189:
	s_and_b32 vcc_lo, exec_lo, s56
	s_cbranch_vccz .LBB127_1193
; %bb.1190:
	s_cmp_eq_u32 s30, 44
	s_cbranch_scc0 .LBB127_1192
; %bb.1191:
	global_load_u8 v1, v[10:11], off
	s_mov_b32 s29, 0
	s_mov_b32 s31, -1
	s_wait_loadcnt 0x0
	v_lshlrev_b32_e32 v3, 23, v1
	v_cmp_ne_u32_e32 vcc_lo, 0, v1
	s_delay_alu instid0(VALU_DEP_2) | instskip(NEXT) | instid1(VALU_DEP_1)
	v_trunc_f32_e32 v3, v3
	v_mul_f32_e64 v7, 0x2f800000, |v3|
	v_ashrrev_i32_e32 v8, 31, v3
	s_delay_alu instid0(VALU_DEP_2) | instskip(NEXT) | instid1(VALU_DEP_1)
	v_floor_f32_e32 v7, v7
	v_fma_f32 v9, 0xcf800000, v7, |v3|
	v_cvt_u32_f32_e32 v3, v7
	s_delay_alu instid0(VALU_DEP_2) | instskip(NEXT) | instid1(VALU_DEP_2)
	v_cvt_u32_f32_e32 v7, v9
	v_dual_mov_b32 v9, v8 :: v_dual_bitop2_b32 v13, v3, v8 bitop3:0x14
	s_delay_alu instid0(VALU_DEP_2) | instskip(NEXT) | instid1(VALU_DEP_1)
	v_xor_b32_e32 v12, v7, v8
	v_sub_nc_u64_e32 v[8:9], v[12:13], v[8:9]
	s_delay_alu instid0(VALU_DEP_1)
	v_dual_cndmask_b32 v9, 0, v9 :: v_dual_cndmask_b32 v8, 0, v8
	s_branch .LBB127_1193
.LBB127_1192:
	s_mov_b32 s29, -1
                                        ; implicit-def: $vgpr8_vgpr9
.LBB127_1193:
	s_mov_b32 s56, 0
.LBB127_1194:
	s_delay_alu instid0(SALU_CYCLE_1)
	s_and_b32 vcc_lo, exec_lo, s56
	s_cbranch_vccz .LBB127_1198
; %bb.1195:
	s_cmp_eq_u32 s30, 29
	s_cbranch_scc0 .LBB127_1197
; %bb.1196:
	global_load_b64 v[8:9], v[10:11], off
	s_mov_b32 s31, -1
	s_mov_b32 s29, 0
	s_branch .LBB127_1198
.LBB127_1197:
	s_mov_b32 s29, -1
                                        ; implicit-def: $vgpr8_vgpr9
.LBB127_1198:
	s_mov_b32 s56, 0
.LBB127_1199:
	s_delay_alu instid0(SALU_CYCLE_1)
	s_and_b32 vcc_lo, exec_lo, s56
	s_cbranch_vccz .LBB127_1215
; %bb.1200:
	s_cmp_lt_i32 s30, 27
	s_cbranch_scc1 .LBB127_1203
; %bb.1201:
	s_cmp_gt_i32 s30, 27
	s_cbranch_scc0 .LBB127_1204
; %bb.1202:
	s_wait_loadcnt 0x0
	global_load_b32 v8, v[10:11], off
	v_mov_b32_e32 v9, 0
	s_mov_b32 s31, 0
	s_branch .LBB127_1205
.LBB127_1203:
	s_mov_b32 s31, -1
                                        ; implicit-def: $vgpr8_vgpr9
	s_branch .LBB127_1208
.LBB127_1204:
	s_mov_b32 s31, -1
                                        ; implicit-def: $vgpr8_vgpr9
.LBB127_1205:
	s_delay_alu instid0(SALU_CYCLE_1)
	s_and_not1_b32 vcc_lo, exec_lo, s31
	s_cbranch_vccnz .LBB127_1207
; %bb.1206:
	global_load_u16 v1, v[10:11], off
	s_mov_b32 s31, 0
	s_wait_loadcnt 0x1
	v_mov_b32_e32 v9, s31
	s_wait_loadcnt 0x0
	v_and_b32_e32 v8, 0xffff, v1
.LBB127_1207:
	s_mov_b32 s31, 0
.LBB127_1208:
	s_delay_alu instid0(SALU_CYCLE_1)
	s_and_not1_b32 vcc_lo, exec_lo, s31
	s_cbranch_vccnz .LBB127_1214
; %bb.1209:
	global_load_u8 v1, v[10:11], off
	s_mov_b32 s56, 0
	s_mov_b32 s31, exec_lo
	s_wait_loadcnt 0x0
	v_cmpx_lt_i16_e32 0x7f, v1
	s_xor_b32 s31, exec_lo, s31
	s_cbranch_execz .LBB127_1226
; %bb.1210:
	v_cmp_ne_u16_e32 vcc_lo, 0x80, v1
	s_and_b32 s56, vcc_lo, exec_lo
	s_and_not1_saveexec_b32 s31, s31
	s_cbranch_execnz .LBB127_1227
.LBB127_1211:
	s_or_b32 exec_lo, exec_lo, s31
	v_mov_b64_e32 v[8:9], 0
	s_and_saveexec_b32 s31, s56
	s_cbranch_execz .LBB127_1213
.LBB127_1212:
	v_and_b32_e32 v3, 0xffff, v1
	s_delay_alu instid0(VALU_DEP_1) | instskip(SKIP_1) | instid1(VALU_DEP_2)
	v_and_b32_e32 v7, 7, v3
	v_bfe_u32 v12, v3, 3, 4
	v_clz_i32_u32_e32 v8, v7
	s_delay_alu instid0(VALU_DEP_2) | instskip(NEXT) | instid1(VALU_DEP_2)
	v_cmp_eq_u32_e32 vcc_lo, 0, v12
	v_min_u32_e32 v8, 32, v8
	s_delay_alu instid0(VALU_DEP_1) | instskip(NEXT) | instid1(VALU_DEP_1)
	v_subrev_nc_u32_e32 v9, 28, v8
	v_dual_lshlrev_b32 v3, v9, v3 :: v_dual_sub_nc_u32 v8, 29, v8
	s_delay_alu instid0(VALU_DEP_1) | instskip(NEXT) | instid1(VALU_DEP_1)
	v_dual_lshlrev_b32 v1, 24, v1 :: v_dual_bitop2_b32 v3, 7, v3 bitop3:0x40
	v_dual_cndmask_b32 v8, v12, v8 :: v_dual_cndmask_b32 v3, v7, v3
	s_delay_alu instid0(VALU_DEP_2) | instskip(NEXT) | instid1(VALU_DEP_2)
	v_and_b32_e32 v1, 0x80000000, v1
	v_lshl_add_u32 v7, v8, 23, 0x3b800000
	s_delay_alu instid0(VALU_DEP_3) | instskip(NEXT) | instid1(VALU_DEP_1)
	v_lshlrev_b32_e32 v3, 20, v3
	v_or3_b32 v1, v1, v7, v3
	s_delay_alu instid0(VALU_DEP_1) | instskip(NEXT) | instid1(VALU_DEP_1)
	v_trunc_f32_e32 v1, v1
	v_mul_f32_e64 v3, 0x2f800000, |v1|
	v_ashrrev_i32_e32 v8, 31, v1
	s_delay_alu instid0(VALU_DEP_2) | instskip(NEXT) | instid1(VALU_DEP_2)
	v_floor_f32_e32 v3, v3
	v_mov_b32_e32 v9, v8
	s_delay_alu instid0(VALU_DEP_2) | instskip(SKIP_1) | instid1(VALU_DEP_2)
	v_fma_f32 v7, 0xcf800000, v3, |v1|
	v_cvt_u32_f32_e32 v1, v3
	v_cvt_u32_f32_e32 v3, v7
	s_delay_alu instid0(VALU_DEP_2) | instskip(NEXT) | instid1(VALU_DEP_2)
	v_xor_b32_e32 v13, v1, v8
	v_xor_b32_e32 v12, v3, v8
	s_delay_alu instid0(VALU_DEP_1)
	v_sub_nc_u64_e32 v[8:9], v[12:13], v[8:9]
.LBB127_1213:
	s_or_b32 exec_lo, exec_lo, s31
.LBB127_1214:
	s_mov_b32 s31, -1
.LBB127_1215:
	s_mov_b32 s56, 0
.LBB127_1216:
	s_delay_alu instid0(SALU_CYCLE_1)
	s_and_b32 vcc_lo, exec_lo, s56
	s_cbranch_vccz .LBB127_1249
; %bb.1217:
	s_cmp_gt_i32 s30, 22
	s_cbranch_scc0 .LBB127_1225
; %bb.1218:
	s_cmp_lt_i32 s30, 24
	s_cbranch_scc1 .LBB127_1228
; %bb.1219:
	s_cmp_gt_i32 s30, 24
	s_cbranch_scc0 .LBB127_1229
; %bb.1220:
	global_load_u8 v1, v[10:11], off
	s_mov_b32 s56, 0
	s_mov_b32 s31, exec_lo
	s_wait_loadcnt 0x0
	v_cmpx_lt_i16_e32 0x7f, v1
	s_xor_b32 s31, exec_lo, s31
	s_cbranch_execz .LBB127_1241
; %bb.1221:
	v_cmp_ne_u16_e32 vcc_lo, 0x80, v1
	s_and_b32 s56, vcc_lo, exec_lo
	s_and_not1_saveexec_b32 s31, s31
	s_cbranch_execnz .LBB127_1242
.LBB127_1222:
	s_or_b32 exec_lo, exec_lo, s31
	v_mov_b64_e32 v[8:9], 0
	s_and_saveexec_b32 s31, s56
	s_cbranch_execz .LBB127_1224
.LBB127_1223:
	v_and_b32_e32 v3, 0xffff, v1
	s_delay_alu instid0(VALU_DEP_1) | instskip(SKIP_1) | instid1(VALU_DEP_2)
	v_and_b32_e32 v7, 3, v3
	v_bfe_u32 v12, v3, 2, 5
	v_clz_i32_u32_e32 v8, v7
	s_delay_alu instid0(VALU_DEP_2) | instskip(NEXT) | instid1(VALU_DEP_2)
	v_cmp_eq_u32_e32 vcc_lo, 0, v12
	v_min_u32_e32 v8, 32, v8
	s_delay_alu instid0(VALU_DEP_1) | instskip(NEXT) | instid1(VALU_DEP_1)
	v_subrev_nc_u32_e32 v9, 29, v8
	v_dual_lshlrev_b32 v3, v9, v3 :: v_dual_sub_nc_u32 v8, 30, v8
	s_delay_alu instid0(VALU_DEP_1) | instskip(NEXT) | instid1(VALU_DEP_1)
	v_dual_lshlrev_b32 v1, 24, v1 :: v_dual_bitop2_b32 v3, 3, v3 bitop3:0x40
	v_dual_cndmask_b32 v8, v12, v8 :: v_dual_cndmask_b32 v3, v7, v3
	s_delay_alu instid0(VALU_DEP_2) | instskip(NEXT) | instid1(VALU_DEP_2)
	v_and_b32_e32 v1, 0x80000000, v1
	v_lshl_add_u32 v7, v8, 23, 0x37800000
	s_delay_alu instid0(VALU_DEP_3) | instskip(NEXT) | instid1(VALU_DEP_1)
	v_lshlrev_b32_e32 v3, 21, v3
	v_or3_b32 v1, v1, v7, v3
	s_delay_alu instid0(VALU_DEP_1) | instskip(NEXT) | instid1(VALU_DEP_1)
	v_trunc_f32_e32 v1, v1
	v_mul_f32_e64 v3, 0x2f800000, |v1|
	v_ashrrev_i32_e32 v8, 31, v1
	s_delay_alu instid0(VALU_DEP_2) | instskip(NEXT) | instid1(VALU_DEP_2)
	v_floor_f32_e32 v3, v3
	v_mov_b32_e32 v9, v8
	s_delay_alu instid0(VALU_DEP_2) | instskip(SKIP_1) | instid1(VALU_DEP_2)
	v_fma_f32 v7, 0xcf800000, v3, |v1|
	v_cvt_u32_f32_e32 v1, v3
	v_cvt_u32_f32_e32 v3, v7
	s_delay_alu instid0(VALU_DEP_2) | instskip(NEXT) | instid1(VALU_DEP_2)
	v_xor_b32_e32 v13, v1, v8
	v_xor_b32_e32 v12, v3, v8
	s_delay_alu instid0(VALU_DEP_1)
	v_sub_nc_u64_e32 v[8:9], v[12:13], v[8:9]
.LBB127_1224:
	s_or_b32 exec_lo, exec_lo, s31
	s_mov_b32 s31, 0
	s_branch .LBB127_1230
.LBB127_1225:
	s_mov_b32 s56, -1
                                        ; implicit-def: $vgpr8_vgpr9
	s_branch .LBB127_1236
.LBB127_1226:
	s_and_not1_saveexec_b32 s31, s31
	s_cbranch_execz .LBB127_1211
.LBB127_1227:
	v_cmp_ne_u16_e32 vcc_lo, 0, v1
	s_and_not1_b32 s56, s56, exec_lo
	s_and_b32 s57, vcc_lo, exec_lo
	s_delay_alu instid0(SALU_CYCLE_1)
	s_or_b32 s56, s56, s57
	s_or_b32 exec_lo, exec_lo, s31
	v_mov_b64_e32 v[8:9], 0
	s_and_saveexec_b32 s31, s56
	s_cbranch_execnz .LBB127_1212
	s_branch .LBB127_1213
.LBB127_1228:
	s_mov_b32 s31, -1
                                        ; implicit-def: $vgpr8_vgpr9
	s_branch .LBB127_1233
.LBB127_1229:
	s_mov_b32 s31, -1
                                        ; implicit-def: $vgpr8_vgpr9
.LBB127_1230:
	s_delay_alu instid0(SALU_CYCLE_1)
	s_and_b32 vcc_lo, exec_lo, s31
	s_cbranch_vccz .LBB127_1232
; %bb.1231:
	global_load_u8 v1, v[10:11], off
	s_wait_loadcnt 0x0
	v_lshlrev_b32_e32 v1, 24, v1
	s_delay_alu instid0(VALU_DEP_1) | instskip(NEXT) | instid1(VALU_DEP_1)
	v_and_b32_e32 v3, 0x7f000000, v1
	v_clz_i32_u32_e32 v7, v3
	v_add_nc_u32_e32 v9, 0x1000000, v3
	v_cmp_ne_u32_e32 vcc_lo, 0, v3
	s_delay_alu instid0(VALU_DEP_3) | instskip(NEXT) | instid1(VALU_DEP_1)
	v_min_u32_e32 v7, 32, v7
	v_sub_nc_u32_e64 v7, v7, 4 clamp
	s_delay_alu instid0(VALU_DEP_1) | instskip(NEXT) | instid1(VALU_DEP_1)
	v_lshlrev_b32_e32 v8, v7, v3
	v_dual_lshlrev_b32 v7, 23, v7 :: v_dual_lshrrev_b32 v8, 4, v8
	s_delay_alu instid0(VALU_DEP_1) | instskip(NEXT) | instid1(VALU_DEP_1)
	v_dual_sub_nc_u32 v7, v8, v7 :: v_dual_ashrrev_i32 v8, 8, v9
	v_add_nc_u32_e32 v7, 0x3c000000, v7
	s_delay_alu instid0(VALU_DEP_1) | instskip(NEXT) | instid1(VALU_DEP_1)
	v_and_or_b32 v7, 0x7f800000, v8, v7
	v_cndmask_b32_e32 v3, 0, v7, vcc_lo
	s_delay_alu instid0(VALU_DEP_1) | instskip(NEXT) | instid1(VALU_DEP_1)
	v_and_or_b32 v1, 0x80000000, v1, v3
	v_trunc_f32_e32 v1, v1
	s_delay_alu instid0(VALU_DEP_1) | instskip(SKIP_1) | instid1(VALU_DEP_2)
	v_mul_f32_e64 v3, 0x2f800000, |v1|
	v_ashrrev_i32_e32 v8, 31, v1
	v_floor_f32_e32 v3, v3
	s_delay_alu instid0(VALU_DEP_1) | instskip(SKIP_1) | instid1(VALU_DEP_4)
	v_fma_f32 v7, 0xcf800000, v3, |v1|
	v_cvt_u32_f32_e32 v1, v3
	v_mov_b32_e32 v9, v8
	s_delay_alu instid0(VALU_DEP_3) | instskip(NEXT) | instid1(VALU_DEP_3)
	v_cvt_u32_f32_e32 v3, v7
	v_xor_b32_e32 v13, v1, v8
	s_delay_alu instid0(VALU_DEP_2) | instskip(NEXT) | instid1(VALU_DEP_1)
	v_xor_b32_e32 v12, v3, v8
	v_sub_nc_u64_e32 v[8:9], v[12:13], v[8:9]
.LBB127_1232:
	s_mov_b32 s31, 0
.LBB127_1233:
	s_delay_alu instid0(SALU_CYCLE_1)
	s_and_not1_b32 vcc_lo, exec_lo, s31
	s_cbranch_vccnz .LBB127_1235
; %bb.1234:
	global_load_u8 v1, v[10:11], off
	s_wait_loadcnt 0x0
	v_lshlrev_b32_e32 v3, 25, v1
	v_lshlrev_b16 v1, 8, v1
	s_delay_alu instid0(VALU_DEP_1) | instskip(SKIP_1) | instid1(VALU_DEP_2)
	v_and_or_b32 v8, 0x7f00, v1, 0.5
	v_bfe_i32 v1, v1, 0, 16
	v_dual_add_f32 v8, -0.5, v8 :: v_dual_lshrrev_b32 v7, 4, v3
	v_cmp_gt_u32_e32 vcc_lo, 0x8000000, v3
	s_delay_alu instid0(VALU_DEP_2) | instskip(NEXT) | instid1(VALU_DEP_1)
	v_or_b32_e32 v7, 0x70000000, v7
	v_mul_f32_e32 v7, 0x7800000, v7
	s_delay_alu instid0(VALU_DEP_1) | instskip(NEXT) | instid1(VALU_DEP_1)
	v_cndmask_b32_e32 v3, v7, v8, vcc_lo
	v_and_or_b32 v1, 0x80000000, v1, v3
	s_delay_alu instid0(VALU_DEP_1) | instskip(NEXT) | instid1(VALU_DEP_1)
	v_trunc_f32_e32 v1, v1
	v_mul_f32_e64 v3, 0x2f800000, |v1|
	v_ashrrev_i32_e32 v8, 31, v1
	s_delay_alu instid0(VALU_DEP_2) | instskip(NEXT) | instid1(VALU_DEP_2)
	v_floor_f32_e32 v3, v3
	v_mov_b32_e32 v9, v8
	s_delay_alu instid0(VALU_DEP_2) | instskip(SKIP_1) | instid1(VALU_DEP_2)
	v_fma_f32 v7, 0xcf800000, v3, |v1|
	v_cvt_u32_f32_e32 v1, v3
	v_cvt_u32_f32_e32 v3, v7
	s_delay_alu instid0(VALU_DEP_2) | instskip(NEXT) | instid1(VALU_DEP_2)
	v_xor_b32_e32 v13, v1, v8
	v_xor_b32_e32 v12, v3, v8
	s_delay_alu instid0(VALU_DEP_1)
	v_sub_nc_u64_e32 v[8:9], v[12:13], v[8:9]
.LBB127_1235:
	s_mov_b32 s56, 0
	s_mov_b32 s31, -1
.LBB127_1236:
	s_and_not1_b32 vcc_lo, exec_lo, s56
	s_cbranch_vccnz .LBB127_1249
; %bb.1237:
	s_cmp_gt_i32 s30, 14
	s_cbranch_scc0 .LBB127_1240
; %bb.1238:
	s_cmp_eq_u32 s30, 15
	s_cbranch_scc0 .LBB127_1243
; %bb.1239:
	global_load_u16 v1, v[10:11], off
	s_mov_b32 s31, -1
	s_mov_b32 s29, 0
	s_wait_loadcnt 0x0
	v_lshlrev_b32_e32 v1, 16, v1
	s_delay_alu instid0(VALU_DEP_1) | instskip(NEXT) | instid1(VALU_DEP_1)
	v_trunc_f32_e32 v1, v1
	v_mul_f32_e64 v3, 0x2f800000, |v1|
	v_ashrrev_i32_e32 v8, 31, v1
	s_delay_alu instid0(VALU_DEP_2) | instskip(NEXT) | instid1(VALU_DEP_2)
	v_floor_f32_e32 v3, v3
	v_mov_b32_e32 v9, v8
	s_delay_alu instid0(VALU_DEP_2) | instskip(SKIP_1) | instid1(VALU_DEP_2)
	v_fma_f32 v7, 0xcf800000, v3, |v1|
	v_cvt_u32_f32_e32 v1, v3
	v_cvt_u32_f32_e32 v3, v7
	s_delay_alu instid0(VALU_DEP_2) | instskip(NEXT) | instid1(VALU_DEP_2)
	v_xor_b32_e32 v13, v1, v8
	v_xor_b32_e32 v12, v3, v8
	s_delay_alu instid0(VALU_DEP_1)
	v_sub_nc_u64_e32 v[8:9], v[12:13], v[8:9]
	s_branch .LBB127_1244
.LBB127_1240:
	s_mov_b32 s56, -1
                                        ; implicit-def: $vgpr8_vgpr9
	s_branch .LBB127_1245
.LBB127_1241:
	s_and_not1_saveexec_b32 s31, s31
	s_cbranch_execz .LBB127_1222
.LBB127_1242:
	v_cmp_ne_u16_e32 vcc_lo, 0, v1
	s_and_not1_b32 s56, s56, exec_lo
	s_and_b32 s57, vcc_lo, exec_lo
	s_delay_alu instid0(SALU_CYCLE_1)
	s_or_b32 s56, s56, s57
	s_or_b32 exec_lo, exec_lo, s31
	v_mov_b64_e32 v[8:9], 0
	s_and_saveexec_b32 s31, s56
	s_cbranch_execnz .LBB127_1223
	s_branch .LBB127_1224
.LBB127_1243:
	s_mov_b32 s29, -1
                                        ; implicit-def: $vgpr8_vgpr9
.LBB127_1244:
	s_mov_b32 s56, 0
.LBB127_1245:
	s_delay_alu instid0(SALU_CYCLE_1)
	s_and_b32 vcc_lo, exec_lo, s56
	s_cbranch_vccz .LBB127_1249
; %bb.1246:
	s_cmp_eq_u32 s30, 11
	s_cbranch_scc0 .LBB127_1248
; %bb.1247:
	global_load_u8 v1, v[10:11], off
	s_mov_b32 s29, 0
	s_mov_b32 s31, -1
	s_wait_loadcnt 0x1
	v_mov_b32_e32 v9, s29
	s_wait_loadcnt 0x0
	v_cmp_ne_u16_e32 vcc_lo, 0, v1
	v_cndmask_b32_e64 v8, 0, 1, vcc_lo
	s_branch .LBB127_1249
.LBB127_1248:
	s_mov_b32 s29, -1
                                        ; implicit-def: $vgpr8_vgpr9
.LBB127_1249:
	s_mov_b32 s30, 0
.LBB127_1250:
	s_delay_alu instid0(SALU_CYCLE_1)
	s_and_b32 vcc_lo, exec_lo, s30
	s_cbranch_vccz .LBB127_1299
; %bb.1251:
	s_and_b32 s0, 0xffff, s0
	s_delay_alu instid0(SALU_CYCLE_1)
	s_cmp_lt_i32 s0, 5
	s_cbranch_scc1 .LBB127_1256
; %bb.1252:
	s_cmp_lt_i32 s0, 8
	s_cbranch_scc1 .LBB127_1257
; %bb.1253:
	s_cmp_lt_i32 s0, 9
	s_cbranch_scc1 .LBB127_1258
; %bb.1254:
	s_cmp_gt_i32 s0, 9
	s_cbranch_scc0 .LBB127_1259
; %bb.1255:
	s_wait_loadcnt 0x0
	global_load_b64 v[8:9], v[10:11], off
	s_mov_b32 s30, 0
	s_wait_loadcnt 0x0
	v_trunc_f64_e32 v[8:9], v[8:9]
	s_delay_alu instid0(VALU_DEP_1) | instskip(NEXT) | instid1(VALU_DEP_1)
	v_ldexp_f64 v[12:13], v[8:9], 0xffffffe0
	v_floor_f64_e32 v[12:13], v[12:13]
	s_delay_alu instid0(VALU_DEP_1) | instskip(SKIP_1) | instid1(VALU_DEP_2)
	v_fmamk_f64 v[14:15], v[12:13], 0xc1f00000, v[8:9]
	v_cvt_i32_f64_e32 v9, v[12:13]
	v_cvt_u32_f64_e32 v8, v[14:15]
	s_branch .LBB127_1260
.LBB127_1256:
	s_mov_b32 s30, -1
                                        ; implicit-def: $vgpr8_vgpr9
	s_branch .LBB127_1278
.LBB127_1257:
	s_mov_b32 s30, -1
                                        ; implicit-def: $vgpr8_vgpr9
	s_branch .LBB127_1266
.LBB127_1258:
	s_mov_b32 s30, -1
                                        ; implicit-def: $vgpr8_vgpr9
	s_branch .LBB127_1263
.LBB127_1259:
	s_mov_b32 s30, -1
                                        ; implicit-def: $vgpr8_vgpr9
.LBB127_1260:
	s_delay_alu instid0(SALU_CYCLE_1)
	s_and_not1_b32 vcc_lo, exec_lo, s30
	s_cbranch_vccnz .LBB127_1262
; %bb.1261:
	global_load_b32 v1, v[10:11], off
	s_wait_loadcnt 0x0
	v_trunc_f32_e32 v1, v1
	s_delay_alu instid0(VALU_DEP_1) | instskip(SKIP_1) | instid1(VALU_DEP_2)
	v_mul_f32_e64 v3, 0x2f800000, |v1|
	v_ashrrev_i32_e32 v8, 31, v1
	v_floor_f32_e32 v3, v3
	s_delay_alu instid0(VALU_DEP_1) | instskip(SKIP_1) | instid1(VALU_DEP_4)
	v_fma_f32 v7, 0xcf800000, v3, |v1|
	v_cvt_u32_f32_e32 v1, v3
	v_mov_b32_e32 v9, v8
	s_delay_alu instid0(VALU_DEP_3) | instskip(NEXT) | instid1(VALU_DEP_3)
	v_cvt_u32_f32_e32 v3, v7
	v_xor_b32_e32 v13, v1, v8
	s_delay_alu instid0(VALU_DEP_2) | instskip(NEXT) | instid1(VALU_DEP_1)
	v_xor_b32_e32 v12, v3, v8
	v_sub_nc_u64_e32 v[8:9], v[12:13], v[8:9]
.LBB127_1262:
	s_mov_b32 s30, 0
.LBB127_1263:
	s_delay_alu instid0(SALU_CYCLE_1)
	s_and_not1_b32 vcc_lo, exec_lo, s30
	s_cbranch_vccnz .LBB127_1265
; %bb.1264:
	global_load_b32 v1, v[10:11], off
	s_wait_loadcnt 0x0
	v_cvt_f32_f16_e32 v1, v1
	s_delay_alu instid0(VALU_DEP_1) | instskip(NEXT) | instid1(VALU_DEP_1)
	v_cvt_i32_f32_e32 v8, v1
	v_ashrrev_i32_e32 v9, 31, v8
.LBB127_1265:
	s_mov_b32 s30, 0
.LBB127_1266:
	s_delay_alu instid0(SALU_CYCLE_1)
	s_and_not1_b32 vcc_lo, exec_lo, s30
	s_cbranch_vccnz .LBB127_1277
; %bb.1267:
	s_cmp_lt_i32 s0, 6
	s_cbranch_scc1 .LBB127_1270
; %bb.1268:
	s_cmp_gt_i32 s0, 6
	s_cbranch_scc0 .LBB127_1271
; %bb.1269:
	s_wait_loadcnt 0x0
	global_load_b64 v[8:9], v[10:11], off
	s_mov_b32 s30, 0
	s_wait_loadcnt 0x0
	v_trunc_f64_e32 v[8:9], v[8:9]
	s_delay_alu instid0(VALU_DEP_1) | instskip(NEXT) | instid1(VALU_DEP_1)
	v_ldexp_f64 v[12:13], v[8:9], 0xffffffe0
	v_floor_f64_e32 v[12:13], v[12:13]
	s_delay_alu instid0(VALU_DEP_1) | instskip(SKIP_1) | instid1(VALU_DEP_2)
	v_fmamk_f64 v[14:15], v[12:13], 0xc1f00000, v[8:9]
	v_cvt_i32_f64_e32 v9, v[12:13]
	v_cvt_u32_f64_e32 v8, v[14:15]
	s_branch .LBB127_1272
.LBB127_1270:
	s_mov_b32 s30, -1
                                        ; implicit-def: $vgpr8_vgpr9
	s_branch .LBB127_1275
.LBB127_1271:
	s_mov_b32 s30, -1
                                        ; implicit-def: $vgpr8_vgpr9
.LBB127_1272:
	s_delay_alu instid0(SALU_CYCLE_1)
	s_and_not1_b32 vcc_lo, exec_lo, s30
	s_cbranch_vccnz .LBB127_1274
; %bb.1273:
	global_load_b32 v1, v[10:11], off
	s_wait_loadcnt 0x0
	v_trunc_f32_e32 v1, v1
	s_delay_alu instid0(VALU_DEP_1) | instskip(SKIP_1) | instid1(VALU_DEP_2)
	v_mul_f32_e64 v3, 0x2f800000, |v1|
	v_ashrrev_i32_e32 v8, 31, v1
	v_floor_f32_e32 v3, v3
	s_delay_alu instid0(VALU_DEP_1) | instskip(SKIP_1) | instid1(VALU_DEP_4)
	v_fma_f32 v7, 0xcf800000, v3, |v1|
	v_cvt_u32_f32_e32 v1, v3
	v_mov_b32_e32 v9, v8
	s_delay_alu instid0(VALU_DEP_3) | instskip(NEXT) | instid1(VALU_DEP_3)
	v_cvt_u32_f32_e32 v3, v7
	v_xor_b32_e32 v13, v1, v8
	s_delay_alu instid0(VALU_DEP_2) | instskip(NEXT) | instid1(VALU_DEP_1)
	v_xor_b32_e32 v12, v3, v8
	v_sub_nc_u64_e32 v[8:9], v[12:13], v[8:9]
.LBB127_1274:
	s_mov_b32 s30, 0
.LBB127_1275:
	s_delay_alu instid0(SALU_CYCLE_1)
	s_and_not1_b32 vcc_lo, exec_lo, s30
	s_cbranch_vccnz .LBB127_1277
; %bb.1276:
	global_load_u16 v1, v[10:11], off
	s_wait_loadcnt 0x0
	v_cvt_f32_f16_e32 v1, v1
	s_delay_alu instid0(VALU_DEP_1) | instskip(NEXT) | instid1(VALU_DEP_1)
	v_cvt_i32_f32_e32 v8, v1
	v_ashrrev_i32_e32 v9, 31, v8
.LBB127_1277:
	s_mov_b32 s30, 0
.LBB127_1278:
	s_delay_alu instid0(SALU_CYCLE_1)
	s_and_not1_b32 vcc_lo, exec_lo, s30
	s_cbranch_vccnz .LBB127_1298
; %bb.1279:
	s_cmp_lt_i32 s0, 2
	s_cbranch_scc1 .LBB127_1283
; %bb.1280:
	s_cmp_lt_i32 s0, 3
	s_cbranch_scc1 .LBB127_1284
; %bb.1281:
	s_cmp_gt_i32 s0, 3
	s_cbranch_scc0 .LBB127_1285
; %bb.1282:
	s_wait_loadcnt 0x0
	global_load_b64 v[8:9], v[10:11], off
	s_mov_b32 s30, 0
	s_branch .LBB127_1286
.LBB127_1283:
	s_mov_b32 s30, -1
                                        ; implicit-def: $vgpr8_vgpr9
	s_branch .LBB127_1292
.LBB127_1284:
	s_mov_b32 s30, -1
                                        ; implicit-def: $vgpr8_vgpr9
	s_branch .LBB127_1289
.LBB127_1285:
	s_mov_b32 s30, -1
                                        ; implicit-def: $vgpr8_vgpr9
.LBB127_1286:
	s_delay_alu instid0(SALU_CYCLE_1)
	s_and_not1_b32 vcc_lo, exec_lo, s30
	s_cbranch_vccnz .LBB127_1288
; %bb.1287:
	s_wait_loadcnt 0x0
	global_load_b32 v8, v[10:11], off
	s_wait_loadcnt 0x0
	v_ashrrev_i32_e32 v9, 31, v8
.LBB127_1288:
	s_mov_b32 s30, 0
.LBB127_1289:
	s_delay_alu instid0(SALU_CYCLE_1)
	s_and_not1_b32 vcc_lo, exec_lo, s30
	s_cbranch_vccnz .LBB127_1291
; %bb.1290:
	global_load_u16 v1, v[10:11], off
	s_wait_loadcnt 0x0
	v_bfe_i32 v8, v1, 0, 16
	s_delay_alu instid0(VALU_DEP_1)
	v_ashrrev_i32_e32 v9, 31, v8
.LBB127_1291:
	s_mov_b32 s30, 0
.LBB127_1292:
	s_delay_alu instid0(SALU_CYCLE_1)
	s_and_not1_b32 vcc_lo, exec_lo, s30
	s_cbranch_vccnz .LBB127_1298
; %bb.1293:
	s_cmp_gt_i32 s0, 0
	s_mov_b32 s0, 0
	s_cbranch_scc0 .LBB127_1295
; %bb.1294:
	global_load_i8 v1, v[10:11], off
	s_wait_loadcnt 0x0
	v_bfe_i32 v8, v1, 0, 16
	s_delay_alu instid0(VALU_DEP_1)
	v_ashrrev_i32_e32 v9, 31, v8
	s_branch .LBB127_1296
.LBB127_1295:
	s_mov_b32 s0, -1
                                        ; implicit-def: $vgpr8_vgpr9
.LBB127_1296:
	s_delay_alu instid0(SALU_CYCLE_1)
	s_and_not1_b32 vcc_lo, exec_lo, s0
	s_cbranch_vccnz .LBB127_1298
; %bb.1297:
	global_load_u8 v1, v[10:11], off
	s_mov_b32 s0, 0
	s_wait_loadcnt 0x1
	v_mov_b32_e32 v9, s0
	s_wait_loadcnt 0x0
	v_and_b32_e32 v8, 0xffff, v1
.LBB127_1298:
	s_mov_b32 s31, -1
.LBB127_1299:
	s_delay_alu instid0(SALU_CYCLE_1)
	s_and_not1_b32 vcc_lo, exec_lo, s31
	s_cbranch_vccnz .LBB127_1307
; %bb.1300:
	v_mov_b32_e32 v7, 0
	s_and_b32 s0, 0xffff, s21
	s_delay_alu instid0(SALU_CYCLE_1) | instskip(NEXT) | instid1(VALU_DEP_1)
	s_cmp_lt_i32 s0, 11
	v_add_nc_u64_e32 v[6:7], s[10:11], v[6:7]
	s_cbranch_scc1 .LBB127_1308
; %bb.1301:
	s_cmp_gt_i32 s0, 25
	s_cbranch_scc0 .LBB127_1309
; %bb.1302:
	s_cmp_gt_i32 s0, 28
	s_cbranch_scc0 .LBB127_1310
	;; [unrolled: 3-line block ×4, first 2 shown]
; %bb.1305:
	s_cmp_eq_u32 s0, 46
	s_mov_b32 s56, 0
	s_cbranch_scc0 .LBB127_1315
; %bb.1306:
	global_load_b32 v1, v[6:7], off
	s_mov_b32 s31, -1
	s_mov_b32 s30, 0
	s_wait_loadcnt 0x0
	v_lshlrev_b32_e32 v1, 16, v1
	s_delay_alu instid0(VALU_DEP_1) | instskip(NEXT) | instid1(VALU_DEP_1)
	v_trunc_f32_e32 v1, v1
	v_mul_f32_e64 v3, 0x2f800000, |v1|
	s_wait_xcnt 0x1
	v_ashrrev_i32_e32 v10, 31, v1
	s_delay_alu instid0(VALU_DEP_2) | instskip(NEXT) | instid1(VALU_DEP_1)
	v_floor_f32_e32 v3, v3
	v_fma_f32 v11, 0xcf800000, v3, |v1|
	v_cvt_u32_f32_e32 v1, v3
	s_delay_alu instid0(VALU_DEP_2) | instskip(NEXT) | instid1(VALU_DEP_2)
	v_cvt_u32_f32_e32 v3, v11
	v_dual_mov_b32 v11, v10 :: v_dual_bitop2_b32 v13, v1, v10 bitop3:0x14
	s_delay_alu instid0(VALU_DEP_2) | instskip(NEXT) | instid1(VALU_DEP_1)
	v_xor_b32_e32 v12, v3, v10
	v_sub_nc_u64_e32 v[10:11], v[12:13], v[10:11]
	s_branch .LBB127_1317
.LBB127_1307:
	s_mov_b32 s31, 0
	s_mov_b32 s0, s51
	;; [unrolled: 1-line block ×3, first 2 shown]
	s_branch .LBB127_1552
.LBB127_1308:
	s_mov_b32 s56, -1
	s_mov_b32 s31, 0
	s_mov_b32 s30, s52
                                        ; implicit-def: $vgpr10_vgpr11
	s_branch .LBB127_1378
.LBB127_1309:
	s_mov_b32 s56, -1
	s_mov_b32 s31, 0
	s_mov_b32 s30, s52
                                        ; implicit-def: $vgpr10_vgpr11
	s_branch .LBB127_1344
.LBB127_1310:
	s_mov_b32 s56, -1
	s_mov_b32 s31, 0
	s_mov_b32 s30, s52
                                        ; implicit-def: $vgpr10_vgpr11
	s_branch .LBB127_1327
.LBB127_1311:
	s_mov_b32 s56, -1
	s_mov_b32 s31, 0
	s_mov_b32 s30, s52
                                        ; implicit-def: $vgpr10_vgpr11
	s_branch .LBB127_1322
.LBB127_1312:
	s_mov_b32 s56, -1
	s_mov_b32 s31, 0
	s_mov_b32 s30, s52
	s_branch .LBB127_1316
.LBB127_1313:
	s_and_not1_saveexec_b32 s53, s53
	s_cbranch_execz .LBB127_954
.LBB127_1314:
	v_add_f32_e64 v6, 0x42800000, |v1|
	s_and_not1_b32 s52, s52, exec_lo
	s_delay_alu instid0(VALU_DEP_1) | instskip(NEXT) | instid1(VALU_DEP_1)
	v_and_b32_e32 v6, 0xff, v6
	v_cmp_ne_u32_e32 vcc_lo, 0, v6
	s_and_b32 s55, vcc_lo, exec_lo
	s_delay_alu instid0(SALU_CYCLE_1)
	s_or_b32 s52, s52, s55
	s_or_b32 exec_lo, exec_lo, s53
	v_mov_b32_e32 v7, 0
	s_and_saveexec_b32 s53, s52
	s_cbranch_execnz .LBB127_955
	s_branch .LBB127_956
.LBB127_1315:
	s_mov_b32 s30, -1
	s_mov_b32 s31, 0
.LBB127_1316:
                                        ; implicit-def: $vgpr10_vgpr11
.LBB127_1317:
	s_and_b32 vcc_lo, exec_lo, s56
	s_cbranch_vccz .LBB127_1321
; %bb.1318:
	s_cmp_eq_u32 s0, 44
	s_cbranch_scc0 .LBB127_1320
; %bb.1319:
	global_load_u8 v1, v[6:7], off
	s_mov_b32 s30, 0
	s_mov_b32 s31, -1
	s_wait_loadcnt 0x0
	v_lshlrev_b32_e32 v3, 23, v1
	v_cmp_ne_u32_e32 vcc_lo, 0, v1
	s_delay_alu instid0(VALU_DEP_2) | instskip(SKIP_1) | instid1(VALU_DEP_1)
	v_trunc_f32_e32 v3, v3
	s_wait_xcnt 0x1
	v_mul_f32_e64 v10, 0x2f800000, |v3|
	s_delay_alu instid0(VALU_DEP_1) | instskip(SKIP_1) | instid1(VALU_DEP_2)
	v_floor_f32_e32 v11, v10
	v_ashrrev_i32_e32 v10, 31, v3
	v_fma_f32 v12, 0xcf800000, v11, |v3|
	v_cvt_u32_f32_e32 v3, v11
	s_delay_alu instid0(VALU_DEP_3) | instskip(NEXT) | instid1(VALU_DEP_3)
	v_mov_b32_e32 v11, v10
	v_cvt_u32_f32_e32 v12, v12
	s_delay_alu instid0(VALU_DEP_3) | instskip(NEXT) | instid1(VALU_DEP_2)
	v_xor_b32_e32 v13, v3, v10
	v_xor_b32_e32 v12, v12, v10
	s_delay_alu instid0(VALU_DEP_1) | instskip(NEXT) | instid1(VALU_DEP_1)
	v_sub_nc_u64_e32 v[10:11], v[12:13], v[10:11]
	v_dual_cndmask_b32 v11, 0, v11 :: v_dual_cndmask_b32 v10, 0, v10
	s_branch .LBB127_1321
.LBB127_1320:
	s_mov_b32 s30, -1
                                        ; implicit-def: $vgpr10_vgpr11
.LBB127_1321:
	s_mov_b32 s56, 0
.LBB127_1322:
	s_delay_alu instid0(SALU_CYCLE_1)
	s_and_b32 vcc_lo, exec_lo, s56
	s_cbranch_vccz .LBB127_1326
; %bb.1323:
	s_cmp_eq_u32 s0, 29
	s_cbranch_scc0 .LBB127_1325
; %bb.1324:
	global_load_b64 v[10:11], v[6:7], off
	s_mov_b32 s31, -1
	s_mov_b32 s30, 0
	s_branch .LBB127_1326
.LBB127_1325:
	s_mov_b32 s30, -1
                                        ; implicit-def: $vgpr10_vgpr11
.LBB127_1326:
	s_mov_b32 s56, 0
.LBB127_1327:
	s_delay_alu instid0(SALU_CYCLE_1)
	s_and_b32 vcc_lo, exec_lo, s56
	s_cbranch_vccz .LBB127_1343
; %bb.1328:
	s_cmp_lt_i32 s0, 27
	s_cbranch_scc1 .LBB127_1331
; %bb.1329:
	s_cmp_gt_i32 s0, 27
	s_cbranch_scc0 .LBB127_1332
; %bb.1330:
	s_wait_loadcnt 0x0
	global_load_b32 v10, v[6:7], off
	v_mov_b32_e32 v11, 0
	s_mov_b32 s31, 0
	s_branch .LBB127_1333
.LBB127_1331:
	s_mov_b32 s31, -1
                                        ; implicit-def: $vgpr10_vgpr11
	s_branch .LBB127_1336
.LBB127_1332:
	s_mov_b32 s31, -1
                                        ; implicit-def: $vgpr10_vgpr11
.LBB127_1333:
	s_delay_alu instid0(SALU_CYCLE_1)
	s_and_not1_b32 vcc_lo, exec_lo, s31
	s_cbranch_vccnz .LBB127_1335
; %bb.1334:
	global_load_u16 v1, v[6:7], off
	s_mov_b32 s31, 0
	s_wait_loadcnt 0x1
	s_wait_xcnt 0x1
	v_mov_b32_e32 v11, s31
	s_wait_loadcnt 0x0
	v_and_b32_e32 v10, 0xffff, v1
.LBB127_1335:
	s_mov_b32 s31, 0
.LBB127_1336:
	s_delay_alu instid0(SALU_CYCLE_1)
	s_and_not1_b32 vcc_lo, exec_lo, s31
	s_cbranch_vccnz .LBB127_1342
; %bb.1337:
	global_load_u8 v1, v[6:7], off
	s_mov_b32 s56, 0
	s_mov_b32 s31, exec_lo
	s_wait_loadcnt 0x0
	v_cmpx_lt_i16_e32 0x7f, v1
	s_xor_b32 s31, exec_lo, s31
	s_cbranch_execz .LBB127_1354
; %bb.1338:
	v_cmp_ne_u16_e32 vcc_lo, 0x80, v1
	s_and_b32 s56, vcc_lo, exec_lo
	s_and_not1_saveexec_b32 s31, s31
	s_cbranch_execnz .LBB127_1355
.LBB127_1339:
	s_or_b32 exec_lo, exec_lo, s31
	v_mov_b64_e32 v[10:11], 0
	s_and_saveexec_b32 s31, s56
	s_cbranch_execz .LBB127_1341
.LBB127_1340:
	v_and_b32_e32 v3, 0xffff, v1
	s_delay_alu instid0(VALU_DEP_1) | instskip(SKIP_1) | instid1(VALU_DEP_2)
	v_dual_lshlrev_b32 v1, 24, v1 :: v_dual_bitop2_b32 v10, 7, v3 bitop3:0x40
	v_bfe_u32 v13, v3, 3, 4
	v_and_b32_e32 v1, 0x80000000, v1
	s_delay_alu instid0(VALU_DEP_3) | instskip(NEXT) | instid1(VALU_DEP_3)
	v_clz_i32_u32_e32 v11, v10
	v_cmp_eq_u32_e32 vcc_lo, 0, v13
	s_delay_alu instid0(VALU_DEP_2) | instskip(NEXT) | instid1(VALU_DEP_1)
	v_min_u32_e32 v11, 32, v11
	v_subrev_nc_u32_e32 v12, 28, v11
	v_sub_nc_u32_e32 v11, 29, v11
	s_delay_alu instid0(VALU_DEP_2) | instskip(NEXT) | instid1(VALU_DEP_2)
	v_lshlrev_b32_e32 v3, v12, v3
	v_cndmask_b32_e32 v11, v13, v11, vcc_lo
	s_delay_alu instid0(VALU_DEP_2) | instskip(NEXT) | instid1(VALU_DEP_1)
	v_and_b32_e32 v3, 7, v3
	v_cndmask_b32_e32 v3, v10, v3, vcc_lo
	s_delay_alu instid0(VALU_DEP_3) | instskip(NEXT) | instid1(VALU_DEP_2)
	v_lshl_add_u32 v10, v11, 23, 0x3b800000
	v_lshlrev_b32_e32 v3, 20, v3
	s_delay_alu instid0(VALU_DEP_1) | instskip(NEXT) | instid1(VALU_DEP_1)
	v_or3_b32 v1, v1, v10, v3
	v_trunc_f32_e32 v1, v1
	s_delay_alu instid0(VALU_DEP_1) | instskip(SKIP_1) | instid1(VALU_DEP_2)
	v_mul_f32_e64 v3, 0x2f800000, |v1|
	v_ashrrev_i32_e32 v10, 31, v1
	v_floor_f32_e32 v3, v3
	s_delay_alu instid0(VALU_DEP_1) | instskip(SKIP_1) | instid1(VALU_DEP_2)
	v_fma_f32 v11, 0xcf800000, v3, |v1|
	v_cvt_u32_f32_e32 v1, v3
	v_cvt_u32_f32_e32 v3, v11
	s_delay_alu instid0(VALU_DEP_2) | instskip(NEXT) | instid1(VALU_DEP_2)
	v_dual_mov_b32 v11, v10 :: v_dual_bitop2_b32 v13, v1, v10 bitop3:0x14
	v_xor_b32_e32 v12, v3, v10
	s_delay_alu instid0(VALU_DEP_1)
	v_sub_nc_u64_e32 v[10:11], v[12:13], v[10:11]
.LBB127_1341:
	s_or_b32 exec_lo, exec_lo, s31
.LBB127_1342:
	s_mov_b32 s31, -1
.LBB127_1343:
	s_mov_b32 s56, 0
.LBB127_1344:
	s_delay_alu instid0(SALU_CYCLE_1)
	s_and_b32 vcc_lo, exec_lo, s56
	s_cbranch_vccz .LBB127_1377
; %bb.1345:
	s_cmp_gt_i32 s0, 22
	s_cbranch_scc0 .LBB127_1353
; %bb.1346:
	s_cmp_lt_i32 s0, 24
	s_cbranch_scc1 .LBB127_1356
; %bb.1347:
	s_cmp_gt_i32 s0, 24
	s_cbranch_scc0 .LBB127_1357
; %bb.1348:
	global_load_u8 v1, v[6:7], off
	s_mov_b32 s56, 0
	s_mov_b32 s31, exec_lo
	s_wait_loadcnt 0x0
	v_cmpx_lt_i16_e32 0x7f, v1
	s_xor_b32 s31, exec_lo, s31
	s_cbranch_execz .LBB127_1369
; %bb.1349:
	v_cmp_ne_u16_e32 vcc_lo, 0x80, v1
	s_and_b32 s56, vcc_lo, exec_lo
	s_and_not1_saveexec_b32 s31, s31
	s_cbranch_execnz .LBB127_1370
.LBB127_1350:
	s_or_b32 exec_lo, exec_lo, s31
	v_mov_b64_e32 v[10:11], 0
	s_and_saveexec_b32 s31, s56
	s_cbranch_execz .LBB127_1352
.LBB127_1351:
	v_and_b32_e32 v3, 0xffff, v1
	s_delay_alu instid0(VALU_DEP_1) | instskip(SKIP_1) | instid1(VALU_DEP_2)
	v_dual_lshlrev_b32 v1, 24, v1 :: v_dual_bitop2_b32 v10, 3, v3 bitop3:0x40
	v_bfe_u32 v13, v3, 2, 5
	v_and_b32_e32 v1, 0x80000000, v1
	s_delay_alu instid0(VALU_DEP_3) | instskip(NEXT) | instid1(VALU_DEP_3)
	v_clz_i32_u32_e32 v11, v10
	v_cmp_eq_u32_e32 vcc_lo, 0, v13
	s_delay_alu instid0(VALU_DEP_2) | instskip(NEXT) | instid1(VALU_DEP_1)
	v_min_u32_e32 v11, 32, v11
	v_subrev_nc_u32_e32 v12, 29, v11
	v_sub_nc_u32_e32 v11, 30, v11
	s_delay_alu instid0(VALU_DEP_2) | instskip(NEXT) | instid1(VALU_DEP_2)
	v_lshlrev_b32_e32 v3, v12, v3
	v_cndmask_b32_e32 v11, v13, v11, vcc_lo
	s_delay_alu instid0(VALU_DEP_2) | instskip(NEXT) | instid1(VALU_DEP_1)
	v_and_b32_e32 v3, 3, v3
	v_cndmask_b32_e32 v3, v10, v3, vcc_lo
	s_delay_alu instid0(VALU_DEP_3) | instskip(NEXT) | instid1(VALU_DEP_2)
	v_lshl_add_u32 v10, v11, 23, 0x37800000
	v_lshlrev_b32_e32 v3, 21, v3
	s_delay_alu instid0(VALU_DEP_1) | instskip(NEXT) | instid1(VALU_DEP_1)
	v_or3_b32 v1, v1, v10, v3
	v_trunc_f32_e32 v1, v1
	s_delay_alu instid0(VALU_DEP_1) | instskip(SKIP_1) | instid1(VALU_DEP_2)
	v_mul_f32_e64 v3, 0x2f800000, |v1|
	v_ashrrev_i32_e32 v10, 31, v1
	v_floor_f32_e32 v3, v3
	s_delay_alu instid0(VALU_DEP_1) | instskip(SKIP_1) | instid1(VALU_DEP_2)
	v_fma_f32 v11, 0xcf800000, v3, |v1|
	v_cvt_u32_f32_e32 v1, v3
	v_cvt_u32_f32_e32 v3, v11
	s_delay_alu instid0(VALU_DEP_2) | instskip(NEXT) | instid1(VALU_DEP_2)
	v_dual_mov_b32 v11, v10 :: v_dual_bitop2_b32 v13, v1, v10 bitop3:0x14
	v_xor_b32_e32 v12, v3, v10
	s_delay_alu instid0(VALU_DEP_1)
	v_sub_nc_u64_e32 v[10:11], v[12:13], v[10:11]
.LBB127_1352:
	s_or_b32 exec_lo, exec_lo, s31
	s_mov_b32 s31, 0
	s_branch .LBB127_1358
.LBB127_1353:
	s_mov_b32 s56, -1
                                        ; implicit-def: $vgpr10_vgpr11
	s_branch .LBB127_1364
.LBB127_1354:
	s_and_not1_saveexec_b32 s31, s31
	s_cbranch_execz .LBB127_1339
.LBB127_1355:
	v_cmp_ne_u16_e32 vcc_lo, 0, v1
	s_and_not1_b32 s56, s56, exec_lo
	s_and_b32 s57, vcc_lo, exec_lo
	s_delay_alu instid0(SALU_CYCLE_1)
	s_or_b32 s56, s56, s57
	s_or_b32 exec_lo, exec_lo, s31
	v_mov_b64_e32 v[10:11], 0
	s_and_saveexec_b32 s31, s56
	s_cbranch_execnz .LBB127_1340
	s_branch .LBB127_1341
.LBB127_1356:
	s_mov_b32 s31, -1
                                        ; implicit-def: $vgpr10_vgpr11
	s_branch .LBB127_1361
.LBB127_1357:
	s_mov_b32 s31, -1
                                        ; implicit-def: $vgpr10_vgpr11
.LBB127_1358:
	s_delay_alu instid0(SALU_CYCLE_1)
	s_and_b32 vcc_lo, exec_lo, s31
	s_cbranch_vccz .LBB127_1360
; %bb.1359:
	global_load_u8 v1, v[6:7], off
	s_wait_loadcnt 0x0
	v_lshlrev_b32_e32 v1, 24, v1
	s_delay_alu instid0(VALU_DEP_1) | instskip(SKIP_1) | instid1(VALU_DEP_1)
	v_and_b32_e32 v3, 0x7f000000, v1
	s_wait_xcnt 0x1
	v_clz_i32_u32_e32 v10, v3
	v_cmp_ne_u32_e32 vcc_lo, 0, v3
	v_add_nc_u32_e32 v12, 0x1000000, v3
	s_delay_alu instid0(VALU_DEP_3) | instskip(NEXT) | instid1(VALU_DEP_1)
	v_min_u32_e32 v10, 32, v10
	v_sub_nc_u32_e64 v10, v10, 4 clamp
	s_delay_alu instid0(VALU_DEP_1) | instskip(NEXT) | instid1(VALU_DEP_1)
	v_dual_lshlrev_b32 v11, v10, v3 :: v_dual_lshlrev_b32 v10, 23, v10
	v_lshrrev_b32_e32 v11, 4, v11
	s_delay_alu instid0(VALU_DEP_1) | instskip(NEXT) | instid1(VALU_DEP_1)
	v_dual_sub_nc_u32 v10, v11, v10 :: v_dual_ashrrev_i32 v11, 8, v12
	v_add_nc_u32_e32 v10, 0x3c000000, v10
	s_delay_alu instid0(VALU_DEP_1) | instskip(NEXT) | instid1(VALU_DEP_1)
	v_and_or_b32 v10, 0x7f800000, v11, v10
	v_cndmask_b32_e32 v3, 0, v10, vcc_lo
	s_delay_alu instid0(VALU_DEP_1) | instskip(NEXT) | instid1(VALU_DEP_1)
	v_and_or_b32 v1, 0x80000000, v1, v3
	v_trunc_f32_e32 v1, v1
	s_delay_alu instid0(VALU_DEP_1) | instskip(SKIP_1) | instid1(VALU_DEP_2)
	v_mul_f32_e64 v3, 0x2f800000, |v1|
	v_ashrrev_i32_e32 v10, 31, v1
	v_floor_f32_e32 v3, v3
	s_delay_alu instid0(VALU_DEP_1) | instskip(SKIP_1) | instid1(VALU_DEP_2)
	v_fma_f32 v11, 0xcf800000, v3, |v1|
	v_cvt_u32_f32_e32 v1, v3
	v_cvt_u32_f32_e32 v3, v11
	s_delay_alu instid0(VALU_DEP_2) | instskip(NEXT) | instid1(VALU_DEP_2)
	v_dual_mov_b32 v11, v10 :: v_dual_bitop2_b32 v13, v1, v10 bitop3:0x14
	v_xor_b32_e32 v12, v3, v10
	s_delay_alu instid0(VALU_DEP_1)
	v_sub_nc_u64_e32 v[10:11], v[12:13], v[10:11]
.LBB127_1360:
	s_mov_b32 s31, 0
.LBB127_1361:
	s_delay_alu instid0(SALU_CYCLE_1)
	s_and_not1_b32 vcc_lo, exec_lo, s31
	s_cbranch_vccnz .LBB127_1363
; %bb.1362:
	global_load_u8 v1, v[6:7], off
	s_wait_loadcnt 0x0
	v_lshlrev_b32_e32 v3, 25, v1
	v_lshlrev_b16 v1, 8, v1
	s_wait_xcnt 0x1
	s_delay_alu instid0(VALU_DEP_1) | instskip(SKIP_1) | instid1(VALU_DEP_2)
	v_and_or_b32 v11, 0x7f00, v1, 0.5
	v_bfe_i32 v1, v1, 0, 16
	v_add_f32_e32 v11, -0.5, v11
	v_lshrrev_b32_e32 v10, 4, v3
	v_cmp_gt_u32_e32 vcc_lo, 0x8000000, v3
	s_delay_alu instid0(VALU_DEP_2) | instskip(NEXT) | instid1(VALU_DEP_1)
	v_or_b32_e32 v10, 0x70000000, v10
	v_mul_f32_e32 v10, 0x7800000, v10
	s_delay_alu instid0(VALU_DEP_1) | instskip(NEXT) | instid1(VALU_DEP_1)
	v_cndmask_b32_e32 v3, v10, v11, vcc_lo
	v_and_or_b32 v1, 0x80000000, v1, v3
	s_delay_alu instid0(VALU_DEP_1) | instskip(NEXT) | instid1(VALU_DEP_1)
	v_trunc_f32_e32 v1, v1
	v_mul_f32_e64 v3, 0x2f800000, |v1|
	v_ashrrev_i32_e32 v10, 31, v1
	s_delay_alu instid0(VALU_DEP_2) | instskip(NEXT) | instid1(VALU_DEP_1)
	v_floor_f32_e32 v3, v3
	v_fma_f32 v11, 0xcf800000, v3, |v1|
	v_cvt_u32_f32_e32 v1, v3
	s_delay_alu instid0(VALU_DEP_2) | instskip(NEXT) | instid1(VALU_DEP_2)
	v_cvt_u32_f32_e32 v3, v11
	v_dual_mov_b32 v11, v10 :: v_dual_bitop2_b32 v13, v1, v10 bitop3:0x14
	s_delay_alu instid0(VALU_DEP_2) | instskip(NEXT) | instid1(VALU_DEP_1)
	v_xor_b32_e32 v12, v3, v10
	v_sub_nc_u64_e32 v[10:11], v[12:13], v[10:11]
.LBB127_1363:
	s_mov_b32 s56, 0
	s_mov_b32 s31, -1
.LBB127_1364:
	s_and_not1_b32 vcc_lo, exec_lo, s56
	s_cbranch_vccnz .LBB127_1377
; %bb.1365:
	s_cmp_gt_i32 s0, 14
	s_cbranch_scc0 .LBB127_1368
; %bb.1366:
	s_cmp_eq_u32 s0, 15
	s_cbranch_scc0 .LBB127_1371
; %bb.1367:
	global_load_u16 v1, v[6:7], off
	s_mov_b32 s31, -1
	s_mov_b32 s30, 0
	s_wait_loadcnt 0x0
	v_lshlrev_b32_e32 v1, 16, v1
	s_delay_alu instid0(VALU_DEP_1) | instskip(NEXT) | instid1(VALU_DEP_1)
	v_trunc_f32_e32 v1, v1
	v_mul_f32_e64 v3, 0x2f800000, |v1|
	s_wait_xcnt 0x1
	v_ashrrev_i32_e32 v10, 31, v1
	s_delay_alu instid0(VALU_DEP_2) | instskip(NEXT) | instid1(VALU_DEP_1)
	v_floor_f32_e32 v3, v3
	v_fma_f32 v11, 0xcf800000, v3, |v1|
	v_cvt_u32_f32_e32 v1, v3
	s_delay_alu instid0(VALU_DEP_2) | instskip(NEXT) | instid1(VALU_DEP_2)
	v_cvt_u32_f32_e32 v3, v11
	v_dual_mov_b32 v11, v10 :: v_dual_bitop2_b32 v13, v1, v10 bitop3:0x14
	s_delay_alu instid0(VALU_DEP_2) | instskip(NEXT) | instid1(VALU_DEP_1)
	v_xor_b32_e32 v12, v3, v10
	v_sub_nc_u64_e32 v[10:11], v[12:13], v[10:11]
	s_branch .LBB127_1372
.LBB127_1368:
	s_mov_b32 s56, -1
                                        ; implicit-def: $vgpr10_vgpr11
	s_branch .LBB127_1373
.LBB127_1369:
	s_and_not1_saveexec_b32 s31, s31
	s_cbranch_execz .LBB127_1350
.LBB127_1370:
	v_cmp_ne_u16_e32 vcc_lo, 0, v1
	s_and_not1_b32 s56, s56, exec_lo
	s_and_b32 s57, vcc_lo, exec_lo
	s_delay_alu instid0(SALU_CYCLE_1)
	s_or_b32 s56, s56, s57
	s_or_b32 exec_lo, exec_lo, s31
	v_mov_b64_e32 v[10:11], 0
	s_and_saveexec_b32 s31, s56
	s_cbranch_execnz .LBB127_1351
	s_branch .LBB127_1352
.LBB127_1371:
	s_mov_b32 s30, -1
                                        ; implicit-def: $vgpr10_vgpr11
.LBB127_1372:
	s_mov_b32 s56, 0
.LBB127_1373:
	s_delay_alu instid0(SALU_CYCLE_1)
	s_and_b32 vcc_lo, exec_lo, s56
	s_cbranch_vccz .LBB127_1377
; %bb.1374:
	s_cmp_eq_u32 s0, 11
	s_cbranch_scc0 .LBB127_1376
; %bb.1375:
	global_load_u8 v1, v[6:7], off
	s_mov_b32 s30, 0
	s_mov_b32 s31, -1
	s_wait_loadcnt 0x1
	s_wait_xcnt 0x1
	v_mov_b32_e32 v11, s30
	s_wait_loadcnt 0x0
	v_cmp_ne_u16_e32 vcc_lo, 0, v1
	v_cndmask_b32_e64 v10, 0, 1, vcc_lo
	s_branch .LBB127_1377
.LBB127_1376:
	s_mov_b32 s30, -1
                                        ; implicit-def: $vgpr10_vgpr11
.LBB127_1377:
	s_mov_b32 s56, 0
.LBB127_1378:
	s_delay_alu instid0(SALU_CYCLE_1)
	s_and_b32 vcc_lo, exec_lo, s56
	s_cbranch_vccz .LBB127_1427
; %bb.1379:
	s_cmp_lt_i32 s0, 5
	s_cbranch_scc1 .LBB127_1384
; %bb.1380:
	s_cmp_lt_i32 s0, 8
	s_cbranch_scc1 .LBB127_1385
	;; [unrolled: 3-line block ×3, first 2 shown]
; %bb.1382:
	s_cmp_gt_i32 s0, 9
	s_cbranch_scc0 .LBB127_1387
; %bb.1383:
	s_wait_loadcnt 0x0
	global_load_b64 v[10:11], v[6:7], off
	s_mov_b32 s31, 0
	s_wait_loadcnt 0x0
	v_trunc_f64_e32 v[10:11], v[10:11]
	s_delay_alu instid0(VALU_DEP_1) | instskip(NEXT) | instid1(VALU_DEP_1)
	v_ldexp_f64 v[12:13], v[10:11], 0xffffffe0
	v_floor_f64_e32 v[12:13], v[12:13]
	s_delay_alu instid0(VALU_DEP_1) | instskip(SKIP_1) | instid1(VALU_DEP_2)
	v_fmamk_f64 v[14:15], v[12:13], 0xc1f00000, v[10:11]
	v_cvt_i32_f64_e32 v11, v[12:13]
	v_cvt_u32_f64_e32 v10, v[14:15]
	s_branch .LBB127_1388
.LBB127_1384:
	s_mov_b32 s31, -1
                                        ; implicit-def: $vgpr10_vgpr11
	s_branch .LBB127_1406
.LBB127_1385:
	s_mov_b32 s31, -1
                                        ; implicit-def: $vgpr10_vgpr11
	s_branch .LBB127_1394
.LBB127_1386:
	s_mov_b32 s31, -1
                                        ; implicit-def: $vgpr10_vgpr11
	s_branch .LBB127_1391
.LBB127_1387:
	s_mov_b32 s31, -1
                                        ; implicit-def: $vgpr10_vgpr11
.LBB127_1388:
	s_delay_alu instid0(SALU_CYCLE_1)
	s_and_not1_b32 vcc_lo, exec_lo, s31
	s_cbranch_vccnz .LBB127_1390
; %bb.1389:
	global_load_b32 v1, v[6:7], off
	s_wait_loadcnt 0x0
	v_trunc_f32_e32 v1, v1
	s_delay_alu instid0(VALU_DEP_1) | instskip(SKIP_2) | instid1(VALU_DEP_2)
	v_mul_f32_e64 v3, 0x2f800000, |v1|
	s_wait_xcnt 0x1
	v_ashrrev_i32_e32 v10, 31, v1
	v_floor_f32_e32 v3, v3
	s_delay_alu instid0(VALU_DEP_1) | instskip(SKIP_1) | instid1(VALU_DEP_2)
	v_fma_f32 v11, 0xcf800000, v3, |v1|
	v_cvt_u32_f32_e32 v1, v3
	v_cvt_u32_f32_e32 v3, v11
	s_delay_alu instid0(VALU_DEP_2) | instskip(NEXT) | instid1(VALU_DEP_2)
	v_dual_mov_b32 v11, v10 :: v_dual_bitop2_b32 v13, v1, v10 bitop3:0x14
	v_xor_b32_e32 v12, v3, v10
	s_delay_alu instid0(VALU_DEP_1)
	v_sub_nc_u64_e32 v[10:11], v[12:13], v[10:11]
.LBB127_1390:
	s_mov_b32 s31, 0
.LBB127_1391:
	s_delay_alu instid0(SALU_CYCLE_1)
	s_and_not1_b32 vcc_lo, exec_lo, s31
	s_cbranch_vccnz .LBB127_1393
; %bb.1392:
	global_load_b32 v1, v[6:7], off
	s_wait_loadcnt 0x0
	v_cvt_f32_f16_e32 v1, v1
	s_wait_xcnt 0x1
	s_delay_alu instid0(VALU_DEP_1) | instskip(NEXT) | instid1(VALU_DEP_1)
	v_cvt_i32_f32_e32 v10, v1
	v_ashrrev_i32_e32 v11, 31, v10
.LBB127_1393:
	s_mov_b32 s31, 0
.LBB127_1394:
	s_delay_alu instid0(SALU_CYCLE_1)
	s_and_not1_b32 vcc_lo, exec_lo, s31
	s_cbranch_vccnz .LBB127_1405
; %bb.1395:
	s_cmp_lt_i32 s0, 6
	s_cbranch_scc1 .LBB127_1398
; %bb.1396:
	s_cmp_gt_i32 s0, 6
	s_cbranch_scc0 .LBB127_1399
; %bb.1397:
	s_wait_loadcnt 0x0
	global_load_b64 v[10:11], v[6:7], off
	s_mov_b32 s31, 0
	s_wait_loadcnt 0x0
	v_trunc_f64_e32 v[10:11], v[10:11]
	s_delay_alu instid0(VALU_DEP_1) | instskip(NEXT) | instid1(VALU_DEP_1)
	v_ldexp_f64 v[12:13], v[10:11], 0xffffffe0
	v_floor_f64_e32 v[12:13], v[12:13]
	s_delay_alu instid0(VALU_DEP_1) | instskip(SKIP_1) | instid1(VALU_DEP_2)
	v_fmamk_f64 v[14:15], v[12:13], 0xc1f00000, v[10:11]
	v_cvt_i32_f64_e32 v11, v[12:13]
	v_cvt_u32_f64_e32 v10, v[14:15]
	s_branch .LBB127_1400
.LBB127_1398:
	s_mov_b32 s31, -1
                                        ; implicit-def: $vgpr10_vgpr11
	s_branch .LBB127_1403
.LBB127_1399:
	s_mov_b32 s31, -1
                                        ; implicit-def: $vgpr10_vgpr11
.LBB127_1400:
	s_delay_alu instid0(SALU_CYCLE_1)
	s_and_not1_b32 vcc_lo, exec_lo, s31
	s_cbranch_vccnz .LBB127_1402
; %bb.1401:
	global_load_b32 v1, v[6:7], off
	s_wait_loadcnt 0x0
	v_trunc_f32_e32 v1, v1
	s_delay_alu instid0(VALU_DEP_1) | instskip(SKIP_2) | instid1(VALU_DEP_2)
	v_mul_f32_e64 v3, 0x2f800000, |v1|
	s_wait_xcnt 0x1
	v_ashrrev_i32_e32 v10, 31, v1
	v_floor_f32_e32 v3, v3
	s_delay_alu instid0(VALU_DEP_1) | instskip(SKIP_1) | instid1(VALU_DEP_2)
	v_fma_f32 v11, 0xcf800000, v3, |v1|
	v_cvt_u32_f32_e32 v1, v3
	v_cvt_u32_f32_e32 v3, v11
	s_delay_alu instid0(VALU_DEP_2) | instskip(NEXT) | instid1(VALU_DEP_2)
	v_dual_mov_b32 v11, v10 :: v_dual_bitop2_b32 v13, v1, v10 bitop3:0x14
	v_xor_b32_e32 v12, v3, v10
	s_delay_alu instid0(VALU_DEP_1)
	v_sub_nc_u64_e32 v[10:11], v[12:13], v[10:11]
.LBB127_1402:
	s_mov_b32 s31, 0
.LBB127_1403:
	s_delay_alu instid0(SALU_CYCLE_1)
	s_and_not1_b32 vcc_lo, exec_lo, s31
	s_cbranch_vccnz .LBB127_1405
; %bb.1404:
	global_load_u16 v1, v[6:7], off
	s_wait_loadcnt 0x0
	v_cvt_f32_f16_e32 v1, v1
	s_wait_xcnt 0x1
	s_delay_alu instid0(VALU_DEP_1) | instskip(NEXT) | instid1(VALU_DEP_1)
	v_cvt_i32_f32_e32 v10, v1
	v_ashrrev_i32_e32 v11, 31, v10
.LBB127_1405:
	s_mov_b32 s31, 0
.LBB127_1406:
	s_delay_alu instid0(SALU_CYCLE_1)
	s_and_not1_b32 vcc_lo, exec_lo, s31
	s_cbranch_vccnz .LBB127_1426
; %bb.1407:
	s_cmp_lt_i32 s0, 2
	s_cbranch_scc1 .LBB127_1411
; %bb.1408:
	s_cmp_lt_i32 s0, 3
	s_cbranch_scc1 .LBB127_1412
; %bb.1409:
	s_cmp_gt_i32 s0, 3
	s_cbranch_scc0 .LBB127_1413
; %bb.1410:
	s_wait_loadcnt 0x0
	global_load_b64 v[10:11], v[6:7], off
	s_mov_b32 s31, 0
	s_branch .LBB127_1414
.LBB127_1411:
	s_mov_b32 s31, -1
                                        ; implicit-def: $vgpr10_vgpr11
	s_branch .LBB127_1420
.LBB127_1412:
	s_mov_b32 s31, -1
                                        ; implicit-def: $vgpr10_vgpr11
	s_branch .LBB127_1417
.LBB127_1413:
	s_mov_b32 s31, -1
                                        ; implicit-def: $vgpr10_vgpr11
.LBB127_1414:
	s_delay_alu instid0(SALU_CYCLE_1)
	s_and_not1_b32 vcc_lo, exec_lo, s31
	s_cbranch_vccnz .LBB127_1416
; %bb.1415:
	s_wait_loadcnt 0x0
	global_load_b32 v10, v[6:7], off
	s_wait_loadcnt 0x0
	v_ashrrev_i32_e32 v11, 31, v10
.LBB127_1416:
	s_mov_b32 s31, 0
.LBB127_1417:
	s_delay_alu instid0(SALU_CYCLE_1)
	s_and_not1_b32 vcc_lo, exec_lo, s31
	s_cbranch_vccnz .LBB127_1419
; %bb.1418:
	global_load_u16 v1, v[6:7], off
	s_wait_loadcnt 0x0
	s_wait_xcnt 0x1
	v_bfe_i32 v10, v1, 0, 16
	s_delay_alu instid0(VALU_DEP_1)
	v_ashrrev_i32_e32 v11, 31, v10
.LBB127_1419:
	s_mov_b32 s31, 0
.LBB127_1420:
	s_delay_alu instid0(SALU_CYCLE_1)
	s_and_not1_b32 vcc_lo, exec_lo, s31
	s_cbranch_vccnz .LBB127_1426
; %bb.1421:
	s_cmp_gt_i32 s0, 0
	s_mov_b32 s0, 0
	s_cbranch_scc0 .LBB127_1423
; %bb.1422:
	global_load_i8 v1, v[6:7], off
	s_wait_loadcnt 0x0
	s_wait_xcnt 0x1
	v_bfe_i32 v10, v1, 0, 16
	s_delay_alu instid0(VALU_DEP_1)
	v_ashrrev_i32_e32 v11, 31, v10
	s_branch .LBB127_1424
.LBB127_1423:
	s_mov_b32 s0, -1
                                        ; implicit-def: $vgpr10_vgpr11
.LBB127_1424:
	s_delay_alu instid0(SALU_CYCLE_1)
	s_and_not1_b32 vcc_lo, exec_lo, s0
	s_cbranch_vccnz .LBB127_1426
; %bb.1425:
	global_load_u8 v1, v[6:7], off
	s_mov_b32 s0, 0
	s_wait_loadcnt 0x1
	s_wait_xcnt 0x1
	v_mov_b32_e32 v11, s0
	s_wait_loadcnt 0x0
	v_and_b32_e32 v10, 0xffff, v1
.LBB127_1426:
	s_mov_b32 s31, -1
.LBB127_1427:
	s_delay_alu instid0(SALU_CYCLE_1)
	s_and_not1_b32 vcc_lo, exec_lo, s31
	s_cbranch_vccnz .LBB127_1435
; %bb.1428:
	s_wait_loadcnt 0x0
	s_delay_alu instid0(VALU_DEP_3) | instskip(SKIP_2) | instid1(SALU_CYCLE_1)
	v_max_i64 v[4:5], v[4:5], v[8:9]
	v_mov_b32_e32 v3, 0
	s_and_b32 s31, s38, 0xff
	s_cmp_lt_i32 s31, 11
	s_delay_alu instid0(VALU_DEP_1) | instskip(NEXT) | instid1(VALU_DEP_3)
	v_add_nc_u64_e32 v[2:3], s[4:5], v[2:3]
	v_min_i64 v[4:5], v[4:5], v[10:11]
	s_cbranch_scc1 .LBB127_1436
; %bb.1429:
	s_and_b32 s56, 0xffff, s31
	s_delay_alu instid0(SALU_CYCLE_1)
	s_cmp_gt_i32 s56, 25
	s_cbranch_scc0 .LBB127_1437
; %bb.1430:
	s_cmp_gt_i32 s56, 28
	s_cbranch_scc0 .LBB127_1438
; %bb.1431:
	s_cmp_gt_i32 s56, 43
	s_cbranch_scc0 .LBB127_1439
; %bb.1432:
	s_cmp_gt_i32 s56, 45
	s_cbranch_scc0 .LBB127_1440
; %bb.1433:
	s_mov_b32 s58, 0
	s_mov_b32 s0, -1
	s_cmp_eq_u32 s56, 46
	s_mov_b32 s57, 0
	s_cbranch_scc0 .LBB127_1441
; %bb.1434:
	s_delay_alu instid0(VALU_DEP_1)
	v_xor_b32_e32 v1, v4, v5
	s_wait_xcnt 0x0
	v_cls_i32_e32 v6, v5
	s_mov_b32 s57, -1
	s_mov_b32 s0, 0
	v_ashrrev_i32_e32 v1, 31, v1
	s_delay_alu instid0(VALU_DEP_1) | instskip(NEXT) | instid1(VALU_DEP_1)
	v_add_nc_u32_e32 v1, 32, v1
	v_add_min_u32_e64 v1, v6, -1, v1
	s_delay_alu instid0(VALU_DEP_1) | instskip(SKIP_1) | instid1(VALU_DEP_2)
	v_lshlrev_b64_e32 v[6:7], v1, v[4:5]
	v_sub_nc_u32_e32 v1, 32, v1
	v_min_u32_e32 v6, 1, v6
	s_delay_alu instid0(VALU_DEP_1) | instskip(NEXT) | instid1(VALU_DEP_1)
	v_or_b32_e32 v6, v7, v6
	v_cvt_f32_i32_e32 v6, v6
	s_delay_alu instid0(VALU_DEP_1) | instskip(NEXT) | instid1(VALU_DEP_1)
	v_ldexp_f32 v1, v6, v1
	v_bfe_u32 v6, v1, 16, 1
	s_delay_alu instid0(VALU_DEP_1) | instskip(NEXT) | instid1(VALU_DEP_1)
	v_add3_u32 v1, v1, v6, 0x7fff
	v_lshrrev_b32_e32 v1, 16, v1
	global_store_b32 v[2:3], v1, off
	s_branch .LBB127_1441
.LBB127_1435:
	s_mov_b32 s31, 0
	s_mov_b32 s0, s51
	s_branch .LBB127_1552
.LBB127_1436:
	s_mov_b32 s56, -1
	s_mov_b32 s57, 0
	s_mov_b32 s0, s51
	s_branch .LBB127_1510
.LBB127_1437:
	s_mov_b32 s58, -1
	s_mov_b32 s57, 0
	s_mov_b32 s0, s51
	s_branch .LBB127_1468
.LBB127_1438:
	s_mov_b32 s58, -1
	s_mov_b32 s57, 0
	s_mov_b32 s0, s51
	s_branch .LBB127_1451
.LBB127_1439:
	s_mov_b32 s58, -1
	s_mov_b32 s57, 0
	s_mov_b32 s0, s51
	s_branch .LBB127_1447
.LBB127_1440:
	s_mov_b32 s58, -1
	s_mov_b32 s57, 0
	s_mov_b32 s0, s51
.LBB127_1441:
	s_and_b32 vcc_lo, exec_lo, s58
	s_cbranch_vccz .LBB127_1446
; %bb.1442:
	s_cmp_eq_u32 s56, 44
	s_mov_b32 s0, -1
	s_cbranch_scc0 .LBB127_1446
; %bb.1443:
	s_wait_xcnt 0x0
	s_delay_alu instid0(VALU_DEP_1) | instskip(SKIP_3) | instid1(VALU_DEP_2)
	v_xor_b32_e32 v1, v4, v5
	v_cls_i32_e32 v6, v5
	s_mov_b32 s57, -1
	s_mov_b32 s58, exec_lo
	v_ashrrev_i32_e32 v1, 31, v1
	s_delay_alu instid0(VALU_DEP_1) | instskip(NEXT) | instid1(VALU_DEP_1)
	v_add_nc_u32_e32 v1, 32, v1
	v_add_min_u32_e64 v1, v6, -1, v1
	s_delay_alu instid0(VALU_DEP_1) | instskip(SKIP_1) | instid1(VALU_DEP_2)
	v_lshlrev_b64_e32 v[6:7], v1, v[4:5]
	v_sub_nc_u32_e32 v1, 32, v1
	v_min_u32_e32 v6, 1, v6
	s_delay_alu instid0(VALU_DEP_1) | instskip(NEXT) | instid1(VALU_DEP_1)
	v_or_b32_e32 v6, v7, v6
	v_cvt_f32_i32_e32 v6, v6
	s_delay_alu instid0(VALU_DEP_1) | instskip(SKIP_1) | instid1(VALU_DEP_2)
	v_ldexp_f32 v1, v6, v1
	v_mov_b32_e32 v6, 0xff
	v_bfe_u32 v7, v1, 23, 8
	s_delay_alu instid0(VALU_DEP_1)
	v_cmpx_ne_u32_e32 0xff, v7
	s_cbranch_execz .LBB127_1445
; %bb.1444:
	v_and_b32_e32 v6, 0x400000, v1
	v_and_or_b32 v7, 0x3fffff, v1, v7
	v_lshrrev_b32_e32 v1, 23, v1
	s_delay_alu instid0(VALU_DEP_3) | instskip(NEXT) | instid1(VALU_DEP_3)
	v_cmp_ne_u32_e32 vcc_lo, 0, v6
	v_cmp_ne_u32_e64 s0, 0, v7
	s_and_b32 s0, vcc_lo, s0
	s_delay_alu instid0(SALU_CYCLE_1) | instskip(NEXT) | instid1(VALU_DEP_1)
	v_cndmask_b32_e64 v6, 0, 1, s0
	v_add_nc_u32_e32 v6, v1, v6
.LBB127_1445:
	s_or_b32 exec_lo, exec_lo, s58
	s_mov_b32 s0, 0
	global_store_b8 v[2:3], v6, off
.LBB127_1446:
	s_mov_b32 s58, 0
.LBB127_1447:
	s_delay_alu instid0(SALU_CYCLE_1)
	s_and_b32 vcc_lo, exec_lo, s58
	s_cbranch_vccz .LBB127_1450
; %bb.1448:
	s_cmp_eq_u32 s56, 29
	s_mov_b32 s0, -1
	s_cbranch_scc0 .LBB127_1450
; %bb.1449:
	s_mov_b32 s57, -1
	s_mov_b32 s0, 0
	global_store_b64 v[2:3], v[4:5], off
.LBB127_1450:
	s_mov_b32 s58, 0
.LBB127_1451:
	s_delay_alu instid0(SALU_CYCLE_1)
	s_and_b32 vcc_lo, exec_lo, s58
	s_cbranch_vccz .LBB127_1467
; %bb.1452:
	s_cmp_lt_i32 s56, 27
	s_mov_b32 s57, -1
	s_cbranch_scc1 .LBB127_1458
; %bb.1453:
	s_cmp_gt_i32 s56, 27
	s_cbranch_scc0 .LBB127_1455
; %bb.1454:
	s_mov_b32 s57, 0
	global_store_b32 v[2:3], v4, off
.LBB127_1455:
	s_and_not1_b32 vcc_lo, exec_lo, s57
	s_cbranch_vccnz .LBB127_1457
; %bb.1456:
	global_store_b16 v[2:3], v4, off
.LBB127_1457:
	s_mov_b32 s57, 0
.LBB127_1458:
	s_delay_alu instid0(SALU_CYCLE_1)
	s_and_not1_b32 vcc_lo, exec_lo, s57
	s_cbranch_vccnz .LBB127_1466
; %bb.1459:
	s_wait_xcnt 0x0
	s_delay_alu instid0(VALU_DEP_1) | instskip(SKIP_2) | instid1(VALU_DEP_2)
	v_xor_b32_e32 v1, v4, v5
	v_cls_i32_e32 v6, v5
	s_mov_b32 s57, exec_lo
	v_ashrrev_i32_e32 v1, 31, v1
	s_delay_alu instid0(VALU_DEP_1) | instskip(NEXT) | instid1(VALU_DEP_1)
	v_add_nc_u32_e32 v1, 32, v1
	v_add_min_u32_e64 v1, v6, -1, v1
	s_delay_alu instid0(VALU_DEP_1) | instskip(SKIP_1) | instid1(VALU_DEP_2)
	v_lshlrev_b64_e32 v[6:7], v1, v[4:5]
	v_sub_nc_u32_e32 v1, 32, v1
	v_min_u32_e32 v6, 1, v6
	s_delay_alu instid0(VALU_DEP_1) | instskip(SKIP_1) | instid1(VALU_DEP_2)
	v_or_b32_e32 v6, v7, v6
	v_mov_b32_e32 v7, 0x80
	v_cvt_f32_i32_e32 v6, v6
	s_delay_alu instid0(VALU_DEP_1) | instskip(NEXT) | instid1(VALU_DEP_1)
	v_ldexp_f32 v1, v6, v1
	v_and_b32_e32 v6, 0x7fffffff, v1
	s_delay_alu instid0(VALU_DEP_1)
	v_cmpx_gt_u32_e32 0x43800000, v6
	s_cbranch_execz .LBB127_1465
; %bb.1460:
	v_cmp_lt_u32_e32 vcc_lo, 0x3bffffff, v6
	s_mov_b32 s58, 0
                                        ; implicit-def: $vgpr6
	s_and_saveexec_b32 s59, vcc_lo
	s_delay_alu instid0(SALU_CYCLE_1)
	s_xor_b32 s59, exec_lo, s59
	s_cbranch_execz .LBB127_2745
; %bb.1461:
	v_bfe_u32 v6, v1, 20, 1
	s_mov_b32 s58, exec_lo
	s_delay_alu instid0(VALU_DEP_1) | instskip(NEXT) | instid1(VALU_DEP_1)
	v_add3_u32 v6, v1, v6, 0x487ffff
	v_lshrrev_b32_e32 v6, 20, v6
	s_and_not1_saveexec_b32 s59, s59
	s_cbranch_execnz .LBB127_2746
.LBB127_1462:
	s_or_b32 exec_lo, exec_lo, s59
	v_mov_b32_e32 v7, 0
	s_and_saveexec_b32 s59, s58
.LBB127_1463:
	v_lshrrev_b32_e32 v1, 24, v1
	s_delay_alu instid0(VALU_DEP_1)
	v_and_or_b32 v7, 0x80, v1, v6
.LBB127_1464:
	s_or_b32 exec_lo, exec_lo, s59
.LBB127_1465:
	s_delay_alu instid0(SALU_CYCLE_1)
	s_or_b32 exec_lo, exec_lo, s57
	global_store_b8 v[2:3], v7, off
.LBB127_1466:
	s_mov_b32 s57, -1
.LBB127_1467:
	s_mov_b32 s58, 0
.LBB127_1468:
	s_delay_alu instid0(SALU_CYCLE_1)
	s_and_b32 vcc_lo, exec_lo, s58
	s_cbranch_vccz .LBB127_1509
; %bb.1469:
	s_cmp_gt_i32 s56, 22
	s_mov_b32 s58, -1
	s_cbranch_scc0 .LBB127_1501
; %bb.1470:
	s_cmp_lt_i32 s56, 24
	s_mov_b32 s57, -1
	s_cbranch_scc1 .LBB127_1490
; %bb.1471:
	s_cmp_gt_i32 s56, 24
	s_cbranch_scc0 .LBB127_1479
; %bb.1472:
	s_wait_xcnt 0x0
	s_delay_alu instid0(VALU_DEP_1) | instskip(SKIP_2) | instid1(VALU_DEP_2)
	v_xor_b32_e32 v1, v4, v5
	v_cls_i32_e32 v6, v5
	s_mov_b32 s57, exec_lo
	v_ashrrev_i32_e32 v1, 31, v1
	s_delay_alu instid0(VALU_DEP_1) | instskip(NEXT) | instid1(VALU_DEP_1)
	v_add_nc_u32_e32 v1, 32, v1
	v_add_min_u32_e64 v1, v6, -1, v1
	s_delay_alu instid0(VALU_DEP_1) | instskip(SKIP_1) | instid1(VALU_DEP_2)
	v_lshlrev_b64_e32 v[6:7], v1, v[4:5]
	v_sub_nc_u32_e32 v1, 32, v1
	v_min_u32_e32 v6, 1, v6
	s_delay_alu instid0(VALU_DEP_1) | instskip(SKIP_1) | instid1(VALU_DEP_2)
	v_or_b32_e32 v6, v7, v6
	v_mov_b32_e32 v7, 0x80
	v_cvt_f32_i32_e32 v6, v6
	s_delay_alu instid0(VALU_DEP_1) | instskip(NEXT) | instid1(VALU_DEP_1)
	v_ldexp_f32 v1, v6, v1
	v_and_b32_e32 v6, 0x7fffffff, v1
	s_delay_alu instid0(VALU_DEP_1)
	v_cmpx_gt_u32_e32 0x47800000, v6
	s_cbranch_execz .LBB127_1478
; %bb.1473:
	v_cmp_lt_u32_e32 vcc_lo, 0x37ffffff, v6
	s_mov_b32 s58, 0
                                        ; implicit-def: $vgpr6
	s_and_saveexec_b32 s59, vcc_lo
	s_delay_alu instid0(SALU_CYCLE_1)
	s_xor_b32 s59, exec_lo, s59
	s_cbranch_execz .LBB127_2874
; %bb.1474:
	v_bfe_u32 v6, v1, 21, 1
	s_mov_b32 s58, exec_lo
	s_delay_alu instid0(VALU_DEP_1) | instskip(NEXT) | instid1(VALU_DEP_1)
	v_add3_u32 v6, v1, v6, 0x88fffff
	v_lshrrev_b32_e32 v6, 21, v6
	s_and_not1_saveexec_b32 s59, s59
	s_cbranch_execnz .LBB127_2875
.LBB127_1475:
	s_or_b32 exec_lo, exec_lo, s59
	v_mov_b32_e32 v7, 0
	s_and_saveexec_b32 s59, s58
.LBB127_1476:
	v_lshrrev_b32_e32 v1, 24, v1
	s_delay_alu instid0(VALU_DEP_1)
	v_and_or_b32 v7, 0x80, v1, v6
.LBB127_1477:
	s_or_b32 exec_lo, exec_lo, s59
.LBB127_1478:
	s_delay_alu instid0(SALU_CYCLE_1)
	s_or_b32 exec_lo, exec_lo, s57
	s_mov_b32 s57, 0
	global_store_b8 v[2:3], v7, off
.LBB127_1479:
	s_and_b32 vcc_lo, exec_lo, s57
	s_cbranch_vccz .LBB127_1489
; %bb.1480:
	s_wait_xcnt 0x0
	s_delay_alu instid0(VALU_DEP_1) | instskip(SKIP_2) | instid1(VALU_DEP_2)
	v_xor_b32_e32 v1, v4, v5
	v_cls_i32_e32 v6, v5
	s_mov_b32 s57, exec_lo
	v_ashrrev_i32_e32 v1, 31, v1
	s_delay_alu instid0(VALU_DEP_1) | instskip(NEXT) | instid1(VALU_DEP_1)
	v_add_nc_u32_e32 v1, 32, v1
	v_add_min_u32_e64 v1, v6, -1, v1
	s_delay_alu instid0(VALU_DEP_1) | instskip(SKIP_1) | instid1(VALU_DEP_2)
	v_lshlrev_b64_e32 v[6:7], v1, v[4:5]
	v_sub_nc_u32_e32 v1, 32, v1
	v_min_u32_e32 v6, 1, v6
	s_delay_alu instid0(VALU_DEP_1) | instskip(NEXT) | instid1(VALU_DEP_1)
	v_or_b32_e32 v6, v7, v6
	v_cvt_f32_i32_e32 v6, v6
	s_delay_alu instid0(VALU_DEP_1) | instskip(NEXT) | instid1(VALU_DEP_1)
	v_ldexp_f32 v1, v6, v1
                                        ; implicit-def: $vgpr6
	v_and_b32_e32 v7, 0x7fffffff, v1
	s_delay_alu instid0(VALU_DEP_1)
	v_cmpx_gt_u32_e32 0x43f00000, v7
	s_xor_b32 s57, exec_lo, s57
	s_cbranch_execz .LBB127_1486
; %bb.1481:
	s_mov_b32 s58, exec_lo
                                        ; implicit-def: $vgpr6
	v_cmpx_lt_u32_e32 0x3c7fffff, v7
	s_xor_b32 s58, exec_lo, s58
; %bb.1482:
	v_bfe_u32 v6, v1, 20, 1
	s_delay_alu instid0(VALU_DEP_1) | instskip(NEXT) | instid1(VALU_DEP_1)
	v_add3_u32 v6, v1, v6, 0x407ffff
	v_and_b32_e32 v7, 0xff00000, v6
	v_lshrrev_b32_e32 v6, 20, v6
	s_delay_alu instid0(VALU_DEP_2) | instskip(NEXT) | instid1(VALU_DEP_2)
	v_cmp_ne_u32_e32 vcc_lo, 0x7f00000, v7
	v_cndmask_b32_e32 v6, 0x7e, v6, vcc_lo
; %bb.1483:
	s_and_not1_saveexec_b32 s58, s58
; %bb.1484:
	v_add_f32_e64 v6, 0x46800000, |v1|
; %bb.1485:
	s_or_b32 exec_lo, exec_lo, s58
                                        ; implicit-def: $vgpr7
.LBB127_1486:
	s_and_not1_saveexec_b32 s57, s57
; %bb.1487:
	v_mov_b32_e32 v6, 0x7f
	v_cmp_lt_u32_e32 vcc_lo, 0x7f800000, v7
	s_delay_alu instid0(VALU_DEP_2)
	v_cndmask_b32_e32 v6, 0x7e, v6, vcc_lo
; %bb.1488:
	s_or_b32 exec_lo, exec_lo, s57
	v_lshrrev_b32_e32 v1, 24, v1
	s_delay_alu instid0(VALU_DEP_1)
	v_and_or_b32 v1, 0x80, v1, v6
	global_store_b8 v[2:3], v1, off
.LBB127_1489:
	s_mov_b32 s57, 0
.LBB127_1490:
	s_delay_alu instid0(SALU_CYCLE_1)
	s_and_not1_b32 vcc_lo, exec_lo, s57
	s_cbranch_vccnz .LBB127_1500
; %bb.1491:
	s_wait_xcnt 0x0
	s_delay_alu instid0(VALU_DEP_1) | instskip(SKIP_2) | instid1(VALU_DEP_2)
	v_xor_b32_e32 v1, v4, v5
	v_cls_i32_e32 v6, v5
	s_mov_b32 s57, exec_lo
	v_ashrrev_i32_e32 v1, 31, v1
	s_delay_alu instid0(VALU_DEP_1) | instskip(NEXT) | instid1(VALU_DEP_1)
	v_add_nc_u32_e32 v1, 32, v1
	v_add_min_u32_e64 v1, v6, -1, v1
	s_delay_alu instid0(VALU_DEP_1) | instskip(SKIP_1) | instid1(VALU_DEP_2)
	v_lshlrev_b64_e32 v[6:7], v1, v[4:5]
	v_sub_nc_u32_e32 v1, 32, v1
	v_min_u32_e32 v6, 1, v6
	s_delay_alu instid0(VALU_DEP_1) | instskip(NEXT) | instid1(VALU_DEP_1)
	v_or_b32_e32 v6, v7, v6
	v_cvt_f32_i32_e32 v6, v6
	s_delay_alu instid0(VALU_DEP_1) | instskip(NEXT) | instid1(VALU_DEP_1)
	v_ldexp_f32 v1, v6, v1
                                        ; implicit-def: $vgpr6
	v_and_b32_e32 v7, 0x7fffffff, v1
	s_delay_alu instid0(VALU_DEP_1)
	v_cmpx_gt_u32_e32 0x47800000, v7
	s_xor_b32 s57, exec_lo, s57
	s_cbranch_execz .LBB127_1497
; %bb.1492:
	s_mov_b32 s58, exec_lo
                                        ; implicit-def: $vgpr6
	v_cmpx_lt_u32_e32 0x387fffff, v7
	s_xor_b32 s58, exec_lo, s58
; %bb.1493:
	v_bfe_u32 v6, v1, 21, 1
	s_delay_alu instid0(VALU_DEP_1) | instskip(NEXT) | instid1(VALU_DEP_1)
	v_add3_u32 v6, v1, v6, 0x80fffff
	v_lshrrev_b32_e32 v6, 21, v6
; %bb.1494:
	s_and_not1_saveexec_b32 s58, s58
; %bb.1495:
	v_add_f32_e64 v6, 0x43000000, |v1|
; %bb.1496:
	s_or_b32 exec_lo, exec_lo, s58
                                        ; implicit-def: $vgpr7
.LBB127_1497:
	s_and_not1_saveexec_b32 s57, s57
; %bb.1498:
	v_mov_b32_e32 v6, 0x7f
	v_cmp_lt_u32_e32 vcc_lo, 0x7f800000, v7
	s_delay_alu instid0(VALU_DEP_2)
	v_cndmask_b32_e32 v6, 0x7c, v6, vcc_lo
; %bb.1499:
	s_or_b32 exec_lo, exec_lo, s57
	v_lshrrev_b32_e32 v1, 24, v1
	s_delay_alu instid0(VALU_DEP_1)
	v_and_or_b32 v1, 0x80, v1, v6
	global_store_b8 v[2:3], v1, off
.LBB127_1500:
	s_mov_b32 s58, 0
	s_mov_b32 s57, -1
.LBB127_1501:
	s_and_not1_b32 vcc_lo, exec_lo, s58
	s_cbranch_vccnz .LBB127_1509
; %bb.1502:
	s_cmp_gt_i32 s56, 14
	s_mov_b32 s58, -1
	s_cbranch_scc0 .LBB127_1506
; %bb.1503:
	s_cmp_eq_u32 s56, 15
	s_mov_b32 s0, -1
	s_cbranch_scc0 .LBB127_1505
; %bb.1504:
	s_wait_xcnt 0x0
	s_delay_alu instid0(VALU_DEP_1) | instskip(SKIP_3) | instid1(VALU_DEP_2)
	v_xor_b32_e32 v1, v4, v5
	v_cls_i32_e32 v6, v5
	s_mov_b32 s57, -1
	s_mov_b32 s0, 0
	v_ashrrev_i32_e32 v1, 31, v1
	s_delay_alu instid0(VALU_DEP_1) | instskip(NEXT) | instid1(VALU_DEP_1)
	v_add_nc_u32_e32 v1, 32, v1
	v_add_min_u32_e64 v1, v6, -1, v1
	s_delay_alu instid0(VALU_DEP_1) | instskip(SKIP_1) | instid1(VALU_DEP_2)
	v_lshlrev_b64_e32 v[6:7], v1, v[4:5]
	v_sub_nc_u32_e32 v1, 32, v1
	v_min_u32_e32 v6, 1, v6
	s_delay_alu instid0(VALU_DEP_1) | instskip(NEXT) | instid1(VALU_DEP_1)
	v_or_b32_e32 v6, v7, v6
	v_cvt_f32_i32_e32 v6, v6
	s_delay_alu instid0(VALU_DEP_1) | instskip(NEXT) | instid1(VALU_DEP_1)
	v_ldexp_f32 v1, v6, v1
	v_bfe_u32 v6, v1, 16, 1
	s_delay_alu instid0(VALU_DEP_1)
	v_add3_u32 v1, v1, v6, 0x7fff
	global_store_d16_hi_b16 v[2:3], v1, off
.LBB127_1505:
	s_mov_b32 s58, 0
.LBB127_1506:
	s_delay_alu instid0(SALU_CYCLE_1)
	s_and_b32 vcc_lo, exec_lo, s58
	s_cbranch_vccz .LBB127_1509
; %bb.1507:
	s_cmp_eq_u32 s56, 11
	s_mov_b32 s0, -1
	s_cbranch_scc0 .LBB127_1509
; %bb.1508:
	s_delay_alu instid0(VALU_DEP_1)
	v_cmp_ne_u64_e32 vcc_lo, 0, v[4:5]
	s_mov_b32 s57, -1
	s_mov_b32 s0, 0
	s_wait_xcnt 0x0
	v_cndmask_b32_e64 v1, 0, 1, vcc_lo
	global_store_b8 v[2:3], v1, off
.LBB127_1509:
	s_mov_b32 s56, 0
.LBB127_1510:
	s_delay_alu instid0(SALU_CYCLE_1)
	s_and_b32 vcc_lo, exec_lo, s56
	s_cbranch_vccz .LBB127_1549
; %bb.1511:
	s_and_b32 s31, 0xffff, s31
	s_mov_b32 s56, -1
	s_cmp_lt_i32 s31, 5
	s_cbranch_scc1 .LBB127_1532
; %bb.1512:
	s_cmp_lt_i32 s31, 8
	s_cbranch_scc1 .LBB127_1522
; %bb.1513:
	;; [unrolled: 3-line block ×3, first 2 shown]
	s_cmp_gt_i32 s31, 9
	s_cbranch_scc0 .LBB127_1516
; %bb.1515:
	s_wait_xcnt 0x0
	s_delay_alu instid0(VALU_DEP_1) | instskip(NEXT) | instid1(VALU_DEP_2)
	v_cvt_f64_i32_e32 v[6:7], v5
	v_cvt_f64_u32_e32 v[8:9], v4
	s_mov_b32 s56, 0
	s_delay_alu instid0(VALU_DEP_2) | instskip(NEXT) | instid1(VALU_DEP_1)
	v_ldexp_f64 v[6:7], v[6:7], 32
	v_dual_add_f64 v[6:7], v[6:7], v[8:9] :: v_dual_mov_b32 v8, 0
	s_delay_alu instid0(VALU_DEP_1)
	v_mov_b32_e32 v9, v8
	global_store_b128 v[2:3], v[6:9], off
.LBB127_1516:
	s_and_not1_b32 vcc_lo, exec_lo, s56
	s_cbranch_vccnz .LBB127_1518
; %bb.1517:
	s_wait_xcnt 0x0
	s_delay_alu instid0(VALU_DEP_1) | instskip(SKIP_1) | instid1(VALU_DEP_2)
	v_xor_b32_e32 v1, v4, v5
	v_cls_i32_e32 v6, v5
	v_ashrrev_i32_e32 v1, 31, v1
	s_delay_alu instid0(VALU_DEP_1) | instskip(NEXT) | instid1(VALU_DEP_1)
	v_add_nc_u32_e32 v1, 32, v1
	v_add_min_u32_e64 v1, v6, -1, v1
	s_delay_alu instid0(VALU_DEP_1) | instskip(SKIP_1) | instid1(VALU_DEP_2)
	v_lshlrev_b64_e32 v[6:7], v1, v[4:5]
	v_sub_nc_u32_e32 v1, 32, v1
	v_min_u32_e32 v6, 1, v6
	s_delay_alu instid0(VALU_DEP_1) | instskip(NEXT) | instid1(VALU_DEP_1)
	v_dual_mov_b32 v7, 0 :: v_dual_bitop2_b32 v6, v7, v6 bitop3:0x54
	v_cvt_f32_i32_e32 v6, v6
	s_delay_alu instid0(VALU_DEP_1)
	v_ldexp_f32 v6, v6, v1
	global_store_b64 v[2:3], v[6:7], off
.LBB127_1518:
	s_mov_b32 s56, 0
.LBB127_1519:
	s_delay_alu instid0(SALU_CYCLE_1)
	s_and_not1_b32 vcc_lo, exec_lo, s56
	s_cbranch_vccnz .LBB127_1521
; %bb.1520:
	s_wait_xcnt 0x0
	s_delay_alu instid0(VALU_DEP_1) | instskip(SKIP_1) | instid1(VALU_DEP_2)
	v_xor_b32_e32 v1, v4, v5
	v_cls_i32_e32 v6, v5
	v_ashrrev_i32_e32 v1, 31, v1
	s_delay_alu instid0(VALU_DEP_1) | instskip(NEXT) | instid1(VALU_DEP_1)
	v_add_nc_u32_e32 v1, 32, v1
	v_add_min_u32_e64 v1, v6, -1, v1
	s_delay_alu instid0(VALU_DEP_1) | instskip(SKIP_1) | instid1(VALU_DEP_2)
	v_lshlrev_b64_e32 v[6:7], v1, v[4:5]
	v_sub_nc_u32_e32 v1, 32, v1
	v_min_u32_e32 v6, 1, v6
	s_delay_alu instid0(VALU_DEP_1) | instskip(NEXT) | instid1(VALU_DEP_1)
	v_or_b32_e32 v6, v7, v6
	v_cvt_f32_i32_e32 v6, v6
	s_delay_alu instid0(VALU_DEP_1) | instskip(NEXT) | instid1(VALU_DEP_1)
	v_ldexp_f32 v1, v6, v1
	v_cvt_f16_f32_e32 v1, v1
	s_delay_alu instid0(VALU_DEP_1)
	v_and_b32_e32 v1, 0xffff, v1
	global_store_b32 v[2:3], v1, off
.LBB127_1521:
	s_mov_b32 s56, 0
.LBB127_1522:
	s_delay_alu instid0(SALU_CYCLE_1)
	s_and_not1_b32 vcc_lo, exec_lo, s56
	s_cbranch_vccnz .LBB127_1531
; %bb.1523:
	s_cmp_lt_i32 s31, 6
	s_mov_b32 s56, -1
	s_cbranch_scc1 .LBB127_1529
; %bb.1524:
	s_cmp_gt_i32 s31, 6
	s_cbranch_scc0 .LBB127_1526
; %bb.1525:
	s_wait_xcnt 0x0
	s_delay_alu instid0(VALU_DEP_1) | instskip(NEXT) | instid1(VALU_DEP_2)
	v_cvt_f64_i32_e32 v[6:7], v5
	v_cvt_f64_u32_e32 v[8:9], v4
	s_mov_b32 s56, 0
	s_delay_alu instid0(VALU_DEP_2) | instskip(NEXT) | instid1(VALU_DEP_1)
	v_ldexp_f64 v[6:7], v[6:7], 32
	v_add_f64_e32 v[6:7], v[6:7], v[8:9]
	global_store_b64 v[2:3], v[6:7], off
.LBB127_1526:
	s_and_not1_b32 vcc_lo, exec_lo, s56
	s_cbranch_vccnz .LBB127_1528
; %bb.1527:
	s_wait_xcnt 0x0
	s_delay_alu instid0(VALU_DEP_1) | instskip(SKIP_1) | instid1(VALU_DEP_2)
	v_xor_b32_e32 v1, v4, v5
	v_cls_i32_e32 v6, v5
	v_ashrrev_i32_e32 v1, 31, v1
	s_delay_alu instid0(VALU_DEP_1) | instskip(NEXT) | instid1(VALU_DEP_1)
	v_add_nc_u32_e32 v1, 32, v1
	v_add_min_u32_e64 v1, v6, -1, v1
	s_delay_alu instid0(VALU_DEP_1) | instskip(SKIP_1) | instid1(VALU_DEP_2)
	v_lshlrev_b64_e32 v[6:7], v1, v[4:5]
	v_sub_nc_u32_e32 v1, 32, v1
	v_min_u32_e32 v6, 1, v6
	s_delay_alu instid0(VALU_DEP_1) | instskip(NEXT) | instid1(VALU_DEP_1)
	v_or_b32_e32 v6, v7, v6
	v_cvt_f32_i32_e32 v6, v6
	s_delay_alu instid0(VALU_DEP_1)
	v_ldexp_f32 v1, v6, v1
	global_store_b32 v[2:3], v1, off
.LBB127_1528:
	s_mov_b32 s56, 0
.LBB127_1529:
	s_delay_alu instid0(SALU_CYCLE_1)
	s_and_not1_b32 vcc_lo, exec_lo, s56
	s_cbranch_vccnz .LBB127_1531
; %bb.1530:
	s_wait_xcnt 0x0
	s_delay_alu instid0(VALU_DEP_1) | instskip(SKIP_1) | instid1(VALU_DEP_2)
	v_xor_b32_e32 v1, v4, v5
	v_cls_i32_e32 v6, v5
	v_ashrrev_i32_e32 v1, 31, v1
	s_delay_alu instid0(VALU_DEP_1) | instskip(NEXT) | instid1(VALU_DEP_1)
	v_add_nc_u32_e32 v1, 32, v1
	v_add_min_u32_e64 v1, v6, -1, v1
	s_delay_alu instid0(VALU_DEP_1) | instskip(SKIP_1) | instid1(VALU_DEP_2)
	v_lshlrev_b64_e32 v[6:7], v1, v[4:5]
	v_sub_nc_u32_e32 v1, 32, v1
	v_min_u32_e32 v6, 1, v6
	s_delay_alu instid0(VALU_DEP_1) | instskip(NEXT) | instid1(VALU_DEP_1)
	v_or_b32_e32 v6, v7, v6
	v_cvt_f32_i32_e32 v6, v6
	s_delay_alu instid0(VALU_DEP_1) | instskip(NEXT) | instid1(VALU_DEP_1)
	v_ldexp_f32 v1, v6, v1
	v_cvt_f16_f32_e32 v1, v1
	global_store_b16 v[2:3], v1, off
.LBB127_1531:
	s_mov_b32 s56, 0
.LBB127_1532:
	s_delay_alu instid0(SALU_CYCLE_1)
	s_and_not1_b32 vcc_lo, exec_lo, s56
	s_cbranch_vccnz .LBB127_1548
; %bb.1533:
	s_cmp_lt_i32 s31, 2
	s_mov_b32 s56, -1
	s_cbranch_scc1 .LBB127_1543
; %bb.1534:
	s_cmp_lt_i32 s31, 3
	s_cbranch_scc1 .LBB127_1540
; %bb.1535:
	s_cmp_gt_i32 s31, 3
	s_cbranch_scc0 .LBB127_1537
; %bb.1536:
	s_mov_b32 s56, 0
	global_store_b64 v[2:3], v[4:5], off
.LBB127_1537:
	s_and_not1_b32 vcc_lo, exec_lo, s56
	s_cbranch_vccnz .LBB127_1539
; %bb.1538:
	global_store_b32 v[2:3], v4, off
.LBB127_1539:
	s_mov_b32 s56, 0
.LBB127_1540:
	s_delay_alu instid0(SALU_CYCLE_1)
	s_and_not1_b32 vcc_lo, exec_lo, s56
	s_cbranch_vccnz .LBB127_1542
; %bb.1541:
	global_store_b16 v[2:3], v4, off
.LBB127_1542:
	s_mov_b32 s56, 0
.LBB127_1543:
	s_delay_alu instid0(SALU_CYCLE_1)
	s_and_not1_b32 vcc_lo, exec_lo, s56
	s_cbranch_vccnz .LBB127_1548
; %bb.1544:
	s_cmp_gt_i32 s31, 0
	s_mov_b32 s31, -1
	s_cbranch_scc0 .LBB127_1546
; %bb.1545:
	s_mov_b32 s31, 0
	global_store_b8 v[2:3], v4, off
.LBB127_1546:
	s_and_not1_b32 vcc_lo, exec_lo, s31
	s_cbranch_vccnz .LBB127_1548
; %bb.1547:
	global_store_b8 v[2:3], v4, off
.LBB127_1548:
	s_mov_b32 s57, -1
.LBB127_1549:
	s_delay_alu instid0(SALU_CYCLE_1)
	s_and_not1_b32 vcc_lo, exec_lo, s57
	s_cbranch_vccnz .LBB127_1551
; %bb.1550:
	v_add_nc_u32_e32 v0, 0x80, v0
	s_mov_b32 s31, -1
	s_branch .LBB127_1553
.LBB127_1551:
	s_mov_b32 s31, 0
.LBB127_1552:
                                        ; implicit-def: $vgpr0
.LBB127_1553:
	s_and_not1_b32 s56, s51, exec_lo
	s_and_b32 s0, s0, exec_lo
	s_and_not1_b32 s57, s52, exec_lo
	s_and_b32 s30, s30, exec_lo
	s_or_b32 s59, s56, s0
	s_or_b32 s57, s57, s30
	s_and_not1_b32 s0, s53, exec_lo
	s_and_b32 s29, s29, exec_lo
	s_and_not1_b32 s30, s50, exec_lo
	s_and_b32 s28, s28, exec_lo
	s_or_b32 s58, s0, s29
	s_or_b32 s56, s30, s28
	s_or_not1_b32 s31, s31, exec_lo
.LBB127_1554:
	s_wait_xcnt 0x0
	s_or_b32 exec_lo, exec_lo, s55
	s_mov_b32 s29, 0
	s_mov_b32 s30, 0
	;; [unrolled: 1-line block ×3, first 2 shown]
                                        ; implicit-def: $sgpr0
                                        ; implicit-def: $vgpr10_vgpr11
                                        ; implicit-def: $vgpr2
                                        ; implicit-def: $vgpr6
                                        ; implicit-def: $vgpr8
                                        ; implicit-def: $vgpr4_vgpr5
	s_and_saveexec_b32 s55, s31
	s_cbranch_execz .LBB127_1643
; %bb.1555:
	v_cmp_gt_i32_e32 vcc_lo, s43, v0
	s_mov_b32 s31, s56
                                        ; implicit-def: $sgpr0
                                        ; implicit-def: $vgpr10_vgpr11
                                        ; implicit-def: $vgpr2
                                        ; implicit-def: $vgpr6
                                        ; implicit-def: $vgpr8
                                        ; implicit-def: $vgpr4_vgpr5
	s_and_saveexec_b32 s43, vcc_lo
	s_cbranch_execz .LBB127_1642
; %bb.1556:
	s_and_not1_b32 vcc_lo, exec_lo, s36
	s_cbranch_vccnz .LBB127_1562
; %bb.1557:
	s_and_not1_b32 vcc_lo, exec_lo, s45
	s_cbranch_vccnz .LBB127_1563
; %bb.1558:
	s_wait_loadcnt 0x0
	v_dual_mov_b32 v8, 0 :: v_dual_mov_b32 v1, v0
	v_dual_mov_b32 v6, 0 :: v_dual_mov_b32 v2, 0
	v_mov_b32_e32 v4, 0
	s_add_co_i32 s0, s42, 1
	s_mov_b64 s[28:29], 0xffffffffffffffe0
	s_and_b32 s0, s0, 30
	s_add_nc_u64 s[28:29], s[2:3], s[28:29]
	s_mov_b64 s[30:31], s[2:3]
.LBB127_1559:                           ; =>This Inner Loop Header: Depth=1
	s_clause 0x1
	s_load_b128 s[68:71], s[30:31], 0x4
	s_load_b64 s[72:73], s[30:31], 0x14
	s_load_b256 s[60:67], s[28:29], 0xe4
	s_add_co_i32 s0, s0, -2
	s_wait_xcnt 0x0
	s_add_nc_u64 s[30:31], s[30:31], 24
	s_cmp_eq_u32 s0, 0
	s_add_nc_u64 s[28:29], s[28:29], 32
	s_wait_kmcnt 0x0
	v_mul_hi_u32 v3, s69, v1
	s_delay_alu instid0(VALU_DEP_1) | instskip(NEXT) | instid1(VALU_DEP_1)
	v_add_nc_u32_e32 v3, v1, v3
	v_lshrrev_b32_e32 v3, s70, v3
	s_delay_alu instid0(VALU_DEP_1) | instskip(SKIP_1) | instid1(VALU_DEP_1)
	v_mul_hi_u32 v5, s72, v3
	v_mul_lo_u32 v7, v3, s68
	v_dual_add_nc_u32 v5, v3, v5 :: v_dual_sub_nc_u32 v7, v1, v7
	s_delay_alu instid0(VALU_DEP_1) | instskip(NEXT) | instid1(VALU_DEP_2)
	v_lshrrev_b32_e32 v1, s73, v5
	v_mad_u32 v4, v7, s61, v4
	v_mad_u32 v2, v7, s60, v2
	;; [unrolled: 1-line block ×4, first 2 shown]
	v_mul_lo_u32 v5, v1, s71
	s_delay_alu instid0(VALU_DEP_1) | instskip(NEXT) | instid1(VALU_DEP_1)
	v_sub_nc_u32_e32 v3, v3, v5
	v_mad_u32 v4, v3, s65, v4
	v_mad_u32 v2, v3, s64, v2
	;; [unrolled: 1-line block ×4, first 2 shown]
	s_cbranch_scc0 .LBB127_1559
; %bb.1560:
	s_bitcmp1_b32 s42, 0
	s_cselect_b32 s0, -1, 0
	s_delay_alu instid0(SALU_CYCLE_1)
	s_and_b32 vcc_lo, exec_lo, s0
	s_cbranch_vccnz .LBB127_1564
; %bb.1561:
	s_load_b96 s[64:66], s[30:31], 0x4
	s_load_b128 s[60:63], s[28:29], 0xe4
	s_wait_kmcnt 0x0
	v_mul_hi_u32 v3, s65, v1
	s_delay_alu instid0(VALU_DEP_1) | instskip(NEXT) | instid1(VALU_DEP_1)
	v_add_nc_u32_e32 v3, v1, v3
	v_lshrrev_b32_e32 v3, s66, v3
	s_delay_alu instid0(VALU_DEP_1) | instskip(NEXT) | instid1(VALU_DEP_1)
	v_mul_lo_u32 v3, v3, s64
	v_sub_nc_u32_e32 v1, v1, v3
	s_delay_alu instid0(VALU_DEP_1)
	v_mad_u32 v2, v1, s60, v2
	v_mad_u32 v4, v1, s61, v4
	;; [unrolled: 1-line block ×4, first 2 shown]
	s_branch .LBB127_1564
.LBB127_1562:
	s_mov_b32 s0, -1
                                        ; implicit-def: $vgpr4
                                        ; implicit-def: $vgpr2
                                        ; implicit-def: $vgpr6
                                        ; implicit-def: $vgpr8
	s_branch .LBB127_1565
.LBB127_1563:
	s_wait_loadcnt 0x0
	v_dual_mov_b32 v4, 0 :: v_dual_mov_b32 v2, 0
	v_dual_mov_b32 v6, 0 :: v_dual_mov_b32 v8, 0
.LBB127_1564:
	s_mov_b32 s0, 0
.LBB127_1565:
	s_delay_alu instid0(SALU_CYCLE_1)
	s_and_not1_b32 vcc_lo, exec_lo, s0
	s_cbranch_vccnz .LBB127_1568
; %bb.1566:
	v_mov_b32_e32 v1, 0
	s_and_not1_b32 vcc_lo, exec_lo, s41
	s_delay_alu instid0(VALU_DEP_1) | instskip(NEXT) | instid1(VALU_DEP_1)
	v_mul_u64_e32 v[2:3], s[24:25], v[0:1]
	v_add_nc_u32_e32 v2, v0, v3
	s_wait_loadcnt 0x0
	s_delay_alu instid0(VALU_DEP_1) | instskip(NEXT) | instid1(VALU_DEP_1)
	v_lshrrev_b32_e32 v10, s22, v2
	v_mul_lo_u32 v2, v10, s20
	s_delay_alu instid0(VALU_DEP_1) | instskip(NEXT) | instid1(VALU_DEP_1)
	v_sub_nc_u32_e32 v0, v0, v2
	v_mul_lo_u32 v4, v0, s13
	v_mul_lo_u32 v2, v0, s12
	;; [unrolled: 1-line block ×4, first 2 shown]
	s_cbranch_vccnz .LBB127_1568
; %bb.1567:
	v_mov_b32_e32 v11, v1
	s_delay_alu instid0(VALU_DEP_1) | instskip(NEXT) | instid1(VALU_DEP_1)
	v_mul_u64_e32 v[0:1], s[26:27], v[10:11]
	v_add_nc_u32_e32 v0, v10, v1
	s_delay_alu instid0(VALU_DEP_1) | instskip(NEXT) | instid1(VALU_DEP_1)
	v_lshrrev_b32_e32 v0, s1, v0
	v_mul_lo_u32 v0, v0, s23
	s_delay_alu instid0(VALU_DEP_1) | instskip(NEXT) | instid1(VALU_DEP_1)
	v_sub_nc_u32_e32 v0, v10, v0
	v_mad_u32 v2, v0, s16, v2
	v_mad_u32 v4, v0, s17, v4
	;; [unrolled: 1-line block ×4, first 2 shown]
.LBB127_1568:
	s_wait_loadcnt 0x0
	v_mov_b32_e32 v5, 0
	s_and_b32 s0, s40, 0xff
	s_delay_alu instid0(SALU_CYCLE_1) | instskip(NEXT) | instid1(VALU_DEP_1)
	s_cmp_lt_i32 s0, 11
	v_add_nc_u64_e32 v[10:11], s[6:7], v[4:5]
	s_cbranch_scc1 .LBB127_1575
; %bb.1569:
	s_and_b32 s1, 0xffff, s0
	s_mov_b32 s7, 0
	s_cmp_gt_i32 s1, 25
	s_cbranch_scc0 .LBB127_1576
; %bb.1570:
	s_cmp_gt_i32 s1, 28
	s_cbranch_scc0 .LBB127_1577
; %bb.1571:
	;; [unrolled: 3-line block ×4, first 2 shown]
	s_cmp_eq_u32 s1, 46
	s_mov_b32 s13, 0
	s_cbranch_scc0 .LBB127_1580
; %bb.1574:
	global_load_b32 v0, v[10:11], off
	s_mov_b32 s6, 0
	s_mov_b32 s12, -1
	s_wait_loadcnt 0x0
	v_lshlrev_b32_e32 v0, 16, v0
	s_delay_alu instid0(VALU_DEP_1) | instskip(NEXT) | instid1(VALU_DEP_1)
	v_trunc_f32_e32 v0, v0
	v_mul_f32_e64 v1, 0x2f800000, |v0|
	s_delay_alu instid0(VALU_DEP_1) | instskip(NEXT) | instid1(VALU_DEP_1)
	v_floor_f32_e32 v1, v1
	v_fma_f32 v3, 0xcf800000, v1, |v0|
	v_ashrrev_i32_e32 v0, 31, v0
	v_cvt_u32_f32_e32 v4, v1
	s_delay_alu instid0(VALU_DEP_3) | instskip(NEXT) | instid1(VALU_DEP_3)
	v_cvt_u32_f32_e32 v3, v3
	v_mov_b32_e32 v1, v0
	s_delay_alu instid0(VALU_DEP_3) | instskip(NEXT) | instid1(VALU_DEP_3)
	v_xor_b32_e32 v5, v4, v0
	v_xor_b32_e32 v4, v3, v0
	s_delay_alu instid0(VALU_DEP_1)
	v_sub_nc_u64_e32 v[4:5], v[4:5], v[0:1]
	s_branch .LBB127_1582
.LBB127_1575:
	s_mov_b32 s1, -1
	s_mov_b32 s12, 0
	s_mov_b32 s7, 0
	;; [unrolled: 1-line block ×3, first 2 shown]
                                        ; implicit-def: $vgpr4_vgpr5
	s_branch .LBB127_1641
.LBB127_1576:
	s_mov_b32 s13, -1
	s_mov_b32 s12, 0
	s_mov_b32 s6, s56
                                        ; implicit-def: $vgpr4_vgpr5
	s_branch .LBB127_1609
.LBB127_1577:
	s_mov_b32 s13, -1
	s_mov_b32 s12, 0
	s_mov_b32 s6, s56
                                        ; implicit-def: $vgpr4_vgpr5
	s_branch .LBB127_1592
.LBB127_1578:
	s_mov_b32 s13, -1
	s_mov_b32 s12, 0
	s_mov_b32 s6, s56
                                        ; implicit-def: $vgpr4_vgpr5
	s_branch .LBB127_1587
.LBB127_1579:
	s_mov_b32 s13, -1
	s_mov_b32 s12, 0
	s_mov_b32 s6, s56
	s_branch .LBB127_1581
.LBB127_1580:
	s_mov_b32 s6, -1
	s_mov_b32 s12, 0
.LBB127_1581:
                                        ; implicit-def: $vgpr4_vgpr5
.LBB127_1582:
	s_and_b32 vcc_lo, exec_lo, s13
	s_cbranch_vccz .LBB127_1586
; %bb.1583:
	s_cmp_eq_u32 s1, 44
	s_cbranch_scc0 .LBB127_1585
; %bb.1584:
	global_load_u8 v3, v[10:11], off
	s_mov_b32 s6, 0
	s_mov_b32 s12, -1
	s_wait_loadcnt 0x0
	v_cmp_ne_u32_e32 vcc_lo, 0, v3
	v_lshlrev_b32_e32 v0, 23, v3
	s_delay_alu instid0(VALU_DEP_1) | instskip(NEXT) | instid1(VALU_DEP_1)
	v_trunc_f32_e32 v0, v0
	v_mul_f32_e64 v1, 0x2f800000, |v0|
	s_delay_alu instid0(VALU_DEP_1) | instskip(NEXT) | instid1(VALU_DEP_1)
	v_floor_f32_e32 v1, v1
	v_fma_f32 v4, 0xcf800000, v1, |v0|
	v_ashrrev_i32_e32 v0, 31, v0
	v_cvt_u32_f32_e32 v5, v1
	s_delay_alu instid0(VALU_DEP_3) | instskip(NEXT) | instid1(VALU_DEP_2)
	v_cvt_u32_f32_e32 v4, v4
	v_dual_mov_b32 v1, v0 :: v_dual_bitop2_b32 v5, v5, v0 bitop3:0x14
	s_delay_alu instid0(VALU_DEP_2) | instskip(NEXT) | instid1(VALU_DEP_1)
	v_xor_b32_e32 v4, v4, v0
	v_sub_nc_u64_e32 v[0:1], v[4:5], v[0:1]
	s_delay_alu instid0(VALU_DEP_1)
	v_dual_cndmask_b32 v5, 0, v1 :: v_dual_cndmask_b32 v4, 0, v0
	s_branch .LBB127_1586
.LBB127_1585:
	s_mov_b32 s6, -1
                                        ; implicit-def: $vgpr4_vgpr5
.LBB127_1586:
	s_mov_b32 s13, 0
.LBB127_1587:
	s_delay_alu instid0(SALU_CYCLE_1)
	s_and_b32 vcc_lo, exec_lo, s13
	s_cbranch_vccz .LBB127_1591
; %bb.1588:
	s_cmp_eq_u32 s1, 29
	s_cbranch_scc0 .LBB127_1590
; %bb.1589:
	global_load_b64 v[4:5], v[10:11], off
	s_mov_b32 s6, 0
	s_mov_b32 s12, -1
	s_branch .LBB127_1591
.LBB127_1590:
	s_mov_b32 s6, -1
                                        ; implicit-def: $vgpr4_vgpr5
.LBB127_1591:
	s_mov_b32 s13, 0
.LBB127_1592:
	s_delay_alu instid0(SALU_CYCLE_1)
	s_and_b32 vcc_lo, exec_lo, s13
	s_cbranch_vccz .LBB127_1608
; %bb.1593:
	s_cmp_lt_i32 s1, 27
	s_cbranch_scc1 .LBB127_1596
; %bb.1594:
	s_cmp_gt_i32 s1, 27
	s_cbranch_scc0 .LBB127_1597
; %bb.1595:
	s_wait_loadcnt 0x0
	global_load_b32 v4, v[10:11], off
	v_mov_b32_e32 v5, 0
	s_mov_b32 s12, 0
	s_branch .LBB127_1598
.LBB127_1596:
	s_mov_b32 s12, -1
                                        ; implicit-def: $vgpr4_vgpr5
	s_branch .LBB127_1601
.LBB127_1597:
	s_mov_b32 s12, -1
                                        ; implicit-def: $vgpr4_vgpr5
.LBB127_1598:
	s_delay_alu instid0(SALU_CYCLE_1)
	s_and_not1_b32 vcc_lo, exec_lo, s12
	s_cbranch_vccnz .LBB127_1600
; %bb.1599:
	global_load_u16 v0, v[10:11], off
	s_mov_b32 s12, 0
	s_wait_loadcnt 0x1
	v_mov_b32_e32 v5, s12
	s_wait_loadcnt 0x0
	v_and_b32_e32 v4, 0xffff, v0
.LBB127_1600:
	s_mov_b32 s12, 0
.LBB127_1601:
	s_delay_alu instid0(SALU_CYCLE_1)
	s_and_not1_b32 vcc_lo, exec_lo, s12
	s_cbranch_vccnz .LBB127_1607
; %bb.1602:
	global_load_u8 v0, v[10:11], off
	s_mov_b32 s13, 0
	s_mov_b32 s12, exec_lo
	s_wait_loadcnt 0x0
	v_cmpx_lt_i16_e32 0x7f, v0
	s_xor_b32 s12, exec_lo, s12
	s_cbranch_execz .LBB127_1619
; %bb.1603:
	v_cmp_ne_u16_e32 vcc_lo, 0x80, v0
	s_and_b32 s13, vcc_lo, exec_lo
	s_and_not1_saveexec_b32 s12, s12
	s_cbranch_execnz .LBB127_1620
.LBB127_1604:
	s_or_b32 exec_lo, exec_lo, s12
	v_mov_b64_e32 v[4:5], 0
	s_and_saveexec_b32 s12, s13
	s_cbranch_execz .LBB127_1606
.LBB127_1605:
	v_and_b32_e32 v1, 0xffff, v0
	s_delay_alu instid0(VALU_DEP_1) | instskip(SKIP_1) | instid1(VALU_DEP_2)
	v_and_b32_e32 v3, 7, v1
	v_bfe_u32 v7, v1, 3, 4
	v_clz_i32_u32_e32 v4, v3
	s_delay_alu instid0(VALU_DEP_2) | instskip(NEXT) | instid1(VALU_DEP_2)
	v_cmp_eq_u32_e32 vcc_lo, 0, v7
	v_min_u32_e32 v4, 32, v4
	s_delay_alu instid0(VALU_DEP_1) | instskip(NEXT) | instid1(VALU_DEP_1)
	v_subrev_nc_u32_e32 v5, 28, v4
	v_dual_lshlrev_b32 v1, v5, v1 :: v_dual_sub_nc_u32 v4, 29, v4
	s_delay_alu instid0(VALU_DEP_1) | instskip(NEXT) | instid1(VALU_DEP_1)
	v_dual_lshlrev_b32 v0, 24, v0 :: v_dual_bitop2_b32 v1, 7, v1 bitop3:0x40
	v_cndmask_b32_e32 v1, v3, v1, vcc_lo
	s_delay_alu instid0(VALU_DEP_3) | instskip(NEXT) | instid1(VALU_DEP_3)
	v_cndmask_b32_e32 v4, v7, v4, vcc_lo
	v_and_b32_e32 v0, 0x80000000, v0
	s_delay_alu instid0(VALU_DEP_3) | instskip(NEXT) | instid1(VALU_DEP_3)
	v_lshlrev_b32_e32 v1, 20, v1
	v_lshl_add_u32 v3, v4, 23, 0x3b800000
	s_delay_alu instid0(VALU_DEP_1) | instskip(NEXT) | instid1(VALU_DEP_1)
	v_or3_b32 v0, v0, v3, v1
	v_trunc_f32_e32 v0, v0
	s_delay_alu instid0(VALU_DEP_1) | instskip(NEXT) | instid1(VALU_DEP_1)
	v_mul_f32_e64 v1, 0x2f800000, |v0|
	v_floor_f32_e32 v1, v1
	s_delay_alu instid0(VALU_DEP_1) | instskip(SKIP_2) | instid1(VALU_DEP_3)
	v_fma_f32 v3, 0xcf800000, v1, |v0|
	v_ashrrev_i32_e32 v0, 31, v0
	v_cvt_u32_f32_e32 v4, v1
	v_cvt_u32_f32_e32 v3, v3
	s_delay_alu instid0(VALU_DEP_3) | instskip(NEXT) | instid1(VALU_DEP_3)
	v_mov_b32_e32 v1, v0
	v_xor_b32_e32 v5, v4, v0
	s_delay_alu instid0(VALU_DEP_3) | instskip(NEXT) | instid1(VALU_DEP_1)
	v_xor_b32_e32 v4, v3, v0
	v_sub_nc_u64_e32 v[4:5], v[4:5], v[0:1]
.LBB127_1606:
	s_or_b32 exec_lo, exec_lo, s12
.LBB127_1607:
	s_mov_b32 s12, -1
.LBB127_1608:
	s_mov_b32 s13, 0
.LBB127_1609:
	s_delay_alu instid0(SALU_CYCLE_1)
	s_and_b32 vcc_lo, exec_lo, s13
	s_cbranch_vccz .LBB127_1640
; %bb.1610:
	s_cmp_gt_i32 s1, 22
	s_cbranch_scc0 .LBB127_1618
; %bb.1611:
	s_cmp_lt_i32 s1, 24
	s_cbranch_scc1 .LBB127_1621
; %bb.1612:
	s_cmp_gt_i32 s1, 24
	s_cbranch_scc0 .LBB127_1622
; %bb.1613:
	global_load_u8 v0, v[10:11], off
	s_mov_b32 s12, 0
	s_mov_b32 s7, exec_lo
	s_wait_loadcnt 0x0
	v_cmpx_lt_i16_e32 0x7f, v0
	s_xor_b32 s7, exec_lo, s7
	s_cbranch_execz .LBB127_1634
; %bb.1614:
	v_cmp_ne_u16_e32 vcc_lo, 0x80, v0
	s_and_b32 s12, vcc_lo, exec_lo
	s_and_not1_saveexec_b32 s7, s7
	s_cbranch_execnz .LBB127_1635
.LBB127_1615:
	s_or_b32 exec_lo, exec_lo, s7
	v_mov_b64_e32 v[4:5], 0
	s_and_saveexec_b32 s7, s12
	s_cbranch_execz .LBB127_1617
.LBB127_1616:
	v_and_b32_e32 v1, 0xffff, v0
	s_delay_alu instid0(VALU_DEP_1) | instskip(SKIP_1) | instid1(VALU_DEP_2)
	v_and_b32_e32 v3, 3, v1
	v_bfe_u32 v7, v1, 2, 5
	v_clz_i32_u32_e32 v4, v3
	s_delay_alu instid0(VALU_DEP_2) | instskip(NEXT) | instid1(VALU_DEP_2)
	v_cmp_eq_u32_e32 vcc_lo, 0, v7
	v_min_u32_e32 v4, 32, v4
	s_delay_alu instid0(VALU_DEP_1) | instskip(NEXT) | instid1(VALU_DEP_1)
	v_subrev_nc_u32_e32 v5, 29, v4
	v_dual_lshlrev_b32 v1, v5, v1 :: v_dual_sub_nc_u32 v4, 30, v4
	s_delay_alu instid0(VALU_DEP_1) | instskip(NEXT) | instid1(VALU_DEP_1)
	v_dual_lshlrev_b32 v0, 24, v0 :: v_dual_bitop2_b32 v1, 3, v1 bitop3:0x40
	v_cndmask_b32_e32 v1, v3, v1, vcc_lo
	s_delay_alu instid0(VALU_DEP_3) | instskip(NEXT) | instid1(VALU_DEP_3)
	v_cndmask_b32_e32 v4, v7, v4, vcc_lo
	v_and_b32_e32 v0, 0x80000000, v0
	s_delay_alu instid0(VALU_DEP_3) | instskip(NEXT) | instid1(VALU_DEP_3)
	v_lshlrev_b32_e32 v1, 21, v1
	v_lshl_add_u32 v3, v4, 23, 0x37800000
	s_delay_alu instid0(VALU_DEP_1) | instskip(NEXT) | instid1(VALU_DEP_1)
	v_or3_b32 v0, v0, v3, v1
	v_trunc_f32_e32 v0, v0
	s_delay_alu instid0(VALU_DEP_1) | instskip(NEXT) | instid1(VALU_DEP_1)
	v_mul_f32_e64 v1, 0x2f800000, |v0|
	v_floor_f32_e32 v1, v1
	s_delay_alu instid0(VALU_DEP_1) | instskip(SKIP_2) | instid1(VALU_DEP_3)
	v_fma_f32 v3, 0xcf800000, v1, |v0|
	v_ashrrev_i32_e32 v0, 31, v0
	v_cvt_u32_f32_e32 v4, v1
	v_cvt_u32_f32_e32 v3, v3
	s_delay_alu instid0(VALU_DEP_3) | instskip(NEXT) | instid1(VALU_DEP_3)
	v_mov_b32_e32 v1, v0
	v_xor_b32_e32 v5, v4, v0
	s_delay_alu instid0(VALU_DEP_3) | instskip(NEXT) | instid1(VALU_DEP_1)
	v_xor_b32_e32 v4, v3, v0
	v_sub_nc_u64_e32 v[4:5], v[4:5], v[0:1]
.LBB127_1617:
	s_or_b32 exec_lo, exec_lo, s7
	s_mov_b32 s7, 0
	s_branch .LBB127_1623
.LBB127_1618:
	s_mov_b32 s7, -1
                                        ; implicit-def: $vgpr4_vgpr5
	s_branch .LBB127_1629
.LBB127_1619:
	s_and_not1_saveexec_b32 s12, s12
	s_cbranch_execz .LBB127_1604
.LBB127_1620:
	v_cmp_ne_u16_e32 vcc_lo, 0, v0
	s_and_not1_b32 s13, s13, exec_lo
	s_and_b32 s14, vcc_lo, exec_lo
	s_delay_alu instid0(SALU_CYCLE_1)
	s_or_b32 s13, s13, s14
	s_or_b32 exec_lo, exec_lo, s12
	v_mov_b64_e32 v[4:5], 0
	s_and_saveexec_b32 s12, s13
	s_cbranch_execnz .LBB127_1605
	s_branch .LBB127_1606
.LBB127_1621:
	s_mov_b32 s7, -1
                                        ; implicit-def: $vgpr4_vgpr5
	s_branch .LBB127_1626
.LBB127_1622:
	s_mov_b32 s7, -1
                                        ; implicit-def: $vgpr4_vgpr5
.LBB127_1623:
	s_delay_alu instid0(SALU_CYCLE_1)
	s_and_b32 vcc_lo, exec_lo, s7
	s_cbranch_vccz .LBB127_1625
; %bb.1624:
	global_load_u8 v0, v[10:11], off
	s_wait_loadcnt 0x0
	v_lshlrev_b32_e32 v0, 24, v0
	s_delay_alu instid0(VALU_DEP_1) | instskip(NEXT) | instid1(VALU_DEP_1)
	v_and_b32_e32 v1, 0x7f000000, v0
	v_clz_i32_u32_e32 v3, v1
	v_add_nc_u32_e32 v5, 0x1000000, v1
	v_cmp_ne_u32_e32 vcc_lo, 0, v1
	s_delay_alu instid0(VALU_DEP_3) | instskip(NEXT) | instid1(VALU_DEP_1)
	v_min_u32_e32 v3, 32, v3
	v_sub_nc_u32_e64 v3, v3, 4 clamp
	s_delay_alu instid0(VALU_DEP_1) | instskip(NEXT) | instid1(VALU_DEP_1)
	v_dual_lshlrev_b32 v4, v3, v1 :: v_dual_lshlrev_b32 v3, 23, v3
	v_lshrrev_b32_e32 v4, 4, v4
	s_delay_alu instid0(VALU_DEP_1) | instskip(NEXT) | instid1(VALU_DEP_1)
	v_dual_sub_nc_u32 v3, v4, v3 :: v_dual_ashrrev_i32 v4, 8, v5
	v_add_nc_u32_e32 v3, 0x3c000000, v3
	s_delay_alu instid0(VALU_DEP_1) | instskip(NEXT) | instid1(VALU_DEP_1)
	v_and_or_b32 v3, 0x7f800000, v4, v3
	v_cndmask_b32_e32 v1, 0, v3, vcc_lo
	s_delay_alu instid0(VALU_DEP_1) | instskip(NEXT) | instid1(VALU_DEP_1)
	v_and_or_b32 v0, 0x80000000, v0, v1
	v_trunc_f32_e32 v0, v0
	s_delay_alu instid0(VALU_DEP_1) | instskip(NEXT) | instid1(VALU_DEP_1)
	v_mul_f32_e64 v1, 0x2f800000, |v0|
	v_floor_f32_e32 v1, v1
	s_delay_alu instid0(VALU_DEP_1) | instskip(SKIP_2) | instid1(VALU_DEP_3)
	v_fma_f32 v3, 0xcf800000, v1, |v0|
	v_ashrrev_i32_e32 v0, 31, v0
	v_cvt_u32_f32_e32 v4, v1
	v_cvt_u32_f32_e32 v3, v3
	s_delay_alu instid0(VALU_DEP_3) | instskip(NEXT) | instid1(VALU_DEP_3)
	v_mov_b32_e32 v1, v0
	v_xor_b32_e32 v5, v4, v0
	s_delay_alu instid0(VALU_DEP_3) | instskip(NEXT) | instid1(VALU_DEP_1)
	v_xor_b32_e32 v4, v3, v0
	v_sub_nc_u64_e32 v[4:5], v[4:5], v[0:1]
.LBB127_1625:
	s_mov_b32 s7, 0
.LBB127_1626:
	s_delay_alu instid0(SALU_CYCLE_1)
	s_and_not1_b32 vcc_lo, exec_lo, s7
	s_cbranch_vccnz .LBB127_1628
; %bb.1627:
	global_load_u8 v0, v[10:11], off
	s_wait_loadcnt 0x0
	v_lshlrev_b32_e32 v1, 25, v0
	v_lshlrev_b16 v0, 8, v0
	s_delay_alu instid0(VALU_DEP_2) | instskip(NEXT) | instid1(VALU_DEP_2)
	v_cmp_gt_u32_e32 vcc_lo, 0x8000000, v1
	v_and_or_b32 v4, 0x7f00, v0, 0.5
	v_lshrrev_b32_e32 v3, 4, v1
	v_bfe_i32 v0, v0, 0, 16
	s_delay_alu instid0(VALU_DEP_3) | instskip(NEXT) | instid1(VALU_DEP_3)
	v_add_f32_e32 v4, -0.5, v4
	v_or_b32_e32 v3, 0x70000000, v3
	s_delay_alu instid0(VALU_DEP_1) | instskip(NEXT) | instid1(VALU_DEP_1)
	v_mul_f32_e32 v3, 0x7800000, v3
	v_cndmask_b32_e32 v1, v3, v4, vcc_lo
	s_delay_alu instid0(VALU_DEP_1) | instskip(NEXT) | instid1(VALU_DEP_1)
	v_and_or_b32 v0, 0x80000000, v0, v1
	v_trunc_f32_e32 v0, v0
	s_delay_alu instid0(VALU_DEP_1) | instskip(NEXT) | instid1(VALU_DEP_1)
	v_mul_f32_e64 v1, 0x2f800000, |v0|
	v_floor_f32_e32 v1, v1
	s_delay_alu instid0(VALU_DEP_1) | instskip(SKIP_2) | instid1(VALU_DEP_3)
	v_fma_f32 v3, 0xcf800000, v1, |v0|
	v_ashrrev_i32_e32 v0, 31, v0
	v_cvt_u32_f32_e32 v4, v1
	v_cvt_u32_f32_e32 v3, v3
	s_delay_alu instid0(VALU_DEP_3) | instskip(NEXT) | instid1(VALU_DEP_3)
	v_mov_b32_e32 v1, v0
	v_xor_b32_e32 v5, v4, v0
	s_delay_alu instid0(VALU_DEP_3) | instskip(NEXT) | instid1(VALU_DEP_1)
	v_xor_b32_e32 v4, v3, v0
	v_sub_nc_u64_e32 v[4:5], v[4:5], v[0:1]
.LBB127_1628:
	s_mov_b32 s7, 0
	s_mov_b32 s12, -1
.LBB127_1629:
	s_and_not1_b32 vcc_lo, exec_lo, s7
	s_mov_b32 s7, 0
	s_cbranch_vccnz .LBB127_1640
; %bb.1630:
	s_cmp_gt_i32 s1, 14
	s_cbranch_scc0 .LBB127_1633
; %bb.1631:
	s_cmp_eq_u32 s1, 15
	s_cbranch_scc0 .LBB127_1636
; %bb.1632:
	global_load_u16 v0, v[10:11], off
	s_mov_b32 s6, 0
	s_mov_b32 s12, -1
	s_wait_loadcnt 0x0
	v_lshlrev_b32_e32 v0, 16, v0
	s_delay_alu instid0(VALU_DEP_1) | instskip(NEXT) | instid1(VALU_DEP_1)
	v_trunc_f32_e32 v0, v0
	v_mul_f32_e64 v1, 0x2f800000, |v0|
	s_delay_alu instid0(VALU_DEP_1) | instskip(NEXT) | instid1(VALU_DEP_1)
	v_floor_f32_e32 v1, v1
	v_fma_f32 v3, 0xcf800000, v1, |v0|
	v_ashrrev_i32_e32 v0, 31, v0
	v_cvt_u32_f32_e32 v4, v1
	s_delay_alu instid0(VALU_DEP_3) | instskip(NEXT) | instid1(VALU_DEP_3)
	v_cvt_u32_f32_e32 v3, v3
	v_mov_b32_e32 v1, v0
	s_delay_alu instid0(VALU_DEP_3) | instskip(NEXT) | instid1(VALU_DEP_3)
	v_xor_b32_e32 v5, v4, v0
	v_xor_b32_e32 v4, v3, v0
	s_delay_alu instid0(VALU_DEP_1)
	v_sub_nc_u64_e32 v[4:5], v[4:5], v[0:1]
	s_branch .LBB127_1638
.LBB127_1633:
	s_mov_b32 s7, -1
	s_branch .LBB127_1637
.LBB127_1634:
	s_and_not1_saveexec_b32 s7, s7
	s_cbranch_execz .LBB127_1615
.LBB127_1635:
	v_cmp_ne_u16_e32 vcc_lo, 0, v0
	s_and_not1_b32 s12, s12, exec_lo
	s_and_b32 s13, vcc_lo, exec_lo
	s_delay_alu instid0(SALU_CYCLE_1)
	s_or_b32 s12, s12, s13
	s_or_b32 exec_lo, exec_lo, s7
	v_mov_b64_e32 v[4:5], 0
	s_and_saveexec_b32 s7, s12
	s_cbranch_execnz .LBB127_1616
	s_branch .LBB127_1617
.LBB127_1636:
	s_mov_b32 s6, -1
.LBB127_1637:
                                        ; implicit-def: $vgpr4_vgpr5
.LBB127_1638:
	s_and_b32 vcc_lo, exec_lo, s7
	s_mov_b32 s7, 0
	s_cbranch_vccz .LBB127_1640
; %bb.1639:
	s_cmp_lg_u32 s1, 11
	s_mov_b32 s7, -1
	s_cselect_b32 s1, -1, 0
	s_and_not1_b32 s6, s6, exec_lo
	s_and_b32 s1, s1, exec_lo
	s_delay_alu instid0(SALU_CYCLE_1)
	s_or_b32 s6, s6, s1
.LBB127_1640:
	s_mov_b32 s1, 0
.LBB127_1641:
	s_delay_alu instid0(SALU_CYCLE_1)
	s_and_b32 s30, s1, exec_lo
	s_and_not1_b32 s1, s56, exec_lo
	s_and_b32 s6, s6, exec_lo
	s_and_b32 s28, s12, exec_lo
	;; [unrolled: 1-line block ×3, first 2 shown]
	s_or_b32 s31, s1, s6
.LBB127_1642:
	s_wait_xcnt 0x0
	s_or_b32 exec_lo, exec_lo, s43
	s_delay_alu instid0(SALU_CYCLE_1)
	s_and_not1_b32 s1, s56, exec_lo
	s_and_b32 s6, s31, exec_lo
	s_and_b32 s28, s28, exec_lo
	;; [unrolled: 1-line block ×4, first 2 shown]
	s_or_b32 s56, s1, s6
.LBB127_1643:
	s_or_b32 exec_lo, exec_lo, s55
	s_delay_alu instid0(SALU_CYCLE_1)
	s_and_not1_b32 s1, s51, exec_lo
	s_and_b32 s6, s59, exec_lo
	s_and_not1_b32 s7, s53, exec_lo
	s_or_b32 s51, s1, s6
	s_and_not1_b32 s1, s52, exec_lo
	s_and_b32 s6, s57, exec_lo
	s_and_b32 s12, s58, exec_lo
	s_or_b32 s52, s1, s6
	s_and_not1_b32 s1, s50, exec_lo
	s_and_b32 s6, s56, exec_lo
	s_or_b32 s53, s7, s12
	s_and_b32 s28, s28, exec_lo
	s_and_b32 s30, s30, exec_lo
	;; [unrolled: 1-line block ×3, first 2 shown]
	s_or_b32 s50, s1, s6
.LBB127_1644:
	s_or_b32 exec_lo, exec_lo, s54
	s_delay_alu instid0(SALU_CYCLE_1)
	s_and_not1_b32 s1, s44, exec_lo
	s_and_b32 s6, s51, exec_lo
	s_and_not1_b32 s7, s47, exec_lo
	s_or_b32 s44, s1, s6
	s_and_not1_b32 s1, s46, exec_lo
	s_and_b32 s6, s52, exec_lo
	s_and_b32 s12, s53, exec_lo
	s_or_b32 s46, s1, s6
	s_and_not1_b32 s1, s48, exec_lo
	s_and_b32 s6, s50, exec_lo
	s_or_b32 s47, s7, s12
	s_and_b32 s28, s28, exec_lo
	s_and_b32 s30, s30, exec_lo
	;; [unrolled: 1-line block ×3, first 2 shown]
	s_or_b32 s48, s1, s6
	s_or_b32 exec_lo, exec_lo, s49
	s_mov_b32 s1, 0
	s_and_saveexec_b32 s6, s48
	s_cbranch_execz .LBB127_520
.LBB127_1645:
	s_mov_b32 s1, exec_lo
	s_and_not1_b32 s25, s25, exec_lo
	s_trap 2
	s_or_b32 exec_lo, exec_lo, s6
	s_and_saveexec_b32 s6, s25
	s_delay_alu instid0(SALU_CYCLE_1)
	s_xor_b32 s6, exec_lo, s6
	s_cbranch_execnz .LBB127_521
.LBB127_1646:
	s_or_b32 exec_lo, exec_lo, s6
	s_and_saveexec_b32 s6, s30
	s_cbranch_execz .LBB127_1692
.LBB127_1647:
	s_sext_i32_i16 s7, s0
	s_delay_alu instid0(SALU_CYCLE_1)
	s_cmp_lt_i32 s7, 5
	s_cbranch_scc1 .LBB127_1652
; %bb.1648:
	s_cmp_lt_i32 s7, 8
	s_cbranch_scc1 .LBB127_1653
; %bb.1649:
	;; [unrolled: 3-line block ×3, first 2 shown]
	s_cmp_gt_i32 s7, 9
	s_cbranch_scc0 .LBB127_1655
; %bb.1651:
	s_wait_loadcnt 0x0
	global_load_b64 v[0:1], v[10:11], off
	s_mov_b32 s7, 0
	s_wait_loadcnt 0x0
	v_trunc_f64_e32 v[0:1], v[0:1]
	s_delay_alu instid0(VALU_DEP_1) | instskip(NEXT) | instid1(VALU_DEP_1)
	v_ldexp_f64 v[4:5], v[0:1], 0xffffffe0
	v_floor_f64_e32 v[4:5], v[4:5]
	s_delay_alu instid0(VALU_DEP_1) | instskip(SKIP_1) | instid1(VALU_DEP_2)
	v_fmamk_f64 v[0:1], v[4:5], 0xc1f00000, v[0:1]
	v_cvt_i32_f64_e32 v5, v[4:5]
	v_cvt_u32_f64_e32 v4, v[0:1]
	s_branch .LBB127_1656
.LBB127_1652:
                                        ; implicit-def: $vgpr4_vgpr5
	s_branch .LBB127_1673
.LBB127_1653:
                                        ; implicit-def: $vgpr4_vgpr5
	s_branch .LBB127_1662
.LBB127_1654:
	s_mov_b32 s7, -1
                                        ; implicit-def: $vgpr4_vgpr5
	s_branch .LBB127_1659
.LBB127_1655:
	s_mov_b32 s7, -1
                                        ; implicit-def: $vgpr4_vgpr5
.LBB127_1656:
	s_delay_alu instid0(SALU_CYCLE_1)
	s_and_not1_b32 vcc_lo, exec_lo, s7
	s_cbranch_vccnz .LBB127_1658
; %bb.1657:
	s_wait_loadcnt 0x0
	global_load_b32 v0, v[10:11], off
	s_wait_loadcnt 0x0
	v_trunc_f32_e32 v0, v0
	s_delay_alu instid0(VALU_DEP_1) | instskip(NEXT) | instid1(VALU_DEP_1)
	v_mul_f32_e64 v1, 0x2f800000, |v0|
	v_floor_f32_e32 v1, v1
	s_delay_alu instid0(VALU_DEP_1) | instskip(SKIP_2) | instid1(VALU_DEP_3)
	v_fma_f32 v3, 0xcf800000, v1, |v0|
	v_ashrrev_i32_e32 v0, 31, v0
	v_cvt_u32_f32_e32 v4, v1
	v_cvt_u32_f32_e32 v3, v3
	s_delay_alu instid0(VALU_DEP_3) | instskip(NEXT) | instid1(VALU_DEP_3)
	v_mov_b32_e32 v1, v0
	v_xor_b32_e32 v5, v4, v0
	s_delay_alu instid0(VALU_DEP_3) | instskip(NEXT) | instid1(VALU_DEP_1)
	v_xor_b32_e32 v4, v3, v0
	v_sub_nc_u64_e32 v[4:5], v[4:5], v[0:1]
.LBB127_1658:
	s_mov_b32 s7, 0
.LBB127_1659:
	s_delay_alu instid0(SALU_CYCLE_1)
	s_and_not1_b32 vcc_lo, exec_lo, s7
	s_cbranch_vccnz .LBB127_1661
; %bb.1660:
	s_wait_loadcnt 0x0
	global_load_b32 v0, v[10:11], off
	s_wait_loadcnt 0x0
	v_cvt_f32_f16_e32 v0, v0
	s_delay_alu instid0(VALU_DEP_1) | instskip(NEXT) | instid1(VALU_DEP_1)
	v_cvt_i32_f32_e32 v4, v0
	v_ashrrev_i32_e32 v5, 31, v4
.LBB127_1661:
	s_cbranch_execnz .LBB127_1672
.LBB127_1662:
	s_sext_i32_i16 s7, s0
	s_delay_alu instid0(SALU_CYCLE_1)
	s_cmp_lt_i32 s7, 6
	s_cbranch_scc1 .LBB127_1665
; %bb.1663:
	s_cmp_gt_i32 s7, 6
	s_cbranch_scc0 .LBB127_1666
; %bb.1664:
	s_wait_loadcnt 0x0
	global_load_b64 v[0:1], v[10:11], off
	s_mov_b32 s7, 0
	s_wait_loadcnt 0x0
	v_trunc_f64_e32 v[0:1], v[0:1]
	s_delay_alu instid0(VALU_DEP_1) | instskip(NEXT) | instid1(VALU_DEP_1)
	v_ldexp_f64 v[4:5], v[0:1], 0xffffffe0
	v_floor_f64_e32 v[4:5], v[4:5]
	s_delay_alu instid0(VALU_DEP_1) | instskip(SKIP_1) | instid1(VALU_DEP_2)
	v_fmamk_f64 v[0:1], v[4:5], 0xc1f00000, v[0:1]
	v_cvt_i32_f64_e32 v5, v[4:5]
	v_cvt_u32_f64_e32 v4, v[0:1]
	s_branch .LBB127_1667
.LBB127_1665:
	s_mov_b32 s7, -1
                                        ; implicit-def: $vgpr4_vgpr5
	s_branch .LBB127_1670
.LBB127_1666:
	s_mov_b32 s7, -1
                                        ; implicit-def: $vgpr4_vgpr5
.LBB127_1667:
	s_delay_alu instid0(SALU_CYCLE_1)
	s_and_not1_b32 vcc_lo, exec_lo, s7
	s_cbranch_vccnz .LBB127_1669
; %bb.1668:
	s_wait_loadcnt 0x0
	global_load_b32 v0, v[10:11], off
	s_wait_loadcnt 0x0
	v_trunc_f32_e32 v0, v0
	s_delay_alu instid0(VALU_DEP_1) | instskip(NEXT) | instid1(VALU_DEP_1)
	v_mul_f32_e64 v1, 0x2f800000, |v0|
	v_floor_f32_e32 v1, v1
	s_delay_alu instid0(VALU_DEP_1) | instskip(SKIP_2) | instid1(VALU_DEP_3)
	v_fma_f32 v3, 0xcf800000, v1, |v0|
	v_ashrrev_i32_e32 v0, 31, v0
	v_cvt_u32_f32_e32 v4, v1
	v_cvt_u32_f32_e32 v3, v3
	s_delay_alu instid0(VALU_DEP_3) | instskip(NEXT) | instid1(VALU_DEP_3)
	v_mov_b32_e32 v1, v0
	v_xor_b32_e32 v5, v4, v0
	s_delay_alu instid0(VALU_DEP_3) | instskip(NEXT) | instid1(VALU_DEP_1)
	v_xor_b32_e32 v4, v3, v0
	v_sub_nc_u64_e32 v[4:5], v[4:5], v[0:1]
.LBB127_1669:
	s_mov_b32 s7, 0
.LBB127_1670:
	s_delay_alu instid0(SALU_CYCLE_1)
	s_and_not1_b32 vcc_lo, exec_lo, s7
	s_cbranch_vccnz .LBB127_1672
; %bb.1671:
	s_wait_loadcnt 0x0
	global_load_u16 v0, v[10:11], off
	s_wait_loadcnt 0x0
	v_cvt_f32_f16_e32 v0, v0
	s_delay_alu instid0(VALU_DEP_1) | instskip(NEXT) | instid1(VALU_DEP_1)
	v_cvt_i32_f32_e32 v4, v0
	v_ashrrev_i32_e32 v5, 31, v4
.LBB127_1672:
	s_cbranch_execnz .LBB127_1691
.LBB127_1673:
	s_sext_i32_i16 s7, s0
	s_delay_alu instid0(SALU_CYCLE_1)
	s_cmp_lt_i32 s7, 2
	s_cbranch_scc1 .LBB127_1677
; %bb.1674:
	s_cmp_lt_i32 s7, 3
	s_cbranch_scc1 .LBB127_1678
; %bb.1675:
	s_cmp_gt_i32 s7, 3
	s_cbranch_scc0 .LBB127_1679
; %bb.1676:
	s_wait_loadcnt 0x0
	global_load_b64 v[4:5], v[10:11], off
	s_mov_b32 s7, 0
	s_branch .LBB127_1680
.LBB127_1677:
                                        ; implicit-def: $vgpr4_vgpr5
	s_branch .LBB127_1686
.LBB127_1678:
	s_mov_b32 s7, -1
                                        ; implicit-def: $vgpr4_vgpr5
	s_branch .LBB127_1683
.LBB127_1679:
	s_mov_b32 s7, -1
                                        ; implicit-def: $vgpr4_vgpr5
.LBB127_1680:
	s_delay_alu instid0(SALU_CYCLE_1)
	s_and_not1_b32 vcc_lo, exec_lo, s7
	s_cbranch_vccnz .LBB127_1682
; %bb.1681:
	s_wait_loadcnt 0x0
	global_load_b32 v4, v[10:11], off
	s_wait_loadcnt 0x0
	v_ashrrev_i32_e32 v5, 31, v4
.LBB127_1682:
	s_mov_b32 s7, 0
.LBB127_1683:
	s_delay_alu instid0(SALU_CYCLE_1)
	s_and_not1_b32 vcc_lo, exec_lo, s7
	s_cbranch_vccnz .LBB127_1685
; %bb.1684:
	s_wait_loadcnt 0x0
	global_load_u16 v0, v[10:11], off
	s_wait_loadcnt 0x0
	v_bfe_i32 v4, v0, 0, 16
	s_delay_alu instid0(VALU_DEP_1)
	v_ashrrev_i32_e32 v5, 31, v4
.LBB127_1685:
	s_cbranch_execnz .LBB127_1691
.LBB127_1686:
	s_sext_i32_i16 s0, s0
	s_delay_alu instid0(SALU_CYCLE_1)
	s_cmp_gt_i32 s0, 0
	s_mov_b32 s0, 0
	s_cbranch_scc0 .LBB127_1688
; %bb.1687:
	s_wait_loadcnt 0x0
	global_load_i8 v0, v[10:11], off
	s_wait_loadcnt 0x0
	v_bfe_i32 v4, v0, 0, 16
	s_delay_alu instid0(VALU_DEP_1)
	v_ashrrev_i32_e32 v5, 31, v4
	s_branch .LBB127_1689
.LBB127_1688:
	s_mov_b32 s0, -1
                                        ; implicit-def: $vgpr4_vgpr5
.LBB127_1689:
	s_delay_alu instid0(SALU_CYCLE_1)
	s_and_not1_b32 vcc_lo, exec_lo, s0
	s_cbranch_vccnz .LBB127_1691
; %bb.1690:
	s_wait_loadcnt 0x0
	global_load_u8 v0, v[10:11], off
	s_mov_b32 s0, 0
	s_delay_alu instid0(SALU_CYCLE_1)
	v_mov_b32_e32 v5, s0
	s_wait_loadcnt 0x0
	v_and_b32_e32 v4, 0xffff, v0
.LBB127_1691:
	s_or_b32 s28, s28, exec_lo
.LBB127_1692:
	s_wait_xcnt 0x0
	s_or_b32 exec_lo, exec_lo, s6
	s_mov_b32 s13, 0
	s_mov_b32 s12, 0
	;; [unrolled: 1-line block ×3, first 2 shown]
                                        ; implicit-def: $sgpr0
                                        ; implicit-def: $vgpr10_vgpr11
                                        ; implicit-def: $vgpr0_vgpr1
	s_and_saveexec_b32 s6, s28
	s_cbranch_execz .LBB127_1700
; %bb.1693:
	s_wait_loadcnt 0x0
	v_mov_b32_e32 v9, 0
	s_and_b32 s0, s39, 0xff
	s_delay_alu instid0(SALU_CYCLE_1) | instskip(NEXT) | instid1(VALU_DEP_1)
	s_cmp_lt_i32 s0, 11
	v_add_nc_u64_e32 v[10:11], s[8:9], v[8:9]
	s_cbranch_scc1 .LBB127_1703
; %bb.1694:
	s_and_b32 s7, 0xffff, s0
	s_mov_b32 s9, 0
	s_cmp_gt_i32 s7, 25
	s_cbranch_scc0 .LBB127_1704
; %bb.1695:
	s_cmp_gt_i32 s7, 28
	s_cbranch_scc0 .LBB127_1705
; %bb.1696:
	;; [unrolled: 3-line block ×4, first 2 shown]
	s_cmp_eq_u32 s7, 46
	s_cbranch_scc0 .LBB127_1708
; %bb.1699:
	global_load_b32 v0, v[10:11], off
	s_mov_b32 s8, 0
	s_mov_b32 s12, -1
	s_wait_loadcnt 0x0
	v_lshlrev_b32_e32 v0, 16, v0
	s_delay_alu instid0(VALU_DEP_1) | instskip(NEXT) | instid1(VALU_DEP_1)
	v_trunc_f32_e32 v0, v0
	v_mul_f32_e64 v1, 0x2f800000, |v0|
	s_delay_alu instid0(VALU_DEP_1) | instskip(NEXT) | instid1(VALU_DEP_1)
	v_floor_f32_e32 v1, v1
	v_fma_f32 v3, 0xcf800000, v1, |v0|
	v_ashrrev_i32_e32 v0, 31, v0
	v_cvt_u32_f32_e32 v7, v1
	s_delay_alu instid0(VALU_DEP_3) | instskip(NEXT) | instid1(VALU_DEP_2)
	v_cvt_u32_f32_e32 v3, v3
	v_dual_mov_b32 v1, v0 :: v_dual_bitop2_b32 v9, v7, v0 bitop3:0x14
	s_delay_alu instid0(VALU_DEP_2) | instskip(NEXT) | instid1(VALU_DEP_1)
	v_xor_b32_e32 v8, v3, v0
	v_sub_nc_u64_e32 v[0:1], v[8:9], v[0:1]
	s_branch .LBB127_1710
.LBB127_1700:
	s_or_b32 exec_lo, exec_lo, s6
	s_and_saveexec_b32 s6, s47
	s_cbranch_execnz .LBB127_1769
.LBB127_1701:
	s_or_b32 exec_lo, exec_lo, s6
	s_and_saveexec_b32 s6, s13
	s_delay_alu instid0(SALU_CYCLE_1)
	s_xor_b32 s6, exec_lo, s6
	s_cbranch_execz .LBB127_1770
.LBB127_1702:
	s_wait_loadcnt 0x0
	global_load_u8 v0, v[10:11], off
	s_mov_b32 s8, 0
	s_or_b32 s7, s7, exec_lo
	v_mov_b32_e32 v1, s8
	s_wait_loadcnt 0x0
	v_cmp_ne_u16_e32 vcc_lo, 0, v0
	v_cndmask_b32_e64 v0, 0, 1, vcc_lo
	s_wait_xcnt 0x0
	s_or_b32 exec_lo, exec_lo, s6
	s_and_saveexec_b32 s6, s12
	s_cbranch_execz .LBB127_1816
	s_branch .LBB127_1771
.LBB127_1703:
	s_mov_b32 s13, -1
	s_mov_b32 s9, 0
	s_mov_b32 s8, s47
                                        ; implicit-def: $vgpr0_vgpr1
	s_branch .LBB127_1768
.LBB127_1704:
	s_mov_b32 s8, s47
                                        ; implicit-def: $vgpr0_vgpr1
	s_cbranch_execnz .LBB127_1737
	s_branch .LBB127_1767
.LBB127_1705:
	s_mov_b32 s13, -1
	s_mov_b32 s8, s47
                                        ; implicit-def: $vgpr0_vgpr1
	s_branch .LBB127_1720
.LBB127_1706:
	s_mov_b32 s13, -1
	s_mov_b32 s8, s47
                                        ; implicit-def: $vgpr0_vgpr1
	s_branch .LBB127_1715
.LBB127_1707:
	s_mov_b32 s13, -1
	s_mov_b32 s8, s47
	s_branch .LBB127_1709
.LBB127_1708:
	s_mov_b32 s8, -1
.LBB127_1709:
                                        ; implicit-def: $vgpr0_vgpr1
.LBB127_1710:
	s_and_b32 vcc_lo, exec_lo, s13
	s_cbranch_vccz .LBB127_1714
; %bb.1711:
	s_cmp_eq_u32 s7, 44
	s_cbranch_scc0 .LBB127_1713
; %bb.1712:
	global_load_u8 v3, v[10:11], off
	s_mov_b32 s8, 0
	s_mov_b32 s12, -1
	s_wait_loadcnt 0x0
	v_cmp_ne_u32_e32 vcc_lo, 0, v3
	v_lshlrev_b32_e32 v0, 23, v3
	s_delay_alu instid0(VALU_DEP_1) | instskip(NEXT) | instid1(VALU_DEP_1)
	v_trunc_f32_e32 v0, v0
	v_mul_f32_e64 v1, 0x2f800000, |v0|
	s_delay_alu instid0(VALU_DEP_1) | instskip(NEXT) | instid1(VALU_DEP_1)
	v_floor_f32_e32 v1, v1
	v_fma_f32 v7, 0xcf800000, v1, |v0|
	v_ashrrev_i32_e32 v0, 31, v0
	v_cvt_u32_f32_e32 v8, v1
	s_delay_alu instid0(VALU_DEP_3) | instskip(NEXT) | instid1(VALU_DEP_3)
	v_cvt_u32_f32_e32 v7, v7
	v_mov_b32_e32 v1, v0
	s_delay_alu instid0(VALU_DEP_3) | instskip(NEXT) | instid1(VALU_DEP_3)
	v_xor_b32_e32 v9, v8, v0
	v_xor_b32_e32 v8, v7, v0
	s_delay_alu instid0(VALU_DEP_1) | instskip(NEXT) | instid1(VALU_DEP_1)
	v_sub_nc_u64_e32 v[0:1], v[8:9], v[0:1]
	v_dual_cndmask_b32 v1, 0, v1 :: v_dual_cndmask_b32 v0, 0, v0
	s_branch .LBB127_1714
.LBB127_1713:
	s_mov_b32 s8, -1
                                        ; implicit-def: $vgpr0_vgpr1
.LBB127_1714:
	s_mov_b32 s13, 0
.LBB127_1715:
	s_delay_alu instid0(SALU_CYCLE_1)
	s_and_b32 vcc_lo, exec_lo, s13
	s_cbranch_vccz .LBB127_1719
; %bb.1716:
	s_cmp_eq_u32 s7, 29
	s_cbranch_scc0 .LBB127_1718
; %bb.1717:
	global_load_b64 v[0:1], v[10:11], off
	s_mov_b32 s8, 0
	s_mov_b32 s12, -1
	s_branch .LBB127_1719
.LBB127_1718:
	s_mov_b32 s8, -1
                                        ; implicit-def: $vgpr0_vgpr1
.LBB127_1719:
	s_mov_b32 s13, 0
.LBB127_1720:
	s_delay_alu instid0(SALU_CYCLE_1)
	s_and_b32 vcc_lo, exec_lo, s13
	s_cbranch_vccz .LBB127_1736
; %bb.1721:
	s_cmp_lt_i32 s7, 27
	s_cbranch_scc1 .LBB127_1724
; %bb.1722:
	s_cmp_gt_i32 s7, 27
	s_cbranch_scc0 .LBB127_1725
; %bb.1723:
	s_wait_loadcnt 0x0
	global_load_b32 v0, v[10:11], off
	v_mov_b32_e32 v1, 0
	s_mov_b32 s12, 0
	s_branch .LBB127_1726
.LBB127_1724:
	s_mov_b32 s12, -1
                                        ; implicit-def: $vgpr0_vgpr1
	s_branch .LBB127_1729
.LBB127_1725:
	s_mov_b32 s12, -1
                                        ; implicit-def: $vgpr0_vgpr1
.LBB127_1726:
	s_delay_alu instid0(SALU_CYCLE_1)
	s_and_not1_b32 vcc_lo, exec_lo, s12
	s_cbranch_vccnz .LBB127_1728
; %bb.1727:
	s_wait_loadcnt 0x0
	global_load_u16 v0, v[10:11], off
	s_mov_b32 s12, 0
	s_delay_alu instid0(SALU_CYCLE_1)
	v_mov_b32_e32 v1, s12
	s_wait_loadcnt 0x0
	v_and_b32_e32 v0, 0xffff, v0
.LBB127_1728:
	s_mov_b32 s12, 0
.LBB127_1729:
	s_delay_alu instid0(SALU_CYCLE_1)
	s_and_not1_b32 vcc_lo, exec_lo, s12
	s_cbranch_vccnz .LBB127_1735
; %bb.1730:
	global_load_u8 v3, v[10:11], off
	s_mov_b32 s13, 0
	s_mov_b32 s12, exec_lo
	s_wait_loadcnt 0x0
	v_cmpx_lt_i16_e32 0x7f, v3
	s_xor_b32 s12, exec_lo, s12
	s_cbranch_execz .LBB127_1746
; %bb.1731:
	v_cmp_ne_u16_e32 vcc_lo, 0x80, v3
	s_and_b32 s13, vcc_lo, exec_lo
	s_and_not1_saveexec_b32 s12, s12
	s_cbranch_execnz .LBB127_1747
.LBB127_1732:
	s_or_b32 exec_lo, exec_lo, s12
	v_mov_b64_e32 v[0:1], 0
	s_and_saveexec_b32 s12, s13
	s_cbranch_execz .LBB127_1734
.LBB127_1733:
	v_and_b32_e32 v0, 0xffff, v3
	s_delay_alu instid0(VALU_DEP_1) | instskip(SKIP_1) | instid1(VALU_DEP_2)
	v_and_b32_e32 v1, 7, v0
	v_bfe_u32 v9, v0, 3, 4
	v_clz_i32_u32_e32 v7, v1
	s_delay_alu instid0(VALU_DEP_2) | instskip(NEXT) | instid1(VALU_DEP_2)
	v_cmp_eq_u32_e32 vcc_lo, 0, v9
	v_min_u32_e32 v7, 32, v7
	s_delay_alu instid0(VALU_DEP_1) | instskip(NEXT) | instid1(VALU_DEP_1)
	v_subrev_nc_u32_e32 v8, 28, v7
	v_dual_lshlrev_b32 v0, v8, v0 :: v_dual_sub_nc_u32 v7, 29, v7
	s_delay_alu instid0(VALU_DEP_1) | instskip(NEXT) | instid1(VALU_DEP_1)
	v_dual_lshlrev_b32 v3, 24, v3 :: v_dual_bitop2_b32 v0, 7, v0 bitop3:0x40
	v_cndmask_b32_e32 v0, v1, v0, vcc_lo
	s_delay_alu instid0(VALU_DEP_3) | instskip(NEXT) | instid1(VALU_DEP_3)
	v_cndmask_b32_e32 v7, v9, v7, vcc_lo
	v_and_b32_e32 v1, 0x80000000, v3
	s_delay_alu instid0(VALU_DEP_3) | instskip(NEXT) | instid1(VALU_DEP_3)
	v_lshlrev_b32_e32 v0, 20, v0
	v_lshl_add_u32 v3, v7, 23, 0x3b800000
	s_delay_alu instid0(VALU_DEP_1) | instskip(NEXT) | instid1(VALU_DEP_1)
	v_or3_b32 v0, v1, v3, v0
	v_trunc_f32_e32 v0, v0
	s_delay_alu instid0(VALU_DEP_1) | instskip(NEXT) | instid1(VALU_DEP_1)
	v_mul_f32_e64 v1, 0x2f800000, |v0|
	v_floor_f32_e32 v1, v1
	s_delay_alu instid0(VALU_DEP_1) | instskip(SKIP_2) | instid1(VALU_DEP_3)
	v_fma_f32 v3, 0xcf800000, v1, |v0|
	v_ashrrev_i32_e32 v0, 31, v0
	v_cvt_u32_f32_e32 v7, v1
	v_cvt_u32_f32_e32 v3, v3
	s_delay_alu instid0(VALU_DEP_2) | instskip(NEXT) | instid1(VALU_DEP_2)
	v_dual_mov_b32 v1, v0 :: v_dual_bitop2_b32 v9, v7, v0 bitop3:0x14
	v_xor_b32_e32 v8, v3, v0
	s_delay_alu instid0(VALU_DEP_1)
	v_sub_nc_u64_e32 v[0:1], v[8:9], v[0:1]
.LBB127_1734:
	s_or_b32 exec_lo, exec_lo, s12
.LBB127_1735:
	s_mov_b32 s12, -1
.LBB127_1736:
	s_branch .LBB127_1767
.LBB127_1737:
	s_cmp_gt_i32 s7, 22
	s_cbranch_scc0 .LBB127_1745
; %bb.1738:
	s_cmp_lt_i32 s7, 24
	s_cbranch_scc1 .LBB127_1748
; %bb.1739:
	s_cmp_gt_i32 s7, 24
	s_cbranch_scc0 .LBB127_1749
; %bb.1740:
	global_load_u8 v3, v[10:11], off
	s_mov_b32 s12, 0
	s_mov_b32 s9, exec_lo
	s_wait_loadcnt 0x0
	v_cmpx_lt_i16_e32 0x7f, v3
	s_xor_b32 s9, exec_lo, s9
	s_cbranch_execz .LBB127_1761
; %bb.1741:
	v_cmp_ne_u16_e32 vcc_lo, 0x80, v3
	s_and_b32 s12, vcc_lo, exec_lo
	s_and_not1_saveexec_b32 s9, s9
	s_cbranch_execnz .LBB127_1762
.LBB127_1742:
	s_or_b32 exec_lo, exec_lo, s9
	v_mov_b64_e32 v[0:1], 0
	s_and_saveexec_b32 s9, s12
	s_cbranch_execz .LBB127_1744
.LBB127_1743:
	v_and_b32_e32 v0, 0xffff, v3
	s_delay_alu instid0(VALU_DEP_1) | instskip(SKIP_1) | instid1(VALU_DEP_2)
	v_and_b32_e32 v1, 3, v0
	v_bfe_u32 v9, v0, 2, 5
	v_clz_i32_u32_e32 v7, v1
	s_delay_alu instid0(VALU_DEP_2) | instskip(NEXT) | instid1(VALU_DEP_2)
	v_cmp_eq_u32_e32 vcc_lo, 0, v9
	v_min_u32_e32 v7, 32, v7
	s_delay_alu instid0(VALU_DEP_1) | instskip(NEXT) | instid1(VALU_DEP_1)
	v_subrev_nc_u32_e32 v8, 29, v7
	v_dual_lshlrev_b32 v0, v8, v0 :: v_dual_sub_nc_u32 v7, 30, v7
	s_delay_alu instid0(VALU_DEP_1) | instskip(NEXT) | instid1(VALU_DEP_1)
	v_dual_lshlrev_b32 v3, 24, v3 :: v_dual_bitop2_b32 v0, 3, v0 bitop3:0x40
	v_cndmask_b32_e32 v0, v1, v0, vcc_lo
	s_delay_alu instid0(VALU_DEP_3) | instskip(NEXT) | instid1(VALU_DEP_3)
	v_cndmask_b32_e32 v7, v9, v7, vcc_lo
	v_and_b32_e32 v1, 0x80000000, v3
	s_delay_alu instid0(VALU_DEP_3) | instskip(NEXT) | instid1(VALU_DEP_3)
	v_lshlrev_b32_e32 v0, 21, v0
	v_lshl_add_u32 v3, v7, 23, 0x37800000
	s_delay_alu instid0(VALU_DEP_1) | instskip(NEXT) | instid1(VALU_DEP_1)
	v_or3_b32 v0, v1, v3, v0
	v_trunc_f32_e32 v0, v0
	s_delay_alu instid0(VALU_DEP_1) | instskip(NEXT) | instid1(VALU_DEP_1)
	v_mul_f32_e64 v1, 0x2f800000, |v0|
	v_floor_f32_e32 v1, v1
	s_delay_alu instid0(VALU_DEP_1) | instskip(SKIP_2) | instid1(VALU_DEP_3)
	v_fma_f32 v3, 0xcf800000, v1, |v0|
	v_ashrrev_i32_e32 v0, 31, v0
	v_cvt_u32_f32_e32 v7, v1
	v_cvt_u32_f32_e32 v3, v3
	s_delay_alu instid0(VALU_DEP_2) | instskip(NEXT) | instid1(VALU_DEP_2)
	v_dual_mov_b32 v1, v0 :: v_dual_bitop2_b32 v9, v7, v0 bitop3:0x14
	v_xor_b32_e32 v8, v3, v0
	s_delay_alu instid0(VALU_DEP_1)
	v_sub_nc_u64_e32 v[0:1], v[8:9], v[0:1]
.LBB127_1744:
	s_or_b32 exec_lo, exec_lo, s9
	s_mov_b32 s9, 0
	s_branch .LBB127_1750
.LBB127_1745:
	s_mov_b32 s9, -1
                                        ; implicit-def: $vgpr0_vgpr1
	s_branch .LBB127_1756
.LBB127_1746:
	s_and_not1_saveexec_b32 s12, s12
	s_cbranch_execz .LBB127_1732
.LBB127_1747:
	v_cmp_ne_u16_e32 vcc_lo, 0, v3
	s_and_not1_b32 s13, s13, exec_lo
	s_and_b32 s14, vcc_lo, exec_lo
	s_delay_alu instid0(SALU_CYCLE_1)
	s_or_b32 s13, s13, s14
	s_or_b32 exec_lo, exec_lo, s12
	v_mov_b64_e32 v[0:1], 0
	s_and_saveexec_b32 s12, s13
	s_cbranch_execnz .LBB127_1733
	s_branch .LBB127_1734
.LBB127_1748:
	s_mov_b32 s9, -1
                                        ; implicit-def: $vgpr0_vgpr1
	s_branch .LBB127_1753
.LBB127_1749:
	s_mov_b32 s9, -1
                                        ; implicit-def: $vgpr0_vgpr1
.LBB127_1750:
	s_delay_alu instid0(SALU_CYCLE_1)
	s_and_b32 vcc_lo, exec_lo, s9
	s_cbranch_vccz .LBB127_1752
; %bb.1751:
	s_wait_loadcnt 0x0
	global_load_u8 v0, v[10:11], off
	s_wait_loadcnt 0x0
	v_lshlrev_b32_e32 v0, 24, v0
	s_delay_alu instid0(VALU_DEP_1) | instskip(NEXT) | instid1(VALU_DEP_1)
	v_and_b32_e32 v1, 0x7f000000, v0
	v_clz_i32_u32_e32 v3, v1
	v_cmp_ne_u32_e32 vcc_lo, 0, v1
	v_add_nc_u32_e32 v8, 0x1000000, v1
	s_delay_alu instid0(VALU_DEP_3) | instskip(NEXT) | instid1(VALU_DEP_1)
	v_min_u32_e32 v3, 32, v3
	v_sub_nc_u32_e64 v3, v3, 4 clamp
	s_delay_alu instid0(VALU_DEP_1) | instskip(NEXT) | instid1(VALU_DEP_1)
	v_dual_lshlrev_b32 v7, v3, v1 :: v_dual_lshlrev_b32 v3, 23, v3
	v_lshrrev_b32_e32 v7, 4, v7
	s_delay_alu instid0(VALU_DEP_1) | instskip(NEXT) | instid1(VALU_DEP_1)
	v_dual_sub_nc_u32 v3, v7, v3 :: v_dual_ashrrev_i32 v7, 8, v8
	v_add_nc_u32_e32 v3, 0x3c000000, v3
	s_delay_alu instid0(VALU_DEP_1) | instskip(NEXT) | instid1(VALU_DEP_1)
	v_and_or_b32 v3, 0x7f800000, v7, v3
	v_cndmask_b32_e32 v1, 0, v3, vcc_lo
	s_delay_alu instid0(VALU_DEP_1) | instskip(NEXT) | instid1(VALU_DEP_1)
	v_and_or_b32 v0, 0x80000000, v0, v1
	v_trunc_f32_e32 v0, v0
	s_delay_alu instid0(VALU_DEP_1) | instskip(NEXT) | instid1(VALU_DEP_1)
	v_mul_f32_e64 v1, 0x2f800000, |v0|
	v_floor_f32_e32 v1, v1
	s_delay_alu instid0(VALU_DEP_1) | instskip(SKIP_2) | instid1(VALU_DEP_3)
	v_fma_f32 v3, 0xcf800000, v1, |v0|
	v_ashrrev_i32_e32 v0, 31, v0
	v_cvt_u32_f32_e32 v7, v1
	v_cvt_u32_f32_e32 v3, v3
	s_delay_alu instid0(VALU_DEP_2) | instskip(NEXT) | instid1(VALU_DEP_2)
	v_dual_mov_b32 v1, v0 :: v_dual_bitop2_b32 v9, v7, v0 bitop3:0x14
	v_xor_b32_e32 v8, v3, v0
	s_delay_alu instid0(VALU_DEP_1)
	v_sub_nc_u64_e32 v[0:1], v[8:9], v[0:1]
.LBB127_1752:
	s_mov_b32 s9, 0
.LBB127_1753:
	s_delay_alu instid0(SALU_CYCLE_1)
	s_and_not1_b32 vcc_lo, exec_lo, s9
	s_cbranch_vccnz .LBB127_1755
; %bb.1754:
	s_wait_loadcnt 0x0
	global_load_u8 v0, v[10:11], off
	s_wait_loadcnt 0x0
	v_lshlrev_b32_e32 v1, 25, v0
	v_lshlrev_b16 v0, 8, v0
	s_delay_alu instid0(VALU_DEP_1) | instskip(SKIP_1) | instid1(VALU_DEP_2)
	v_and_or_b32 v7, 0x7f00, v0, 0.5
	v_bfe_i32 v0, v0, 0, 16
	v_dual_add_f32 v7, -0.5, v7 :: v_dual_lshrrev_b32 v3, 4, v1
	v_cmp_gt_u32_e32 vcc_lo, 0x8000000, v1
	s_delay_alu instid0(VALU_DEP_2) | instskip(NEXT) | instid1(VALU_DEP_1)
	v_or_b32_e32 v3, 0x70000000, v3
	v_mul_f32_e32 v3, 0x7800000, v3
	s_delay_alu instid0(VALU_DEP_1) | instskip(NEXT) | instid1(VALU_DEP_1)
	v_cndmask_b32_e32 v1, v3, v7, vcc_lo
	v_and_or_b32 v0, 0x80000000, v0, v1
	s_delay_alu instid0(VALU_DEP_1) | instskip(NEXT) | instid1(VALU_DEP_1)
	v_trunc_f32_e32 v0, v0
	v_mul_f32_e64 v1, 0x2f800000, |v0|
	s_delay_alu instid0(VALU_DEP_1) | instskip(NEXT) | instid1(VALU_DEP_1)
	v_floor_f32_e32 v1, v1
	v_fma_f32 v3, 0xcf800000, v1, |v0|
	v_ashrrev_i32_e32 v0, 31, v0
	v_cvt_u32_f32_e32 v7, v1
	s_delay_alu instid0(VALU_DEP_3) | instskip(NEXT) | instid1(VALU_DEP_2)
	v_cvt_u32_f32_e32 v3, v3
	v_dual_mov_b32 v1, v0 :: v_dual_bitop2_b32 v9, v7, v0 bitop3:0x14
	s_delay_alu instid0(VALU_DEP_2) | instskip(NEXT) | instid1(VALU_DEP_1)
	v_xor_b32_e32 v8, v3, v0
	v_sub_nc_u64_e32 v[0:1], v[8:9], v[0:1]
.LBB127_1755:
	s_mov_b32 s9, 0
	s_mov_b32 s12, -1
.LBB127_1756:
	s_and_not1_b32 vcc_lo, exec_lo, s9
	s_mov_b32 s9, 0
	s_cbranch_vccnz .LBB127_1767
; %bb.1757:
	s_cmp_gt_i32 s7, 14
	s_cbranch_scc0 .LBB127_1760
; %bb.1758:
	s_cmp_eq_u32 s7, 15
	s_cbranch_scc0 .LBB127_1763
; %bb.1759:
	s_wait_loadcnt 0x0
	global_load_u16 v0, v[10:11], off
	s_mov_b32 s8, 0
	s_mov_b32 s12, -1
	s_wait_loadcnt 0x0
	v_lshlrev_b32_e32 v0, 16, v0
	s_delay_alu instid0(VALU_DEP_1) | instskip(NEXT) | instid1(VALU_DEP_1)
	v_trunc_f32_e32 v0, v0
	v_mul_f32_e64 v1, 0x2f800000, |v0|
	s_delay_alu instid0(VALU_DEP_1) | instskip(NEXT) | instid1(VALU_DEP_1)
	v_floor_f32_e32 v1, v1
	v_fma_f32 v3, 0xcf800000, v1, |v0|
	v_ashrrev_i32_e32 v0, 31, v0
	v_cvt_u32_f32_e32 v7, v1
	s_delay_alu instid0(VALU_DEP_3) | instskip(NEXT) | instid1(VALU_DEP_2)
	v_cvt_u32_f32_e32 v3, v3
	v_dual_mov_b32 v1, v0 :: v_dual_bitop2_b32 v9, v7, v0 bitop3:0x14
	s_delay_alu instid0(VALU_DEP_2) | instskip(NEXT) | instid1(VALU_DEP_1)
	v_xor_b32_e32 v8, v3, v0
	v_sub_nc_u64_e32 v[0:1], v[8:9], v[0:1]
	s_branch .LBB127_1765
.LBB127_1760:
	s_mov_b32 s9, -1
	s_branch .LBB127_1764
.LBB127_1761:
	s_and_not1_saveexec_b32 s9, s9
	s_cbranch_execz .LBB127_1742
.LBB127_1762:
	v_cmp_ne_u16_e32 vcc_lo, 0, v3
	s_and_not1_b32 s12, s12, exec_lo
	s_and_b32 s13, vcc_lo, exec_lo
	s_delay_alu instid0(SALU_CYCLE_1)
	s_or_b32 s12, s12, s13
	s_or_b32 exec_lo, exec_lo, s9
	v_mov_b64_e32 v[0:1], 0
	s_and_saveexec_b32 s9, s12
	s_cbranch_execnz .LBB127_1743
	s_branch .LBB127_1744
.LBB127_1763:
	s_mov_b32 s8, -1
.LBB127_1764:
                                        ; implicit-def: $vgpr0_vgpr1
.LBB127_1765:
	s_and_b32 vcc_lo, exec_lo, s9
	s_mov_b32 s9, 0
	s_cbranch_vccz .LBB127_1767
; %bb.1766:
	s_cmp_lg_u32 s7, 11
	s_mov_b32 s9, -1
	s_cselect_b32 s7, -1, 0
	s_and_not1_b32 s8, s8, exec_lo
	s_and_b32 s7, s7, exec_lo
	s_delay_alu instid0(SALU_CYCLE_1)
	s_or_b32 s8, s8, s7
.LBB127_1767:
	s_mov_b32 s13, 0
.LBB127_1768:
	s_and_not1_b32 s14, s47, exec_lo
	s_and_b32 s8, s8, exec_lo
	s_and_b32 s7, s12, exec_lo
	s_and_b32 s12, s13, exec_lo
	s_and_b32 s13, s9, exec_lo
	s_or_b32 s47, s14, s8
	s_wait_xcnt 0x0
	s_or_b32 exec_lo, exec_lo, s6
	s_and_saveexec_b32 s6, s47
	s_cbranch_execz .LBB127_1701
.LBB127_1769:
	s_or_b32 s1, s1, exec_lo
	s_and_not1_b32 s13, s13, exec_lo
	s_trap 2
	s_or_b32 exec_lo, exec_lo, s6
	s_and_saveexec_b32 s6, s13
	s_delay_alu instid0(SALU_CYCLE_1)
	s_xor_b32 s6, exec_lo, s6
	s_cbranch_execnz .LBB127_1702
.LBB127_1770:
	s_or_b32 exec_lo, exec_lo, s6
	s_and_saveexec_b32 s6, s12
	s_cbranch_execz .LBB127_1816
.LBB127_1771:
	s_sext_i32_i16 s8, s0
	s_delay_alu instid0(SALU_CYCLE_1)
	s_cmp_lt_i32 s8, 5
	s_cbranch_scc1 .LBB127_1776
; %bb.1772:
	s_cmp_lt_i32 s8, 8
	s_cbranch_scc1 .LBB127_1777
; %bb.1773:
	;; [unrolled: 3-line block ×3, first 2 shown]
	s_cmp_gt_i32 s8, 9
	s_cbranch_scc0 .LBB127_1779
; %bb.1775:
	s_wait_loadcnt 0x0
	global_load_b64 v[0:1], v[10:11], off
	s_mov_b32 s8, 0
	s_wait_loadcnt 0x0
	v_trunc_f64_e32 v[0:1], v[0:1]
	s_delay_alu instid0(VALU_DEP_1) | instskip(NEXT) | instid1(VALU_DEP_1)
	v_ldexp_f64 v[8:9], v[0:1], 0xffffffe0
	v_floor_f64_e32 v[8:9], v[8:9]
	s_delay_alu instid0(VALU_DEP_1) | instskip(SKIP_1) | instid1(VALU_DEP_2)
	v_fmamk_f64 v[12:13], v[8:9], 0xc1f00000, v[0:1]
	v_cvt_i32_f64_e32 v1, v[8:9]
	v_cvt_u32_f64_e32 v0, v[12:13]
	s_branch .LBB127_1780
.LBB127_1776:
                                        ; implicit-def: $vgpr0_vgpr1
	s_branch .LBB127_1797
.LBB127_1777:
                                        ; implicit-def: $vgpr0_vgpr1
	s_branch .LBB127_1786
.LBB127_1778:
	s_mov_b32 s8, -1
                                        ; implicit-def: $vgpr0_vgpr1
	s_branch .LBB127_1783
.LBB127_1779:
	s_mov_b32 s8, -1
                                        ; implicit-def: $vgpr0_vgpr1
.LBB127_1780:
	s_delay_alu instid0(SALU_CYCLE_1)
	s_and_not1_b32 vcc_lo, exec_lo, s8
	s_cbranch_vccnz .LBB127_1782
; %bb.1781:
	s_wait_loadcnt 0x0
	global_load_b32 v0, v[10:11], off
	s_wait_loadcnt 0x0
	v_trunc_f32_e32 v0, v0
	s_delay_alu instid0(VALU_DEP_1) | instskip(NEXT) | instid1(VALU_DEP_1)
	v_mul_f32_e64 v1, 0x2f800000, |v0|
	v_floor_f32_e32 v1, v1
	s_delay_alu instid0(VALU_DEP_1) | instskip(SKIP_2) | instid1(VALU_DEP_3)
	v_fma_f32 v3, 0xcf800000, v1, |v0|
	v_ashrrev_i32_e32 v0, 31, v0
	v_cvt_u32_f32_e32 v7, v1
	v_cvt_u32_f32_e32 v3, v3
	s_delay_alu instid0(VALU_DEP_2) | instskip(NEXT) | instid1(VALU_DEP_2)
	v_dual_mov_b32 v1, v0 :: v_dual_bitop2_b32 v9, v7, v0 bitop3:0x14
	v_xor_b32_e32 v8, v3, v0
	s_delay_alu instid0(VALU_DEP_1)
	v_sub_nc_u64_e32 v[0:1], v[8:9], v[0:1]
.LBB127_1782:
	s_mov_b32 s8, 0
.LBB127_1783:
	s_delay_alu instid0(SALU_CYCLE_1)
	s_and_not1_b32 vcc_lo, exec_lo, s8
	s_cbranch_vccnz .LBB127_1785
; %bb.1784:
	s_wait_loadcnt 0x0
	global_load_b32 v0, v[10:11], off
	s_wait_loadcnt 0x0
	v_cvt_f32_f16_e32 v0, v0
	s_delay_alu instid0(VALU_DEP_1) | instskip(NEXT) | instid1(VALU_DEP_1)
	v_cvt_i32_f32_e32 v0, v0
	v_ashrrev_i32_e32 v1, 31, v0
.LBB127_1785:
	s_cbranch_execnz .LBB127_1796
.LBB127_1786:
	s_sext_i32_i16 s8, s0
	s_delay_alu instid0(SALU_CYCLE_1)
	s_cmp_lt_i32 s8, 6
	s_cbranch_scc1 .LBB127_1789
; %bb.1787:
	s_cmp_gt_i32 s8, 6
	s_cbranch_scc0 .LBB127_1790
; %bb.1788:
	s_wait_loadcnt 0x0
	global_load_b64 v[0:1], v[10:11], off
	s_mov_b32 s8, 0
	s_wait_loadcnt 0x0
	v_trunc_f64_e32 v[0:1], v[0:1]
	s_delay_alu instid0(VALU_DEP_1) | instskip(NEXT) | instid1(VALU_DEP_1)
	v_ldexp_f64 v[8:9], v[0:1], 0xffffffe0
	v_floor_f64_e32 v[8:9], v[8:9]
	s_delay_alu instid0(VALU_DEP_1) | instskip(SKIP_1) | instid1(VALU_DEP_2)
	v_fmamk_f64 v[12:13], v[8:9], 0xc1f00000, v[0:1]
	v_cvt_i32_f64_e32 v1, v[8:9]
	v_cvt_u32_f64_e32 v0, v[12:13]
	s_branch .LBB127_1791
.LBB127_1789:
	s_mov_b32 s8, -1
                                        ; implicit-def: $vgpr0_vgpr1
	s_branch .LBB127_1794
.LBB127_1790:
	s_mov_b32 s8, -1
                                        ; implicit-def: $vgpr0_vgpr1
.LBB127_1791:
	s_delay_alu instid0(SALU_CYCLE_1)
	s_and_not1_b32 vcc_lo, exec_lo, s8
	s_cbranch_vccnz .LBB127_1793
; %bb.1792:
	s_wait_loadcnt 0x0
	global_load_b32 v0, v[10:11], off
	s_wait_loadcnt 0x0
	v_trunc_f32_e32 v0, v0
	s_delay_alu instid0(VALU_DEP_1) | instskip(NEXT) | instid1(VALU_DEP_1)
	v_mul_f32_e64 v1, 0x2f800000, |v0|
	v_floor_f32_e32 v1, v1
	s_delay_alu instid0(VALU_DEP_1) | instskip(SKIP_2) | instid1(VALU_DEP_3)
	v_fma_f32 v3, 0xcf800000, v1, |v0|
	v_ashrrev_i32_e32 v0, 31, v0
	v_cvt_u32_f32_e32 v7, v1
	v_cvt_u32_f32_e32 v3, v3
	s_delay_alu instid0(VALU_DEP_2) | instskip(NEXT) | instid1(VALU_DEP_2)
	v_dual_mov_b32 v1, v0 :: v_dual_bitop2_b32 v9, v7, v0 bitop3:0x14
	v_xor_b32_e32 v8, v3, v0
	s_delay_alu instid0(VALU_DEP_1)
	v_sub_nc_u64_e32 v[0:1], v[8:9], v[0:1]
.LBB127_1793:
	s_mov_b32 s8, 0
.LBB127_1794:
	s_delay_alu instid0(SALU_CYCLE_1)
	s_and_not1_b32 vcc_lo, exec_lo, s8
	s_cbranch_vccnz .LBB127_1796
; %bb.1795:
	s_wait_loadcnt 0x0
	global_load_u16 v0, v[10:11], off
	s_wait_loadcnt 0x0
	v_cvt_f32_f16_e32 v0, v0
	s_delay_alu instid0(VALU_DEP_1) | instskip(NEXT) | instid1(VALU_DEP_1)
	v_cvt_i32_f32_e32 v0, v0
	v_ashrrev_i32_e32 v1, 31, v0
.LBB127_1796:
	s_cbranch_execnz .LBB127_1815
.LBB127_1797:
	s_sext_i32_i16 s8, s0
	s_delay_alu instid0(SALU_CYCLE_1)
	s_cmp_lt_i32 s8, 2
	s_cbranch_scc1 .LBB127_1801
; %bb.1798:
	s_cmp_lt_i32 s8, 3
	s_cbranch_scc1 .LBB127_1802
; %bb.1799:
	s_cmp_gt_i32 s8, 3
	s_cbranch_scc0 .LBB127_1803
; %bb.1800:
	s_wait_loadcnt 0x0
	global_load_b64 v[0:1], v[10:11], off
	s_mov_b32 s8, 0
	s_branch .LBB127_1804
.LBB127_1801:
                                        ; implicit-def: $vgpr0_vgpr1
	s_branch .LBB127_1810
.LBB127_1802:
	s_mov_b32 s8, -1
                                        ; implicit-def: $vgpr0_vgpr1
	s_branch .LBB127_1807
.LBB127_1803:
	s_mov_b32 s8, -1
                                        ; implicit-def: $vgpr0_vgpr1
.LBB127_1804:
	s_delay_alu instid0(SALU_CYCLE_1)
	s_and_not1_b32 vcc_lo, exec_lo, s8
	s_cbranch_vccnz .LBB127_1806
; %bb.1805:
	s_wait_loadcnt 0x0
	global_load_b32 v0, v[10:11], off
	s_wait_loadcnt 0x0
	v_ashrrev_i32_e32 v1, 31, v0
.LBB127_1806:
	s_mov_b32 s8, 0
.LBB127_1807:
	s_delay_alu instid0(SALU_CYCLE_1)
	s_and_not1_b32 vcc_lo, exec_lo, s8
	s_cbranch_vccnz .LBB127_1809
; %bb.1808:
	s_wait_loadcnt 0x0
	global_load_u16 v0, v[10:11], off
	s_wait_loadcnt 0x0
	v_bfe_i32 v0, v0, 0, 16
	s_delay_alu instid0(VALU_DEP_1)
	v_ashrrev_i32_e32 v1, 31, v0
.LBB127_1809:
	s_cbranch_execnz .LBB127_1815
.LBB127_1810:
	s_sext_i32_i16 s0, s0
	s_delay_alu instid0(SALU_CYCLE_1)
	s_cmp_gt_i32 s0, 0
	s_mov_b32 s0, 0
	s_cbranch_scc0 .LBB127_1812
; %bb.1811:
	s_wait_loadcnt 0x0
	global_load_i8 v0, v[10:11], off
	s_wait_loadcnt 0x0
	v_bfe_i32 v0, v0, 0, 16
	s_delay_alu instid0(VALU_DEP_1)
	v_ashrrev_i32_e32 v1, 31, v0
	s_branch .LBB127_1813
.LBB127_1812:
	s_mov_b32 s0, -1
                                        ; implicit-def: $vgpr0_vgpr1
.LBB127_1813:
	s_delay_alu instid0(SALU_CYCLE_1)
	s_and_not1_b32 vcc_lo, exec_lo, s0
	s_cbranch_vccnz .LBB127_1815
; %bb.1814:
	s_wait_loadcnt 0x0
	global_load_u8 v0, v[10:11], off
	s_mov_b32 s0, 0
	s_delay_alu instid0(SALU_CYCLE_1)
	v_mov_b32_e32 v1, s0
	s_wait_loadcnt 0x0
	v_and_b32_e32 v0, 0xffff, v0
.LBB127_1815:
	s_or_b32 s7, s7, exec_lo
.LBB127_1816:
	s_wait_xcnt 0x0
	s_or_b32 exec_lo, exec_lo, s6
	s_mov_b32 s9, 0
	s_mov_b32 s6, 0
	;; [unrolled: 1-line block ×3, first 2 shown]
                                        ; implicit-def: $vgpr8_vgpr9
                                        ; implicit-def: $vgpr10_vgpr11
	s_and_saveexec_b32 s0, s7
	s_cbranch_execz .LBB127_1824
; %bb.1817:
	v_mov_b32_e32 v7, 0
	s_and_b32 s6, 0xffff, s21
	s_delay_alu instid0(SALU_CYCLE_1) | instskip(SKIP_1) | instid1(VALU_DEP_1)
	s_cmp_lt_i32 s6, 11
	s_wait_loadcnt 0x0
	v_add_nc_u64_e32 v[8:9], s[10:11], v[6:7]
	s_cbranch_scc1 .LBB127_1827
; %bb.1818:
	s_cmp_gt_i32 s6, 25
	s_cbranch_scc0 .LBB127_1828
; %bb.1819:
	s_cmp_gt_i32 s6, 28
	s_cbranch_scc0 .LBB127_1829
	;; [unrolled: 3-line block ×4, first 2 shown]
; %bb.1822:
	s_cmp_eq_u32 s6, 46
	s_mov_b32 s10, 0
	s_cbranch_scc0 .LBB127_1832
; %bb.1823:
	global_load_b32 v3, v[8:9], off
	s_mov_b32 s7, 0
	s_mov_b32 s8, -1
	s_wait_loadcnt 0x0
	v_lshlrev_b32_e32 v3, 16, v3
	s_delay_alu instid0(VALU_DEP_1) | instskip(NEXT) | instid1(VALU_DEP_1)
	v_trunc_f32_e32 v3, v3
	v_mul_f32_e64 v6, 0x2f800000, |v3|
	s_delay_alu instid0(VALU_DEP_1) | instskip(SKIP_1) | instid1(VALU_DEP_2)
	v_floor_f32_e32 v7, v6
	v_ashrrev_i32_e32 v6, 31, v3
	v_fma_f32 v10, 0xcf800000, v7, |v3|
	v_cvt_u32_f32_e32 v3, v7
	s_delay_alu instid0(VALU_DEP_3) | instskip(NEXT) | instid1(VALU_DEP_3)
	v_mov_b32_e32 v7, v6
	v_cvt_u32_f32_e32 v10, v10
	s_delay_alu instid0(VALU_DEP_3) | instskip(NEXT) | instid1(VALU_DEP_2)
	v_xor_b32_e32 v11, v3, v6
	v_xor_b32_e32 v10, v10, v6
	s_delay_alu instid0(VALU_DEP_1)
	v_sub_nc_u64_e32 v[10:11], v[10:11], v[6:7]
	s_branch .LBB127_1834
.LBB127_1824:
	s_or_b32 exec_lo, exec_lo, s0
	s_and_saveexec_b32 s0, s46
	s_cbranch_execnz .LBB127_1893
.LBB127_1825:
	s_or_b32 exec_lo, exec_lo, s0
	s_and_saveexec_b32 s0, s9
	s_delay_alu instid0(SALU_CYCLE_1)
	s_xor_b32 s0, exec_lo, s0
	s_cbranch_execz .LBB127_1894
.LBB127_1826:
	s_wait_loadcnt 0x0
	global_load_u8 v3, v[8:9], off
	s_mov_b32 s7, 0
	s_or_b32 s8, s8, exec_lo
	v_mov_b32_e32 v11, s7
	s_wait_loadcnt 0x0
	v_cmp_ne_u16_e32 vcc_lo, 0, v3
	v_cndmask_b32_e64 v10, 0, 1, vcc_lo
	s_wait_xcnt 0x0
	s_or_b32 exec_lo, exec_lo, s0
	s_and_saveexec_b32 s0, s6
	s_cbranch_execz .LBB127_1940
	s_branch .LBB127_1895
.LBB127_1827:
	s_mov_b32 s6, -1
	s_mov_b32 s7, s46
                                        ; implicit-def: $vgpr10_vgpr11
	s_branch .LBB127_1892
.LBB127_1828:
	s_mov_b32 s7, s46
                                        ; implicit-def: $vgpr10_vgpr11
	s_cbranch_execnz .LBB127_1861
	s_branch .LBB127_1891
.LBB127_1829:
	s_mov_b32 s10, -1
	s_mov_b32 s7, s46
                                        ; implicit-def: $vgpr10_vgpr11
	s_branch .LBB127_1844
.LBB127_1830:
	s_mov_b32 s10, -1
	s_mov_b32 s7, s46
                                        ; implicit-def: $vgpr10_vgpr11
	s_branch .LBB127_1839
.LBB127_1831:
	s_mov_b32 s10, -1
	s_mov_b32 s7, s46
	s_branch .LBB127_1833
.LBB127_1832:
	s_mov_b32 s7, -1
.LBB127_1833:
                                        ; implicit-def: $vgpr10_vgpr11
.LBB127_1834:
	s_and_b32 vcc_lo, exec_lo, s10
	s_cbranch_vccz .LBB127_1838
; %bb.1835:
	s_cmp_eq_u32 s6, 44
	s_cbranch_scc0 .LBB127_1837
; %bb.1836:
	global_load_u8 v3, v[8:9], off
	s_mov_b32 s7, 0
	s_mov_b32 s8, -1
	s_wait_loadcnt 0x0
	v_lshlrev_b32_e32 v6, 23, v3
	v_cmp_ne_u32_e32 vcc_lo, 0, v3
	s_delay_alu instid0(VALU_DEP_2) | instskip(NEXT) | instid1(VALU_DEP_1)
	v_trunc_f32_e32 v6, v6
	v_mul_f32_e64 v7, 0x2f800000, |v6|
	s_delay_alu instid0(VALU_DEP_1) | instskip(NEXT) | instid1(VALU_DEP_1)
	v_floor_f32_e32 v7, v7
	v_fma_f32 v10, 0xcf800000, v7, |v6|
	v_ashrrev_i32_e32 v6, 31, v6
	v_cvt_u32_f32_e32 v11, v7
	s_delay_alu instid0(VALU_DEP_3) | instskip(NEXT) | instid1(VALU_DEP_2)
	v_cvt_u32_f32_e32 v10, v10
	v_dual_mov_b32 v7, v6 :: v_dual_bitop2_b32 v11, v11, v6 bitop3:0x14
	s_delay_alu instid0(VALU_DEP_2) | instskip(NEXT) | instid1(VALU_DEP_1)
	v_xor_b32_e32 v10, v10, v6
	v_sub_nc_u64_e32 v[6:7], v[10:11], v[6:7]
	s_delay_alu instid0(VALU_DEP_1)
	v_dual_cndmask_b32 v11, 0, v7 :: v_dual_cndmask_b32 v10, 0, v6
	s_branch .LBB127_1838
.LBB127_1837:
	s_mov_b32 s7, -1
                                        ; implicit-def: $vgpr10_vgpr11
.LBB127_1838:
	s_mov_b32 s10, 0
.LBB127_1839:
	s_delay_alu instid0(SALU_CYCLE_1)
	s_and_b32 vcc_lo, exec_lo, s10
	s_cbranch_vccz .LBB127_1843
; %bb.1840:
	s_cmp_eq_u32 s6, 29
	s_cbranch_scc0 .LBB127_1842
; %bb.1841:
	global_load_b64 v[10:11], v[8:9], off
	s_mov_b32 s7, 0
	s_mov_b32 s8, -1
	s_branch .LBB127_1843
.LBB127_1842:
	s_mov_b32 s7, -1
                                        ; implicit-def: $vgpr10_vgpr11
.LBB127_1843:
	s_mov_b32 s10, 0
.LBB127_1844:
	s_delay_alu instid0(SALU_CYCLE_1)
	s_and_b32 vcc_lo, exec_lo, s10
	s_cbranch_vccz .LBB127_1860
; %bb.1845:
	s_cmp_lt_i32 s6, 27
	s_cbranch_scc1 .LBB127_1848
; %bb.1846:
	s_cmp_gt_i32 s6, 27
	s_cbranch_scc0 .LBB127_1849
; %bb.1847:
	s_wait_loadcnt 0x0
	global_load_b32 v10, v[8:9], off
	v_mov_b32_e32 v11, 0
	s_mov_b32 s8, 0
	s_branch .LBB127_1850
.LBB127_1848:
	s_mov_b32 s8, -1
                                        ; implicit-def: $vgpr10_vgpr11
	s_branch .LBB127_1853
.LBB127_1849:
	s_mov_b32 s8, -1
                                        ; implicit-def: $vgpr10_vgpr11
.LBB127_1850:
	s_delay_alu instid0(SALU_CYCLE_1)
	s_and_not1_b32 vcc_lo, exec_lo, s8
	s_cbranch_vccnz .LBB127_1852
; %bb.1851:
	global_load_u16 v3, v[8:9], off
	s_mov_b32 s8, 0
	s_wait_loadcnt 0x1
	v_mov_b32_e32 v11, s8
	s_wait_loadcnt 0x0
	v_and_b32_e32 v10, 0xffff, v3
.LBB127_1852:
	s_mov_b32 s8, 0
.LBB127_1853:
	s_delay_alu instid0(SALU_CYCLE_1)
	s_and_not1_b32 vcc_lo, exec_lo, s8
	s_cbranch_vccnz .LBB127_1859
; %bb.1854:
	global_load_u8 v3, v[8:9], off
	s_mov_b32 s10, 0
	s_mov_b32 s8, exec_lo
	s_wait_loadcnt 0x0
	v_cmpx_lt_i16_e32 0x7f, v3
	s_xor_b32 s8, exec_lo, s8
	s_cbranch_execz .LBB127_1870
; %bb.1855:
	v_cmp_ne_u16_e32 vcc_lo, 0x80, v3
	s_and_b32 s10, vcc_lo, exec_lo
	s_and_not1_saveexec_b32 s8, s8
	s_cbranch_execnz .LBB127_1871
.LBB127_1856:
	s_or_b32 exec_lo, exec_lo, s8
	v_mov_b64_e32 v[10:11], 0
	s_and_saveexec_b32 s8, s10
	s_cbranch_execz .LBB127_1858
.LBB127_1857:
	v_and_b32_e32 v6, 0xffff, v3
	s_delay_alu instid0(VALU_DEP_1) | instskip(SKIP_1) | instid1(VALU_DEP_2)
	v_dual_lshlrev_b32 v3, 24, v3 :: v_dual_bitop2_b32 v7, 7, v6 bitop3:0x40
	v_bfe_u32 v12, v6, 3, 4
	v_and_b32_e32 v3, 0x80000000, v3
	s_delay_alu instid0(VALU_DEP_3) | instskip(NEXT) | instid1(VALU_DEP_3)
	v_clz_i32_u32_e32 v10, v7
	v_cmp_eq_u32_e32 vcc_lo, 0, v12
	s_delay_alu instid0(VALU_DEP_2) | instskip(NEXT) | instid1(VALU_DEP_1)
	v_min_u32_e32 v10, 32, v10
	v_subrev_nc_u32_e32 v11, 28, v10
	v_sub_nc_u32_e32 v10, 29, v10
	s_delay_alu instid0(VALU_DEP_2) | instskip(NEXT) | instid1(VALU_DEP_2)
	v_lshlrev_b32_e32 v6, v11, v6
	v_cndmask_b32_e32 v10, v12, v10, vcc_lo
	s_delay_alu instid0(VALU_DEP_2) | instskip(NEXT) | instid1(VALU_DEP_1)
	v_and_b32_e32 v6, 7, v6
	v_cndmask_b32_e32 v6, v7, v6, vcc_lo
	s_delay_alu instid0(VALU_DEP_3) | instskip(NEXT) | instid1(VALU_DEP_2)
	v_lshl_add_u32 v7, v10, 23, 0x3b800000
	v_lshlrev_b32_e32 v6, 20, v6
	s_delay_alu instid0(VALU_DEP_1) | instskip(NEXT) | instid1(VALU_DEP_1)
	v_or3_b32 v3, v3, v7, v6
	v_trunc_f32_e32 v3, v3
	s_delay_alu instid0(VALU_DEP_1) | instskip(NEXT) | instid1(VALU_DEP_1)
	v_mul_f32_e64 v6, 0x2f800000, |v3|
	v_floor_f32_e32 v7, v6
	v_ashrrev_i32_e32 v6, 31, v3
	s_delay_alu instid0(VALU_DEP_2) | instskip(SKIP_1) | instid1(VALU_DEP_3)
	v_fma_f32 v10, 0xcf800000, v7, |v3|
	v_cvt_u32_f32_e32 v3, v7
	v_mov_b32_e32 v7, v6
	s_delay_alu instid0(VALU_DEP_3) | instskip(NEXT) | instid1(VALU_DEP_3)
	v_cvt_u32_f32_e32 v10, v10
	v_xor_b32_e32 v11, v3, v6
	s_delay_alu instid0(VALU_DEP_2) | instskip(NEXT) | instid1(VALU_DEP_1)
	v_xor_b32_e32 v10, v10, v6
	v_sub_nc_u64_e32 v[10:11], v[10:11], v[6:7]
.LBB127_1858:
	s_or_b32 exec_lo, exec_lo, s8
.LBB127_1859:
	s_mov_b32 s8, -1
.LBB127_1860:
	s_branch .LBB127_1891
.LBB127_1861:
	s_cmp_gt_i32 s6, 22
	s_cbranch_scc0 .LBB127_1869
; %bb.1862:
	s_cmp_lt_i32 s6, 24
	s_cbranch_scc1 .LBB127_1872
; %bb.1863:
	s_cmp_gt_i32 s6, 24
	s_cbranch_scc0 .LBB127_1873
; %bb.1864:
	global_load_u8 v3, v[8:9], off
	s_mov_b32 s8, exec_lo
	s_wait_loadcnt 0x0
	v_cmpx_lt_i16_e32 0x7f, v3
	s_xor_b32 s8, exec_lo, s8
	s_cbranch_execz .LBB127_1885
; %bb.1865:
	v_cmp_ne_u16_e32 vcc_lo, 0x80, v3
	s_and_b32 s9, vcc_lo, exec_lo
	s_and_not1_saveexec_b32 s8, s8
	s_cbranch_execnz .LBB127_1886
.LBB127_1866:
	s_or_b32 exec_lo, exec_lo, s8
	v_mov_b64_e32 v[10:11], 0
	s_and_saveexec_b32 s8, s9
	s_cbranch_execz .LBB127_1868
.LBB127_1867:
	v_and_b32_e32 v6, 0xffff, v3
	s_delay_alu instid0(VALU_DEP_1) | instskip(SKIP_1) | instid1(VALU_DEP_2)
	v_dual_lshlrev_b32 v3, 24, v3 :: v_dual_bitop2_b32 v7, 3, v6 bitop3:0x40
	v_bfe_u32 v12, v6, 2, 5
	v_and_b32_e32 v3, 0x80000000, v3
	s_delay_alu instid0(VALU_DEP_3) | instskip(NEXT) | instid1(VALU_DEP_3)
	v_clz_i32_u32_e32 v10, v7
	v_cmp_eq_u32_e32 vcc_lo, 0, v12
	s_delay_alu instid0(VALU_DEP_2) | instskip(NEXT) | instid1(VALU_DEP_1)
	v_min_u32_e32 v10, 32, v10
	v_subrev_nc_u32_e32 v11, 29, v10
	v_sub_nc_u32_e32 v10, 30, v10
	s_delay_alu instid0(VALU_DEP_2) | instskip(NEXT) | instid1(VALU_DEP_2)
	v_lshlrev_b32_e32 v6, v11, v6
	v_cndmask_b32_e32 v10, v12, v10, vcc_lo
	s_delay_alu instid0(VALU_DEP_2) | instskip(NEXT) | instid1(VALU_DEP_1)
	v_and_b32_e32 v6, 3, v6
	v_cndmask_b32_e32 v6, v7, v6, vcc_lo
	s_delay_alu instid0(VALU_DEP_3) | instskip(NEXT) | instid1(VALU_DEP_2)
	v_lshl_add_u32 v7, v10, 23, 0x37800000
	v_lshlrev_b32_e32 v6, 21, v6
	s_delay_alu instid0(VALU_DEP_1) | instskip(NEXT) | instid1(VALU_DEP_1)
	v_or3_b32 v3, v3, v7, v6
	v_trunc_f32_e32 v3, v3
	s_delay_alu instid0(VALU_DEP_1) | instskip(NEXT) | instid1(VALU_DEP_1)
	v_mul_f32_e64 v6, 0x2f800000, |v3|
	v_floor_f32_e32 v7, v6
	v_ashrrev_i32_e32 v6, 31, v3
	s_delay_alu instid0(VALU_DEP_2) | instskip(SKIP_1) | instid1(VALU_DEP_3)
	v_fma_f32 v10, 0xcf800000, v7, |v3|
	v_cvt_u32_f32_e32 v3, v7
	v_mov_b32_e32 v7, v6
	s_delay_alu instid0(VALU_DEP_3) | instskip(NEXT) | instid1(VALU_DEP_3)
	v_cvt_u32_f32_e32 v10, v10
	v_xor_b32_e32 v11, v3, v6
	s_delay_alu instid0(VALU_DEP_2) | instskip(NEXT) | instid1(VALU_DEP_1)
	v_xor_b32_e32 v10, v10, v6
	v_sub_nc_u64_e32 v[10:11], v[10:11], v[6:7]
.LBB127_1868:
	s_or_b32 exec_lo, exec_lo, s8
	s_mov_b32 s8, 0
	s_branch .LBB127_1874
.LBB127_1869:
	s_mov_b32 s9, -1
                                        ; implicit-def: $vgpr10_vgpr11
	s_branch .LBB127_1880
.LBB127_1870:
	s_and_not1_saveexec_b32 s8, s8
	s_cbranch_execz .LBB127_1856
.LBB127_1871:
	v_cmp_ne_u16_e32 vcc_lo, 0, v3
	s_and_not1_b32 s10, s10, exec_lo
	s_and_b32 s11, vcc_lo, exec_lo
	s_delay_alu instid0(SALU_CYCLE_1)
	s_or_b32 s10, s10, s11
	s_or_b32 exec_lo, exec_lo, s8
	v_mov_b64_e32 v[10:11], 0
	s_and_saveexec_b32 s8, s10
	s_cbranch_execnz .LBB127_1857
	s_branch .LBB127_1858
.LBB127_1872:
	s_mov_b32 s8, -1
                                        ; implicit-def: $vgpr10_vgpr11
	s_branch .LBB127_1877
.LBB127_1873:
	s_mov_b32 s8, -1
                                        ; implicit-def: $vgpr10_vgpr11
.LBB127_1874:
	s_delay_alu instid0(SALU_CYCLE_1)
	s_and_b32 vcc_lo, exec_lo, s8
	s_cbranch_vccz .LBB127_1876
; %bb.1875:
	global_load_u8 v3, v[8:9], off
	s_wait_loadcnt 0x0
	v_lshlrev_b32_e32 v3, 24, v3
	s_delay_alu instid0(VALU_DEP_1) | instskip(NEXT) | instid1(VALU_DEP_1)
	v_and_b32_e32 v6, 0x7f000000, v3
	v_clz_i32_u32_e32 v7, v6
	v_cmp_ne_u32_e32 vcc_lo, 0, v6
	v_add_nc_u32_e32 v11, 0x1000000, v6
	s_delay_alu instid0(VALU_DEP_3) | instskip(NEXT) | instid1(VALU_DEP_1)
	v_min_u32_e32 v7, 32, v7
	v_sub_nc_u32_e64 v7, v7, 4 clamp
	s_delay_alu instid0(VALU_DEP_1) | instskip(NEXT) | instid1(VALU_DEP_1)
	v_dual_lshlrev_b32 v10, v7, v6 :: v_dual_lshlrev_b32 v7, 23, v7
	v_lshrrev_b32_e32 v10, 4, v10
	s_delay_alu instid0(VALU_DEP_1) | instskip(SKIP_1) | instid1(VALU_DEP_2)
	v_sub_nc_u32_e32 v7, v10, v7
	v_ashrrev_i32_e32 v10, 8, v11
	v_add_nc_u32_e32 v7, 0x3c000000, v7
	s_delay_alu instid0(VALU_DEP_1) | instskip(NEXT) | instid1(VALU_DEP_1)
	v_and_or_b32 v7, 0x7f800000, v10, v7
	v_cndmask_b32_e32 v6, 0, v7, vcc_lo
	s_delay_alu instid0(VALU_DEP_1) | instskip(NEXT) | instid1(VALU_DEP_1)
	v_and_or_b32 v3, 0x80000000, v3, v6
	v_trunc_f32_e32 v3, v3
	s_delay_alu instid0(VALU_DEP_1) | instskip(NEXT) | instid1(VALU_DEP_1)
	v_mul_f32_e64 v6, 0x2f800000, |v3|
	v_floor_f32_e32 v7, v6
	v_ashrrev_i32_e32 v6, 31, v3
	s_delay_alu instid0(VALU_DEP_2) | instskip(SKIP_1) | instid1(VALU_DEP_3)
	v_fma_f32 v10, 0xcf800000, v7, |v3|
	v_cvt_u32_f32_e32 v3, v7
	v_mov_b32_e32 v7, v6
	s_delay_alu instid0(VALU_DEP_3) | instskip(NEXT) | instid1(VALU_DEP_3)
	v_cvt_u32_f32_e32 v10, v10
	v_xor_b32_e32 v11, v3, v6
	s_delay_alu instid0(VALU_DEP_2) | instskip(NEXT) | instid1(VALU_DEP_1)
	v_xor_b32_e32 v10, v10, v6
	v_sub_nc_u64_e32 v[10:11], v[10:11], v[6:7]
.LBB127_1876:
	s_mov_b32 s8, 0
.LBB127_1877:
	s_delay_alu instid0(SALU_CYCLE_1)
	s_and_not1_b32 vcc_lo, exec_lo, s8
	s_cbranch_vccnz .LBB127_1879
; %bb.1878:
	global_load_u8 v3, v[8:9], off
	s_wait_loadcnt 0x0
	v_lshlrev_b32_e32 v6, 25, v3
	v_lshlrev_b16 v3, 8, v3
	s_delay_alu instid0(VALU_DEP_1) | instskip(SKIP_1) | instid1(VALU_DEP_2)
	v_and_or_b32 v10, 0x7f00, v3, 0.5
	v_bfe_i32 v3, v3, 0, 16
	v_add_f32_e32 v10, -0.5, v10
	v_lshrrev_b32_e32 v7, 4, v6
	v_cmp_gt_u32_e32 vcc_lo, 0x8000000, v6
	s_delay_alu instid0(VALU_DEP_2) | instskip(NEXT) | instid1(VALU_DEP_1)
	v_or_b32_e32 v7, 0x70000000, v7
	v_mul_f32_e32 v7, 0x7800000, v7
	s_delay_alu instid0(VALU_DEP_1) | instskip(NEXT) | instid1(VALU_DEP_1)
	v_cndmask_b32_e32 v6, v7, v10, vcc_lo
	v_and_or_b32 v3, 0x80000000, v3, v6
	s_delay_alu instid0(VALU_DEP_1) | instskip(NEXT) | instid1(VALU_DEP_1)
	v_trunc_f32_e32 v3, v3
	v_mul_f32_e64 v6, 0x2f800000, |v3|
	s_delay_alu instid0(VALU_DEP_1) | instskip(SKIP_1) | instid1(VALU_DEP_2)
	v_floor_f32_e32 v7, v6
	v_ashrrev_i32_e32 v6, 31, v3
	v_fma_f32 v10, 0xcf800000, v7, |v3|
	v_cvt_u32_f32_e32 v3, v7
	s_delay_alu instid0(VALU_DEP_3) | instskip(NEXT) | instid1(VALU_DEP_3)
	v_mov_b32_e32 v7, v6
	v_cvt_u32_f32_e32 v10, v10
	s_delay_alu instid0(VALU_DEP_3) | instskip(NEXT) | instid1(VALU_DEP_2)
	v_xor_b32_e32 v11, v3, v6
	v_xor_b32_e32 v10, v10, v6
	s_delay_alu instid0(VALU_DEP_1)
	v_sub_nc_u64_e32 v[10:11], v[10:11], v[6:7]
.LBB127_1879:
	s_mov_b32 s9, 0
	s_mov_b32 s8, -1
.LBB127_1880:
	s_and_not1_b32 vcc_lo, exec_lo, s9
	s_mov_b32 s9, 0
	s_cbranch_vccnz .LBB127_1891
; %bb.1881:
	s_cmp_gt_i32 s6, 14
	s_cbranch_scc0 .LBB127_1884
; %bb.1882:
	s_cmp_eq_u32 s6, 15
	s_cbranch_scc0 .LBB127_1887
; %bb.1883:
	global_load_u16 v3, v[8:9], off
	s_mov_b32 s7, 0
	s_mov_b32 s8, -1
	s_wait_loadcnt 0x0
	v_lshlrev_b32_e32 v3, 16, v3
	s_delay_alu instid0(VALU_DEP_1) | instskip(NEXT) | instid1(VALU_DEP_1)
	v_trunc_f32_e32 v3, v3
	v_mul_f32_e64 v6, 0x2f800000, |v3|
	s_delay_alu instid0(VALU_DEP_1) | instskip(SKIP_1) | instid1(VALU_DEP_2)
	v_floor_f32_e32 v7, v6
	v_ashrrev_i32_e32 v6, 31, v3
	v_fma_f32 v10, 0xcf800000, v7, |v3|
	v_cvt_u32_f32_e32 v3, v7
	s_delay_alu instid0(VALU_DEP_3) | instskip(NEXT) | instid1(VALU_DEP_3)
	v_mov_b32_e32 v7, v6
	v_cvt_u32_f32_e32 v10, v10
	s_delay_alu instid0(VALU_DEP_3) | instskip(NEXT) | instid1(VALU_DEP_2)
	v_xor_b32_e32 v11, v3, v6
	v_xor_b32_e32 v10, v10, v6
	s_delay_alu instid0(VALU_DEP_1)
	v_sub_nc_u64_e32 v[10:11], v[10:11], v[6:7]
	s_branch .LBB127_1889
.LBB127_1884:
	s_mov_b32 s9, -1
	s_branch .LBB127_1888
.LBB127_1885:
	s_and_not1_saveexec_b32 s8, s8
	s_cbranch_execz .LBB127_1866
.LBB127_1886:
	v_cmp_ne_u16_e32 vcc_lo, 0, v3
	s_and_not1_b32 s9, s9, exec_lo
	s_and_b32 s10, vcc_lo, exec_lo
	s_delay_alu instid0(SALU_CYCLE_1)
	s_or_b32 s9, s9, s10
	s_or_b32 exec_lo, exec_lo, s8
	v_mov_b64_e32 v[10:11], 0
	s_and_saveexec_b32 s8, s9
	s_cbranch_execnz .LBB127_1867
	s_branch .LBB127_1868
.LBB127_1887:
	s_mov_b32 s7, -1
.LBB127_1888:
                                        ; implicit-def: $vgpr10_vgpr11
.LBB127_1889:
	s_and_b32 vcc_lo, exec_lo, s9
	s_mov_b32 s9, 0
	s_cbranch_vccz .LBB127_1891
; %bb.1890:
	s_cmp_lg_u32 s6, 11
	s_mov_b32 s9, -1
	s_cselect_b32 s6, -1, 0
	s_and_not1_b32 s7, s7, exec_lo
	s_and_b32 s6, s6, exec_lo
	s_delay_alu instid0(SALU_CYCLE_1)
	s_or_b32 s7, s7, s6
.LBB127_1891:
	s_mov_b32 s6, 0
.LBB127_1892:
	s_and_not1_b32 s10, s46, exec_lo
	s_and_b32 s7, s7, exec_lo
	s_and_b32 s8, s8, exec_lo
	;; [unrolled: 1-line block ×4, first 2 shown]
	s_or_b32 s46, s10, s7
	s_wait_xcnt 0x0
	s_or_b32 exec_lo, exec_lo, s0
	s_and_saveexec_b32 s0, s46
	s_cbranch_execz .LBB127_1825
.LBB127_1893:
	s_or_b32 s1, s1, exec_lo
	s_and_not1_b32 s9, s9, exec_lo
	s_trap 2
	s_or_b32 exec_lo, exec_lo, s0
	s_and_saveexec_b32 s0, s9
	s_delay_alu instid0(SALU_CYCLE_1)
	s_xor_b32 s0, exec_lo, s0
	s_cbranch_execnz .LBB127_1826
.LBB127_1894:
	s_or_b32 exec_lo, exec_lo, s0
	s_and_saveexec_b32 s0, s6
	s_cbranch_execz .LBB127_1940
.LBB127_1895:
	s_sext_i32_i16 s6, s21
	s_delay_alu instid0(SALU_CYCLE_1)
	s_cmp_lt_i32 s6, 5
	s_cbranch_scc1 .LBB127_1900
; %bb.1896:
	s_cmp_lt_i32 s6, 8
	s_cbranch_scc1 .LBB127_1901
; %bb.1897:
	;; [unrolled: 3-line block ×3, first 2 shown]
	s_cmp_gt_i32 s6, 9
	s_cbranch_scc0 .LBB127_1903
; %bb.1899:
	s_wait_loadcnt 0x0
	global_load_b64 v[6:7], v[8:9], off
	s_mov_b32 s6, 0
	s_wait_loadcnt 0x0
	v_trunc_f64_e32 v[6:7], v[6:7]
	s_delay_alu instid0(VALU_DEP_1) | instskip(NEXT) | instid1(VALU_DEP_1)
	v_ldexp_f64 v[10:11], v[6:7], 0xffffffe0
	v_floor_f64_e32 v[10:11], v[10:11]
	s_delay_alu instid0(VALU_DEP_1) | instskip(SKIP_1) | instid1(VALU_DEP_2)
	v_fmamk_f64 v[6:7], v[10:11], 0xc1f00000, v[6:7]
	v_cvt_i32_f64_e32 v11, v[10:11]
	v_cvt_u32_f64_e32 v10, v[6:7]
	s_branch .LBB127_1904
.LBB127_1900:
                                        ; implicit-def: $vgpr10_vgpr11
	s_branch .LBB127_1921
.LBB127_1901:
                                        ; implicit-def: $vgpr10_vgpr11
	s_branch .LBB127_1910
.LBB127_1902:
	s_mov_b32 s6, -1
                                        ; implicit-def: $vgpr10_vgpr11
	s_branch .LBB127_1907
.LBB127_1903:
	s_mov_b32 s6, -1
                                        ; implicit-def: $vgpr10_vgpr11
.LBB127_1904:
	s_delay_alu instid0(SALU_CYCLE_1)
	s_and_not1_b32 vcc_lo, exec_lo, s6
	s_cbranch_vccnz .LBB127_1906
; %bb.1905:
	s_wait_loadcnt 0x0
	global_load_b32 v3, v[8:9], off
	s_wait_loadcnt 0x0
	v_trunc_f32_e32 v3, v3
	s_delay_alu instid0(VALU_DEP_1) | instskip(NEXT) | instid1(VALU_DEP_1)
	v_mul_f32_e64 v6, 0x2f800000, |v3|
	v_floor_f32_e32 v7, v6
	v_ashrrev_i32_e32 v6, 31, v3
	s_delay_alu instid0(VALU_DEP_2) | instskip(SKIP_1) | instid1(VALU_DEP_3)
	v_fma_f32 v10, 0xcf800000, v7, |v3|
	v_cvt_u32_f32_e32 v3, v7
	v_mov_b32_e32 v7, v6
	s_delay_alu instid0(VALU_DEP_3) | instskip(NEXT) | instid1(VALU_DEP_3)
	v_cvt_u32_f32_e32 v10, v10
	v_xor_b32_e32 v11, v3, v6
	s_delay_alu instid0(VALU_DEP_2) | instskip(NEXT) | instid1(VALU_DEP_1)
	v_xor_b32_e32 v10, v10, v6
	v_sub_nc_u64_e32 v[10:11], v[10:11], v[6:7]
.LBB127_1906:
	s_mov_b32 s6, 0
.LBB127_1907:
	s_delay_alu instid0(SALU_CYCLE_1)
	s_and_not1_b32 vcc_lo, exec_lo, s6
	s_cbranch_vccnz .LBB127_1909
; %bb.1908:
	s_wait_loadcnt 0x0
	global_load_b32 v3, v[8:9], off
	s_wait_loadcnt 0x0
	v_cvt_f32_f16_e32 v3, v3
	s_delay_alu instid0(VALU_DEP_1) | instskip(NEXT) | instid1(VALU_DEP_1)
	v_cvt_i32_f32_e32 v10, v3
	v_ashrrev_i32_e32 v11, 31, v10
.LBB127_1909:
	s_cbranch_execnz .LBB127_1920
.LBB127_1910:
	s_sext_i32_i16 s6, s21
	s_delay_alu instid0(SALU_CYCLE_1)
	s_cmp_lt_i32 s6, 6
	s_cbranch_scc1 .LBB127_1913
; %bb.1911:
	s_cmp_gt_i32 s6, 6
	s_cbranch_scc0 .LBB127_1914
; %bb.1912:
	s_wait_loadcnt 0x0
	global_load_b64 v[6:7], v[8:9], off
	s_mov_b32 s6, 0
	s_wait_loadcnt 0x0
	v_trunc_f64_e32 v[6:7], v[6:7]
	s_delay_alu instid0(VALU_DEP_1) | instskip(NEXT) | instid1(VALU_DEP_1)
	v_ldexp_f64 v[10:11], v[6:7], 0xffffffe0
	v_floor_f64_e32 v[10:11], v[10:11]
	s_delay_alu instid0(VALU_DEP_1) | instskip(SKIP_1) | instid1(VALU_DEP_2)
	v_fmamk_f64 v[6:7], v[10:11], 0xc1f00000, v[6:7]
	v_cvt_i32_f64_e32 v11, v[10:11]
	v_cvt_u32_f64_e32 v10, v[6:7]
	s_branch .LBB127_1915
.LBB127_1913:
	s_mov_b32 s6, -1
                                        ; implicit-def: $vgpr10_vgpr11
	s_branch .LBB127_1918
.LBB127_1914:
	s_mov_b32 s6, -1
                                        ; implicit-def: $vgpr10_vgpr11
.LBB127_1915:
	s_delay_alu instid0(SALU_CYCLE_1)
	s_and_not1_b32 vcc_lo, exec_lo, s6
	s_cbranch_vccnz .LBB127_1917
; %bb.1916:
	s_wait_loadcnt 0x0
	global_load_b32 v3, v[8:9], off
	s_wait_loadcnt 0x0
	v_trunc_f32_e32 v3, v3
	s_delay_alu instid0(VALU_DEP_1) | instskip(NEXT) | instid1(VALU_DEP_1)
	v_mul_f32_e64 v6, 0x2f800000, |v3|
	v_floor_f32_e32 v7, v6
	v_ashrrev_i32_e32 v6, 31, v3
	s_delay_alu instid0(VALU_DEP_2) | instskip(SKIP_1) | instid1(VALU_DEP_3)
	v_fma_f32 v10, 0xcf800000, v7, |v3|
	v_cvt_u32_f32_e32 v3, v7
	v_mov_b32_e32 v7, v6
	s_delay_alu instid0(VALU_DEP_3) | instskip(NEXT) | instid1(VALU_DEP_3)
	v_cvt_u32_f32_e32 v10, v10
	v_xor_b32_e32 v11, v3, v6
	s_delay_alu instid0(VALU_DEP_2) | instskip(NEXT) | instid1(VALU_DEP_1)
	v_xor_b32_e32 v10, v10, v6
	v_sub_nc_u64_e32 v[10:11], v[10:11], v[6:7]
.LBB127_1917:
	s_mov_b32 s6, 0
.LBB127_1918:
	s_delay_alu instid0(SALU_CYCLE_1)
	s_and_not1_b32 vcc_lo, exec_lo, s6
	s_cbranch_vccnz .LBB127_1920
; %bb.1919:
	s_wait_loadcnt 0x0
	global_load_u16 v3, v[8:9], off
	s_wait_loadcnt 0x0
	v_cvt_f32_f16_e32 v3, v3
	s_delay_alu instid0(VALU_DEP_1) | instskip(NEXT) | instid1(VALU_DEP_1)
	v_cvt_i32_f32_e32 v10, v3
	v_ashrrev_i32_e32 v11, 31, v10
.LBB127_1920:
	s_cbranch_execnz .LBB127_1939
.LBB127_1921:
	s_sext_i32_i16 s6, s21
	s_delay_alu instid0(SALU_CYCLE_1)
	s_cmp_lt_i32 s6, 2
	s_cbranch_scc1 .LBB127_1925
; %bb.1922:
	s_cmp_lt_i32 s6, 3
	s_cbranch_scc1 .LBB127_1926
; %bb.1923:
	s_cmp_gt_i32 s6, 3
	s_cbranch_scc0 .LBB127_1927
; %bb.1924:
	s_wait_loadcnt 0x0
	global_load_b64 v[10:11], v[8:9], off
	s_mov_b32 s6, 0
	s_branch .LBB127_1928
.LBB127_1925:
                                        ; implicit-def: $vgpr10_vgpr11
	s_branch .LBB127_1934
.LBB127_1926:
	s_mov_b32 s6, -1
                                        ; implicit-def: $vgpr10_vgpr11
	s_branch .LBB127_1931
.LBB127_1927:
	s_mov_b32 s6, -1
                                        ; implicit-def: $vgpr10_vgpr11
.LBB127_1928:
	s_delay_alu instid0(SALU_CYCLE_1)
	s_and_not1_b32 vcc_lo, exec_lo, s6
	s_cbranch_vccnz .LBB127_1930
; %bb.1929:
	s_wait_loadcnt 0x0
	global_load_b32 v10, v[8:9], off
	s_wait_loadcnt 0x0
	v_ashrrev_i32_e32 v11, 31, v10
.LBB127_1930:
	s_mov_b32 s6, 0
.LBB127_1931:
	s_delay_alu instid0(SALU_CYCLE_1)
	s_and_not1_b32 vcc_lo, exec_lo, s6
	s_cbranch_vccnz .LBB127_1933
; %bb.1932:
	s_wait_loadcnt 0x0
	global_load_u16 v3, v[8:9], off
	s_wait_loadcnt 0x0
	v_bfe_i32 v10, v3, 0, 16
	s_delay_alu instid0(VALU_DEP_1)
	v_ashrrev_i32_e32 v11, 31, v10
.LBB127_1933:
	s_cbranch_execnz .LBB127_1939
.LBB127_1934:
	s_sext_i32_i16 s6, s21
	s_delay_alu instid0(SALU_CYCLE_1)
	s_cmp_gt_i32 s6, 0
	s_mov_b32 s6, 0
	s_cbranch_scc0 .LBB127_1936
; %bb.1935:
	s_wait_loadcnt 0x0
	global_load_i8 v3, v[8:9], off
	s_wait_loadcnt 0x0
	v_bfe_i32 v10, v3, 0, 16
	s_delay_alu instid0(VALU_DEP_1)
	v_ashrrev_i32_e32 v11, 31, v10
	s_branch .LBB127_1937
.LBB127_1936:
	s_mov_b32 s6, -1
                                        ; implicit-def: $vgpr10_vgpr11
.LBB127_1937:
	s_delay_alu instid0(SALU_CYCLE_1)
	s_and_not1_b32 vcc_lo, exec_lo, s6
	s_cbranch_vccnz .LBB127_1939
; %bb.1938:
	s_wait_loadcnt 0x0
	global_load_u8 v3, v[8:9], off
	s_mov_b32 s6, 0
	s_delay_alu instid0(SALU_CYCLE_1)
	v_mov_b32_e32 v11, s6
	s_wait_loadcnt 0x0
	v_and_b32_e32 v10, 0xffff, v3
.LBB127_1939:
	s_or_b32 s8, s8, exec_lo
.LBB127_1940:
	s_wait_xcnt 0x0
	s_or_b32 exec_lo, exec_lo, s0
	s_mov_b32 s0, 0
	s_mov_b32 s9, 0
                                        ; implicit-def: $sgpr6
                                        ; implicit-def: $vgpr8_vgpr9
                                        ; implicit-def: $vgpr6_vgpr7
	s_and_saveexec_b32 s7, s8
	s_cbranch_execz .LBB127_1948
; %bb.1941:
	s_wait_loadcnt 0x0
	v_max_i64 v[0:1], v[4:5], v[0:1]
	v_mov_b32_e32 v3, 0
	s_and_b32 s6, s38, 0xff
	s_delay_alu instid0(SALU_CYCLE_1) | instskip(NEXT) | instid1(VALU_DEP_1)
	s_cmp_lt_i32 s6, 11
	v_add_nc_u64_e32 v[8:9], s[4:5], v[2:3]
	s_delay_alu instid0(VALU_DEP_3)
	v_min_i64 v[6:7], v[0:1], v[10:11]
	s_cbranch_scc1 .LBB127_1951
; %bb.1942:
	s_and_b32 s4, 0xffff, s6
	s_mov_b32 s5, -1
	s_cmp_gt_i32 s4, 25
	s_mov_b32 s0, s44
	s_cbranch_scc0 .LBB127_1979
; %bb.1943:
	s_cmp_gt_i32 s4, 28
	s_mov_b32 s0, s44
	s_cbranch_scc0 .LBB127_1963
; %bb.1944:
	;; [unrolled: 4-line block ×4, first 2 shown]
	s_cmp_eq_u32 s4, 46
	s_mov_b32 s0, -1
	s_cbranch_scc0 .LBB127_1952
; %bb.1947:
	s_delay_alu instid0(VALU_DEP_1) | instskip(SKIP_3) | instid1(VALU_DEP_2)
	v_xor_b32_e32 v0, v6, v7
	v_cls_i32_e32 v1, v7
	s_mov_b32 s0, 0
	s_mov_b32 s5, 0
	v_ashrrev_i32_e32 v0, 31, v0
	s_delay_alu instid0(VALU_DEP_1) | instskip(NEXT) | instid1(VALU_DEP_1)
	v_add_nc_u32_e32 v0, 32, v0
	v_add_min_u32_e64 v2, v1, -1, v0
	s_delay_alu instid0(VALU_DEP_1) | instskip(NEXT) | instid1(VALU_DEP_1)
	v_lshlrev_b64_e32 v[0:1], v2, v[6:7]
	v_min_u32_e32 v0, 1, v0
	s_delay_alu instid0(VALU_DEP_1) | instskip(NEXT) | instid1(VALU_DEP_1)
	v_dual_sub_nc_u32 v1, 32, v2 :: v_dual_bitop2_b32 v0, v1, v0 bitop3:0x54
	v_cvt_f32_i32_e32 v0, v0
	s_delay_alu instid0(VALU_DEP_1) | instskip(NEXT) | instid1(VALU_DEP_1)
	v_ldexp_f32 v0, v0, v1
	v_bfe_u32 v1, v0, 16, 1
	s_delay_alu instid0(VALU_DEP_1) | instskip(NEXT) | instid1(VALU_DEP_1)
	v_add3_u32 v0, v0, v1, 0x7fff
	v_lshrrev_b32_e32 v0, 16, v0
	global_store_b32 v[8:9], v0, off
	s_branch .LBB127_1953
.LBB127_1948:
	s_or_b32 exec_lo, exec_lo, s7
	s_and_saveexec_b32 s4, s44
	s_cbranch_execnz .LBB127_2021
.LBB127_1949:
	s_or_b32 exec_lo, exec_lo, s4
	s_and_saveexec_b32 s4, s0
	s_delay_alu instid0(SALU_CYCLE_1)
	s_xor_b32 s0, exec_lo, s4
	s_cbranch_execz .LBB127_2022
.LBB127_1950:
	s_delay_alu instid0(VALU_DEP_1)
	v_cmp_ne_u64_e32 vcc_lo, 0, v[6:7]
	s_wait_loadcnt 0x0
	v_cndmask_b32_e64 v0, 0, 1, vcc_lo
	global_store_b8 v[8:9], v0, off
	s_wait_xcnt 0x0
	s_or_b32 exec_lo, exec_lo, s0
	s_and_saveexec_b32 s0, s9
	s_delay_alu instid0(SALU_CYCLE_1)
	s_xor_b32 s0, exec_lo, s0
	s_cbranch_execz .LBB127_2060
	s_branch .LBB127_2023
.LBB127_1951:
	s_mov_b32 s8, 0
	s_mov_b32 s5, -1
	s_mov_b32 s0, s44
	s_branch .LBB127_2020
.LBB127_1952:
	s_mov_b32 s5, 0
.LBB127_1953:
	s_delay_alu instid0(SALU_CYCLE_1)
	s_and_b32 vcc_lo, exec_lo, s5
	s_cbranch_vccz .LBB127_1958
; %bb.1954:
	s_cmp_eq_u32 s4, 44
	s_mov_b32 s0, -1
	s_cbranch_scc0 .LBB127_1958
; %bb.1955:
	s_wait_xcnt 0x0
	s_delay_alu instid0(VALU_DEP_1) | instskip(SKIP_2) | instid1(VALU_DEP_2)
	v_xor_b32_e32 v0, v6, v7
	v_cls_i32_e32 v1, v7
	s_mov_b32 s5, exec_lo
	v_ashrrev_i32_e32 v0, 31, v0
	s_delay_alu instid0(VALU_DEP_1) | instskip(NEXT) | instid1(VALU_DEP_1)
	v_add_nc_u32_e32 v0, 32, v0
	v_add_min_u32_e64 v2, v1, -1, v0
	s_delay_alu instid0(VALU_DEP_1) | instskip(NEXT) | instid1(VALU_DEP_1)
	v_lshlrev_b64_e32 v[0:1], v2, v[6:7]
	v_min_u32_e32 v0, 1, v0
	s_delay_alu instid0(VALU_DEP_1) | instskip(NEXT) | instid1(VALU_DEP_1)
	v_dual_sub_nc_u32 v1, 32, v2 :: v_dual_bitop2_b32 v0, v1, v0 bitop3:0x54
	v_cvt_f32_i32_e32 v0, v0
	s_delay_alu instid0(VALU_DEP_1) | instskip(SKIP_1) | instid1(VALU_DEP_2)
	v_ldexp_f32 v0, v0, v1
	v_mov_b32_e32 v1, 0xff
	v_bfe_u32 v2, v0, 23, 8
	s_delay_alu instid0(VALU_DEP_1)
	v_cmpx_ne_u32_e32 0xff, v2
	s_cbranch_execz .LBB127_1957
; %bb.1956:
	v_and_b32_e32 v1, 0x400000, v0
	v_and_or_b32 v2, 0x3fffff, v0, v2
	v_lshrrev_b32_e32 v0, 23, v0
	s_delay_alu instid0(VALU_DEP_3) | instskip(NEXT) | instid1(VALU_DEP_3)
	v_cmp_ne_u32_e32 vcc_lo, 0, v1
	v_cmp_ne_u32_e64 s0, 0, v2
	s_and_b32 s0, vcc_lo, s0
	s_delay_alu instid0(SALU_CYCLE_1) | instskip(NEXT) | instid1(VALU_DEP_1)
	v_cndmask_b32_e64 v1, 0, 1, s0
	v_add_nc_u32_e32 v1, v0, v1
.LBB127_1957:
	s_or_b32 exec_lo, exec_lo, s5
	s_mov_b32 s0, 0
	global_store_b8 v[8:9], v1, off
.LBB127_1958:
	s_mov_b32 s5, 0
.LBB127_1959:
	s_delay_alu instid0(SALU_CYCLE_1)
	s_and_b32 vcc_lo, exec_lo, s5
	s_cbranch_vccz .LBB127_1962
; %bb.1960:
	s_cmp_eq_u32 s4, 29
	s_mov_b32 s0, -1
	s_cbranch_scc0 .LBB127_1962
; %bb.1961:
	s_mov_b32 s0, 0
	global_store_b64 v[8:9], v[6:7], off
.LBB127_1962:
	s_mov_b32 s5, 0
.LBB127_1963:
	s_delay_alu instid0(SALU_CYCLE_1)
	s_and_b32 vcc_lo, exec_lo, s5
	s_cbranch_vccz .LBB127_1978
; %bb.1964:
	s_cmp_lt_i32 s4, 27
	s_mov_b32 s5, -1
	s_cbranch_scc1 .LBB127_1970
; %bb.1965:
	s_cmp_gt_i32 s4, 27
	s_cbranch_scc0 .LBB127_1967
; %bb.1966:
	s_mov_b32 s5, 0
	global_store_b32 v[8:9], v6, off
.LBB127_1967:
	s_and_not1_b32 vcc_lo, exec_lo, s5
	s_cbranch_vccnz .LBB127_1969
; %bb.1968:
	global_store_b16 v[8:9], v6, off
.LBB127_1969:
	s_mov_b32 s5, 0
.LBB127_1970:
	s_delay_alu instid0(SALU_CYCLE_1)
	s_and_not1_b32 vcc_lo, exec_lo, s5
	s_cbranch_vccnz .LBB127_1978
; %bb.1971:
	s_wait_xcnt 0x0
	s_delay_alu instid0(VALU_DEP_1) | instskip(SKIP_2) | instid1(VALU_DEP_2)
	v_xor_b32_e32 v0, v6, v7
	v_cls_i32_e32 v1, v7
	s_mov_b32 s5, exec_lo
	v_ashrrev_i32_e32 v0, 31, v0
	s_delay_alu instid0(VALU_DEP_1) | instskip(NEXT) | instid1(VALU_DEP_1)
	v_add_nc_u32_e32 v0, 32, v0
	v_add_min_u32_e64 v2, v1, -1, v0
	s_delay_alu instid0(VALU_DEP_1) | instskip(NEXT) | instid1(VALU_DEP_1)
	v_lshlrev_b64_e32 v[0:1], v2, v[6:7]
	v_min_u32_e32 v0, 1, v0
	s_delay_alu instid0(VALU_DEP_1) | instskip(SKIP_1) | instid1(VALU_DEP_2)
	v_dual_sub_nc_u32 v1, 32, v2 :: v_dual_bitop2_b32 v0, v1, v0 bitop3:0x54
	v_mov_b32_e32 v2, 0x80
	v_cvt_f32_i32_e32 v0, v0
	s_delay_alu instid0(VALU_DEP_1) | instskip(NEXT) | instid1(VALU_DEP_1)
	v_ldexp_f32 v0, v0, v1
	v_and_b32_e32 v1, 0x7fffffff, v0
	s_delay_alu instid0(VALU_DEP_1)
	v_cmpx_gt_u32_e32 0x43800000, v1
	s_cbranch_execz .LBB127_1977
; %bb.1972:
	v_cmp_lt_u32_e32 vcc_lo, 0x3bffffff, v1
	s_mov_b32 s8, 0
                                        ; implicit-def: $vgpr1
	s_and_saveexec_b32 s9, vcc_lo
	s_delay_alu instid0(SALU_CYCLE_1)
	s_xor_b32 s9, exec_lo, s9
	s_cbranch_execz .LBB127_2119
; %bb.1973:
	v_bfe_u32 v1, v0, 20, 1
	s_mov_b32 s8, exec_lo
	s_delay_alu instid0(VALU_DEP_1) | instskip(NEXT) | instid1(VALU_DEP_1)
	v_add3_u32 v1, v0, v1, 0x487ffff
	v_lshrrev_b32_e32 v1, 20, v1
	s_and_not1_saveexec_b32 s9, s9
	s_cbranch_execnz .LBB127_2120
.LBB127_1974:
	s_or_b32 exec_lo, exec_lo, s9
	v_mov_b32_e32 v2, 0
	s_and_saveexec_b32 s9, s8
.LBB127_1975:
	v_lshrrev_b32_e32 v0, 24, v0
	s_delay_alu instid0(VALU_DEP_1)
	v_and_or_b32 v2, 0x80, v0, v1
.LBB127_1976:
	s_or_b32 exec_lo, exec_lo, s9
.LBB127_1977:
	s_delay_alu instid0(SALU_CYCLE_1)
	s_or_b32 exec_lo, exec_lo, s5
	global_store_b8 v[8:9], v2, off
.LBB127_1978:
	s_mov_b32 s5, 0
.LBB127_1979:
	s_delay_alu instid0(SALU_CYCLE_1)
	s_and_b32 vcc_lo, exec_lo, s5
	s_mov_b32 s5, 0
	s_cbranch_vccz .LBB127_2019
; %bb.1980:
	s_cmp_gt_i32 s4, 22
	s_mov_b32 s8, -1
	s_cbranch_scc0 .LBB127_2012
; %bb.1981:
	s_cmp_lt_i32 s4, 24
	s_cbranch_scc1 .LBB127_2001
; %bb.1982:
	s_cmp_gt_i32 s4, 24
	s_cbranch_scc0 .LBB127_1990
; %bb.1983:
	s_wait_xcnt 0x0
	s_delay_alu instid0(VALU_DEP_1) | instskip(SKIP_2) | instid1(VALU_DEP_2)
	v_xor_b32_e32 v0, v6, v7
	v_cls_i32_e32 v1, v7
	s_mov_b32 s8, exec_lo
	v_ashrrev_i32_e32 v0, 31, v0
	s_delay_alu instid0(VALU_DEP_1) | instskip(NEXT) | instid1(VALU_DEP_1)
	v_add_nc_u32_e32 v0, 32, v0
	v_add_min_u32_e64 v2, v1, -1, v0
	s_delay_alu instid0(VALU_DEP_1) | instskip(NEXT) | instid1(VALU_DEP_1)
	v_lshlrev_b64_e32 v[0:1], v2, v[6:7]
	v_min_u32_e32 v0, 1, v0
	s_delay_alu instid0(VALU_DEP_1) | instskip(SKIP_1) | instid1(VALU_DEP_2)
	v_dual_sub_nc_u32 v1, 32, v2 :: v_dual_bitop2_b32 v0, v1, v0 bitop3:0x54
	v_mov_b32_e32 v2, 0x80
	v_cvt_f32_i32_e32 v0, v0
	s_delay_alu instid0(VALU_DEP_1) | instskip(NEXT) | instid1(VALU_DEP_1)
	v_ldexp_f32 v0, v0, v1
	v_and_b32_e32 v1, 0x7fffffff, v0
	s_delay_alu instid0(VALU_DEP_1)
	v_cmpx_gt_u32_e32 0x47800000, v1
	s_cbranch_execz .LBB127_1989
; %bb.1984:
	v_cmp_lt_u32_e32 vcc_lo, 0x37ffffff, v1
	s_mov_b32 s9, 0
                                        ; implicit-def: $vgpr1
	s_and_saveexec_b32 s10, vcc_lo
	s_delay_alu instid0(SALU_CYCLE_1)
	s_xor_b32 s10, exec_lo, s10
	s_cbranch_execz .LBB127_2240
; %bb.1985:
	v_bfe_u32 v1, v0, 21, 1
	s_mov_b32 s9, exec_lo
	s_delay_alu instid0(VALU_DEP_1) | instskip(NEXT) | instid1(VALU_DEP_1)
	v_add3_u32 v1, v0, v1, 0x88fffff
	v_lshrrev_b32_e32 v1, 21, v1
	s_and_not1_saveexec_b32 s10, s10
	s_cbranch_execnz .LBB127_2241
.LBB127_1986:
	s_or_b32 exec_lo, exec_lo, s10
	v_mov_b32_e32 v2, 0
	s_and_saveexec_b32 s10, s9
.LBB127_1987:
	v_lshrrev_b32_e32 v0, 24, v0
	s_delay_alu instid0(VALU_DEP_1)
	v_and_or_b32 v2, 0x80, v0, v1
.LBB127_1988:
	s_or_b32 exec_lo, exec_lo, s10
.LBB127_1989:
	s_delay_alu instid0(SALU_CYCLE_1)
	s_or_b32 exec_lo, exec_lo, s8
	s_mov_b32 s8, 0
	global_store_b8 v[8:9], v2, off
.LBB127_1990:
	s_and_b32 vcc_lo, exec_lo, s8
	s_cbranch_vccz .LBB127_2000
; %bb.1991:
	s_wait_xcnt 0x0
	s_delay_alu instid0(VALU_DEP_1) | instskip(SKIP_2) | instid1(VALU_DEP_2)
	v_xor_b32_e32 v0, v6, v7
	v_cls_i32_e32 v1, v7
	s_mov_b32 s8, exec_lo
	v_ashrrev_i32_e32 v0, 31, v0
	s_delay_alu instid0(VALU_DEP_1) | instskip(NEXT) | instid1(VALU_DEP_1)
	v_add_nc_u32_e32 v0, 32, v0
	v_add_min_u32_e64 v2, v1, -1, v0
	s_delay_alu instid0(VALU_DEP_1) | instskip(NEXT) | instid1(VALU_DEP_1)
	v_lshlrev_b64_e32 v[0:1], v2, v[6:7]
	v_min_u32_e32 v0, 1, v0
	s_delay_alu instid0(VALU_DEP_1) | instskip(NEXT) | instid1(VALU_DEP_1)
	v_dual_sub_nc_u32 v1, 32, v2 :: v_dual_bitop2_b32 v0, v1, v0 bitop3:0x54
	v_cvt_f32_i32_e32 v0, v0
	s_delay_alu instid0(VALU_DEP_1) | instskip(NEXT) | instid1(VALU_DEP_1)
	v_ldexp_f32 v0, v0, v1
                                        ; implicit-def: $vgpr1
	v_and_b32_e32 v2, 0x7fffffff, v0
	s_delay_alu instid0(VALU_DEP_1)
	v_cmpx_gt_u32_e32 0x43f00000, v2
	s_xor_b32 s8, exec_lo, s8
	s_cbranch_execz .LBB127_1997
; %bb.1992:
	s_mov_b32 s9, exec_lo
                                        ; implicit-def: $vgpr1
	v_cmpx_lt_u32_e32 0x3c7fffff, v2
	s_xor_b32 s9, exec_lo, s9
; %bb.1993:
	v_bfe_u32 v1, v0, 20, 1
	s_delay_alu instid0(VALU_DEP_1) | instskip(NEXT) | instid1(VALU_DEP_1)
	v_add3_u32 v1, v0, v1, 0x407ffff
	v_and_b32_e32 v2, 0xff00000, v1
	v_lshrrev_b32_e32 v1, 20, v1
	s_delay_alu instid0(VALU_DEP_2) | instskip(NEXT) | instid1(VALU_DEP_2)
	v_cmp_ne_u32_e32 vcc_lo, 0x7f00000, v2
	v_cndmask_b32_e32 v1, 0x7e, v1, vcc_lo
; %bb.1994:
	s_and_not1_saveexec_b32 s9, s9
; %bb.1995:
	v_add_f32_e64 v1, 0x46800000, |v0|
; %bb.1996:
	s_or_b32 exec_lo, exec_lo, s9
                                        ; implicit-def: $vgpr2
.LBB127_1997:
	s_and_not1_saveexec_b32 s8, s8
; %bb.1998:
	v_mov_b32_e32 v1, 0x7f
	v_cmp_lt_u32_e32 vcc_lo, 0x7f800000, v2
	s_delay_alu instid0(VALU_DEP_2)
	v_cndmask_b32_e32 v1, 0x7e, v1, vcc_lo
; %bb.1999:
	s_or_b32 exec_lo, exec_lo, s8
	v_lshrrev_b32_e32 v0, 24, v0
	s_delay_alu instid0(VALU_DEP_1)
	v_and_or_b32 v0, 0x80, v0, v1
	global_store_b8 v[8:9], v0, off
.LBB127_2000:
	s_mov_b32 s8, 0
.LBB127_2001:
	s_delay_alu instid0(SALU_CYCLE_1)
	s_and_not1_b32 vcc_lo, exec_lo, s8
	s_cbranch_vccnz .LBB127_2011
; %bb.2002:
	s_wait_xcnt 0x0
	s_delay_alu instid0(VALU_DEP_1) | instskip(SKIP_2) | instid1(VALU_DEP_2)
	v_xor_b32_e32 v0, v6, v7
	v_cls_i32_e32 v1, v7
	s_mov_b32 s8, exec_lo
	v_ashrrev_i32_e32 v0, 31, v0
	s_delay_alu instid0(VALU_DEP_1) | instskip(NEXT) | instid1(VALU_DEP_1)
	v_add_nc_u32_e32 v0, 32, v0
	v_add_min_u32_e64 v2, v1, -1, v0
	s_delay_alu instid0(VALU_DEP_1) | instskip(NEXT) | instid1(VALU_DEP_1)
	v_lshlrev_b64_e32 v[0:1], v2, v[6:7]
	v_min_u32_e32 v0, 1, v0
	s_delay_alu instid0(VALU_DEP_1) | instskip(NEXT) | instid1(VALU_DEP_1)
	v_dual_sub_nc_u32 v1, 32, v2 :: v_dual_bitop2_b32 v0, v1, v0 bitop3:0x54
	v_cvt_f32_i32_e32 v0, v0
	s_delay_alu instid0(VALU_DEP_1) | instskip(NEXT) | instid1(VALU_DEP_1)
	v_ldexp_f32 v0, v0, v1
                                        ; implicit-def: $vgpr1
	v_and_b32_e32 v2, 0x7fffffff, v0
	s_delay_alu instid0(VALU_DEP_1)
	v_cmpx_gt_u32_e32 0x47800000, v2
	s_xor_b32 s8, exec_lo, s8
	s_cbranch_execz .LBB127_2008
; %bb.2003:
	s_mov_b32 s9, exec_lo
                                        ; implicit-def: $vgpr1
	v_cmpx_lt_u32_e32 0x387fffff, v2
	s_xor_b32 s9, exec_lo, s9
; %bb.2004:
	v_bfe_u32 v1, v0, 21, 1
	s_delay_alu instid0(VALU_DEP_1) | instskip(NEXT) | instid1(VALU_DEP_1)
	v_add3_u32 v1, v0, v1, 0x80fffff
	v_lshrrev_b32_e32 v1, 21, v1
; %bb.2005:
	s_and_not1_saveexec_b32 s9, s9
; %bb.2006:
	v_add_f32_e64 v1, 0x43000000, |v0|
; %bb.2007:
	s_or_b32 exec_lo, exec_lo, s9
                                        ; implicit-def: $vgpr2
.LBB127_2008:
	s_and_not1_saveexec_b32 s8, s8
; %bb.2009:
	v_mov_b32_e32 v1, 0x7f
	v_cmp_lt_u32_e32 vcc_lo, 0x7f800000, v2
	s_delay_alu instid0(VALU_DEP_2)
	v_cndmask_b32_e32 v1, 0x7c, v1, vcc_lo
; %bb.2010:
	s_or_b32 exec_lo, exec_lo, s8
	v_lshrrev_b32_e32 v0, 24, v0
	s_delay_alu instid0(VALU_DEP_1)
	v_and_or_b32 v0, 0x80, v0, v1
	global_store_b8 v[8:9], v0, off
.LBB127_2011:
	s_mov_b32 s8, 0
.LBB127_2012:
	s_delay_alu instid0(SALU_CYCLE_1)
	s_and_not1_b32 vcc_lo, exec_lo, s8
	s_mov_b32 s8, 0
	s_cbranch_vccnz .LBB127_2020
; %bb.2013:
	s_cmp_gt_i32 s4, 14
	s_mov_b32 s8, -1
	s_cbranch_scc0 .LBB127_2017
; %bb.2014:
	s_cmp_eq_u32 s4, 15
	s_mov_b32 s0, -1
	s_cbranch_scc0 .LBB127_2016
; %bb.2015:
	s_wait_xcnt 0x0
	s_delay_alu instid0(VALU_DEP_1) | instskip(SKIP_2) | instid1(VALU_DEP_2)
	v_xor_b32_e32 v0, v6, v7
	v_cls_i32_e32 v1, v7
	s_mov_b32 s0, 0
	v_ashrrev_i32_e32 v0, 31, v0
	s_delay_alu instid0(VALU_DEP_1) | instskip(NEXT) | instid1(VALU_DEP_1)
	v_add_nc_u32_e32 v0, 32, v0
	v_add_min_u32_e64 v2, v1, -1, v0
	s_delay_alu instid0(VALU_DEP_1) | instskip(NEXT) | instid1(VALU_DEP_1)
	v_lshlrev_b64_e32 v[0:1], v2, v[6:7]
	v_min_u32_e32 v0, 1, v0
	s_delay_alu instid0(VALU_DEP_1) | instskip(NEXT) | instid1(VALU_DEP_1)
	v_dual_sub_nc_u32 v1, 32, v2 :: v_dual_bitop2_b32 v0, v1, v0 bitop3:0x54
	v_cvt_f32_i32_e32 v0, v0
	s_delay_alu instid0(VALU_DEP_1) | instskip(NEXT) | instid1(VALU_DEP_1)
	v_ldexp_f32 v0, v0, v1
	v_bfe_u32 v1, v0, 16, 1
	s_delay_alu instid0(VALU_DEP_1)
	v_add3_u32 v0, v0, v1, 0x7fff
	global_store_d16_hi_b16 v[8:9], v0, off
.LBB127_2016:
	s_mov_b32 s8, 0
.LBB127_2017:
	s_delay_alu instid0(SALU_CYCLE_1)
	s_and_b32 vcc_lo, exec_lo, s8
	s_mov_b32 s8, 0
	s_cbranch_vccz .LBB127_2020
; %bb.2018:
	s_cmp_lg_u32 s4, 11
	s_mov_b32 s8, -1
	s_cselect_b32 s4, -1, 0
	s_and_not1_b32 s0, s0, exec_lo
	s_and_b32 s4, s4, exec_lo
	s_delay_alu instid0(SALU_CYCLE_1)
	s_or_b32 s0, s0, s4
	s_branch .LBB127_2020
.LBB127_2019:
	s_mov_b32 s8, 0
.LBB127_2020:
	s_and_b32 s9, s5, exec_lo
	s_and_not1_b32 s4, s44, exec_lo
	s_and_b32 s5, s0, exec_lo
	s_and_b32 s0, s8, exec_lo
	s_or_b32 s44, s4, s5
	s_wait_xcnt 0x0
	s_or_b32 exec_lo, exec_lo, s7
	s_and_saveexec_b32 s4, s44
	s_cbranch_execz .LBB127_1949
.LBB127_2021:
	s_or_b32 s1, s1, exec_lo
	s_and_not1_b32 s0, s0, exec_lo
	s_trap 2
	s_or_b32 exec_lo, exec_lo, s4
	s_and_saveexec_b32 s4, s0
	s_delay_alu instid0(SALU_CYCLE_1)
	s_xor_b32 s0, exec_lo, s4
	s_cbranch_execnz .LBB127_1950
.LBB127_2022:
	s_or_b32 exec_lo, exec_lo, s0
	s_and_saveexec_b32 s0, s9
	s_delay_alu instid0(SALU_CYCLE_1)
	s_xor_b32 s0, exec_lo, s0
	s_cbranch_execz .LBB127_2060
.LBB127_2023:
	s_sext_i32_i16 s5, s6
	s_mov_b32 s4, -1
	s_cmp_lt_i32 s5, 5
	s_cbranch_scc1 .LBB127_2044
; %bb.2024:
	s_cmp_lt_i32 s5, 8
	s_cbranch_scc1 .LBB127_2034
; %bb.2025:
	;; [unrolled: 3-line block ×3, first 2 shown]
	s_cmp_gt_i32 s5, 9
	s_cbranch_scc0 .LBB127_2028
; %bb.2027:
	s_wait_loadcnt 0x0
	v_cvt_f64_i32_e32 v[0:1], v7
	v_cvt_f64_u32_e32 v[2:3], v6
	s_mov_b32 s4, 0
	s_delay_alu instid0(VALU_DEP_2) | instskip(NEXT) | instid1(VALU_DEP_1)
	v_ldexp_f64 v[0:1], v[0:1], 32
	v_dual_add_f64 v[0:1], v[0:1], v[2:3] :: v_dual_mov_b32 v2, 0
	s_delay_alu instid0(VALU_DEP_1)
	v_mov_b32_e32 v3, v2
	global_store_b128 v[8:9], v[0:3], off
.LBB127_2028:
	s_and_not1_b32 vcc_lo, exec_lo, s4
	s_cbranch_vccnz .LBB127_2030
; %bb.2029:
	s_wait_loadcnt 0x0
	v_xor_b32_e32 v0, v6, v7
	v_cls_i32_e32 v1, v7
	s_delay_alu instid0(VALU_DEP_2) | instskip(NEXT) | instid1(VALU_DEP_1)
	v_ashrrev_i32_e32 v0, 31, v0
	v_add_nc_u32_e32 v0, 32, v0
	s_delay_alu instid0(VALU_DEP_1) | instskip(NEXT) | instid1(VALU_DEP_1)
	v_add_min_u32_e64 v2, v1, -1, v0
	v_lshlrev_b64_e32 v[0:1], v2, v[6:7]
	s_delay_alu instid0(VALU_DEP_1) | instskip(NEXT) | instid1(VALU_DEP_1)
	v_min_u32_e32 v0, 1, v0
	v_dual_sub_nc_u32 v1, 32, v2 :: v_dual_bitop2_b32 v0, v1, v0 bitop3:0x54
	s_delay_alu instid0(VALU_DEP_1) | instskip(NEXT) | instid1(VALU_DEP_1)
	v_cvt_f32_i32_e32 v0, v0
	v_ldexp_f32 v0, v0, v1
	v_mov_b32_e32 v1, 0
	global_store_b64 v[8:9], v[0:1], off
.LBB127_2030:
	s_mov_b32 s4, 0
.LBB127_2031:
	s_delay_alu instid0(SALU_CYCLE_1)
	s_and_not1_b32 vcc_lo, exec_lo, s4
	s_cbranch_vccnz .LBB127_2033
; %bb.2032:
	s_wait_loadcnt 0x0
	v_xor_b32_e32 v0, v6, v7
	v_cls_i32_e32 v1, v7
	s_delay_alu instid0(VALU_DEP_2) | instskip(NEXT) | instid1(VALU_DEP_1)
	v_ashrrev_i32_e32 v0, 31, v0
	v_add_nc_u32_e32 v0, 32, v0
	s_delay_alu instid0(VALU_DEP_1) | instskip(NEXT) | instid1(VALU_DEP_1)
	v_add_min_u32_e64 v2, v1, -1, v0
	v_lshlrev_b64_e32 v[0:1], v2, v[6:7]
	s_delay_alu instid0(VALU_DEP_1) | instskip(NEXT) | instid1(VALU_DEP_1)
	v_min_u32_e32 v0, 1, v0
	v_dual_sub_nc_u32 v1, 32, v2 :: v_dual_bitop2_b32 v0, v1, v0 bitop3:0x54
	s_delay_alu instid0(VALU_DEP_1) | instskip(NEXT) | instid1(VALU_DEP_1)
	v_cvt_f32_i32_e32 v0, v0
	v_ldexp_f32 v0, v0, v1
	s_delay_alu instid0(VALU_DEP_1) | instskip(NEXT) | instid1(VALU_DEP_1)
	v_cvt_f16_f32_e32 v0, v0
	v_and_b32_e32 v0, 0xffff, v0
	global_store_b32 v[8:9], v0, off
.LBB127_2033:
	s_mov_b32 s4, 0
.LBB127_2034:
	s_delay_alu instid0(SALU_CYCLE_1)
	s_and_not1_b32 vcc_lo, exec_lo, s4
	s_cbranch_vccnz .LBB127_2043
; %bb.2035:
	s_sext_i32_i16 s5, s6
	s_mov_b32 s4, -1
	s_cmp_lt_i32 s5, 6
	s_cbranch_scc1 .LBB127_2041
; %bb.2036:
	s_cmp_gt_i32 s5, 6
	s_cbranch_scc0 .LBB127_2038
; %bb.2037:
	s_wait_loadcnt 0x0
	v_cvt_f64_i32_e32 v[0:1], v7
	v_cvt_f64_u32_e32 v[2:3], v6
	s_mov_b32 s4, 0
	s_delay_alu instid0(VALU_DEP_2) | instskip(NEXT) | instid1(VALU_DEP_1)
	v_ldexp_f64 v[0:1], v[0:1], 32
	v_add_f64_e32 v[0:1], v[0:1], v[2:3]
	global_store_b64 v[8:9], v[0:1], off
.LBB127_2038:
	s_and_not1_b32 vcc_lo, exec_lo, s4
	s_cbranch_vccnz .LBB127_2040
; %bb.2039:
	s_wait_loadcnt 0x0
	v_xor_b32_e32 v0, v6, v7
	v_cls_i32_e32 v1, v7
	s_delay_alu instid0(VALU_DEP_2) | instskip(NEXT) | instid1(VALU_DEP_1)
	v_ashrrev_i32_e32 v0, 31, v0
	v_add_nc_u32_e32 v0, 32, v0
	s_delay_alu instid0(VALU_DEP_1) | instskip(NEXT) | instid1(VALU_DEP_1)
	v_add_min_u32_e64 v2, v1, -1, v0
	v_lshlrev_b64_e32 v[0:1], v2, v[6:7]
	s_delay_alu instid0(VALU_DEP_1) | instskip(NEXT) | instid1(VALU_DEP_1)
	v_min_u32_e32 v0, 1, v0
	v_dual_sub_nc_u32 v1, 32, v2 :: v_dual_bitop2_b32 v0, v1, v0 bitop3:0x54
	s_delay_alu instid0(VALU_DEP_1) | instskip(NEXT) | instid1(VALU_DEP_1)
	v_cvt_f32_i32_e32 v0, v0
	v_ldexp_f32 v0, v0, v1
	global_store_b32 v[8:9], v0, off
.LBB127_2040:
	s_mov_b32 s4, 0
.LBB127_2041:
	s_delay_alu instid0(SALU_CYCLE_1)
	s_and_not1_b32 vcc_lo, exec_lo, s4
	s_cbranch_vccnz .LBB127_2043
; %bb.2042:
	s_wait_loadcnt 0x0
	v_xor_b32_e32 v0, v6, v7
	v_cls_i32_e32 v1, v7
	s_delay_alu instid0(VALU_DEP_2) | instskip(NEXT) | instid1(VALU_DEP_1)
	v_ashrrev_i32_e32 v0, 31, v0
	v_add_nc_u32_e32 v0, 32, v0
	s_delay_alu instid0(VALU_DEP_1) | instskip(NEXT) | instid1(VALU_DEP_1)
	v_add_min_u32_e64 v2, v1, -1, v0
	v_lshlrev_b64_e32 v[0:1], v2, v[6:7]
	s_delay_alu instid0(VALU_DEP_1) | instskip(NEXT) | instid1(VALU_DEP_1)
	v_min_u32_e32 v0, 1, v0
	v_dual_sub_nc_u32 v1, 32, v2 :: v_dual_bitop2_b32 v0, v1, v0 bitop3:0x54
	s_delay_alu instid0(VALU_DEP_1) | instskip(NEXT) | instid1(VALU_DEP_1)
	v_cvt_f32_i32_e32 v0, v0
	v_ldexp_f32 v0, v0, v1
	s_delay_alu instid0(VALU_DEP_1)
	v_cvt_f16_f32_e32 v0, v0
	global_store_b16 v[8:9], v0, off
.LBB127_2043:
	s_mov_b32 s4, 0
.LBB127_2044:
	s_delay_alu instid0(SALU_CYCLE_1)
	s_and_not1_b32 vcc_lo, exec_lo, s4
	s_cbranch_vccnz .LBB127_2060
; %bb.2045:
	s_sext_i32_i16 s5, s6
	s_mov_b32 s4, -1
	s_cmp_lt_i32 s5, 2
	s_cbranch_scc1 .LBB127_2055
; %bb.2046:
	s_cmp_lt_i32 s5, 3
	s_cbranch_scc1 .LBB127_2052
; %bb.2047:
	s_cmp_gt_i32 s5, 3
	s_cbranch_scc0 .LBB127_2049
; %bb.2048:
	s_mov_b32 s4, 0
	s_wait_loadcnt 0x0
	global_store_b64 v[8:9], v[6:7], off
.LBB127_2049:
	s_and_not1_b32 vcc_lo, exec_lo, s4
	s_cbranch_vccnz .LBB127_2051
; %bb.2050:
	s_wait_loadcnt 0x0
	global_store_b32 v[8:9], v6, off
.LBB127_2051:
	s_mov_b32 s4, 0
.LBB127_2052:
	s_delay_alu instid0(SALU_CYCLE_1)
	s_and_not1_b32 vcc_lo, exec_lo, s4
	s_cbranch_vccnz .LBB127_2054
; %bb.2053:
	s_wait_loadcnt 0x0
	global_store_b16 v[8:9], v6, off
.LBB127_2054:
	s_mov_b32 s4, 0
.LBB127_2055:
	s_delay_alu instid0(SALU_CYCLE_1)
	s_and_not1_b32 vcc_lo, exec_lo, s4
	s_cbranch_vccnz .LBB127_2060
; %bb.2056:
	s_sext_i32_i16 s4, s6
	s_delay_alu instid0(SALU_CYCLE_1)
	s_cmp_gt_i32 s4, 0
	s_mov_b32 s4, -1
	s_cbranch_scc0 .LBB127_2058
; %bb.2057:
	s_mov_b32 s4, 0
	s_wait_loadcnt 0x0
	global_store_b8 v[8:9], v6, off
.LBB127_2058:
	s_and_not1_b32 vcc_lo, exec_lo, s4
	s_cbranch_vccnz .LBB127_2060
; %bb.2059:
	s_wait_loadcnt 0x0
	global_store_b8 v[8:9], v6, off
.LBB127_2060:
	s_wait_xcnt 0x0
	s_or_b32 exec_lo, exec_lo, s0
	s_delay_alu instid0(SALU_CYCLE_1)
	s_and_b32 s10, s1, exec_lo
                                        ; implicit-def: $vgpr1
                                        ; implicit-def: $vgpr0
.LBB127_2061:
	s_or_saveexec_b32 s11, s37
	s_mov_b32 s0, 0
                                        ; implicit-def: $vgpr2_vgpr3
                                        ; implicit-def: $sgpr1
                                        ; implicit-def: $vgpr4_vgpr5
	s_xor_b32 exec_lo, exec_lo, s11
	s_cbranch_execz .LBB127_4060
; %bb.2062:
	v_cndmask_b32_e64 v3, 0, 1, s36
	s_and_not1_b32 vcc_lo, exec_lo, s36
	s_cbranch_vccnz .LBB127_2068
; %bb.2063:
	s_cmp_lg_u32 s33, 0
	s_mov_b32 s6, 0
	s_cbranch_scc0 .LBB127_2072
; %bb.2064:
	s_min_u32 s7, s34, 15
	s_wait_loadcnt 0x0
	v_dual_mov_b32 v12, 0 :: v_dual_mov_b32 v2, v0
	v_dual_mov_b32 v16, 0 :: v_dual_mov_b32 v6, 0
	v_mov_b32_e32 v8, 0
	s_add_co_i32 s4, s7, 1
	s_mov_b64 s[0:1], 0xffffffffffffffe0
	s_and_b32 s8, s4, 30
	s_add_nc_u64 s[0:1], s[2:3], s[0:1]
	s_mov_b64 s[4:5], s[2:3]
.LBB127_2065:                           ; =>This Inner Loop Header: Depth=1
	s_clause 0x1
	s_load_b128 s[20:23], s[4:5], 0x4
	s_load_b64 s[24:25], s[4:5], 0x14
	s_load_b256 s[12:19], s[0:1], 0xe4
	s_add_co_i32 s8, s8, -2
	s_wait_xcnt 0x0
	s_add_nc_u64 s[4:5], s[4:5], 24
	s_cmp_lg_u32 s8, 0
	s_add_nc_u64 s[0:1], s[0:1], 32
	s_wait_kmcnt 0x0
	v_mul_hi_u32 v4, s21, v2
	s_delay_alu instid0(VALU_DEP_1) | instskip(NEXT) | instid1(VALU_DEP_1)
	v_add_nc_u32_e32 v4, v2, v4
	v_lshrrev_b32_e32 v4, s22, v4
	s_delay_alu instid0(VALU_DEP_1) | instskip(SKIP_1) | instid1(VALU_DEP_1)
	v_mul_hi_u32 v5, s24, v4
	v_mul_lo_u32 v7, v4, s20
	v_dual_add_nc_u32 v5, v4, v5 :: v_dual_sub_nc_u32 v7, v2, v7
	s_delay_alu instid0(VALU_DEP_1) | instskip(NEXT) | instid1(VALU_DEP_2)
	v_lshrrev_b32_e32 v2, s25, v5
	v_mad_u32 v8, v7, s13, v8
	v_mad_u32 v6, v7, s12, v6
	;; [unrolled: 1-line block ×4, first 2 shown]
	v_mul_lo_u32 v5, v2, s23
	s_delay_alu instid0(VALU_DEP_1) | instskip(NEXT) | instid1(VALU_DEP_1)
	v_sub_nc_u32_e32 v4, v4, v5
	v_mad_u32 v8, v4, s17, v8
	v_mad_u32 v6, v4, s16, v6
	;; [unrolled: 1-line block ×4, first 2 shown]
	s_cbranch_scc1 .LBB127_2065
; %bb.2066:
	s_bitcmp1_b32 s7, 0
	s_cselect_b32 s7, -1, 0
	s_delay_alu instid0(SALU_CYCLE_1)
	s_and_b32 vcc_lo, exec_lo, s7
	s_cbranch_vccnz .LBB127_2069
; %bb.2067:
	s_load_b96 s[16:18], s[4:5], 0x4
	s_load_b128 s[12:15], s[0:1], 0xe4
	s_wait_kmcnt 0x0
	v_mul_hi_u32 v4, s17, v2
	s_delay_alu instid0(VALU_DEP_1) | instskip(NEXT) | instid1(VALU_DEP_1)
	v_add_nc_u32_e32 v4, v2, v4
	v_lshrrev_b32_e32 v4, s18, v4
	s_delay_alu instid0(VALU_DEP_1) | instskip(NEXT) | instid1(VALU_DEP_1)
	v_mul_lo_u32 v4, v4, s16
	v_sub_nc_u32_e32 v2, v2, v4
	s_delay_alu instid0(VALU_DEP_1)
	v_mad_u32 v6, v2, s12, v6
	v_mad_u32 v8, v2, s13, v8
	;; [unrolled: 1-line block ×4, first 2 shown]
	s_and_not1_b32 vcc_lo, exec_lo, s6
	s_cbranch_vccz .LBB127_2070
	s_branch .LBB127_2073
.LBB127_2068:
	s_mov_b32 s6, -1
                                        ; implicit-def: $vgpr8
                                        ; implicit-def: $vgpr6
                                        ; implicit-def: $vgpr16
                                        ; implicit-def: $vgpr12
.LBB127_2069:
	s_delay_alu instid0(SALU_CYCLE_1)
	s_and_not1_b32 vcc_lo, exec_lo, s6
	s_cbranch_vccnz .LBB127_2073
.LBB127_2070:
	s_clause 0x1
	s_load_b96 s[12:14], s[2:3], 0x4
	s_load_b128 s[4:7], s[2:3], 0xc4
	s_cmp_lt_u32 s33, 2
	s_wait_loadcnt 0x0
	s_wait_kmcnt 0x0
	v_mul_hi_u32 v2, s13, v0
	s_delay_alu instid0(VALU_DEP_1) | instskip(NEXT) | instid1(VALU_DEP_1)
	v_add_nc_u32_e32 v2, v0, v2
	v_lshrrev_b32_e32 v2, s14, v2
	s_delay_alu instid0(VALU_DEP_1) | instskip(NEXT) | instid1(VALU_DEP_1)
	v_mul_lo_u32 v4, v2, s12
	v_sub_nc_u32_e32 v4, v0, v4
	s_delay_alu instid0(VALU_DEP_1)
	v_mul_lo_u32 v8, v4, s5
	v_mul_lo_u32 v6, v4, s4
	;; [unrolled: 1-line block ×4, first 2 shown]
	s_cbranch_scc1 .LBB127_2073
; %bb.2071:
	s_clause 0x1
	s_load_b96 s[12:14], s[2:3], 0x10
	s_load_b128 s[4:7], s[2:3], 0xd4
	s_wait_kmcnt 0x0
	v_mul_hi_u32 v4, s13, v2
	s_delay_alu instid0(VALU_DEP_1) | instskip(NEXT) | instid1(VALU_DEP_1)
	v_add_nc_u32_e32 v4, v2, v4
	v_lshrrev_b32_e32 v4, s14, v4
	s_delay_alu instid0(VALU_DEP_1) | instskip(NEXT) | instid1(VALU_DEP_1)
	v_mul_lo_u32 v4, v4, s12
	v_sub_nc_u32_e32 v2, v2, v4
	s_delay_alu instid0(VALU_DEP_1)
	v_mad_u32 v6, v2, s4, v6
	v_mad_u32 v8, v2, s5, v8
	;; [unrolled: 1-line block ×4, first 2 shown]
	s_branch .LBB127_2073
.LBB127_2072:
	s_wait_loadcnt 0x0
	v_dual_mov_b32 v8, 0 :: v_dual_mov_b32 v6, 0
	v_dual_mov_b32 v16, 0 :: v_dual_mov_b32 v12, 0
	s_and_not1_b32 vcc_lo, exec_lo, s6
	s_cbranch_vccz .LBB127_2070
.LBB127_2073:
	v_cmp_ne_u32_e32 vcc_lo, 1, v3
	s_wait_loadcnt 0x0
	v_add_nc_u32_e32 v2, 0x80, v0
	s_cbranch_vccnz .LBB127_2079
; %bb.2074:
	s_cmp_lg_u32 s33, 0
	s_mov_b32 s6, 0
	s_cbranch_scc0 .LBB127_2083
; %bb.2075:
	s_min_u32 s7, s34, 15
	v_dual_mov_b32 v22, 0 :: v_dual_mov_b32 v5, v2
	v_dual_mov_b32 v26, 0 :: v_dual_mov_b32 v4, 0
	v_mov_b32_e32 v18, 0
	s_add_co_i32 s4, s7, 1
	s_mov_b64 s[0:1], 0xffffffffffffffe0
	s_and_b32 s8, s4, 30
	s_add_nc_u64 s[0:1], s[2:3], s[0:1]
	s_mov_b64 s[4:5], s[2:3]
.LBB127_2076:                           ; =>This Inner Loop Header: Depth=1
	s_clause 0x1
	s_load_b128 s[20:23], s[4:5], 0x4
	s_load_b64 s[24:25], s[4:5], 0x14
	s_load_b256 s[12:19], s[0:1], 0xe4
	s_add_co_i32 s8, s8, -2
	s_wait_xcnt 0x0
	s_add_nc_u64 s[4:5], s[4:5], 24
	s_cmp_lg_u32 s8, 0
	s_add_nc_u64 s[0:1], s[0:1], 32
	s_wait_kmcnt 0x0
	v_mul_hi_u32 v7, s21, v5
	s_delay_alu instid0(VALU_DEP_1) | instskip(NEXT) | instid1(VALU_DEP_1)
	v_add_nc_u32_e32 v7, v5, v7
	v_lshrrev_b32_e32 v7, s22, v7
	s_delay_alu instid0(VALU_DEP_1) | instskip(SKIP_1) | instid1(VALU_DEP_1)
	v_mul_hi_u32 v9, s24, v7
	v_mul_lo_u32 v10, v7, s20
	v_dual_add_nc_u32 v9, v7, v9 :: v_dual_sub_nc_u32 v10, v5, v10
	s_delay_alu instid0(VALU_DEP_1) | instskip(NEXT) | instid1(VALU_DEP_2)
	v_lshrrev_b32_e32 v5, s25, v9
	v_mad_u32 v11, v10, s13, v18
	v_mad_u32 v4, v10, s12, v4
	;; [unrolled: 1-line block ×4, first 2 shown]
	v_mul_lo_u32 v9, v5, s23
	s_delay_alu instid0(VALU_DEP_1) | instskip(NEXT) | instid1(VALU_DEP_1)
	v_sub_nc_u32_e32 v7, v7, v9
	v_mad_u32 v18, v7, s17, v11
	v_mad_u32 v4, v7, s16, v4
	;; [unrolled: 1-line block ×4, first 2 shown]
	s_cbranch_scc1 .LBB127_2076
; %bb.2077:
	s_bitcmp1_b32 s7, 0
	s_cselect_b32 s7, -1, 0
	s_delay_alu instid0(SALU_CYCLE_1)
	s_and_b32 vcc_lo, exec_lo, s7
	s_cbranch_vccnz .LBB127_2080
; %bb.2078:
	s_load_b96 s[16:18], s[4:5], 0x4
	s_load_b128 s[12:15], s[0:1], 0xe4
	s_wait_kmcnt 0x0
	v_mul_hi_u32 v7, s17, v5
	s_delay_alu instid0(VALU_DEP_1) | instskip(NEXT) | instid1(VALU_DEP_1)
	v_add_nc_u32_e32 v7, v5, v7
	v_lshrrev_b32_e32 v7, s18, v7
	s_delay_alu instid0(VALU_DEP_1) | instskip(NEXT) | instid1(VALU_DEP_1)
	v_mul_lo_u32 v7, v7, s16
	v_sub_nc_u32_e32 v5, v5, v7
	s_delay_alu instid0(VALU_DEP_1)
	v_mad_u32 v4, v5, s12, v4
	v_mad_u32 v18, v5, s13, v18
	;; [unrolled: 1-line block ×4, first 2 shown]
	s_and_not1_b32 vcc_lo, exec_lo, s6
	s_cbranch_vccz .LBB127_2081
	s_branch .LBB127_2084
.LBB127_2079:
	s_mov_b32 s6, -1
                                        ; implicit-def: $vgpr18
                                        ; implicit-def: $vgpr4
                                        ; implicit-def: $vgpr26
                                        ; implicit-def: $vgpr22
.LBB127_2080:
	s_delay_alu instid0(SALU_CYCLE_1)
	s_and_not1_b32 vcc_lo, exec_lo, s6
	s_cbranch_vccnz .LBB127_2084
.LBB127_2081:
	s_clause 0x1
	s_load_b96 s[12:14], s[2:3], 0x4
	s_load_b128 s[4:7], s[2:3], 0xc4
	s_cmp_lt_u32 s33, 2
	s_wait_kmcnt 0x0
	v_mul_hi_u32 v4, s13, v2
	s_delay_alu instid0(VALU_DEP_1) | instskip(NEXT) | instid1(VALU_DEP_1)
	v_add_nc_u32_e32 v4, v2, v4
	v_lshrrev_b32_e32 v5, s14, v4
	s_delay_alu instid0(VALU_DEP_1) | instskip(NEXT) | instid1(VALU_DEP_1)
	v_mul_lo_u32 v4, v5, s12
	v_sub_nc_u32_e32 v2, v2, v4
	s_delay_alu instid0(VALU_DEP_1)
	v_mul_lo_u32 v18, v2, s5
	v_mul_lo_u32 v4, v2, s4
	;; [unrolled: 1-line block ×4, first 2 shown]
	s_cbranch_scc1 .LBB127_2084
; %bb.2082:
	s_clause 0x1
	s_load_b96 s[12:14], s[2:3], 0x10
	s_load_b128 s[4:7], s[2:3], 0xd4
	s_wait_kmcnt 0x0
	v_mul_hi_u32 v2, s13, v5
	s_delay_alu instid0(VALU_DEP_1) | instskip(NEXT) | instid1(VALU_DEP_1)
	v_add_nc_u32_e32 v2, v5, v2
	v_lshrrev_b32_e32 v2, s14, v2
	s_delay_alu instid0(VALU_DEP_1) | instskip(NEXT) | instid1(VALU_DEP_1)
	v_mul_lo_u32 v2, v2, s12
	v_sub_nc_u32_e32 v2, v5, v2
	s_delay_alu instid0(VALU_DEP_1)
	v_mad_u32 v4, v2, s4, v4
	v_mad_u32 v18, v2, s5, v18
	;; [unrolled: 1-line block ×4, first 2 shown]
	s_branch .LBB127_2084
.LBB127_2083:
	v_dual_mov_b32 v18, 0 :: v_dual_mov_b32 v4, 0
	v_dual_mov_b32 v26, 0 :: v_dual_mov_b32 v22, 0
	s_and_not1_b32 vcc_lo, exec_lo, s6
	s_cbranch_vccz .LBB127_2081
.LBB127_2084:
	v_cmp_ne_u32_e32 vcc_lo, 1, v3
	v_add_nc_u32_e32 v0, 0x100, v0
	s_cbranch_vccnz .LBB127_2090
; %bb.2085:
	s_cmp_lg_u32 s33, 0
	s_mov_b32 s6, 0
	s_cbranch_scc0 .LBB127_2094
; %bb.2086:
	s_min_u32 s7, s34, 15
	v_dual_mov_b32 v30, 0 :: v_dual_mov_b32 v5, v0
	v_dual_mov_b32 v24, 0 :: v_dual_mov_b32 v2, 0
	v_mov_b32_e32 v28, 0
	s_add_co_i32 s4, s7, 1
	s_mov_b64 s[0:1], 0xffffffffffffffe0
	s_and_b32 s8, s4, 30
	s_add_nc_u64 s[0:1], s[2:3], s[0:1]
	s_mov_b64 s[4:5], s[2:3]
.LBB127_2087:                           ; =>This Inner Loop Header: Depth=1
	s_clause 0x1
	s_load_b128 s[20:23], s[4:5], 0x4
	s_load_b64 s[24:25], s[4:5], 0x14
	s_load_b256 s[12:19], s[0:1], 0xe4
	s_add_co_i32 s8, s8, -2
	s_wait_xcnt 0x0
	s_add_nc_u64 s[4:5], s[4:5], 24
	s_cmp_lg_u32 s8, 0
	s_add_nc_u64 s[0:1], s[0:1], 32
	s_wait_kmcnt 0x0
	v_mul_hi_u32 v7, s21, v5
	s_delay_alu instid0(VALU_DEP_1) | instskip(NEXT) | instid1(VALU_DEP_1)
	v_add_nc_u32_e32 v7, v5, v7
	v_lshrrev_b32_e32 v7, s22, v7
	s_delay_alu instid0(VALU_DEP_1) | instskip(SKIP_1) | instid1(VALU_DEP_1)
	v_mul_hi_u32 v9, s24, v7
	v_mul_lo_u32 v10, v7, s20
	v_dual_add_nc_u32 v9, v7, v9 :: v_dual_sub_nc_u32 v10, v5, v10
	s_delay_alu instid0(VALU_DEP_1) | instskip(NEXT) | instid1(VALU_DEP_2)
	v_lshrrev_b32_e32 v5, s25, v9
	v_mad_u32 v11, v10, s13, v28
	v_mad_u32 v2, v10, s12, v2
	;; [unrolled: 1-line block ×4, first 2 shown]
	v_mul_lo_u32 v9, v5, s23
	s_delay_alu instid0(VALU_DEP_1) | instskip(NEXT) | instid1(VALU_DEP_1)
	v_sub_nc_u32_e32 v7, v7, v9
	v_mad_u32 v28, v7, s17, v11
	v_mad_u32 v2, v7, s16, v2
	;; [unrolled: 1-line block ×4, first 2 shown]
	s_cbranch_scc1 .LBB127_2087
; %bb.2088:
	s_bitcmp1_b32 s7, 0
	s_cselect_b32 s7, -1, 0
	s_delay_alu instid0(SALU_CYCLE_1)
	s_and_b32 vcc_lo, exec_lo, s7
	s_cbranch_vccnz .LBB127_2091
; %bb.2089:
	s_load_b96 s[16:18], s[4:5], 0x4
	s_load_b128 s[12:15], s[0:1], 0xe4
	s_wait_kmcnt 0x0
	v_mul_hi_u32 v7, s17, v5
	s_delay_alu instid0(VALU_DEP_1) | instskip(NEXT) | instid1(VALU_DEP_1)
	v_add_nc_u32_e32 v7, v5, v7
	v_lshrrev_b32_e32 v7, s18, v7
	s_delay_alu instid0(VALU_DEP_1) | instskip(NEXT) | instid1(VALU_DEP_1)
	v_mul_lo_u32 v7, v7, s16
	v_sub_nc_u32_e32 v5, v5, v7
	s_delay_alu instid0(VALU_DEP_1)
	v_mad_u32 v2, v5, s12, v2
	v_mad_u32 v28, v5, s13, v28
	;; [unrolled: 1-line block ×4, first 2 shown]
	s_and_not1_b32 vcc_lo, exec_lo, s6
	s_cbranch_vccz .LBB127_2092
	s_branch .LBB127_2095
.LBB127_2090:
	s_mov_b32 s6, -1
                                        ; implicit-def: $vgpr28
                                        ; implicit-def: $vgpr2
                                        ; implicit-def: $vgpr24
                                        ; implicit-def: $vgpr30
.LBB127_2091:
	s_delay_alu instid0(SALU_CYCLE_1)
	s_and_not1_b32 vcc_lo, exec_lo, s6
	s_cbranch_vccnz .LBB127_2095
.LBB127_2092:
	s_clause 0x1
	s_load_b96 s[12:14], s[2:3], 0x4
	s_load_b128 s[4:7], s[2:3], 0xc4
	s_cmp_lt_u32 s33, 2
	s_wait_kmcnt 0x0
	v_mul_hi_u32 v2, s13, v0
	s_delay_alu instid0(VALU_DEP_1) | instskip(NEXT) | instid1(VALU_DEP_1)
	v_add_nc_u32_e32 v2, v0, v2
	v_lshrrev_b32_e32 v5, s14, v2
	s_delay_alu instid0(VALU_DEP_1) | instskip(NEXT) | instid1(VALU_DEP_1)
	v_mul_lo_u32 v2, v5, s12
	v_sub_nc_u32_e32 v0, v0, v2
	s_delay_alu instid0(VALU_DEP_1)
	v_mul_lo_u32 v28, v0, s5
	v_mul_lo_u32 v2, v0, s4
	;; [unrolled: 1-line block ×4, first 2 shown]
	s_cbranch_scc1 .LBB127_2095
; %bb.2093:
	s_clause 0x1
	s_load_b96 s[12:14], s[2:3], 0x10
	s_load_b128 s[4:7], s[2:3], 0xd4
	s_wait_kmcnt 0x0
	v_mul_hi_u32 v0, s13, v5
	s_delay_alu instid0(VALU_DEP_1) | instskip(NEXT) | instid1(VALU_DEP_1)
	v_add_nc_u32_e32 v0, v5, v0
	v_lshrrev_b32_e32 v0, s14, v0
	s_delay_alu instid0(VALU_DEP_1) | instskip(NEXT) | instid1(VALU_DEP_1)
	v_mul_lo_u32 v0, v0, s12
	v_sub_nc_u32_e32 v0, v5, v0
	s_delay_alu instid0(VALU_DEP_1)
	v_mad_u32 v2, v0, s4, v2
	v_mad_u32 v28, v0, s5, v28
	v_mad_u32 v30, v0, s6, v30
	v_mad_u32 v24, v0, s7, v24
	s_branch .LBB127_2095
.LBB127_2094:
	v_dual_mov_b32 v28, 0 :: v_dual_mov_b32 v2, 0
	v_dual_mov_b32 v24, 0 :: v_dual_mov_b32 v30, 0
	s_and_not1_b32 vcc_lo, exec_lo, s6
	s_cbranch_vccz .LBB127_2092
.LBB127_2095:
	v_cmp_ne_u32_e32 vcc_lo, 1, v3
	s_cbranch_vccnz .LBB127_2101
; %bb.2096:
	s_cmp_lg_u32 s33, 0
	s_mov_b32 s6, 0
	s_cbranch_scc0 .LBB127_2105
; %bb.2097:
	s_min_u32 s7, s34, 15
	v_dual_mov_b32 v14, 0 :: v_dual_mov_b32 v3, v1
	v_dual_mov_b32 v10, 0 :: v_dual_mov_b32 v0, 0
	v_mov_b32_e32 v20, 0
	s_add_co_i32 s4, s7, 1
	s_mov_b64 s[0:1], 0xffffffffffffffe0
	s_and_b32 s8, s4, 30
	s_add_nc_u64 s[0:1], s[2:3], s[0:1]
	s_mov_b64 s[4:5], s[2:3]
.LBB127_2098:                           ; =>This Inner Loop Header: Depth=1
	s_clause 0x1
	s_load_b128 s[20:23], s[4:5], 0x4
	s_load_b64 s[24:25], s[4:5], 0x14
	s_load_b256 s[12:19], s[0:1], 0xe4
	s_add_co_i32 s8, s8, -2
	s_wait_xcnt 0x0
	s_add_nc_u64 s[4:5], s[4:5], 24
	s_cmp_lg_u32 s8, 0
	s_add_nc_u64 s[0:1], s[0:1], 32
	s_wait_kmcnt 0x0
	v_mul_hi_u32 v5, s21, v3
	s_delay_alu instid0(VALU_DEP_1) | instskip(NEXT) | instid1(VALU_DEP_1)
	v_add_nc_u32_e32 v5, v3, v5
	v_lshrrev_b32_e32 v5, s22, v5
	s_delay_alu instid0(VALU_DEP_1) | instskip(SKIP_1) | instid1(VALU_DEP_1)
	v_mul_hi_u32 v7, s24, v5
	v_mul_lo_u32 v9, v5, s20
	v_dual_add_nc_u32 v7, v5, v7 :: v_dual_sub_nc_u32 v9, v3, v9
	s_delay_alu instid0(VALU_DEP_1) | instskip(NEXT) | instid1(VALU_DEP_2)
	v_lshrrev_b32_e32 v3, s25, v7
	v_mad_u32 v11, v9, s13, v20
	v_mad_u32 v0, v9, s12, v0
	;; [unrolled: 1-line block ×4, first 2 shown]
	v_mul_lo_u32 v7, v3, s23
	s_delay_alu instid0(VALU_DEP_1) | instskip(NEXT) | instid1(VALU_DEP_1)
	v_sub_nc_u32_e32 v5, v5, v7
	v_mad_u32 v20, v5, s17, v11
	v_mad_u32 v0, v5, s16, v0
	;; [unrolled: 1-line block ×4, first 2 shown]
	s_cbranch_scc1 .LBB127_2098
; %bb.2099:
	s_bitcmp1_b32 s7, 0
	s_cselect_b32 s7, -1, 0
	s_delay_alu instid0(SALU_CYCLE_1)
	s_and_b32 vcc_lo, exec_lo, s7
	s_cbranch_vccnz .LBB127_2102
; %bb.2100:
	s_load_b96 s[16:18], s[4:5], 0x4
	s_load_b128 s[12:15], s[0:1], 0xe4
	s_wait_kmcnt 0x0
	v_mul_hi_u32 v5, s17, v3
	s_delay_alu instid0(VALU_DEP_1) | instskip(NEXT) | instid1(VALU_DEP_1)
	v_add_nc_u32_e32 v5, v3, v5
	v_lshrrev_b32_e32 v5, s18, v5
	s_delay_alu instid0(VALU_DEP_1) | instskip(NEXT) | instid1(VALU_DEP_1)
	v_mul_lo_u32 v5, v5, s16
	v_sub_nc_u32_e32 v3, v3, v5
	s_delay_alu instid0(VALU_DEP_1)
	v_mad_u32 v0, v3, s12, v0
	v_mad_u32 v20, v3, s13, v20
	;; [unrolled: 1-line block ×4, first 2 shown]
	s_and_not1_b32 vcc_lo, exec_lo, s6
	s_cbranch_vccz .LBB127_2103
	s_branch .LBB127_2106
.LBB127_2101:
	s_mov_b32 s6, -1
                                        ; implicit-def: $vgpr20
                                        ; implicit-def: $vgpr0
                                        ; implicit-def: $vgpr10
                                        ; implicit-def: $vgpr14
.LBB127_2102:
	s_delay_alu instid0(SALU_CYCLE_1)
	s_and_not1_b32 vcc_lo, exec_lo, s6
	s_cbranch_vccnz .LBB127_2106
.LBB127_2103:
	s_clause 0x1
	s_load_b96 s[12:14], s[2:3], 0x4
	s_load_b128 s[4:7], s[2:3], 0xc4
	s_cmp_lt_u32 s33, 2
	s_wait_kmcnt 0x0
	v_mul_hi_u32 v0, s13, v1
	s_delay_alu instid0(VALU_DEP_1) | instskip(NEXT) | instid1(VALU_DEP_1)
	v_add_nc_u32_e32 v0, v1, v0
	v_lshrrev_b32_e32 v3, s14, v0
	s_delay_alu instid0(VALU_DEP_1) | instskip(NEXT) | instid1(VALU_DEP_1)
	v_mul_lo_u32 v0, v3, s12
	v_sub_nc_u32_e32 v1, v1, v0
	s_delay_alu instid0(VALU_DEP_1)
	v_mul_lo_u32 v20, v1, s5
	v_mul_lo_u32 v0, v1, s4
	;; [unrolled: 1-line block ×4, first 2 shown]
	s_cbranch_scc1 .LBB127_2106
; %bb.2104:
	s_clause 0x1
	s_load_b96 s[12:14], s[2:3], 0x10
	s_load_b128 s[4:7], s[2:3], 0xd4
	s_wait_kmcnt 0x0
	v_mul_hi_u32 v1, s13, v3
	s_delay_alu instid0(VALU_DEP_1) | instskip(NEXT) | instid1(VALU_DEP_1)
	v_add_nc_u32_e32 v1, v3, v1
	v_lshrrev_b32_e32 v1, s14, v1
	s_delay_alu instid0(VALU_DEP_1) | instskip(NEXT) | instid1(VALU_DEP_1)
	v_mul_lo_u32 v1, v1, s12
	v_sub_nc_u32_e32 v1, v3, v1
	s_delay_alu instid0(VALU_DEP_1)
	v_mad_u32 v0, v1, s4, v0
	v_mad_u32 v20, v1, s5, v20
	;; [unrolled: 1-line block ×4, first 2 shown]
	s_branch .LBB127_2106
.LBB127_2105:
	v_dual_mov_b32 v20, 0 :: v_dual_mov_b32 v0, 0
	v_dual_mov_b32 v10, 0 :: v_dual_mov_b32 v14, 0
	s_and_not1_b32 vcc_lo, exec_lo, s6
	s_cbranch_vccz .LBB127_2103
.LBB127_2106:
	v_mov_b32_e32 v9, 0
	s_load_b128 s[4:7], s[2:3], 0x1c8
	global_load_u8 v1, v9, s[2:3] offset:490
	s_wait_kmcnt 0x0
	v_add_nc_u64_e32 v[32:33], s[6:7], v[8:9]
	s_wait_loadcnt 0x0
	v_and_b32_e32 v3, 0xffff, v1
	v_readfirstlane_b32 s13, v1
	s_delay_alu instid0(VALU_DEP_2)
	v_cmp_gt_i32_e32 vcc_lo, 11, v3
	s_cbranch_vccnz .LBB127_2113
; %bb.2107:
	s_and_b32 s0, 0xffff, s13
	s_mov_b32 s8, 0
	s_cmp_gt_i32 s0, 25
	s_cbranch_scc0 .LBB127_2115
; %bb.2108:
	s_cmp_gt_i32 s0, 28
	s_cbranch_scc0 .LBB127_2116
; %bb.2109:
	;; [unrolled: 3-line block ×4, first 2 shown]
	s_cmp_eq_u32 s0, 46
	s_mov_b32 s12, 0
	s_cbranch_scc0 .LBB127_2121
; %bb.2112:
	global_load_b32 v1, v[32:33], off
	s_mov_b32 s1, 0
	s_mov_b32 s9, -1
	s_wait_loadcnt 0x0
	v_lshlrev_b32_e32 v1, 16, v1
	s_delay_alu instid0(VALU_DEP_1) | instskip(NEXT) | instid1(VALU_DEP_1)
	v_trunc_f32_e32 v1, v1
	v_mul_f32_e64 v3, 0x2f800000, |v1|
	v_ashrrev_i32_e32 v8, 31, v1
	s_delay_alu instid0(VALU_DEP_2) | instskip(SKIP_1) | instid1(VALU_DEP_2)
	v_floor_f32_e32 v3, v3
	s_wait_xcnt 0x1
	v_mov_b32_e32 v9, v8
	s_delay_alu instid0(VALU_DEP_2) | instskip(SKIP_1) | instid1(VALU_DEP_2)
	v_fma_f32 v5, 0xcf800000, v3, |v1|
	v_cvt_u32_f32_e32 v1, v3
	v_cvt_u32_f32_e32 v3, v5
	s_delay_alu instid0(VALU_DEP_2) | instskip(NEXT) | instid1(VALU_DEP_2)
	v_xor_b32_e32 v35, v1, v8
	v_xor_b32_e32 v34, v3, v8
	s_delay_alu instid0(VALU_DEP_1)
	v_sub_nc_u64_e32 v[8:9], v[34:35], v[8:9]
	s_branch .LBB127_2123
.LBB127_2113:
	s_mov_b32 s9, 0
	s_mov_b32 s12, s10
                                        ; implicit-def: $vgpr8_vgpr9
	s_cbranch_execnz .LBB127_2181
.LBB127_2114:
	s_and_not1_b32 vcc_lo, exec_lo, s9
	s_cbranch_vccz .LBB127_2226
	s_branch .LBB127_4058
.LBB127_2115:
	s_mov_b32 s9, 0
	s_mov_b32 s1, 0
                                        ; implicit-def: $vgpr8_vgpr9
	s_cbranch_execnz .LBB127_2148
	s_branch .LBB127_2177
.LBB127_2116:
	s_mov_b32 s9, 0
	s_mov_b32 s1, 0
                                        ; implicit-def: $vgpr8_vgpr9
	s_cbranch_execz .LBB127_2147
	s_branch .LBB127_2132
.LBB127_2117:
	s_mov_b32 s9, 0
	s_mov_b32 s1, 0
                                        ; implicit-def: $vgpr8_vgpr9
	s_cbranch_execnz .LBB127_2128
	s_branch .LBB127_2131
.LBB127_2118:
	s_mov_b32 s12, -1
	s_mov_b32 s9, 0
	s_mov_b32 s1, 0
	s_branch .LBB127_2122
.LBB127_2119:
	s_and_not1_saveexec_b32 s9, s9
	s_cbranch_execz .LBB127_1974
.LBB127_2120:
	v_add_f32_e64 v1, 0x46000000, |v0|
	s_and_not1_b32 s8, s8, exec_lo
	s_delay_alu instid0(VALU_DEP_1) | instskip(NEXT) | instid1(VALU_DEP_1)
	v_and_b32_e32 v1, 0xff, v1
	v_cmp_ne_u32_e32 vcc_lo, 0, v1
	s_and_b32 s10, vcc_lo, exec_lo
	s_delay_alu instid0(SALU_CYCLE_1)
	s_or_b32 s8, s8, s10
	s_or_b32 exec_lo, exec_lo, s9
	v_mov_b32_e32 v2, 0
	s_and_saveexec_b32 s9, s8
	s_cbranch_execnz .LBB127_1975
	s_branch .LBB127_1976
.LBB127_2121:
	s_mov_b32 s1, -1
	s_mov_b32 s9, 0
.LBB127_2122:
                                        ; implicit-def: $vgpr8_vgpr9
.LBB127_2123:
	s_and_b32 vcc_lo, exec_lo, s12
	s_cbranch_vccz .LBB127_2126
; %bb.2124:
	s_cmp_eq_u32 s0, 44
	s_cbranch_scc0 .LBB127_2127
; %bb.2125:
	global_load_u8 v1, v[32:33], off
	s_mov_b32 s1, 0
	s_mov_b32 s9, -1
	s_wait_loadcnt 0x0
	v_lshlrev_b32_e32 v3, 23, v1
	v_cmp_ne_u32_e32 vcc_lo, 0, v1
	s_delay_alu instid0(VALU_DEP_2) | instskip(NEXT) | instid1(VALU_DEP_1)
	v_trunc_f32_e32 v3, v3
	v_mul_f32_e64 v5, 0x2f800000, |v3|
	v_ashrrev_i32_e32 v8, 31, v3
	s_delay_alu instid0(VALU_DEP_2) | instskip(SKIP_1) | instid1(VALU_DEP_2)
	v_floor_f32_e32 v5, v5
	s_wait_xcnt 0x1
	v_mov_b32_e32 v9, v8
	s_delay_alu instid0(VALU_DEP_2) | instskip(SKIP_1) | instid1(VALU_DEP_2)
	v_fma_f32 v7, 0xcf800000, v5, |v3|
	v_cvt_u32_f32_e32 v3, v5
	v_cvt_u32_f32_e32 v5, v7
	s_delay_alu instid0(VALU_DEP_2) | instskip(NEXT) | instid1(VALU_DEP_2)
	v_xor_b32_e32 v35, v3, v8
	v_xor_b32_e32 v34, v5, v8
	s_delay_alu instid0(VALU_DEP_1) | instskip(NEXT) | instid1(VALU_DEP_1)
	v_sub_nc_u64_e32 v[8:9], v[34:35], v[8:9]
	v_dual_cndmask_b32 v9, 0, v9 :: v_dual_cndmask_b32 v8, 0, v8
.LBB127_2126:
	s_branch .LBB127_2131
.LBB127_2127:
	s_mov_b32 s1, -1
                                        ; implicit-def: $vgpr8_vgpr9
	s_branch .LBB127_2131
.LBB127_2128:
	s_cmp_eq_u32 s0, 29
	s_cbranch_scc0 .LBB127_2130
; %bb.2129:
	global_load_b64 v[8:9], v[32:33], off
	s_mov_b32 s1, 0
	s_mov_b32 s9, -1
	s_branch .LBB127_2131
.LBB127_2130:
	s_mov_b32 s1, -1
                                        ; implicit-def: $vgpr8_vgpr9
.LBB127_2131:
	s_branch .LBB127_2147
.LBB127_2132:
	s_cmp_lt_i32 s0, 27
	s_cbranch_scc1 .LBB127_2135
; %bb.2133:
	s_cmp_gt_i32 s0, 27
	s_cbranch_scc0 .LBB127_2136
; %bb.2134:
	s_wait_loadcnt 0x0
	global_load_b32 v8, v[32:33], off
	s_wait_xcnt 0x1
	v_mov_b32_e32 v9, 0
	s_mov_b32 s9, 0
	s_branch .LBB127_2137
.LBB127_2135:
	s_mov_b32 s9, -1
                                        ; implicit-def: $vgpr8_vgpr9
	s_branch .LBB127_2140
.LBB127_2136:
	s_mov_b32 s9, -1
                                        ; implicit-def: $vgpr8_vgpr9
.LBB127_2137:
	s_delay_alu instid0(SALU_CYCLE_1)
	s_and_not1_b32 vcc_lo, exec_lo, s9
	s_cbranch_vccnz .LBB127_2139
; %bb.2138:
	global_load_u16 v1, v[32:33], off
	s_mov_b32 s9, 0
	s_wait_loadcnt 0x1
	s_wait_xcnt 0x1
	v_mov_b32_e32 v9, s9
	s_wait_loadcnt 0x0
	v_and_b32_e32 v8, 0xffff, v1
.LBB127_2139:
	s_mov_b32 s9, 0
.LBB127_2140:
	s_delay_alu instid0(SALU_CYCLE_1)
	s_and_not1_b32 vcc_lo, exec_lo, s9
	s_cbranch_vccnz .LBB127_2146
; %bb.2141:
	global_load_u8 v1, v[32:33], off
	s_mov_b32 s12, 0
	s_mov_b32 s9, exec_lo
	s_wait_loadcnt 0x0
	v_cmpx_lt_i16_e32 0x7f, v1
	s_xor_b32 s9, exec_lo, s9
	s_cbranch_execz .LBB127_2157
; %bb.2142:
	v_cmp_ne_u16_e32 vcc_lo, 0x80, v1
	s_and_b32 s12, vcc_lo, exec_lo
	s_and_not1_saveexec_b32 s9, s9
	s_cbranch_execnz .LBB127_2158
.LBB127_2143:
	s_or_b32 exec_lo, exec_lo, s9
	v_mov_b64_e32 v[8:9], 0
	s_and_saveexec_b32 s9, s12
	s_cbranch_execz .LBB127_2145
.LBB127_2144:
	v_and_b32_e32 v3, 0xffff, v1
	s_delay_alu instid0(VALU_DEP_1) | instskip(SKIP_1) | instid1(VALU_DEP_2)
	v_dual_lshlrev_b32 v1, 24, v1 :: v_dual_bitop2_b32 v5, 7, v3 bitop3:0x40
	v_bfe_u32 v9, v3, 3, 4
	v_and_b32_e32 v1, 0x80000000, v1
	s_delay_alu instid0(VALU_DEP_3) | instskip(NEXT) | instid1(VALU_DEP_3)
	v_clz_i32_u32_e32 v7, v5
	v_cmp_eq_u32_e32 vcc_lo, 0, v9
	s_delay_alu instid0(VALU_DEP_2) | instskip(NEXT) | instid1(VALU_DEP_1)
	v_min_u32_e32 v7, 32, v7
	v_subrev_nc_u32_e32 v8, 28, v7
	v_sub_nc_u32_e32 v7, 29, v7
	s_delay_alu instid0(VALU_DEP_2) | instskip(NEXT) | instid1(VALU_DEP_2)
	v_lshlrev_b32_e32 v3, v8, v3
	v_cndmask_b32_e32 v7, v9, v7, vcc_lo
	s_delay_alu instid0(VALU_DEP_2) | instskip(NEXT) | instid1(VALU_DEP_1)
	v_and_b32_e32 v3, 7, v3
	v_cndmask_b32_e32 v3, v5, v3, vcc_lo
	s_delay_alu instid0(VALU_DEP_3) | instskip(NEXT) | instid1(VALU_DEP_2)
	v_lshl_add_u32 v5, v7, 23, 0x3b800000
	v_lshlrev_b32_e32 v3, 20, v3
	s_delay_alu instid0(VALU_DEP_1) | instskip(NEXT) | instid1(VALU_DEP_1)
	v_or3_b32 v1, v1, v5, v3
	v_trunc_f32_e32 v1, v1
	s_delay_alu instid0(VALU_DEP_1) | instskip(SKIP_1) | instid1(VALU_DEP_2)
	v_mul_f32_e64 v3, 0x2f800000, |v1|
	v_ashrrev_i32_e32 v8, 31, v1
	v_floor_f32_e32 v3, v3
	s_delay_alu instid0(VALU_DEP_2) | instskip(NEXT) | instid1(VALU_DEP_2)
	v_mov_b32_e32 v9, v8
	v_fma_f32 v5, 0xcf800000, v3, |v1|
	v_cvt_u32_f32_e32 v1, v3
	s_delay_alu instid0(VALU_DEP_2) | instskip(NEXT) | instid1(VALU_DEP_2)
	v_cvt_u32_f32_e32 v3, v5
	v_xor_b32_e32 v35, v1, v8
	s_delay_alu instid0(VALU_DEP_2) | instskip(NEXT) | instid1(VALU_DEP_1)
	v_xor_b32_e32 v34, v3, v8
	v_sub_nc_u64_e32 v[8:9], v[34:35], v[8:9]
.LBB127_2145:
	s_or_b32 exec_lo, exec_lo, s9
.LBB127_2146:
	s_mov_b32 s9, -1
.LBB127_2147:
	s_branch .LBB127_2177
.LBB127_2148:
	s_cmp_gt_i32 s0, 22
	s_cbranch_scc0 .LBB127_2156
; %bb.2149:
	s_cmp_lt_i32 s0, 24
	s_cbranch_scc1 .LBB127_2159
; %bb.2150:
	s_cmp_gt_i32 s0, 24
	s_cbranch_scc0 .LBB127_2160
; %bb.2151:
	global_load_u8 v1, v[32:33], off
	s_mov_b32 s9, 0
	s_mov_b32 s8, exec_lo
	s_wait_loadcnt 0x0
	v_cmpx_lt_i16_e32 0x7f, v1
	s_xor_b32 s8, exec_lo, s8
	s_cbranch_execz .LBB127_2171
; %bb.2152:
	v_cmp_ne_u16_e32 vcc_lo, 0x80, v1
	s_and_b32 s9, vcc_lo, exec_lo
	s_and_not1_saveexec_b32 s8, s8
	s_cbranch_execnz .LBB127_2172
.LBB127_2153:
	s_or_b32 exec_lo, exec_lo, s8
	v_mov_b64_e32 v[8:9], 0
	s_and_saveexec_b32 s8, s9
	s_cbranch_execz .LBB127_2155
.LBB127_2154:
	v_and_b32_e32 v3, 0xffff, v1
	s_delay_alu instid0(VALU_DEP_1) | instskip(SKIP_1) | instid1(VALU_DEP_2)
	v_dual_lshlrev_b32 v1, 24, v1 :: v_dual_bitop2_b32 v5, 3, v3 bitop3:0x40
	v_bfe_u32 v9, v3, 2, 5
	v_and_b32_e32 v1, 0x80000000, v1
	s_delay_alu instid0(VALU_DEP_3) | instskip(NEXT) | instid1(VALU_DEP_3)
	v_clz_i32_u32_e32 v7, v5
	v_cmp_eq_u32_e32 vcc_lo, 0, v9
	s_delay_alu instid0(VALU_DEP_2) | instskip(NEXT) | instid1(VALU_DEP_1)
	v_min_u32_e32 v7, 32, v7
	v_subrev_nc_u32_e32 v8, 29, v7
	v_sub_nc_u32_e32 v7, 30, v7
	s_delay_alu instid0(VALU_DEP_2) | instskip(NEXT) | instid1(VALU_DEP_2)
	v_lshlrev_b32_e32 v3, v8, v3
	v_cndmask_b32_e32 v7, v9, v7, vcc_lo
	s_delay_alu instid0(VALU_DEP_2) | instskip(NEXT) | instid1(VALU_DEP_1)
	v_and_b32_e32 v3, 3, v3
	v_cndmask_b32_e32 v3, v5, v3, vcc_lo
	s_delay_alu instid0(VALU_DEP_3) | instskip(NEXT) | instid1(VALU_DEP_2)
	v_lshl_add_u32 v5, v7, 23, 0x37800000
	v_lshlrev_b32_e32 v3, 21, v3
	s_delay_alu instid0(VALU_DEP_1) | instskip(NEXT) | instid1(VALU_DEP_1)
	v_or3_b32 v1, v1, v5, v3
	v_trunc_f32_e32 v1, v1
	s_delay_alu instid0(VALU_DEP_1) | instskip(SKIP_1) | instid1(VALU_DEP_2)
	v_mul_f32_e64 v3, 0x2f800000, |v1|
	v_ashrrev_i32_e32 v8, 31, v1
	v_floor_f32_e32 v3, v3
	s_delay_alu instid0(VALU_DEP_2) | instskip(NEXT) | instid1(VALU_DEP_2)
	v_mov_b32_e32 v9, v8
	v_fma_f32 v5, 0xcf800000, v3, |v1|
	v_cvt_u32_f32_e32 v1, v3
	s_delay_alu instid0(VALU_DEP_2) | instskip(NEXT) | instid1(VALU_DEP_2)
	v_cvt_u32_f32_e32 v3, v5
	v_xor_b32_e32 v35, v1, v8
	s_delay_alu instid0(VALU_DEP_2) | instskip(NEXT) | instid1(VALU_DEP_1)
	v_xor_b32_e32 v34, v3, v8
	v_sub_nc_u64_e32 v[8:9], v[34:35], v[8:9]
.LBB127_2155:
	s_or_b32 exec_lo, exec_lo, s8
	s_mov_b32 s8, 0
	s_branch .LBB127_2161
.LBB127_2156:
                                        ; implicit-def: $vgpr8_vgpr9
	s_mov_b32 s8, 0
	s_branch .LBB127_2167
.LBB127_2157:
	s_and_not1_saveexec_b32 s9, s9
	s_cbranch_execz .LBB127_2143
.LBB127_2158:
	v_cmp_ne_u16_e32 vcc_lo, 0, v1
	s_and_not1_b32 s12, s12, exec_lo
	s_and_b32 s14, vcc_lo, exec_lo
	s_delay_alu instid0(SALU_CYCLE_1)
	s_or_b32 s12, s12, s14
	s_or_b32 exec_lo, exec_lo, s9
	v_mov_b64_e32 v[8:9], 0
	s_and_saveexec_b32 s9, s12
	s_cbranch_execnz .LBB127_2144
	s_branch .LBB127_2145
.LBB127_2159:
	s_mov_b32 s8, -1
                                        ; implicit-def: $vgpr8_vgpr9
	s_branch .LBB127_2164
.LBB127_2160:
	s_mov_b32 s8, -1
                                        ; implicit-def: $vgpr8_vgpr9
.LBB127_2161:
	s_delay_alu instid0(SALU_CYCLE_1)
	s_and_b32 vcc_lo, exec_lo, s8
	s_cbranch_vccz .LBB127_2163
; %bb.2162:
	global_load_u8 v1, v[32:33], off
	s_wait_loadcnt 0x0
	v_lshlrev_b32_e32 v1, 24, v1
	s_delay_alu instid0(VALU_DEP_1) | instskip(NEXT) | instid1(VALU_DEP_1)
	v_and_b32_e32 v3, 0x7f000000, v1
	v_clz_i32_u32_e32 v5, v3
	v_cmp_ne_u32_e32 vcc_lo, 0, v3
	v_add_nc_u32_e32 v8, 0x1000000, v3
	s_delay_alu instid0(VALU_DEP_3) | instskip(NEXT) | instid1(VALU_DEP_1)
	v_min_u32_e32 v5, 32, v5
	v_sub_nc_u32_e64 v5, v5, 4 clamp
	s_delay_alu instid0(VALU_DEP_1) | instskip(NEXT) | instid1(VALU_DEP_1)
	v_dual_lshlrev_b32 v7, v5, v3 :: v_dual_lshlrev_b32 v5, 23, v5
	v_lshrrev_b32_e32 v7, 4, v7
	s_delay_alu instid0(VALU_DEP_1) | instskip(NEXT) | instid1(VALU_DEP_1)
	v_dual_sub_nc_u32 v5, v7, v5 :: v_dual_ashrrev_i32 v7, 8, v8
	v_add_nc_u32_e32 v5, 0x3c000000, v5
	s_delay_alu instid0(VALU_DEP_1) | instskip(NEXT) | instid1(VALU_DEP_1)
	v_and_or_b32 v5, 0x7f800000, v7, v5
	v_cndmask_b32_e32 v3, 0, v5, vcc_lo
	s_delay_alu instid0(VALU_DEP_1) | instskip(NEXT) | instid1(VALU_DEP_1)
	v_and_or_b32 v1, 0x80000000, v1, v3
	v_trunc_f32_e32 v1, v1
	s_delay_alu instid0(VALU_DEP_1) | instskip(SKIP_1) | instid1(VALU_DEP_2)
	v_mul_f32_e64 v3, 0x2f800000, |v1|
	v_ashrrev_i32_e32 v8, 31, v1
	v_floor_f32_e32 v3, v3
	s_delay_alu instid0(VALU_DEP_1) | instskip(SKIP_3) | instid1(VALU_DEP_3)
	v_fma_f32 v5, 0xcf800000, v3, |v1|
	v_cvt_u32_f32_e32 v1, v3
	s_wait_xcnt 0x1
	v_mov_b32_e32 v9, v8
	v_cvt_u32_f32_e32 v3, v5
	s_delay_alu instid0(VALU_DEP_3) | instskip(NEXT) | instid1(VALU_DEP_2)
	v_xor_b32_e32 v35, v1, v8
	v_xor_b32_e32 v34, v3, v8
	s_delay_alu instid0(VALU_DEP_1)
	v_sub_nc_u64_e32 v[8:9], v[34:35], v[8:9]
.LBB127_2163:
	s_mov_b32 s8, 0
.LBB127_2164:
	s_delay_alu instid0(SALU_CYCLE_1)
	s_and_not1_b32 vcc_lo, exec_lo, s8
	s_cbranch_vccnz .LBB127_2166
; %bb.2165:
	global_load_u8 v1, v[32:33], off
	s_wait_loadcnt 0x0
	v_lshlrev_b32_e32 v3, 25, v1
	v_lshlrev_b16 v1, 8, v1
	s_delay_alu instid0(VALU_DEP_1) | instskip(SKIP_1) | instid1(VALU_DEP_2)
	v_and_or_b32 v7, 0x7f00, v1, 0.5
	v_bfe_i32 v1, v1, 0, 16
	v_add_f32_e32 v7, -0.5, v7
	v_lshrrev_b32_e32 v5, 4, v3
	v_cmp_gt_u32_e32 vcc_lo, 0x8000000, v3
	s_delay_alu instid0(VALU_DEP_2) | instskip(NEXT) | instid1(VALU_DEP_1)
	v_or_b32_e32 v5, 0x70000000, v5
	v_mul_f32_e32 v5, 0x7800000, v5
	s_delay_alu instid0(VALU_DEP_1) | instskip(NEXT) | instid1(VALU_DEP_1)
	v_cndmask_b32_e32 v3, v5, v7, vcc_lo
	v_and_or_b32 v1, 0x80000000, v1, v3
	s_delay_alu instid0(VALU_DEP_1) | instskip(NEXT) | instid1(VALU_DEP_1)
	v_trunc_f32_e32 v1, v1
	v_mul_f32_e64 v3, 0x2f800000, |v1|
	v_ashrrev_i32_e32 v8, 31, v1
	s_delay_alu instid0(VALU_DEP_2) | instskip(SKIP_1) | instid1(VALU_DEP_2)
	v_floor_f32_e32 v3, v3
	s_wait_xcnt 0x1
	v_mov_b32_e32 v9, v8
	s_delay_alu instid0(VALU_DEP_2) | instskip(SKIP_1) | instid1(VALU_DEP_2)
	v_fma_f32 v5, 0xcf800000, v3, |v1|
	v_cvt_u32_f32_e32 v1, v3
	v_cvt_u32_f32_e32 v3, v5
	s_delay_alu instid0(VALU_DEP_2) | instskip(NEXT) | instid1(VALU_DEP_2)
	v_xor_b32_e32 v35, v1, v8
	v_xor_b32_e32 v34, v3, v8
	s_delay_alu instid0(VALU_DEP_1)
	v_sub_nc_u64_e32 v[8:9], v[34:35], v[8:9]
.LBB127_2166:
	s_mov_b32 s9, -1
	s_mov_b32 s8, 0
	s_cbranch_execnz .LBB127_2177
.LBB127_2167:
	s_cmp_gt_i32 s0, 14
	s_cbranch_scc0 .LBB127_2170
; %bb.2168:
	s_cmp_eq_u32 s0, 15
	s_cbranch_scc0 .LBB127_2173
; %bb.2169:
	global_load_u16 v1, v[32:33], off
	s_mov_b32 s1, 0
	s_mov_b32 s9, -1
	s_wait_loadcnt 0x0
	v_lshlrev_b32_e32 v1, 16, v1
	s_delay_alu instid0(VALU_DEP_1) | instskip(NEXT) | instid1(VALU_DEP_1)
	v_trunc_f32_e32 v1, v1
	v_mul_f32_e64 v3, 0x2f800000, |v1|
	v_ashrrev_i32_e32 v8, 31, v1
	s_delay_alu instid0(VALU_DEP_2) | instskip(SKIP_1) | instid1(VALU_DEP_2)
	v_floor_f32_e32 v3, v3
	s_wait_xcnt 0x1
	v_mov_b32_e32 v9, v8
	s_delay_alu instid0(VALU_DEP_2) | instskip(SKIP_1) | instid1(VALU_DEP_2)
	v_fma_f32 v5, 0xcf800000, v3, |v1|
	v_cvt_u32_f32_e32 v1, v3
	v_cvt_u32_f32_e32 v3, v5
	s_delay_alu instid0(VALU_DEP_2) | instskip(NEXT) | instid1(VALU_DEP_2)
	v_xor_b32_e32 v35, v1, v8
	v_xor_b32_e32 v34, v3, v8
	s_delay_alu instid0(VALU_DEP_1)
	v_sub_nc_u64_e32 v[8:9], v[34:35], v[8:9]
	s_branch .LBB127_2175
.LBB127_2170:
	s_mov_b32 s8, -1
	s_branch .LBB127_2174
.LBB127_2171:
	s_and_not1_saveexec_b32 s8, s8
	s_cbranch_execz .LBB127_2153
.LBB127_2172:
	v_cmp_ne_u16_e32 vcc_lo, 0, v1
	s_and_not1_b32 s9, s9, exec_lo
	s_and_b32 s12, vcc_lo, exec_lo
	s_delay_alu instid0(SALU_CYCLE_1)
	s_or_b32 s9, s9, s12
	s_or_b32 exec_lo, exec_lo, s8
	v_mov_b64_e32 v[8:9], 0
	s_and_saveexec_b32 s8, s9
	s_cbranch_execnz .LBB127_2154
	s_branch .LBB127_2155
.LBB127_2173:
	s_mov_b32 s1, -1
.LBB127_2174:
                                        ; implicit-def: $vgpr8_vgpr9
.LBB127_2175:
	s_and_b32 vcc_lo, exec_lo, s8
	s_mov_b32 s8, 0
	s_cbranch_vccz .LBB127_2177
; %bb.2176:
	s_cmp_lg_u32 s0, 11
	s_mov_b32 s8, -1
	s_cselect_b32 s1, -1, 0
.LBB127_2177:
	s_delay_alu instid0(SALU_CYCLE_1)
	s_and_b32 vcc_lo, exec_lo, s1
	s_mov_b32 s12, s10
	s_cbranch_vccnz .LBB127_2238
; %bb.2178:
	s_and_not1_b32 vcc_lo, exec_lo, s8
	s_cbranch_vccnz .LBB127_2180
.LBB127_2179:
	global_load_u8 v1, v[32:33], off
	s_mov_b32 s0, 0
	s_mov_b32 s9, -1
	s_wait_loadcnt 0x1
	s_wait_xcnt 0x1
	v_mov_b32_e32 v9, s0
	s_wait_loadcnt 0x0
	v_cmp_ne_u16_e32 vcc_lo, 0, v1
	v_cndmask_b32_e64 v8, 0, 1, vcc_lo
.LBB127_2180:
	s_branch .LBB127_2114
.LBB127_2181:
	s_and_b32 s0, 0xffff, s13
	s_delay_alu instid0(SALU_CYCLE_1)
	s_cmp_lt_i32 s0, 5
	s_cbranch_scc1 .LBB127_2186
; %bb.2182:
	s_cmp_lt_i32 s0, 8
	s_cbranch_scc1 .LBB127_2187
; %bb.2183:
	;; [unrolled: 3-line block ×3, first 2 shown]
	s_cmp_gt_i32 s0, 9
	s_cbranch_scc0 .LBB127_2189
; %bb.2185:
	s_wait_loadcnt 0x0
	global_load_b64 v[8:9], v[32:33], off
	s_mov_b32 s1, 0
	s_wait_loadcnt 0x0
	v_trunc_f64_e32 v[8:9], v[8:9]
	s_delay_alu instid0(VALU_DEP_1) | instskip(NEXT) | instid1(VALU_DEP_1)
	v_ldexp_f64 v[34:35], v[8:9], 0xffffffe0
	v_floor_f64_e32 v[34:35], v[34:35]
	s_delay_alu instid0(VALU_DEP_1) | instskip(SKIP_1) | instid1(VALU_DEP_2)
	v_fmamk_f64 v[36:37], v[34:35], 0xc1f00000, v[8:9]
	v_cvt_i32_f64_e32 v9, v[34:35]
	v_cvt_u32_f64_e32 v8, v[36:37]
	s_branch .LBB127_2190
.LBB127_2186:
                                        ; implicit-def: $vgpr8_vgpr9
	s_branch .LBB127_2207
.LBB127_2187:
                                        ; implicit-def: $vgpr8_vgpr9
	s_branch .LBB127_2196
.LBB127_2188:
	s_mov_b32 s1, -1
                                        ; implicit-def: $vgpr8_vgpr9
	s_branch .LBB127_2193
.LBB127_2189:
	s_mov_b32 s1, -1
                                        ; implicit-def: $vgpr8_vgpr9
.LBB127_2190:
	s_delay_alu instid0(SALU_CYCLE_1)
	s_and_not1_b32 vcc_lo, exec_lo, s1
	s_cbranch_vccnz .LBB127_2192
; %bb.2191:
	global_load_b32 v1, v[32:33], off
	s_wait_loadcnt 0x0
	v_trunc_f32_e32 v1, v1
	s_delay_alu instid0(VALU_DEP_1) | instskip(SKIP_1) | instid1(VALU_DEP_2)
	v_mul_f32_e64 v3, 0x2f800000, |v1|
	v_ashrrev_i32_e32 v8, 31, v1
	v_floor_f32_e32 v3, v3
	s_delay_alu instid0(VALU_DEP_1) | instskip(SKIP_3) | instid1(VALU_DEP_3)
	v_fma_f32 v5, 0xcf800000, v3, |v1|
	v_cvt_u32_f32_e32 v1, v3
	s_wait_xcnt 0x1
	v_mov_b32_e32 v9, v8
	v_cvt_u32_f32_e32 v3, v5
	s_delay_alu instid0(VALU_DEP_3) | instskip(NEXT) | instid1(VALU_DEP_2)
	v_xor_b32_e32 v35, v1, v8
	v_xor_b32_e32 v34, v3, v8
	s_delay_alu instid0(VALU_DEP_1)
	v_sub_nc_u64_e32 v[8:9], v[34:35], v[8:9]
.LBB127_2192:
	s_mov_b32 s1, 0
.LBB127_2193:
	s_delay_alu instid0(SALU_CYCLE_1)
	s_and_not1_b32 vcc_lo, exec_lo, s1
	s_cbranch_vccnz .LBB127_2195
; %bb.2194:
	global_load_b32 v1, v[32:33], off
	s_wait_loadcnt 0x0
	v_cvt_f32_f16_e32 v1, v1
	s_delay_alu instid0(VALU_DEP_1) | instskip(SKIP_1) | instid1(VALU_DEP_1)
	v_cvt_i32_f32_e32 v8, v1
	s_wait_xcnt 0x1
	v_ashrrev_i32_e32 v9, 31, v8
.LBB127_2195:
	s_cbranch_execnz .LBB127_2206
.LBB127_2196:
	s_cmp_lt_i32 s0, 6
	s_cbranch_scc1 .LBB127_2199
; %bb.2197:
	s_cmp_gt_i32 s0, 6
	s_cbranch_scc0 .LBB127_2200
; %bb.2198:
	s_wait_loadcnt 0x0
	global_load_b64 v[8:9], v[32:33], off
	s_mov_b32 s1, 0
	s_wait_loadcnt 0x0
	v_trunc_f64_e32 v[8:9], v[8:9]
	s_delay_alu instid0(VALU_DEP_1) | instskip(NEXT) | instid1(VALU_DEP_1)
	v_ldexp_f64 v[34:35], v[8:9], 0xffffffe0
	v_floor_f64_e32 v[34:35], v[34:35]
	s_delay_alu instid0(VALU_DEP_1) | instskip(SKIP_1) | instid1(VALU_DEP_2)
	v_fmamk_f64 v[36:37], v[34:35], 0xc1f00000, v[8:9]
	v_cvt_i32_f64_e32 v9, v[34:35]
	v_cvt_u32_f64_e32 v8, v[36:37]
	s_branch .LBB127_2201
.LBB127_2199:
	s_mov_b32 s1, -1
                                        ; implicit-def: $vgpr8_vgpr9
	s_branch .LBB127_2204
.LBB127_2200:
	s_mov_b32 s1, -1
                                        ; implicit-def: $vgpr8_vgpr9
.LBB127_2201:
	s_delay_alu instid0(SALU_CYCLE_1)
	s_and_not1_b32 vcc_lo, exec_lo, s1
	s_cbranch_vccnz .LBB127_2203
; %bb.2202:
	global_load_b32 v1, v[32:33], off
	s_wait_loadcnt 0x0
	v_trunc_f32_e32 v1, v1
	s_delay_alu instid0(VALU_DEP_1) | instskip(SKIP_1) | instid1(VALU_DEP_2)
	v_mul_f32_e64 v3, 0x2f800000, |v1|
	v_ashrrev_i32_e32 v8, 31, v1
	v_floor_f32_e32 v3, v3
	s_delay_alu instid0(VALU_DEP_1) | instskip(SKIP_3) | instid1(VALU_DEP_3)
	v_fma_f32 v5, 0xcf800000, v3, |v1|
	v_cvt_u32_f32_e32 v1, v3
	s_wait_xcnt 0x1
	v_mov_b32_e32 v9, v8
	v_cvt_u32_f32_e32 v3, v5
	s_delay_alu instid0(VALU_DEP_3) | instskip(NEXT) | instid1(VALU_DEP_2)
	v_xor_b32_e32 v35, v1, v8
	v_xor_b32_e32 v34, v3, v8
	s_delay_alu instid0(VALU_DEP_1)
	v_sub_nc_u64_e32 v[8:9], v[34:35], v[8:9]
.LBB127_2203:
	s_mov_b32 s1, 0
.LBB127_2204:
	s_delay_alu instid0(SALU_CYCLE_1)
	s_and_not1_b32 vcc_lo, exec_lo, s1
	s_cbranch_vccnz .LBB127_2206
; %bb.2205:
	global_load_u16 v1, v[32:33], off
	s_wait_loadcnt 0x0
	v_cvt_f32_f16_e32 v1, v1
	s_delay_alu instid0(VALU_DEP_1) | instskip(SKIP_1) | instid1(VALU_DEP_1)
	v_cvt_i32_f32_e32 v8, v1
	s_wait_xcnt 0x1
	v_ashrrev_i32_e32 v9, 31, v8
.LBB127_2206:
	s_cbranch_execnz .LBB127_2225
.LBB127_2207:
	s_cmp_lt_i32 s0, 2
	s_cbranch_scc1 .LBB127_2211
; %bb.2208:
	s_cmp_lt_i32 s0, 3
	s_cbranch_scc1 .LBB127_2212
; %bb.2209:
	s_cmp_gt_i32 s0, 3
	s_cbranch_scc0 .LBB127_2213
; %bb.2210:
	s_wait_loadcnt 0x0
	global_load_b64 v[8:9], v[32:33], off
	s_mov_b32 s1, 0
	s_branch .LBB127_2214
.LBB127_2211:
                                        ; implicit-def: $vgpr8_vgpr9
	s_branch .LBB127_2220
.LBB127_2212:
	s_mov_b32 s1, -1
                                        ; implicit-def: $vgpr8_vgpr9
	s_branch .LBB127_2217
.LBB127_2213:
	s_mov_b32 s1, -1
                                        ; implicit-def: $vgpr8_vgpr9
.LBB127_2214:
	s_delay_alu instid0(SALU_CYCLE_1)
	s_and_not1_b32 vcc_lo, exec_lo, s1
	s_cbranch_vccnz .LBB127_2216
; %bb.2215:
	s_wait_loadcnt 0x0
	global_load_b32 v8, v[32:33], off
	s_wait_loadcnt 0x0
	s_wait_xcnt 0x1
	v_ashrrev_i32_e32 v9, 31, v8
.LBB127_2216:
	s_mov_b32 s1, 0
.LBB127_2217:
	s_delay_alu instid0(SALU_CYCLE_1)
	s_and_not1_b32 vcc_lo, exec_lo, s1
	s_cbranch_vccnz .LBB127_2219
; %bb.2218:
	global_load_u16 v1, v[32:33], off
	s_wait_loadcnt 0x0
	v_bfe_i32 v8, v1, 0, 16
	s_wait_xcnt 0x1
	s_delay_alu instid0(VALU_DEP_1)
	v_ashrrev_i32_e32 v9, 31, v8
.LBB127_2219:
	s_cbranch_execnz .LBB127_2225
.LBB127_2220:
	s_cmp_gt_i32 s0, 0
	s_mov_b32 s0, 0
	s_cbranch_scc0 .LBB127_2222
; %bb.2221:
	global_load_i8 v1, v[32:33], off
	s_wait_loadcnt 0x0
	v_bfe_i32 v8, v1, 0, 16
	s_wait_xcnt 0x1
	s_delay_alu instid0(VALU_DEP_1)
	v_ashrrev_i32_e32 v9, 31, v8
	s_branch .LBB127_2223
.LBB127_2222:
	s_mov_b32 s0, -1
                                        ; implicit-def: $vgpr8_vgpr9
.LBB127_2223:
	s_delay_alu instid0(SALU_CYCLE_1)
	s_and_not1_b32 vcc_lo, exec_lo, s0
	s_cbranch_vccnz .LBB127_2225
; %bb.2224:
	global_load_u8 v1, v[32:33], off
	s_mov_b32 s0, 0
	s_wait_loadcnt 0x1
	s_wait_xcnt 0x1
	v_mov_b32_e32 v9, s0
	s_wait_loadcnt 0x0
	v_and_b32_e32 v8, 0xffff, v1
.LBB127_2225:
.LBB127_2226:
	v_mov_b32_e32 v13, 0
	s_load_b64 s[0:1], s[2:3], 0x1d8
	global_load_u8 v1, v13, s[2:3] offset:491
	s_wait_kmcnt 0x0
	v_add_nc_u64_e32 v[32:33], s[0:1], v[12:13]
	s_wait_loadcnt 0x0
	v_and_b32_e32 v3, 0xffff, v1
	v_readfirstlane_b32 s14, v1
	s_delay_alu instid0(VALU_DEP_2)
	v_cmp_gt_i32_e32 vcc_lo, 11, v3
	s_cbranch_vccnz .LBB127_2233
; %bb.2227:
	s_and_b32 s8, 0xffff, s14
	s_mov_b32 s15, 0
	s_cmp_gt_i32 s8, 25
	s_cbranch_scc0 .LBB127_2235
; %bb.2228:
	s_cmp_gt_i32 s8, 28
	s_cbranch_scc0 .LBB127_2236
; %bb.2229:
	;; [unrolled: 3-line block ×4, first 2 shown]
	s_cmp_eq_u32 s8, 46
	s_mov_b32 s17, 0
	s_cbranch_scc0 .LBB127_2242
; %bb.2232:
	global_load_b32 v1, v[32:33], off
	s_mov_b32 s9, 0
	s_mov_b32 s16, -1
	s_wait_loadcnt 0x0
	v_lshlrev_b32_e32 v1, 16, v1
	s_delay_alu instid0(VALU_DEP_1) | instskip(NEXT) | instid1(VALU_DEP_1)
	v_trunc_f32_e32 v1, v1
	v_mul_f32_e64 v3, 0x2f800000, |v1|
	v_ashrrev_i32_e32 v12, 31, v1
	s_delay_alu instid0(VALU_DEP_2) | instskip(SKIP_1) | instid1(VALU_DEP_2)
	v_floor_f32_e32 v3, v3
	s_wait_xcnt 0x1
	v_mov_b32_e32 v13, v12
	s_delay_alu instid0(VALU_DEP_2) | instskip(SKIP_1) | instid1(VALU_DEP_2)
	v_fma_f32 v5, 0xcf800000, v3, |v1|
	v_cvt_u32_f32_e32 v1, v3
	v_cvt_u32_f32_e32 v3, v5
	s_delay_alu instid0(VALU_DEP_2) | instskip(NEXT) | instid1(VALU_DEP_2)
	v_xor_b32_e32 v35, v1, v12
	v_xor_b32_e32 v34, v3, v12
	s_delay_alu instid0(VALU_DEP_1)
	v_sub_nc_u64_e32 v[12:13], v[34:35], v[12:13]
	s_branch .LBB127_2244
.LBB127_2233:
	s_mov_b32 s16, 0
                                        ; implicit-def: $vgpr12_vgpr13
	s_cbranch_execnz .LBB127_2305
.LBB127_2234:
	s_and_not1_b32 vcc_lo, exec_lo, s16
	s_cbranch_vccnz .LBB127_4058
	s_branch .LBB127_2352
.LBB127_2235:
	s_mov_b32 s16, 0
	s_mov_b32 s9, 0
                                        ; implicit-def: $vgpr12_vgpr13
	s_cbranch_execnz .LBB127_2271
	s_branch .LBB127_2301
.LBB127_2236:
	s_mov_b32 s17, -1
	s_mov_b32 s16, 0
	s_mov_b32 s9, 0
                                        ; implicit-def: $vgpr12_vgpr13
	s_branch .LBB127_2254
.LBB127_2237:
	s_mov_b32 s17, -1
	s_mov_b32 s16, 0
	s_mov_b32 s9, 0
                                        ; implicit-def: $vgpr12_vgpr13
	s_branch .LBB127_2249
.LBB127_2238:
	s_or_b32 s12, s10, exec_lo
	s_trap 2
	s_cbranch_execz .LBB127_2179
	s_branch .LBB127_2180
.LBB127_2239:
	s_mov_b32 s17, -1
	s_mov_b32 s16, 0
	s_mov_b32 s9, 0
	s_branch .LBB127_2243
.LBB127_2240:
	s_and_not1_saveexec_b32 s10, s10
	s_cbranch_execz .LBB127_1986
.LBB127_2241:
	v_add_f32_e64 v1, 0x42800000, |v0|
	s_and_not1_b32 s9, s9, exec_lo
	s_delay_alu instid0(VALU_DEP_1) | instskip(NEXT) | instid1(VALU_DEP_1)
	v_and_b32_e32 v1, 0xff, v1
	v_cmp_ne_u32_e32 vcc_lo, 0, v1
	s_and_b32 s11, vcc_lo, exec_lo
	s_delay_alu instid0(SALU_CYCLE_1)
	s_or_b32 s9, s9, s11
	s_or_b32 exec_lo, exec_lo, s10
	v_mov_b32_e32 v2, 0
	s_and_saveexec_b32 s10, s9
	s_cbranch_execnz .LBB127_1987
	s_branch .LBB127_1988
.LBB127_2242:
	s_mov_b32 s9, -1
	s_mov_b32 s16, 0
.LBB127_2243:
                                        ; implicit-def: $vgpr12_vgpr13
.LBB127_2244:
	s_and_b32 vcc_lo, exec_lo, s17
	s_cbranch_vccz .LBB127_2248
; %bb.2245:
	s_cmp_eq_u32 s8, 44
	s_cbranch_scc0 .LBB127_2247
; %bb.2246:
	global_load_u8 v1, v[32:33], off
	s_mov_b32 s9, 0
	s_mov_b32 s16, -1
	s_wait_loadcnt 0x0
	v_lshlrev_b32_e32 v3, 23, v1
	v_cmp_ne_u32_e32 vcc_lo, 0, v1
	s_delay_alu instid0(VALU_DEP_2) | instskip(NEXT) | instid1(VALU_DEP_1)
	v_trunc_f32_e32 v3, v3
	v_mul_f32_e64 v5, 0x2f800000, |v3|
	v_ashrrev_i32_e32 v12, 31, v3
	s_delay_alu instid0(VALU_DEP_2) | instskip(SKIP_1) | instid1(VALU_DEP_2)
	v_floor_f32_e32 v5, v5
	s_wait_xcnt 0x1
	v_mov_b32_e32 v13, v12
	s_delay_alu instid0(VALU_DEP_2) | instskip(SKIP_1) | instid1(VALU_DEP_2)
	v_fma_f32 v7, 0xcf800000, v5, |v3|
	v_cvt_u32_f32_e32 v3, v5
	v_cvt_u32_f32_e32 v5, v7
	s_delay_alu instid0(VALU_DEP_2) | instskip(NEXT) | instid1(VALU_DEP_2)
	v_xor_b32_e32 v35, v3, v12
	v_xor_b32_e32 v34, v5, v12
	s_delay_alu instid0(VALU_DEP_1) | instskip(NEXT) | instid1(VALU_DEP_1)
	v_sub_nc_u64_e32 v[12:13], v[34:35], v[12:13]
	v_dual_cndmask_b32 v13, 0, v13 :: v_dual_cndmask_b32 v12, 0, v12
	s_branch .LBB127_2248
.LBB127_2247:
	s_mov_b32 s9, -1
                                        ; implicit-def: $vgpr12_vgpr13
.LBB127_2248:
	s_mov_b32 s17, 0
.LBB127_2249:
	s_delay_alu instid0(SALU_CYCLE_1)
	s_and_b32 vcc_lo, exec_lo, s17
	s_cbranch_vccz .LBB127_2253
; %bb.2250:
	s_cmp_eq_u32 s8, 29
	s_cbranch_scc0 .LBB127_2252
; %bb.2251:
	global_load_b64 v[12:13], v[32:33], off
	s_mov_b32 s9, 0
	s_mov_b32 s16, -1
	s_branch .LBB127_2253
.LBB127_2252:
	s_mov_b32 s9, -1
                                        ; implicit-def: $vgpr12_vgpr13
.LBB127_2253:
	s_mov_b32 s17, 0
.LBB127_2254:
	s_delay_alu instid0(SALU_CYCLE_1)
	s_and_b32 vcc_lo, exec_lo, s17
	s_cbranch_vccz .LBB127_2270
; %bb.2255:
	s_cmp_lt_i32 s8, 27
	s_cbranch_scc1 .LBB127_2258
; %bb.2256:
	s_cmp_gt_i32 s8, 27
	s_cbranch_scc0 .LBB127_2259
; %bb.2257:
	s_wait_loadcnt 0x0
	global_load_b32 v12, v[32:33], off
	s_wait_xcnt 0x1
	v_mov_b32_e32 v13, 0
	s_mov_b32 s16, 0
	s_branch .LBB127_2260
.LBB127_2258:
	s_mov_b32 s16, -1
                                        ; implicit-def: $vgpr12_vgpr13
	s_branch .LBB127_2263
.LBB127_2259:
	s_mov_b32 s16, -1
                                        ; implicit-def: $vgpr12_vgpr13
.LBB127_2260:
	s_delay_alu instid0(SALU_CYCLE_1)
	s_and_not1_b32 vcc_lo, exec_lo, s16
	s_cbranch_vccnz .LBB127_2262
; %bb.2261:
	global_load_u16 v1, v[32:33], off
	s_mov_b32 s16, 0
	s_wait_loadcnt 0x1
	s_wait_xcnt 0x1
	v_mov_b32_e32 v13, s16
	s_wait_loadcnt 0x0
	v_and_b32_e32 v12, 0xffff, v1
.LBB127_2262:
	s_mov_b32 s16, 0
.LBB127_2263:
	s_delay_alu instid0(SALU_CYCLE_1)
	s_and_not1_b32 vcc_lo, exec_lo, s16
	s_cbranch_vccnz .LBB127_2269
; %bb.2264:
	global_load_u8 v1, v[32:33], off
	s_mov_b32 s17, 0
	s_mov_b32 s16, exec_lo
	s_wait_loadcnt 0x0
	v_cmpx_lt_i16_e32 0x7f, v1
	s_xor_b32 s16, exec_lo, s16
	s_cbranch_execz .LBB127_2280
; %bb.2265:
	v_cmp_ne_u16_e32 vcc_lo, 0x80, v1
	s_and_b32 s17, vcc_lo, exec_lo
	s_and_not1_saveexec_b32 s16, s16
	s_cbranch_execnz .LBB127_2281
.LBB127_2266:
	s_or_b32 exec_lo, exec_lo, s16
	v_mov_b64_e32 v[12:13], 0
	s_and_saveexec_b32 s16, s17
	s_cbranch_execz .LBB127_2268
.LBB127_2267:
	v_and_b32_e32 v3, 0xffff, v1
	s_delay_alu instid0(VALU_DEP_1) | instskip(SKIP_1) | instid1(VALU_DEP_2)
	v_dual_lshlrev_b32 v1, 24, v1 :: v_dual_bitop2_b32 v5, 7, v3 bitop3:0x40
	v_bfe_u32 v12, v3, 3, 4
	v_and_b32_e32 v1, 0x80000000, v1
	s_delay_alu instid0(VALU_DEP_3) | instskip(NEXT) | instid1(VALU_DEP_3)
	v_clz_i32_u32_e32 v7, v5
	v_cmp_eq_u32_e32 vcc_lo, 0, v12
	s_delay_alu instid0(VALU_DEP_2) | instskip(NEXT) | instid1(VALU_DEP_1)
	v_min_u32_e32 v7, 32, v7
	v_subrev_nc_u32_e32 v11, 28, v7
	v_sub_nc_u32_e32 v7, 29, v7
	s_delay_alu instid0(VALU_DEP_2) | instskip(NEXT) | instid1(VALU_DEP_2)
	v_lshlrev_b32_e32 v3, v11, v3
	v_cndmask_b32_e32 v7, v12, v7, vcc_lo
	s_delay_alu instid0(VALU_DEP_2) | instskip(NEXT) | instid1(VALU_DEP_1)
	v_and_b32_e32 v3, 7, v3
	v_cndmask_b32_e32 v3, v5, v3, vcc_lo
	s_delay_alu instid0(VALU_DEP_3) | instskip(NEXT) | instid1(VALU_DEP_2)
	v_lshl_add_u32 v5, v7, 23, 0x3b800000
	v_lshlrev_b32_e32 v3, 20, v3
	s_delay_alu instid0(VALU_DEP_1) | instskip(NEXT) | instid1(VALU_DEP_1)
	v_or3_b32 v1, v1, v5, v3
	v_trunc_f32_e32 v1, v1
	s_delay_alu instid0(VALU_DEP_1) | instskip(SKIP_1) | instid1(VALU_DEP_2)
	v_mul_f32_e64 v3, 0x2f800000, |v1|
	v_ashrrev_i32_e32 v12, 31, v1
	v_floor_f32_e32 v3, v3
	s_delay_alu instid0(VALU_DEP_2) | instskip(NEXT) | instid1(VALU_DEP_2)
	v_mov_b32_e32 v13, v12
	v_fma_f32 v5, 0xcf800000, v3, |v1|
	v_cvt_u32_f32_e32 v1, v3
	s_delay_alu instid0(VALU_DEP_2) | instskip(NEXT) | instid1(VALU_DEP_2)
	v_cvt_u32_f32_e32 v3, v5
	v_xor_b32_e32 v35, v1, v12
	s_delay_alu instid0(VALU_DEP_2) | instskip(NEXT) | instid1(VALU_DEP_1)
	v_xor_b32_e32 v34, v3, v12
	v_sub_nc_u64_e32 v[12:13], v[34:35], v[12:13]
.LBB127_2268:
	s_or_b32 exec_lo, exec_lo, s16
.LBB127_2269:
	s_mov_b32 s16, -1
.LBB127_2270:
	s_branch .LBB127_2301
.LBB127_2271:
	s_cmp_gt_i32 s8, 22
	s_cbranch_scc0 .LBB127_2279
; %bb.2272:
	s_cmp_lt_i32 s8, 24
	s_cbranch_scc1 .LBB127_2282
; %bb.2273:
	s_cmp_gt_i32 s8, 24
	s_cbranch_scc0 .LBB127_2283
; %bb.2274:
	global_load_u8 v1, v[32:33], off
	s_mov_b32 s16, 0
	s_mov_b32 s15, exec_lo
	s_wait_loadcnt 0x0
	v_cmpx_lt_i16_e32 0x7f, v1
	s_xor_b32 s15, exec_lo, s15
	s_cbranch_execz .LBB127_2295
; %bb.2275:
	v_cmp_ne_u16_e32 vcc_lo, 0x80, v1
	s_and_b32 s16, vcc_lo, exec_lo
	s_and_not1_saveexec_b32 s15, s15
	s_cbranch_execnz .LBB127_2296
.LBB127_2276:
	s_or_b32 exec_lo, exec_lo, s15
	v_mov_b64_e32 v[12:13], 0
	s_and_saveexec_b32 s15, s16
	s_cbranch_execz .LBB127_2278
.LBB127_2277:
	v_and_b32_e32 v3, 0xffff, v1
	s_delay_alu instid0(VALU_DEP_1) | instskip(SKIP_1) | instid1(VALU_DEP_2)
	v_dual_lshlrev_b32 v1, 24, v1 :: v_dual_bitop2_b32 v5, 3, v3 bitop3:0x40
	v_bfe_u32 v12, v3, 2, 5
	v_and_b32_e32 v1, 0x80000000, v1
	s_delay_alu instid0(VALU_DEP_3) | instskip(NEXT) | instid1(VALU_DEP_3)
	v_clz_i32_u32_e32 v7, v5
	v_cmp_eq_u32_e32 vcc_lo, 0, v12
	s_delay_alu instid0(VALU_DEP_2) | instskip(NEXT) | instid1(VALU_DEP_1)
	v_min_u32_e32 v7, 32, v7
	v_subrev_nc_u32_e32 v11, 29, v7
	v_sub_nc_u32_e32 v7, 30, v7
	s_delay_alu instid0(VALU_DEP_2) | instskip(NEXT) | instid1(VALU_DEP_2)
	v_lshlrev_b32_e32 v3, v11, v3
	v_cndmask_b32_e32 v7, v12, v7, vcc_lo
	s_delay_alu instid0(VALU_DEP_2) | instskip(NEXT) | instid1(VALU_DEP_1)
	v_and_b32_e32 v3, 3, v3
	v_cndmask_b32_e32 v3, v5, v3, vcc_lo
	s_delay_alu instid0(VALU_DEP_3) | instskip(NEXT) | instid1(VALU_DEP_2)
	v_lshl_add_u32 v5, v7, 23, 0x37800000
	v_lshlrev_b32_e32 v3, 21, v3
	s_delay_alu instid0(VALU_DEP_1) | instskip(NEXT) | instid1(VALU_DEP_1)
	v_or3_b32 v1, v1, v5, v3
	v_trunc_f32_e32 v1, v1
	s_delay_alu instid0(VALU_DEP_1) | instskip(SKIP_1) | instid1(VALU_DEP_2)
	v_mul_f32_e64 v3, 0x2f800000, |v1|
	v_ashrrev_i32_e32 v12, 31, v1
	v_floor_f32_e32 v3, v3
	s_delay_alu instid0(VALU_DEP_2) | instskip(NEXT) | instid1(VALU_DEP_2)
	v_mov_b32_e32 v13, v12
	v_fma_f32 v5, 0xcf800000, v3, |v1|
	v_cvt_u32_f32_e32 v1, v3
	s_delay_alu instid0(VALU_DEP_2) | instskip(NEXT) | instid1(VALU_DEP_2)
	v_cvt_u32_f32_e32 v3, v5
	v_xor_b32_e32 v35, v1, v12
	s_delay_alu instid0(VALU_DEP_2) | instskip(NEXT) | instid1(VALU_DEP_1)
	v_xor_b32_e32 v34, v3, v12
	v_sub_nc_u64_e32 v[12:13], v[34:35], v[12:13]
.LBB127_2278:
	s_or_b32 exec_lo, exec_lo, s15
	s_mov_b32 s15, 0
	s_branch .LBB127_2284
.LBB127_2279:
	s_mov_b32 s15, -1
                                        ; implicit-def: $vgpr12_vgpr13
	s_branch .LBB127_2290
.LBB127_2280:
	s_and_not1_saveexec_b32 s16, s16
	s_cbranch_execz .LBB127_2266
.LBB127_2281:
	v_cmp_ne_u16_e32 vcc_lo, 0, v1
	s_and_not1_b32 s17, s17, exec_lo
	s_and_b32 s18, vcc_lo, exec_lo
	s_delay_alu instid0(SALU_CYCLE_1)
	s_or_b32 s17, s17, s18
	s_or_b32 exec_lo, exec_lo, s16
	v_mov_b64_e32 v[12:13], 0
	s_and_saveexec_b32 s16, s17
	s_cbranch_execnz .LBB127_2267
	s_branch .LBB127_2268
.LBB127_2282:
	s_mov_b32 s15, -1
                                        ; implicit-def: $vgpr12_vgpr13
	s_branch .LBB127_2287
.LBB127_2283:
	s_mov_b32 s15, -1
                                        ; implicit-def: $vgpr12_vgpr13
.LBB127_2284:
	s_delay_alu instid0(SALU_CYCLE_1)
	s_and_b32 vcc_lo, exec_lo, s15
	s_cbranch_vccz .LBB127_2286
; %bb.2285:
	global_load_u8 v1, v[32:33], off
	s_wait_loadcnt 0x0
	v_lshlrev_b32_e32 v1, 24, v1
	s_delay_alu instid0(VALU_DEP_1) | instskip(NEXT) | instid1(VALU_DEP_1)
	v_and_b32_e32 v3, 0x7f000000, v1
	v_clz_i32_u32_e32 v5, v3
	v_add_nc_u32_e32 v11, 0x1000000, v3
	v_cmp_ne_u32_e32 vcc_lo, 0, v3
	s_delay_alu instid0(VALU_DEP_3) | instskip(NEXT) | instid1(VALU_DEP_1)
	v_min_u32_e32 v5, 32, v5
	v_sub_nc_u32_e64 v5, v5, 4 clamp
	s_delay_alu instid0(VALU_DEP_1) | instskip(NEXT) | instid1(VALU_DEP_1)
	v_dual_lshlrev_b32 v7, v5, v3 :: v_dual_lshlrev_b32 v5, 23, v5
	v_lshrrev_b32_e32 v7, 4, v7
	s_delay_alu instid0(VALU_DEP_1) | instskip(NEXT) | instid1(VALU_DEP_1)
	v_dual_sub_nc_u32 v5, v7, v5 :: v_dual_ashrrev_i32 v7, 8, v11
	v_add_nc_u32_e32 v5, 0x3c000000, v5
	s_delay_alu instid0(VALU_DEP_1) | instskip(NEXT) | instid1(VALU_DEP_1)
	v_and_or_b32 v5, 0x7f800000, v7, v5
	v_cndmask_b32_e32 v3, 0, v5, vcc_lo
	s_delay_alu instid0(VALU_DEP_1) | instskip(NEXT) | instid1(VALU_DEP_1)
	v_and_or_b32 v1, 0x80000000, v1, v3
	v_trunc_f32_e32 v1, v1
	s_delay_alu instid0(VALU_DEP_1) | instskip(SKIP_1) | instid1(VALU_DEP_2)
	v_mul_f32_e64 v3, 0x2f800000, |v1|
	v_ashrrev_i32_e32 v12, 31, v1
	v_floor_f32_e32 v3, v3
	s_wait_xcnt 0x1
	s_delay_alu instid0(VALU_DEP_2) | instskip(NEXT) | instid1(VALU_DEP_2)
	v_mov_b32_e32 v13, v12
	v_fma_f32 v5, 0xcf800000, v3, |v1|
	v_cvt_u32_f32_e32 v1, v3
	s_delay_alu instid0(VALU_DEP_2) | instskip(NEXT) | instid1(VALU_DEP_2)
	v_cvt_u32_f32_e32 v3, v5
	v_xor_b32_e32 v35, v1, v12
	s_delay_alu instid0(VALU_DEP_2) | instskip(NEXT) | instid1(VALU_DEP_1)
	v_xor_b32_e32 v34, v3, v12
	v_sub_nc_u64_e32 v[12:13], v[34:35], v[12:13]
.LBB127_2286:
	s_mov_b32 s15, 0
.LBB127_2287:
	s_delay_alu instid0(SALU_CYCLE_1)
	s_and_not1_b32 vcc_lo, exec_lo, s15
	s_cbranch_vccnz .LBB127_2289
; %bb.2288:
	global_load_u8 v1, v[32:33], off
	s_wait_loadcnt 0x0
	v_lshlrev_b32_e32 v3, 25, v1
	v_lshlrev_b16 v1, 8, v1
	s_delay_alu instid0(VALU_DEP_1) | instskip(SKIP_1) | instid1(VALU_DEP_2)
	v_and_or_b32 v7, 0x7f00, v1, 0.5
	v_bfe_i32 v1, v1, 0, 16
	v_add_f32_e32 v7, -0.5, v7
	v_lshrrev_b32_e32 v5, 4, v3
	v_cmp_gt_u32_e32 vcc_lo, 0x8000000, v3
	s_delay_alu instid0(VALU_DEP_2) | instskip(NEXT) | instid1(VALU_DEP_1)
	v_or_b32_e32 v5, 0x70000000, v5
	v_mul_f32_e32 v5, 0x7800000, v5
	s_delay_alu instid0(VALU_DEP_1) | instskip(NEXT) | instid1(VALU_DEP_1)
	v_cndmask_b32_e32 v3, v5, v7, vcc_lo
	v_and_or_b32 v1, 0x80000000, v1, v3
	s_delay_alu instid0(VALU_DEP_1) | instskip(NEXT) | instid1(VALU_DEP_1)
	v_trunc_f32_e32 v1, v1
	v_mul_f32_e64 v3, 0x2f800000, |v1|
	v_ashrrev_i32_e32 v12, 31, v1
	s_delay_alu instid0(VALU_DEP_2) | instskip(SKIP_1) | instid1(VALU_DEP_2)
	v_floor_f32_e32 v3, v3
	s_wait_xcnt 0x1
	v_mov_b32_e32 v13, v12
	s_delay_alu instid0(VALU_DEP_2) | instskip(SKIP_1) | instid1(VALU_DEP_2)
	v_fma_f32 v5, 0xcf800000, v3, |v1|
	v_cvt_u32_f32_e32 v1, v3
	v_cvt_u32_f32_e32 v3, v5
	s_delay_alu instid0(VALU_DEP_2) | instskip(NEXT) | instid1(VALU_DEP_2)
	v_xor_b32_e32 v35, v1, v12
	v_xor_b32_e32 v34, v3, v12
	s_delay_alu instid0(VALU_DEP_1)
	v_sub_nc_u64_e32 v[12:13], v[34:35], v[12:13]
.LBB127_2289:
	s_mov_b32 s15, 0
	s_mov_b32 s16, -1
.LBB127_2290:
	s_and_not1_b32 vcc_lo, exec_lo, s15
	s_mov_b32 s15, 0
	s_cbranch_vccnz .LBB127_2301
; %bb.2291:
	s_cmp_gt_i32 s8, 14
	s_cbranch_scc0 .LBB127_2294
; %bb.2292:
	s_cmp_eq_u32 s8, 15
	s_cbranch_scc0 .LBB127_2297
; %bb.2293:
	global_load_u16 v1, v[32:33], off
	s_mov_b32 s9, 0
	s_mov_b32 s16, -1
	s_wait_loadcnt 0x0
	v_lshlrev_b32_e32 v1, 16, v1
	s_delay_alu instid0(VALU_DEP_1) | instskip(NEXT) | instid1(VALU_DEP_1)
	v_trunc_f32_e32 v1, v1
	v_mul_f32_e64 v3, 0x2f800000, |v1|
	v_ashrrev_i32_e32 v12, 31, v1
	s_delay_alu instid0(VALU_DEP_2) | instskip(SKIP_1) | instid1(VALU_DEP_2)
	v_floor_f32_e32 v3, v3
	s_wait_xcnt 0x1
	v_mov_b32_e32 v13, v12
	s_delay_alu instid0(VALU_DEP_2) | instskip(SKIP_1) | instid1(VALU_DEP_2)
	v_fma_f32 v5, 0xcf800000, v3, |v1|
	v_cvt_u32_f32_e32 v1, v3
	v_cvt_u32_f32_e32 v3, v5
	s_delay_alu instid0(VALU_DEP_2) | instskip(NEXT) | instid1(VALU_DEP_2)
	v_xor_b32_e32 v35, v1, v12
	v_xor_b32_e32 v34, v3, v12
	s_delay_alu instid0(VALU_DEP_1)
	v_sub_nc_u64_e32 v[12:13], v[34:35], v[12:13]
	s_branch .LBB127_2299
.LBB127_2294:
	s_mov_b32 s15, -1
	s_branch .LBB127_2298
.LBB127_2295:
	s_and_not1_saveexec_b32 s15, s15
	s_cbranch_execz .LBB127_2276
.LBB127_2296:
	v_cmp_ne_u16_e32 vcc_lo, 0, v1
	s_and_not1_b32 s16, s16, exec_lo
	s_and_b32 s17, vcc_lo, exec_lo
	s_delay_alu instid0(SALU_CYCLE_1)
	s_or_b32 s16, s16, s17
	s_or_b32 exec_lo, exec_lo, s15
	v_mov_b64_e32 v[12:13], 0
	s_and_saveexec_b32 s15, s16
	s_cbranch_execnz .LBB127_2277
	s_branch .LBB127_2278
.LBB127_2297:
	s_mov_b32 s9, -1
.LBB127_2298:
                                        ; implicit-def: $vgpr12_vgpr13
.LBB127_2299:
	s_and_b32 vcc_lo, exec_lo, s15
	s_mov_b32 s15, 0
	s_cbranch_vccz .LBB127_2301
; %bb.2300:
	s_cmp_lg_u32 s8, 11
	s_mov_b32 s15, -1
	s_cselect_b32 s9, -1, 0
.LBB127_2301:
	s_delay_alu instid0(SALU_CYCLE_1)
	s_and_b32 vcc_lo, exec_lo, s9
	s_cbranch_vccnz .LBB127_2364
; %bb.2302:
	s_and_not1_b32 vcc_lo, exec_lo, s15
	s_cbranch_vccnz .LBB127_2304
.LBB127_2303:
	global_load_u8 v1, v[32:33], off
	s_mov_b32 s8, 0
	s_mov_b32 s16, -1
	s_wait_loadcnt 0x1
	s_wait_xcnt 0x1
	v_mov_b32_e32 v13, s8
	s_wait_loadcnt 0x0
	v_cmp_ne_u16_e32 vcc_lo, 0, v1
	v_cndmask_b32_e64 v12, 0, 1, vcc_lo
.LBB127_2304:
	s_branch .LBB127_2234
.LBB127_2305:
	s_and_b32 s8, 0xffff, s14
	s_delay_alu instid0(SALU_CYCLE_1)
	s_cmp_lt_i32 s8, 5
	s_cbranch_scc1 .LBB127_2310
; %bb.2306:
	s_cmp_lt_i32 s8, 8
	s_cbranch_scc1 .LBB127_2311
; %bb.2307:
	;; [unrolled: 3-line block ×3, first 2 shown]
	s_cmp_gt_i32 s8, 9
	s_cbranch_scc0 .LBB127_2313
; %bb.2309:
	s_wait_loadcnt 0x0
	global_load_b64 v[12:13], v[32:33], off
	s_mov_b32 s9, 0
	s_wait_loadcnt 0x0
	v_trunc_f64_e32 v[12:13], v[12:13]
	s_delay_alu instid0(VALU_DEP_1) | instskip(NEXT) | instid1(VALU_DEP_1)
	v_ldexp_f64 v[34:35], v[12:13], 0xffffffe0
	v_floor_f64_e32 v[34:35], v[34:35]
	s_delay_alu instid0(VALU_DEP_1) | instskip(SKIP_1) | instid1(VALU_DEP_2)
	v_fmamk_f64 v[36:37], v[34:35], 0xc1f00000, v[12:13]
	v_cvt_i32_f64_e32 v13, v[34:35]
	v_cvt_u32_f64_e32 v12, v[36:37]
	s_branch .LBB127_2314
.LBB127_2310:
                                        ; implicit-def: $vgpr12_vgpr13
	s_branch .LBB127_2332
.LBB127_2311:
	s_mov_b32 s9, -1
                                        ; implicit-def: $vgpr12_vgpr13
	s_branch .LBB127_2320
.LBB127_2312:
	s_mov_b32 s9, -1
                                        ; implicit-def: $vgpr12_vgpr13
	s_branch .LBB127_2317
.LBB127_2313:
	s_mov_b32 s9, -1
                                        ; implicit-def: $vgpr12_vgpr13
.LBB127_2314:
	s_delay_alu instid0(SALU_CYCLE_1)
	s_and_not1_b32 vcc_lo, exec_lo, s9
	s_cbranch_vccnz .LBB127_2316
; %bb.2315:
	global_load_b32 v1, v[32:33], off
	s_wait_loadcnt 0x0
	v_trunc_f32_e32 v1, v1
	s_delay_alu instid0(VALU_DEP_1) | instskip(SKIP_1) | instid1(VALU_DEP_2)
	v_mul_f32_e64 v3, 0x2f800000, |v1|
	v_ashrrev_i32_e32 v12, 31, v1
	v_floor_f32_e32 v3, v3
	s_delay_alu instid0(VALU_DEP_1) | instskip(SKIP_3) | instid1(VALU_DEP_3)
	v_fma_f32 v5, 0xcf800000, v3, |v1|
	v_cvt_u32_f32_e32 v1, v3
	s_wait_xcnt 0x1
	v_mov_b32_e32 v13, v12
	v_cvt_u32_f32_e32 v3, v5
	s_delay_alu instid0(VALU_DEP_3) | instskip(NEXT) | instid1(VALU_DEP_2)
	v_xor_b32_e32 v35, v1, v12
	v_xor_b32_e32 v34, v3, v12
	s_delay_alu instid0(VALU_DEP_1)
	v_sub_nc_u64_e32 v[12:13], v[34:35], v[12:13]
.LBB127_2316:
	s_mov_b32 s9, 0
.LBB127_2317:
	s_delay_alu instid0(SALU_CYCLE_1)
	s_and_not1_b32 vcc_lo, exec_lo, s9
	s_cbranch_vccnz .LBB127_2319
; %bb.2318:
	global_load_b32 v1, v[32:33], off
	s_wait_loadcnt 0x0
	v_cvt_f32_f16_e32 v1, v1
	s_delay_alu instid0(VALU_DEP_1) | instskip(SKIP_1) | instid1(VALU_DEP_1)
	v_cvt_i32_f32_e32 v12, v1
	s_wait_xcnt 0x1
	v_ashrrev_i32_e32 v13, 31, v12
.LBB127_2319:
	s_mov_b32 s9, 0
.LBB127_2320:
	s_delay_alu instid0(SALU_CYCLE_1)
	s_and_not1_b32 vcc_lo, exec_lo, s9
	s_cbranch_vccnz .LBB127_2331
; %bb.2321:
	s_cmp_lt_i32 s8, 6
	s_cbranch_scc1 .LBB127_2324
; %bb.2322:
	s_cmp_gt_i32 s8, 6
	s_cbranch_scc0 .LBB127_2325
; %bb.2323:
	s_wait_loadcnt 0x0
	global_load_b64 v[12:13], v[32:33], off
	s_mov_b32 s9, 0
	s_wait_loadcnt 0x0
	v_trunc_f64_e32 v[12:13], v[12:13]
	s_delay_alu instid0(VALU_DEP_1) | instskip(NEXT) | instid1(VALU_DEP_1)
	v_ldexp_f64 v[34:35], v[12:13], 0xffffffe0
	v_floor_f64_e32 v[34:35], v[34:35]
	s_delay_alu instid0(VALU_DEP_1) | instskip(SKIP_1) | instid1(VALU_DEP_2)
	v_fmamk_f64 v[36:37], v[34:35], 0xc1f00000, v[12:13]
	v_cvt_i32_f64_e32 v13, v[34:35]
	v_cvt_u32_f64_e32 v12, v[36:37]
	s_branch .LBB127_2326
.LBB127_2324:
	s_mov_b32 s9, -1
                                        ; implicit-def: $vgpr12_vgpr13
	s_branch .LBB127_2329
.LBB127_2325:
	s_mov_b32 s9, -1
                                        ; implicit-def: $vgpr12_vgpr13
.LBB127_2326:
	s_delay_alu instid0(SALU_CYCLE_1)
	s_and_not1_b32 vcc_lo, exec_lo, s9
	s_cbranch_vccnz .LBB127_2328
; %bb.2327:
	global_load_b32 v1, v[32:33], off
	s_wait_loadcnt 0x0
	v_trunc_f32_e32 v1, v1
	s_delay_alu instid0(VALU_DEP_1) | instskip(SKIP_1) | instid1(VALU_DEP_2)
	v_mul_f32_e64 v3, 0x2f800000, |v1|
	v_ashrrev_i32_e32 v12, 31, v1
	v_floor_f32_e32 v3, v3
	s_delay_alu instid0(VALU_DEP_1) | instskip(SKIP_3) | instid1(VALU_DEP_3)
	v_fma_f32 v5, 0xcf800000, v3, |v1|
	v_cvt_u32_f32_e32 v1, v3
	s_wait_xcnt 0x1
	v_mov_b32_e32 v13, v12
	v_cvt_u32_f32_e32 v3, v5
	s_delay_alu instid0(VALU_DEP_3) | instskip(NEXT) | instid1(VALU_DEP_2)
	v_xor_b32_e32 v35, v1, v12
	v_xor_b32_e32 v34, v3, v12
	s_delay_alu instid0(VALU_DEP_1)
	v_sub_nc_u64_e32 v[12:13], v[34:35], v[12:13]
.LBB127_2328:
	s_mov_b32 s9, 0
.LBB127_2329:
	s_delay_alu instid0(SALU_CYCLE_1)
	s_and_not1_b32 vcc_lo, exec_lo, s9
	s_cbranch_vccnz .LBB127_2331
; %bb.2330:
	global_load_u16 v1, v[32:33], off
	s_wait_loadcnt 0x0
	v_cvt_f32_f16_e32 v1, v1
	s_delay_alu instid0(VALU_DEP_1) | instskip(SKIP_1) | instid1(VALU_DEP_1)
	v_cvt_i32_f32_e32 v12, v1
	s_wait_xcnt 0x1
	v_ashrrev_i32_e32 v13, 31, v12
.LBB127_2331:
	s_cbranch_execnz .LBB127_2351
.LBB127_2332:
	s_cmp_lt_i32 s8, 2
	s_cbranch_scc1 .LBB127_2336
; %bb.2333:
	s_cmp_lt_i32 s8, 3
	s_cbranch_scc1 .LBB127_2337
; %bb.2334:
	s_cmp_gt_i32 s8, 3
	s_cbranch_scc0 .LBB127_2338
; %bb.2335:
	s_wait_loadcnt 0x0
	global_load_b64 v[12:13], v[32:33], off
	s_mov_b32 s9, 0
	s_branch .LBB127_2339
.LBB127_2336:
	s_mov_b32 s9, -1
                                        ; implicit-def: $vgpr12_vgpr13
	s_branch .LBB127_2345
.LBB127_2337:
	s_mov_b32 s9, -1
                                        ; implicit-def: $vgpr12_vgpr13
	s_branch .LBB127_2342
.LBB127_2338:
	s_mov_b32 s9, -1
                                        ; implicit-def: $vgpr12_vgpr13
.LBB127_2339:
	s_delay_alu instid0(SALU_CYCLE_1)
	s_and_not1_b32 vcc_lo, exec_lo, s9
	s_cbranch_vccnz .LBB127_2341
; %bb.2340:
	s_wait_loadcnt 0x0
	global_load_b32 v12, v[32:33], off
	s_wait_loadcnt 0x0
	s_wait_xcnt 0x1
	v_ashrrev_i32_e32 v13, 31, v12
.LBB127_2341:
	s_mov_b32 s9, 0
.LBB127_2342:
	s_delay_alu instid0(SALU_CYCLE_1)
	s_and_not1_b32 vcc_lo, exec_lo, s9
	s_cbranch_vccnz .LBB127_2344
; %bb.2343:
	global_load_u16 v1, v[32:33], off
	s_wait_loadcnt 0x0
	v_bfe_i32 v12, v1, 0, 16
	s_wait_xcnt 0x1
	s_delay_alu instid0(VALU_DEP_1)
	v_ashrrev_i32_e32 v13, 31, v12
.LBB127_2344:
	s_mov_b32 s9, 0
.LBB127_2345:
	s_delay_alu instid0(SALU_CYCLE_1)
	s_and_not1_b32 vcc_lo, exec_lo, s9
	s_cbranch_vccnz .LBB127_2351
; %bb.2346:
	s_cmp_gt_i32 s8, 0
	s_mov_b32 s8, 0
	s_cbranch_scc0 .LBB127_2348
; %bb.2347:
	global_load_i8 v1, v[32:33], off
	s_wait_loadcnt 0x0
	v_bfe_i32 v12, v1, 0, 16
	s_wait_xcnt 0x1
	s_delay_alu instid0(VALU_DEP_1)
	v_ashrrev_i32_e32 v13, 31, v12
	s_branch .LBB127_2349
.LBB127_2348:
	s_mov_b32 s8, -1
                                        ; implicit-def: $vgpr12_vgpr13
.LBB127_2349:
	s_delay_alu instid0(SALU_CYCLE_1)
	s_and_not1_b32 vcc_lo, exec_lo, s8
	s_cbranch_vccnz .LBB127_2351
; %bb.2350:
	global_load_u8 v1, v[32:33], off
	s_mov_b32 s8, 0
	s_wait_loadcnt 0x1
	s_wait_xcnt 0x1
	v_mov_b32_e32 v13, s8
	s_wait_loadcnt 0x0
	v_and_b32_e32 v12, 0xffff, v1
.LBB127_2351:
.LBB127_2352:
	s_clause 0x1
	s_load_b64 s[8:9], s[2:3], 0x1e0
	s_load_b32 s15, s[2:3], 0x1ec
	v_mov_b32_e32 v17, 0
	s_wait_kmcnt 0x0
	s_delay_alu instid0(VALU_DEP_1) | instskip(SKIP_1) | instid1(SALU_CYCLE_1)
	v_add_nc_u64_e32 v[32:33], s[8:9], v[16:17]
	s_and_b32 s15, s15, 0xff
	s_cmp_lt_i32 s15, 11
	s_cbranch_scc1 .LBB127_2359
; %bb.2353:
	s_and_b32 s16, 0xffff, s15
	s_mov_b32 s18, 0
	s_cmp_gt_i32 s16, 25
	s_cbranch_scc0 .LBB127_2361
; %bb.2354:
	s_cmp_gt_i32 s16, 28
	s_cbranch_scc0 .LBB127_2362
; %bb.2355:
	;; [unrolled: 3-line block ×4, first 2 shown]
	s_cmp_eq_u32 s16, 46
	s_mov_b32 s20, 0
	s_cbranch_scc0 .LBB127_2366
; %bb.2358:
	global_load_b32 v1, v[32:33], off
	s_mov_b32 s17, 0
	s_mov_b32 s19, -1
	s_wait_loadcnt 0x0
	v_lshlrev_b32_e32 v1, 16, v1
	s_delay_alu instid0(VALU_DEP_1) | instskip(NEXT) | instid1(VALU_DEP_1)
	v_trunc_f32_e32 v1, v1
	v_mul_f32_e64 v3, 0x2f800000, |v1|
	v_ashrrev_i32_e32 v16, 31, v1
	s_delay_alu instid0(VALU_DEP_2) | instskip(NEXT) | instid1(VALU_DEP_2)
	v_floor_f32_e32 v3, v3
	v_mov_b32_e32 v17, v16
	s_delay_alu instid0(VALU_DEP_2) | instskip(SKIP_1) | instid1(VALU_DEP_2)
	v_fma_f32 v5, 0xcf800000, v3, |v1|
	v_cvt_u32_f32_e32 v1, v3
	v_cvt_u32_f32_e32 v3, v5
	s_delay_alu instid0(VALU_DEP_2) | instskip(NEXT) | instid1(VALU_DEP_2)
	v_xor_b32_e32 v35, v1, v16
	v_xor_b32_e32 v34, v3, v16
	s_delay_alu instid0(VALU_DEP_1)
	v_sub_nc_u64_e32 v[16:17], v[34:35], v[16:17]
	s_branch .LBB127_2368
.LBB127_2359:
	s_mov_b32 s19, 0
                                        ; implicit-def: $vgpr16_vgpr17
	s_cbranch_execnz .LBB127_2430
.LBB127_2360:
	s_and_not1_b32 vcc_lo, exec_lo, s19
	s_cbranch_vccnz .LBB127_4058
	s_branch .LBB127_2478
.LBB127_2361:
	s_mov_b32 s20, -1
	s_mov_b32 s19, 0
	s_mov_b32 s17, 0
                                        ; implicit-def: $vgpr16_vgpr17
	s_branch .LBB127_2395
.LBB127_2362:
	s_mov_b32 s20, -1
	s_mov_b32 s19, 0
	s_mov_b32 s17, 0
                                        ; implicit-def: $vgpr16_vgpr17
	s_branch .LBB127_2378
.LBB127_2363:
	s_mov_b32 s20, -1
	s_mov_b32 s19, 0
	s_mov_b32 s17, 0
                                        ; implicit-def: $vgpr16_vgpr17
	s_branch .LBB127_2373
.LBB127_2364:
	s_or_b32 s12, s12, exec_lo
	s_trap 2
	s_cbranch_execz .LBB127_2303
	s_branch .LBB127_2304
.LBB127_2365:
	s_mov_b32 s20, -1
	s_mov_b32 s19, 0
	s_mov_b32 s17, 0
	s_branch .LBB127_2367
.LBB127_2366:
	s_mov_b32 s17, -1
	s_mov_b32 s19, 0
.LBB127_2367:
                                        ; implicit-def: $vgpr16_vgpr17
.LBB127_2368:
	s_and_b32 vcc_lo, exec_lo, s20
	s_cbranch_vccz .LBB127_2372
; %bb.2369:
	s_cmp_eq_u32 s16, 44
	s_cbranch_scc0 .LBB127_2371
; %bb.2370:
	global_load_u8 v1, v[32:33], off
	s_mov_b32 s17, 0
	s_mov_b32 s19, -1
	s_wait_loadcnt 0x0
	v_lshlrev_b32_e32 v3, 23, v1
	v_cmp_ne_u32_e32 vcc_lo, 0, v1
	s_delay_alu instid0(VALU_DEP_2) | instskip(NEXT) | instid1(VALU_DEP_1)
	v_trunc_f32_e32 v3, v3
	v_mul_f32_e64 v5, 0x2f800000, |v3|
	v_ashrrev_i32_e32 v16, 31, v3
	s_delay_alu instid0(VALU_DEP_2) | instskip(NEXT) | instid1(VALU_DEP_2)
	v_floor_f32_e32 v5, v5
	v_mov_b32_e32 v17, v16
	s_delay_alu instid0(VALU_DEP_2) | instskip(SKIP_1) | instid1(VALU_DEP_2)
	v_fma_f32 v7, 0xcf800000, v5, |v3|
	v_cvt_u32_f32_e32 v3, v5
	v_cvt_u32_f32_e32 v5, v7
	s_delay_alu instid0(VALU_DEP_2) | instskip(NEXT) | instid1(VALU_DEP_2)
	v_xor_b32_e32 v35, v3, v16
	v_xor_b32_e32 v34, v5, v16
	s_delay_alu instid0(VALU_DEP_1) | instskip(NEXT) | instid1(VALU_DEP_1)
	v_sub_nc_u64_e32 v[16:17], v[34:35], v[16:17]
	v_dual_cndmask_b32 v17, 0, v17 :: v_dual_cndmask_b32 v16, 0, v16
	s_branch .LBB127_2372
.LBB127_2371:
	s_mov_b32 s17, -1
                                        ; implicit-def: $vgpr16_vgpr17
.LBB127_2372:
	s_mov_b32 s20, 0
.LBB127_2373:
	s_delay_alu instid0(SALU_CYCLE_1)
	s_and_b32 vcc_lo, exec_lo, s20
	s_cbranch_vccz .LBB127_2377
; %bb.2374:
	s_cmp_eq_u32 s16, 29
	s_cbranch_scc0 .LBB127_2376
; %bb.2375:
	global_load_b64 v[16:17], v[32:33], off
	s_mov_b32 s17, 0
	s_mov_b32 s19, -1
	s_branch .LBB127_2377
.LBB127_2376:
	s_mov_b32 s17, -1
                                        ; implicit-def: $vgpr16_vgpr17
.LBB127_2377:
	s_mov_b32 s20, 0
.LBB127_2378:
	s_delay_alu instid0(SALU_CYCLE_1)
	s_and_b32 vcc_lo, exec_lo, s20
	s_cbranch_vccz .LBB127_2394
; %bb.2379:
	s_cmp_lt_i32 s16, 27
	s_cbranch_scc1 .LBB127_2382
; %bb.2380:
	s_cmp_gt_i32 s16, 27
	s_cbranch_scc0 .LBB127_2383
; %bb.2381:
	s_wait_loadcnt 0x0
	global_load_b32 v16, v[32:33], off
	v_mov_b32_e32 v17, 0
	s_mov_b32 s19, 0
	s_branch .LBB127_2384
.LBB127_2382:
	s_mov_b32 s19, -1
                                        ; implicit-def: $vgpr16_vgpr17
	s_branch .LBB127_2387
.LBB127_2383:
	s_mov_b32 s19, -1
                                        ; implicit-def: $vgpr16_vgpr17
.LBB127_2384:
	s_delay_alu instid0(SALU_CYCLE_1)
	s_and_not1_b32 vcc_lo, exec_lo, s19
	s_cbranch_vccnz .LBB127_2386
; %bb.2385:
	global_load_u16 v1, v[32:33], off
	s_mov_b32 s19, 0
	s_wait_loadcnt 0x1
	v_mov_b32_e32 v17, s19
	s_wait_loadcnt 0x0
	v_and_b32_e32 v16, 0xffff, v1
.LBB127_2386:
	s_mov_b32 s19, 0
.LBB127_2387:
	s_delay_alu instid0(SALU_CYCLE_1)
	s_and_not1_b32 vcc_lo, exec_lo, s19
	s_cbranch_vccnz .LBB127_2393
; %bb.2388:
	global_load_u8 v1, v[32:33], off
	s_mov_b32 s20, 0
	s_mov_b32 s19, exec_lo
	s_wait_loadcnt 0x0
	v_cmpx_lt_i16_e32 0x7f, v1
	s_xor_b32 s19, exec_lo, s19
	s_cbranch_execz .LBB127_2405
; %bb.2389:
	v_cmp_ne_u16_e32 vcc_lo, 0x80, v1
	s_and_b32 s20, vcc_lo, exec_lo
	s_and_not1_saveexec_b32 s19, s19
	s_cbranch_execnz .LBB127_2406
.LBB127_2390:
	s_or_b32 exec_lo, exec_lo, s19
	v_mov_b64_e32 v[16:17], 0
	s_and_saveexec_b32 s19, s20
	s_cbranch_execz .LBB127_2392
.LBB127_2391:
	v_and_b32_e32 v3, 0xffff, v1
	s_delay_alu instid0(VALU_DEP_1) | instskip(SKIP_1) | instid1(VALU_DEP_2)
	v_dual_lshlrev_b32 v1, 24, v1 :: v_dual_bitop2_b32 v5, 7, v3 bitop3:0x40
	v_bfe_u32 v15, v3, 3, 4
	v_and_b32_e32 v1, 0x80000000, v1
	s_delay_alu instid0(VALU_DEP_3) | instskip(NEXT) | instid1(VALU_DEP_3)
	v_clz_i32_u32_e32 v7, v5
	v_cmp_eq_u32_e32 vcc_lo, 0, v15
	s_delay_alu instid0(VALU_DEP_2) | instskip(NEXT) | instid1(VALU_DEP_1)
	v_min_u32_e32 v7, 32, v7
	v_subrev_nc_u32_e32 v11, 28, v7
	v_sub_nc_u32_e32 v7, 29, v7
	s_delay_alu instid0(VALU_DEP_2) | instskip(NEXT) | instid1(VALU_DEP_2)
	v_lshlrev_b32_e32 v3, v11, v3
	v_cndmask_b32_e32 v7, v15, v7, vcc_lo
	s_delay_alu instid0(VALU_DEP_2) | instskip(NEXT) | instid1(VALU_DEP_1)
	v_and_b32_e32 v3, 7, v3
	v_cndmask_b32_e32 v3, v5, v3, vcc_lo
	s_delay_alu instid0(VALU_DEP_3) | instskip(NEXT) | instid1(VALU_DEP_2)
	v_lshl_add_u32 v5, v7, 23, 0x3b800000
	v_lshlrev_b32_e32 v3, 20, v3
	s_delay_alu instid0(VALU_DEP_1) | instskip(NEXT) | instid1(VALU_DEP_1)
	v_or3_b32 v1, v1, v5, v3
	v_trunc_f32_e32 v1, v1
	s_delay_alu instid0(VALU_DEP_1) | instskip(SKIP_1) | instid1(VALU_DEP_2)
	v_mul_f32_e64 v3, 0x2f800000, |v1|
	v_ashrrev_i32_e32 v16, 31, v1
	v_floor_f32_e32 v3, v3
	s_delay_alu instid0(VALU_DEP_2) | instskip(NEXT) | instid1(VALU_DEP_2)
	v_mov_b32_e32 v17, v16
	v_fma_f32 v5, 0xcf800000, v3, |v1|
	v_cvt_u32_f32_e32 v1, v3
	s_delay_alu instid0(VALU_DEP_2) | instskip(NEXT) | instid1(VALU_DEP_2)
	v_cvt_u32_f32_e32 v3, v5
	v_xor_b32_e32 v35, v1, v16
	s_delay_alu instid0(VALU_DEP_2) | instskip(NEXT) | instid1(VALU_DEP_1)
	v_xor_b32_e32 v34, v3, v16
	v_sub_nc_u64_e32 v[16:17], v[34:35], v[16:17]
.LBB127_2392:
	s_or_b32 exec_lo, exec_lo, s19
.LBB127_2393:
	s_mov_b32 s19, -1
.LBB127_2394:
	s_mov_b32 s20, 0
.LBB127_2395:
	s_delay_alu instid0(SALU_CYCLE_1)
	s_and_b32 vcc_lo, exec_lo, s20
	s_cbranch_vccz .LBB127_2426
; %bb.2396:
	s_cmp_gt_i32 s16, 22
	s_cbranch_scc0 .LBB127_2404
; %bb.2397:
	s_cmp_lt_i32 s16, 24
	s_cbranch_scc1 .LBB127_2407
; %bb.2398:
	s_cmp_gt_i32 s16, 24
	s_cbranch_scc0 .LBB127_2408
; %bb.2399:
	global_load_u8 v1, v[32:33], off
	s_mov_b32 s19, 0
	s_mov_b32 s18, exec_lo
	s_wait_loadcnt 0x0
	v_cmpx_lt_i16_e32 0x7f, v1
	s_xor_b32 s18, exec_lo, s18
	s_cbranch_execz .LBB127_2420
; %bb.2400:
	v_cmp_ne_u16_e32 vcc_lo, 0x80, v1
	s_and_b32 s19, vcc_lo, exec_lo
	s_and_not1_saveexec_b32 s18, s18
	s_cbranch_execnz .LBB127_2421
.LBB127_2401:
	s_or_b32 exec_lo, exec_lo, s18
	v_mov_b64_e32 v[16:17], 0
	s_and_saveexec_b32 s18, s19
	s_cbranch_execz .LBB127_2403
.LBB127_2402:
	v_and_b32_e32 v3, 0xffff, v1
	s_delay_alu instid0(VALU_DEP_1) | instskip(SKIP_1) | instid1(VALU_DEP_2)
	v_dual_lshlrev_b32 v1, 24, v1 :: v_dual_bitop2_b32 v5, 3, v3 bitop3:0x40
	v_bfe_u32 v15, v3, 2, 5
	v_and_b32_e32 v1, 0x80000000, v1
	s_delay_alu instid0(VALU_DEP_3) | instskip(NEXT) | instid1(VALU_DEP_3)
	v_clz_i32_u32_e32 v7, v5
	v_cmp_eq_u32_e32 vcc_lo, 0, v15
	s_delay_alu instid0(VALU_DEP_2) | instskip(NEXT) | instid1(VALU_DEP_1)
	v_min_u32_e32 v7, 32, v7
	v_subrev_nc_u32_e32 v11, 29, v7
	v_sub_nc_u32_e32 v7, 30, v7
	s_delay_alu instid0(VALU_DEP_2) | instskip(NEXT) | instid1(VALU_DEP_2)
	v_lshlrev_b32_e32 v3, v11, v3
	v_cndmask_b32_e32 v7, v15, v7, vcc_lo
	s_delay_alu instid0(VALU_DEP_2) | instskip(NEXT) | instid1(VALU_DEP_1)
	v_and_b32_e32 v3, 3, v3
	v_cndmask_b32_e32 v3, v5, v3, vcc_lo
	s_delay_alu instid0(VALU_DEP_3) | instskip(NEXT) | instid1(VALU_DEP_2)
	v_lshl_add_u32 v5, v7, 23, 0x37800000
	v_lshlrev_b32_e32 v3, 21, v3
	s_delay_alu instid0(VALU_DEP_1) | instskip(NEXT) | instid1(VALU_DEP_1)
	v_or3_b32 v1, v1, v5, v3
	v_trunc_f32_e32 v1, v1
	s_delay_alu instid0(VALU_DEP_1) | instskip(SKIP_1) | instid1(VALU_DEP_2)
	v_mul_f32_e64 v3, 0x2f800000, |v1|
	v_ashrrev_i32_e32 v16, 31, v1
	v_floor_f32_e32 v3, v3
	s_delay_alu instid0(VALU_DEP_2) | instskip(NEXT) | instid1(VALU_DEP_2)
	v_mov_b32_e32 v17, v16
	v_fma_f32 v5, 0xcf800000, v3, |v1|
	v_cvt_u32_f32_e32 v1, v3
	s_delay_alu instid0(VALU_DEP_2) | instskip(NEXT) | instid1(VALU_DEP_2)
	v_cvt_u32_f32_e32 v3, v5
	v_xor_b32_e32 v35, v1, v16
	s_delay_alu instid0(VALU_DEP_2) | instskip(NEXT) | instid1(VALU_DEP_1)
	v_xor_b32_e32 v34, v3, v16
	v_sub_nc_u64_e32 v[16:17], v[34:35], v[16:17]
.LBB127_2403:
	s_or_b32 exec_lo, exec_lo, s18
	s_mov_b32 s18, 0
	s_branch .LBB127_2409
.LBB127_2404:
	s_mov_b32 s18, -1
                                        ; implicit-def: $vgpr16_vgpr17
	s_branch .LBB127_2415
.LBB127_2405:
	s_and_not1_saveexec_b32 s19, s19
	s_cbranch_execz .LBB127_2390
.LBB127_2406:
	v_cmp_ne_u16_e32 vcc_lo, 0, v1
	s_and_not1_b32 s20, s20, exec_lo
	s_and_b32 s21, vcc_lo, exec_lo
	s_delay_alu instid0(SALU_CYCLE_1)
	s_or_b32 s20, s20, s21
	s_or_b32 exec_lo, exec_lo, s19
	v_mov_b64_e32 v[16:17], 0
	s_and_saveexec_b32 s19, s20
	s_cbranch_execnz .LBB127_2391
	s_branch .LBB127_2392
.LBB127_2407:
	s_mov_b32 s18, -1
                                        ; implicit-def: $vgpr16_vgpr17
	s_branch .LBB127_2412
.LBB127_2408:
	s_mov_b32 s18, -1
                                        ; implicit-def: $vgpr16_vgpr17
.LBB127_2409:
	s_delay_alu instid0(SALU_CYCLE_1)
	s_and_b32 vcc_lo, exec_lo, s18
	s_cbranch_vccz .LBB127_2411
; %bb.2410:
	global_load_u8 v1, v[32:33], off
	s_wait_loadcnt 0x0
	v_lshlrev_b32_e32 v1, 24, v1
	s_delay_alu instid0(VALU_DEP_1) | instskip(NEXT) | instid1(VALU_DEP_1)
	v_and_b32_e32 v3, 0x7f000000, v1
	v_clz_i32_u32_e32 v5, v3
	v_add_nc_u32_e32 v11, 0x1000000, v3
	v_cmp_ne_u32_e32 vcc_lo, 0, v3
	s_delay_alu instid0(VALU_DEP_3) | instskip(NEXT) | instid1(VALU_DEP_1)
	v_min_u32_e32 v5, 32, v5
	v_sub_nc_u32_e64 v5, v5, 4 clamp
	s_delay_alu instid0(VALU_DEP_1) | instskip(NEXT) | instid1(VALU_DEP_1)
	v_dual_lshlrev_b32 v7, v5, v3 :: v_dual_lshlrev_b32 v5, 23, v5
	v_lshrrev_b32_e32 v7, 4, v7
	s_delay_alu instid0(VALU_DEP_1) | instskip(NEXT) | instid1(VALU_DEP_1)
	v_dual_sub_nc_u32 v5, v7, v5 :: v_dual_ashrrev_i32 v7, 8, v11
	v_add_nc_u32_e32 v5, 0x3c000000, v5
	s_delay_alu instid0(VALU_DEP_1) | instskip(NEXT) | instid1(VALU_DEP_1)
	v_and_or_b32 v5, 0x7f800000, v7, v5
	v_cndmask_b32_e32 v3, 0, v5, vcc_lo
	s_delay_alu instid0(VALU_DEP_1) | instskip(NEXT) | instid1(VALU_DEP_1)
	v_and_or_b32 v1, 0x80000000, v1, v3
	v_trunc_f32_e32 v1, v1
	s_delay_alu instid0(VALU_DEP_1) | instskip(SKIP_1) | instid1(VALU_DEP_2)
	v_mul_f32_e64 v3, 0x2f800000, |v1|
	v_ashrrev_i32_e32 v16, 31, v1
	v_floor_f32_e32 v3, v3
	s_delay_alu instid0(VALU_DEP_2) | instskip(NEXT) | instid1(VALU_DEP_2)
	v_mov_b32_e32 v17, v16
	v_fma_f32 v5, 0xcf800000, v3, |v1|
	v_cvt_u32_f32_e32 v1, v3
	s_delay_alu instid0(VALU_DEP_2) | instskip(NEXT) | instid1(VALU_DEP_2)
	v_cvt_u32_f32_e32 v3, v5
	v_xor_b32_e32 v35, v1, v16
	s_delay_alu instid0(VALU_DEP_2) | instskip(NEXT) | instid1(VALU_DEP_1)
	v_xor_b32_e32 v34, v3, v16
	v_sub_nc_u64_e32 v[16:17], v[34:35], v[16:17]
.LBB127_2411:
	s_mov_b32 s18, 0
.LBB127_2412:
	s_delay_alu instid0(SALU_CYCLE_1)
	s_and_not1_b32 vcc_lo, exec_lo, s18
	s_cbranch_vccnz .LBB127_2414
; %bb.2413:
	global_load_u8 v1, v[32:33], off
	s_wait_loadcnt 0x0
	v_lshlrev_b32_e32 v3, 25, v1
	v_lshlrev_b16 v1, 8, v1
	s_delay_alu instid0(VALU_DEP_1) | instskip(SKIP_1) | instid1(VALU_DEP_2)
	v_and_or_b32 v7, 0x7f00, v1, 0.5
	v_bfe_i32 v1, v1, 0, 16
	v_add_f32_e32 v7, -0.5, v7
	v_lshrrev_b32_e32 v5, 4, v3
	v_cmp_gt_u32_e32 vcc_lo, 0x8000000, v3
	s_delay_alu instid0(VALU_DEP_2) | instskip(NEXT) | instid1(VALU_DEP_1)
	v_or_b32_e32 v5, 0x70000000, v5
	v_mul_f32_e32 v5, 0x7800000, v5
	s_delay_alu instid0(VALU_DEP_1) | instskip(NEXT) | instid1(VALU_DEP_1)
	v_cndmask_b32_e32 v3, v5, v7, vcc_lo
	v_and_or_b32 v1, 0x80000000, v1, v3
	s_delay_alu instid0(VALU_DEP_1) | instskip(NEXT) | instid1(VALU_DEP_1)
	v_trunc_f32_e32 v1, v1
	v_mul_f32_e64 v3, 0x2f800000, |v1|
	v_ashrrev_i32_e32 v16, 31, v1
	s_delay_alu instid0(VALU_DEP_2) | instskip(NEXT) | instid1(VALU_DEP_2)
	v_floor_f32_e32 v3, v3
	v_mov_b32_e32 v17, v16
	s_delay_alu instid0(VALU_DEP_2) | instskip(SKIP_1) | instid1(VALU_DEP_2)
	v_fma_f32 v5, 0xcf800000, v3, |v1|
	v_cvt_u32_f32_e32 v1, v3
	v_cvt_u32_f32_e32 v3, v5
	s_delay_alu instid0(VALU_DEP_2) | instskip(NEXT) | instid1(VALU_DEP_2)
	v_xor_b32_e32 v35, v1, v16
	v_xor_b32_e32 v34, v3, v16
	s_delay_alu instid0(VALU_DEP_1)
	v_sub_nc_u64_e32 v[16:17], v[34:35], v[16:17]
.LBB127_2414:
	s_mov_b32 s18, 0
	s_mov_b32 s19, -1
.LBB127_2415:
	s_and_not1_b32 vcc_lo, exec_lo, s18
	s_mov_b32 s18, 0
	s_cbranch_vccnz .LBB127_2426
; %bb.2416:
	s_cmp_gt_i32 s16, 14
	s_cbranch_scc0 .LBB127_2419
; %bb.2417:
	s_cmp_eq_u32 s16, 15
	s_cbranch_scc0 .LBB127_2422
; %bb.2418:
	global_load_u16 v1, v[32:33], off
	s_mov_b32 s17, 0
	s_mov_b32 s19, -1
	s_wait_loadcnt 0x0
	v_lshlrev_b32_e32 v1, 16, v1
	s_delay_alu instid0(VALU_DEP_1) | instskip(NEXT) | instid1(VALU_DEP_1)
	v_trunc_f32_e32 v1, v1
	v_mul_f32_e64 v3, 0x2f800000, |v1|
	v_ashrrev_i32_e32 v16, 31, v1
	s_delay_alu instid0(VALU_DEP_2) | instskip(NEXT) | instid1(VALU_DEP_2)
	v_floor_f32_e32 v3, v3
	v_mov_b32_e32 v17, v16
	s_delay_alu instid0(VALU_DEP_2) | instskip(SKIP_1) | instid1(VALU_DEP_2)
	v_fma_f32 v5, 0xcf800000, v3, |v1|
	v_cvt_u32_f32_e32 v1, v3
	v_cvt_u32_f32_e32 v3, v5
	s_delay_alu instid0(VALU_DEP_2) | instskip(NEXT) | instid1(VALU_DEP_2)
	v_xor_b32_e32 v35, v1, v16
	v_xor_b32_e32 v34, v3, v16
	s_delay_alu instid0(VALU_DEP_1)
	v_sub_nc_u64_e32 v[16:17], v[34:35], v[16:17]
	s_branch .LBB127_2424
.LBB127_2419:
	s_mov_b32 s18, -1
	s_branch .LBB127_2423
.LBB127_2420:
	s_and_not1_saveexec_b32 s18, s18
	s_cbranch_execz .LBB127_2401
.LBB127_2421:
	v_cmp_ne_u16_e32 vcc_lo, 0, v1
	s_and_not1_b32 s19, s19, exec_lo
	s_and_b32 s20, vcc_lo, exec_lo
	s_delay_alu instid0(SALU_CYCLE_1)
	s_or_b32 s19, s19, s20
	s_or_b32 exec_lo, exec_lo, s18
	v_mov_b64_e32 v[16:17], 0
	s_and_saveexec_b32 s18, s19
	s_cbranch_execnz .LBB127_2402
	s_branch .LBB127_2403
.LBB127_2422:
	s_mov_b32 s17, -1
.LBB127_2423:
                                        ; implicit-def: $vgpr16_vgpr17
.LBB127_2424:
	s_and_b32 vcc_lo, exec_lo, s18
	s_mov_b32 s18, 0
	s_cbranch_vccz .LBB127_2426
; %bb.2425:
	s_cmp_lg_u32 s16, 11
	s_mov_b32 s18, -1
	s_cselect_b32 s17, -1, 0
.LBB127_2426:
	s_delay_alu instid0(SALU_CYCLE_1)
	s_and_b32 vcc_lo, exec_lo, s17
	s_cbranch_vccnz .LBB127_2489
; %bb.2427:
	s_and_not1_b32 vcc_lo, exec_lo, s18
	s_cbranch_vccnz .LBB127_2429
.LBB127_2428:
	global_load_u8 v1, v[32:33], off
	s_mov_b32 s16, 0
	s_mov_b32 s19, -1
	s_wait_loadcnt 0x1
	v_mov_b32_e32 v17, s16
	s_wait_loadcnt 0x0
	v_cmp_ne_u16_e32 vcc_lo, 0, v1
	v_cndmask_b32_e64 v16, 0, 1, vcc_lo
.LBB127_2429:
	s_branch .LBB127_2360
.LBB127_2430:
	s_and_b32 s16, 0xffff, s15
	s_delay_alu instid0(SALU_CYCLE_1)
	s_cmp_lt_i32 s16, 5
	s_cbranch_scc1 .LBB127_2435
; %bb.2431:
	s_cmp_lt_i32 s16, 8
	s_cbranch_scc1 .LBB127_2436
; %bb.2432:
	;; [unrolled: 3-line block ×3, first 2 shown]
	s_cmp_gt_i32 s16, 9
	s_cbranch_scc0 .LBB127_2438
; %bb.2434:
	s_wait_loadcnt 0x0
	global_load_b64 v[16:17], v[32:33], off
	s_mov_b32 s17, 0
	s_wait_loadcnt 0x0
	v_trunc_f64_e32 v[16:17], v[16:17]
	s_delay_alu instid0(VALU_DEP_1) | instskip(NEXT) | instid1(VALU_DEP_1)
	v_ldexp_f64 v[34:35], v[16:17], 0xffffffe0
	v_floor_f64_e32 v[34:35], v[34:35]
	s_delay_alu instid0(VALU_DEP_1) | instskip(SKIP_1) | instid1(VALU_DEP_2)
	v_fmamk_f64 v[36:37], v[34:35], 0xc1f00000, v[16:17]
	v_cvt_i32_f64_e32 v17, v[34:35]
	v_cvt_u32_f64_e32 v16, v[36:37]
	s_branch .LBB127_2439
.LBB127_2435:
	s_mov_b32 s17, -1
                                        ; implicit-def: $vgpr16_vgpr17
	s_branch .LBB127_2457
.LBB127_2436:
	s_mov_b32 s17, -1
                                        ; implicit-def: $vgpr16_vgpr17
	s_branch .LBB127_2445
.LBB127_2437:
	s_mov_b32 s17, -1
                                        ; implicit-def: $vgpr16_vgpr17
	s_branch .LBB127_2442
.LBB127_2438:
	s_mov_b32 s17, -1
                                        ; implicit-def: $vgpr16_vgpr17
.LBB127_2439:
	s_delay_alu instid0(SALU_CYCLE_1)
	s_and_not1_b32 vcc_lo, exec_lo, s17
	s_cbranch_vccnz .LBB127_2441
; %bb.2440:
	global_load_b32 v1, v[32:33], off
	s_wait_loadcnt 0x0
	v_trunc_f32_e32 v1, v1
	s_delay_alu instid0(VALU_DEP_1) | instskip(SKIP_1) | instid1(VALU_DEP_2)
	v_mul_f32_e64 v3, 0x2f800000, |v1|
	v_ashrrev_i32_e32 v16, 31, v1
	v_floor_f32_e32 v3, v3
	s_delay_alu instid0(VALU_DEP_1) | instskip(SKIP_1) | instid1(VALU_DEP_4)
	v_fma_f32 v5, 0xcf800000, v3, |v1|
	v_cvt_u32_f32_e32 v1, v3
	v_mov_b32_e32 v17, v16
	s_delay_alu instid0(VALU_DEP_3) | instskip(NEXT) | instid1(VALU_DEP_3)
	v_cvt_u32_f32_e32 v3, v5
	v_xor_b32_e32 v35, v1, v16
	s_delay_alu instid0(VALU_DEP_2) | instskip(NEXT) | instid1(VALU_DEP_1)
	v_xor_b32_e32 v34, v3, v16
	v_sub_nc_u64_e32 v[16:17], v[34:35], v[16:17]
.LBB127_2441:
	s_mov_b32 s17, 0
.LBB127_2442:
	s_delay_alu instid0(SALU_CYCLE_1)
	s_and_not1_b32 vcc_lo, exec_lo, s17
	s_cbranch_vccnz .LBB127_2444
; %bb.2443:
	global_load_b32 v1, v[32:33], off
	s_wait_loadcnt 0x0
	v_cvt_f32_f16_e32 v1, v1
	s_delay_alu instid0(VALU_DEP_1) | instskip(NEXT) | instid1(VALU_DEP_1)
	v_cvt_i32_f32_e32 v16, v1
	v_ashrrev_i32_e32 v17, 31, v16
.LBB127_2444:
	s_mov_b32 s17, 0
.LBB127_2445:
	s_delay_alu instid0(SALU_CYCLE_1)
	s_and_not1_b32 vcc_lo, exec_lo, s17
	s_cbranch_vccnz .LBB127_2456
; %bb.2446:
	s_cmp_lt_i32 s16, 6
	s_cbranch_scc1 .LBB127_2449
; %bb.2447:
	s_cmp_gt_i32 s16, 6
	s_cbranch_scc0 .LBB127_2450
; %bb.2448:
	s_wait_loadcnt 0x0
	global_load_b64 v[16:17], v[32:33], off
	s_mov_b32 s17, 0
	s_wait_loadcnt 0x0
	v_trunc_f64_e32 v[16:17], v[16:17]
	s_delay_alu instid0(VALU_DEP_1) | instskip(NEXT) | instid1(VALU_DEP_1)
	v_ldexp_f64 v[34:35], v[16:17], 0xffffffe0
	v_floor_f64_e32 v[34:35], v[34:35]
	s_delay_alu instid0(VALU_DEP_1) | instskip(SKIP_1) | instid1(VALU_DEP_2)
	v_fmamk_f64 v[36:37], v[34:35], 0xc1f00000, v[16:17]
	v_cvt_i32_f64_e32 v17, v[34:35]
	v_cvt_u32_f64_e32 v16, v[36:37]
	s_branch .LBB127_2451
.LBB127_2449:
	s_mov_b32 s17, -1
                                        ; implicit-def: $vgpr16_vgpr17
	s_branch .LBB127_2454
.LBB127_2450:
	s_mov_b32 s17, -1
                                        ; implicit-def: $vgpr16_vgpr17
.LBB127_2451:
	s_delay_alu instid0(SALU_CYCLE_1)
	s_and_not1_b32 vcc_lo, exec_lo, s17
	s_cbranch_vccnz .LBB127_2453
; %bb.2452:
	global_load_b32 v1, v[32:33], off
	s_wait_loadcnt 0x0
	v_trunc_f32_e32 v1, v1
	s_delay_alu instid0(VALU_DEP_1) | instskip(SKIP_1) | instid1(VALU_DEP_2)
	v_mul_f32_e64 v3, 0x2f800000, |v1|
	v_ashrrev_i32_e32 v16, 31, v1
	v_floor_f32_e32 v3, v3
	s_delay_alu instid0(VALU_DEP_1) | instskip(SKIP_1) | instid1(VALU_DEP_4)
	v_fma_f32 v5, 0xcf800000, v3, |v1|
	v_cvt_u32_f32_e32 v1, v3
	v_mov_b32_e32 v17, v16
	s_delay_alu instid0(VALU_DEP_3) | instskip(NEXT) | instid1(VALU_DEP_3)
	v_cvt_u32_f32_e32 v3, v5
	v_xor_b32_e32 v35, v1, v16
	s_delay_alu instid0(VALU_DEP_2) | instskip(NEXT) | instid1(VALU_DEP_1)
	v_xor_b32_e32 v34, v3, v16
	v_sub_nc_u64_e32 v[16:17], v[34:35], v[16:17]
.LBB127_2453:
	s_mov_b32 s17, 0
.LBB127_2454:
	s_delay_alu instid0(SALU_CYCLE_1)
	s_and_not1_b32 vcc_lo, exec_lo, s17
	s_cbranch_vccnz .LBB127_2456
; %bb.2455:
	global_load_u16 v1, v[32:33], off
	s_wait_loadcnt 0x0
	v_cvt_f32_f16_e32 v1, v1
	s_delay_alu instid0(VALU_DEP_1) | instskip(NEXT) | instid1(VALU_DEP_1)
	v_cvt_i32_f32_e32 v16, v1
	v_ashrrev_i32_e32 v17, 31, v16
.LBB127_2456:
	s_mov_b32 s17, 0
.LBB127_2457:
	s_delay_alu instid0(SALU_CYCLE_1)
	s_and_not1_b32 vcc_lo, exec_lo, s17
	s_cbranch_vccnz .LBB127_2477
; %bb.2458:
	s_cmp_lt_i32 s16, 2
	s_cbranch_scc1 .LBB127_2462
; %bb.2459:
	s_cmp_lt_i32 s16, 3
	s_cbranch_scc1 .LBB127_2463
; %bb.2460:
	s_cmp_gt_i32 s16, 3
	s_cbranch_scc0 .LBB127_2464
; %bb.2461:
	s_wait_loadcnt 0x0
	global_load_b64 v[16:17], v[32:33], off
	s_mov_b32 s17, 0
	s_branch .LBB127_2465
.LBB127_2462:
	s_mov_b32 s17, -1
                                        ; implicit-def: $vgpr16_vgpr17
	s_branch .LBB127_2471
.LBB127_2463:
	s_mov_b32 s17, -1
                                        ; implicit-def: $vgpr16_vgpr17
	s_branch .LBB127_2468
.LBB127_2464:
	s_mov_b32 s17, -1
                                        ; implicit-def: $vgpr16_vgpr17
.LBB127_2465:
	s_delay_alu instid0(SALU_CYCLE_1)
	s_and_not1_b32 vcc_lo, exec_lo, s17
	s_cbranch_vccnz .LBB127_2467
; %bb.2466:
	s_wait_loadcnt 0x0
	global_load_b32 v16, v[32:33], off
	s_wait_loadcnt 0x0
	v_ashrrev_i32_e32 v17, 31, v16
.LBB127_2467:
	s_mov_b32 s17, 0
.LBB127_2468:
	s_delay_alu instid0(SALU_CYCLE_1)
	s_and_not1_b32 vcc_lo, exec_lo, s17
	s_cbranch_vccnz .LBB127_2470
; %bb.2469:
	global_load_u16 v1, v[32:33], off
	s_wait_loadcnt 0x0
	v_bfe_i32 v16, v1, 0, 16
	s_delay_alu instid0(VALU_DEP_1)
	v_ashrrev_i32_e32 v17, 31, v16
.LBB127_2470:
	s_mov_b32 s17, 0
.LBB127_2471:
	s_delay_alu instid0(SALU_CYCLE_1)
	s_and_not1_b32 vcc_lo, exec_lo, s17
	s_cbranch_vccnz .LBB127_2477
; %bb.2472:
	s_cmp_gt_i32 s16, 0
	s_mov_b32 s16, 0
	s_cbranch_scc0 .LBB127_2474
; %bb.2473:
	global_load_i8 v1, v[32:33], off
	s_wait_loadcnt 0x0
	v_bfe_i32 v16, v1, 0, 16
	s_delay_alu instid0(VALU_DEP_1)
	v_ashrrev_i32_e32 v17, 31, v16
	s_branch .LBB127_2475
.LBB127_2474:
	s_mov_b32 s16, -1
                                        ; implicit-def: $vgpr16_vgpr17
.LBB127_2475:
	s_delay_alu instid0(SALU_CYCLE_1)
	s_and_not1_b32 vcc_lo, exec_lo, s16
	s_cbranch_vccnz .LBB127_2477
; %bb.2476:
	global_load_u8 v1, v[32:33], off
	s_mov_b32 s16, 0
	s_wait_loadcnt 0x1
	v_mov_b32_e32 v17, s16
	s_wait_loadcnt 0x0
	v_and_b32_e32 v16, 0xffff, v1
.LBB127_2477:
.LBB127_2478:
	v_mov_b32_e32 v19, 0
	s_and_b32 s13, 0xffff, s13
	s_delay_alu instid0(SALU_CYCLE_1) | instskip(SKIP_1) | instid1(VALU_DEP_1)
	s_cmp_lt_i32 s13, 11
	s_wait_xcnt 0x0
	v_add_nc_u64_e32 v[32:33], s[6:7], v[18:19]
	s_cbranch_scc1 .LBB127_2485
; %bb.2479:
	s_cmp_gt_i32 s13, 25
	s_mov_b32 s17, 0
	s_cbranch_scc0 .LBB127_2486
; %bb.2480:
	s_cmp_gt_i32 s13, 28
	s_cbranch_scc0 .LBB127_2487
; %bb.2481:
	s_cmp_gt_i32 s13, 43
	;; [unrolled: 3-line block ×3, first 2 shown]
	s_cbranch_scc0 .LBB127_2490
; %bb.2483:
	s_cmp_eq_u32 s13, 46
	s_mov_b32 s19, 0
	s_cbranch_scc0 .LBB127_2491
; %bb.2484:
	global_load_b32 v1, v[32:33], off
	s_mov_b32 s16, 0
	s_mov_b32 s18, -1
	s_wait_loadcnt 0x0
	v_lshlrev_b32_e32 v1, 16, v1
	s_delay_alu instid0(VALU_DEP_1) | instskip(NEXT) | instid1(VALU_DEP_1)
	v_trunc_f32_e32 v1, v1
	v_mul_f32_e64 v3, 0x2f800000, |v1|
	v_ashrrev_i32_e32 v18, 31, v1
	s_delay_alu instid0(VALU_DEP_2) | instskip(NEXT) | instid1(VALU_DEP_2)
	v_floor_f32_e32 v3, v3
	v_mov_b32_e32 v19, v18
	s_delay_alu instid0(VALU_DEP_2) | instskip(SKIP_1) | instid1(VALU_DEP_2)
	v_fma_f32 v5, 0xcf800000, v3, |v1|
	v_cvt_u32_f32_e32 v1, v3
	v_cvt_u32_f32_e32 v3, v5
	s_delay_alu instid0(VALU_DEP_2) | instskip(NEXT) | instid1(VALU_DEP_2)
	v_xor_b32_e32 v35, v1, v18
	v_xor_b32_e32 v34, v3, v18
	s_delay_alu instid0(VALU_DEP_1)
	v_sub_nc_u64_e32 v[18:19], v[34:35], v[18:19]
	s_branch .LBB127_2493
.LBB127_2485:
	s_mov_b32 s16, -1
	s_mov_b32 s18, 0
                                        ; implicit-def: $vgpr18_vgpr19
	s_branch .LBB127_2555
.LBB127_2486:
	s_mov_b32 s19, -1
	s_mov_b32 s18, 0
	s_mov_b32 s16, 0
                                        ; implicit-def: $vgpr18_vgpr19
	s_branch .LBB127_2520
.LBB127_2487:
	s_mov_b32 s19, -1
	s_mov_b32 s18, 0
	s_mov_b32 s16, 0
                                        ; implicit-def: $vgpr18_vgpr19
	s_branch .LBB127_2503
.LBB127_2488:
	s_mov_b32 s19, -1
	s_mov_b32 s18, 0
	s_mov_b32 s16, 0
                                        ; implicit-def: $vgpr18_vgpr19
	s_branch .LBB127_2498
.LBB127_2489:
	s_or_b32 s12, s12, exec_lo
	s_trap 2
	s_cbranch_execz .LBB127_2428
	s_branch .LBB127_2429
.LBB127_2490:
	s_mov_b32 s19, -1
	s_mov_b32 s18, 0
	s_mov_b32 s16, 0
	s_branch .LBB127_2492
.LBB127_2491:
	s_mov_b32 s16, -1
	s_mov_b32 s18, 0
.LBB127_2492:
                                        ; implicit-def: $vgpr18_vgpr19
.LBB127_2493:
	s_and_b32 vcc_lo, exec_lo, s19
	s_cbranch_vccz .LBB127_2497
; %bb.2494:
	s_cmp_eq_u32 s13, 44
	s_cbranch_scc0 .LBB127_2496
; %bb.2495:
	global_load_u8 v1, v[32:33], off
	s_mov_b32 s16, 0
	s_mov_b32 s18, -1
	s_wait_loadcnt 0x0
	v_lshlrev_b32_e32 v3, 23, v1
	v_cmp_ne_u32_e32 vcc_lo, 0, v1
	s_delay_alu instid0(VALU_DEP_2) | instskip(NEXT) | instid1(VALU_DEP_1)
	v_trunc_f32_e32 v3, v3
	v_mul_f32_e64 v5, 0x2f800000, |v3|
	v_ashrrev_i32_e32 v18, 31, v3
	s_delay_alu instid0(VALU_DEP_2) | instskip(NEXT) | instid1(VALU_DEP_2)
	v_floor_f32_e32 v5, v5
	v_mov_b32_e32 v19, v18
	s_delay_alu instid0(VALU_DEP_2) | instskip(SKIP_1) | instid1(VALU_DEP_2)
	v_fma_f32 v7, 0xcf800000, v5, |v3|
	v_cvt_u32_f32_e32 v3, v5
	v_cvt_u32_f32_e32 v5, v7
	s_delay_alu instid0(VALU_DEP_2) | instskip(NEXT) | instid1(VALU_DEP_2)
	v_xor_b32_e32 v35, v3, v18
	v_xor_b32_e32 v34, v5, v18
	s_delay_alu instid0(VALU_DEP_1) | instskip(NEXT) | instid1(VALU_DEP_1)
	v_sub_nc_u64_e32 v[18:19], v[34:35], v[18:19]
	v_dual_cndmask_b32 v19, 0, v19 :: v_dual_cndmask_b32 v18, 0, v18
	s_branch .LBB127_2497
.LBB127_2496:
	s_mov_b32 s16, -1
                                        ; implicit-def: $vgpr18_vgpr19
.LBB127_2497:
	s_mov_b32 s19, 0
.LBB127_2498:
	s_delay_alu instid0(SALU_CYCLE_1)
	s_and_b32 vcc_lo, exec_lo, s19
	s_cbranch_vccz .LBB127_2502
; %bb.2499:
	s_cmp_eq_u32 s13, 29
	s_cbranch_scc0 .LBB127_2501
; %bb.2500:
	global_load_b64 v[18:19], v[32:33], off
	s_mov_b32 s16, 0
	s_mov_b32 s18, -1
	s_branch .LBB127_2502
.LBB127_2501:
	s_mov_b32 s16, -1
                                        ; implicit-def: $vgpr18_vgpr19
.LBB127_2502:
	s_mov_b32 s19, 0
.LBB127_2503:
	s_delay_alu instid0(SALU_CYCLE_1)
	s_and_b32 vcc_lo, exec_lo, s19
	s_cbranch_vccz .LBB127_2519
; %bb.2504:
	s_cmp_lt_i32 s13, 27
	s_cbranch_scc1 .LBB127_2507
; %bb.2505:
	s_cmp_gt_i32 s13, 27
	s_cbranch_scc0 .LBB127_2508
; %bb.2506:
	s_wait_loadcnt 0x0
	global_load_b32 v18, v[32:33], off
	v_mov_b32_e32 v19, 0
	s_mov_b32 s18, 0
	s_branch .LBB127_2509
.LBB127_2507:
	s_mov_b32 s18, -1
                                        ; implicit-def: $vgpr18_vgpr19
	s_branch .LBB127_2512
.LBB127_2508:
	s_mov_b32 s18, -1
                                        ; implicit-def: $vgpr18_vgpr19
.LBB127_2509:
	s_delay_alu instid0(SALU_CYCLE_1)
	s_and_not1_b32 vcc_lo, exec_lo, s18
	s_cbranch_vccnz .LBB127_2511
; %bb.2510:
	global_load_u16 v1, v[32:33], off
	s_mov_b32 s18, 0
	s_wait_loadcnt 0x1
	v_mov_b32_e32 v19, s18
	s_wait_loadcnt 0x0
	v_and_b32_e32 v18, 0xffff, v1
.LBB127_2511:
	s_mov_b32 s18, 0
.LBB127_2512:
	s_delay_alu instid0(SALU_CYCLE_1)
	s_and_not1_b32 vcc_lo, exec_lo, s18
	s_cbranch_vccnz .LBB127_2518
; %bb.2513:
	global_load_u8 v1, v[32:33], off
	s_mov_b32 s19, 0
	s_mov_b32 s18, exec_lo
	s_wait_loadcnt 0x0
	v_cmpx_lt_i16_e32 0x7f, v1
	s_xor_b32 s18, exec_lo, s18
	s_cbranch_execz .LBB127_2530
; %bb.2514:
	v_cmp_ne_u16_e32 vcc_lo, 0x80, v1
	s_and_b32 s19, vcc_lo, exec_lo
	s_and_not1_saveexec_b32 s18, s18
	s_cbranch_execnz .LBB127_2531
.LBB127_2515:
	s_or_b32 exec_lo, exec_lo, s18
	v_mov_b64_e32 v[18:19], 0
	s_and_saveexec_b32 s18, s19
	s_cbranch_execz .LBB127_2517
.LBB127_2516:
	v_and_b32_e32 v3, 0xffff, v1
	s_delay_alu instid0(VALU_DEP_1) | instskip(SKIP_1) | instid1(VALU_DEP_2)
	v_dual_lshlrev_b32 v1, 24, v1 :: v_dual_bitop2_b32 v5, 7, v3 bitop3:0x40
	v_bfe_u32 v15, v3, 3, 4
	v_and_b32_e32 v1, 0x80000000, v1
	s_delay_alu instid0(VALU_DEP_3) | instskip(NEXT) | instid1(VALU_DEP_3)
	v_clz_i32_u32_e32 v7, v5
	v_cmp_eq_u32_e32 vcc_lo, 0, v15
	s_delay_alu instid0(VALU_DEP_2) | instskip(NEXT) | instid1(VALU_DEP_1)
	v_min_u32_e32 v7, 32, v7
	v_subrev_nc_u32_e32 v11, 28, v7
	v_sub_nc_u32_e32 v7, 29, v7
	s_delay_alu instid0(VALU_DEP_2) | instskip(NEXT) | instid1(VALU_DEP_2)
	v_lshlrev_b32_e32 v3, v11, v3
	v_cndmask_b32_e32 v7, v15, v7, vcc_lo
	s_delay_alu instid0(VALU_DEP_2) | instskip(NEXT) | instid1(VALU_DEP_1)
	v_and_b32_e32 v3, 7, v3
	v_cndmask_b32_e32 v3, v5, v3, vcc_lo
	s_delay_alu instid0(VALU_DEP_3) | instskip(NEXT) | instid1(VALU_DEP_2)
	v_lshl_add_u32 v5, v7, 23, 0x3b800000
	v_lshlrev_b32_e32 v3, 20, v3
	s_delay_alu instid0(VALU_DEP_1) | instskip(NEXT) | instid1(VALU_DEP_1)
	v_or3_b32 v1, v1, v5, v3
	v_trunc_f32_e32 v1, v1
	s_delay_alu instid0(VALU_DEP_1) | instskip(SKIP_1) | instid1(VALU_DEP_2)
	v_mul_f32_e64 v3, 0x2f800000, |v1|
	v_ashrrev_i32_e32 v18, 31, v1
	v_floor_f32_e32 v3, v3
	s_delay_alu instid0(VALU_DEP_2) | instskip(NEXT) | instid1(VALU_DEP_2)
	v_mov_b32_e32 v19, v18
	v_fma_f32 v5, 0xcf800000, v3, |v1|
	v_cvt_u32_f32_e32 v1, v3
	s_delay_alu instid0(VALU_DEP_2) | instskip(NEXT) | instid1(VALU_DEP_2)
	v_cvt_u32_f32_e32 v3, v5
	v_xor_b32_e32 v35, v1, v18
	s_delay_alu instid0(VALU_DEP_2) | instskip(NEXT) | instid1(VALU_DEP_1)
	v_xor_b32_e32 v34, v3, v18
	v_sub_nc_u64_e32 v[18:19], v[34:35], v[18:19]
.LBB127_2517:
	s_or_b32 exec_lo, exec_lo, s18
.LBB127_2518:
	s_mov_b32 s18, -1
.LBB127_2519:
	s_mov_b32 s19, 0
.LBB127_2520:
	s_delay_alu instid0(SALU_CYCLE_1)
	s_and_b32 vcc_lo, exec_lo, s19
	s_cbranch_vccz .LBB127_2551
; %bb.2521:
	s_cmp_gt_i32 s13, 22
	s_cbranch_scc0 .LBB127_2529
; %bb.2522:
	s_cmp_lt_i32 s13, 24
	s_cbranch_scc1 .LBB127_2532
; %bb.2523:
	s_cmp_gt_i32 s13, 24
	s_cbranch_scc0 .LBB127_2533
; %bb.2524:
	global_load_u8 v1, v[32:33], off
	s_mov_b32 s18, 0
	s_mov_b32 s17, exec_lo
	s_wait_loadcnt 0x0
	v_cmpx_lt_i16_e32 0x7f, v1
	s_xor_b32 s17, exec_lo, s17
	s_cbranch_execz .LBB127_2545
; %bb.2525:
	v_cmp_ne_u16_e32 vcc_lo, 0x80, v1
	s_and_b32 s18, vcc_lo, exec_lo
	s_and_not1_saveexec_b32 s17, s17
	s_cbranch_execnz .LBB127_2546
.LBB127_2526:
	s_or_b32 exec_lo, exec_lo, s17
	v_mov_b64_e32 v[18:19], 0
	s_and_saveexec_b32 s17, s18
	s_cbranch_execz .LBB127_2528
.LBB127_2527:
	v_and_b32_e32 v3, 0xffff, v1
	s_delay_alu instid0(VALU_DEP_1) | instskip(SKIP_1) | instid1(VALU_DEP_2)
	v_dual_lshlrev_b32 v1, 24, v1 :: v_dual_bitop2_b32 v5, 3, v3 bitop3:0x40
	v_bfe_u32 v15, v3, 2, 5
	v_and_b32_e32 v1, 0x80000000, v1
	s_delay_alu instid0(VALU_DEP_3) | instskip(NEXT) | instid1(VALU_DEP_3)
	v_clz_i32_u32_e32 v7, v5
	v_cmp_eq_u32_e32 vcc_lo, 0, v15
	s_delay_alu instid0(VALU_DEP_2) | instskip(NEXT) | instid1(VALU_DEP_1)
	v_min_u32_e32 v7, 32, v7
	v_subrev_nc_u32_e32 v11, 29, v7
	v_sub_nc_u32_e32 v7, 30, v7
	s_delay_alu instid0(VALU_DEP_2) | instskip(NEXT) | instid1(VALU_DEP_2)
	v_lshlrev_b32_e32 v3, v11, v3
	v_cndmask_b32_e32 v7, v15, v7, vcc_lo
	s_delay_alu instid0(VALU_DEP_2) | instskip(NEXT) | instid1(VALU_DEP_1)
	v_and_b32_e32 v3, 3, v3
	v_cndmask_b32_e32 v3, v5, v3, vcc_lo
	s_delay_alu instid0(VALU_DEP_3) | instskip(NEXT) | instid1(VALU_DEP_2)
	v_lshl_add_u32 v5, v7, 23, 0x37800000
	v_lshlrev_b32_e32 v3, 21, v3
	s_delay_alu instid0(VALU_DEP_1) | instskip(NEXT) | instid1(VALU_DEP_1)
	v_or3_b32 v1, v1, v5, v3
	v_trunc_f32_e32 v1, v1
	s_delay_alu instid0(VALU_DEP_1) | instskip(SKIP_1) | instid1(VALU_DEP_2)
	v_mul_f32_e64 v3, 0x2f800000, |v1|
	v_ashrrev_i32_e32 v18, 31, v1
	v_floor_f32_e32 v3, v3
	s_delay_alu instid0(VALU_DEP_2) | instskip(NEXT) | instid1(VALU_DEP_2)
	v_mov_b32_e32 v19, v18
	v_fma_f32 v5, 0xcf800000, v3, |v1|
	v_cvt_u32_f32_e32 v1, v3
	s_delay_alu instid0(VALU_DEP_2) | instskip(NEXT) | instid1(VALU_DEP_2)
	v_cvt_u32_f32_e32 v3, v5
	v_xor_b32_e32 v35, v1, v18
	s_delay_alu instid0(VALU_DEP_2) | instskip(NEXT) | instid1(VALU_DEP_1)
	v_xor_b32_e32 v34, v3, v18
	v_sub_nc_u64_e32 v[18:19], v[34:35], v[18:19]
.LBB127_2528:
	s_or_b32 exec_lo, exec_lo, s17
	s_mov_b32 s17, 0
	s_branch .LBB127_2534
.LBB127_2529:
	s_mov_b32 s17, -1
                                        ; implicit-def: $vgpr18_vgpr19
	s_branch .LBB127_2540
.LBB127_2530:
	s_and_not1_saveexec_b32 s18, s18
	s_cbranch_execz .LBB127_2515
.LBB127_2531:
	v_cmp_ne_u16_e32 vcc_lo, 0, v1
	s_and_not1_b32 s19, s19, exec_lo
	s_and_b32 s20, vcc_lo, exec_lo
	s_delay_alu instid0(SALU_CYCLE_1)
	s_or_b32 s19, s19, s20
	s_or_b32 exec_lo, exec_lo, s18
	v_mov_b64_e32 v[18:19], 0
	s_and_saveexec_b32 s18, s19
	s_cbranch_execnz .LBB127_2516
	s_branch .LBB127_2517
.LBB127_2532:
	s_mov_b32 s17, -1
                                        ; implicit-def: $vgpr18_vgpr19
	s_branch .LBB127_2537
.LBB127_2533:
	s_mov_b32 s17, -1
                                        ; implicit-def: $vgpr18_vgpr19
.LBB127_2534:
	s_delay_alu instid0(SALU_CYCLE_1)
	s_and_b32 vcc_lo, exec_lo, s17
	s_cbranch_vccz .LBB127_2536
; %bb.2535:
	global_load_u8 v1, v[32:33], off
	s_wait_loadcnt 0x0
	v_lshlrev_b32_e32 v1, 24, v1
	s_delay_alu instid0(VALU_DEP_1) | instskip(NEXT) | instid1(VALU_DEP_1)
	v_and_b32_e32 v3, 0x7f000000, v1
	v_clz_i32_u32_e32 v5, v3
	v_add_nc_u32_e32 v11, 0x1000000, v3
	v_cmp_ne_u32_e32 vcc_lo, 0, v3
	s_delay_alu instid0(VALU_DEP_3) | instskip(NEXT) | instid1(VALU_DEP_1)
	v_min_u32_e32 v5, 32, v5
	v_sub_nc_u32_e64 v5, v5, 4 clamp
	s_delay_alu instid0(VALU_DEP_1) | instskip(NEXT) | instid1(VALU_DEP_1)
	v_dual_lshlrev_b32 v7, v5, v3 :: v_dual_lshlrev_b32 v5, 23, v5
	v_lshrrev_b32_e32 v7, 4, v7
	s_delay_alu instid0(VALU_DEP_1) | instskip(NEXT) | instid1(VALU_DEP_1)
	v_dual_sub_nc_u32 v5, v7, v5 :: v_dual_ashrrev_i32 v7, 8, v11
	v_add_nc_u32_e32 v5, 0x3c000000, v5
	s_delay_alu instid0(VALU_DEP_1) | instskip(NEXT) | instid1(VALU_DEP_1)
	v_and_or_b32 v5, 0x7f800000, v7, v5
	v_cndmask_b32_e32 v3, 0, v5, vcc_lo
	s_delay_alu instid0(VALU_DEP_1) | instskip(NEXT) | instid1(VALU_DEP_1)
	v_and_or_b32 v1, 0x80000000, v1, v3
	v_trunc_f32_e32 v1, v1
	s_delay_alu instid0(VALU_DEP_1) | instskip(SKIP_1) | instid1(VALU_DEP_2)
	v_mul_f32_e64 v3, 0x2f800000, |v1|
	v_ashrrev_i32_e32 v18, 31, v1
	v_floor_f32_e32 v3, v3
	s_delay_alu instid0(VALU_DEP_2) | instskip(NEXT) | instid1(VALU_DEP_2)
	v_mov_b32_e32 v19, v18
	v_fma_f32 v5, 0xcf800000, v3, |v1|
	v_cvt_u32_f32_e32 v1, v3
	s_delay_alu instid0(VALU_DEP_2) | instskip(NEXT) | instid1(VALU_DEP_2)
	v_cvt_u32_f32_e32 v3, v5
	v_xor_b32_e32 v35, v1, v18
	s_delay_alu instid0(VALU_DEP_2) | instskip(NEXT) | instid1(VALU_DEP_1)
	v_xor_b32_e32 v34, v3, v18
	v_sub_nc_u64_e32 v[18:19], v[34:35], v[18:19]
.LBB127_2536:
	s_mov_b32 s17, 0
.LBB127_2537:
	s_delay_alu instid0(SALU_CYCLE_1)
	s_and_not1_b32 vcc_lo, exec_lo, s17
	s_cbranch_vccnz .LBB127_2539
; %bb.2538:
	global_load_u8 v1, v[32:33], off
	s_wait_loadcnt 0x0
	v_lshlrev_b32_e32 v3, 25, v1
	v_lshlrev_b16 v1, 8, v1
	s_delay_alu instid0(VALU_DEP_1) | instskip(SKIP_1) | instid1(VALU_DEP_2)
	v_and_or_b32 v7, 0x7f00, v1, 0.5
	v_bfe_i32 v1, v1, 0, 16
	v_add_f32_e32 v7, -0.5, v7
	v_lshrrev_b32_e32 v5, 4, v3
	v_cmp_gt_u32_e32 vcc_lo, 0x8000000, v3
	s_delay_alu instid0(VALU_DEP_2) | instskip(NEXT) | instid1(VALU_DEP_1)
	v_or_b32_e32 v5, 0x70000000, v5
	v_mul_f32_e32 v5, 0x7800000, v5
	s_delay_alu instid0(VALU_DEP_1) | instskip(NEXT) | instid1(VALU_DEP_1)
	v_cndmask_b32_e32 v3, v5, v7, vcc_lo
	v_and_or_b32 v1, 0x80000000, v1, v3
	s_delay_alu instid0(VALU_DEP_1) | instskip(NEXT) | instid1(VALU_DEP_1)
	v_trunc_f32_e32 v1, v1
	v_mul_f32_e64 v3, 0x2f800000, |v1|
	v_ashrrev_i32_e32 v18, 31, v1
	s_delay_alu instid0(VALU_DEP_2) | instskip(NEXT) | instid1(VALU_DEP_2)
	v_floor_f32_e32 v3, v3
	v_mov_b32_e32 v19, v18
	s_delay_alu instid0(VALU_DEP_2) | instskip(SKIP_1) | instid1(VALU_DEP_2)
	v_fma_f32 v5, 0xcf800000, v3, |v1|
	v_cvt_u32_f32_e32 v1, v3
	v_cvt_u32_f32_e32 v3, v5
	s_delay_alu instid0(VALU_DEP_2) | instskip(NEXT) | instid1(VALU_DEP_2)
	v_xor_b32_e32 v35, v1, v18
	v_xor_b32_e32 v34, v3, v18
	s_delay_alu instid0(VALU_DEP_1)
	v_sub_nc_u64_e32 v[18:19], v[34:35], v[18:19]
.LBB127_2539:
	s_mov_b32 s17, 0
	s_mov_b32 s18, -1
.LBB127_2540:
	s_and_not1_b32 vcc_lo, exec_lo, s17
	s_mov_b32 s17, 0
	s_cbranch_vccnz .LBB127_2551
; %bb.2541:
	s_cmp_gt_i32 s13, 14
	s_cbranch_scc0 .LBB127_2544
; %bb.2542:
	s_cmp_eq_u32 s13, 15
	s_cbranch_scc0 .LBB127_2547
; %bb.2543:
	global_load_u16 v1, v[32:33], off
	s_mov_b32 s16, 0
	s_mov_b32 s18, -1
	s_wait_loadcnt 0x0
	v_lshlrev_b32_e32 v1, 16, v1
	s_delay_alu instid0(VALU_DEP_1) | instskip(NEXT) | instid1(VALU_DEP_1)
	v_trunc_f32_e32 v1, v1
	v_mul_f32_e64 v3, 0x2f800000, |v1|
	v_ashrrev_i32_e32 v18, 31, v1
	s_delay_alu instid0(VALU_DEP_2) | instskip(NEXT) | instid1(VALU_DEP_2)
	v_floor_f32_e32 v3, v3
	v_mov_b32_e32 v19, v18
	s_delay_alu instid0(VALU_DEP_2) | instskip(SKIP_1) | instid1(VALU_DEP_2)
	v_fma_f32 v5, 0xcf800000, v3, |v1|
	v_cvt_u32_f32_e32 v1, v3
	v_cvt_u32_f32_e32 v3, v5
	s_delay_alu instid0(VALU_DEP_2) | instskip(NEXT) | instid1(VALU_DEP_2)
	v_xor_b32_e32 v35, v1, v18
	v_xor_b32_e32 v34, v3, v18
	s_delay_alu instid0(VALU_DEP_1)
	v_sub_nc_u64_e32 v[18:19], v[34:35], v[18:19]
	s_branch .LBB127_2549
.LBB127_2544:
	s_mov_b32 s17, -1
	s_branch .LBB127_2548
.LBB127_2545:
	s_and_not1_saveexec_b32 s17, s17
	s_cbranch_execz .LBB127_2526
.LBB127_2546:
	v_cmp_ne_u16_e32 vcc_lo, 0, v1
	s_and_not1_b32 s18, s18, exec_lo
	s_and_b32 s19, vcc_lo, exec_lo
	s_delay_alu instid0(SALU_CYCLE_1)
	s_or_b32 s18, s18, s19
	s_or_b32 exec_lo, exec_lo, s17
	v_mov_b64_e32 v[18:19], 0
	s_and_saveexec_b32 s17, s18
	s_cbranch_execnz .LBB127_2527
	s_branch .LBB127_2528
.LBB127_2547:
	s_mov_b32 s16, -1
.LBB127_2548:
                                        ; implicit-def: $vgpr18_vgpr19
.LBB127_2549:
	s_and_b32 vcc_lo, exec_lo, s17
	s_mov_b32 s17, 0
	s_cbranch_vccz .LBB127_2551
; %bb.2550:
	s_cmp_lg_u32 s13, 11
	s_mov_b32 s17, -1
	s_cselect_b32 s16, -1, 0
.LBB127_2551:
	s_delay_alu instid0(SALU_CYCLE_1)
	s_and_b32 vcc_lo, exec_lo, s16
	s_cbranch_vccnz .LBB127_2616
; %bb.2552:
	s_and_not1_b32 vcc_lo, exec_lo, s17
	s_cbranch_vccnz .LBB127_2554
.LBB127_2553:
	global_load_u8 v1, v[32:33], off
	s_mov_b32 s16, 0
	s_mov_b32 s18, -1
	s_wait_loadcnt 0x1
	v_mov_b32_e32 v19, s16
	s_wait_loadcnt 0x0
	v_cmp_ne_u16_e32 vcc_lo, 0, v1
	v_cndmask_b32_e64 v18, 0, 1, vcc_lo
.LBB127_2554:
	s_mov_b32 s16, 0
.LBB127_2555:
	s_delay_alu instid0(SALU_CYCLE_1)
	s_and_b32 vcc_lo, exec_lo, s16
	s_cbranch_vccz .LBB127_2604
; %bb.2556:
	s_cmp_lt_i32 s13, 5
	s_cbranch_scc1 .LBB127_2561
; %bb.2557:
	s_cmp_lt_i32 s13, 8
	s_cbranch_scc1 .LBB127_2562
; %bb.2558:
	s_cmp_lt_i32 s13, 9
	s_cbranch_scc1 .LBB127_2563
; %bb.2559:
	s_cmp_gt_i32 s13, 9
	s_cbranch_scc0 .LBB127_2564
; %bb.2560:
	s_wait_loadcnt 0x0
	global_load_b64 v[18:19], v[32:33], off
	s_mov_b32 s16, 0
	s_wait_loadcnt 0x0
	v_trunc_f64_e32 v[18:19], v[18:19]
	s_delay_alu instid0(VALU_DEP_1) | instskip(NEXT) | instid1(VALU_DEP_1)
	v_ldexp_f64 v[34:35], v[18:19], 0xffffffe0
	v_floor_f64_e32 v[34:35], v[34:35]
	s_delay_alu instid0(VALU_DEP_1) | instskip(SKIP_1) | instid1(VALU_DEP_2)
	v_fmamk_f64 v[36:37], v[34:35], 0xc1f00000, v[18:19]
	v_cvt_i32_f64_e32 v19, v[34:35]
	v_cvt_u32_f64_e32 v18, v[36:37]
	s_branch .LBB127_2565
.LBB127_2561:
	s_mov_b32 s16, -1
                                        ; implicit-def: $vgpr18_vgpr19
	s_branch .LBB127_2583
.LBB127_2562:
	s_mov_b32 s16, -1
                                        ; implicit-def: $vgpr18_vgpr19
	s_branch .LBB127_2571
.LBB127_2563:
	s_mov_b32 s16, -1
                                        ; implicit-def: $vgpr18_vgpr19
	s_branch .LBB127_2568
.LBB127_2564:
	s_mov_b32 s16, -1
                                        ; implicit-def: $vgpr18_vgpr19
.LBB127_2565:
	s_delay_alu instid0(SALU_CYCLE_1)
	s_and_not1_b32 vcc_lo, exec_lo, s16
	s_cbranch_vccnz .LBB127_2567
; %bb.2566:
	global_load_b32 v1, v[32:33], off
	s_wait_loadcnt 0x0
	v_trunc_f32_e32 v1, v1
	s_delay_alu instid0(VALU_DEP_1) | instskip(SKIP_1) | instid1(VALU_DEP_2)
	v_mul_f32_e64 v3, 0x2f800000, |v1|
	v_ashrrev_i32_e32 v18, 31, v1
	v_floor_f32_e32 v3, v3
	s_delay_alu instid0(VALU_DEP_1) | instskip(SKIP_1) | instid1(VALU_DEP_4)
	v_fma_f32 v5, 0xcf800000, v3, |v1|
	v_cvt_u32_f32_e32 v1, v3
	v_mov_b32_e32 v19, v18
	s_delay_alu instid0(VALU_DEP_3) | instskip(NEXT) | instid1(VALU_DEP_3)
	v_cvt_u32_f32_e32 v3, v5
	v_xor_b32_e32 v35, v1, v18
	s_delay_alu instid0(VALU_DEP_2) | instskip(NEXT) | instid1(VALU_DEP_1)
	v_xor_b32_e32 v34, v3, v18
	v_sub_nc_u64_e32 v[18:19], v[34:35], v[18:19]
.LBB127_2567:
	s_mov_b32 s16, 0
.LBB127_2568:
	s_delay_alu instid0(SALU_CYCLE_1)
	s_and_not1_b32 vcc_lo, exec_lo, s16
	s_cbranch_vccnz .LBB127_2570
; %bb.2569:
	global_load_b32 v1, v[32:33], off
	s_wait_loadcnt 0x0
	v_cvt_f32_f16_e32 v1, v1
	s_delay_alu instid0(VALU_DEP_1) | instskip(NEXT) | instid1(VALU_DEP_1)
	v_cvt_i32_f32_e32 v18, v1
	v_ashrrev_i32_e32 v19, 31, v18
.LBB127_2570:
	s_mov_b32 s16, 0
.LBB127_2571:
	s_delay_alu instid0(SALU_CYCLE_1)
	s_and_not1_b32 vcc_lo, exec_lo, s16
	s_cbranch_vccnz .LBB127_2582
; %bb.2572:
	s_cmp_lt_i32 s13, 6
	s_cbranch_scc1 .LBB127_2575
; %bb.2573:
	s_cmp_gt_i32 s13, 6
	s_cbranch_scc0 .LBB127_2576
; %bb.2574:
	s_wait_loadcnt 0x0
	global_load_b64 v[18:19], v[32:33], off
	s_mov_b32 s16, 0
	s_wait_loadcnt 0x0
	v_trunc_f64_e32 v[18:19], v[18:19]
	s_delay_alu instid0(VALU_DEP_1) | instskip(NEXT) | instid1(VALU_DEP_1)
	v_ldexp_f64 v[34:35], v[18:19], 0xffffffe0
	v_floor_f64_e32 v[34:35], v[34:35]
	s_delay_alu instid0(VALU_DEP_1) | instskip(SKIP_1) | instid1(VALU_DEP_2)
	v_fmamk_f64 v[36:37], v[34:35], 0xc1f00000, v[18:19]
	v_cvt_i32_f64_e32 v19, v[34:35]
	v_cvt_u32_f64_e32 v18, v[36:37]
	s_branch .LBB127_2577
.LBB127_2575:
	s_mov_b32 s16, -1
                                        ; implicit-def: $vgpr18_vgpr19
	s_branch .LBB127_2580
.LBB127_2576:
	s_mov_b32 s16, -1
                                        ; implicit-def: $vgpr18_vgpr19
.LBB127_2577:
	s_delay_alu instid0(SALU_CYCLE_1)
	s_and_not1_b32 vcc_lo, exec_lo, s16
	s_cbranch_vccnz .LBB127_2579
; %bb.2578:
	global_load_b32 v1, v[32:33], off
	s_wait_loadcnt 0x0
	v_trunc_f32_e32 v1, v1
	s_delay_alu instid0(VALU_DEP_1) | instskip(SKIP_1) | instid1(VALU_DEP_2)
	v_mul_f32_e64 v3, 0x2f800000, |v1|
	v_ashrrev_i32_e32 v18, 31, v1
	v_floor_f32_e32 v3, v3
	s_delay_alu instid0(VALU_DEP_1) | instskip(SKIP_1) | instid1(VALU_DEP_4)
	v_fma_f32 v5, 0xcf800000, v3, |v1|
	v_cvt_u32_f32_e32 v1, v3
	v_mov_b32_e32 v19, v18
	s_delay_alu instid0(VALU_DEP_3) | instskip(NEXT) | instid1(VALU_DEP_3)
	v_cvt_u32_f32_e32 v3, v5
	v_xor_b32_e32 v35, v1, v18
	s_delay_alu instid0(VALU_DEP_2) | instskip(NEXT) | instid1(VALU_DEP_1)
	v_xor_b32_e32 v34, v3, v18
	v_sub_nc_u64_e32 v[18:19], v[34:35], v[18:19]
.LBB127_2579:
	s_mov_b32 s16, 0
.LBB127_2580:
	s_delay_alu instid0(SALU_CYCLE_1)
	s_and_not1_b32 vcc_lo, exec_lo, s16
	s_cbranch_vccnz .LBB127_2582
; %bb.2581:
	global_load_u16 v1, v[32:33], off
	s_wait_loadcnt 0x0
	v_cvt_f32_f16_e32 v1, v1
	s_delay_alu instid0(VALU_DEP_1) | instskip(NEXT) | instid1(VALU_DEP_1)
	v_cvt_i32_f32_e32 v18, v1
	v_ashrrev_i32_e32 v19, 31, v18
.LBB127_2582:
	s_mov_b32 s16, 0
.LBB127_2583:
	s_delay_alu instid0(SALU_CYCLE_1)
	s_and_not1_b32 vcc_lo, exec_lo, s16
	s_cbranch_vccnz .LBB127_2603
; %bb.2584:
	s_cmp_lt_i32 s13, 2
	s_cbranch_scc1 .LBB127_2588
; %bb.2585:
	s_cmp_lt_i32 s13, 3
	s_cbranch_scc1 .LBB127_2589
; %bb.2586:
	s_cmp_gt_i32 s13, 3
	s_cbranch_scc0 .LBB127_2590
; %bb.2587:
	s_wait_loadcnt 0x0
	global_load_b64 v[18:19], v[32:33], off
	s_mov_b32 s16, 0
	s_branch .LBB127_2591
.LBB127_2588:
	s_mov_b32 s16, -1
                                        ; implicit-def: $vgpr18_vgpr19
	s_branch .LBB127_2597
.LBB127_2589:
	s_mov_b32 s16, -1
                                        ; implicit-def: $vgpr18_vgpr19
	s_branch .LBB127_2594
.LBB127_2590:
	s_mov_b32 s16, -1
                                        ; implicit-def: $vgpr18_vgpr19
.LBB127_2591:
	s_delay_alu instid0(SALU_CYCLE_1)
	s_and_not1_b32 vcc_lo, exec_lo, s16
	s_cbranch_vccnz .LBB127_2593
; %bb.2592:
	s_wait_loadcnt 0x0
	global_load_b32 v18, v[32:33], off
	s_wait_loadcnt 0x0
	v_ashrrev_i32_e32 v19, 31, v18
.LBB127_2593:
	s_mov_b32 s16, 0
.LBB127_2594:
	s_delay_alu instid0(SALU_CYCLE_1)
	s_and_not1_b32 vcc_lo, exec_lo, s16
	s_cbranch_vccnz .LBB127_2596
; %bb.2595:
	global_load_u16 v1, v[32:33], off
	s_wait_loadcnt 0x0
	v_bfe_i32 v18, v1, 0, 16
	s_delay_alu instid0(VALU_DEP_1)
	v_ashrrev_i32_e32 v19, 31, v18
.LBB127_2596:
	s_mov_b32 s16, 0
.LBB127_2597:
	s_delay_alu instid0(SALU_CYCLE_1)
	s_and_not1_b32 vcc_lo, exec_lo, s16
	s_cbranch_vccnz .LBB127_2603
; %bb.2598:
	s_cmp_gt_i32 s13, 0
	s_mov_b32 s16, 0
	s_cbranch_scc0 .LBB127_2600
; %bb.2599:
	global_load_i8 v1, v[32:33], off
	s_wait_loadcnt 0x0
	v_bfe_i32 v18, v1, 0, 16
	s_delay_alu instid0(VALU_DEP_1)
	v_ashrrev_i32_e32 v19, 31, v18
	s_branch .LBB127_2601
.LBB127_2600:
	s_mov_b32 s16, -1
                                        ; implicit-def: $vgpr18_vgpr19
.LBB127_2601:
	s_delay_alu instid0(SALU_CYCLE_1)
	s_and_not1_b32 vcc_lo, exec_lo, s16
	s_cbranch_vccnz .LBB127_2603
; %bb.2602:
	global_load_u8 v1, v[32:33], off
	s_mov_b32 s16, 0
	s_wait_loadcnt 0x1
	v_mov_b32_e32 v19, s16
	s_wait_loadcnt 0x0
	v_and_b32_e32 v18, 0xffff, v1
.LBB127_2603:
	s_mov_b32 s18, -1
.LBB127_2604:
	s_delay_alu instid0(SALU_CYCLE_1)
	s_and_not1_b32 vcc_lo, exec_lo, s18
	s_cbranch_vccnz .LBB127_4058
; %bb.2605:
	v_mov_b32_e32 v23, 0
	s_and_b32 s14, 0xffff, s14
	s_delay_alu instid0(SALU_CYCLE_1) | instskip(SKIP_1) | instid1(VALU_DEP_1)
	s_cmp_lt_i32 s14, 11
	s_wait_xcnt 0x0
	v_add_nc_u64_e32 v[32:33], s[0:1], v[22:23]
	s_cbranch_scc1 .LBB127_2612
; %bb.2606:
	s_cmp_gt_i32 s14, 25
	s_mov_b32 s17, 0
	s_cbranch_scc0 .LBB127_2613
; %bb.2607:
	s_cmp_gt_i32 s14, 28
	s_cbranch_scc0 .LBB127_2614
; %bb.2608:
	s_cmp_gt_i32 s14, 43
	;; [unrolled: 3-line block ×3, first 2 shown]
	s_cbranch_scc0 .LBB127_2617
; %bb.2610:
	s_cmp_eq_u32 s14, 46
	s_mov_b32 s19, 0
	s_cbranch_scc0 .LBB127_2618
; %bb.2611:
	global_load_b32 v1, v[32:33], off
	s_mov_b32 s16, 0
	s_mov_b32 s18, -1
	s_wait_loadcnt 0x0
	v_lshlrev_b32_e32 v1, 16, v1
	s_delay_alu instid0(VALU_DEP_1) | instskip(NEXT) | instid1(VALU_DEP_1)
	v_trunc_f32_e32 v1, v1
	v_mul_f32_e64 v3, 0x2f800000, |v1|
	v_ashrrev_i32_e32 v22, 31, v1
	s_delay_alu instid0(VALU_DEP_2) | instskip(NEXT) | instid1(VALU_DEP_2)
	v_floor_f32_e32 v3, v3
	v_mov_b32_e32 v23, v22
	s_delay_alu instid0(VALU_DEP_2) | instskip(SKIP_1) | instid1(VALU_DEP_2)
	v_fma_f32 v5, 0xcf800000, v3, |v1|
	v_cvt_u32_f32_e32 v1, v3
	v_cvt_u32_f32_e32 v3, v5
	s_delay_alu instid0(VALU_DEP_2) | instskip(NEXT) | instid1(VALU_DEP_2)
	v_xor_b32_e32 v35, v1, v22
	v_xor_b32_e32 v34, v3, v22
	s_delay_alu instid0(VALU_DEP_1)
	v_sub_nc_u64_e32 v[22:23], v[34:35], v[22:23]
	s_branch .LBB127_2620
.LBB127_2612:
	s_mov_b32 s16, -1
	s_mov_b32 s18, 0
                                        ; implicit-def: $vgpr22_vgpr23
	s_branch .LBB127_2682
.LBB127_2613:
	s_mov_b32 s19, -1
	s_mov_b32 s18, 0
	s_mov_b32 s16, 0
                                        ; implicit-def: $vgpr22_vgpr23
	s_branch .LBB127_2647
.LBB127_2614:
	s_mov_b32 s19, -1
	s_mov_b32 s18, 0
	s_mov_b32 s16, 0
                                        ; implicit-def: $vgpr22_vgpr23
	s_branch .LBB127_2630
.LBB127_2615:
	s_mov_b32 s19, -1
	s_mov_b32 s18, 0
	s_mov_b32 s16, 0
                                        ; implicit-def: $vgpr22_vgpr23
	s_branch .LBB127_2625
.LBB127_2616:
	s_or_b32 s12, s12, exec_lo
	s_trap 2
	s_cbranch_execz .LBB127_2553
	s_branch .LBB127_2554
.LBB127_2617:
	s_mov_b32 s19, -1
	s_mov_b32 s18, 0
	s_mov_b32 s16, 0
	s_branch .LBB127_2619
.LBB127_2618:
	s_mov_b32 s16, -1
	s_mov_b32 s18, 0
.LBB127_2619:
                                        ; implicit-def: $vgpr22_vgpr23
.LBB127_2620:
	s_and_b32 vcc_lo, exec_lo, s19
	s_cbranch_vccz .LBB127_2624
; %bb.2621:
	s_cmp_eq_u32 s14, 44
	s_cbranch_scc0 .LBB127_2623
; %bb.2622:
	global_load_u8 v1, v[32:33], off
	s_mov_b32 s16, 0
	s_mov_b32 s18, -1
	s_wait_loadcnt 0x0
	v_lshlrev_b32_e32 v3, 23, v1
	v_cmp_ne_u32_e32 vcc_lo, 0, v1
	s_delay_alu instid0(VALU_DEP_2) | instskip(NEXT) | instid1(VALU_DEP_1)
	v_trunc_f32_e32 v3, v3
	v_mul_f32_e64 v5, 0x2f800000, |v3|
	v_ashrrev_i32_e32 v22, 31, v3
	s_delay_alu instid0(VALU_DEP_2) | instskip(NEXT) | instid1(VALU_DEP_2)
	v_floor_f32_e32 v5, v5
	v_mov_b32_e32 v23, v22
	s_delay_alu instid0(VALU_DEP_2) | instskip(SKIP_1) | instid1(VALU_DEP_2)
	v_fma_f32 v7, 0xcf800000, v5, |v3|
	v_cvt_u32_f32_e32 v3, v5
	v_cvt_u32_f32_e32 v5, v7
	s_delay_alu instid0(VALU_DEP_2) | instskip(NEXT) | instid1(VALU_DEP_2)
	v_xor_b32_e32 v35, v3, v22
	v_xor_b32_e32 v34, v5, v22
	s_delay_alu instid0(VALU_DEP_1) | instskip(NEXT) | instid1(VALU_DEP_1)
	v_sub_nc_u64_e32 v[22:23], v[34:35], v[22:23]
	v_dual_cndmask_b32 v23, 0, v23 :: v_dual_cndmask_b32 v22, 0, v22
	s_branch .LBB127_2624
.LBB127_2623:
	s_mov_b32 s16, -1
                                        ; implicit-def: $vgpr22_vgpr23
.LBB127_2624:
	s_mov_b32 s19, 0
.LBB127_2625:
	s_delay_alu instid0(SALU_CYCLE_1)
	s_and_b32 vcc_lo, exec_lo, s19
	s_cbranch_vccz .LBB127_2629
; %bb.2626:
	s_cmp_eq_u32 s14, 29
	s_cbranch_scc0 .LBB127_2628
; %bb.2627:
	global_load_b64 v[22:23], v[32:33], off
	s_mov_b32 s16, 0
	s_mov_b32 s18, -1
	s_branch .LBB127_2629
.LBB127_2628:
	s_mov_b32 s16, -1
                                        ; implicit-def: $vgpr22_vgpr23
.LBB127_2629:
	s_mov_b32 s19, 0
.LBB127_2630:
	s_delay_alu instid0(SALU_CYCLE_1)
	s_and_b32 vcc_lo, exec_lo, s19
	s_cbranch_vccz .LBB127_2646
; %bb.2631:
	s_cmp_lt_i32 s14, 27
	s_cbranch_scc1 .LBB127_2634
; %bb.2632:
	s_cmp_gt_i32 s14, 27
	s_cbranch_scc0 .LBB127_2635
; %bb.2633:
	s_wait_loadcnt 0x0
	global_load_b32 v22, v[32:33], off
	v_mov_b32_e32 v23, 0
	s_mov_b32 s18, 0
	s_branch .LBB127_2636
.LBB127_2634:
	s_mov_b32 s18, -1
                                        ; implicit-def: $vgpr22_vgpr23
	s_branch .LBB127_2639
.LBB127_2635:
	s_mov_b32 s18, -1
                                        ; implicit-def: $vgpr22_vgpr23
.LBB127_2636:
	s_delay_alu instid0(SALU_CYCLE_1)
	s_and_not1_b32 vcc_lo, exec_lo, s18
	s_cbranch_vccnz .LBB127_2638
; %bb.2637:
	global_load_u16 v1, v[32:33], off
	s_mov_b32 s18, 0
	s_wait_loadcnt 0x1
	v_mov_b32_e32 v23, s18
	s_wait_loadcnt 0x0
	v_and_b32_e32 v22, 0xffff, v1
.LBB127_2638:
	s_mov_b32 s18, 0
.LBB127_2639:
	s_delay_alu instid0(SALU_CYCLE_1)
	s_and_not1_b32 vcc_lo, exec_lo, s18
	s_cbranch_vccnz .LBB127_2645
; %bb.2640:
	global_load_u8 v1, v[32:33], off
	s_mov_b32 s19, 0
	s_mov_b32 s18, exec_lo
	s_wait_loadcnt 0x0
	v_cmpx_lt_i16_e32 0x7f, v1
	s_xor_b32 s18, exec_lo, s18
	s_cbranch_execz .LBB127_2657
; %bb.2641:
	v_cmp_ne_u16_e32 vcc_lo, 0x80, v1
	s_and_b32 s19, vcc_lo, exec_lo
	s_and_not1_saveexec_b32 s18, s18
	s_cbranch_execnz .LBB127_2658
.LBB127_2642:
	s_or_b32 exec_lo, exec_lo, s18
	v_mov_b64_e32 v[22:23], 0
	s_and_saveexec_b32 s18, s19
	s_cbranch_execz .LBB127_2644
.LBB127_2643:
	v_and_b32_e32 v3, 0xffff, v1
	s_delay_alu instid0(VALU_DEP_1) | instskip(SKIP_1) | instid1(VALU_DEP_2)
	v_dual_lshlrev_b32 v1, 24, v1 :: v_dual_bitop2_b32 v5, 7, v3 bitop3:0x40
	v_bfe_u32 v15, v3, 3, 4
	v_and_b32_e32 v1, 0x80000000, v1
	s_delay_alu instid0(VALU_DEP_3) | instskip(NEXT) | instid1(VALU_DEP_3)
	v_clz_i32_u32_e32 v7, v5
	v_cmp_eq_u32_e32 vcc_lo, 0, v15
	s_delay_alu instid0(VALU_DEP_2) | instskip(NEXT) | instid1(VALU_DEP_1)
	v_min_u32_e32 v7, 32, v7
	v_subrev_nc_u32_e32 v11, 28, v7
	v_sub_nc_u32_e32 v7, 29, v7
	s_delay_alu instid0(VALU_DEP_2) | instskip(NEXT) | instid1(VALU_DEP_2)
	v_lshlrev_b32_e32 v3, v11, v3
	v_cndmask_b32_e32 v7, v15, v7, vcc_lo
	s_delay_alu instid0(VALU_DEP_2) | instskip(NEXT) | instid1(VALU_DEP_1)
	v_and_b32_e32 v3, 7, v3
	v_cndmask_b32_e32 v3, v5, v3, vcc_lo
	s_delay_alu instid0(VALU_DEP_3) | instskip(NEXT) | instid1(VALU_DEP_2)
	v_lshl_add_u32 v5, v7, 23, 0x3b800000
	v_lshlrev_b32_e32 v3, 20, v3
	s_delay_alu instid0(VALU_DEP_1) | instskip(NEXT) | instid1(VALU_DEP_1)
	v_or3_b32 v1, v1, v5, v3
	v_trunc_f32_e32 v1, v1
	s_delay_alu instid0(VALU_DEP_1) | instskip(SKIP_1) | instid1(VALU_DEP_2)
	v_mul_f32_e64 v3, 0x2f800000, |v1|
	v_ashrrev_i32_e32 v22, 31, v1
	v_floor_f32_e32 v3, v3
	s_delay_alu instid0(VALU_DEP_2) | instskip(NEXT) | instid1(VALU_DEP_2)
	v_mov_b32_e32 v23, v22
	v_fma_f32 v5, 0xcf800000, v3, |v1|
	v_cvt_u32_f32_e32 v1, v3
	s_delay_alu instid0(VALU_DEP_2) | instskip(NEXT) | instid1(VALU_DEP_2)
	v_cvt_u32_f32_e32 v3, v5
	v_xor_b32_e32 v35, v1, v22
	s_delay_alu instid0(VALU_DEP_2) | instskip(NEXT) | instid1(VALU_DEP_1)
	v_xor_b32_e32 v34, v3, v22
	v_sub_nc_u64_e32 v[22:23], v[34:35], v[22:23]
.LBB127_2644:
	s_or_b32 exec_lo, exec_lo, s18
.LBB127_2645:
	s_mov_b32 s18, -1
.LBB127_2646:
	s_mov_b32 s19, 0
.LBB127_2647:
	s_delay_alu instid0(SALU_CYCLE_1)
	s_and_b32 vcc_lo, exec_lo, s19
	s_cbranch_vccz .LBB127_2678
; %bb.2648:
	s_cmp_gt_i32 s14, 22
	s_cbranch_scc0 .LBB127_2656
; %bb.2649:
	s_cmp_lt_i32 s14, 24
	s_cbranch_scc1 .LBB127_2659
; %bb.2650:
	s_cmp_gt_i32 s14, 24
	s_cbranch_scc0 .LBB127_2660
; %bb.2651:
	global_load_u8 v1, v[32:33], off
	s_mov_b32 s18, 0
	s_mov_b32 s17, exec_lo
	s_wait_loadcnt 0x0
	v_cmpx_lt_i16_e32 0x7f, v1
	s_xor_b32 s17, exec_lo, s17
	s_cbranch_execz .LBB127_2672
; %bb.2652:
	v_cmp_ne_u16_e32 vcc_lo, 0x80, v1
	s_and_b32 s18, vcc_lo, exec_lo
	s_and_not1_saveexec_b32 s17, s17
	s_cbranch_execnz .LBB127_2673
.LBB127_2653:
	s_or_b32 exec_lo, exec_lo, s17
	v_mov_b64_e32 v[22:23], 0
	s_and_saveexec_b32 s17, s18
	s_cbranch_execz .LBB127_2655
.LBB127_2654:
	v_and_b32_e32 v3, 0xffff, v1
	s_delay_alu instid0(VALU_DEP_1) | instskip(SKIP_1) | instid1(VALU_DEP_2)
	v_dual_lshlrev_b32 v1, 24, v1 :: v_dual_bitop2_b32 v5, 3, v3 bitop3:0x40
	v_bfe_u32 v15, v3, 2, 5
	v_and_b32_e32 v1, 0x80000000, v1
	s_delay_alu instid0(VALU_DEP_3) | instskip(NEXT) | instid1(VALU_DEP_3)
	v_clz_i32_u32_e32 v7, v5
	v_cmp_eq_u32_e32 vcc_lo, 0, v15
	s_delay_alu instid0(VALU_DEP_2) | instskip(NEXT) | instid1(VALU_DEP_1)
	v_min_u32_e32 v7, 32, v7
	v_subrev_nc_u32_e32 v11, 29, v7
	v_sub_nc_u32_e32 v7, 30, v7
	s_delay_alu instid0(VALU_DEP_2) | instskip(NEXT) | instid1(VALU_DEP_2)
	v_lshlrev_b32_e32 v3, v11, v3
	v_cndmask_b32_e32 v7, v15, v7, vcc_lo
	s_delay_alu instid0(VALU_DEP_2) | instskip(NEXT) | instid1(VALU_DEP_1)
	v_and_b32_e32 v3, 3, v3
	v_cndmask_b32_e32 v3, v5, v3, vcc_lo
	s_delay_alu instid0(VALU_DEP_3) | instskip(NEXT) | instid1(VALU_DEP_2)
	v_lshl_add_u32 v5, v7, 23, 0x37800000
	v_lshlrev_b32_e32 v3, 21, v3
	s_delay_alu instid0(VALU_DEP_1) | instskip(NEXT) | instid1(VALU_DEP_1)
	v_or3_b32 v1, v1, v5, v3
	v_trunc_f32_e32 v1, v1
	s_delay_alu instid0(VALU_DEP_1) | instskip(SKIP_1) | instid1(VALU_DEP_2)
	v_mul_f32_e64 v3, 0x2f800000, |v1|
	v_ashrrev_i32_e32 v22, 31, v1
	v_floor_f32_e32 v3, v3
	s_delay_alu instid0(VALU_DEP_2) | instskip(NEXT) | instid1(VALU_DEP_2)
	v_mov_b32_e32 v23, v22
	v_fma_f32 v5, 0xcf800000, v3, |v1|
	v_cvt_u32_f32_e32 v1, v3
	s_delay_alu instid0(VALU_DEP_2) | instskip(NEXT) | instid1(VALU_DEP_2)
	v_cvt_u32_f32_e32 v3, v5
	v_xor_b32_e32 v35, v1, v22
	s_delay_alu instid0(VALU_DEP_2) | instskip(NEXT) | instid1(VALU_DEP_1)
	v_xor_b32_e32 v34, v3, v22
	v_sub_nc_u64_e32 v[22:23], v[34:35], v[22:23]
.LBB127_2655:
	s_or_b32 exec_lo, exec_lo, s17
	s_mov_b32 s17, 0
	s_branch .LBB127_2661
.LBB127_2656:
	s_mov_b32 s17, -1
                                        ; implicit-def: $vgpr22_vgpr23
	s_branch .LBB127_2667
.LBB127_2657:
	s_and_not1_saveexec_b32 s18, s18
	s_cbranch_execz .LBB127_2642
.LBB127_2658:
	v_cmp_ne_u16_e32 vcc_lo, 0, v1
	s_and_not1_b32 s19, s19, exec_lo
	s_and_b32 s20, vcc_lo, exec_lo
	s_delay_alu instid0(SALU_CYCLE_1)
	s_or_b32 s19, s19, s20
	s_or_b32 exec_lo, exec_lo, s18
	v_mov_b64_e32 v[22:23], 0
	s_and_saveexec_b32 s18, s19
	s_cbranch_execnz .LBB127_2643
	s_branch .LBB127_2644
.LBB127_2659:
	s_mov_b32 s17, -1
                                        ; implicit-def: $vgpr22_vgpr23
	s_branch .LBB127_2664
.LBB127_2660:
	s_mov_b32 s17, -1
                                        ; implicit-def: $vgpr22_vgpr23
.LBB127_2661:
	s_delay_alu instid0(SALU_CYCLE_1)
	s_and_b32 vcc_lo, exec_lo, s17
	s_cbranch_vccz .LBB127_2663
; %bb.2662:
	global_load_u8 v1, v[32:33], off
	s_wait_loadcnt 0x0
	v_lshlrev_b32_e32 v1, 24, v1
	s_delay_alu instid0(VALU_DEP_1) | instskip(NEXT) | instid1(VALU_DEP_1)
	v_and_b32_e32 v3, 0x7f000000, v1
	v_clz_i32_u32_e32 v5, v3
	v_add_nc_u32_e32 v11, 0x1000000, v3
	v_cmp_ne_u32_e32 vcc_lo, 0, v3
	s_delay_alu instid0(VALU_DEP_3) | instskip(NEXT) | instid1(VALU_DEP_1)
	v_min_u32_e32 v5, 32, v5
	v_sub_nc_u32_e64 v5, v5, 4 clamp
	s_delay_alu instid0(VALU_DEP_1) | instskip(NEXT) | instid1(VALU_DEP_1)
	v_dual_lshlrev_b32 v7, v5, v3 :: v_dual_lshlrev_b32 v5, 23, v5
	v_lshrrev_b32_e32 v7, 4, v7
	s_delay_alu instid0(VALU_DEP_1) | instskip(NEXT) | instid1(VALU_DEP_1)
	v_dual_sub_nc_u32 v5, v7, v5 :: v_dual_ashrrev_i32 v7, 8, v11
	v_add_nc_u32_e32 v5, 0x3c000000, v5
	s_delay_alu instid0(VALU_DEP_1) | instskip(NEXT) | instid1(VALU_DEP_1)
	v_and_or_b32 v5, 0x7f800000, v7, v5
	v_cndmask_b32_e32 v3, 0, v5, vcc_lo
	s_delay_alu instid0(VALU_DEP_1) | instskip(NEXT) | instid1(VALU_DEP_1)
	v_and_or_b32 v1, 0x80000000, v1, v3
	v_trunc_f32_e32 v1, v1
	s_delay_alu instid0(VALU_DEP_1) | instskip(SKIP_1) | instid1(VALU_DEP_2)
	v_mul_f32_e64 v3, 0x2f800000, |v1|
	v_ashrrev_i32_e32 v22, 31, v1
	v_floor_f32_e32 v3, v3
	s_delay_alu instid0(VALU_DEP_2) | instskip(NEXT) | instid1(VALU_DEP_2)
	v_mov_b32_e32 v23, v22
	v_fma_f32 v5, 0xcf800000, v3, |v1|
	v_cvt_u32_f32_e32 v1, v3
	s_delay_alu instid0(VALU_DEP_2) | instskip(NEXT) | instid1(VALU_DEP_2)
	v_cvt_u32_f32_e32 v3, v5
	v_xor_b32_e32 v35, v1, v22
	s_delay_alu instid0(VALU_DEP_2) | instskip(NEXT) | instid1(VALU_DEP_1)
	v_xor_b32_e32 v34, v3, v22
	v_sub_nc_u64_e32 v[22:23], v[34:35], v[22:23]
.LBB127_2663:
	s_mov_b32 s17, 0
.LBB127_2664:
	s_delay_alu instid0(SALU_CYCLE_1)
	s_and_not1_b32 vcc_lo, exec_lo, s17
	s_cbranch_vccnz .LBB127_2666
; %bb.2665:
	global_load_u8 v1, v[32:33], off
	s_wait_loadcnt 0x0
	v_lshlrev_b32_e32 v3, 25, v1
	v_lshlrev_b16 v1, 8, v1
	s_delay_alu instid0(VALU_DEP_1) | instskip(SKIP_1) | instid1(VALU_DEP_2)
	v_and_or_b32 v7, 0x7f00, v1, 0.5
	v_bfe_i32 v1, v1, 0, 16
	v_add_f32_e32 v7, -0.5, v7
	v_lshrrev_b32_e32 v5, 4, v3
	v_cmp_gt_u32_e32 vcc_lo, 0x8000000, v3
	s_delay_alu instid0(VALU_DEP_2) | instskip(NEXT) | instid1(VALU_DEP_1)
	v_or_b32_e32 v5, 0x70000000, v5
	v_mul_f32_e32 v5, 0x7800000, v5
	s_delay_alu instid0(VALU_DEP_1) | instskip(NEXT) | instid1(VALU_DEP_1)
	v_cndmask_b32_e32 v3, v5, v7, vcc_lo
	v_and_or_b32 v1, 0x80000000, v1, v3
	s_delay_alu instid0(VALU_DEP_1) | instskip(NEXT) | instid1(VALU_DEP_1)
	v_trunc_f32_e32 v1, v1
	v_mul_f32_e64 v3, 0x2f800000, |v1|
	v_ashrrev_i32_e32 v22, 31, v1
	s_delay_alu instid0(VALU_DEP_2) | instskip(NEXT) | instid1(VALU_DEP_2)
	v_floor_f32_e32 v3, v3
	v_mov_b32_e32 v23, v22
	s_delay_alu instid0(VALU_DEP_2) | instskip(SKIP_1) | instid1(VALU_DEP_2)
	v_fma_f32 v5, 0xcf800000, v3, |v1|
	v_cvt_u32_f32_e32 v1, v3
	v_cvt_u32_f32_e32 v3, v5
	s_delay_alu instid0(VALU_DEP_2) | instskip(NEXT) | instid1(VALU_DEP_2)
	v_xor_b32_e32 v35, v1, v22
	v_xor_b32_e32 v34, v3, v22
	s_delay_alu instid0(VALU_DEP_1)
	v_sub_nc_u64_e32 v[22:23], v[34:35], v[22:23]
.LBB127_2666:
	s_mov_b32 s17, 0
	s_mov_b32 s18, -1
.LBB127_2667:
	s_and_not1_b32 vcc_lo, exec_lo, s17
	s_mov_b32 s17, 0
	s_cbranch_vccnz .LBB127_2678
; %bb.2668:
	s_cmp_gt_i32 s14, 14
	s_cbranch_scc0 .LBB127_2671
; %bb.2669:
	s_cmp_eq_u32 s14, 15
	s_cbranch_scc0 .LBB127_2674
; %bb.2670:
	global_load_u16 v1, v[32:33], off
	s_mov_b32 s16, 0
	s_mov_b32 s18, -1
	s_wait_loadcnt 0x0
	v_lshlrev_b32_e32 v1, 16, v1
	s_delay_alu instid0(VALU_DEP_1) | instskip(NEXT) | instid1(VALU_DEP_1)
	v_trunc_f32_e32 v1, v1
	v_mul_f32_e64 v3, 0x2f800000, |v1|
	v_ashrrev_i32_e32 v22, 31, v1
	s_delay_alu instid0(VALU_DEP_2) | instskip(NEXT) | instid1(VALU_DEP_2)
	v_floor_f32_e32 v3, v3
	v_mov_b32_e32 v23, v22
	s_delay_alu instid0(VALU_DEP_2) | instskip(SKIP_1) | instid1(VALU_DEP_2)
	v_fma_f32 v5, 0xcf800000, v3, |v1|
	v_cvt_u32_f32_e32 v1, v3
	v_cvt_u32_f32_e32 v3, v5
	s_delay_alu instid0(VALU_DEP_2) | instskip(NEXT) | instid1(VALU_DEP_2)
	v_xor_b32_e32 v35, v1, v22
	v_xor_b32_e32 v34, v3, v22
	s_delay_alu instid0(VALU_DEP_1)
	v_sub_nc_u64_e32 v[22:23], v[34:35], v[22:23]
	s_branch .LBB127_2676
.LBB127_2671:
	s_mov_b32 s17, -1
	s_branch .LBB127_2675
.LBB127_2672:
	s_and_not1_saveexec_b32 s17, s17
	s_cbranch_execz .LBB127_2653
.LBB127_2673:
	v_cmp_ne_u16_e32 vcc_lo, 0, v1
	s_and_not1_b32 s18, s18, exec_lo
	s_and_b32 s19, vcc_lo, exec_lo
	s_delay_alu instid0(SALU_CYCLE_1)
	s_or_b32 s18, s18, s19
	s_or_b32 exec_lo, exec_lo, s17
	v_mov_b64_e32 v[22:23], 0
	s_and_saveexec_b32 s17, s18
	s_cbranch_execnz .LBB127_2654
	s_branch .LBB127_2655
.LBB127_2674:
	s_mov_b32 s16, -1
.LBB127_2675:
                                        ; implicit-def: $vgpr22_vgpr23
.LBB127_2676:
	s_and_b32 vcc_lo, exec_lo, s17
	s_mov_b32 s17, 0
	s_cbranch_vccz .LBB127_2678
; %bb.2677:
	s_cmp_lg_u32 s14, 11
	s_mov_b32 s17, -1
	s_cselect_b32 s16, -1, 0
.LBB127_2678:
	s_delay_alu instid0(SALU_CYCLE_1)
	s_and_b32 vcc_lo, exec_lo, s16
	s_cbranch_vccnz .LBB127_2743
; %bb.2679:
	s_and_not1_b32 vcc_lo, exec_lo, s17
	s_cbranch_vccnz .LBB127_2681
.LBB127_2680:
	global_load_u8 v1, v[32:33], off
	s_mov_b32 s16, 0
	s_mov_b32 s18, -1
	s_wait_loadcnt 0x1
	v_mov_b32_e32 v23, s16
	s_wait_loadcnt 0x0
	v_cmp_ne_u16_e32 vcc_lo, 0, v1
	v_cndmask_b32_e64 v22, 0, 1, vcc_lo
.LBB127_2681:
	s_mov_b32 s16, 0
.LBB127_2682:
	s_delay_alu instid0(SALU_CYCLE_1)
	s_and_b32 vcc_lo, exec_lo, s16
	s_cbranch_vccz .LBB127_2731
; %bb.2683:
	s_cmp_lt_i32 s14, 5
	s_cbranch_scc1 .LBB127_2688
; %bb.2684:
	s_cmp_lt_i32 s14, 8
	s_cbranch_scc1 .LBB127_2689
	;; [unrolled: 3-line block ×3, first 2 shown]
; %bb.2686:
	s_cmp_gt_i32 s14, 9
	s_cbranch_scc0 .LBB127_2691
; %bb.2687:
	s_wait_loadcnt 0x0
	global_load_b64 v[22:23], v[32:33], off
	s_mov_b32 s16, 0
	s_wait_loadcnt 0x0
	v_trunc_f64_e32 v[22:23], v[22:23]
	s_delay_alu instid0(VALU_DEP_1) | instskip(NEXT) | instid1(VALU_DEP_1)
	v_ldexp_f64 v[34:35], v[22:23], 0xffffffe0
	v_floor_f64_e32 v[34:35], v[34:35]
	s_delay_alu instid0(VALU_DEP_1) | instskip(SKIP_1) | instid1(VALU_DEP_2)
	v_fmamk_f64 v[36:37], v[34:35], 0xc1f00000, v[22:23]
	v_cvt_i32_f64_e32 v23, v[34:35]
	v_cvt_u32_f64_e32 v22, v[36:37]
	s_branch .LBB127_2692
.LBB127_2688:
	s_mov_b32 s16, -1
                                        ; implicit-def: $vgpr22_vgpr23
	s_branch .LBB127_2710
.LBB127_2689:
	s_mov_b32 s16, -1
                                        ; implicit-def: $vgpr22_vgpr23
	s_branch .LBB127_2698
.LBB127_2690:
	s_mov_b32 s16, -1
                                        ; implicit-def: $vgpr22_vgpr23
	s_branch .LBB127_2695
.LBB127_2691:
	s_mov_b32 s16, -1
                                        ; implicit-def: $vgpr22_vgpr23
.LBB127_2692:
	s_delay_alu instid0(SALU_CYCLE_1)
	s_and_not1_b32 vcc_lo, exec_lo, s16
	s_cbranch_vccnz .LBB127_2694
; %bb.2693:
	global_load_b32 v1, v[32:33], off
	s_wait_loadcnt 0x0
	v_trunc_f32_e32 v1, v1
	s_delay_alu instid0(VALU_DEP_1) | instskip(SKIP_1) | instid1(VALU_DEP_2)
	v_mul_f32_e64 v3, 0x2f800000, |v1|
	v_ashrrev_i32_e32 v22, 31, v1
	v_floor_f32_e32 v3, v3
	s_delay_alu instid0(VALU_DEP_1) | instskip(SKIP_1) | instid1(VALU_DEP_4)
	v_fma_f32 v5, 0xcf800000, v3, |v1|
	v_cvt_u32_f32_e32 v1, v3
	v_mov_b32_e32 v23, v22
	s_delay_alu instid0(VALU_DEP_3) | instskip(NEXT) | instid1(VALU_DEP_3)
	v_cvt_u32_f32_e32 v3, v5
	v_xor_b32_e32 v35, v1, v22
	s_delay_alu instid0(VALU_DEP_2) | instskip(NEXT) | instid1(VALU_DEP_1)
	v_xor_b32_e32 v34, v3, v22
	v_sub_nc_u64_e32 v[22:23], v[34:35], v[22:23]
.LBB127_2694:
	s_mov_b32 s16, 0
.LBB127_2695:
	s_delay_alu instid0(SALU_CYCLE_1)
	s_and_not1_b32 vcc_lo, exec_lo, s16
	s_cbranch_vccnz .LBB127_2697
; %bb.2696:
	global_load_b32 v1, v[32:33], off
	s_wait_loadcnt 0x0
	v_cvt_f32_f16_e32 v1, v1
	s_delay_alu instid0(VALU_DEP_1) | instskip(NEXT) | instid1(VALU_DEP_1)
	v_cvt_i32_f32_e32 v22, v1
	v_ashrrev_i32_e32 v23, 31, v22
.LBB127_2697:
	s_mov_b32 s16, 0
.LBB127_2698:
	s_delay_alu instid0(SALU_CYCLE_1)
	s_and_not1_b32 vcc_lo, exec_lo, s16
	s_cbranch_vccnz .LBB127_2709
; %bb.2699:
	s_cmp_lt_i32 s14, 6
	s_cbranch_scc1 .LBB127_2702
; %bb.2700:
	s_cmp_gt_i32 s14, 6
	s_cbranch_scc0 .LBB127_2703
; %bb.2701:
	s_wait_loadcnt 0x0
	global_load_b64 v[22:23], v[32:33], off
	s_mov_b32 s16, 0
	s_wait_loadcnt 0x0
	v_trunc_f64_e32 v[22:23], v[22:23]
	s_delay_alu instid0(VALU_DEP_1) | instskip(NEXT) | instid1(VALU_DEP_1)
	v_ldexp_f64 v[34:35], v[22:23], 0xffffffe0
	v_floor_f64_e32 v[34:35], v[34:35]
	s_delay_alu instid0(VALU_DEP_1) | instskip(SKIP_1) | instid1(VALU_DEP_2)
	v_fmamk_f64 v[36:37], v[34:35], 0xc1f00000, v[22:23]
	v_cvt_i32_f64_e32 v23, v[34:35]
	v_cvt_u32_f64_e32 v22, v[36:37]
	s_branch .LBB127_2704
.LBB127_2702:
	s_mov_b32 s16, -1
                                        ; implicit-def: $vgpr22_vgpr23
	s_branch .LBB127_2707
.LBB127_2703:
	s_mov_b32 s16, -1
                                        ; implicit-def: $vgpr22_vgpr23
.LBB127_2704:
	s_delay_alu instid0(SALU_CYCLE_1)
	s_and_not1_b32 vcc_lo, exec_lo, s16
	s_cbranch_vccnz .LBB127_2706
; %bb.2705:
	global_load_b32 v1, v[32:33], off
	s_wait_loadcnt 0x0
	v_trunc_f32_e32 v1, v1
	s_delay_alu instid0(VALU_DEP_1) | instskip(SKIP_1) | instid1(VALU_DEP_2)
	v_mul_f32_e64 v3, 0x2f800000, |v1|
	v_ashrrev_i32_e32 v22, 31, v1
	v_floor_f32_e32 v3, v3
	s_delay_alu instid0(VALU_DEP_1) | instskip(SKIP_1) | instid1(VALU_DEP_4)
	v_fma_f32 v5, 0xcf800000, v3, |v1|
	v_cvt_u32_f32_e32 v1, v3
	v_mov_b32_e32 v23, v22
	s_delay_alu instid0(VALU_DEP_3) | instskip(NEXT) | instid1(VALU_DEP_3)
	v_cvt_u32_f32_e32 v3, v5
	v_xor_b32_e32 v35, v1, v22
	s_delay_alu instid0(VALU_DEP_2) | instskip(NEXT) | instid1(VALU_DEP_1)
	v_xor_b32_e32 v34, v3, v22
	v_sub_nc_u64_e32 v[22:23], v[34:35], v[22:23]
.LBB127_2706:
	s_mov_b32 s16, 0
.LBB127_2707:
	s_delay_alu instid0(SALU_CYCLE_1)
	s_and_not1_b32 vcc_lo, exec_lo, s16
	s_cbranch_vccnz .LBB127_2709
; %bb.2708:
	global_load_u16 v1, v[32:33], off
	s_wait_loadcnt 0x0
	v_cvt_f32_f16_e32 v1, v1
	s_delay_alu instid0(VALU_DEP_1) | instskip(NEXT) | instid1(VALU_DEP_1)
	v_cvt_i32_f32_e32 v22, v1
	v_ashrrev_i32_e32 v23, 31, v22
.LBB127_2709:
	s_mov_b32 s16, 0
.LBB127_2710:
	s_delay_alu instid0(SALU_CYCLE_1)
	s_and_not1_b32 vcc_lo, exec_lo, s16
	s_cbranch_vccnz .LBB127_2730
; %bb.2711:
	s_cmp_lt_i32 s14, 2
	s_cbranch_scc1 .LBB127_2715
; %bb.2712:
	s_cmp_lt_i32 s14, 3
	s_cbranch_scc1 .LBB127_2716
; %bb.2713:
	s_cmp_gt_i32 s14, 3
	s_cbranch_scc0 .LBB127_2717
; %bb.2714:
	s_wait_loadcnt 0x0
	global_load_b64 v[22:23], v[32:33], off
	s_mov_b32 s16, 0
	s_branch .LBB127_2718
.LBB127_2715:
	s_mov_b32 s16, -1
                                        ; implicit-def: $vgpr22_vgpr23
	s_branch .LBB127_2724
.LBB127_2716:
	s_mov_b32 s16, -1
                                        ; implicit-def: $vgpr22_vgpr23
	s_branch .LBB127_2721
.LBB127_2717:
	s_mov_b32 s16, -1
                                        ; implicit-def: $vgpr22_vgpr23
.LBB127_2718:
	s_delay_alu instid0(SALU_CYCLE_1)
	s_and_not1_b32 vcc_lo, exec_lo, s16
	s_cbranch_vccnz .LBB127_2720
; %bb.2719:
	s_wait_loadcnt 0x0
	global_load_b32 v22, v[32:33], off
	s_wait_loadcnt 0x0
	v_ashrrev_i32_e32 v23, 31, v22
.LBB127_2720:
	s_mov_b32 s16, 0
.LBB127_2721:
	s_delay_alu instid0(SALU_CYCLE_1)
	s_and_not1_b32 vcc_lo, exec_lo, s16
	s_cbranch_vccnz .LBB127_2723
; %bb.2722:
	global_load_u16 v1, v[32:33], off
	s_wait_loadcnt 0x0
	v_bfe_i32 v22, v1, 0, 16
	s_delay_alu instid0(VALU_DEP_1)
	v_ashrrev_i32_e32 v23, 31, v22
.LBB127_2723:
	s_mov_b32 s16, 0
.LBB127_2724:
	s_delay_alu instid0(SALU_CYCLE_1)
	s_and_not1_b32 vcc_lo, exec_lo, s16
	s_cbranch_vccnz .LBB127_2730
; %bb.2725:
	s_cmp_gt_i32 s14, 0
	s_mov_b32 s16, 0
	s_cbranch_scc0 .LBB127_2727
; %bb.2726:
	global_load_i8 v1, v[32:33], off
	s_wait_loadcnt 0x0
	v_bfe_i32 v22, v1, 0, 16
	s_delay_alu instid0(VALU_DEP_1)
	v_ashrrev_i32_e32 v23, 31, v22
	s_branch .LBB127_2728
.LBB127_2727:
	s_mov_b32 s16, -1
                                        ; implicit-def: $vgpr22_vgpr23
.LBB127_2728:
	s_delay_alu instid0(SALU_CYCLE_1)
	s_and_not1_b32 vcc_lo, exec_lo, s16
	s_cbranch_vccnz .LBB127_2730
; %bb.2729:
	global_load_u8 v1, v[32:33], off
	s_mov_b32 s16, 0
	s_wait_loadcnt 0x1
	v_mov_b32_e32 v23, s16
	s_wait_loadcnt 0x0
	v_and_b32_e32 v22, 0xffff, v1
.LBB127_2730:
	s_mov_b32 s18, -1
.LBB127_2731:
	s_delay_alu instid0(SALU_CYCLE_1)
	s_and_not1_b32 vcc_lo, exec_lo, s18
	s_cbranch_vccnz .LBB127_4058
; %bb.2732:
	v_mov_b32_e32 v27, 0
	s_and_b32 s15, 0xffff, s15
	s_delay_alu instid0(SALU_CYCLE_1) | instskip(SKIP_1) | instid1(VALU_DEP_1)
	s_cmp_lt_i32 s15, 11
	s_wait_xcnt 0x0
	v_add_nc_u64_e32 v[32:33], s[8:9], v[26:27]
	s_cbranch_scc1 .LBB127_2739
; %bb.2733:
	s_cmp_gt_i32 s15, 25
	s_mov_b32 s17, 0
	s_cbranch_scc0 .LBB127_2740
; %bb.2734:
	s_cmp_gt_i32 s15, 28
	s_cbranch_scc0 .LBB127_2741
; %bb.2735:
	s_cmp_gt_i32 s15, 43
	;; [unrolled: 3-line block ×3, first 2 shown]
	s_cbranch_scc0 .LBB127_2744
; %bb.2737:
	s_cmp_eq_u32 s15, 46
	s_mov_b32 s19, 0
	s_cbranch_scc0 .LBB127_2747
; %bb.2738:
	global_load_b32 v1, v[32:33], off
	s_mov_b32 s16, 0
	s_mov_b32 s18, -1
	s_wait_loadcnt 0x0
	v_lshlrev_b32_e32 v1, 16, v1
	s_delay_alu instid0(VALU_DEP_1) | instskip(NEXT) | instid1(VALU_DEP_1)
	v_trunc_f32_e32 v1, v1
	v_mul_f32_e64 v3, 0x2f800000, |v1|
	v_ashrrev_i32_e32 v26, 31, v1
	s_delay_alu instid0(VALU_DEP_2) | instskip(NEXT) | instid1(VALU_DEP_2)
	v_floor_f32_e32 v3, v3
	v_mov_b32_e32 v27, v26
	s_delay_alu instid0(VALU_DEP_2) | instskip(SKIP_1) | instid1(VALU_DEP_2)
	v_fma_f32 v5, 0xcf800000, v3, |v1|
	v_cvt_u32_f32_e32 v1, v3
	v_cvt_u32_f32_e32 v3, v5
	s_delay_alu instid0(VALU_DEP_2) | instskip(NEXT) | instid1(VALU_DEP_2)
	v_xor_b32_e32 v35, v1, v26
	v_xor_b32_e32 v34, v3, v26
	s_delay_alu instid0(VALU_DEP_1)
	v_sub_nc_u64_e32 v[26:27], v[34:35], v[26:27]
	s_branch .LBB127_2749
.LBB127_2739:
	s_mov_b32 s16, -1
	s_mov_b32 s18, 0
                                        ; implicit-def: $vgpr26_vgpr27
	s_branch .LBB127_2811
.LBB127_2740:
	s_mov_b32 s19, -1
	s_mov_b32 s18, 0
	s_mov_b32 s16, 0
                                        ; implicit-def: $vgpr26_vgpr27
	s_branch .LBB127_2776
.LBB127_2741:
	s_mov_b32 s19, -1
	s_mov_b32 s18, 0
	s_mov_b32 s16, 0
                                        ; implicit-def: $vgpr26_vgpr27
	s_branch .LBB127_2759
.LBB127_2742:
	s_mov_b32 s19, -1
	s_mov_b32 s18, 0
	s_mov_b32 s16, 0
                                        ; implicit-def: $vgpr26_vgpr27
	s_branch .LBB127_2754
.LBB127_2743:
	s_or_b32 s12, s12, exec_lo
	s_trap 2
	s_cbranch_execz .LBB127_2680
	s_branch .LBB127_2681
.LBB127_2744:
	s_mov_b32 s19, -1
	s_mov_b32 s18, 0
	s_mov_b32 s16, 0
	s_branch .LBB127_2748
.LBB127_2745:
	s_and_not1_saveexec_b32 s59, s59
	s_cbranch_execz .LBB127_1462
.LBB127_2746:
	v_add_f32_e64 v6, 0x46000000, |v1|
	s_and_not1_b32 s58, s58, exec_lo
	s_delay_alu instid0(VALU_DEP_1) | instskip(NEXT) | instid1(VALU_DEP_1)
	v_and_b32_e32 v6, 0xff, v6
	v_cmp_ne_u32_e32 vcc_lo, 0, v6
	s_and_b32 s60, vcc_lo, exec_lo
	s_delay_alu instid0(SALU_CYCLE_1)
	s_or_b32 s58, s58, s60
	s_or_b32 exec_lo, exec_lo, s59
	v_mov_b32_e32 v7, 0
	s_and_saveexec_b32 s59, s58
	s_cbranch_execnz .LBB127_1463
	s_branch .LBB127_1464
.LBB127_2747:
	s_mov_b32 s16, -1
	s_mov_b32 s18, 0
.LBB127_2748:
                                        ; implicit-def: $vgpr26_vgpr27
.LBB127_2749:
	s_and_b32 vcc_lo, exec_lo, s19
	s_cbranch_vccz .LBB127_2753
; %bb.2750:
	s_cmp_eq_u32 s15, 44
	s_cbranch_scc0 .LBB127_2752
; %bb.2751:
	global_load_u8 v1, v[32:33], off
	s_mov_b32 s16, 0
	s_mov_b32 s18, -1
	s_wait_loadcnt 0x0
	v_lshlrev_b32_e32 v3, 23, v1
	v_cmp_ne_u32_e32 vcc_lo, 0, v1
	s_delay_alu instid0(VALU_DEP_2) | instskip(NEXT) | instid1(VALU_DEP_1)
	v_trunc_f32_e32 v3, v3
	v_mul_f32_e64 v5, 0x2f800000, |v3|
	v_ashrrev_i32_e32 v26, 31, v3
	s_delay_alu instid0(VALU_DEP_2) | instskip(NEXT) | instid1(VALU_DEP_2)
	v_floor_f32_e32 v5, v5
	v_mov_b32_e32 v27, v26
	s_delay_alu instid0(VALU_DEP_2) | instskip(SKIP_1) | instid1(VALU_DEP_2)
	v_fma_f32 v7, 0xcf800000, v5, |v3|
	v_cvt_u32_f32_e32 v3, v5
	v_cvt_u32_f32_e32 v5, v7
	s_delay_alu instid0(VALU_DEP_2) | instskip(NEXT) | instid1(VALU_DEP_2)
	v_xor_b32_e32 v35, v3, v26
	v_xor_b32_e32 v34, v5, v26
	s_delay_alu instid0(VALU_DEP_1) | instskip(NEXT) | instid1(VALU_DEP_1)
	v_sub_nc_u64_e32 v[26:27], v[34:35], v[26:27]
	v_dual_cndmask_b32 v27, 0, v27 :: v_dual_cndmask_b32 v26, 0, v26
	s_branch .LBB127_2753
.LBB127_2752:
	s_mov_b32 s16, -1
                                        ; implicit-def: $vgpr26_vgpr27
.LBB127_2753:
	s_mov_b32 s19, 0
.LBB127_2754:
	s_delay_alu instid0(SALU_CYCLE_1)
	s_and_b32 vcc_lo, exec_lo, s19
	s_cbranch_vccz .LBB127_2758
; %bb.2755:
	s_cmp_eq_u32 s15, 29
	s_cbranch_scc0 .LBB127_2757
; %bb.2756:
	global_load_b64 v[26:27], v[32:33], off
	s_mov_b32 s16, 0
	s_mov_b32 s18, -1
	s_branch .LBB127_2758
.LBB127_2757:
	s_mov_b32 s16, -1
                                        ; implicit-def: $vgpr26_vgpr27
.LBB127_2758:
	s_mov_b32 s19, 0
.LBB127_2759:
	s_delay_alu instid0(SALU_CYCLE_1)
	s_and_b32 vcc_lo, exec_lo, s19
	s_cbranch_vccz .LBB127_2775
; %bb.2760:
	s_cmp_lt_i32 s15, 27
	s_cbranch_scc1 .LBB127_2763
; %bb.2761:
	s_cmp_gt_i32 s15, 27
	s_cbranch_scc0 .LBB127_2764
; %bb.2762:
	s_wait_loadcnt 0x0
	global_load_b32 v26, v[32:33], off
	v_mov_b32_e32 v27, 0
	s_mov_b32 s18, 0
	s_branch .LBB127_2765
.LBB127_2763:
	s_mov_b32 s18, -1
                                        ; implicit-def: $vgpr26_vgpr27
	s_branch .LBB127_2768
.LBB127_2764:
	s_mov_b32 s18, -1
                                        ; implicit-def: $vgpr26_vgpr27
.LBB127_2765:
	s_delay_alu instid0(SALU_CYCLE_1)
	s_and_not1_b32 vcc_lo, exec_lo, s18
	s_cbranch_vccnz .LBB127_2767
; %bb.2766:
	global_load_u16 v1, v[32:33], off
	s_mov_b32 s18, 0
	s_wait_loadcnt 0x1
	v_mov_b32_e32 v27, s18
	s_wait_loadcnt 0x0
	v_and_b32_e32 v26, 0xffff, v1
.LBB127_2767:
	s_mov_b32 s18, 0
.LBB127_2768:
	s_delay_alu instid0(SALU_CYCLE_1)
	s_and_not1_b32 vcc_lo, exec_lo, s18
	s_cbranch_vccnz .LBB127_2774
; %bb.2769:
	global_load_u8 v1, v[32:33], off
	s_mov_b32 s19, 0
	s_mov_b32 s18, exec_lo
	s_wait_loadcnt 0x0
	v_cmpx_lt_i16_e32 0x7f, v1
	s_xor_b32 s18, exec_lo, s18
	s_cbranch_execz .LBB127_2786
; %bb.2770:
	v_cmp_ne_u16_e32 vcc_lo, 0x80, v1
	s_and_b32 s19, vcc_lo, exec_lo
	s_and_not1_saveexec_b32 s18, s18
	s_cbranch_execnz .LBB127_2787
.LBB127_2771:
	s_or_b32 exec_lo, exec_lo, s18
	v_mov_b64_e32 v[26:27], 0
	s_and_saveexec_b32 s18, s19
	s_cbranch_execz .LBB127_2773
.LBB127_2772:
	v_and_b32_e32 v3, 0xffff, v1
	s_delay_alu instid0(VALU_DEP_1) | instskip(SKIP_1) | instid1(VALU_DEP_2)
	v_dual_lshlrev_b32 v1, 24, v1 :: v_dual_bitop2_b32 v5, 7, v3 bitop3:0x40
	v_bfe_u32 v15, v3, 3, 4
	v_and_b32_e32 v1, 0x80000000, v1
	s_delay_alu instid0(VALU_DEP_3) | instskip(NEXT) | instid1(VALU_DEP_3)
	v_clz_i32_u32_e32 v7, v5
	v_cmp_eq_u32_e32 vcc_lo, 0, v15
	s_delay_alu instid0(VALU_DEP_2) | instskip(NEXT) | instid1(VALU_DEP_1)
	v_min_u32_e32 v7, 32, v7
	v_subrev_nc_u32_e32 v11, 28, v7
	v_sub_nc_u32_e32 v7, 29, v7
	s_delay_alu instid0(VALU_DEP_2) | instskip(NEXT) | instid1(VALU_DEP_2)
	v_lshlrev_b32_e32 v3, v11, v3
	v_cndmask_b32_e32 v7, v15, v7, vcc_lo
	s_delay_alu instid0(VALU_DEP_2) | instskip(NEXT) | instid1(VALU_DEP_1)
	v_and_b32_e32 v3, 7, v3
	v_cndmask_b32_e32 v3, v5, v3, vcc_lo
	s_delay_alu instid0(VALU_DEP_3) | instskip(NEXT) | instid1(VALU_DEP_2)
	v_lshl_add_u32 v5, v7, 23, 0x3b800000
	v_lshlrev_b32_e32 v3, 20, v3
	s_delay_alu instid0(VALU_DEP_1) | instskip(NEXT) | instid1(VALU_DEP_1)
	v_or3_b32 v1, v1, v5, v3
	v_trunc_f32_e32 v1, v1
	s_delay_alu instid0(VALU_DEP_1) | instskip(SKIP_1) | instid1(VALU_DEP_2)
	v_mul_f32_e64 v3, 0x2f800000, |v1|
	v_ashrrev_i32_e32 v26, 31, v1
	v_floor_f32_e32 v3, v3
	s_delay_alu instid0(VALU_DEP_2) | instskip(NEXT) | instid1(VALU_DEP_2)
	v_mov_b32_e32 v27, v26
	v_fma_f32 v5, 0xcf800000, v3, |v1|
	v_cvt_u32_f32_e32 v1, v3
	s_delay_alu instid0(VALU_DEP_2) | instskip(NEXT) | instid1(VALU_DEP_2)
	v_cvt_u32_f32_e32 v3, v5
	v_xor_b32_e32 v35, v1, v26
	s_delay_alu instid0(VALU_DEP_2) | instskip(NEXT) | instid1(VALU_DEP_1)
	v_xor_b32_e32 v34, v3, v26
	v_sub_nc_u64_e32 v[26:27], v[34:35], v[26:27]
.LBB127_2773:
	s_or_b32 exec_lo, exec_lo, s18
.LBB127_2774:
	s_mov_b32 s18, -1
.LBB127_2775:
	s_mov_b32 s19, 0
.LBB127_2776:
	s_delay_alu instid0(SALU_CYCLE_1)
	s_and_b32 vcc_lo, exec_lo, s19
	s_cbranch_vccz .LBB127_2807
; %bb.2777:
	s_cmp_gt_i32 s15, 22
	s_cbranch_scc0 .LBB127_2785
; %bb.2778:
	s_cmp_lt_i32 s15, 24
	s_cbranch_scc1 .LBB127_2788
; %bb.2779:
	s_cmp_gt_i32 s15, 24
	s_cbranch_scc0 .LBB127_2789
; %bb.2780:
	global_load_u8 v1, v[32:33], off
	s_mov_b32 s18, 0
	s_mov_b32 s17, exec_lo
	s_wait_loadcnt 0x0
	v_cmpx_lt_i16_e32 0x7f, v1
	s_xor_b32 s17, exec_lo, s17
	s_cbranch_execz .LBB127_2801
; %bb.2781:
	v_cmp_ne_u16_e32 vcc_lo, 0x80, v1
	s_and_b32 s18, vcc_lo, exec_lo
	s_and_not1_saveexec_b32 s17, s17
	s_cbranch_execnz .LBB127_2802
.LBB127_2782:
	s_or_b32 exec_lo, exec_lo, s17
	v_mov_b64_e32 v[26:27], 0
	s_and_saveexec_b32 s17, s18
	s_cbranch_execz .LBB127_2784
.LBB127_2783:
	v_and_b32_e32 v3, 0xffff, v1
	s_delay_alu instid0(VALU_DEP_1) | instskip(SKIP_1) | instid1(VALU_DEP_2)
	v_dual_lshlrev_b32 v1, 24, v1 :: v_dual_bitop2_b32 v5, 3, v3 bitop3:0x40
	v_bfe_u32 v15, v3, 2, 5
	v_and_b32_e32 v1, 0x80000000, v1
	s_delay_alu instid0(VALU_DEP_3) | instskip(NEXT) | instid1(VALU_DEP_3)
	v_clz_i32_u32_e32 v7, v5
	v_cmp_eq_u32_e32 vcc_lo, 0, v15
	s_delay_alu instid0(VALU_DEP_2) | instskip(NEXT) | instid1(VALU_DEP_1)
	v_min_u32_e32 v7, 32, v7
	v_subrev_nc_u32_e32 v11, 29, v7
	v_sub_nc_u32_e32 v7, 30, v7
	s_delay_alu instid0(VALU_DEP_2) | instskip(NEXT) | instid1(VALU_DEP_2)
	v_lshlrev_b32_e32 v3, v11, v3
	v_cndmask_b32_e32 v7, v15, v7, vcc_lo
	s_delay_alu instid0(VALU_DEP_2) | instskip(NEXT) | instid1(VALU_DEP_1)
	v_and_b32_e32 v3, 3, v3
	v_cndmask_b32_e32 v3, v5, v3, vcc_lo
	s_delay_alu instid0(VALU_DEP_3) | instskip(NEXT) | instid1(VALU_DEP_2)
	v_lshl_add_u32 v5, v7, 23, 0x37800000
	v_lshlrev_b32_e32 v3, 21, v3
	s_delay_alu instid0(VALU_DEP_1) | instskip(NEXT) | instid1(VALU_DEP_1)
	v_or3_b32 v1, v1, v5, v3
	v_trunc_f32_e32 v1, v1
	s_delay_alu instid0(VALU_DEP_1) | instskip(SKIP_1) | instid1(VALU_DEP_2)
	v_mul_f32_e64 v3, 0x2f800000, |v1|
	v_ashrrev_i32_e32 v26, 31, v1
	v_floor_f32_e32 v3, v3
	s_delay_alu instid0(VALU_DEP_2) | instskip(NEXT) | instid1(VALU_DEP_2)
	v_mov_b32_e32 v27, v26
	v_fma_f32 v5, 0xcf800000, v3, |v1|
	v_cvt_u32_f32_e32 v1, v3
	s_delay_alu instid0(VALU_DEP_2) | instskip(NEXT) | instid1(VALU_DEP_2)
	v_cvt_u32_f32_e32 v3, v5
	v_xor_b32_e32 v35, v1, v26
	s_delay_alu instid0(VALU_DEP_2) | instskip(NEXT) | instid1(VALU_DEP_1)
	v_xor_b32_e32 v34, v3, v26
	v_sub_nc_u64_e32 v[26:27], v[34:35], v[26:27]
.LBB127_2784:
	s_or_b32 exec_lo, exec_lo, s17
	s_mov_b32 s17, 0
	s_branch .LBB127_2790
.LBB127_2785:
	s_mov_b32 s17, -1
                                        ; implicit-def: $vgpr26_vgpr27
	s_branch .LBB127_2796
.LBB127_2786:
	s_and_not1_saveexec_b32 s18, s18
	s_cbranch_execz .LBB127_2771
.LBB127_2787:
	v_cmp_ne_u16_e32 vcc_lo, 0, v1
	s_and_not1_b32 s19, s19, exec_lo
	s_and_b32 s20, vcc_lo, exec_lo
	s_delay_alu instid0(SALU_CYCLE_1)
	s_or_b32 s19, s19, s20
	s_or_b32 exec_lo, exec_lo, s18
	v_mov_b64_e32 v[26:27], 0
	s_and_saveexec_b32 s18, s19
	s_cbranch_execnz .LBB127_2772
	s_branch .LBB127_2773
.LBB127_2788:
	s_mov_b32 s17, -1
                                        ; implicit-def: $vgpr26_vgpr27
	s_branch .LBB127_2793
.LBB127_2789:
	s_mov_b32 s17, -1
                                        ; implicit-def: $vgpr26_vgpr27
.LBB127_2790:
	s_delay_alu instid0(SALU_CYCLE_1)
	s_and_b32 vcc_lo, exec_lo, s17
	s_cbranch_vccz .LBB127_2792
; %bb.2791:
	global_load_u8 v1, v[32:33], off
	s_wait_loadcnt 0x0
	v_lshlrev_b32_e32 v1, 24, v1
	s_delay_alu instid0(VALU_DEP_1) | instskip(NEXT) | instid1(VALU_DEP_1)
	v_and_b32_e32 v3, 0x7f000000, v1
	v_clz_i32_u32_e32 v5, v3
	v_add_nc_u32_e32 v11, 0x1000000, v3
	v_cmp_ne_u32_e32 vcc_lo, 0, v3
	s_delay_alu instid0(VALU_DEP_3) | instskip(NEXT) | instid1(VALU_DEP_1)
	v_min_u32_e32 v5, 32, v5
	v_sub_nc_u32_e64 v5, v5, 4 clamp
	s_delay_alu instid0(VALU_DEP_1) | instskip(NEXT) | instid1(VALU_DEP_1)
	v_dual_lshlrev_b32 v7, v5, v3 :: v_dual_lshlrev_b32 v5, 23, v5
	v_lshrrev_b32_e32 v7, 4, v7
	s_delay_alu instid0(VALU_DEP_1) | instskip(NEXT) | instid1(VALU_DEP_1)
	v_dual_sub_nc_u32 v5, v7, v5 :: v_dual_ashrrev_i32 v7, 8, v11
	v_add_nc_u32_e32 v5, 0x3c000000, v5
	s_delay_alu instid0(VALU_DEP_1) | instskip(NEXT) | instid1(VALU_DEP_1)
	v_and_or_b32 v5, 0x7f800000, v7, v5
	v_cndmask_b32_e32 v3, 0, v5, vcc_lo
	s_delay_alu instid0(VALU_DEP_1) | instskip(NEXT) | instid1(VALU_DEP_1)
	v_and_or_b32 v1, 0x80000000, v1, v3
	v_trunc_f32_e32 v1, v1
	s_delay_alu instid0(VALU_DEP_1) | instskip(SKIP_1) | instid1(VALU_DEP_2)
	v_mul_f32_e64 v3, 0x2f800000, |v1|
	v_ashrrev_i32_e32 v26, 31, v1
	v_floor_f32_e32 v3, v3
	s_delay_alu instid0(VALU_DEP_2) | instskip(NEXT) | instid1(VALU_DEP_2)
	v_mov_b32_e32 v27, v26
	v_fma_f32 v5, 0xcf800000, v3, |v1|
	v_cvt_u32_f32_e32 v1, v3
	s_delay_alu instid0(VALU_DEP_2) | instskip(NEXT) | instid1(VALU_DEP_2)
	v_cvt_u32_f32_e32 v3, v5
	v_xor_b32_e32 v35, v1, v26
	s_delay_alu instid0(VALU_DEP_2) | instskip(NEXT) | instid1(VALU_DEP_1)
	v_xor_b32_e32 v34, v3, v26
	v_sub_nc_u64_e32 v[26:27], v[34:35], v[26:27]
.LBB127_2792:
	s_mov_b32 s17, 0
.LBB127_2793:
	s_delay_alu instid0(SALU_CYCLE_1)
	s_and_not1_b32 vcc_lo, exec_lo, s17
	s_cbranch_vccnz .LBB127_2795
; %bb.2794:
	global_load_u8 v1, v[32:33], off
	s_wait_loadcnt 0x0
	v_lshlrev_b32_e32 v3, 25, v1
	v_lshlrev_b16 v1, 8, v1
	s_delay_alu instid0(VALU_DEP_1) | instskip(SKIP_1) | instid1(VALU_DEP_2)
	v_and_or_b32 v7, 0x7f00, v1, 0.5
	v_bfe_i32 v1, v1, 0, 16
	v_add_f32_e32 v7, -0.5, v7
	v_lshrrev_b32_e32 v5, 4, v3
	v_cmp_gt_u32_e32 vcc_lo, 0x8000000, v3
	s_delay_alu instid0(VALU_DEP_2) | instskip(NEXT) | instid1(VALU_DEP_1)
	v_or_b32_e32 v5, 0x70000000, v5
	v_mul_f32_e32 v5, 0x7800000, v5
	s_delay_alu instid0(VALU_DEP_1) | instskip(NEXT) | instid1(VALU_DEP_1)
	v_cndmask_b32_e32 v3, v5, v7, vcc_lo
	v_and_or_b32 v1, 0x80000000, v1, v3
	s_delay_alu instid0(VALU_DEP_1) | instskip(NEXT) | instid1(VALU_DEP_1)
	v_trunc_f32_e32 v1, v1
	v_mul_f32_e64 v3, 0x2f800000, |v1|
	v_ashrrev_i32_e32 v26, 31, v1
	s_delay_alu instid0(VALU_DEP_2) | instskip(NEXT) | instid1(VALU_DEP_2)
	v_floor_f32_e32 v3, v3
	v_mov_b32_e32 v27, v26
	s_delay_alu instid0(VALU_DEP_2) | instskip(SKIP_1) | instid1(VALU_DEP_2)
	v_fma_f32 v5, 0xcf800000, v3, |v1|
	v_cvt_u32_f32_e32 v1, v3
	v_cvt_u32_f32_e32 v3, v5
	s_delay_alu instid0(VALU_DEP_2) | instskip(NEXT) | instid1(VALU_DEP_2)
	v_xor_b32_e32 v35, v1, v26
	v_xor_b32_e32 v34, v3, v26
	s_delay_alu instid0(VALU_DEP_1)
	v_sub_nc_u64_e32 v[26:27], v[34:35], v[26:27]
.LBB127_2795:
	s_mov_b32 s17, 0
	s_mov_b32 s18, -1
.LBB127_2796:
	s_and_not1_b32 vcc_lo, exec_lo, s17
	s_mov_b32 s17, 0
	s_cbranch_vccnz .LBB127_2807
; %bb.2797:
	s_cmp_gt_i32 s15, 14
	s_cbranch_scc0 .LBB127_2800
; %bb.2798:
	s_cmp_eq_u32 s15, 15
	s_cbranch_scc0 .LBB127_2803
; %bb.2799:
	global_load_u16 v1, v[32:33], off
	s_mov_b32 s16, 0
	s_mov_b32 s18, -1
	s_wait_loadcnt 0x0
	v_lshlrev_b32_e32 v1, 16, v1
	s_delay_alu instid0(VALU_DEP_1) | instskip(NEXT) | instid1(VALU_DEP_1)
	v_trunc_f32_e32 v1, v1
	v_mul_f32_e64 v3, 0x2f800000, |v1|
	v_ashrrev_i32_e32 v26, 31, v1
	s_delay_alu instid0(VALU_DEP_2) | instskip(NEXT) | instid1(VALU_DEP_2)
	v_floor_f32_e32 v3, v3
	v_mov_b32_e32 v27, v26
	s_delay_alu instid0(VALU_DEP_2) | instskip(SKIP_1) | instid1(VALU_DEP_2)
	v_fma_f32 v5, 0xcf800000, v3, |v1|
	v_cvt_u32_f32_e32 v1, v3
	v_cvt_u32_f32_e32 v3, v5
	s_delay_alu instid0(VALU_DEP_2) | instskip(NEXT) | instid1(VALU_DEP_2)
	v_xor_b32_e32 v35, v1, v26
	v_xor_b32_e32 v34, v3, v26
	s_delay_alu instid0(VALU_DEP_1)
	v_sub_nc_u64_e32 v[26:27], v[34:35], v[26:27]
	s_branch .LBB127_2805
.LBB127_2800:
	s_mov_b32 s17, -1
	s_branch .LBB127_2804
.LBB127_2801:
	s_and_not1_saveexec_b32 s17, s17
	s_cbranch_execz .LBB127_2782
.LBB127_2802:
	v_cmp_ne_u16_e32 vcc_lo, 0, v1
	s_and_not1_b32 s18, s18, exec_lo
	s_and_b32 s19, vcc_lo, exec_lo
	s_delay_alu instid0(SALU_CYCLE_1)
	s_or_b32 s18, s18, s19
	s_or_b32 exec_lo, exec_lo, s17
	v_mov_b64_e32 v[26:27], 0
	s_and_saveexec_b32 s17, s18
	s_cbranch_execnz .LBB127_2783
	s_branch .LBB127_2784
.LBB127_2803:
	s_mov_b32 s16, -1
.LBB127_2804:
                                        ; implicit-def: $vgpr26_vgpr27
.LBB127_2805:
	s_and_b32 vcc_lo, exec_lo, s17
	s_mov_b32 s17, 0
	s_cbranch_vccz .LBB127_2807
; %bb.2806:
	s_cmp_lg_u32 s15, 11
	s_mov_b32 s17, -1
	s_cselect_b32 s16, -1, 0
.LBB127_2807:
	s_delay_alu instid0(SALU_CYCLE_1)
	s_and_b32 vcc_lo, exec_lo, s16
	s_cbranch_vccnz .LBB127_2872
; %bb.2808:
	s_and_not1_b32 vcc_lo, exec_lo, s17
	s_cbranch_vccnz .LBB127_2810
.LBB127_2809:
	global_load_u8 v1, v[32:33], off
	s_mov_b32 s16, 0
	s_mov_b32 s18, -1
	s_wait_loadcnt 0x1
	v_mov_b32_e32 v27, s16
	s_wait_loadcnt 0x0
	v_cmp_ne_u16_e32 vcc_lo, 0, v1
	v_cndmask_b32_e64 v26, 0, 1, vcc_lo
.LBB127_2810:
	s_mov_b32 s16, 0
.LBB127_2811:
	s_delay_alu instid0(SALU_CYCLE_1)
	s_and_b32 vcc_lo, exec_lo, s16
	s_cbranch_vccz .LBB127_2860
; %bb.2812:
	s_cmp_lt_i32 s15, 5
	s_cbranch_scc1 .LBB127_2817
; %bb.2813:
	s_cmp_lt_i32 s15, 8
	s_cbranch_scc1 .LBB127_2818
	;; [unrolled: 3-line block ×3, first 2 shown]
; %bb.2815:
	s_cmp_gt_i32 s15, 9
	s_cbranch_scc0 .LBB127_2820
; %bb.2816:
	s_wait_loadcnt 0x0
	global_load_b64 v[26:27], v[32:33], off
	s_mov_b32 s16, 0
	s_wait_loadcnt 0x0
	v_trunc_f64_e32 v[26:27], v[26:27]
	s_delay_alu instid0(VALU_DEP_1) | instskip(NEXT) | instid1(VALU_DEP_1)
	v_ldexp_f64 v[34:35], v[26:27], 0xffffffe0
	v_floor_f64_e32 v[34:35], v[34:35]
	s_delay_alu instid0(VALU_DEP_1) | instskip(SKIP_1) | instid1(VALU_DEP_2)
	v_fmamk_f64 v[36:37], v[34:35], 0xc1f00000, v[26:27]
	v_cvt_i32_f64_e32 v27, v[34:35]
	v_cvt_u32_f64_e32 v26, v[36:37]
	s_branch .LBB127_2821
.LBB127_2817:
	s_mov_b32 s16, -1
                                        ; implicit-def: $vgpr26_vgpr27
	s_branch .LBB127_2839
.LBB127_2818:
	s_mov_b32 s16, -1
                                        ; implicit-def: $vgpr26_vgpr27
	s_branch .LBB127_2827
.LBB127_2819:
	s_mov_b32 s16, -1
                                        ; implicit-def: $vgpr26_vgpr27
	s_branch .LBB127_2824
.LBB127_2820:
	s_mov_b32 s16, -1
                                        ; implicit-def: $vgpr26_vgpr27
.LBB127_2821:
	s_delay_alu instid0(SALU_CYCLE_1)
	s_and_not1_b32 vcc_lo, exec_lo, s16
	s_cbranch_vccnz .LBB127_2823
; %bb.2822:
	global_load_b32 v1, v[32:33], off
	s_wait_loadcnt 0x0
	v_trunc_f32_e32 v1, v1
	s_delay_alu instid0(VALU_DEP_1) | instskip(SKIP_1) | instid1(VALU_DEP_2)
	v_mul_f32_e64 v3, 0x2f800000, |v1|
	v_ashrrev_i32_e32 v26, 31, v1
	v_floor_f32_e32 v3, v3
	s_delay_alu instid0(VALU_DEP_1) | instskip(SKIP_1) | instid1(VALU_DEP_4)
	v_fma_f32 v5, 0xcf800000, v3, |v1|
	v_cvt_u32_f32_e32 v1, v3
	v_mov_b32_e32 v27, v26
	s_delay_alu instid0(VALU_DEP_3) | instskip(NEXT) | instid1(VALU_DEP_3)
	v_cvt_u32_f32_e32 v3, v5
	v_xor_b32_e32 v35, v1, v26
	s_delay_alu instid0(VALU_DEP_2) | instskip(NEXT) | instid1(VALU_DEP_1)
	v_xor_b32_e32 v34, v3, v26
	v_sub_nc_u64_e32 v[26:27], v[34:35], v[26:27]
.LBB127_2823:
	s_mov_b32 s16, 0
.LBB127_2824:
	s_delay_alu instid0(SALU_CYCLE_1)
	s_and_not1_b32 vcc_lo, exec_lo, s16
	s_cbranch_vccnz .LBB127_2826
; %bb.2825:
	global_load_b32 v1, v[32:33], off
	s_wait_loadcnt 0x0
	v_cvt_f32_f16_e32 v1, v1
	s_delay_alu instid0(VALU_DEP_1) | instskip(NEXT) | instid1(VALU_DEP_1)
	v_cvt_i32_f32_e32 v26, v1
	v_ashrrev_i32_e32 v27, 31, v26
.LBB127_2826:
	s_mov_b32 s16, 0
.LBB127_2827:
	s_delay_alu instid0(SALU_CYCLE_1)
	s_and_not1_b32 vcc_lo, exec_lo, s16
	s_cbranch_vccnz .LBB127_2838
; %bb.2828:
	s_cmp_lt_i32 s15, 6
	s_cbranch_scc1 .LBB127_2831
; %bb.2829:
	s_cmp_gt_i32 s15, 6
	s_cbranch_scc0 .LBB127_2832
; %bb.2830:
	s_wait_loadcnt 0x0
	global_load_b64 v[26:27], v[32:33], off
	s_mov_b32 s16, 0
	s_wait_loadcnt 0x0
	v_trunc_f64_e32 v[26:27], v[26:27]
	s_delay_alu instid0(VALU_DEP_1) | instskip(NEXT) | instid1(VALU_DEP_1)
	v_ldexp_f64 v[34:35], v[26:27], 0xffffffe0
	v_floor_f64_e32 v[34:35], v[34:35]
	s_delay_alu instid0(VALU_DEP_1) | instskip(SKIP_1) | instid1(VALU_DEP_2)
	v_fmamk_f64 v[36:37], v[34:35], 0xc1f00000, v[26:27]
	v_cvt_i32_f64_e32 v27, v[34:35]
	v_cvt_u32_f64_e32 v26, v[36:37]
	s_branch .LBB127_2833
.LBB127_2831:
	s_mov_b32 s16, -1
                                        ; implicit-def: $vgpr26_vgpr27
	s_branch .LBB127_2836
.LBB127_2832:
	s_mov_b32 s16, -1
                                        ; implicit-def: $vgpr26_vgpr27
.LBB127_2833:
	s_delay_alu instid0(SALU_CYCLE_1)
	s_and_not1_b32 vcc_lo, exec_lo, s16
	s_cbranch_vccnz .LBB127_2835
; %bb.2834:
	global_load_b32 v1, v[32:33], off
	s_wait_loadcnt 0x0
	v_trunc_f32_e32 v1, v1
	s_delay_alu instid0(VALU_DEP_1) | instskip(SKIP_1) | instid1(VALU_DEP_2)
	v_mul_f32_e64 v3, 0x2f800000, |v1|
	v_ashrrev_i32_e32 v26, 31, v1
	v_floor_f32_e32 v3, v3
	s_delay_alu instid0(VALU_DEP_1) | instskip(SKIP_1) | instid1(VALU_DEP_4)
	v_fma_f32 v5, 0xcf800000, v3, |v1|
	v_cvt_u32_f32_e32 v1, v3
	v_mov_b32_e32 v27, v26
	s_delay_alu instid0(VALU_DEP_3) | instskip(NEXT) | instid1(VALU_DEP_3)
	v_cvt_u32_f32_e32 v3, v5
	v_xor_b32_e32 v35, v1, v26
	s_delay_alu instid0(VALU_DEP_2) | instskip(NEXT) | instid1(VALU_DEP_1)
	v_xor_b32_e32 v34, v3, v26
	v_sub_nc_u64_e32 v[26:27], v[34:35], v[26:27]
.LBB127_2835:
	s_mov_b32 s16, 0
.LBB127_2836:
	s_delay_alu instid0(SALU_CYCLE_1)
	s_and_not1_b32 vcc_lo, exec_lo, s16
	s_cbranch_vccnz .LBB127_2838
; %bb.2837:
	global_load_u16 v1, v[32:33], off
	s_wait_loadcnt 0x0
	v_cvt_f32_f16_e32 v1, v1
	s_delay_alu instid0(VALU_DEP_1) | instskip(NEXT) | instid1(VALU_DEP_1)
	v_cvt_i32_f32_e32 v26, v1
	v_ashrrev_i32_e32 v27, 31, v26
.LBB127_2838:
	s_mov_b32 s16, 0
.LBB127_2839:
	s_delay_alu instid0(SALU_CYCLE_1)
	s_and_not1_b32 vcc_lo, exec_lo, s16
	s_cbranch_vccnz .LBB127_2859
; %bb.2840:
	s_cmp_lt_i32 s15, 2
	s_cbranch_scc1 .LBB127_2844
; %bb.2841:
	s_cmp_lt_i32 s15, 3
	s_cbranch_scc1 .LBB127_2845
; %bb.2842:
	s_cmp_gt_i32 s15, 3
	s_cbranch_scc0 .LBB127_2846
; %bb.2843:
	s_wait_loadcnt 0x0
	global_load_b64 v[26:27], v[32:33], off
	s_mov_b32 s16, 0
	s_branch .LBB127_2847
.LBB127_2844:
	s_mov_b32 s16, -1
                                        ; implicit-def: $vgpr26_vgpr27
	s_branch .LBB127_2853
.LBB127_2845:
	s_mov_b32 s16, -1
                                        ; implicit-def: $vgpr26_vgpr27
	s_branch .LBB127_2850
.LBB127_2846:
	s_mov_b32 s16, -1
                                        ; implicit-def: $vgpr26_vgpr27
.LBB127_2847:
	s_delay_alu instid0(SALU_CYCLE_1)
	s_and_not1_b32 vcc_lo, exec_lo, s16
	s_cbranch_vccnz .LBB127_2849
; %bb.2848:
	s_wait_loadcnt 0x0
	global_load_b32 v26, v[32:33], off
	s_wait_loadcnt 0x0
	v_ashrrev_i32_e32 v27, 31, v26
.LBB127_2849:
	s_mov_b32 s16, 0
.LBB127_2850:
	s_delay_alu instid0(SALU_CYCLE_1)
	s_and_not1_b32 vcc_lo, exec_lo, s16
	s_cbranch_vccnz .LBB127_2852
; %bb.2851:
	global_load_u16 v1, v[32:33], off
	s_wait_loadcnt 0x0
	v_bfe_i32 v26, v1, 0, 16
	s_delay_alu instid0(VALU_DEP_1)
	v_ashrrev_i32_e32 v27, 31, v26
.LBB127_2852:
	s_mov_b32 s16, 0
.LBB127_2853:
	s_delay_alu instid0(SALU_CYCLE_1)
	s_and_not1_b32 vcc_lo, exec_lo, s16
	s_cbranch_vccnz .LBB127_2859
; %bb.2854:
	s_cmp_gt_i32 s15, 0
	s_mov_b32 s16, 0
	s_cbranch_scc0 .LBB127_2856
; %bb.2855:
	global_load_i8 v1, v[32:33], off
	s_wait_loadcnt 0x0
	v_bfe_i32 v26, v1, 0, 16
	s_delay_alu instid0(VALU_DEP_1)
	v_ashrrev_i32_e32 v27, 31, v26
	s_branch .LBB127_2857
.LBB127_2856:
	s_mov_b32 s16, -1
                                        ; implicit-def: $vgpr26_vgpr27
.LBB127_2857:
	s_delay_alu instid0(SALU_CYCLE_1)
	s_and_not1_b32 vcc_lo, exec_lo, s16
	s_cbranch_vccnz .LBB127_2859
; %bb.2858:
	global_load_u8 v1, v[32:33], off
	s_mov_b32 s16, 0
	s_wait_loadcnt 0x1
	v_mov_b32_e32 v27, s16
	s_wait_loadcnt 0x0
	v_and_b32_e32 v26, 0xffff, v1
.LBB127_2859:
	s_mov_b32 s18, -1
.LBB127_2860:
	s_delay_alu instid0(SALU_CYCLE_1)
	s_and_not1_b32 vcc_lo, exec_lo, s18
	s_cbranch_vccnz .LBB127_4058
; %bb.2861:
	v_mov_b32_e32 v29, 0
	s_cmp_lt_i32 s13, 11
	s_wait_xcnt 0x0
	s_delay_alu instid0(VALU_DEP_1)
	v_add_nc_u64_e32 v[32:33], s[6:7], v[28:29]
	s_cbranch_scc1 .LBB127_2868
; %bb.2862:
	s_cmp_gt_i32 s13, 25
	s_mov_b32 s17, 0
	s_cbranch_scc0 .LBB127_2869
; %bb.2863:
	s_cmp_gt_i32 s13, 28
	s_cbranch_scc0 .LBB127_2870
; %bb.2864:
	s_cmp_gt_i32 s13, 43
	;; [unrolled: 3-line block ×3, first 2 shown]
	s_cbranch_scc0 .LBB127_2873
; %bb.2866:
	s_cmp_eq_u32 s13, 46
	s_mov_b32 s19, 0
	s_cbranch_scc0 .LBB127_2876
; %bb.2867:
	global_load_b32 v1, v[32:33], off
	s_mov_b32 s16, 0
	s_mov_b32 s18, -1
	s_wait_loadcnt 0x0
	v_lshlrev_b32_e32 v1, 16, v1
	s_delay_alu instid0(VALU_DEP_1) | instskip(NEXT) | instid1(VALU_DEP_1)
	v_trunc_f32_e32 v1, v1
	v_mul_f32_e64 v3, 0x2f800000, |v1|
	v_ashrrev_i32_e32 v28, 31, v1
	s_delay_alu instid0(VALU_DEP_2) | instskip(NEXT) | instid1(VALU_DEP_2)
	v_floor_f32_e32 v3, v3
	v_mov_b32_e32 v29, v28
	s_delay_alu instid0(VALU_DEP_2) | instskip(SKIP_1) | instid1(VALU_DEP_2)
	v_fma_f32 v5, 0xcf800000, v3, |v1|
	v_cvt_u32_f32_e32 v1, v3
	v_cvt_u32_f32_e32 v3, v5
	s_delay_alu instid0(VALU_DEP_2) | instskip(NEXT) | instid1(VALU_DEP_2)
	v_xor_b32_e32 v35, v1, v28
	v_xor_b32_e32 v34, v3, v28
	s_delay_alu instid0(VALU_DEP_1)
	v_sub_nc_u64_e32 v[28:29], v[34:35], v[28:29]
	s_branch .LBB127_2878
.LBB127_2868:
	s_mov_b32 s16, -1
	s_mov_b32 s18, 0
                                        ; implicit-def: $vgpr28_vgpr29
	s_branch .LBB127_2940
.LBB127_2869:
	s_mov_b32 s19, -1
	s_mov_b32 s18, 0
	s_mov_b32 s16, 0
                                        ; implicit-def: $vgpr28_vgpr29
	s_branch .LBB127_2905
.LBB127_2870:
	s_mov_b32 s19, -1
	s_mov_b32 s18, 0
	s_mov_b32 s16, 0
                                        ; implicit-def: $vgpr28_vgpr29
	s_branch .LBB127_2888
.LBB127_2871:
	s_mov_b32 s19, -1
	s_mov_b32 s18, 0
	s_mov_b32 s16, 0
                                        ; implicit-def: $vgpr28_vgpr29
	s_branch .LBB127_2883
.LBB127_2872:
	s_or_b32 s12, s12, exec_lo
	s_trap 2
	s_cbranch_execz .LBB127_2809
	s_branch .LBB127_2810
.LBB127_2873:
	s_mov_b32 s19, -1
	s_mov_b32 s18, 0
	s_mov_b32 s16, 0
	s_branch .LBB127_2877
.LBB127_2874:
	s_and_not1_saveexec_b32 s59, s59
	s_cbranch_execz .LBB127_1475
.LBB127_2875:
	v_add_f32_e64 v6, 0x42800000, |v1|
	s_and_not1_b32 s58, s58, exec_lo
	s_delay_alu instid0(VALU_DEP_1) | instskip(NEXT) | instid1(VALU_DEP_1)
	v_and_b32_e32 v6, 0xff, v6
	v_cmp_ne_u32_e32 vcc_lo, 0, v6
	s_and_b32 s60, vcc_lo, exec_lo
	s_delay_alu instid0(SALU_CYCLE_1)
	s_or_b32 s58, s58, s60
	s_or_b32 exec_lo, exec_lo, s59
	v_mov_b32_e32 v7, 0
	s_and_saveexec_b32 s59, s58
	s_cbranch_execnz .LBB127_1476
	s_branch .LBB127_1477
.LBB127_2876:
	s_mov_b32 s16, -1
	s_mov_b32 s18, 0
.LBB127_2877:
                                        ; implicit-def: $vgpr28_vgpr29
.LBB127_2878:
	s_and_b32 vcc_lo, exec_lo, s19
	s_cbranch_vccz .LBB127_2882
; %bb.2879:
	s_cmp_eq_u32 s13, 44
	s_cbranch_scc0 .LBB127_2881
; %bb.2880:
	global_load_u8 v1, v[32:33], off
	s_mov_b32 s16, 0
	s_mov_b32 s18, -1
	s_wait_loadcnt 0x0
	v_lshlrev_b32_e32 v3, 23, v1
	v_cmp_ne_u32_e32 vcc_lo, 0, v1
	s_delay_alu instid0(VALU_DEP_2) | instskip(NEXT) | instid1(VALU_DEP_1)
	v_trunc_f32_e32 v3, v3
	v_mul_f32_e64 v5, 0x2f800000, |v3|
	v_ashrrev_i32_e32 v28, 31, v3
	s_delay_alu instid0(VALU_DEP_2) | instskip(NEXT) | instid1(VALU_DEP_2)
	v_floor_f32_e32 v5, v5
	v_mov_b32_e32 v29, v28
	s_delay_alu instid0(VALU_DEP_2) | instskip(SKIP_1) | instid1(VALU_DEP_2)
	v_fma_f32 v7, 0xcf800000, v5, |v3|
	v_cvt_u32_f32_e32 v3, v5
	v_cvt_u32_f32_e32 v5, v7
	s_delay_alu instid0(VALU_DEP_2) | instskip(NEXT) | instid1(VALU_DEP_2)
	v_xor_b32_e32 v35, v3, v28
	v_xor_b32_e32 v34, v5, v28
	s_delay_alu instid0(VALU_DEP_1) | instskip(NEXT) | instid1(VALU_DEP_1)
	v_sub_nc_u64_e32 v[28:29], v[34:35], v[28:29]
	v_dual_cndmask_b32 v29, 0, v29 :: v_dual_cndmask_b32 v28, 0, v28
	s_branch .LBB127_2882
.LBB127_2881:
	s_mov_b32 s16, -1
                                        ; implicit-def: $vgpr28_vgpr29
.LBB127_2882:
	s_mov_b32 s19, 0
.LBB127_2883:
	s_delay_alu instid0(SALU_CYCLE_1)
	s_and_b32 vcc_lo, exec_lo, s19
	s_cbranch_vccz .LBB127_2887
; %bb.2884:
	s_cmp_eq_u32 s13, 29
	s_cbranch_scc0 .LBB127_2886
; %bb.2885:
	global_load_b64 v[28:29], v[32:33], off
	s_mov_b32 s16, 0
	s_mov_b32 s18, -1
	s_branch .LBB127_2887
.LBB127_2886:
	s_mov_b32 s16, -1
                                        ; implicit-def: $vgpr28_vgpr29
.LBB127_2887:
	s_mov_b32 s19, 0
.LBB127_2888:
	s_delay_alu instid0(SALU_CYCLE_1)
	s_and_b32 vcc_lo, exec_lo, s19
	s_cbranch_vccz .LBB127_2904
; %bb.2889:
	s_cmp_lt_i32 s13, 27
	s_cbranch_scc1 .LBB127_2892
; %bb.2890:
	s_cmp_gt_i32 s13, 27
	s_cbranch_scc0 .LBB127_2893
; %bb.2891:
	s_wait_loadcnt 0x0
	global_load_b32 v28, v[32:33], off
	v_mov_b32_e32 v29, 0
	s_mov_b32 s18, 0
	s_branch .LBB127_2894
.LBB127_2892:
	s_mov_b32 s18, -1
                                        ; implicit-def: $vgpr28_vgpr29
	s_branch .LBB127_2897
.LBB127_2893:
	s_mov_b32 s18, -1
                                        ; implicit-def: $vgpr28_vgpr29
.LBB127_2894:
	s_delay_alu instid0(SALU_CYCLE_1)
	s_and_not1_b32 vcc_lo, exec_lo, s18
	s_cbranch_vccnz .LBB127_2896
; %bb.2895:
	global_load_u16 v1, v[32:33], off
	s_mov_b32 s18, 0
	s_wait_loadcnt 0x1
	v_mov_b32_e32 v29, s18
	s_wait_loadcnt 0x0
	v_and_b32_e32 v28, 0xffff, v1
.LBB127_2896:
	s_mov_b32 s18, 0
.LBB127_2897:
	s_delay_alu instid0(SALU_CYCLE_1)
	s_and_not1_b32 vcc_lo, exec_lo, s18
	s_cbranch_vccnz .LBB127_2903
; %bb.2898:
	global_load_u8 v1, v[32:33], off
	s_mov_b32 s19, 0
	s_mov_b32 s18, exec_lo
	s_wait_loadcnt 0x0
	v_cmpx_lt_i16_e32 0x7f, v1
	s_xor_b32 s18, exec_lo, s18
	s_cbranch_execz .LBB127_2915
; %bb.2899:
	v_cmp_ne_u16_e32 vcc_lo, 0x80, v1
	s_and_b32 s19, vcc_lo, exec_lo
	s_and_not1_saveexec_b32 s18, s18
	s_cbranch_execnz .LBB127_2916
.LBB127_2900:
	s_or_b32 exec_lo, exec_lo, s18
	v_mov_b64_e32 v[28:29], 0
	s_and_saveexec_b32 s18, s19
	s_cbranch_execz .LBB127_2902
.LBB127_2901:
	v_and_b32_e32 v3, 0xffff, v1
	s_delay_alu instid0(VALU_DEP_1) | instskip(SKIP_1) | instid1(VALU_DEP_2)
	v_dual_lshlrev_b32 v1, 24, v1 :: v_dual_bitop2_b32 v5, 7, v3 bitop3:0x40
	v_bfe_u32 v15, v3, 3, 4
	v_and_b32_e32 v1, 0x80000000, v1
	s_delay_alu instid0(VALU_DEP_3) | instskip(NEXT) | instid1(VALU_DEP_3)
	v_clz_i32_u32_e32 v7, v5
	v_cmp_eq_u32_e32 vcc_lo, 0, v15
	s_delay_alu instid0(VALU_DEP_2) | instskip(NEXT) | instid1(VALU_DEP_1)
	v_min_u32_e32 v7, 32, v7
	v_subrev_nc_u32_e32 v11, 28, v7
	v_sub_nc_u32_e32 v7, 29, v7
	s_delay_alu instid0(VALU_DEP_2) | instskip(NEXT) | instid1(VALU_DEP_2)
	v_lshlrev_b32_e32 v3, v11, v3
	v_cndmask_b32_e32 v7, v15, v7, vcc_lo
	s_delay_alu instid0(VALU_DEP_2) | instskip(NEXT) | instid1(VALU_DEP_1)
	v_and_b32_e32 v3, 7, v3
	v_cndmask_b32_e32 v3, v5, v3, vcc_lo
	s_delay_alu instid0(VALU_DEP_3) | instskip(NEXT) | instid1(VALU_DEP_2)
	v_lshl_add_u32 v5, v7, 23, 0x3b800000
	v_lshlrev_b32_e32 v3, 20, v3
	s_delay_alu instid0(VALU_DEP_1) | instskip(NEXT) | instid1(VALU_DEP_1)
	v_or3_b32 v1, v1, v5, v3
	v_trunc_f32_e32 v1, v1
	s_delay_alu instid0(VALU_DEP_1) | instskip(SKIP_1) | instid1(VALU_DEP_2)
	v_mul_f32_e64 v3, 0x2f800000, |v1|
	v_ashrrev_i32_e32 v28, 31, v1
	v_floor_f32_e32 v3, v3
	s_delay_alu instid0(VALU_DEP_2) | instskip(NEXT) | instid1(VALU_DEP_2)
	v_mov_b32_e32 v29, v28
	v_fma_f32 v5, 0xcf800000, v3, |v1|
	v_cvt_u32_f32_e32 v1, v3
	s_delay_alu instid0(VALU_DEP_2) | instskip(NEXT) | instid1(VALU_DEP_2)
	v_cvt_u32_f32_e32 v3, v5
	v_xor_b32_e32 v35, v1, v28
	s_delay_alu instid0(VALU_DEP_2) | instskip(NEXT) | instid1(VALU_DEP_1)
	v_xor_b32_e32 v34, v3, v28
	v_sub_nc_u64_e32 v[28:29], v[34:35], v[28:29]
.LBB127_2902:
	s_or_b32 exec_lo, exec_lo, s18
.LBB127_2903:
	s_mov_b32 s18, -1
.LBB127_2904:
	s_mov_b32 s19, 0
.LBB127_2905:
	s_delay_alu instid0(SALU_CYCLE_1)
	s_and_b32 vcc_lo, exec_lo, s19
	s_cbranch_vccz .LBB127_2936
; %bb.2906:
	s_cmp_gt_i32 s13, 22
	s_cbranch_scc0 .LBB127_2914
; %bb.2907:
	s_cmp_lt_i32 s13, 24
	s_cbranch_scc1 .LBB127_2917
; %bb.2908:
	s_cmp_gt_i32 s13, 24
	s_cbranch_scc0 .LBB127_2918
; %bb.2909:
	global_load_u8 v1, v[32:33], off
	s_mov_b32 s18, 0
	s_mov_b32 s17, exec_lo
	s_wait_loadcnt 0x0
	v_cmpx_lt_i16_e32 0x7f, v1
	s_xor_b32 s17, exec_lo, s17
	s_cbranch_execz .LBB127_2930
; %bb.2910:
	v_cmp_ne_u16_e32 vcc_lo, 0x80, v1
	s_and_b32 s18, vcc_lo, exec_lo
	s_and_not1_saveexec_b32 s17, s17
	s_cbranch_execnz .LBB127_2931
.LBB127_2911:
	s_or_b32 exec_lo, exec_lo, s17
	v_mov_b64_e32 v[28:29], 0
	s_and_saveexec_b32 s17, s18
	s_cbranch_execz .LBB127_2913
.LBB127_2912:
	v_and_b32_e32 v3, 0xffff, v1
	s_delay_alu instid0(VALU_DEP_1) | instskip(SKIP_1) | instid1(VALU_DEP_2)
	v_dual_lshlrev_b32 v1, 24, v1 :: v_dual_bitop2_b32 v5, 3, v3 bitop3:0x40
	v_bfe_u32 v15, v3, 2, 5
	v_and_b32_e32 v1, 0x80000000, v1
	s_delay_alu instid0(VALU_DEP_3) | instskip(NEXT) | instid1(VALU_DEP_3)
	v_clz_i32_u32_e32 v7, v5
	v_cmp_eq_u32_e32 vcc_lo, 0, v15
	s_delay_alu instid0(VALU_DEP_2) | instskip(NEXT) | instid1(VALU_DEP_1)
	v_min_u32_e32 v7, 32, v7
	v_subrev_nc_u32_e32 v11, 29, v7
	v_sub_nc_u32_e32 v7, 30, v7
	s_delay_alu instid0(VALU_DEP_2) | instskip(NEXT) | instid1(VALU_DEP_2)
	v_lshlrev_b32_e32 v3, v11, v3
	v_cndmask_b32_e32 v7, v15, v7, vcc_lo
	s_delay_alu instid0(VALU_DEP_2) | instskip(NEXT) | instid1(VALU_DEP_1)
	v_and_b32_e32 v3, 3, v3
	v_cndmask_b32_e32 v3, v5, v3, vcc_lo
	s_delay_alu instid0(VALU_DEP_3) | instskip(NEXT) | instid1(VALU_DEP_2)
	v_lshl_add_u32 v5, v7, 23, 0x37800000
	v_lshlrev_b32_e32 v3, 21, v3
	s_delay_alu instid0(VALU_DEP_1) | instskip(NEXT) | instid1(VALU_DEP_1)
	v_or3_b32 v1, v1, v5, v3
	v_trunc_f32_e32 v1, v1
	s_delay_alu instid0(VALU_DEP_1) | instskip(SKIP_1) | instid1(VALU_DEP_2)
	v_mul_f32_e64 v3, 0x2f800000, |v1|
	v_ashrrev_i32_e32 v28, 31, v1
	v_floor_f32_e32 v3, v3
	s_delay_alu instid0(VALU_DEP_2) | instskip(NEXT) | instid1(VALU_DEP_2)
	v_mov_b32_e32 v29, v28
	v_fma_f32 v5, 0xcf800000, v3, |v1|
	v_cvt_u32_f32_e32 v1, v3
	s_delay_alu instid0(VALU_DEP_2) | instskip(NEXT) | instid1(VALU_DEP_2)
	v_cvt_u32_f32_e32 v3, v5
	v_xor_b32_e32 v35, v1, v28
	s_delay_alu instid0(VALU_DEP_2) | instskip(NEXT) | instid1(VALU_DEP_1)
	v_xor_b32_e32 v34, v3, v28
	v_sub_nc_u64_e32 v[28:29], v[34:35], v[28:29]
.LBB127_2913:
	s_or_b32 exec_lo, exec_lo, s17
	s_mov_b32 s17, 0
	s_branch .LBB127_2919
.LBB127_2914:
	s_mov_b32 s17, -1
                                        ; implicit-def: $vgpr28_vgpr29
	s_branch .LBB127_2925
.LBB127_2915:
	s_and_not1_saveexec_b32 s18, s18
	s_cbranch_execz .LBB127_2900
.LBB127_2916:
	v_cmp_ne_u16_e32 vcc_lo, 0, v1
	s_and_not1_b32 s19, s19, exec_lo
	s_and_b32 s20, vcc_lo, exec_lo
	s_delay_alu instid0(SALU_CYCLE_1)
	s_or_b32 s19, s19, s20
	s_or_b32 exec_lo, exec_lo, s18
	v_mov_b64_e32 v[28:29], 0
	s_and_saveexec_b32 s18, s19
	s_cbranch_execnz .LBB127_2901
	s_branch .LBB127_2902
.LBB127_2917:
	s_mov_b32 s17, -1
                                        ; implicit-def: $vgpr28_vgpr29
	s_branch .LBB127_2922
.LBB127_2918:
	s_mov_b32 s17, -1
                                        ; implicit-def: $vgpr28_vgpr29
.LBB127_2919:
	s_delay_alu instid0(SALU_CYCLE_1)
	s_and_b32 vcc_lo, exec_lo, s17
	s_cbranch_vccz .LBB127_2921
; %bb.2920:
	global_load_u8 v1, v[32:33], off
	s_wait_loadcnt 0x0
	v_lshlrev_b32_e32 v1, 24, v1
	s_delay_alu instid0(VALU_DEP_1) | instskip(NEXT) | instid1(VALU_DEP_1)
	v_and_b32_e32 v3, 0x7f000000, v1
	v_clz_i32_u32_e32 v5, v3
	v_add_nc_u32_e32 v11, 0x1000000, v3
	v_cmp_ne_u32_e32 vcc_lo, 0, v3
	s_delay_alu instid0(VALU_DEP_3) | instskip(NEXT) | instid1(VALU_DEP_1)
	v_min_u32_e32 v5, 32, v5
	v_sub_nc_u32_e64 v5, v5, 4 clamp
	s_delay_alu instid0(VALU_DEP_1) | instskip(NEXT) | instid1(VALU_DEP_1)
	v_dual_lshlrev_b32 v7, v5, v3 :: v_dual_lshlrev_b32 v5, 23, v5
	v_lshrrev_b32_e32 v7, 4, v7
	s_delay_alu instid0(VALU_DEP_1) | instskip(NEXT) | instid1(VALU_DEP_1)
	v_dual_sub_nc_u32 v5, v7, v5 :: v_dual_ashrrev_i32 v7, 8, v11
	v_add_nc_u32_e32 v5, 0x3c000000, v5
	s_delay_alu instid0(VALU_DEP_1) | instskip(NEXT) | instid1(VALU_DEP_1)
	v_and_or_b32 v5, 0x7f800000, v7, v5
	v_cndmask_b32_e32 v3, 0, v5, vcc_lo
	s_delay_alu instid0(VALU_DEP_1) | instskip(NEXT) | instid1(VALU_DEP_1)
	v_and_or_b32 v1, 0x80000000, v1, v3
	v_trunc_f32_e32 v1, v1
	s_delay_alu instid0(VALU_DEP_1) | instskip(SKIP_1) | instid1(VALU_DEP_2)
	v_mul_f32_e64 v3, 0x2f800000, |v1|
	v_ashrrev_i32_e32 v28, 31, v1
	v_floor_f32_e32 v3, v3
	s_delay_alu instid0(VALU_DEP_2) | instskip(NEXT) | instid1(VALU_DEP_2)
	v_mov_b32_e32 v29, v28
	v_fma_f32 v5, 0xcf800000, v3, |v1|
	v_cvt_u32_f32_e32 v1, v3
	s_delay_alu instid0(VALU_DEP_2) | instskip(NEXT) | instid1(VALU_DEP_2)
	v_cvt_u32_f32_e32 v3, v5
	v_xor_b32_e32 v35, v1, v28
	s_delay_alu instid0(VALU_DEP_2) | instskip(NEXT) | instid1(VALU_DEP_1)
	v_xor_b32_e32 v34, v3, v28
	v_sub_nc_u64_e32 v[28:29], v[34:35], v[28:29]
.LBB127_2921:
	s_mov_b32 s17, 0
.LBB127_2922:
	s_delay_alu instid0(SALU_CYCLE_1)
	s_and_not1_b32 vcc_lo, exec_lo, s17
	s_cbranch_vccnz .LBB127_2924
; %bb.2923:
	global_load_u8 v1, v[32:33], off
	s_wait_loadcnt 0x0
	v_lshlrev_b32_e32 v3, 25, v1
	v_lshlrev_b16 v1, 8, v1
	s_delay_alu instid0(VALU_DEP_1) | instskip(SKIP_1) | instid1(VALU_DEP_2)
	v_and_or_b32 v7, 0x7f00, v1, 0.5
	v_bfe_i32 v1, v1, 0, 16
	v_add_f32_e32 v7, -0.5, v7
	v_lshrrev_b32_e32 v5, 4, v3
	v_cmp_gt_u32_e32 vcc_lo, 0x8000000, v3
	s_delay_alu instid0(VALU_DEP_2) | instskip(NEXT) | instid1(VALU_DEP_1)
	v_or_b32_e32 v5, 0x70000000, v5
	v_mul_f32_e32 v5, 0x7800000, v5
	s_delay_alu instid0(VALU_DEP_1) | instskip(NEXT) | instid1(VALU_DEP_1)
	v_cndmask_b32_e32 v3, v5, v7, vcc_lo
	v_and_or_b32 v1, 0x80000000, v1, v3
	s_delay_alu instid0(VALU_DEP_1) | instskip(NEXT) | instid1(VALU_DEP_1)
	v_trunc_f32_e32 v1, v1
	v_mul_f32_e64 v3, 0x2f800000, |v1|
	v_ashrrev_i32_e32 v28, 31, v1
	s_delay_alu instid0(VALU_DEP_2) | instskip(NEXT) | instid1(VALU_DEP_2)
	v_floor_f32_e32 v3, v3
	v_mov_b32_e32 v29, v28
	s_delay_alu instid0(VALU_DEP_2) | instskip(SKIP_1) | instid1(VALU_DEP_2)
	v_fma_f32 v5, 0xcf800000, v3, |v1|
	v_cvt_u32_f32_e32 v1, v3
	v_cvt_u32_f32_e32 v3, v5
	s_delay_alu instid0(VALU_DEP_2) | instskip(NEXT) | instid1(VALU_DEP_2)
	v_xor_b32_e32 v35, v1, v28
	v_xor_b32_e32 v34, v3, v28
	s_delay_alu instid0(VALU_DEP_1)
	v_sub_nc_u64_e32 v[28:29], v[34:35], v[28:29]
.LBB127_2924:
	s_mov_b32 s17, 0
	s_mov_b32 s18, -1
.LBB127_2925:
	s_and_not1_b32 vcc_lo, exec_lo, s17
	s_mov_b32 s17, 0
	s_cbranch_vccnz .LBB127_2936
; %bb.2926:
	s_cmp_gt_i32 s13, 14
	s_cbranch_scc0 .LBB127_2929
; %bb.2927:
	s_cmp_eq_u32 s13, 15
	s_cbranch_scc0 .LBB127_2932
; %bb.2928:
	global_load_u16 v1, v[32:33], off
	s_mov_b32 s16, 0
	s_mov_b32 s18, -1
	s_wait_loadcnt 0x0
	v_lshlrev_b32_e32 v1, 16, v1
	s_delay_alu instid0(VALU_DEP_1) | instskip(NEXT) | instid1(VALU_DEP_1)
	v_trunc_f32_e32 v1, v1
	v_mul_f32_e64 v3, 0x2f800000, |v1|
	v_ashrrev_i32_e32 v28, 31, v1
	s_delay_alu instid0(VALU_DEP_2) | instskip(NEXT) | instid1(VALU_DEP_2)
	v_floor_f32_e32 v3, v3
	v_mov_b32_e32 v29, v28
	s_delay_alu instid0(VALU_DEP_2) | instskip(SKIP_1) | instid1(VALU_DEP_2)
	v_fma_f32 v5, 0xcf800000, v3, |v1|
	v_cvt_u32_f32_e32 v1, v3
	v_cvt_u32_f32_e32 v3, v5
	s_delay_alu instid0(VALU_DEP_2) | instskip(NEXT) | instid1(VALU_DEP_2)
	v_xor_b32_e32 v35, v1, v28
	v_xor_b32_e32 v34, v3, v28
	s_delay_alu instid0(VALU_DEP_1)
	v_sub_nc_u64_e32 v[28:29], v[34:35], v[28:29]
	s_branch .LBB127_2934
.LBB127_2929:
	s_mov_b32 s17, -1
	s_branch .LBB127_2933
.LBB127_2930:
	s_and_not1_saveexec_b32 s17, s17
	s_cbranch_execz .LBB127_2911
.LBB127_2931:
	v_cmp_ne_u16_e32 vcc_lo, 0, v1
	s_and_not1_b32 s18, s18, exec_lo
	s_and_b32 s19, vcc_lo, exec_lo
	s_delay_alu instid0(SALU_CYCLE_1)
	s_or_b32 s18, s18, s19
	s_or_b32 exec_lo, exec_lo, s17
	v_mov_b64_e32 v[28:29], 0
	s_and_saveexec_b32 s17, s18
	s_cbranch_execnz .LBB127_2912
	s_branch .LBB127_2913
.LBB127_2932:
	s_mov_b32 s16, -1
.LBB127_2933:
                                        ; implicit-def: $vgpr28_vgpr29
.LBB127_2934:
	s_and_b32 vcc_lo, exec_lo, s17
	s_mov_b32 s17, 0
	s_cbranch_vccz .LBB127_2936
; %bb.2935:
	s_cmp_lg_u32 s13, 11
	s_mov_b32 s17, -1
	s_cselect_b32 s16, -1, 0
.LBB127_2936:
	s_delay_alu instid0(SALU_CYCLE_1)
	s_and_b32 vcc_lo, exec_lo, s16
	s_cbranch_vccnz .LBB127_3001
; %bb.2937:
	s_and_not1_b32 vcc_lo, exec_lo, s17
	s_cbranch_vccnz .LBB127_2939
.LBB127_2938:
	global_load_u8 v1, v[32:33], off
	s_mov_b32 s16, 0
	s_mov_b32 s18, -1
	s_wait_loadcnt 0x1
	v_mov_b32_e32 v29, s16
	s_wait_loadcnt 0x0
	v_cmp_ne_u16_e32 vcc_lo, 0, v1
	v_cndmask_b32_e64 v28, 0, 1, vcc_lo
.LBB127_2939:
	s_mov_b32 s16, 0
.LBB127_2940:
	s_delay_alu instid0(SALU_CYCLE_1)
	s_and_b32 vcc_lo, exec_lo, s16
	s_cbranch_vccz .LBB127_2989
; %bb.2941:
	s_cmp_lt_i32 s13, 5
	s_cbranch_scc1 .LBB127_2946
; %bb.2942:
	s_cmp_lt_i32 s13, 8
	s_cbranch_scc1 .LBB127_2947
	;; [unrolled: 3-line block ×3, first 2 shown]
; %bb.2944:
	s_cmp_gt_i32 s13, 9
	s_cbranch_scc0 .LBB127_2949
; %bb.2945:
	s_wait_loadcnt 0x0
	global_load_b64 v[28:29], v[32:33], off
	s_mov_b32 s16, 0
	s_wait_loadcnt 0x0
	v_trunc_f64_e32 v[28:29], v[28:29]
	s_delay_alu instid0(VALU_DEP_1) | instskip(NEXT) | instid1(VALU_DEP_1)
	v_ldexp_f64 v[34:35], v[28:29], 0xffffffe0
	v_floor_f64_e32 v[34:35], v[34:35]
	s_delay_alu instid0(VALU_DEP_1) | instskip(SKIP_1) | instid1(VALU_DEP_2)
	v_fmamk_f64 v[36:37], v[34:35], 0xc1f00000, v[28:29]
	v_cvt_i32_f64_e32 v29, v[34:35]
	v_cvt_u32_f64_e32 v28, v[36:37]
	s_branch .LBB127_2950
.LBB127_2946:
	s_mov_b32 s16, -1
                                        ; implicit-def: $vgpr28_vgpr29
	s_branch .LBB127_2968
.LBB127_2947:
	s_mov_b32 s16, -1
                                        ; implicit-def: $vgpr28_vgpr29
	s_branch .LBB127_2956
.LBB127_2948:
	s_mov_b32 s16, -1
                                        ; implicit-def: $vgpr28_vgpr29
	s_branch .LBB127_2953
.LBB127_2949:
	s_mov_b32 s16, -1
                                        ; implicit-def: $vgpr28_vgpr29
.LBB127_2950:
	s_delay_alu instid0(SALU_CYCLE_1)
	s_and_not1_b32 vcc_lo, exec_lo, s16
	s_cbranch_vccnz .LBB127_2952
; %bb.2951:
	global_load_b32 v1, v[32:33], off
	s_wait_loadcnt 0x0
	v_trunc_f32_e32 v1, v1
	s_delay_alu instid0(VALU_DEP_1) | instskip(SKIP_1) | instid1(VALU_DEP_2)
	v_mul_f32_e64 v3, 0x2f800000, |v1|
	v_ashrrev_i32_e32 v28, 31, v1
	v_floor_f32_e32 v3, v3
	s_delay_alu instid0(VALU_DEP_1) | instskip(SKIP_1) | instid1(VALU_DEP_4)
	v_fma_f32 v5, 0xcf800000, v3, |v1|
	v_cvt_u32_f32_e32 v1, v3
	v_mov_b32_e32 v29, v28
	s_delay_alu instid0(VALU_DEP_3) | instskip(NEXT) | instid1(VALU_DEP_3)
	v_cvt_u32_f32_e32 v3, v5
	v_xor_b32_e32 v35, v1, v28
	s_delay_alu instid0(VALU_DEP_2) | instskip(NEXT) | instid1(VALU_DEP_1)
	v_xor_b32_e32 v34, v3, v28
	v_sub_nc_u64_e32 v[28:29], v[34:35], v[28:29]
.LBB127_2952:
	s_mov_b32 s16, 0
.LBB127_2953:
	s_delay_alu instid0(SALU_CYCLE_1)
	s_and_not1_b32 vcc_lo, exec_lo, s16
	s_cbranch_vccnz .LBB127_2955
; %bb.2954:
	global_load_b32 v1, v[32:33], off
	s_wait_loadcnt 0x0
	v_cvt_f32_f16_e32 v1, v1
	s_delay_alu instid0(VALU_DEP_1) | instskip(NEXT) | instid1(VALU_DEP_1)
	v_cvt_i32_f32_e32 v28, v1
	v_ashrrev_i32_e32 v29, 31, v28
.LBB127_2955:
	s_mov_b32 s16, 0
.LBB127_2956:
	s_delay_alu instid0(SALU_CYCLE_1)
	s_and_not1_b32 vcc_lo, exec_lo, s16
	s_cbranch_vccnz .LBB127_2967
; %bb.2957:
	s_cmp_lt_i32 s13, 6
	s_cbranch_scc1 .LBB127_2960
; %bb.2958:
	s_cmp_gt_i32 s13, 6
	s_cbranch_scc0 .LBB127_2961
; %bb.2959:
	s_wait_loadcnt 0x0
	global_load_b64 v[28:29], v[32:33], off
	s_mov_b32 s16, 0
	s_wait_loadcnt 0x0
	v_trunc_f64_e32 v[28:29], v[28:29]
	s_delay_alu instid0(VALU_DEP_1) | instskip(NEXT) | instid1(VALU_DEP_1)
	v_ldexp_f64 v[34:35], v[28:29], 0xffffffe0
	v_floor_f64_e32 v[34:35], v[34:35]
	s_delay_alu instid0(VALU_DEP_1) | instskip(SKIP_1) | instid1(VALU_DEP_2)
	v_fmamk_f64 v[36:37], v[34:35], 0xc1f00000, v[28:29]
	v_cvt_i32_f64_e32 v29, v[34:35]
	v_cvt_u32_f64_e32 v28, v[36:37]
	s_branch .LBB127_2962
.LBB127_2960:
	s_mov_b32 s16, -1
                                        ; implicit-def: $vgpr28_vgpr29
	s_branch .LBB127_2965
.LBB127_2961:
	s_mov_b32 s16, -1
                                        ; implicit-def: $vgpr28_vgpr29
.LBB127_2962:
	s_delay_alu instid0(SALU_CYCLE_1)
	s_and_not1_b32 vcc_lo, exec_lo, s16
	s_cbranch_vccnz .LBB127_2964
; %bb.2963:
	global_load_b32 v1, v[32:33], off
	s_wait_loadcnt 0x0
	v_trunc_f32_e32 v1, v1
	s_delay_alu instid0(VALU_DEP_1) | instskip(SKIP_1) | instid1(VALU_DEP_2)
	v_mul_f32_e64 v3, 0x2f800000, |v1|
	v_ashrrev_i32_e32 v28, 31, v1
	v_floor_f32_e32 v3, v3
	s_delay_alu instid0(VALU_DEP_1) | instskip(SKIP_1) | instid1(VALU_DEP_4)
	v_fma_f32 v5, 0xcf800000, v3, |v1|
	v_cvt_u32_f32_e32 v1, v3
	v_mov_b32_e32 v29, v28
	s_delay_alu instid0(VALU_DEP_3) | instskip(NEXT) | instid1(VALU_DEP_3)
	v_cvt_u32_f32_e32 v3, v5
	v_xor_b32_e32 v35, v1, v28
	s_delay_alu instid0(VALU_DEP_2) | instskip(NEXT) | instid1(VALU_DEP_1)
	v_xor_b32_e32 v34, v3, v28
	v_sub_nc_u64_e32 v[28:29], v[34:35], v[28:29]
.LBB127_2964:
	s_mov_b32 s16, 0
.LBB127_2965:
	s_delay_alu instid0(SALU_CYCLE_1)
	s_and_not1_b32 vcc_lo, exec_lo, s16
	s_cbranch_vccnz .LBB127_2967
; %bb.2966:
	global_load_u16 v1, v[32:33], off
	s_wait_loadcnt 0x0
	v_cvt_f32_f16_e32 v1, v1
	s_delay_alu instid0(VALU_DEP_1) | instskip(NEXT) | instid1(VALU_DEP_1)
	v_cvt_i32_f32_e32 v28, v1
	v_ashrrev_i32_e32 v29, 31, v28
.LBB127_2967:
	s_mov_b32 s16, 0
.LBB127_2968:
	s_delay_alu instid0(SALU_CYCLE_1)
	s_and_not1_b32 vcc_lo, exec_lo, s16
	s_cbranch_vccnz .LBB127_2988
; %bb.2969:
	s_cmp_lt_i32 s13, 2
	s_cbranch_scc1 .LBB127_2973
; %bb.2970:
	s_cmp_lt_i32 s13, 3
	s_cbranch_scc1 .LBB127_2974
; %bb.2971:
	s_cmp_gt_i32 s13, 3
	s_cbranch_scc0 .LBB127_2975
; %bb.2972:
	s_wait_loadcnt 0x0
	global_load_b64 v[28:29], v[32:33], off
	s_mov_b32 s16, 0
	s_branch .LBB127_2976
.LBB127_2973:
	s_mov_b32 s16, -1
                                        ; implicit-def: $vgpr28_vgpr29
	s_branch .LBB127_2982
.LBB127_2974:
	s_mov_b32 s16, -1
                                        ; implicit-def: $vgpr28_vgpr29
	s_branch .LBB127_2979
.LBB127_2975:
	s_mov_b32 s16, -1
                                        ; implicit-def: $vgpr28_vgpr29
.LBB127_2976:
	s_delay_alu instid0(SALU_CYCLE_1)
	s_and_not1_b32 vcc_lo, exec_lo, s16
	s_cbranch_vccnz .LBB127_2978
; %bb.2977:
	s_wait_loadcnt 0x0
	global_load_b32 v28, v[32:33], off
	s_wait_loadcnt 0x0
	v_ashrrev_i32_e32 v29, 31, v28
.LBB127_2978:
	s_mov_b32 s16, 0
.LBB127_2979:
	s_delay_alu instid0(SALU_CYCLE_1)
	s_and_not1_b32 vcc_lo, exec_lo, s16
	s_cbranch_vccnz .LBB127_2981
; %bb.2980:
	global_load_u16 v1, v[32:33], off
	s_wait_loadcnt 0x0
	v_bfe_i32 v28, v1, 0, 16
	s_delay_alu instid0(VALU_DEP_1)
	v_ashrrev_i32_e32 v29, 31, v28
.LBB127_2981:
	s_mov_b32 s16, 0
.LBB127_2982:
	s_delay_alu instid0(SALU_CYCLE_1)
	s_and_not1_b32 vcc_lo, exec_lo, s16
	s_cbranch_vccnz .LBB127_2988
; %bb.2983:
	s_cmp_gt_i32 s13, 0
	s_mov_b32 s16, 0
	s_cbranch_scc0 .LBB127_2985
; %bb.2984:
	global_load_i8 v1, v[32:33], off
	s_wait_loadcnt 0x0
	v_bfe_i32 v28, v1, 0, 16
	s_delay_alu instid0(VALU_DEP_1)
	v_ashrrev_i32_e32 v29, 31, v28
	s_branch .LBB127_2986
.LBB127_2985:
	s_mov_b32 s16, -1
                                        ; implicit-def: $vgpr28_vgpr29
.LBB127_2986:
	s_delay_alu instid0(SALU_CYCLE_1)
	s_and_not1_b32 vcc_lo, exec_lo, s16
	s_cbranch_vccnz .LBB127_2988
; %bb.2987:
	global_load_u8 v1, v[32:33], off
	s_mov_b32 s16, 0
	s_wait_loadcnt 0x1
	v_mov_b32_e32 v29, s16
	s_wait_loadcnt 0x0
	v_and_b32_e32 v28, 0xffff, v1
.LBB127_2988:
	s_mov_b32 s18, -1
.LBB127_2989:
	s_delay_alu instid0(SALU_CYCLE_1)
	s_and_not1_b32 vcc_lo, exec_lo, s18
	s_cbranch_vccnz .LBB127_4058
; %bb.2990:
	v_mov_b32_e32 v31, 0
	s_cmp_lt_i32 s14, 11
	s_wait_xcnt 0x0
	s_delay_alu instid0(VALU_DEP_1)
	v_add_nc_u64_e32 v[32:33], s[0:1], v[30:31]
	s_cbranch_scc1 .LBB127_2997
; %bb.2991:
	s_cmp_gt_i32 s14, 25
	s_mov_b32 s17, 0
	s_cbranch_scc0 .LBB127_2998
; %bb.2992:
	s_cmp_gt_i32 s14, 28
	s_cbranch_scc0 .LBB127_2999
; %bb.2993:
	s_cmp_gt_i32 s14, 43
	s_cbranch_scc0 .LBB127_3000
; %bb.2994:
	s_cmp_gt_i32 s14, 45
	s_cbranch_scc0 .LBB127_3002
; %bb.2995:
	s_cmp_eq_u32 s14, 46
	s_mov_b32 s19, 0
	s_cbranch_scc0 .LBB127_3003
; %bb.2996:
	global_load_b32 v1, v[32:33], off
	s_mov_b32 s16, 0
	s_mov_b32 s18, -1
	s_wait_loadcnt 0x0
	v_lshlrev_b32_e32 v1, 16, v1
	s_delay_alu instid0(VALU_DEP_1) | instskip(NEXT) | instid1(VALU_DEP_1)
	v_trunc_f32_e32 v1, v1
	v_mul_f32_e64 v3, 0x2f800000, |v1|
	v_ashrrev_i32_e32 v30, 31, v1
	s_delay_alu instid0(VALU_DEP_2) | instskip(NEXT) | instid1(VALU_DEP_2)
	v_floor_f32_e32 v3, v3
	v_mov_b32_e32 v31, v30
	s_delay_alu instid0(VALU_DEP_2) | instskip(SKIP_1) | instid1(VALU_DEP_2)
	v_fma_f32 v5, 0xcf800000, v3, |v1|
	v_cvt_u32_f32_e32 v1, v3
	v_cvt_u32_f32_e32 v3, v5
	s_delay_alu instid0(VALU_DEP_2) | instskip(NEXT) | instid1(VALU_DEP_2)
	v_xor_b32_e32 v35, v1, v30
	v_xor_b32_e32 v34, v3, v30
	s_delay_alu instid0(VALU_DEP_1)
	v_sub_nc_u64_e32 v[30:31], v[34:35], v[30:31]
	s_branch .LBB127_3005
.LBB127_2997:
	s_mov_b32 s16, -1
	s_mov_b32 s18, 0
                                        ; implicit-def: $vgpr30_vgpr31
	s_branch .LBB127_3067
.LBB127_2998:
	s_mov_b32 s19, -1
	s_mov_b32 s18, 0
	s_mov_b32 s16, 0
                                        ; implicit-def: $vgpr30_vgpr31
	s_branch .LBB127_3032
.LBB127_2999:
	s_mov_b32 s19, -1
	s_mov_b32 s18, 0
	s_mov_b32 s16, 0
                                        ; implicit-def: $vgpr30_vgpr31
	s_branch .LBB127_3015
.LBB127_3000:
	s_mov_b32 s19, -1
	s_mov_b32 s18, 0
	s_mov_b32 s16, 0
                                        ; implicit-def: $vgpr30_vgpr31
	s_branch .LBB127_3010
.LBB127_3001:
	s_or_b32 s12, s12, exec_lo
	s_trap 2
	s_cbranch_execz .LBB127_2938
	s_branch .LBB127_2939
.LBB127_3002:
	s_mov_b32 s19, -1
	s_mov_b32 s18, 0
	s_mov_b32 s16, 0
	s_branch .LBB127_3004
.LBB127_3003:
	s_mov_b32 s16, -1
	s_mov_b32 s18, 0
.LBB127_3004:
                                        ; implicit-def: $vgpr30_vgpr31
.LBB127_3005:
	s_and_b32 vcc_lo, exec_lo, s19
	s_cbranch_vccz .LBB127_3009
; %bb.3006:
	s_cmp_eq_u32 s14, 44
	s_cbranch_scc0 .LBB127_3008
; %bb.3007:
	global_load_u8 v1, v[32:33], off
	s_mov_b32 s16, 0
	s_mov_b32 s18, -1
	s_wait_loadcnt 0x0
	v_lshlrev_b32_e32 v3, 23, v1
	v_cmp_ne_u32_e32 vcc_lo, 0, v1
	s_delay_alu instid0(VALU_DEP_2) | instskip(NEXT) | instid1(VALU_DEP_1)
	v_trunc_f32_e32 v3, v3
	v_mul_f32_e64 v5, 0x2f800000, |v3|
	v_ashrrev_i32_e32 v30, 31, v3
	s_delay_alu instid0(VALU_DEP_2) | instskip(NEXT) | instid1(VALU_DEP_2)
	v_floor_f32_e32 v5, v5
	v_mov_b32_e32 v31, v30
	s_delay_alu instid0(VALU_DEP_2) | instskip(SKIP_1) | instid1(VALU_DEP_2)
	v_fma_f32 v7, 0xcf800000, v5, |v3|
	v_cvt_u32_f32_e32 v3, v5
	v_cvt_u32_f32_e32 v5, v7
	s_delay_alu instid0(VALU_DEP_2) | instskip(NEXT) | instid1(VALU_DEP_2)
	v_xor_b32_e32 v35, v3, v30
	v_xor_b32_e32 v34, v5, v30
	s_delay_alu instid0(VALU_DEP_1) | instskip(NEXT) | instid1(VALU_DEP_1)
	v_sub_nc_u64_e32 v[30:31], v[34:35], v[30:31]
	v_dual_cndmask_b32 v31, 0, v31 :: v_dual_cndmask_b32 v30, 0, v30
	s_branch .LBB127_3009
.LBB127_3008:
	s_mov_b32 s16, -1
                                        ; implicit-def: $vgpr30_vgpr31
.LBB127_3009:
	s_mov_b32 s19, 0
.LBB127_3010:
	s_delay_alu instid0(SALU_CYCLE_1)
	s_and_b32 vcc_lo, exec_lo, s19
	s_cbranch_vccz .LBB127_3014
; %bb.3011:
	s_cmp_eq_u32 s14, 29
	s_cbranch_scc0 .LBB127_3013
; %bb.3012:
	global_load_b64 v[30:31], v[32:33], off
	s_mov_b32 s16, 0
	s_mov_b32 s18, -1
	s_branch .LBB127_3014
.LBB127_3013:
	s_mov_b32 s16, -1
                                        ; implicit-def: $vgpr30_vgpr31
.LBB127_3014:
	s_mov_b32 s19, 0
.LBB127_3015:
	s_delay_alu instid0(SALU_CYCLE_1)
	s_and_b32 vcc_lo, exec_lo, s19
	s_cbranch_vccz .LBB127_3031
; %bb.3016:
	s_cmp_lt_i32 s14, 27
	s_cbranch_scc1 .LBB127_3019
; %bb.3017:
	s_cmp_gt_i32 s14, 27
	s_cbranch_scc0 .LBB127_3020
; %bb.3018:
	s_wait_loadcnt 0x0
	global_load_b32 v30, v[32:33], off
	v_mov_b32_e32 v31, 0
	s_mov_b32 s18, 0
	s_branch .LBB127_3021
.LBB127_3019:
	s_mov_b32 s18, -1
                                        ; implicit-def: $vgpr30_vgpr31
	s_branch .LBB127_3024
.LBB127_3020:
	s_mov_b32 s18, -1
                                        ; implicit-def: $vgpr30_vgpr31
.LBB127_3021:
	s_delay_alu instid0(SALU_CYCLE_1)
	s_and_not1_b32 vcc_lo, exec_lo, s18
	s_cbranch_vccnz .LBB127_3023
; %bb.3022:
	global_load_u16 v1, v[32:33], off
	s_mov_b32 s18, 0
	s_wait_loadcnt 0x1
	v_mov_b32_e32 v31, s18
	s_wait_loadcnt 0x0
	v_and_b32_e32 v30, 0xffff, v1
.LBB127_3023:
	s_mov_b32 s18, 0
.LBB127_3024:
	s_delay_alu instid0(SALU_CYCLE_1)
	s_and_not1_b32 vcc_lo, exec_lo, s18
	s_cbranch_vccnz .LBB127_3030
; %bb.3025:
	global_load_u8 v1, v[32:33], off
	s_mov_b32 s19, 0
	s_mov_b32 s18, exec_lo
	s_wait_loadcnt 0x0
	v_cmpx_lt_i16_e32 0x7f, v1
	s_xor_b32 s18, exec_lo, s18
	s_cbranch_execz .LBB127_3042
; %bb.3026:
	v_cmp_ne_u16_e32 vcc_lo, 0x80, v1
	s_and_b32 s19, vcc_lo, exec_lo
	s_and_not1_saveexec_b32 s18, s18
	s_cbranch_execnz .LBB127_3043
.LBB127_3027:
	s_or_b32 exec_lo, exec_lo, s18
	v_mov_b64_e32 v[30:31], 0
	s_and_saveexec_b32 s18, s19
	s_cbranch_execz .LBB127_3029
.LBB127_3028:
	v_and_b32_e32 v3, 0xffff, v1
	s_delay_alu instid0(VALU_DEP_1) | instskip(SKIP_1) | instid1(VALU_DEP_2)
	v_dual_lshlrev_b32 v1, 24, v1 :: v_dual_bitop2_b32 v5, 7, v3 bitop3:0x40
	v_bfe_u32 v15, v3, 3, 4
	v_and_b32_e32 v1, 0x80000000, v1
	s_delay_alu instid0(VALU_DEP_3) | instskip(NEXT) | instid1(VALU_DEP_3)
	v_clz_i32_u32_e32 v7, v5
	v_cmp_eq_u32_e32 vcc_lo, 0, v15
	s_delay_alu instid0(VALU_DEP_2) | instskip(NEXT) | instid1(VALU_DEP_1)
	v_min_u32_e32 v7, 32, v7
	v_subrev_nc_u32_e32 v11, 28, v7
	v_sub_nc_u32_e32 v7, 29, v7
	s_delay_alu instid0(VALU_DEP_2) | instskip(NEXT) | instid1(VALU_DEP_2)
	v_lshlrev_b32_e32 v3, v11, v3
	v_cndmask_b32_e32 v7, v15, v7, vcc_lo
	s_delay_alu instid0(VALU_DEP_2) | instskip(NEXT) | instid1(VALU_DEP_1)
	v_and_b32_e32 v3, 7, v3
	v_cndmask_b32_e32 v3, v5, v3, vcc_lo
	s_delay_alu instid0(VALU_DEP_3) | instskip(NEXT) | instid1(VALU_DEP_2)
	v_lshl_add_u32 v5, v7, 23, 0x3b800000
	v_lshlrev_b32_e32 v3, 20, v3
	s_delay_alu instid0(VALU_DEP_1) | instskip(NEXT) | instid1(VALU_DEP_1)
	v_or3_b32 v1, v1, v5, v3
	v_trunc_f32_e32 v1, v1
	s_delay_alu instid0(VALU_DEP_1) | instskip(SKIP_1) | instid1(VALU_DEP_2)
	v_mul_f32_e64 v3, 0x2f800000, |v1|
	v_ashrrev_i32_e32 v30, 31, v1
	v_floor_f32_e32 v3, v3
	s_delay_alu instid0(VALU_DEP_2) | instskip(NEXT) | instid1(VALU_DEP_2)
	v_mov_b32_e32 v31, v30
	v_fma_f32 v5, 0xcf800000, v3, |v1|
	v_cvt_u32_f32_e32 v1, v3
	s_delay_alu instid0(VALU_DEP_2) | instskip(NEXT) | instid1(VALU_DEP_2)
	v_cvt_u32_f32_e32 v3, v5
	v_xor_b32_e32 v35, v1, v30
	s_delay_alu instid0(VALU_DEP_2) | instskip(NEXT) | instid1(VALU_DEP_1)
	v_xor_b32_e32 v34, v3, v30
	v_sub_nc_u64_e32 v[30:31], v[34:35], v[30:31]
.LBB127_3029:
	s_or_b32 exec_lo, exec_lo, s18
.LBB127_3030:
	s_mov_b32 s18, -1
.LBB127_3031:
	s_mov_b32 s19, 0
.LBB127_3032:
	s_delay_alu instid0(SALU_CYCLE_1)
	s_and_b32 vcc_lo, exec_lo, s19
	s_cbranch_vccz .LBB127_3063
; %bb.3033:
	s_cmp_gt_i32 s14, 22
	s_cbranch_scc0 .LBB127_3041
; %bb.3034:
	s_cmp_lt_i32 s14, 24
	s_cbranch_scc1 .LBB127_3044
; %bb.3035:
	s_cmp_gt_i32 s14, 24
	s_cbranch_scc0 .LBB127_3045
; %bb.3036:
	global_load_u8 v1, v[32:33], off
	s_mov_b32 s18, 0
	s_mov_b32 s17, exec_lo
	s_wait_loadcnt 0x0
	v_cmpx_lt_i16_e32 0x7f, v1
	s_xor_b32 s17, exec_lo, s17
	s_cbranch_execz .LBB127_3057
; %bb.3037:
	v_cmp_ne_u16_e32 vcc_lo, 0x80, v1
	s_and_b32 s18, vcc_lo, exec_lo
	s_and_not1_saveexec_b32 s17, s17
	s_cbranch_execnz .LBB127_3058
.LBB127_3038:
	s_or_b32 exec_lo, exec_lo, s17
	v_mov_b64_e32 v[30:31], 0
	s_and_saveexec_b32 s17, s18
	s_cbranch_execz .LBB127_3040
.LBB127_3039:
	v_and_b32_e32 v3, 0xffff, v1
	s_delay_alu instid0(VALU_DEP_1) | instskip(SKIP_1) | instid1(VALU_DEP_2)
	v_dual_lshlrev_b32 v1, 24, v1 :: v_dual_bitop2_b32 v5, 3, v3 bitop3:0x40
	v_bfe_u32 v15, v3, 2, 5
	v_and_b32_e32 v1, 0x80000000, v1
	s_delay_alu instid0(VALU_DEP_3) | instskip(NEXT) | instid1(VALU_DEP_3)
	v_clz_i32_u32_e32 v7, v5
	v_cmp_eq_u32_e32 vcc_lo, 0, v15
	s_delay_alu instid0(VALU_DEP_2) | instskip(NEXT) | instid1(VALU_DEP_1)
	v_min_u32_e32 v7, 32, v7
	v_subrev_nc_u32_e32 v11, 29, v7
	v_sub_nc_u32_e32 v7, 30, v7
	s_delay_alu instid0(VALU_DEP_2) | instskip(NEXT) | instid1(VALU_DEP_2)
	v_lshlrev_b32_e32 v3, v11, v3
	v_cndmask_b32_e32 v7, v15, v7, vcc_lo
	s_delay_alu instid0(VALU_DEP_2) | instskip(NEXT) | instid1(VALU_DEP_1)
	v_and_b32_e32 v3, 3, v3
	v_cndmask_b32_e32 v3, v5, v3, vcc_lo
	s_delay_alu instid0(VALU_DEP_3) | instskip(NEXT) | instid1(VALU_DEP_2)
	v_lshl_add_u32 v5, v7, 23, 0x37800000
	v_lshlrev_b32_e32 v3, 21, v3
	s_delay_alu instid0(VALU_DEP_1) | instskip(NEXT) | instid1(VALU_DEP_1)
	v_or3_b32 v1, v1, v5, v3
	v_trunc_f32_e32 v1, v1
	s_delay_alu instid0(VALU_DEP_1) | instskip(SKIP_1) | instid1(VALU_DEP_2)
	v_mul_f32_e64 v3, 0x2f800000, |v1|
	v_ashrrev_i32_e32 v30, 31, v1
	v_floor_f32_e32 v3, v3
	s_delay_alu instid0(VALU_DEP_2) | instskip(NEXT) | instid1(VALU_DEP_2)
	v_mov_b32_e32 v31, v30
	v_fma_f32 v5, 0xcf800000, v3, |v1|
	v_cvt_u32_f32_e32 v1, v3
	s_delay_alu instid0(VALU_DEP_2) | instskip(NEXT) | instid1(VALU_DEP_2)
	v_cvt_u32_f32_e32 v3, v5
	v_xor_b32_e32 v35, v1, v30
	s_delay_alu instid0(VALU_DEP_2) | instskip(NEXT) | instid1(VALU_DEP_1)
	v_xor_b32_e32 v34, v3, v30
	v_sub_nc_u64_e32 v[30:31], v[34:35], v[30:31]
.LBB127_3040:
	s_or_b32 exec_lo, exec_lo, s17
	s_mov_b32 s17, 0
	s_branch .LBB127_3046
.LBB127_3041:
	s_mov_b32 s17, -1
                                        ; implicit-def: $vgpr30_vgpr31
	s_branch .LBB127_3052
.LBB127_3042:
	s_and_not1_saveexec_b32 s18, s18
	s_cbranch_execz .LBB127_3027
.LBB127_3043:
	v_cmp_ne_u16_e32 vcc_lo, 0, v1
	s_and_not1_b32 s19, s19, exec_lo
	s_and_b32 s20, vcc_lo, exec_lo
	s_delay_alu instid0(SALU_CYCLE_1)
	s_or_b32 s19, s19, s20
	s_or_b32 exec_lo, exec_lo, s18
	v_mov_b64_e32 v[30:31], 0
	s_and_saveexec_b32 s18, s19
	s_cbranch_execnz .LBB127_3028
	s_branch .LBB127_3029
.LBB127_3044:
	s_mov_b32 s17, -1
                                        ; implicit-def: $vgpr30_vgpr31
	s_branch .LBB127_3049
.LBB127_3045:
	s_mov_b32 s17, -1
                                        ; implicit-def: $vgpr30_vgpr31
.LBB127_3046:
	s_delay_alu instid0(SALU_CYCLE_1)
	s_and_b32 vcc_lo, exec_lo, s17
	s_cbranch_vccz .LBB127_3048
; %bb.3047:
	global_load_u8 v1, v[32:33], off
	s_wait_loadcnt 0x0
	v_lshlrev_b32_e32 v1, 24, v1
	s_delay_alu instid0(VALU_DEP_1) | instskip(NEXT) | instid1(VALU_DEP_1)
	v_and_b32_e32 v3, 0x7f000000, v1
	v_clz_i32_u32_e32 v5, v3
	v_add_nc_u32_e32 v11, 0x1000000, v3
	v_cmp_ne_u32_e32 vcc_lo, 0, v3
	s_delay_alu instid0(VALU_DEP_3) | instskip(NEXT) | instid1(VALU_DEP_1)
	v_min_u32_e32 v5, 32, v5
	v_sub_nc_u32_e64 v5, v5, 4 clamp
	s_delay_alu instid0(VALU_DEP_1) | instskip(NEXT) | instid1(VALU_DEP_1)
	v_dual_lshlrev_b32 v7, v5, v3 :: v_dual_lshlrev_b32 v5, 23, v5
	v_lshrrev_b32_e32 v7, 4, v7
	s_delay_alu instid0(VALU_DEP_1) | instskip(NEXT) | instid1(VALU_DEP_1)
	v_dual_sub_nc_u32 v5, v7, v5 :: v_dual_ashrrev_i32 v7, 8, v11
	v_add_nc_u32_e32 v5, 0x3c000000, v5
	s_delay_alu instid0(VALU_DEP_1) | instskip(NEXT) | instid1(VALU_DEP_1)
	v_and_or_b32 v5, 0x7f800000, v7, v5
	v_cndmask_b32_e32 v3, 0, v5, vcc_lo
	s_delay_alu instid0(VALU_DEP_1) | instskip(NEXT) | instid1(VALU_DEP_1)
	v_and_or_b32 v1, 0x80000000, v1, v3
	v_trunc_f32_e32 v1, v1
	s_delay_alu instid0(VALU_DEP_1) | instskip(SKIP_1) | instid1(VALU_DEP_2)
	v_mul_f32_e64 v3, 0x2f800000, |v1|
	v_ashrrev_i32_e32 v30, 31, v1
	v_floor_f32_e32 v3, v3
	s_delay_alu instid0(VALU_DEP_2) | instskip(NEXT) | instid1(VALU_DEP_2)
	v_mov_b32_e32 v31, v30
	v_fma_f32 v5, 0xcf800000, v3, |v1|
	v_cvt_u32_f32_e32 v1, v3
	s_delay_alu instid0(VALU_DEP_2) | instskip(NEXT) | instid1(VALU_DEP_2)
	v_cvt_u32_f32_e32 v3, v5
	v_xor_b32_e32 v35, v1, v30
	s_delay_alu instid0(VALU_DEP_2) | instskip(NEXT) | instid1(VALU_DEP_1)
	v_xor_b32_e32 v34, v3, v30
	v_sub_nc_u64_e32 v[30:31], v[34:35], v[30:31]
.LBB127_3048:
	s_mov_b32 s17, 0
.LBB127_3049:
	s_delay_alu instid0(SALU_CYCLE_1)
	s_and_not1_b32 vcc_lo, exec_lo, s17
	s_cbranch_vccnz .LBB127_3051
; %bb.3050:
	global_load_u8 v1, v[32:33], off
	s_wait_loadcnt 0x0
	v_lshlrev_b32_e32 v3, 25, v1
	v_lshlrev_b16 v1, 8, v1
	s_delay_alu instid0(VALU_DEP_1) | instskip(SKIP_1) | instid1(VALU_DEP_2)
	v_and_or_b32 v7, 0x7f00, v1, 0.5
	v_bfe_i32 v1, v1, 0, 16
	v_add_f32_e32 v7, -0.5, v7
	v_lshrrev_b32_e32 v5, 4, v3
	v_cmp_gt_u32_e32 vcc_lo, 0x8000000, v3
	s_delay_alu instid0(VALU_DEP_2) | instskip(NEXT) | instid1(VALU_DEP_1)
	v_or_b32_e32 v5, 0x70000000, v5
	v_mul_f32_e32 v5, 0x7800000, v5
	s_delay_alu instid0(VALU_DEP_1) | instskip(NEXT) | instid1(VALU_DEP_1)
	v_cndmask_b32_e32 v3, v5, v7, vcc_lo
	v_and_or_b32 v1, 0x80000000, v1, v3
	s_delay_alu instid0(VALU_DEP_1) | instskip(NEXT) | instid1(VALU_DEP_1)
	v_trunc_f32_e32 v1, v1
	v_mul_f32_e64 v3, 0x2f800000, |v1|
	v_ashrrev_i32_e32 v30, 31, v1
	s_delay_alu instid0(VALU_DEP_2) | instskip(NEXT) | instid1(VALU_DEP_2)
	v_floor_f32_e32 v3, v3
	v_mov_b32_e32 v31, v30
	s_delay_alu instid0(VALU_DEP_2) | instskip(SKIP_1) | instid1(VALU_DEP_2)
	v_fma_f32 v5, 0xcf800000, v3, |v1|
	v_cvt_u32_f32_e32 v1, v3
	v_cvt_u32_f32_e32 v3, v5
	s_delay_alu instid0(VALU_DEP_2) | instskip(NEXT) | instid1(VALU_DEP_2)
	v_xor_b32_e32 v35, v1, v30
	v_xor_b32_e32 v34, v3, v30
	s_delay_alu instid0(VALU_DEP_1)
	v_sub_nc_u64_e32 v[30:31], v[34:35], v[30:31]
.LBB127_3051:
	s_mov_b32 s17, 0
	s_mov_b32 s18, -1
.LBB127_3052:
	s_and_not1_b32 vcc_lo, exec_lo, s17
	s_mov_b32 s17, 0
	s_cbranch_vccnz .LBB127_3063
; %bb.3053:
	s_cmp_gt_i32 s14, 14
	s_cbranch_scc0 .LBB127_3056
; %bb.3054:
	s_cmp_eq_u32 s14, 15
	s_cbranch_scc0 .LBB127_3059
; %bb.3055:
	global_load_u16 v1, v[32:33], off
	s_mov_b32 s16, 0
	s_mov_b32 s18, -1
	s_wait_loadcnt 0x0
	v_lshlrev_b32_e32 v1, 16, v1
	s_delay_alu instid0(VALU_DEP_1) | instskip(NEXT) | instid1(VALU_DEP_1)
	v_trunc_f32_e32 v1, v1
	v_mul_f32_e64 v3, 0x2f800000, |v1|
	v_ashrrev_i32_e32 v30, 31, v1
	s_delay_alu instid0(VALU_DEP_2) | instskip(NEXT) | instid1(VALU_DEP_2)
	v_floor_f32_e32 v3, v3
	v_mov_b32_e32 v31, v30
	s_delay_alu instid0(VALU_DEP_2) | instskip(SKIP_1) | instid1(VALU_DEP_2)
	v_fma_f32 v5, 0xcf800000, v3, |v1|
	v_cvt_u32_f32_e32 v1, v3
	v_cvt_u32_f32_e32 v3, v5
	s_delay_alu instid0(VALU_DEP_2) | instskip(NEXT) | instid1(VALU_DEP_2)
	v_xor_b32_e32 v35, v1, v30
	v_xor_b32_e32 v34, v3, v30
	s_delay_alu instid0(VALU_DEP_1)
	v_sub_nc_u64_e32 v[30:31], v[34:35], v[30:31]
	s_branch .LBB127_3061
.LBB127_3056:
	s_mov_b32 s17, -1
	s_branch .LBB127_3060
.LBB127_3057:
	s_and_not1_saveexec_b32 s17, s17
	s_cbranch_execz .LBB127_3038
.LBB127_3058:
	v_cmp_ne_u16_e32 vcc_lo, 0, v1
	s_and_not1_b32 s18, s18, exec_lo
	s_and_b32 s19, vcc_lo, exec_lo
	s_delay_alu instid0(SALU_CYCLE_1)
	s_or_b32 s18, s18, s19
	s_or_b32 exec_lo, exec_lo, s17
	v_mov_b64_e32 v[30:31], 0
	s_and_saveexec_b32 s17, s18
	s_cbranch_execnz .LBB127_3039
	s_branch .LBB127_3040
.LBB127_3059:
	s_mov_b32 s16, -1
.LBB127_3060:
                                        ; implicit-def: $vgpr30_vgpr31
.LBB127_3061:
	s_and_b32 vcc_lo, exec_lo, s17
	s_mov_b32 s17, 0
	s_cbranch_vccz .LBB127_3063
; %bb.3062:
	s_cmp_lg_u32 s14, 11
	s_mov_b32 s17, -1
	s_cselect_b32 s16, -1, 0
.LBB127_3063:
	s_delay_alu instid0(SALU_CYCLE_1)
	s_and_b32 vcc_lo, exec_lo, s16
	s_cbranch_vccnz .LBB127_3128
; %bb.3064:
	s_and_not1_b32 vcc_lo, exec_lo, s17
	s_cbranch_vccnz .LBB127_3066
.LBB127_3065:
	global_load_u8 v1, v[32:33], off
	s_mov_b32 s16, 0
	s_mov_b32 s18, -1
	s_wait_loadcnt 0x1
	v_mov_b32_e32 v31, s16
	s_wait_loadcnt 0x0
	v_cmp_ne_u16_e32 vcc_lo, 0, v1
	v_cndmask_b32_e64 v30, 0, 1, vcc_lo
.LBB127_3066:
	s_mov_b32 s16, 0
.LBB127_3067:
	s_delay_alu instid0(SALU_CYCLE_1)
	s_and_b32 vcc_lo, exec_lo, s16
	s_cbranch_vccz .LBB127_3116
; %bb.3068:
	s_cmp_lt_i32 s14, 5
	s_cbranch_scc1 .LBB127_3073
; %bb.3069:
	s_cmp_lt_i32 s14, 8
	s_cbranch_scc1 .LBB127_3074
	;; [unrolled: 3-line block ×3, first 2 shown]
; %bb.3071:
	s_cmp_gt_i32 s14, 9
	s_cbranch_scc0 .LBB127_3076
; %bb.3072:
	s_wait_loadcnt 0x0
	global_load_b64 v[30:31], v[32:33], off
	s_mov_b32 s16, 0
	s_wait_loadcnt 0x0
	v_trunc_f64_e32 v[30:31], v[30:31]
	s_delay_alu instid0(VALU_DEP_1) | instskip(NEXT) | instid1(VALU_DEP_1)
	v_ldexp_f64 v[34:35], v[30:31], 0xffffffe0
	v_floor_f64_e32 v[34:35], v[34:35]
	s_delay_alu instid0(VALU_DEP_1) | instskip(SKIP_1) | instid1(VALU_DEP_2)
	v_fmamk_f64 v[36:37], v[34:35], 0xc1f00000, v[30:31]
	v_cvt_i32_f64_e32 v31, v[34:35]
	v_cvt_u32_f64_e32 v30, v[36:37]
	s_branch .LBB127_3077
.LBB127_3073:
	s_mov_b32 s16, -1
                                        ; implicit-def: $vgpr30_vgpr31
	s_branch .LBB127_3095
.LBB127_3074:
	s_mov_b32 s16, -1
                                        ; implicit-def: $vgpr30_vgpr31
	s_branch .LBB127_3083
.LBB127_3075:
	s_mov_b32 s16, -1
                                        ; implicit-def: $vgpr30_vgpr31
	s_branch .LBB127_3080
.LBB127_3076:
	s_mov_b32 s16, -1
                                        ; implicit-def: $vgpr30_vgpr31
.LBB127_3077:
	s_delay_alu instid0(SALU_CYCLE_1)
	s_and_not1_b32 vcc_lo, exec_lo, s16
	s_cbranch_vccnz .LBB127_3079
; %bb.3078:
	global_load_b32 v1, v[32:33], off
	s_wait_loadcnt 0x0
	v_trunc_f32_e32 v1, v1
	s_delay_alu instid0(VALU_DEP_1) | instskip(SKIP_1) | instid1(VALU_DEP_2)
	v_mul_f32_e64 v3, 0x2f800000, |v1|
	v_ashrrev_i32_e32 v30, 31, v1
	v_floor_f32_e32 v3, v3
	s_delay_alu instid0(VALU_DEP_1) | instskip(SKIP_1) | instid1(VALU_DEP_4)
	v_fma_f32 v5, 0xcf800000, v3, |v1|
	v_cvt_u32_f32_e32 v1, v3
	v_mov_b32_e32 v31, v30
	s_delay_alu instid0(VALU_DEP_3) | instskip(NEXT) | instid1(VALU_DEP_3)
	v_cvt_u32_f32_e32 v3, v5
	v_xor_b32_e32 v35, v1, v30
	s_delay_alu instid0(VALU_DEP_2) | instskip(NEXT) | instid1(VALU_DEP_1)
	v_xor_b32_e32 v34, v3, v30
	v_sub_nc_u64_e32 v[30:31], v[34:35], v[30:31]
.LBB127_3079:
	s_mov_b32 s16, 0
.LBB127_3080:
	s_delay_alu instid0(SALU_CYCLE_1)
	s_and_not1_b32 vcc_lo, exec_lo, s16
	s_cbranch_vccnz .LBB127_3082
; %bb.3081:
	global_load_b32 v1, v[32:33], off
	s_wait_loadcnt 0x0
	v_cvt_f32_f16_e32 v1, v1
	s_delay_alu instid0(VALU_DEP_1) | instskip(NEXT) | instid1(VALU_DEP_1)
	v_cvt_i32_f32_e32 v30, v1
	v_ashrrev_i32_e32 v31, 31, v30
.LBB127_3082:
	s_mov_b32 s16, 0
.LBB127_3083:
	s_delay_alu instid0(SALU_CYCLE_1)
	s_and_not1_b32 vcc_lo, exec_lo, s16
	s_cbranch_vccnz .LBB127_3094
; %bb.3084:
	s_cmp_lt_i32 s14, 6
	s_cbranch_scc1 .LBB127_3087
; %bb.3085:
	s_cmp_gt_i32 s14, 6
	s_cbranch_scc0 .LBB127_3088
; %bb.3086:
	s_wait_loadcnt 0x0
	global_load_b64 v[30:31], v[32:33], off
	s_mov_b32 s16, 0
	s_wait_loadcnt 0x0
	v_trunc_f64_e32 v[30:31], v[30:31]
	s_delay_alu instid0(VALU_DEP_1) | instskip(NEXT) | instid1(VALU_DEP_1)
	v_ldexp_f64 v[34:35], v[30:31], 0xffffffe0
	v_floor_f64_e32 v[34:35], v[34:35]
	s_delay_alu instid0(VALU_DEP_1) | instskip(SKIP_1) | instid1(VALU_DEP_2)
	v_fmamk_f64 v[36:37], v[34:35], 0xc1f00000, v[30:31]
	v_cvt_i32_f64_e32 v31, v[34:35]
	v_cvt_u32_f64_e32 v30, v[36:37]
	s_branch .LBB127_3089
.LBB127_3087:
	s_mov_b32 s16, -1
                                        ; implicit-def: $vgpr30_vgpr31
	s_branch .LBB127_3092
.LBB127_3088:
	s_mov_b32 s16, -1
                                        ; implicit-def: $vgpr30_vgpr31
.LBB127_3089:
	s_delay_alu instid0(SALU_CYCLE_1)
	s_and_not1_b32 vcc_lo, exec_lo, s16
	s_cbranch_vccnz .LBB127_3091
; %bb.3090:
	global_load_b32 v1, v[32:33], off
	s_wait_loadcnt 0x0
	v_trunc_f32_e32 v1, v1
	s_delay_alu instid0(VALU_DEP_1) | instskip(SKIP_1) | instid1(VALU_DEP_2)
	v_mul_f32_e64 v3, 0x2f800000, |v1|
	v_ashrrev_i32_e32 v30, 31, v1
	v_floor_f32_e32 v3, v3
	s_delay_alu instid0(VALU_DEP_1) | instskip(SKIP_1) | instid1(VALU_DEP_4)
	v_fma_f32 v5, 0xcf800000, v3, |v1|
	v_cvt_u32_f32_e32 v1, v3
	v_mov_b32_e32 v31, v30
	s_delay_alu instid0(VALU_DEP_3) | instskip(NEXT) | instid1(VALU_DEP_3)
	v_cvt_u32_f32_e32 v3, v5
	v_xor_b32_e32 v35, v1, v30
	s_delay_alu instid0(VALU_DEP_2) | instskip(NEXT) | instid1(VALU_DEP_1)
	v_xor_b32_e32 v34, v3, v30
	v_sub_nc_u64_e32 v[30:31], v[34:35], v[30:31]
.LBB127_3091:
	s_mov_b32 s16, 0
.LBB127_3092:
	s_delay_alu instid0(SALU_CYCLE_1)
	s_and_not1_b32 vcc_lo, exec_lo, s16
	s_cbranch_vccnz .LBB127_3094
; %bb.3093:
	global_load_u16 v1, v[32:33], off
	s_wait_loadcnt 0x0
	v_cvt_f32_f16_e32 v1, v1
	s_delay_alu instid0(VALU_DEP_1) | instskip(NEXT) | instid1(VALU_DEP_1)
	v_cvt_i32_f32_e32 v30, v1
	v_ashrrev_i32_e32 v31, 31, v30
.LBB127_3094:
	s_mov_b32 s16, 0
.LBB127_3095:
	s_delay_alu instid0(SALU_CYCLE_1)
	s_and_not1_b32 vcc_lo, exec_lo, s16
	s_cbranch_vccnz .LBB127_3115
; %bb.3096:
	s_cmp_lt_i32 s14, 2
	s_cbranch_scc1 .LBB127_3100
; %bb.3097:
	s_cmp_lt_i32 s14, 3
	s_cbranch_scc1 .LBB127_3101
; %bb.3098:
	s_cmp_gt_i32 s14, 3
	s_cbranch_scc0 .LBB127_3102
; %bb.3099:
	s_wait_loadcnt 0x0
	global_load_b64 v[30:31], v[32:33], off
	s_mov_b32 s16, 0
	s_branch .LBB127_3103
.LBB127_3100:
	s_mov_b32 s16, -1
                                        ; implicit-def: $vgpr30_vgpr31
	s_branch .LBB127_3109
.LBB127_3101:
	s_mov_b32 s16, -1
                                        ; implicit-def: $vgpr30_vgpr31
	s_branch .LBB127_3106
.LBB127_3102:
	s_mov_b32 s16, -1
                                        ; implicit-def: $vgpr30_vgpr31
.LBB127_3103:
	s_delay_alu instid0(SALU_CYCLE_1)
	s_and_not1_b32 vcc_lo, exec_lo, s16
	s_cbranch_vccnz .LBB127_3105
; %bb.3104:
	s_wait_loadcnt 0x0
	global_load_b32 v30, v[32:33], off
	s_wait_loadcnt 0x0
	v_ashrrev_i32_e32 v31, 31, v30
.LBB127_3105:
	s_mov_b32 s16, 0
.LBB127_3106:
	s_delay_alu instid0(SALU_CYCLE_1)
	s_and_not1_b32 vcc_lo, exec_lo, s16
	s_cbranch_vccnz .LBB127_3108
; %bb.3107:
	global_load_u16 v1, v[32:33], off
	s_wait_loadcnt 0x0
	v_bfe_i32 v30, v1, 0, 16
	s_delay_alu instid0(VALU_DEP_1)
	v_ashrrev_i32_e32 v31, 31, v30
.LBB127_3108:
	s_mov_b32 s16, 0
.LBB127_3109:
	s_delay_alu instid0(SALU_CYCLE_1)
	s_and_not1_b32 vcc_lo, exec_lo, s16
	s_cbranch_vccnz .LBB127_3115
; %bb.3110:
	s_cmp_gt_i32 s14, 0
	s_mov_b32 s16, 0
	s_cbranch_scc0 .LBB127_3112
; %bb.3111:
	global_load_i8 v1, v[32:33], off
	s_wait_loadcnt 0x0
	v_bfe_i32 v30, v1, 0, 16
	s_delay_alu instid0(VALU_DEP_1)
	v_ashrrev_i32_e32 v31, 31, v30
	s_branch .LBB127_3113
.LBB127_3112:
	s_mov_b32 s16, -1
                                        ; implicit-def: $vgpr30_vgpr31
.LBB127_3113:
	s_delay_alu instid0(SALU_CYCLE_1)
	s_and_not1_b32 vcc_lo, exec_lo, s16
	s_cbranch_vccnz .LBB127_3115
; %bb.3114:
	global_load_u8 v1, v[32:33], off
	s_mov_b32 s16, 0
	s_wait_loadcnt 0x1
	v_mov_b32_e32 v31, s16
	s_wait_loadcnt 0x0
	v_and_b32_e32 v30, 0xffff, v1
.LBB127_3115:
	s_mov_b32 s18, -1
.LBB127_3116:
	s_delay_alu instid0(SALU_CYCLE_1)
	s_and_not1_b32 vcc_lo, exec_lo, s18
	s_cbranch_vccnz .LBB127_4058
; %bb.3117:
	v_mov_b32_e32 v25, 0
	s_cmp_lt_i32 s15, 11
	s_wait_xcnt 0x0
	s_delay_alu instid0(VALU_DEP_1)
	v_add_nc_u64_e32 v[32:33], s[8:9], v[24:25]
	s_cbranch_scc1 .LBB127_3124
; %bb.3118:
	s_cmp_gt_i32 s15, 25
	s_mov_b32 s17, 0
	s_cbranch_scc0 .LBB127_3125
; %bb.3119:
	s_cmp_gt_i32 s15, 28
	s_cbranch_scc0 .LBB127_3126
; %bb.3120:
	s_cmp_gt_i32 s15, 43
	s_cbranch_scc0 .LBB127_3127
; %bb.3121:
	s_cmp_gt_i32 s15, 45
	s_cbranch_scc0 .LBB127_3129
; %bb.3122:
	s_cmp_eq_u32 s15, 46
	s_mov_b32 s19, 0
	s_cbranch_scc0 .LBB127_3130
; %bb.3123:
	global_load_b32 v1, v[32:33], off
	s_mov_b32 s16, 0
	s_mov_b32 s18, -1
	s_wait_loadcnt 0x0
	v_lshlrev_b32_e32 v1, 16, v1
	s_delay_alu instid0(VALU_DEP_1) | instskip(NEXT) | instid1(VALU_DEP_1)
	v_trunc_f32_e32 v1, v1
	v_mul_f32_e64 v3, 0x2f800000, |v1|
	v_ashrrev_i32_e32 v24, 31, v1
	s_delay_alu instid0(VALU_DEP_2) | instskip(NEXT) | instid1(VALU_DEP_2)
	v_floor_f32_e32 v3, v3
	v_mov_b32_e32 v25, v24
	s_delay_alu instid0(VALU_DEP_2) | instskip(SKIP_1) | instid1(VALU_DEP_2)
	v_fma_f32 v5, 0xcf800000, v3, |v1|
	v_cvt_u32_f32_e32 v1, v3
	v_cvt_u32_f32_e32 v3, v5
	s_delay_alu instid0(VALU_DEP_2) | instskip(NEXT) | instid1(VALU_DEP_2)
	v_xor_b32_e32 v35, v1, v24
	v_xor_b32_e32 v34, v3, v24
	s_delay_alu instid0(VALU_DEP_1)
	v_sub_nc_u64_e32 v[24:25], v[34:35], v[24:25]
	s_branch .LBB127_3132
.LBB127_3124:
	s_mov_b32 s16, -1
	s_mov_b32 s18, 0
                                        ; implicit-def: $vgpr24_vgpr25
	s_branch .LBB127_3194
.LBB127_3125:
	s_mov_b32 s19, -1
	s_mov_b32 s18, 0
	s_mov_b32 s16, 0
                                        ; implicit-def: $vgpr24_vgpr25
	s_branch .LBB127_3159
.LBB127_3126:
	s_mov_b32 s19, -1
	s_mov_b32 s18, 0
	s_mov_b32 s16, 0
                                        ; implicit-def: $vgpr24_vgpr25
	s_branch .LBB127_3142
.LBB127_3127:
	s_mov_b32 s19, -1
	s_mov_b32 s18, 0
	s_mov_b32 s16, 0
                                        ; implicit-def: $vgpr24_vgpr25
	s_branch .LBB127_3137
.LBB127_3128:
	s_or_b32 s12, s12, exec_lo
	s_trap 2
	s_cbranch_execz .LBB127_3065
	s_branch .LBB127_3066
.LBB127_3129:
	s_mov_b32 s19, -1
	s_mov_b32 s18, 0
	s_mov_b32 s16, 0
	s_branch .LBB127_3131
.LBB127_3130:
	s_mov_b32 s16, -1
	s_mov_b32 s18, 0
.LBB127_3131:
                                        ; implicit-def: $vgpr24_vgpr25
.LBB127_3132:
	s_and_b32 vcc_lo, exec_lo, s19
	s_cbranch_vccz .LBB127_3136
; %bb.3133:
	s_cmp_eq_u32 s15, 44
	s_cbranch_scc0 .LBB127_3135
; %bb.3134:
	global_load_u8 v1, v[32:33], off
	s_mov_b32 s16, 0
	s_mov_b32 s18, -1
	s_wait_loadcnt 0x0
	v_lshlrev_b32_e32 v3, 23, v1
	v_cmp_ne_u32_e32 vcc_lo, 0, v1
	s_delay_alu instid0(VALU_DEP_2) | instskip(NEXT) | instid1(VALU_DEP_1)
	v_trunc_f32_e32 v3, v3
	v_mul_f32_e64 v5, 0x2f800000, |v3|
	v_ashrrev_i32_e32 v24, 31, v3
	s_delay_alu instid0(VALU_DEP_2) | instskip(NEXT) | instid1(VALU_DEP_2)
	v_floor_f32_e32 v5, v5
	v_mov_b32_e32 v25, v24
	s_delay_alu instid0(VALU_DEP_2) | instskip(SKIP_1) | instid1(VALU_DEP_2)
	v_fma_f32 v7, 0xcf800000, v5, |v3|
	v_cvt_u32_f32_e32 v3, v5
	v_cvt_u32_f32_e32 v5, v7
	s_delay_alu instid0(VALU_DEP_2) | instskip(NEXT) | instid1(VALU_DEP_2)
	v_xor_b32_e32 v35, v3, v24
	v_xor_b32_e32 v34, v5, v24
	s_delay_alu instid0(VALU_DEP_1) | instskip(NEXT) | instid1(VALU_DEP_1)
	v_sub_nc_u64_e32 v[24:25], v[34:35], v[24:25]
	v_dual_cndmask_b32 v25, 0, v25 :: v_dual_cndmask_b32 v24, 0, v24
	s_branch .LBB127_3136
.LBB127_3135:
	s_mov_b32 s16, -1
                                        ; implicit-def: $vgpr24_vgpr25
.LBB127_3136:
	s_mov_b32 s19, 0
.LBB127_3137:
	s_delay_alu instid0(SALU_CYCLE_1)
	s_and_b32 vcc_lo, exec_lo, s19
	s_cbranch_vccz .LBB127_3141
; %bb.3138:
	s_cmp_eq_u32 s15, 29
	s_cbranch_scc0 .LBB127_3140
; %bb.3139:
	global_load_b64 v[24:25], v[32:33], off
	s_mov_b32 s16, 0
	s_mov_b32 s18, -1
	s_branch .LBB127_3141
.LBB127_3140:
	s_mov_b32 s16, -1
                                        ; implicit-def: $vgpr24_vgpr25
.LBB127_3141:
	s_mov_b32 s19, 0
.LBB127_3142:
	s_delay_alu instid0(SALU_CYCLE_1)
	s_and_b32 vcc_lo, exec_lo, s19
	s_cbranch_vccz .LBB127_3158
; %bb.3143:
	s_cmp_lt_i32 s15, 27
	s_cbranch_scc1 .LBB127_3146
; %bb.3144:
	s_cmp_gt_i32 s15, 27
	s_cbranch_scc0 .LBB127_3147
; %bb.3145:
	s_wait_loadcnt 0x0
	global_load_b32 v24, v[32:33], off
	v_mov_b32_e32 v25, 0
	s_mov_b32 s18, 0
	s_branch .LBB127_3148
.LBB127_3146:
	s_mov_b32 s18, -1
                                        ; implicit-def: $vgpr24_vgpr25
	s_branch .LBB127_3151
.LBB127_3147:
	s_mov_b32 s18, -1
                                        ; implicit-def: $vgpr24_vgpr25
.LBB127_3148:
	s_delay_alu instid0(SALU_CYCLE_1)
	s_and_not1_b32 vcc_lo, exec_lo, s18
	s_cbranch_vccnz .LBB127_3150
; %bb.3149:
	global_load_u16 v1, v[32:33], off
	s_mov_b32 s18, 0
	s_wait_loadcnt 0x1
	v_mov_b32_e32 v25, s18
	s_wait_loadcnt 0x0
	v_and_b32_e32 v24, 0xffff, v1
.LBB127_3150:
	s_mov_b32 s18, 0
.LBB127_3151:
	s_delay_alu instid0(SALU_CYCLE_1)
	s_and_not1_b32 vcc_lo, exec_lo, s18
	s_cbranch_vccnz .LBB127_3157
; %bb.3152:
	global_load_u8 v1, v[32:33], off
	s_mov_b32 s19, 0
	s_mov_b32 s18, exec_lo
	s_wait_loadcnt 0x0
	v_cmpx_lt_i16_e32 0x7f, v1
	s_xor_b32 s18, exec_lo, s18
	s_cbranch_execz .LBB127_3169
; %bb.3153:
	v_cmp_ne_u16_e32 vcc_lo, 0x80, v1
	s_and_b32 s19, vcc_lo, exec_lo
	s_and_not1_saveexec_b32 s18, s18
	s_cbranch_execnz .LBB127_3170
.LBB127_3154:
	s_or_b32 exec_lo, exec_lo, s18
	v_mov_b64_e32 v[24:25], 0
	s_and_saveexec_b32 s18, s19
	s_cbranch_execz .LBB127_3156
.LBB127_3155:
	v_and_b32_e32 v3, 0xffff, v1
	s_delay_alu instid0(VALU_DEP_1) | instskip(SKIP_1) | instid1(VALU_DEP_2)
	v_dual_lshlrev_b32 v1, 24, v1 :: v_dual_bitop2_b32 v5, 7, v3 bitop3:0x40
	v_bfe_u32 v15, v3, 3, 4
	v_and_b32_e32 v1, 0x80000000, v1
	s_delay_alu instid0(VALU_DEP_3) | instskip(NEXT) | instid1(VALU_DEP_3)
	v_clz_i32_u32_e32 v7, v5
	v_cmp_eq_u32_e32 vcc_lo, 0, v15
	s_delay_alu instid0(VALU_DEP_2) | instskip(NEXT) | instid1(VALU_DEP_1)
	v_min_u32_e32 v7, 32, v7
	v_subrev_nc_u32_e32 v11, 28, v7
	v_sub_nc_u32_e32 v7, 29, v7
	s_delay_alu instid0(VALU_DEP_2) | instskip(NEXT) | instid1(VALU_DEP_2)
	v_lshlrev_b32_e32 v3, v11, v3
	v_cndmask_b32_e32 v7, v15, v7, vcc_lo
	s_delay_alu instid0(VALU_DEP_2) | instskip(NEXT) | instid1(VALU_DEP_1)
	v_and_b32_e32 v3, 7, v3
	v_cndmask_b32_e32 v3, v5, v3, vcc_lo
	s_delay_alu instid0(VALU_DEP_3) | instskip(NEXT) | instid1(VALU_DEP_2)
	v_lshl_add_u32 v5, v7, 23, 0x3b800000
	v_lshlrev_b32_e32 v3, 20, v3
	s_delay_alu instid0(VALU_DEP_1) | instskip(NEXT) | instid1(VALU_DEP_1)
	v_or3_b32 v1, v1, v5, v3
	v_trunc_f32_e32 v1, v1
	s_delay_alu instid0(VALU_DEP_1) | instskip(SKIP_1) | instid1(VALU_DEP_2)
	v_mul_f32_e64 v3, 0x2f800000, |v1|
	v_ashrrev_i32_e32 v24, 31, v1
	v_floor_f32_e32 v3, v3
	s_delay_alu instid0(VALU_DEP_2) | instskip(NEXT) | instid1(VALU_DEP_2)
	v_mov_b32_e32 v25, v24
	v_fma_f32 v5, 0xcf800000, v3, |v1|
	v_cvt_u32_f32_e32 v1, v3
	s_delay_alu instid0(VALU_DEP_2) | instskip(NEXT) | instid1(VALU_DEP_2)
	v_cvt_u32_f32_e32 v3, v5
	v_xor_b32_e32 v35, v1, v24
	s_delay_alu instid0(VALU_DEP_2) | instskip(NEXT) | instid1(VALU_DEP_1)
	v_xor_b32_e32 v34, v3, v24
	v_sub_nc_u64_e32 v[24:25], v[34:35], v[24:25]
.LBB127_3156:
	s_or_b32 exec_lo, exec_lo, s18
.LBB127_3157:
	s_mov_b32 s18, -1
.LBB127_3158:
	s_mov_b32 s19, 0
.LBB127_3159:
	s_delay_alu instid0(SALU_CYCLE_1)
	s_and_b32 vcc_lo, exec_lo, s19
	s_cbranch_vccz .LBB127_3190
; %bb.3160:
	s_cmp_gt_i32 s15, 22
	s_cbranch_scc0 .LBB127_3168
; %bb.3161:
	s_cmp_lt_i32 s15, 24
	s_cbranch_scc1 .LBB127_3171
; %bb.3162:
	s_cmp_gt_i32 s15, 24
	s_cbranch_scc0 .LBB127_3172
; %bb.3163:
	global_load_u8 v1, v[32:33], off
	s_mov_b32 s18, 0
	s_mov_b32 s17, exec_lo
	s_wait_loadcnt 0x0
	v_cmpx_lt_i16_e32 0x7f, v1
	s_xor_b32 s17, exec_lo, s17
	s_cbranch_execz .LBB127_3184
; %bb.3164:
	v_cmp_ne_u16_e32 vcc_lo, 0x80, v1
	s_and_b32 s18, vcc_lo, exec_lo
	s_and_not1_saveexec_b32 s17, s17
	s_cbranch_execnz .LBB127_3185
.LBB127_3165:
	s_or_b32 exec_lo, exec_lo, s17
	v_mov_b64_e32 v[24:25], 0
	s_and_saveexec_b32 s17, s18
	s_cbranch_execz .LBB127_3167
.LBB127_3166:
	v_and_b32_e32 v3, 0xffff, v1
	s_delay_alu instid0(VALU_DEP_1) | instskip(SKIP_1) | instid1(VALU_DEP_2)
	v_dual_lshlrev_b32 v1, 24, v1 :: v_dual_bitop2_b32 v5, 3, v3 bitop3:0x40
	v_bfe_u32 v15, v3, 2, 5
	v_and_b32_e32 v1, 0x80000000, v1
	s_delay_alu instid0(VALU_DEP_3) | instskip(NEXT) | instid1(VALU_DEP_3)
	v_clz_i32_u32_e32 v7, v5
	v_cmp_eq_u32_e32 vcc_lo, 0, v15
	s_delay_alu instid0(VALU_DEP_2) | instskip(NEXT) | instid1(VALU_DEP_1)
	v_min_u32_e32 v7, 32, v7
	v_subrev_nc_u32_e32 v11, 29, v7
	v_sub_nc_u32_e32 v7, 30, v7
	s_delay_alu instid0(VALU_DEP_2) | instskip(NEXT) | instid1(VALU_DEP_2)
	v_lshlrev_b32_e32 v3, v11, v3
	v_cndmask_b32_e32 v7, v15, v7, vcc_lo
	s_delay_alu instid0(VALU_DEP_2) | instskip(NEXT) | instid1(VALU_DEP_1)
	v_and_b32_e32 v3, 3, v3
	v_cndmask_b32_e32 v3, v5, v3, vcc_lo
	s_delay_alu instid0(VALU_DEP_3) | instskip(NEXT) | instid1(VALU_DEP_2)
	v_lshl_add_u32 v5, v7, 23, 0x37800000
	v_lshlrev_b32_e32 v3, 21, v3
	s_delay_alu instid0(VALU_DEP_1) | instskip(NEXT) | instid1(VALU_DEP_1)
	v_or3_b32 v1, v1, v5, v3
	v_trunc_f32_e32 v1, v1
	s_delay_alu instid0(VALU_DEP_1) | instskip(SKIP_1) | instid1(VALU_DEP_2)
	v_mul_f32_e64 v3, 0x2f800000, |v1|
	v_ashrrev_i32_e32 v24, 31, v1
	v_floor_f32_e32 v3, v3
	s_delay_alu instid0(VALU_DEP_2) | instskip(NEXT) | instid1(VALU_DEP_2)
	v_mov_b32_e32 v25, v24
	v_fma_f32 v5, 0xcf800000, v3, |v1|
	v_cvt_u32_f32_e32 v1, v3
	s_delay_alu instid0(VALU_DEP_2) | instskip(NEXT) | instid1(VALU_DEP_2)
	v_cvt_u32_f32_e32 v3, v5
	v_xor_b32_e32 v35, v1, v24
	s_delay_alu instid0(VALU_DEP_2) | instskip(NEXT) | instid1(VALU_DEP_1)
	v_xor_b32_e32 v34, v3, v24
	v_sub_nc_u64_e32 v[24:25], v[34:35], v[24:25]
.LBB127_3167:
	s_or_b32 exec_lo, exec_lo, s17
	s_mov_b32 s17, 0
	s_branch .LBB127_3173
.LBB127_3168:
	s_mov_b32 s17, -1
                                        ; implicit-def: $vgpr24_vgpr25
	s_branch .LBB127_3179
.LBB127_3169:
	s_and_not1_saveexec_b32 s18, s18
	s_cbranch_execz .LBB127_3154
.LBB127_3170:
	v_cmp_ne_u16_e32 vcc_lo, 0, v1
	s_and_not1_b32 s19, s19, exec_lo
	s_and_b32 s20, vcc_lo, exec_lo
	s_delay_alu instid0(SALU_CYCLE_1)
	s_or_b32 s19, s19, s20
	s_or_b32 exec_lo, exec_lo, s18
	v_mov_b64_e32 v[24:25], 0
	s_and_saveexec_b32 s18, s19
	s_cbranch_execnz .LBB127_3155
	s_branch .LBB127_3156
.LBB127_3171:
	s_mov_b32 s17, -1
                                        ; implicit-def: $vgpr24_vgpr25
	s_branch .LBB127_3176
.LBB127_3172:
	s_mov_b32 s17, -1
                                        ; implicit-def: $vgpr24_vgpr25
.LBB127_3173:
	s_delay_alu instid0(SALU_CYCLE_1)
	s_and_b32 vcc_lo, exec_lo, s17
	s_cbranch_vccz .LBB127_3175
; %bb.3174:
	global_load_u8 v1, v[32:33], off
	s_wait_loadcnt 0x0
	v_lshlrev_b32_e32 v1, 24, v1
	s_delay_alu instid0(VALU_DEP_1) | instskip(NEXT) | instid1(VALU_DEP_1)
	v_and_b32_e32 v3, 0x7f000000, v1
	v_clz_i32_u32_e32 v5, v3
	v_add_nc_u32_e32 v11, 0x1000000, v3
	v_cmp_ne_u32_e32 vcc_lo, 0, v3
	s_delay_alu instid0(VALU_DEP_3) | instskip(NEXT) | instid1(VALU_DEP_1)
	v_min_u32_e32 v5, 32, v5
	v_sub_nc_u32_e64 v5, v5, 4 clamp
	s_delay_alu instid0(VALU_DEP_1) | instskip(NEXT) | instid1(VALU_DEP_1)
	v_dual_lshlrev_b32 v7, v5, v3 :: v_dual_lshlrev_b32 v5, 23, v5
	v_lshrrev_b32_e32 v7, 4, v7
	s_delay_alu instid0(VALU_DEP_1) | instskip(NEXT) | instid1(VALU_DEP_1)
	v_dual_sub_nc_u32 v5, v7, v5 :: v_dual_ashrrev_i32 v7, 8, v11
	v_add_nc_u32_e32 v5, 0x3c000000, v5
	s_delay_alu instid0(VALU_DEP_1) | instskip(NEXT) | instid1(VALU_DEP_1)
	v_and_or_b32 v5, 0x7f800000, v7, v5
	v_cndmask_b32_e32 v3, 0, v5, vcc_lo
	s_delay_alu instid0(VALU_DEP_1) | instskip(NEXT) | instid1(VALU_DEP_1)
	v_and_or_b32 v1, 0x80000000, v1, v3
	v_trunc_f32_e32 v1, v1
	s_delay_alu instid0(VALU_DEP_1) | instskip(SKIP_1) | instid1(VALU_DEP_2)
	v_mul_f32_e64 v3, 0x2f800000, |v1|
	v_ashrrev_i32_e32 v24, 31, v1
	v_floor_f32_e32 v3, v3
	s_delay_alu instid0(VALU_DEP_2) | instskip(NEXT) | instid1(VALU_DEP_2)
	v_mov_b32_e32 v25, v24
	v_fma_f32 v5, 0xcf800000, v3, |v1|
	v_cvt_u32_f32_e32 v1, v3
	s_delay_alu instid0(VALU_DEP_2) | instskip(NEXT) | instid1(VALU_DEP_2)
	v_cvt_u32_f32_e32 v3, v5
	v_xor_b32_e32 v35, v1, v24
	s_delay_alu instid0(VALU_DEP_2) | instskip(NEXT) | instid1(VALU_DEP_1)
	v_xor_b32_e32 v34, v3, v24
	v_sub_nc_u64_e32 v[24:25], v[34:35], v[24:25]
.LBB127_3175:
	s_mov_b32 s17, 0
.LBB127_3176:
	s_delay_alu instid0(SALU_CYCLE_1)
	s_and_not1_b32 vcc_lo, exec_lo, s17
	s_cbranch_vccnz .LBB127_3178
; %bb.3177:
	global_load_u8 v1, v[32:33], off
	s_wait_loadcnt 0x0
	v_lshlrev_b32_e32 v3, 25, v1
	v_lshlrev_b16 v1, 8, v1
	s_delay_alu instid0(VALU_DEP_1) | instskip(SKIP_1) | instid1(VALU_DEP_2)
	v_and_or_b32 v7, 0x7f00, v1, 0.5
	v_bfe_i32 v1, v1, 0, 16
	v_add_f32_e32 v7, -0.5, v7
	v_lshrrev_b32_e32 v5, 4, v3
	v_cmp_gt_u32_e32 vcc_lo, 0x8000000, v3
	s_delay_alu instid0(VALU_DEP_2) | instskip(NEXT) | instid1(VALU_DEP_1)
	v_or_b32_e32 v5, 0x70000000, v5
	v_mul_f32_e32 v5, 0x7800000, v5
	s_delay_alu instid0(VALU_DEP_1) | instskip(NEXT) | instid1(VALU_DEP_1)
	v_cndmask_b32_e32 v3, v5, v7, vcc_lo
	v_and_or_b32 v1, 0x80000000, v1, v3
	s_delay_alu instid0(VALU_DEP_1) | instskip(NEXT) | instid1(VALU_DEP_1)
	v_trunc_f32_e32 v1, v1
	v_mul_f32_e64 v3, 0x2f800000, |v1|
	v_ashrrev_i32_e32 v24, 31, v1
	s_delay_alu instid0(VALU_DEP_2) | instskip(NEXT) | instid1(VALU_DEP_2)
	v_floor_f32_e32 v3, v3
	v_mov_b32_e32 v25, v24
	s_delay_alu instid0(VALU_DEP_2) | instskip(SKIP_1) | instid1(VALU_DEP_2)
	v_fma_f32 v5, 0xcf800000, v3, |v1|
	v_cvt_u32_f32_e32 v1, v3
	v_cvt_u32_f32_e32 v3, v5
	s_delay_alu instid0(VALU_DEP_2) | instskip(NEXT) | instid1(VALU_DEP_2)
	v_xor_b32_e32 v35, v1, v24
	v_xor_b32_e32 v34, v3, v24
	s_delay_alu instid0(VALU_DEP_1)
	v_sub_nc_u64_e32 v[24:25], v[34:35], v[24:25]
.LBB127_3178:
	s_mov_b32 s17, 0
	s_mov_b32 s18, -1
.LBB127_3179:
	s_and_not1_b32 vcc_lo, exec_lo, s17
	s_mov_b32 s17, 0
	s_cbranch_vccnz .LBB127_3190
; %bb.3180:
	s_cmp_gt_i32 s15, 14
	s_cbranch_scc0 .LBB127_3183
; %bb.3181:
	s_cmp_eq_u32 s15, 15
	s_cbranch_scc0 .LBB127_3186
; %bb.3182:
	global_load_u16 v1, v[32:33], off
	s_mov_b32 s16, 0
	s_mov_b32 s18, -1
	s_wait_loadcnt 0x0
	v_lshlrev_b32_e32 v1, 16, v1
	s_delay_alu instid0(VALU_DEP_1) | instskip(NEXT) | instid1(VALU_DEP_1)
	v_trunc_f32_e32 v1, v1
	v_mul_f32_e64 v3, 0x2f800000, |v1|
	v_ashrrev_i32_e32 v24, 31, v1
	s_delay_alu instid0(VALU_DEP_2) | instskip(NEXT) | instid1(VALU_DEP_2)
	v_floor_f32_e32 v3, v3
	v_mov_b32_e32 v25, v24
	s_delay_alu instid0(VALU_DEP_2) | instskip(SKIP_1) | instid1(VALU_DEP_2)
	v_fma_f32 v5, 0xcf800000, v3, |v1|
	v_cvt_u32_f32_e32 v1, v3
	v_cvt_u32_f32_e32 v3, v5
	s_delay_alu instid0(VALU_DEP_2) | instskip(NEXT) | instid1(VALU_DEP_2)
	v_xor_b32_e32 v35, v1, v24
	v_xor_b32_e32 v34, v3, v24
	s_delay_alu instid0(VALU_DEP_1)
	v_sub_nc_u64_e32 v[24:25], v[34:35], v[24:25]
	s_branch .LBB127_3188
.LBB127_3183:
	s_mov_b32 s17, -1
	s_branch .LBB127_3187
.LBB127_3184:
	s_and_not1_saveexec_b32 s17, s17
	s_cbranch_execz .LBB127_3165
.LBB127_3185:
	v_cmp_ne_u16_e32 vcc_lo, 0, v1
	s_and_not1_b32 s18, s18, exec_lo
	s_and_b32 s19, vcc_lo, exec_lo
	s_delay_alu instid0(SALU_CYCLE_1)
	s_or_b32 s18, s18, s19
	s_or_b32 exec_lo, exec_lo, s17
	v_mov_b64_e32 v[24:25], 0
	s_and_saveexec_b32 s17, s18
	s_cbranch_execnz .LBB127_3166
	s_branch .LBB127_3167
.LBB127_3186:
	s_mov_b32 s16, -1
.LBB127_3187:
                                        ; implicit-def: $vgpr24_vgpr25
.LBB127_3188:
	s_and_b32 vcc_lo, exec_lo, s17
	s_mov_b32 s17, 0
	s_cbranch_vccz .LBB127_3190
; %bb.3189:
	s_cmp_lg_u32 s15, 11
	s_mov_b32 s17, -1
	s_cselect_b32 s16, -1, 0
.LBB127_3190:
	s_delay_alu instid0(SALU_CYCLE_1)
	s_and_b32 vcc_lo, exec_lo, s16
	s_cbranch_vccnz .LBB127_3255
; %bb.3191:
	s_and_not1_b32 vcc_lo, exec_lo, s17
	s_cbranch_vccnz .LBB127_3193
.LBB127_3192:
	global_load_u8 v1, v[32:33], off
	s_mov_b32 s16, 0
	s_mov_b32 s18, -1
	s_wait_loadcnt 0x1
	v_mov_b32_e32 v25, s16
	s_wait_loadcnt 0x0
	v_cmp_ne_u16_e32 vcc_lo, 0, v1
	v_cndmask_b32_e64 v24, 0, 1, vcc_lo
.LBB127_3193:
	s_mov_b32 s16, 0
.LBB127_3194:
	s_delay_alu instid0(SALU_CYCLE_1)
	s_and_b32 vcc_lo, exec_lo, s16
	s_cbranch_vccz .LBB127_3243
; %bb.3195:
	s_cmp_lt_i32 s15, 5
	s_cbranch_scc1 .LBB127_3200
; %bb.3196:
	s_cmp_lt_i32 s15, 8
	s_cbranch_scc1 .LBB127_3201
	;; [unrolled: 3-line block ×3, first 2 shown]
; %bb.3198:
	s_cmp_gt_i32 s15, 9
	s_cbranch_scc0 .LBB127_3203
; %bb.3199:
	s_wait_loadcnt 0x0
	global_load_b64 v[24:25], v[32:33], off
	s_mov_b32 s16, 0
	s_wait_loadcnt 0x0
	v_trunc_f64_e32 v[24:25], v[24:25]
	s_delay_alu instid0(VALU_DEP_1) | instskip(NEXT) | instid1(VALU_DEP_1)
	v_ldexp_f64 v[34:35], v[24:25], 0xffffffe0
	v_floor_f64_e32 v[34:35], v[34:35]
	s_delay_alu instid0(VALU_DEP_1) | instskip(SKIP_1) | instid1(VALU_DEP_2)
	v_fmamk_f64 v[36:37], v[34:35], 0xc1f00000, v[24:25]
	v_cvt_i32_f64_e32 v25, v[34:35]
	v_cvt_u32_f64_e32 v24, v[36:37]
	s_branch .LBB127_3204
.LBB127_3200:
	s_mov_b32 s16, -1
                                        ; implicit-def: $vgpr24_vgpr25
	s_branch .LBB127_3222
.LBB127_3201:
	s_mov_b32 s16, -1
                                        ; implicit-def: $vgpr24_vgpr25
	s_branch .LBB127_3210
.LBB127_3202:
	s_mov_b32 s16, -1
                                        ; implicit-def: $vgpr24_vgpr25
	s_branch .LBB127_3207
.LBB127_3203:
	s_mov_b32 s16, -1
                                        ; implicit-def: $vgpr24_vgpr25
.LBB127_3204:
	s_delay_alu instid0(SALU_CYCLE_1)
	s_and_not1_b32 vcc_lo, exec_lo, s16
	s_cbranch_vccnz .LBB127_3206
; %bb.3205:
	global_load_b32 v1, v[32:33], off
	s_wait_loadcnt 0x0
	v_trunc_f32_e32 v1, v1
	s_delay_alu instid0(VALU_DEP_1) | instskip(SKIP_1) | instid1(VALU_DEP_2)
	v_mul_f32_e64 v3, 0x2f800000, |v1|
	v_ashrrev_i32_e32 v24, 31, v1
	v_floor_f32_e32 v3, v3
	s_delay_alu instid0(VALU_DEP_1) | instskip(SKIP_1) | instid1(VALU_DEP_4)
	v_fma_f32 v5, 0xcf800000, v3, |v1|
	v_cvt_u32_f32_e32 v1, v3
	v_mov_b32_e32 v25, v24
	s_delay_alu instid0(VALU_DEP_3) | instskip(NEXT) | instid1(VALU_DEP_3)
	v_cvt_u32_f32_e32 v3, v5
	v_xor_b32_e32 v35, v1, v24
	s_delay_alu instid0(VALU_DEP_2) | instskip(NEXT) | instid1(VALU_DEP_1)
	v_xor_b32_e32 v34, v3, v24
	v_sub_nc_u64_e32 v[24:25], v[34:35], v[24:25]
.LBB127_3206:
	s_mov_b32 s16, 0
.LBB127_3207:
	s_delay_alu instid0(SALU_CYCLE_1)
	s_and_not1_b32 vcc_lo, exec_lo, s16
	s_cbranch_vccnz .LBB127_3209
; %bb.3208:
	global_load_b32 v1, v[32:33], off
	s_wait_loadcnt 0x0
	v_cvt_f32_f16_e32 v1, v1
	s_delay_alu instid0(VALU_DEP_1) | instskip(NEXT) | instid1(VALU_DEP_1)
	v_cvt_i32_f32_e32 v24, v1
	v_ashrrev_i32_e32 v25, 31, v24
.LBB127_3209:
	s_mov_b32 s16, 0
.LBB127_3210:
	s_delay_alu instid0(SALU_CYCLE_1)
	s_and_not1_b32 vcc_lo, exec_lo, s16
	s_cbranch_vccnz .LBB127_3221
; %bb.3211:
	s_cmp_lt_i32 s15, 6
	s_cbranch_scc1 .LBB127_3214
; %bb.3212:
	s_cmp_gt_i32 s15, 6
	s_cbranch_scc0 .LBB127_3215
; %bb.3213:
	s_wait_loadcnt 0x0
	global_load_b64 v[24:25], v[32:33], off
	s_mov_b32 s16, 0
	s_wait_loadcnt 0x0
	v_trunc_f64_e32 v[24:25], v[24:25]
	s_delay_alu instid0(VALU_DEP_1) | instskip(NEXT) | instid1(VALU_DEP_1)
	v_ldexp_f64 v[34:35], v[24:25], 0xffffffe0
	v_floor_f64_e32 v[34:35], v[34:35]
	s_delay_alu instid0(VALU_DEP_1) | instskip(SKIP_1) | instid1(VALU_DEP_2)
	v_fmamk_f64 v[36:37], v[34:35], 0xc1f00000, v[24:25]
	v_cvt_i32_f64_e32 v25, v[34:35]
	v_cvt_u32_f64_e32 v24, v[36:37]
	s_branch .LBB127_3216
.LBB127_3214:
	s_mov_b32 s16, -1
                                        ; implicit-def: $vgpr24_vgpr25
	s_branch .LBB127_3219
.LBB127_3215:
	s_mov_b32 s16, -1
                                        ; implicit-def: $vgpr24_vgpr25
.LBB127_3216:
	s_delay_alu instid0(SALU_CYCLE_1)
	s_and_not1_b32 vcc_lo, exec_lo, s16
	s_cbranch_vccnz .LBB127_3218
; %bb.3217:
	global_load_b32 v1, v[32:33], off
	s_wait_loadcnt 0x0
	v_trunc_f32_e32 v1, v1
	s_delay_alu instid0(VALU_DEP_1) | instskip(SKIP_1) | instid1(VALU_DEP_2)
	v_mul_f32_e64 v3, 0x2f800000, |v1|
	v_ashrrev_i32_e32 v24, 31, v1
	v_floor_f32_e32 v3, v3
	s_delay_alu instid0(VALU_DEP_1) | instskip(SKIP_1) | instid1(VALU_DEP_4)
	v_fma_f32 v5, 0xcf800000, v3, |v1|
	v_cvt_u32_f32_e32 v1, v3
	v_mov_b32_e32 v25, v24
	s_delay_alu instid0(VALU_DEP_3) | instskip(NEXT) | instid1(VALU_DEP_3)
	v_cvt_u32_f32_e32 v3, v5
	v_xor_b32_e32 v35, v1, v24
	s_delay_alu instid0(VALU_DEP_2) | instskip(NEXT) | instid1(VALU_DEP_1)
	v_xor_b32_e32 v34, v3, v24
	v_sub_nc_u64_e32 v[24:25], v[34:35], v[24:25]
.LBB127_3218:
	s_mov_b32 s16, 0
.LBB127_3219:
	s_delay_alu instid0(SALU_CYCLE_1)
	s_and_not1_b32 vcc_lo, exec_lo, s16
	s_cbranch_vccnz .LBB127_3221
; %bb.3220:
	global_load_u16 v1, v[32:33], off
	s_wait_loadcnt 0x0
	v_cvt_f32_f16_e32 v1, v1
	s_delay_alu instid0(VALU_DEP_1) | instskip(NEXT) | instid1(VALU_DEP_1)
	v_cvt_i32_f32_e32 v24, v1
	v_ashrrev_i32_e32 v25, 31, v24
.LBB127_3221:
	s_mov_b32 s16, 0
.LBB127_3222:
	s_delay_alu instid0(SALU_CYCLE_1)
	s_and_not1_b32 vcc_lo, exec_lo, s16
	s_cbranch_vccnz .LBB127_3242
; %bb.3223:
	s_cmp_lt_i32 s15, 2
	s_cbranch_scc1 .LBB127_3227
; %bb.3224:
	s_cmp_lt_i32 s15, 3
	s_cbranch_scc1 .LBB127_3228
; %bb.3225:
	s_cmp_gt_i32 s15, 3
	s_cbranch_scc0 .LBB127_3229
; %bb.3226:
	s_wait_loadcnt 0x0
	global_load_b64 v[24:25], v[32:33], off
	s_mov_b32 s16, 0
	s_branch .LBB127_3230
.LBB127_3227:
	s_mov_b32 s16, -1
                                        ; implicit-def: $vgpr24_vgpr25
	s_branch .LBB127_3236
.LBB127_3228:
	s_mov_b32 s16, -1
                                        ; implicit-def: $vgpr24_vgpr25
	s_branch .LBB127_3233
.LBB127_3229:
	s_mov_b32 s16, -1
                                        ; implicit-def: $vgpr24_vgpr25
.LBB127_3230:
	s_delay_alu instid0(SALU_CYCLE_1)
	s_and_not1_b32 vcc_lo, exec_lo, s16
	s_cbranch_vccnz .LBB127_3232
; %bb.3231:
	s_wait_loadcnt 0x0
	global_load_b32 v24, v[32:33], off
	s_wait_loadcnt 0x0
	v_ashrrev_i32_e32 v25, 31, v24
.LBB127_3232:
	s_mov_b32 s16, 0
.LBB127_3233:
	s_delay_alu instid0(SALU_CYCLE_1)
	s_and_not1_b32 vcc_lo, exec_lo, s16
	s_cbranch_vccnz .LBB127_3235
; %bb.3234:
	global_load_u16 v1, v[32:33], off
	s_wait_loadcnt 0x0
	v_bfe_i32 v24, v1, 0, 16
	s_delay_alu instid0(VALU_DEP_1)
	v_ashrrev_i32_e32 v25, 31, v24
.LBB127_3235:
	s_mov_b32 s16, 0
.LBB127_3236:
	s_delay_alu instid0(SALU_CYCLE_1)
	s_and_not1_b32 vcc_lo, exec_lo, s16
	s_cbranch_vccnz .LBB127_3242
; %bb.3237:
	s_cmp_gt_i32 s15, 0
	s_mov_b32 s16, 0
	s_cbranch_scc0 .LBB127_3239
; %bb.3238:
	global_load_i8 v1, v[32:33], off
	s_wait_loadcnt 0x0
	v_bfe_i32 v24, v1, 0, 16
	s_delay_alu instid0(VALU_DEP_1)
	v_ashrrev_i32_e32 v25, 31, v24
	s_branch .LBB127_3240
.LBB127_3239:
	s_mov_b32 s16, -1
                                        ; implicit-def: $vgpr24_vgpr25
.LBB127_3240:
	s_delay_alu instid0(SALU_CYCLE_1)
	s_and_not1_b32 vcc_lo, exec_lo, s16
	s_cbranch_vccnz .LBB127_3242
; %bb.3241:
	global_load_u8 v1, v[32:33], off
	s_mov_b32 s16, 0
	s_wait_loadcnt 0x1
	v_mov_b32_e32 v25, s16
	s_wait_loadcnt 0x0
	v_and_b32_e32 v24, 0xffff, v1
.LBB127_3242:
	s_mov_b32 s18, -1
.LBB127_3243:
	s_delay_alu instid0(SALU_CYCLE_1)
	s_and_not1_b32 vcc_lo, exec_lo, s18
	s_cbranch_vccnz .LBB127_4058
; %bb.3244:
	v_mov_b32_e32 v21, 0
	s_cmp_lt_i32 s13, 11
	s_wait_xcnt 0x0
	s_delay_alu instid0(VALU_DEP_1)
	v_add_nc_u64_e32 v[32:33], s[6:7], v[20:21]
	s_cbranch_scc1 .LBB127_3251
; %bb.3245:
	s_cmp_gt_i32 s13, 25
	s_mov_b32 s7, 0
	s_cbranch_scc0 .LBB127_3252
; %bb.3246:
	s_cmp_gt_i32 s13, 28
	s_cbranch_scc0 .LBB127_3253
; %bb.3247:
	s_cmp_gt_i32 s13, 43
	s_cbranch_scc0 .LBB127_3254
; %bb.3248:
	s_cmp_gt_i32 s13, 45
	s_cbranch_scc0 .LBB127_3256
; %bb.3249:
	s_cmp_eq_u32 s13, 46
	s_mov_b32 s17, 0
	s_cbranch_scc0 .LBB127_3257
; %bb.3250:
	global_load_b32 v1, v[32:33], off
	s_mov_b32 s6, 0
	s_mov_b32 s16, -1
	s_wait_loadcnt 0x0
	v_lshlrev_b32_e32 v1, 16, v1
	s_delay_alu instid0(VALU_DEP_1) | instskip(NEXT) | instid1(VALU_DEP_1)
	v_trunc_f32_e32 v1, v1
	v_mul_f32_e64 v3, 0x2f800000, |v1|
	v_ashrrev_i32_e32 v20, 31, v1
	s_delay_alu instid0(VALU_DEP_2) | instskip(NEXT) | instid1(VALU_DEP_2)
	v_floor_f32_e32 v3, v3
	v_mov_b32_e32 v21, v20
	s_delay_alu instid0(VALU_DEP_2) | instskip(SKIP_1) | instid1(VALU_DEP_2)
	v_fma_f32 v5, 0xcf800000, v3, |v1|
	v_cvt_u32_f32_e32 v1, v3
	v_cvt_u32_f32_e32 v3, v5
	s_delay_alu instid0(VALU_DEP_2) | instskip(NEXT) | instid1(VALU_DEP_2)
	v_xor_b32_e32 v35, v1, v20
	v_xor_b32_e32 v34, v3, v20
	s_delay_alu instid0(VALU_DEP_1)
	v_sub_nc_u64_e32 v[20:21], v[34:35], v[20:21]
	s_branch .LBB127_3259
.LBB127_3251:
	s_mov_b32 s6, -1
	s_mov_b32 s16, 0
                                        ; implicit-def: $vgpr20_vgpr21
	s_branch .LBB127_3321
.LBB127_3252:
	s_mov_b32 s17, -1
	s_mov_b32 s16, 0
	s_mov_b32 s6, 0
                                        ; implicit-def: $vgpr20_vgpr21
	s_branch .LBB127_3286
.LBB127_3253:
	s_mov_b32 s17, -1
	s_mov_b32 s16, 0
	s_mov_b32 s6, 0
                                        ; implicit-def: $vgpr20_vgpr21
	s_branch .LBB127_3269
.LBB127_3254:
	s_mov_b32 s17, -1
	s_mov_b32 s16, 0
	s_mov_b32 s6, 0
                                        ; implicit-def: $vgpr20_vgpr21
	s_branch .LBB127_3264
.LBB127_3255:
	s_or_b32 s12, s12, exec_lo
	s_trap 2
	s_cbranch_execz .LBB127_3192
	s_branch .LBB127_3193
.LBB127_3256:
	s_mov_b32 s17, -1
	s_mov_b32 s16, 0
	s_mov_b32 s6, 0
	s_branch .LBB127_3258
.LBB127_3257:
	s_mov_b32 s6, -1
	s_mov_b32 s16, 0
.LBB127_3258:
                                        ; implicit-def: $vgpr20_vgpr21
.LBB127_3259:
	s_and_b32 vcc_lo, exec_lo, s17
	s_cbranch_vccz .LBB127_3263
; %bb.3260:
	s_cmp_eq_u32 s13, 44
	s_cbranch_scc0 .LBB127_3262
; %bb.3261:
	global_load_u8 v1, v[32:33], off
	s_mov_b32 s6, 0
	s_mov_b32 s16, -1
	s_wait_loadcnt 0x0
	v_lshlrev_b32_e32 v3, 23, v1
	v_cmp_ne_u32_e32 vcc_lo, 0, v1
	s_delay_alu instid0(VALU_DEP_2) | instskip(NEXT) | instid1(VALU_DEP_1)
	v_trunc_f32_e32 v3, v3
	v_mul_f32_e64 v5, 0x2f800000, |v3|
	v_ashrrev_i32_e32 v20, 31, v3
	s_delay_alu instid0(VALU_DEP_2) | instskip(NEXT) | instid1(VALU_DEP_2)
	v_floor_f32_e32 v5, v5
	v_mov_b32_e32 v21, v20
	s_delay_alu instid0(VALU_DEP_2) | instskip(SKIP_1) | instid1(VALU_DEP_2)
	v_fma_f32 v7, 0xcf800000, v5, |v3|
	v_cvt_u32_f32_e32 v3, v5
	v_cvt_u32_f32_e32 v5, v7
	s_delay_alu instid0(VALU_DEP_2) | instskip(NEXT) | instid1(VALU_DEP_2)
	v_xor_b32_e32 v35, v3, v20
	v_xor_b32_e32 v34, v5, v20
	s_delay_alu instid0(VALU_DEP_1) | instskip(NEXT) | instid1(VALU_DEP_1)
	v_sub_nc_u64_e32 v[20:21], v[34:35], v[20:21]
	v_dual_cndmask_b32 v21, 0, v21 :: v_dual_cndmask_b32 v20, 0, v20
	s_branch .LBB127_3263
.LBB127_3262:
	s_mov_b32 s6, -1
                                        ; implicit-def: $vgpr20_vgpr21
.LBB127_3263:
	s_mov_b32 s17, 0
.LBB127_3264:
	s_delay_alu instid0(SALU_CYCLE_1)
	s_and_b32 vcc_lo, exec_lo, s17
	s_cbranch_vccz .LBB127_3268
; %bb.3265:
	s_cmp_eq_u32 s13, 29
	s_cbranch_scc0 .LBB127_3267
; %bb.3266:
	global_load_b64 v[20:21], v[32:33], off
	s_mov_b32 s6, 0
	s_mov_b32 s16, -1
	s_branch .LBB127_3268
.LBB127_3267:
	s_mov_b32 s6, -1
                                        ; implicit-def: $vgpr20_vgpr21
.LBB127_3268:
	s_mov_b32 s17, 0
.LBB127_3269:
	s_delay_alu instid0(SALU_CYCLE_1)
	s_and_b32 vcc_lo, exec_lo, s17
	s_cbranch_vccz .LBB127_3285
; %bb.3270:
	s_cmp_lt_i32 s13, 27
	s_cbranch_scc1 .LBB127_3273
; %bb.3271:
	s_cmp_gt_i32 s13, 27
	s_cbranch_scc0 .LBB127_3274
; %bb.3272:
	s_wait_loadcnt 0x0
	global_load_b32 v20, v[32:33], off
	v_mov_b32_e32 v21, 0
	s_mov_b32 s16, 0
	s_branch .LBB127_3275
.LBB127_3273:
	s_mov_b32 s16, -1
                                        ; implicit-def: $vgpr20_vgpr21
	s_branch .LBB127_3278
.LBB127_3274:
	s_mov_b32 s16, -1
                                        ; implicit-def: $vgpr20_vgpr21
.LBB127_3275:
	s_delay_alu instid0(SALU_CYCLE_1)
	s_and_not1_b32 vcc_lo, exec_lo, s16
	s_cbranch_vccnz .LBB127_3277
; %bb.3276:
	global_load_u16 v1, v[32:33], off
	s_mov_b32 s16, 0
	s_wait_loadcnt 0x1
	v_mov_b32_e32 v21, s16
	s_wait_loadcnt 0x0
	v_and_b32_e32 v20, 0xffff, v1
.LBB127_3277:
	s_mov_b32 s16, 0
.LBB127_3278:
	s_delay_alu instid0(SALU_CYCLE_1)
	s_and_not1_b32 vcc_lo, exec_lo, s16
	s_cbranch_vccnz .LBB127_3284
; %bb.3279:
	global_load_u8 v1, v[32:33], off
	s_mov_b32 s17, 0
	s_mov_b32 s16, exec_lo
	s_wait_loadcnt 0x0
	v_cmpx_lt_i16_e32 0x7f, v1
	s_xor_b32 s16, exec_lo, s16
	s_cbranch_execz .LBB127_3296
; %bb.3280:
	v_cmp_ne_u16_e32 vcc_lo, 0x80, v1
	s_and_b32 s17, vcc_lo, exec_lo
	s_and_not1_saveexec_b32 s16, s16
	s_cbranch_execnz .LBB127_3297
.LBB127_3281:
	s_or_b32 exec_lo, exec_lo, s16
	v_mov_b64_e32 v[20:21], 0
	s_and_saveexec_b32 s16, s17
	s_cbranch_execz .LBB127_3283
.LBB127_3282:
	v_and_b32_e32 v3, 0xffff, v1
	s_delay_alu instid0(VALU_DEP_1) | instskip(SKIP_1) | instid1(VALU_DEP_2)
	v_dual_lshlrev_b32 v1, 24, v1 :: v_dual_bitop2_b32 v5, 7, v3 bitop3:0x40
	v_bfe_u32 v15, v3, 3, 4
	v_and_b32_e32 v1, 0x80000000, v1
	s_delay_alu instid0(VALU_DEP_3) | instskip(NEXT) | instid1(VALU_DEP_3)
	v_clz_i32_u32_e32 v7, v5
	v_cmp_eq_u32_e32 vcc_lo, 0, v15
	s_delay_alu instid0(VALU_DEP_2) | instskip(NEXT) | instid1(VALU_DEP_1)
	v_min_u32_e32 v7, 32, v7
	v_subrev_nc_u32_e32 v11, 28, v7
	v_sub_nc_u32_e32 v7, 29, v7
	s_delay_alu instid0(VALU_DEP_2) | instskip(NEXT) | instid1(VALU_DEP_2)
	v_lshlrev_b32_e32 v3, v11, v3
	v_cndmask_b32_e32 v7, v15, v7, vcc_lo
	s_delay_alu instid0(VALU_DEP_2) | instskip(NEXT) | instid1(VALU_DEP_1)
	v_and_b32_e32 v3, 7, v3
	v_cndmask_b32_e32 v3, v5, v3, vcc_lo
	s_delay_alu instid0(VALU_DEP_3) | instskip(NEXT) | instid1(VALU_DEP_2)
	v_lshl_add_u32 v5, v7, 23, 0x3b800000
	v_lshlrev_b32_e32 v3, 20, v3
	s_delay_alu instid0(VALU_DEP_1) | instskip(NEXT) | instid1(VALU_DEP_1)
	v_or3_b32 v1, v1, v5, v3
	v_trunc_f32_e32 v1, v1
	s_delay_alu instid0(VALU_DEP_1) | instskip(SKIP_1) | instid1(VALU_DEP_2)
	v_mul_f32_e64 v3, 0x2f800000, |v1|
	v_ashrrev_i32_e32 v20, 31, v1
	v_floor_f32_e32 v3, v3
	s_delay_alu instid0(VALU_DEP_2) | instskip(NEXT) | instid1(VALU_DEP_2)
	v_mov_b32_e32 v21, v20
	v_fma_f32 v5, 0xcf800000, v3, |v1|
	v_cvt_u32_f32_e32 v1, v3
	s_delay_alu instid0(VALU_DEP_2) | instskip(NEXT) | instid1(VALU_DEP_2)
	v_cvt_u32_f32_e32 v3, v5
	v_xor_b32_e32 v35, v1, v20
	s_delay_alu instid0(VALU_DEP_2) | instskip(NEXT) | instid1(VALU_DEP_1)
	v_xor_b32_e32 v34, v3, v20
	v_sub_nc_u64_e32 v[20:21], v[34:35], v[20:21]
.LBB127_3283:
	s_or_b32 exec_lo, exec_lo, s16
.LBB127_3284:
	s_mov_b32 s16, -1
.LBB127_3285:
	s_mov_b32 s17, 0
.LBB127_3286:
	s_delay_alu instid0(SALU_CYCLE_1)
	s_and_b32 vcc_lo, exec_lo, s17
	s_cbranch_vccz .LBB127_3317
; %bb.3287:
	s_cmp_gt_i32 s13, 22
	s_cbranch_scc0 .LBB127_3295
; %bb.3288:
	s_cmp_lt_i32 s13, 24
	s_cbranch_scc1 .LBB127_3298
; %bb.3289:
	s_cmp_gt_i32 s13, 24
	s_cbranch_scc0 .LBB127_3299
; %bb.3290:
	global_load_u8 v1, v[32:33], off
	s_mov_b32 s16, 0
	s_mov_b32 s7, exec_lo
	s_wait_loadcnt 0x0
	v_cmpx_lt_i16_e32 0x7f, v1
	s_xor_b32 s7, exec_lo, s7
	s_cbranch_execz .LBB127_3311
; %bb.3291:
	v_cmp_ne_u16_e32 vcc_lo, 0x80, v1
	s_and_b32 s16, vcc_lo, exec_lo
	s_and_not1_saveexec_b32 s7, s7
	s_cbranch_execnz .LBB127_3312
.LBB127_3292:
	s_or_b32 exec_lo, exec_lo, s7
	v_mov_b64_e32 v[20:21], 0
	s_and_saveexec_b32 s7, s16
	s_cbranch_execz .LBB127_3294
.LBB127_3293:
	v_and_b32_e32 v3, 0xffff, v1
	s_delay_alu instid0(VALU_DEP_1) | instskip(SKIP_1) | instid1(VALU_DEP_2)
	v_dual_lshlrev_b32 v1, 24, v1 :: v_dual_bitop2_b32 v5, 3, v3 bitop3:0x40
	v_bfe_u32 v15, v3, 2, 5
	v_and_b32_e32 v1, 0x80000000, v1
	s_delay_alu instid0(VALU_DEP_3) | instskip(NEXT) | instid1(VALU_DEP_3)
	v_clz_i32_u32_e32 v7, v5
	v_cmp_eq_u32_e32 vcc_lo, 0, v15
	s_delay_alu instid0(VALU_DEP_2) | instskip(NEXT) | instid1(VALU_DEP_1)
	v_min_u32_e32 v7, 32, v7
	v_subrev_nc_u32_e32 v11, 29, v7
	v_sub_nc_u32_e32 v7, 30, v7
	s_delay_alu instid0(VALU_DEP_2) | instskip(NEXT) | instid1(VALU_DEP_2)
	v_lshlrev_b32_e32 v3, v11, v3
	v_cndmask_b32_e32 v7, v15, v7, vcc_lo
	s_delay_alu instid0(VALU_DEP_2) | instskip(NEXT) | instid1(VALU_DEP_1)
	v_and_b32_e32 v3, 3, v3
	v_cndmask_b32_e32 v3, v5, v3, vcc_lo
	s_delay_alu instid0(VALU_DEP_3) | instskip(NEXT) | instid1(VALU_DEP_2)
	v_lshl_add_u32 v5, v7, 23, 0x37800000
	v_lshlrev_b32_e32 v3, 21, v3
	s_delay_alu instid0(VALU_DEP_1) | instskip(NEXT) | instid1(VALU_DEP_1)
	v_or3_b32 v1, v1, v5, v3
	v_trunc_f32_e32 v1, v1
	s_delay_alu instid0(VALU_DEP_1) | instskip(SKIP_1) | instid1(VALU_DEP_2)
	v_mul_f32_e64 v3, 0x2f800000, |v1|
	v_ashrrev_i32_e32 v20, 31, v1
	v_floor_f32_e32 v3, v3
	s_delay_alu instid0(VALU_DEP_2) | instskip(NEXT) | instid1(VALU_DEP_2)
	v_mov_b32_e32 v21, v20
	v_fma_f32 v5, 0xcf800000, v3, |v1|
	v_cvt_u32_f32_e32 v1, v3
	s_delay_alu instid0(VALU_DEP_2) | instskip(NEXT) | instid1(VALU_DEP_2)
	v_cvt_u32_f32_e32 v3, v5
	v_xor_b32_e32 v35, v1, v20
	s_delay_alu instid0(VALU_DEP_2) | instskip(NEXT) | instid1(VALU_DEP_1)
	v_xor_b32_e32 v34, v3, v20
	v_sub_nc_u64_e32 v[20:21], v[34:35], v[20:21]
.LBB127_3294:
	s_or_b32 exec_lo, exec_lo, s7
	s_mov_b32 s7, 0
	s_branch .LBB127_3300
.LBB127_3295:
	s_mov_b32 s7, -1
                                        ; implicit-def: $vgpr20_vgpr21
	s_branch .LBB127_3306
.LBB127_3296:
	s_and_not1_saveexec_b32 s16, s16
	s_cbranch_execz .LBB127_3281
.LBB127_3297:
	v_cmp_ne_u16_e32 vcc_lo, 0, v1
	s_and_not1_b32 s17, s17, exec_lo
	s_and_b32 s18, vcc_lo, exec_lo
	s_delay_alu instid0(SALU_CYCLE_1)
	s_or_b32 s17, s17, s18
	s_or_b32 exec_lo, exec_lo, s16
	v_mov_b64_e32 v[20:21], 0
	s_and_saveexec_b32 s16, s17
	s_cbranch_execnz .LBB127_3282
	s_branch .LBB127_3283
.LBB127_3298:
	s_mov_b32 s7, -1
                                        ; implicit-def: $vgpr20_vgpr21
	s_branch .LBB127_3303
.LBB127_3299:
	s_mov_b32 s7, -1
                                        ; implicit-def: $vgpr20_vgpr21
.LBB127_3300:
	s_delay_alu instid0(SALU_CYCLE_1)
	s_and_b32 vcc_lo, exec_lo, s7
	s_cbranch_vccz .LBB127_3302
; %bb.3301:
	global_load_u8 v1, v[32:33], off
	s_wait_loadcnt 0x0
	v_lshlrev_b32_e32 v1, 24, v1
	s_delay_alu instid0(VALU_DEP_1) | instskip(NEXT) | instid1(VALU_DEP_1)
	v_and_b32_e32 v3, 0x7f000000, v1
	v_clz_i32_u32_e32 v5, v3
	v_add_nc_u32_e32 v11, 0x1000000, v3
	v_cmp_ne_u32_e32 vcc_lo, 0, v3
	s_delay_alu instid0(VALU_DEP_3) | instskip(NEXT) | instid1(VALU_DEP_1)
	v_min_u32_e32 v5, 32, v5
	v_sub_nc_u32_e64 v5, v5, 4 clamp
	s_delay_alu instid0(VALU_DEP_1) | instskip(NEXT) | instid1(VALU_DEP_1)
	v_dual_lshlrev_b32 v7, v5, v3 :: v_dual_lshlrev_b32 v5, 23, v5
	v_lshrrev_b32_e32 v7, 4, v7
	s_delay_alu instid0(VALU_DEP_1) | instskip(NEXT) | instid1(VALU_DEP_1)
	v_dual_sub_nc_u32 v5, v7, v5 :: v_dual_ashrrev_i32 v7, 8, v11
	v_add_nc_u32_e32 v5, 0x3c000000, v5
	s_delay_alu instid0(VALU_DEP_1) | instskip(NEXT) | instid1(VALU_DEP_1)
	v_and_or_b32 v5, 0x7f800000, v7, v5
	v_cndmask_b32_e32 v3, 0, v5, vcc_lo
	s_delay_alu instid0(VALU_DEP_1) | instskip(NEXT) | instid1(VALU_DEP_1)
	v_and_or_b32 v1, 0x80000000, v1, v3
	v_trunc_f32_e32 v1, v1
	s_delay_alu instid0(VALU_DEP_1) | instskip(SKIP_1) | instid1(VALU_DEP_2)
	v_mul_f32_e64 v3, 0x2f800000, |v1|
	v_ashrrev_i32_e32 v20, 31, v1
	v_floor_f32_e32 v3, v3
	s_delay_alu instid0(VALU_DEP_2) | instskip(NEXT) | instid1(VALU_DEP_2)
	v_mov_b32_e32 v21, v20
	v_fma_f32 v5, 0xcf800000, v3, |v1|
	v_cvt_u32_f32_e32 v1, v3
	s_delay_alu instid0(VALU_DEP_2) | instskip(NEXT) | instid1(VALU_DEP_2)
	v_cvt_u32_f32_e32 v3, v5
	v_xor_b32_e32 v35, v1, v20
	s_delay_alu instid0(VALU_DEP_2) | instskip(NEXT) | instid1(VALU_DEP_1)
	v_xor_b32_e32 v34, v3, v20
	v_sub_nc_u64_e32 v[20:21], v[34:35], v[20:21]
.LBB127_3302:
	s_mov_b32 s7, 0
.LBB127_3303:
	s_delay_alu instid0(SALU_CYCLE_1)
	s_and_not1_b32 vcc_lo, exec_lo, s7
	s_cbranch_vccnz .LBB127_3305
; %bb.3304:
	global_load_u8 v1, v[32:33], off
	s_wait_loadcnt 0x0
	v_lshlrev_b32_e32 v3, 25, v1
	v_lshlrev_b16 v1, 8, v1
	s_delay_alu instid0(VALU_DEP_1) | instskip(SKIP_1) | instid1(VALU_DEP_2)
	v_and_or_b32 v7, 0x7f00, v1, 0.5
	v_bfe_i32 v1, v1, 0, 16
	v_add_f32_e32 v7, -0.5, v7
	v_lshrrev_b32_e32 v5, 4, v3
	v_cmp_gt_u32_e32 vcc_lo, 0x8000000, v3
	s_delay_alu instid0(VALU_DEP_2) | instskip(NEXT) | instid1(VALU_DEP_1)
	v_or_b32_e32 v5, 0x70000000, v5
	v_mul_f32_e32 v5, 0x7800000, v5
	s_delay_alu instid0(VALU_DEP_1) | instskip(NEXT) | instid1(VALU_DEP_1)
	v_cndmask_b32_e32 v3, v5, v7, vcc_lo
	v_and_or_b32 v1, 0x80000000, v1, v3
	s_delay_alu instid0(VALU_DEP_1) | instskip(NEXT) | instid1(VALU_DEP_1)
	v_trunc_f32_e32 v1, v1
	v_mul_f32_e64 v3, 0x2f800000, |v1|
	v_ashrrev_i32_e32 v20, 31, v1
	s_delay_alu instid0(VALU_DEP_2) | instskip(NEXT) | instid1(VALU_DEP_2)
	v_floor_f32_e32 v3, v3
	v_mov_b32_e32 v21, v20
	s_delay_alu instid0(VALU_DEP_2) | instskip(SKIP_1) | instid1(VALU_DEP_2)
	v_fma_f32 v5, 0xcf800000, v3, |v1|
	v_cvt_u32_f32_e32 v1, v3
	v_cvt_u32_f32_e32 v3, v5
	s_delay_alu instid0(VALU_DEP_2) | instskip(NEXT) | instid1(VALU_DEP_2)
	v_xor_b32_e32 v35, v1, v20
	v_xor_b32_e32 v34, v3, v20
	s_delay_alu instid0(VALU_DEP_1)
	v_sub_nc_u64_e32 v[20:21], v[34:35], v[20:21]
.LBB127_3305:
	s_mov_b32 s7, 0
	s_mov_b32 s16, -1
.LBB127_3306:
	s_and_not1_b32 vcc_lo, exec_lo, s7
	s_mov_b32 s7, 0
	s_cbranch_vccnz .LBB127_3317
; %bb.3307:
	s_cmp_gt_i32 s13, 14
	s_cbranch_scc0 .LBB127_3310
; %bb.3308:
	s_cmp_eq_u32 s13, 15
	s_cbranch_scc0 .LBB127_3313
; %bb.3309:
	global_load_u16 v1, v[32:33], off
	s_mov_b32 s6, 0
	s_mov_b32 s16, -1
	s_wait_loadcnt 0x0
	v_lshlrev_b32_e32 v1, 16, v1
	s_delay_alu instid0(VALU_DEP_1) | instskip(NEXT) | instid1(VALU_DEP_1)
	v_trunc_f32_e32 v1, v1
	v_mul_f32_e64 v3, 0x2f800000, |v1|
	v_ashrrev_i32_e32 v20, 31, v1
	s_delay_alu instid0(VALU_DEP_2) | instskip(NEXT) | instid1(VALU_DEP_2)
	v_floor_f32_e32 v3, v3
	v_mov_b32_e32 v21, v20
	s_delay_alu instid0(VALU_DEP_2) | instskip(SKIP_1) | instid1(VALU_DEP_2)
	v_fma_f32 v5, 0xcf800000, v3, |v1|
	v_cvt_u32_f32_e32 v1, v3
	v_cvt_u32_f32_e32 v3, v5
	s_delay_alu instid0(VALU_DEP_2) | instskip(NEXT) | instid1(VALU_DEP_2)
	v_xor_b32_e32 v35, v1, v20
	v_xor_b32_e32 v34, v3, v20
	s_delay_alu instid0(VALU_DEP_1)
	v_sub_nc_u64_e32 v[20:21], v[34:35], v[20:21]
	s_branch .LBB127_3315
.LBB127_3310:
	s_mov_b32 s7, -1
	s_branch .LBB127_3314
.LBB127_3311:
	s_and_not1_saveexec_b32 s7, s7
	s_cbranch_execz .LBB127_3292
.LBB127_3312:
	v_cmp_ne_u16_e32 vcc_lo, 0, v1
	s_and_not1_b32 s16, s16, exec_lo
	s_and_b32 s17, vcc_lo, exec_lo
	s_delay_alu instid0(SALU_CYCLE_1)
	s_or_b32 s16, s16, s17
	s_or_b32 exec_lo, exec_lo, s7
	v_mov_b64_e32 v[20:21], 0
	s_and_saveexec_b32 s7, s16
	s_cbranch_execnz .LBB127_3293
	s_branch .LBB127_3294
.LBB127_3313:
	s_mov_b32 s6, -1
.LBB127_3314:
                                        ; implicit-def: $vgpr20_vgpr21
.LBB127_3315:
	s_and_b32 vcc_lo, exec_lo, s7
	s_mov_b32 s7, 0
	s_cbranch_vccz .LBB127_3317
; %bb.3316:
	s_cmp_lg_u32 s13, 11
	s_mov_b32 s7, -1
	s_cselect_b32 s6, -1, 0
.LBB127_3317:
	s_delay_alu instid0(SALU_CYCLE_1)
	s_and_b32 vcc_lo, exec_lo, s6
	s_cbranch_vccnz .LBB127_3382
; %bb.3318:
	s_and_not1_b32 vcc_lo, exec_lo, s7
	s_cbranch_vccnz .LBB127_3320
.LBB127_3319:
	global_load_u8 v1, v[32:33], off
	s_mov_b32 s6, 0
	s_mov_b32 s16, -1
	s_wait_loadcnt 0x1
	v_mov_b32_e32 v21, s6
	s_wait_loadcnt 0x0
	v_cmp_ne_u16_e32 vcc_lo, 0, v1
	v_cndmask_b32_e64 v20, 0, 1, vcc_lo
.LBB127_3320:
	s_mov_b32 s6, 0
.LBB127_3321:
	s_delay_alu instid0(SALU_CYCLE_1)
	s_and_b32 vcc_lo, exec_lo, s6
	s_cbranch_vccz .LBB127_3370
; %bb.3322:
	s_cmp_lt_i32 s13, 5
	s_cbranch_scc1 .LBB127_3327
; %bb.3323:
	s_cmp_lt_i32 s13, 8
	s_cbranch_scc1 .LBB127_3328
	;; [unrolled: 3-line block ×3, first 2 shown]
; %bb.3325:
	s_cmp_gt_i32 s13, 9
	s_cbranch_scc0 .LBB127_3330
; %bb.3326:
	s_wait_loadcnt 0x0
	global_load_b64 v[20:21], v[32:33], off
	s_mov_b32 s6, 0
	s_wait_loadcnt 0x0
	v_trunc_f64_e32 v[20:21], v[20:21]
	s_delay_alu instid0(VALU_DEP_1) | instskip(NEXT) | instid1(VALU_DEP_1)
	v_ldexp_f64 v[34:35], v[20:21], 0xffffffe0
	v_floor_f64_e32 v[34:35], v[34:35]
	s_delay_alu instid0(VALU_DEP_1) | instskip(SKIP_1) | instid1(VALU_DEP_2)
	v_fmamk_f64 v[36:37], v[34:35], 0xc1f00000, v[20:21]
	v_cvt_i32_f64_e32 v21, v[34:35]
	v_cvt_u32_f64_e32 v20, v[36:37]
	s_branch .LBB127_3331
.LBB127_3327:
	s_mov_b32 s6, -1
                                        ; implicit-def: $vgpr20_vgpr21
	s_branch .LBB127_3349
.LBB127_3328:
	s_mov_b32 s6, -1
                                        ; implicit-def: $vgpr20_vgpr21
	s_branch .LBB127_3337
.LBB127_3329:
	s_mov_b32 s6, -1
                                        ; implicit-def: $vgpr20_vgpr21
	s_branch .LBB127_3334
.LBB127_3330:
	s_mov_b32 s6, -1
                                        ; implicit-def: $vgpr20_vgpr21
.LBB127_3331:
	s_delay_alu instid0(SALU_CYCLE_1)
	s_and_not1_b32 vcc_lo, exec_lo, s6
	s_cbranch_vccnz .LBB127_3333
; %bb.3332:
	global_load_b32 v1, v[32:33], off
	s_wait_loadcnt 0x0
	v_trunc_f32_e32 v1, v1
	s_delay_alu instid0(VALU_DEP_1) | instskip(SKIP_1) | instid1(VALU_DEP_2)
	v_mul_f32_e64 v3, 0x2f800000, |v1|
	v_ashrrev_i32_e32 v20, 31, v1
	v_floor_f32_e32 v3, v3
	s_delay_alu instid0(VALU_DEP_1) | instskip(SKIP_1) | instid1(VALU_DEP_4)
	v_fma_f32 v5, 0xcf800000, v3, |v1|
	v_cvt_u32_f32_e32 v1, v3
	v_mov_b32_e32 v21, v20
	s_delay_alu instid0(VALU_DEP_3) | instskip(NEXT) | instid1(VALU_DEP_3)
	v_cvt_u32_f32_e32 v3, v5
	v_xor_b32_e32 v35, v1, v20
	s_delay_alu instid0(VALU_DEP_2) | instskip(NEXT) | instid1(VALU_DEP_1)
	v_xor_b32_e32 v34, v3, v20
	v_sub_nc_u64_e32 v[20:21], v[34:35], v[20:21]
.LBB127_3333:
	s_mov_b32 s6, 0
.LBB127_3334:
	s_delay_alu instid0(SALU_CYCLE_1)
	s_and_not1_b32 vcc_lo, exec_lo, s6
	s_cbranch_vccnz .LBB127_3336
; %bb.3335:
	global_load_b32 v1, v[32:33], off
	s_wait_loadcnt 0x0
	v_cvt_f32_f16_e32 v1, v1
	s_delay_alu instid0(VALU_DEP_1) | instskip(NEXT) | instid1(VALU_DEP_1)
	v_cvt_i32_f32_e32 v20, v1
	v_ashrrev_i32_e32 v21, 31, v20
.LBB127_3336:
	s_mov_b32 s6, 0
.LBB127_3337:
	s_delay_alu instid0(SALU_CYCLE_1)
	s_and_not1_b32 vcc_lo, exec_lo, s6
	s_cbranch_vccnz .LBB127_3348
; %bb.3338:
	s_cmp_lt_i32 s13, 6
	s_cbranch_scc1 .LBB127_3341
; %bb.3339:
	s_cmp_gt_i32 s13, 6
	s_cbranch_scc0 .LBB127_3342
; %bb.3340:
	s_wait_loadcnt 0x0
	global_load_b64 v[20:21], v[32:33], off
	s_mov_b32 s6, 0
	s_wait_loadcnt 0x0
	v_trunc_f64_e32 v[20:21], v[20:21]
	s_delay_alu instid0(VALU_DEP_1) | instskip(NEXT) | instid1(VALU_DEP_1)
	v_ldexp_f64 v[34:35], v[20:21], 0xffffffe0
	v_floor_f64_e32 v[34:35], v[34:35]
	s_delay_alu instid0(VALU_DEP_1) | instskip(SKIP_1) | instid1(VALU_DEP_2)
	v_fmamk_f64 v[36:37], v[34:35], 0xc1f00000, v[20:21]
	v_cvt_i32_f64_e32 v21, v[34:35]
	v_cvt_u32_f64_e32 v20, v[36:37]
	s_branch .LBB127_3343
.LBB127_3341:
	s_mov_b32 s6, -1
                                        ; implicit-def: $vgpr20_vgpr21
	s_branch .LBB127_3346
.LBB127_3342:
	s_mov_b32 s6, -1
                                        ; implicit-def: $vgpr20_vgpr21
.LBB127_3343:
	s_delay_alu instid0(SALU_CYCLE_1)
	s_and_not1_b32 vcc_lo, exec_lo, s6
	s_cbranch_vccnz .LBB127_3345
; %bb.3344:
	global_load_b32 v1, v[32:33], off
	s_wait_loadcnt 0x0
	v_trunc_f32_e32 v1, v1
	s_delay_alu instid0(VALU_DEP_1) | instskip(SKIP_1) | instid1(VALU_DEP_2)
	v_mul_f32_e64 v3, 0x2f800000, |v1|
	v_ashrrev_i32_e32 v20, 31, v1
	v_floor_f32_e32 v3, v3
	s_delay_alu instid0(VALU_DEP_1) | instskip(SKIP_1) | instid1(VALU_DEP_4)
	v_fma_f32 v5, 0xcf800000, v3, |v1|
	v_cvt_u32_f32_e32 v1, v3
	v_mov_b32_e32 v21, v20
	s_delay_alu instid0(VALU_DEP_3) | instskip(NEXT) | instid1(VALU_DEP_3)
	v_cvt_u32_f32_e32 v3, v5
	v_xor_b32_e32 v35, v1, v20
	s_delay_alu instid0(VALU_DEP_2) | instskip(NEXT) | instid1(VALU_DEP_1)
	v_xor_b32_e32 v34, v3, v20
	v_sub_nc_u64_e32 v[20:21], v[34:35], v[20:21]
.LBB127_3345:
	s_mov_b32 s6, 0
.LBB127_3346:
	s_delay_alu instid0(SALU_CYCLE_1)
	s_and_not1_b32 vcc_lo, exec_lo, s6
	s_cbranch_vccnz .LBB127_3348
; %bb.3347:
	global_load_u16 v1, v[32:33], off
	s_wait_loadcnt 0x0
	v_cvt_f32_f16_e32 v1, v1
	s_delay_alu instid0(VALU_DEP_1) | instskip(NEXT) | instid1(VALU_DEP_1)
	v_cvt_i32_f32_e32 v20, v1
	v_ashrrev_i32_e32 v21, 31, v20
.LBB127_3348:
	s_mov_b32 s6, 0
.LBB127_3349:
	s_delay_alu instid0(SALU_CYCLE_1)
	s_and_not1_b32 vcc_lo, exec_lo, s6
	s_cbranch_vccnz .LBB127_3369
; %bb.3350:
	s_cmp_lt_i32 s13, 2
	s_cbranch_scc1 .LBB127_3354
; %bb.3351:
	s_cmp_lt_i32 s13, 3
	s_cbranch_scc1 .LBB127_3355
; %bb.3352:
	s_cmp_gt_i32 s13, 3
	s_cbranch_scc0 .LBB127_3356
; %bb.3353:
	s_wait_loadcnt 0x0
	global_load_b64 v[20:21], v[32:33], off
	s_mov_b32 s6, 0
	s_branch .LBB127_3357
.LBB127_3354:
	s_mov_b32 s6, -1
                                        ; implicit-def: $vgpr20_vgpr21
	s_branch .LBB127_3363
.LBB127_3355:
	s_mov_b32 s6, -1
                                        ; implicit-def: $vgpr20_vgpr21
	s_branch .LBB127_3360
.LBB127_3356:
	s_mov_b32 s6, -1
                                        ; implicit-def: $vgpr20_vgpr21
.LBB127_3357:
	s_delay_alu instid0(SALU_CYCLE_1)
	s_and_not1_b32 vcc_lo, exec_lo, s6
	s_cbranch_vccnz .LBB127_3359
; %bb.3358:
	s_wait_loadcnt 0x0
	global_load_b32 v20, v[32:33], off
	s_wait_loadcnt 0x0
	v_ashrrev_i32_e32 v21, 31, v20
.LBB127_3359:
	s_mov_b32 s6, 0
.LBB127_3360:
	s_delay_alu instid0(SALU_CYCLE_1)
	s_and_not1_b32 vcc_lo, exec_lo, s6
	s_cbranch_vccnz .LBB127_3362
; %bb.3361:
	global_load_u16 v1, v[32:33], off
	s_wait_loadcnt 0x0
	v_bfe_i32 v20, v1, 0, 16
	s_delay_alu instid0(VALU_DEP_1)
	v_ashrrev_i32_e32 v21, 31, v20
.LBB127_3362:
	s_mov_b32 s6, 0
.LBB127_3363:
	s_delay_alu instid0(SALU_CYCLE_1)
	s_and_not1_b32 vcc_lo, exec_lo, s6
	s_cbranch_vccnz .LBB127_3369
; %bb.3364:
	s_cmp_gt_i32 s13, 0
	s_mov_b32 s6, 0
	s_cbranch_scc0 .LBB127_3366
; %bb.3365:
	global_load_i8 v1, v[32:33], off
	s_wait_loadcnt 0x0
	v_bfe_i32 v20, v1, 0, 16
	s_delay_alu instid0(VALU_DEP_1)
	v_ashrrev_i32_e32 v21, 31, v20
	s_branch .LBB127_3367
.LBB127_3366:
	s_mov_b32 s6, -1
                                        ; implicit-def: $vgpr20_vgpr21
.LBB127_3367:
	s_delay_alu instid0(SALU_CYCLE_1)
	s_and_not1_b32 vcc_lo, exec_lo, s6
	s_cbranch_vccnz .LBB127_3369
; %bb.3368:
	global_load_u8 v1, v[32:33], off
	s_mov_b32 s6, 0
	s_wait_loadcnt 0x1
	v_mov_b32_e32 v21, s6
	s_wait_loadcnt 0x0
	v_and_b32_e32 v20, 0xffff, v1
.LBB127_3369:
	s_mov_b32 s16, -1
.LBB127_3370:
	s_delay_alu instid0(SALU_CYCLE_1)
	s_and_not1_b32 vcc_lo, exec_lo, s16
	s_cbranch_vccnz .LBB127_4058
; %bb.3371:
	v_mov_b32_e32 v15, 0
	s_cmp_lt_i32 s14, 11
	s_wait_xcnt 0x0
	s_delay_alu instid0(VALU_DEP_1)
	v_add_nc_u64_e32 v[32:33], s[0:1], v[14:15]
	s_cbranch_scc1 .LBB127_3378
; %bb.3372:
	s_cmp_gt_i32 s14, 25
	s_mov_b32 s1, 0
	s_cbranch_scc0 .LBB127_3379
; %bb.3373:
	s_cmp_gt_i32 s14, 28
	s_cbranch_scc0 .LBB127_3380
; %bb.3374:
	s_cmp_gt_i32 s14, 43
	;; [unrolled: 3-line block ×3, first 2 shown]
	s_cbranch_scc0 .LBB127_3383
; %bb.3376:
	s_cmp_eq_u32 s14, 46
	s_mov_b32 s7, 0
	s_cbranch_scc0 .LBB127_3384
; %bb.3377:
	global_load_b32 v1, v[32:33], off
	s_mov_b32 s0, 0
	s_mov_b32 s6, -1
	s_wait_loadcnt 0x0
	v_lshlrev_b32_e32 v1, 16, v1
	s_delay_alu instid0(VALU_DEP_1) | instskip(NEXT) | instid1(VALU_DEP_1)
	v_trunc_f32_e32 v1, v1
	v_mul_f32_e64 v3, 0x2f800000, |v1|
	v_ashrrev_i32_e32 v14, 31, v1
	s_delay_alu instid0(VALU_DEP_2) | instskip(NEXT) | instid1(VALU_DEP_2)
	v_floor_f32_e32 v3, v3
	v_mov_b32_e32 v15, v14
	s_delay_alu instid0(VALU_DEP_2) | instskip(SKIP_1) | instid1(VALU_DEP_2)
	v_fma_f32 v5, 0xcf800000, v3, |v1|
	v_cvt_u32_f32_e32 v1, v3
	v_cvt_u32_f32_e32 v3, v5
	s_delay_alu instid0(VALU_DEP_2) | instskip(NEXT) | instid1(VALU_DEP_2)
	v_xor_b32_e32 v35, v1, v14
	v_xor_b32_e32 v34, v3, v14
	s_delay_alu instid0(VALU_DEP_1)
	v_sub_nc_u64_e32 v[14:15], v[34:35], v[14:15]
	s_branch .LBB127_3386
.LBB127_3378:
	s_mov_b32 s0, -1
	s_mov_b32 s6, 0
                                        ; implicit-def: $vgpr14_vgpr15
	s_branch .LBB127_3448
.LBB127_3379:
	s_mov_b32 s7, -1
	s_mov_b32 s6, 0
	s_mov_b32 s0, 0
                                        ; implicit-def: $vgpr14_vgpr15
	s_branch .LBB127_3413
.LBB127_3380:
	s_mov_b32 s7, -1
	s_mov_b32 s6, 0
	s_mov_b32 s0, 0
                                        ; implicit-def: $vgpr14_vgpr15
	s_branch .LBB127_3396
.LBB127_3381:
	s_mov_b32 s7, -1
	s_mov_b32 s6, 0
	s_mov_b32 s0, 0
                                        ; implicit-def: $vgpr14_vgpr15
	s_branch .LBB127_3391
.LBB127_3382:
	s_or_b32 s12, s12, exec_lo
	s_trap 2
	s_cbranch_execz .LBB127_3319
	s_branch .LBB127_3320
.LBB127_3383:
	s_mov_b32 s7, -1
	s_mov_b32 s6, 0
	s_mov_b32 s0, 0
	s_branch .LBB127_3385
.LBB127_3384:
	s_mov_b32 s0, -1
	s_mov_b32 s6, 0
.LBB127_3385:
                                        ; implicit-def: $vgpr14_vgpr15
.LBB127_3386:
	s_and_b32 vcc_lo, exec_lo, s7
	s_cbranch_vccz .LBB127_3390
; %bb.3387:
	s_cmp_eq_u32 s14, 44
	s_cbranch_scc0 .LBB127_3389
; %bb.3388:
	global_load_u8 v1, v[32:33], off
	s_mov_b32 s0, 0
	s_mov_b32 s6, -1
	s_wait_loadcnt 0x0
	v_lshlrev_b32_e32 v3, 23, v1
	v_cmp_ne_u32_e32 vcc_lo, 0, v1
	s_delay_alu instid0(VALU_DEP_2) | instskip(NEXT) | instid1(VALU_DEP_1)
	v_trunc_f32_e32 v3, v3
	v_mul_f32_e64 v5, 0x2f800000, |v3|
	v_ashrrev_i32_e32 v14, 31, v3
	s_delay_alu instid0(VALU_DEP_2) | instskip(NEXT) | instid1(VALU_DEP_2)
	v_floor_f32_e32 v5, v5
	v_mov_b32_e32 v15, v14
	s_delay_alu instid0(VALU_DEP_2) | instskip(SKIP_1) | instid1(VALU_DEP_2)
	v_fma_f32 v7, 0xcf800000, v5, |v3|
	v_cvt_u32_f32_e32 v3, v5
	v_cvt_u32_f32_e32 v5, v7
	s_delay_alu instid0(VALU_DEP_2) | instskip(NEXT) | instid1(VALU_DEP_2)
	v_xor_b32_e32 v35, v3, v14
	v_xor_b32_e32 v34, v5, v14
	s_delay_alu instid0(VALU_DEP_1) | instskip(NEXT) | instid1(VALU_DEP_1)
	v_sub_nc_u64_e32 v[14:15], v[34:35], v[14:15]
	v_dual_cndmask_b32 v15, 0, v15 :: v_dual_cndmask_b32 v14, 0, v14
	s_branch .LBB127_3390
.LBB127_3389:
	s_mov_b32 s0, -1
                                        ; implicit-def: $vgpr14_vgpr15
.LBB127_3390:
	s_mov_b32 s7, 0
.LBB127_3391:
	s_delay_alu instid0(SALU_CYCLE_1)
	s_and_b32 vcc_lo, exec_lo, s7
	s_cbranch_vccz .LBB127_3395
; %bb.3392:
	s_cmp_eq_u32 s14, 29
	s_cbranch_scc0 .LBB127_3394
; %bb.3393:
	global_load_b64 v[14:15], v[32:33], off
	s_mov_b32 s0, 0
	s_mov_b32 s6, -1
	s_branch .LBB127_3395
.LBB127_3394:
	s_mov_b32 s0, -1
                                        ; implicit-def: $vgpr14_vgpr15
.LBB127_3395:
	s_mov_b32 s7, 0
.LBB127_3396:
	s_delay_alu instid0(SALU_CYCLE_1)
	s_and_b32 vcc_lo, exec_lo, s7
	s_cbranch_vccz .LBB127_3412
; %bb.3397:
	s_cmp_lt_i32 s14, 27
	s_cbranch_scc1 .LBB127_3400
; %bb.3398:
	s_cmp_gt_i32 s14, 27
	s_cbranch_scc0 .LBB127_3401
; %bb.3399:
	s_wait_loadcnt 0x0
	global_load_b32 v14, v[32:33], off
	v_mov_b32_e32 v15, 0
	s_mov_b32 s6, 0
	s_branch .LBB127_3402
.LBB127_3400:
	s_mov_b32 s6, -1
                                        ; implicit-def: $vgpr14_vgpr15
	s_branch .LBB127_3405
.LBB127_3401:
	s_mov_b32 s6, -1
                                        ; implicit-def: $vgpr14_vgpr15
.LBB127_3402:
	s_delay_alu instid0(SALU_CYCLE_1)
	s_and_not1_b32 vcc_lo, exec_lo, s6
	s_cbranch_vccnz .LBB127_3404
; %bb.3403:
	global_load_u16 v1, v[32:33], off
	s_mov_b32 s6, 0
	s_wait_loadcnt 0x1
	v_mov_b32_e32 v15, s6
	s_wait_loadcnt 0x0
	v_and_b32_e32 v14, 0xffff, v1
.LBB127_3404:
	s_mov_b32 s6, 0
.LBB127_3405:
	s_delay_alu instid0(SALU_CYCLE_1)
	s_and_not1_b32 vcc_lo, exec_lo, s6
	s_cbranch_vccnz .LBB127_3411
; %bb.3406:
	global_load_u8 v1, v[32:33], off
	s_mov_b32 s7, 0
	s_mov_b32 s6, exec_lo
	s_wait_loadcnt 0x0
	v_cmpx_lt_i16_e32 0x7f, v1
	s_xor_b32 s6, exec_lo, s6
	s_cbranch_execz .LBB127_3423
; %bb.3407:
	v_cmp_ne_u16_e32 vcc_lo, 0x80, v1
	s_and_b32 s7, vcc_lo, exec_lo
	s_and_not1_saveexec_b32 s6, s6
	s_cbranch_execnz .LBB127_3424
.LBB127_3408:
	s_or_b32 exec_lo, exec_lo, s6
	v_mov_b64_e32 v[14:15], 0
	s_and_saveexec_b32 s6, s7
	s_cbranch_execz .LBB127_3410
.LBB127_3409:
	v_and_b32_e32 v3, 0xffff, v1
	s_delay_alu instid0(VALU_DEP_1) | instskip(SKIP_1) | instid1(VALU_DEP_2)
	v_dual_lshlrev_b32 v1, 24, v1 :: v_dual_bitop2_b32 v5, 7, v3 bitop3:0x40
	v_bfe_u32 v14, v3, 3, 4
	v_and_b32_e32 v1, 0x80000000, v1
	s_delay_alu instid0(VALU_DEP_3) | instskip(NEXT) | instid1(VALU_DEP_3)
	v_clz_i32_u32_e32 v7, v5
	v_cmp_eq_u32_e32 vcc_lo, 0, v14
	s_delay_alu instid0(VALU_DEP_2) | instskip(NEXT) | instid1(VALU_DEP_1)
	v_min_u32_e32 v7, 32, v7
	v_subrev_nc_u32_e32 v11, 28, v7
	v_sub_nc_u32_e32 v7, 29, v7
	s_delay_alu instid0(VALU_DEP_2) | instskip(NEXT) | instid1(VALU_DEP_2)
	v_lshlrev_b32_e32 v3, v11, v3
	v_cndmask_b32_e32 v7, v14, v7, vcc_lo
	s_delay_alu instid0(VALU_DEP_2) | instskip(NEXT) | instid1(VALU_DEP_1)
	v_and_b32_e32 v3, 7, v3
	v_cndmask_b32_e32 v3, v5, v3, vcc_lo
	s_delay_alu instid0(VALU_DEP_3) | instskip(NEXT) | instid1(VALU_DEP_2)
	v_lshl_add_u32 v5, v7, 23, 0x3b800000
	v_lshlrev_b32_e32 v3, 20, v3
	s_delay_alu instid0(VALU_DEP_1) | instskip(NEXT) | instid1(VALU_DEP_1)
	v_or3_b32 v1, v1, v5, v3
	v_trunc_f32_e32 v1, v1
	s_delay_alu instid0(VALU_DEP_1) | instskip(SKIP_1) | instid1(VALU_DEP_2)
	v_mul_f32_e64 v3, 0x2f800000, |v1|
	v_ashrrev_i32_e32 v14, 31, v1
	v_floor_f32_e32 v3, v3
	s_delay_alu instid0(VALU_DEP_2) | instskip(NEXT) | instid1(VALU_DEP_2)
	v_mov_b32_e32 v15, v14
	v_fma_f32 v5, 0xcf800000, v3, |v1|
	v_cvt_u32_f32_e32 v1, v3
	s_delay_alu instid0(VALU_DEP_2) | instskip(NEXT) | instid1(VALU_DEP_2)
	v_cvt_u32_f32_e32 v3, v5
	v_xor_b32_e32 v35, v1, v14
	s_delay_alu instid0(VALU_DEP_2) | instskip(NEXT) | instid1(VALU_DEP_1)
	v_xor_b32_e32 v34, v3, v14
	v_sub_nc_u64_e32 v[14:15], v[34:35], v[14:15]
.LBB127_3410:
	s_or_b32 exec_lo, exec_lo, s6
.LBB127_3411:
	s_mov_b32 s6, -1
.LBB127_3412:
	s_mov_b32 s7, 0
.LBB127_3413:
	s_delay_alu instid0(SALU_CYCLE_1)
	s_and_b32 vcc_lo, exec_lo, s7
	s_cbranch_vccz .LBB127_3444
; %bb.3414:
	s_cmp_gt_i32 s14, 22
	s_cbranch_scc0 .LBB127_3422
; %bb.3415:
	s_cmp_lt_i32 s14, 24
	s_cbranch_scc1 .LBB127_3425
; %bb.3416:
	s_cmp_gt_i32 s14, 24
	s_cbranch_scc0 .LBB127_3426
; %bb.3417:
	global_load_u8 v1, v[32:33], off
	s_mov_b32 s6, 0
	s_mov_b32 s1, exec_lo
	s_wait_loadcnt 0x0
	v_cmpx_lt_i16_e32 0x7f, v1
	s_xor_b32 s1, exec_lo, s1
	s_cbranch_execz .LBB127_3438
; %bb.3418:
	v_cmp_ne_u16_e32 vcc_lo, 0x80, v1
	s_and_b32 s6, vcc_lo, exec_lo
	s_and_not1_saveexec_b32 s1, s1
	s_cbranch_execnz .LBB127_3439
.LBB127_3419:
	s_or_b32 exec_lo, exec_lo, s1
	v_mov_b64_e32 v[14:15], 0
	s_and_saveexec_b32 s1, s6
	s_cbranch_execz .LBB127_3421
.LBB127_3420:
	v_and_b32_e32 v3, 0xffff, v1
	s_delay_alu instid0(VALU_DEP_1) | instskip(SKIP_1) | instid1(VALU_DEP_2)
	v_dual_lshlrev_b32 v1, 24, v1 :: v_dual_bitop2_b32 v5, 3, v3 bitop3:0x40
	v_bfe_u32 v14, v3, 2, 5
	v_and_b32_e32 v1, 0x80000000, v1
	s_delay_alu instid0(VALU_DEP_3) | instskip(NEXT) | instid1(VALU_DEP_3)
	v_clz_i32_u32_e32 v7, v5
	v_cmp_eq_u32_e32 vcc_lo, 0, v14
	s_delay_alu instid0(VALU_DEP_2) | instskip(NEXT) | instid1(VALU_DEP_1)
	v_min_u32_e32 v7, 32, v7
	v_subrev_nc_u32_e32 v11, 29, v7
	v_sub_nc_u32_e32 v7, 30, v7
	s_delay_alu instid0(VALU_DEP_2) | instskip(NEXT) | instid1(VALU_DEP_2)
	v_lshlrev_b32_e32 v3, v11, v3
	v_cndmask_b32_e32 v7, v14, v7, vcc_lo
	s_delay_alu instid0(VALU_DEP_2) | instskip(NEXT) | instid1(VALU_DEP_1)
	v_and_b32_e32 v3, 3, v3
	v_cndmask_b32_e32 v3, v5, v3, vcc_lo
	s_delay_alu instid0(VALU_DEP_3) | instskip(NEXT) | instid1(VALU_DEP_2)
	v_lshl_add_u32 v5, v7, 23, 0x37800000
	v_lshlrev_b32_e32 v3, 21, v3
	s_delay_alu instid0(VALU_DEP_1) | instskip(NEXT) | instid1(VALU_DEP_1)
	v_or3_b32 v1, v1, v5, v3
	v_trunc_f32_e32 v1, v1
	s_delay_alu instid0(VALU_DEP_1) | instskip(SKIP_1) | instid1(VALU_DEP_2)
	v_mul_f32_e64 v3, 0x2f800000, |v1|
	v_ashrrev_i32_e32 v14, 31, v1
	v_floor_f32_e32 v3, v3
	s_delay_alu instid0(VALU_DEP_2) | instskip(NEXT) | instid1(VALU_DEP_2)
	v_mov_b32_e32 v15, v14
	v_fma_f32 v5, 0xcf800000, v3, |v1|
	v_cvt_u32_f32_e32 v1, v3
	s_delay_alu instid0(VALU_DEP_2) | instskip(NEXT) | instid1(VALU_DEP_2)
	v_cvt_u32_f32_e32 v3, v5
	v_xor_b32_e32 v35, v1, v14
	s_delay_alu instid0(VALU_DEP_2) | instskip(NEXT) | instid1(VALU_DEP_1)
	v_xor_b32_e32 v34, v3, v14
	v_sub_nc_u64_e32 v[14:15], v[34:35], v[14:15]
.LBB127_3421:
	s_or_b32 exec_lo, exec_lo, s1
	s_mov_b32 s1, 0
	s_branch .LBB127_3427
.LBB127_3422:
	s_mov_b32 s1, -1
                                        ; implicit-def: $vgpr14_vgpr15
	s_branch .LBB127_3433
.LBB127_3423:
	s_and_not1_saveexec_b32 s6, s6
	s_cbranch_execz .LBB127_3408
.LBB127_3424:
	v_cmp_ne_u16_e32 vcc_lo, 0, v1
	s_and_not1_b32 s7, s7, exec_lo
	s_and_b32 s13, vcc_lo, exec_lo
	s_delay_alu instid0(SALU_CYCLE_1)
	s_or_b32 s7, s7, s13
	s_or_b32 exec_lo, exec_lo, s6
	v_mov_b64_e32 v[14:15], 0
	s_and_saveexec_b32 s6, s7
	s_cbranch_execnz .LBB127_3409
	s_branch .LBB127_3410
.LBB127_3425:
	s_mov_b32 s1, -1
                                        ; implicit-def: $vgpr14_vgpr15
	s_branch .LBB127_3430
.LBB127_3426:
	s_mov_b32 s1, -1
                                        ; implicit-def: $vgpr14_vgpr15
.LBB127_3427:
	s_delay_alu instid0(SALU_CYCLE_1)
	s_and_b32 vcc_lo, exec_lo, s1
	s_cbranch_vccz .LBB127_3429
; %bb.3428:
	global_load_u8 v1, v[32:33], off
	s_wait_loadcnt 0x0
	v_lshlrev_b32_e32 v1, 24, v1
	s_delay_alu instid0(VALU_DEP_1) | instskip(NEXT) | instid1(VALU_DEP_1)
	v_and_b32_e32 v3, 0x7f000000, v1
	v_clz_i32_u32_e32 v5, v3
	v_add_nc_u32_e32 v11, 0x1000000, v3
	v_cmp_ne_u32_e32 vcc_lo, 0, v3
	s_delay_alu instid0(VALU_DEP_3) | instskip(NEXT) | instid1(VALU_DEP_1)
	v_min_u32_e32 v5, 32, v5
	v_sub_nc_u32_e64 v5, v5, 4 clamp
	s_delay_alu instid0(VALU_DEP_1) | instskip(NEXT) | instid1(VALU_DEP_1)
	v_dual_lshlrev_b32 v7, v5, v3 :: v_dual_lshlrev_b32 v5, 23, v5
	v_lshrrev_b32_e32 v7, 4, v7
	s_delay_alu instid0(VALU_DEP_1) | instskip(NEXT) | instid1(VALU_DEP_1)
	v_dual_sub_nc_u32 v5, v7, v5 :: v_dual_ashrrev_i32 v7, 8, v11
	v_add_nc_u32_e32 v5, 0x3c000000, v5
	s_delay_alu instid0(VALU_DEP_1) | instskip(NEXT) | instid1(VALU_DEP_1)
	v_and_or_b32 v5, 0x7f800000, v7, v5
	v_cndmask_b32_e32 v3, 0, v5, vcc_lo
	s_delay_alu instid0(VALU_DEP_1) | instskip(NEXT) | instid1(VALU_DEP_1)
	v_and_or_b32 v1, 0x80000000, v1, v3
	v_trunc_f32_e32 v1, v1
	s_delay_alu instid0(VALU_DEP_1) | instskip(SKIP_1) | instid1(VALU_DEP_2)
	v_mul_f32_e64 v3, 0x2f800000, |v1|
	v_ashrrev_i32_e32 v14, 31, v1
	v_floor_f32_e32 v3, v3
	s_delay_alu instid0(VALU_DEP_2) | instskip(NEXT) | instid1(VALU_DEP_2)
	v_mov_b32_e32 v15, v14
	v_fma_f32 v5, 0xcf800000, v3, |v1|
	v_cvt_u32_f32_e32 v1, v3
	s_delay_alu instid0(VALU_DEP_2) | instskip(NEXT) | instid1(VALU_DEP_2)
	v_cvt_u32_f32_e32 v3, v5
	v_xor_b32_e32 v35, v1, v14
	s_delay_alu instid0(VALU_DEP_2) | instskip(NEXT) | instid1(VALU_DEP_1)
	v_xor_b32_e32 v34, v3, v14
	v_sub_nc_u64_e32 v[14:15], v[34:35], v[14:15]
.LBB127_3429:
	s_mov_b32 s1, 0
.LBB127_3430:
	s_delay_alu instid0(SALU_CYCLE_1)
	s_and_not1_b32 vcc_lo, exec_lo, s1
	s_cbranch_vccnz .LBB127_3432
; %bb.3431:
	global_load_u8 v1, v[32:33], off
	s_wait_loadcnt 0x0
	v_lshlrev_b32_e32 v3, 25, v1
	v_lshlrev_b16 v1, 8, v1
	s_delay_alu instid0(VALU_DEP_1) | instskip(SKIP_1) | instid1(VALU_DEP_2)
	v_and_or_b32 v7, 0x7f00, v1, 0.5
	v_bfe_i32 v1, v1, 0, 16
	v_add_f32_e32 v7, -0.5, v7
	v_lshrrev_b32_e32 v5, 4, v3
	v_cmp_gt_u32_e32 vcc_lo, 0x8000000, v3
	s_delay_alu instid0(VALU_DEP_2) | instskip(NEXT) | instid1(VALU_DEP_1)
	v_or_b32_e32 v5, 0x70000000, v5
	v_mul_f32_e32 v5, 0x7800000, v5
	s_delay_alu instid0(VALU_DEP_1) | instskip(NEXT) | instid1(VALU_DEP_1)
	v_cndmask_b32_e32 v3, v5, v7, vcc_lo
	v_and_or_b32 v1, 0x80000000, v1, v3
	s_delay_alu instid0(VALU_DEP_1) | instskip(NEXT) | instid1(VALU_DEP_1)
	v_trunc_f32_e32 v1, v1
	v_mul_f32_e64 v3, 0x2f800000, |v1|
	v_ashrrev_i32_e32 v14, 31, v1
	s_delay_alu instid0(VALU_DEP_2) | instskip(NEXT) | instid1(VALU_DEP_2)
	v_floor_f32_e32 v3, v3
	v_mov_b32_e32 v15, v14
	s_delay_alu instid0(VALU_DEP_2) | instskip(SKIP_1) | instid1(VALU_DEP_2)
	v_fma_f32 v5, 0xcf800000, v3, |v1|
	v_cvt_u32_f32_e32 v1, v3
	v_cvt_u32_f32_e32 v3, v5
	s_delay_alu instid0(VALU_DEP_2) | instskip(NEXT) | instid1(VALU_DEP_2)
	v_xor_b32_e32 v35, v1, v14
	v_xor_b32_e32 v34, v3, v14
	s_delay_alu instid0(VALU_DEP_1)
	v_sub_nc_u64_e32 v[14:15], v[34:35], v[14:15]
.LBB127_3432:
	s_mov_b32 s1, 0
	s_mov_b32 s6, -1
.LBB127_3433:
	s_and_not1_b32 vcc_lo, exec_lo, s1
	s_mov_b32 s1, 0
	s_cbranch_vccnz .LBB127_3444
; %bb.3434:
	s_cmp_gt_i32 s14, 14
	s_cbranch_scc0 .LBB127_3437
; %bb.3435:
	s_cmp_eq_u32 s14, 15
	s_cbranch_scc0 .LBB127_3440
; %bb.3436:
	global_load_u16 v1, v[32:33], off
	s_mov_b32 s0, 0
	s_mov_b32 s6, -1
	s_wait_loadcnt 0x0
	v_lshlrev_b32_e32 v1, 16, v1
	s_delay_alu instid0(VALU_DEP_1) | instskip(NEXT) | instid1(VALU_DEP_1)
	v_trunc_f32_e32 v1, v1
	v_mul_f32_e64 v3, 0x2f800000, |v1|
	v_ashrrev_i32_e32 v14, 31, v1
	s_delay_alu instid0(VALU_DEP_2) | instskip(NEXT) | instid1(VALU_DEP_2)
	v_floor_f32_e32 v3, v3
	v_mov_b32_e32 v15, v14
	s_delay_alu instid0(VALU_DEP_2) | instskip(SKIP_1) | instid1(VALU_DEP_2)
	v_fma_f32 v5, 0xcf800000, v3, |v1|
	v_cvt_u32_f32_e32 v1, v3
	v_cvt_u32_f32_e32 v3, v5
	s_delay_alu instid0(VALU_DEP_2) | instskip(NEXT) | instid1(VALU_DEP_2)
	v_xor_b32_e32 v35, v1, v14
	v_xor_b32_e32 v34, v3, v14
	s_delay_alu instid0(VALU_DEP_1)
	v_sub_nc_u64_e32 v[14:15], v[34:35], v[14:15]
	s_branch .LBB127_3442
.LBB127_3437:
	s_mov_b32 s1, -1
	s_branch .LBB127_3441
.LBB127_3438:
	s_and_not1_saveexec_b32 s1, s1
	s_cbranch_execz .LBB127_3419
.LBB127_3439:
	v_cmp_ne_u16_e32 vcc_lo, 0, v1
	s_and_not1_b32 s6, s6, exec_lo
	s_and_b32 s7, vcc_lo, exec_lo
	s_delay_alu instid0(SALU_CYCLE_1)
	s_or_b32 s6, s6, s7
	s_or_b32 exec_lo, exec_lo, s1
	v_mov_b64_e32 v[14:15], 0
	s_and_saveexec_b32 s1, s6
	s_cbranch_execnz .LBB127_3420
	s_branch .LBB127_3421
.LBB127_3440:
	s_mov_b32 s0, -1
.LBB127_3441:
                                        ; implicit-def: $vgpr14_vgpr15
.LBB127_3442:
	s_and_b32 vcc_lo, exec_lo, s1
	s_mov_b32 s1, 0
	s_cbranch_vccz .LBB127_3444
; %bb.3443:
	s_cmp_lg_u32 s14, 11
	s_mov_b32 s1, -1
	s_cselect_b32 s0, -1, 0
.LBB127_3444:
	s_delay_alu instid0(SALU_CYCLE_1)
	s_and_b32 vcc_lo, exec_lo, s0
	s_cbranch_vccnz .LBB127_3509
; %bb.3445:
	s_and_not1_b32 vcc_lo, exec_lo, s1
	s_cbranch_vccnz .LBB127_3447
.LBB127_3446:
	global_load_u8 v1, v[32:33], off
	s_mov_b32 s0, 0
	s_mov_b32 s6, -1
	s_wait_loadcnt 0x1
	v_mov_b32_e32 v15, s0
	s_wait_loadcnt 0x0
	v_cmp_ne_u16_e32 vcc_lo, 0, v1
	v_cndmask_b32_e64 v14, 0, 1, vcc_lo
.LBB127_3447:
	s_mov_b32 s0, 0
.LBB127_3448:
	s_delay_alu instid0(SALU_CYCLE_1)
	s_and_b32 vcc_lo, exec_lo, s0
	s_cbranch_vccz .LBB127_3497
; %bb.3449:
	s_cmp_lt_i32 s14, 5
	s_cbranch_scc1 .LBB127_3454
; %bb.3450:
	s_cmp_lt_i32 s14, 8
	s_cbranch_scc1 .LBB127_3455
	;; [unrolled: 3-line block ×3, first 2 shown]
; %bb.3452:
	s_cmp_gt_i32 s14, 9
	s_cbranch_scc0 .LBB127_3457
; %bb.3453:
	s_wait_loadcnt 0x0
	global_load_b64 v[14:15], v[32:33], off
	s_mov_b32 s0, 0
	s_wait_loadcnt 0x0
	v_trunc_f64_e32 v[14:15], v[14:15]
	s_delay_alu instid0(VALU_DEP_1) | instskip(NEXT) | instid1(VALU_DEP_1)
	v_ldexp_f64 v[34:35], v[14:15], 0xffffffe0
	v_floor_f64_e32 v[34:35], v[34:35]
	s_delay_alu instid0(VALU_DEP_1) | instskip(SKIP_1) | instid1(VALU_DEP_2)
	v_fmamk_f64 v[36:37], v[34:35], 0xc1f00000, v[14:15]
	v_cvt_i32_f64_e32 v15, v[34:35]
	v_cvt_u32_f64_e32 v14, v[36:37]
	s_branch .LBB127_3458
.LBB127_3454:
	s_mov_b32 s0, -1
                                        ; implicit-def: $vgpr14_vgpr15
	s_branch .LBB127_3476
.LBB127_3455:
	s_mov_b32 s0, -1
                                        ; implicit-def: $vgpr14_vgpr15
	s_branch .LBB127_3464
.LBB127_3456:
	s_mov_b32 s0, -1
                                        ; implicit-def: $vgpr14_vgpr15
	s_branch .LBB127_3461
.LBB127_3457:
	s_mov_b32 s0, -1
                                        ; implicit-def: $vgpr14_vgpr15
.LBB127_3458:
	s_delay_alu instid0(SALU_CYCLE_1)
	s_and_not1_b32 vcc_lo, exec_lo, s0
	s_cbranch_vccnz .LBB127_3460
; %bb.3459:
	global_load_b32 v1, v[32:33], off
	s_wait_loadcnt 0x0
	v_trunc_f32_e32 v1, v1
	s_delay_alu instid0(VALU_DEP_1) | instskip(SKIP_1) | instid1(VALU_DEP_2)
	v_mul_f32_e64 v3, 0x2f800000, |v1|
	v_ashrrev_i32_e32 v14, 31, v1
	v_floor_f32_e32 v3, v3
	s_delay_alu instid0(VALU_DEP_1) | instskip(SKIP_1) | instid1(VALU_DEP_4)
	v_fma_f32 v5, 0xcf800000, v3, |v1|
	v_cvt_u32_f32_e32 v1, v3
	v_mov_b32_e32 v15, v14
	s_delay_alu instid0(VALU_DEP_3) | instskip(NEXT) | instid1(VALU_DEP_3)
	v_cvt_u32_f32_e32 v3, v5
	v_xor_b32_e32 v35, v1, v14
	s_delay_alu instid0(VALU_DEP_2) | instskip(NEXT) | instid1(VALU_DEP_1)
	v_xor_b32_e32 v34, v3, v14
	v_sub_nc_u64_e32 v[14:15], v[34:35], v[14:15]
.LBB127_3460:
	s_mov_b32 s0, 0
.LBB127_3461:
	s_delay_alu instid0(SALU_CYCLE_1)
	s_and_not1_b32 vcc_lo, exec_lo, s0
	s_cbranch_vccnz .LBB127_3463
; %bb.3462:
	global_load_b32 v1, v[32:33], off
	s_wait_loadcnt 0x0
	v_cvt_f32_f16_e32 v1, v1
	s_delay_alu instid0(VALU_DEP_1) | instskip(NEXT) | instid1(VALU_DEP_1)
	v_cvt_i32_f32_e32 v14, v1
	v_ashrrev_i32_e32 v15, 31, v14
.LBB127_3463:
	s_mov_b32 s0, 0
.LBB127_3464:
	s_delay_alu instid0(SALU_CYCLE_1)
	s_and_not1_b32 vcc_lo, exec_lo, s0
	s_cbranch_vccnz .LBB127_3475
; %bb.3465:
	s_cmp_lt_i32 s14, 6
	s_cbranch_scc1 .LBB127_3468
; %bb.3466:
	s_cmp_gt_i32 s14, 6
	s_cbranch_scc0 .LBB127_3469
; %bb.3467:
	s_wait_loadcnt 0x0
	global_load_b64 v[14:15], v[32:33], off
	s_mov_b32 s0, 0
	s_wait_loadcnt 0x0
	v_trunc_f64_e32 v[14:15], v[14:15]
	s_delay_alu instid0(VALU_DEP_1) | instskip(NEXT) | instid1(VALU_DEP_1)
	v_ldexp_f64 v[34:35], v[14:15], 0xffffffe0
	v_floor_f64_e32 v[34:35], v[34:35]
	s_delay_alu instid0(VALU_DEP_1) | instskip(SKIP_1) | instid1(VALU_DEP_2)
	v_fmamk_f64 v[36:37], v[34:35], 0xc1f00000, v[14:15]
	v_cvt_i32_f64_e32 v15, v[34:35]
	v_cvt_u32_f64_e32 v14, v[36:37]
	s_branch .LBB127_3470
.LBB127_3468:
	s_mov_b32 s0, -1
                                        ; implicit-def: $vgpr14_vgpr15
	s_branch .LBB127_3473
.LBB127_3469:
	s_mov_b32 s0, -1
                                        ; implicit-def: $vgpr14_vgpr15
.LBB127_3470:
	s_delay_alu instid0(SALU_CYCLE_1)
	s_and_not1_b32 vcc_lo, exec_lo, s0
	s_cbranch_vccnz .LBB127_3472
; %bb.3471:
	global_load_b32 v1, v[32:33], off
	s_wait_loadcnt 0x0
	v_trunc_f32_e32 v1, v1
	s_delay_alu instid0(VALU_DEP_1) | instskip(SKIP_1) | instid1(VALU_DEP_2)
	v_mul_f32_e64 v3, 0x2f800000, |v1|
	v_ashrrev_i32_e32 v14, 31, v1
	v_floor_f32_e32 v3, v3
	s_delay_alu instid0(VALU_DEP_1) | instskip(SKIP_1) | instid1(VALU_DEP_4)
	v_fma_f32 v5, 0xcf800000, v3, |v1|
	v_cvt_u32_f32_e32 v1, v3
	v_mov_b32_e32 v15, v14
	s_delay_alu instid0(VALU_DEP_3) | instskip(NEXT) | instid1(VALU_DEP_3)
	v_cvt_u32_f32_e32 v3, v5
	v_xor_b32_e32 v35, v1, v14
	s_delay_alu instid0(VALU_DEP_2) | instskip(NEXT) | instid1(VALU_DEP_1)
	v_xor_b32_e32 v34, v3, v14
	v_sub_nc_u64_e32 v[14:15], v[34:35], v[14:15]
.LBB127_3472:
	s_mov_b32 s0, 0
.LBB127_3473:
	s_delay_alu instid0(SALU_CYCLE_1)
	s_and_not1_b32 vcc_lo, exec_lo, s0
	s_cbranch_vccnz .LBB127_3475
; %bb.3474:
	global_load_u16 v1, v[32:33], off
	s_wait_loadcnt 0x0
	v_cvt_f32_f16_e32 v1, v1
	s_delay_alu instid0(VALU_DEP_1) | instskip(NEXT) | instid1(VALU_DEP_1)
	v_cvt_i32_f32_e32 v14, v1
	v_ashrrev_i32_e32 v15, 31, v14
.LBB127_3475:
	s_mov_b32 s0, 0
.LBB127_3476:
	s_delay_alu instid0(SALU_CYCLE_1)
	s_and_not1_b32 vcc_lo, exec_lo, s0
	s_cbranch_vccnz .LBB127_3496
; %bb.3477:
	s_cmp_lt_i32 s14, 2
	s_cbranch_scc1 .LBB127_3481
; %bb.3478:
	s_cmp_lt_i32 s14, 3
	s_cbranch_scc1 .LBB127_3482
; %bb.3479:
	s_cmp_gt_i32 s14, 3
	s_cbranch_scc0 .LBB127_3483
; %bb.3480:
	s_wait_loadcnt 0x0
	global_load_b64 v[14:15], v[32:33], off
	s_mov_b32 s0, 0
	s_branch .LBB127_3484
.LBB127_3481:
	s_mov_b32 s0, -1
                                        ; implicit-def: $vgpr14_vgpr15
	s_branch .LBB127_3490
.LBB127_3482:
	s_mov_b32 s0, -1
                                        ; implicit-def: $vgpr14_vgpr15
	s_branch .LBB127_3487
.LBB127_3483:
	s_mov_b32 s0, -1
                                        ; implicit-def: $vgpr14_vgpr15
.LBB127_3484:
	s_delay_alu instid0(SALU_CYCLE_1)
	s_and_not1_b32 vcc_lo, exec_lo, s0
	s_cbranch_vccnz .LBB127_3486
; %bb.3485:
	s_wait_loadcnt 0x0
	global_load_b32 v14, v[32:33], off
	s_wait_loadcnt 0x0
	v_ashrrev_i32_e32 v15, 31, v14
.LBB127_3486:
	s_mov_b32 s0, 0
.LBB127_3487:
	s_delay_alu instid0(SALU_CYCLE_1)
	s_and_not1_b32 vcc_lo, exec_lo, s0
	s_cbranch_vccnz .LBB127_3489
; %bb.3488:
	global_load_u16 v1, v[32:33], off
	s_wait_loadcnt 0x0
	v_bfe_i32 v14, v1, 0, 16
	s_delay_alu instid0(VALU_DEP_1)
	v_ashrrev_i32_e32 v15, 31, v14
.LBB127_3489:
	s_mov_b32 s0, 0
.LBB127_3490:
	s_delay_alu instid0(SALU_CYCLE_1)
	s_and_not1_b32 vcc_lo, exec_lo, s0
	s_cbranch_vccnz .LBB127_3496
; %bb.3491:
	s_cmp_gt_i32 s14, 0
	s_mov_b32 s0, 0
	s_cbranch_scc0 .LBB127_3493
; %bb.3492:
	global_load_i8 v1, v[32:33], off
	s_wait_loadcnt 0x0
	v_bfe_i32 v14, v1, 0, 16
	s_delay_alu instid0(VALU_DEP_1)
	v_ashrrev_i32_e32 v15, 31, v14
	s_branch .LBB127_3494
.LBB127_3493:
	s_mov_b32 s0, -1
                                        ; implicit-def: $vgpr14_vgpr15
.LBB127_3494:
	s_delay_alu instid0(SALU_CYCLE_1)
	s_and_not1_b32 vcc_lo, exec_lo, s0
	s_cbranch_vccnz .LBB127_3496
; %bb.3495:
	global_load_u8 v1, v[32:33], off
	s_mov_b32 s0, 0
	s_wait_loadcnt 0x1
	v_mov_b32_e32 v15, s0
	s_wait_loadcnt 0x0
	v_and_b32_e32 v14, 0xffff, v1
.LBB127_3496:
	s_mov_b32 s6, -1
.LBB127_3497:
	s_delay_alu instid0(SALU_CYCLE_1)
	s_and_not1_b32 vcc_lo, exec_lo, s6
	s_cbranch_vccnz .LBB127_4058
; %bb.3498:
	v_mov_b32_e32 v11, 0
	s_cmp_lt_i32 s15, 11
	s_wait_xcnt 0x0
	s_delay_alu instid0(VALU_DEP_1)
	v_add_nc_u64_e32 v[32:33], s[8:9], v[10:11]
	s_cbranch_scc1 .LBB127_3505
; %bb.3499:
	s_cmp_gt_i32 s15, 25
	s_mov_b32 s1, 0
	s_cbranch_scc0 .LBB127_3506
; %bb.3500:
	s_cmp_gt_i32 s15, 28
	s_cbranch_scc0 .LBB127_3507
; %bb.3501:
	s_cmp_gt_i32 s15, 43
	;; [unrolled: 3-line block ×3, first 2 shown]
	s_cbranch_scc0 .LBB127_3510
; %bb.3503:
	s_cmp_eq_u32 s15, 46
	s_mov_b32 s7, 0
	s_cbranch_scc0 .LBB127_3511
; %bb.3504:
	global_load_b32 v1, v[32:33], off
	s_mov_b32 s0, 0
	s_mov_b32 s6, -1
	s_wait_loadcnt 0x0
	v_lshlrev_b32_e32 v1, 16, v1
	s_delay_alu instid0(VALU_DEP_1) | instskip(NEXT) | instid1(VALU_DEP_1)
	v_trunc_f32_e32 v1, v1
	v_mul_f32_e64 v3, 0x2f800000, |v1|
	v_ashrrev_i32_e32 v10, 31, v1
	s_delay_alu instid0(VALU_DEP_2) | instskip(NEXT) | instid1(VALU_DEP_2)
	v_floor_f32_e32 v3, v3
	v_mov_b32_e32 v11, v10
	s_delay_alu instid0(VALU_DEP_2) | instskip(SKIP_1) | instid1(VALU_DEP_2)
	v_fma_f32 v5, 0xcf800000, v3, |v1|
	v_cvt_u32_f32_e32 v1, v3
	v_cvt_u32_f32_e32 v3, v5
	s_delay_alu instid0(VALU_DEP_2) | instskip(NEXT) | instid1(VALU_DEP_2)
	v_xor_b32_e32 v35, v1, v10
	v_xor_b32_e32 v34, v3, v10
	s_delay_alu instid0(VALU_DEP_1)
	v_sub_nc_u64_e32 v[10:11], v[34:35], v[10:11]
	s_branch .LBB127_3513
.LBB127_3505:
	s_mov_b32 s0, -1
	s_mov_b32 s6, 0
                                        ; implicit-def: $vgpr10_vgpr11
	s_branch .LBB127_3575
.LBB127_3506:
	s_mov_b32 s7, -1
	s_mov_b32 s6, 0
	s_mov_b32 s0, 0
                                        ; implicit-def: $vgpr10_vgpr11
	s_branch .LBB127_3540
.LBB127_3507:
	s_mov_b32 s7, -1
	s_mov_b32 s6, 0
	s_mov_b32 s0, 0
                                        ; implicit-def: $vgpr10_vgpr11
	s_branch .LBB127_3523
.LBB127_3508:
	s_mov_b32 s7, -1
	s_mov_b32 s6, 0
	s_mov_b32 s0, 0
                                        ; implicit-def: $vgpr10_vgpr11
	s_branch .LBB127_3518
.LBB127_3509:
	s_or_b32 s12, s12, exec_lo
	s_trap 2
	s_cbranch_execz .LBB127_3446
	s_branch .LBB127_3447
.LBB127_3510:
	s_mov_b32 s7, -1
	s_mov_b32 s6, 0
	s_mov_b32 s0, 0
	s_branch .LBB127_3512
.LBB127_3511:
	s_mov_b32 s0, -1
	s_mov_b32 s6, 0
.LBB127_3512:
                                        ; implicit-def: $vgpr10_vgpr11
.LBB127_3513:
	s_and_b32 vcc_lo, exec_lo, s7
	s_cbranch_vccz .LBB127_3517
; %bb.3514:
	s_cmp_eq_u32 s15, 44
	s_cbranch_scc0 .LBB127_3516
; %bb.3515:
	global_load_u8 v1, v[32:33], off
	s_mov_b32 s0, 0
	s_mov_b32 s6, -1
	s_wait_loadcnt 0x0
	v_lshlrev_b32_e32 v3, 23, v1
	v_cmp_ne_u32_e32 vcc_lo, 0, v1
	s_delay_alu instid0(VALU_DEP_2) | instskip(NEXT) | instid1(VALU_DEP_1)
	v_trunc_f32_e32 v3, v3
	v_mul_f32_e64 v5, 0x2f800000, |v3|
	v_ashrrev_i32_e32 v10, 31, v3
	s_delay_alu instid0(VALU_DEP_2) | instskip(NEXT) | instid1(VALU_DEP_2)
	v_floor_f32_e32 v5, v5
	v_mov_b32_e32 v11, v10
	s_delay_alu instid0(VALU_DEP_2) | instskip(SKIP_1) | instid1(VALU_DEP_2)
	v_fma_f32 v7, 0xcf800000, v5, |v3|
	v_cvt_u32_f32_e32 v3, v5
	v_cvt_u32_f32_e32 v5, v7
	s_delay_alu instid0(VALU_DEP_2) | instskip(NEXT) | instid1(VALU_DEP_2)
	v_xor_b32_e32 v35, v3, v10
	v_xor_b32_e32 v34, v5, v10
	s_delay_alu instid0(VALU_DEP_1) | instskip(NEXT) | instid1(VALU_DEP_1)
	v_sub_nc_u64_e32 v[10:11], v[34:35], v[10:11]
	v_dual_cndmask_b32 v11, 0, v11 :: v_dual_cndmask_b32 v10, 0, v10
	s_branch .LBB127_3517
.LBB127_3516:
	s_mov_b32 s0, -1
                                        ; implicit-def: $vgpr10_vgpr11
.LBB127_3517:
	s_mov_b32 s7, 0
.LBB127_3518:
	s_delay_alu instid0(SALU_CYCLE_1)
	s_and_b32 vcc_lo, exec_lo, s7
	s_cbranch_vccz .LBB127_3522
; %bb.3519:
	s_cmp_eq_u32 s15, 29
	s_cbranch_scc0 .LBB127_3521
; %bb.3520:
	global_load_b64 v[10:11], v[32:33], off
	s_mov_b32 s0, 0
	s_mov_b32 s6, -1
	s_branch .LBB127_3522
.LBB127_3521:
	s_mov_b32 s0, -1
                                        ; implicit-def: $vgpr10_vgpr11
.LBB127_3522:
	s_mov_b32 s7, 0
.LBB127_3523:
	s_delay_alu instid0(SALU_CYCLE_1)
	s_and_b32 vcc_lo, exec_lo, s7
	s_cbranch_vccz .LBB127_3539
; %bb.3524:
	s_cmp_lt_i32 s15, 27
	s_cbranch_scc1 .LBB127_3527
; %bb.3525:
	s_cmp_gt_i32 s15, 27
	s_cbranch_scc0 .LBB127_3528
; %bb.3526:
	s_wait_loadcnt 0x0
	global_load_b32 v10, v[32:33], off
	v_mov_b32_e32 v11, 0
	s_mov_b32 s6, 0
	s_branch .LBB127_3529
.LBB127_3527:
	s_mov_b32 s6, -1
                                        ; implicit-def: $vgpr10_vgpr11
	s_branch .LBB127_3532
.LBB127_3528:
	s_mov_b32 s6, -1
                                        ; implicit-def: $vgpr10_vgpr11
.LBB127_3529:
	s_delay_alu instid0(SALU_CYCLE_1)
	s_and_not1_b32 vcc_lo, exec_lo, s6
	s_cbranch_vccnz .LBB127_3531
; %bb.3530:
	global_load_u16 v1, v[32:33], off
	s_mov_b32 s6, 0
	s_wait_loadcnt 0x1
	v_mov_b32_e32 v11, s6
	s_wait_loadcnt 0x0
	v_and_b32_e32 v10, 0xffff, v1
.LBB127_3531:
	s_mov_b32 s6, 0
.LBB127_3532:
	s_delay_alu instid0(SALU_CYCLE_1)
	s_and_not1_b32 vcc_lo, exec_lo, s6
	s_cbranch_vccnz .LBB127_3538
; %bb.3533:
	global_load_u8 v1, v[32:33], off
	s_mov_b32 s7, 0
	s_mov_b32 s6, exec_lo
	s_wait_loadcnt 0x0
	v_cmpx_lt_i16_e32 0x7f, v1
	s_xor_b32 s6, exec_lo, s6
	s_cbranch_execz .LBB127_3550
; %bb.3534:
	v_cmp_ne_u16_e32 vcc_lo, 0x80, v1
	s_and_b32 s7, vcc_lo, exec_lo
	s_and_not1_saveexec_b32 s6, s6
	s_cbranch_execnz .LBB127_3551
.LBB127_3535:
	s_or_b32 exec_lo, exec_lo, s6
	v_mov_b64_e32 v[10:11], 0
	s_and_saveexec_b32 s6, s7
	s_cbranch_execz .LBB127_3537
.LBB127_3536:
	v_and_b32_e32 v3, 0xffff, v1
	s_delay_alu instid0(VALU_DEP_1) | instskip(SKIP_1) | instid1(VALU_DEP_2)
	v_dual_lshlrev_b32 v1, 24, v1 :: v_dual_bitop2_b32 v5, 7, v3 bitop3:0x40
	v_bfe_u32 v11, v3, 3, 4
	v_and_b32_e32 v1, 0x80000000, v1
	s_delay_alu instid0(VALU_DEP_3) | instskip(NEXT) | instid1(VALU_DEP_3)
	v_clz_i32_u32_e32 v7, v5
	v_cmp_eq_u32_e32 vcc_lo, 0, v11
	s_delay_alu instid0(VALU_DEP_2) | instskip(NEXT) | instid1(VALU_DEP_1)
	v_min_u32_e32 v7, 32, v7
	v_subrev_nc_u32_e32 v10, 28, v7
	v_sub_nc_u32_e32 v7, 29, v7
	s_delay_alu instid0(VALU_DEP_2) | instskip(NEXT) | instid1(VALU_DEP_2)
	v_lshlrev_b32_e32 v3, v10, v3
	v_cndmask_b32_e32 v7, v11, v7, vcc_lo
	s_delay_alu instid0(VALU_DEP_2) | instskip(NEXT) | instid1(VALU_DEP_1)
	v_and_b32_e32 v3, 7, v3
	v_cndmask_b32_e32 v3, v5, v3, vcc_lo
	s_delay_alu instid0(VALU_DEP_3) | instskip(NEXT) | instid1(VALU_DEP_2)
	v_lshl_add_u32 v5, v7, 23, 0x3b800000
	v_lshlrev_b32_e32 v3, 20, v3
	s_delay_alu instid0(VALU_DEP_1) | instskip(NEXT) | instid1(VALU_DEP_1)
	v_or3_b32 v1, v1, v5, v3
	v_trunc_f32_e32 v1, v1
	s_delay_alu instid0(VALU_DEP_1) | instskip(SKIP_1) | instid1(VALU_DEP_2)
	v_mul_f32_e64 v3, 0x2f800000, |v1|
	v_ashrrev_i32_e32 v10, 31, v1
	v_floor_f32_e32 v3, v3
	s_delay_alu instid0(VALU_DEP_2) | instskip(NEXT) | instid1(VALU_DEP_2)
	v_mov_b32_e32 v11, v10
	v_fma_f32 v5, 0xcf800000, v3, |v1|
	v_cvt_u32_f32_e32 v1, v3
	s_delay_alu instid0(VALU_DEP_2) | instskip(NEXT) | instid1(VALU_DEP_2)
	v_cvt_u32_f32_e32 v3, v5
	v_xor_b32_e32 v35, v1, v10
	s_delay_alu instid0(VALU_DEP_2) | instskip(NEXT) | instid1(VALU_DEP_1)
	v_xor_b32_e32 v34, v3, v10
	v_sub_nc_u64_e32 v[10:11], v[34:35], v[10:11]
.LBB127_3537:
	s_or_b32 exec_lo, exec_lo, s6
.LBB127_3538:
	s_mov_b32 s6, -1
.LBB127_3539:
	s_mov_b32 s7, 0
.LBB127_3540:
	s_delay_alu instid0(SALU_CYCLE_1)
	s_and_b32 vcc_lo, exec_lo, s7
	s_cbranch_vccz .LBB127_3571
; %bb.3541:
	s_cmp_gt_i32 s15, 22
	s_cbranch_scc0 .LBB127_3549
; %bb.3542:
	s_cmp_lt_i32 s15, 24
	s_cbranch_scc1 .LBB127_3552
; %bb.3543:
	s_cmp_gt_i32 s15, 24
	s_cbranch_scc0 .LBB127_3553
; %bb.3544:
	global_load_u8 v1, v[32:33], off
	s_mov_b32 s6, 0
	s_mov_b32 s1, exec_lo
	s_wait_loadcnt 0x0
	v_cmpx_lt_i16_e32 0x7f, v1
	s_xor_b32 s1, exec_lo, s1
	s_cbranch_execz .LBB127_3565
; %bb.3545:
	v_cmp_ne_u16_e32 vcc_lo, 0x80, v1
	s_and_b32 s6, vcc_lo, exec_lo
	s_and_not1_saveexec_b32 s1, s1
	s_cbranch_execnz .LBB127_3566
.LBB127_3546:
	s_or_b32 exec_lo, exec_lo, s1
	v_mov_b64_e32 v[10:11], 0
	s_and_saveexec_b32 s1, s6
	s_cbranch_execz .LBB127_3548
.LBB127_3547:
	v_and_b32_e32 v3, 0xffff, v1
	s_delay_alu instid0(VALU_DEP_1) | instskip(SKIP_1) | instid1(VALU_DEP_2)
	v_dual_lshlrev_b32 v1, 24, v1 :: v_dual_bitop2_b32 v5, 3, v3 bitop3:0x40
	v_bfe_u32 v11, v3, 2, 5
	v_and_b32_e32 v1, 0x80000000, v1
	s_delay_alu instid0(VALU_DEP_3) | instskip(NEXT) | instid1(VALU_DEP_3)
	v_clz_i32_u32_e32 v7, v5
	v_cmp_eq_u32_e32 vcc_lo, 0, v11
	s_delay_alu instid0(VALU_DEP_2) | instskip(NEXT) | instid1(VALU_DEP_1)
	v_min_u32_e32 v7, 32, v7
	v_subrev_nc_u32_e32 v10, 29, v7
	v_sub_nc_u32_e32 v7, 30, v7
	s_delay_alu instid0(VALU_DEP_2) | instskip(NEXT) | instid1(VALU_DEP_2)
	v_lshlrev_b32_e32 v3, v10, v3
	v_cndmask_b32_e32 v7, v11, v7, vcc_lo
	s_delay_alu instid0(VALU_DEP_2) | instskip(NEXT) | instid1(VALU_DEP_1)
	v_and_b32_e32 v3, 3, v3
	v_cndmask_b32_e32 v3, v5, v3, vcc_lo
	s_delay_alu instid0(VALU_DEP_3) | instskip(NEXT) | instid1(VALU_DEP_2)
	v_lshl_add_u32 v5, v7, 23, 0x37800000
	v_lshlrev_b32_e32 v3, 21, v3
	s_delay_alu instid0(VALU_DEP_1) | instskip(NEXT) | instid1(VALU_DEP_1)
	v_or3_b32 v1, v1, v5, v3
	v_trunc_f32_e32 v1, v1
	s_delay_alu instid0(VALU_DEP_1) | instskip(SKIP_1) | instid1(VALU_DEP_2)
	v_mul_f32_e64 v3, 0x2f800000, |v1|
	v_ashrrev_i32_e32 v10, 31, v1
	v_floor_f32_e32 v3, v3
	s_delay_alu instid0(VALU_DEP_2) | instskip(NEXT) | instid1(VALU_DEP_2)
	v_mov_b32_e32 v11, v10
	v_fma_f32 v5, 0xcf800000, v3, |v1|
	v_cvt_u32_f32_e32 v1, v3
	s_delay_alu instid0(VALU_DEP_2) | instskip(NEXT) | instid1(VALU_DEP_2)
	v_cvt_u32_f32_e32 v3, v5
	v_xor_b32_e32 v35, v1, v10
	s_delay_alu instid0(VALU_DEP_2) | instskip(NEXT) | instid1(VALU_DEP_1)
	v_xor_b32_e32 v34, v3, v10
	v_sub_nc_u64_e32 v[10:11], v[34:35], v[10:11]
.LBB127_3548:
	s_or_b32 exec_lo, exec_lo, s1
	s_mov_b32 s1, 0
	s_branch .LBB127_3554
.LBB127_3549:
	s_mov_b32 s1, -1
                                        ; implicit-def: $vgpr10_vgpr11
	s_branch .LBB127_3560
.LBB127_3550:
	s_and_not1_saveexec_b32 s6, s6
	s_cbranch_execz .LBB127_3535
.LBB127_3551:
	v_cmp_ne_u16_e32 vcc_lo, 0, v1
	s_and_not1_b32 s7, s7, exec_lo
	s_and_b32 s8, vcc_lo, exec_lo
	s_delay_alu instid0(SALU_CYCLE_1)
	s_or_b32 s7, s7, s8
	s_or_b32 exec_lo, exec_lo, s6
	v_mov_b64_e32 v[10:11], 0
	s_and_saveexec_b32 s6, s7
	s_cbranch_execnz .LBB127_3536
	s_branch .LBB127_3537
.LBB127_3552:
	s_mov_b32 s1, -1
                                        ; implicit-def: $vgpr10_vgpr11
	s_branch .LBB127_3557
.LBB127_3553:
	s_mov_b32 s1, -1
                                        ; implicit-def: $vgpr10_vgpr11
.LBB127_3554:
	s_delay_alu instid0(SALU_CYCLE_1)
	s_and_b32 vcc_lo, exec_lo, s1
	s_cbranch_vccz .LBB127_3556
; %bb.3555:
	global_load_u8 v1, v[32:33], off
	s_wait_loadcnt 0x0
	v_lshlrev_b32_e32 v1, 24, v1
	s_delay_alu instid0(VALU_DEP_1) | instskip(NEXT) | instid1(VALU_DEP_1)
	v_and_b32_e32 v3, 0x7f000000, v1
	v_clz_i32_u32_e32 v5, v3
	v_cmp_ne_u32_e32 vcc_lo, 0, v3
	v_add_nc_u32_e32 v10, 0x1000000, v3
	s_delay_alu instid0(VALU_DEP_3) | instskip(NEXT) | instid1(VALU_DEP_1)
	v_min_u32_e32 v5, 32, v5
	v_sub_nc_u32_e64 v5, v5, 4 clamp
	s_delay_alu instid0(VALU_DEP_1) | instskip(NEXT) | instid1(VALU_DEP_1)
	v_dual_lshlrev_b32 v7, v5, v3 :: v_dual_lshlrev_b32 v5, 23, v5
	v_lshrrev_b32_e32 v7, 4, v7
	s_delay_alu instid0(VALU_DEP_1) | instskip(NEXT) | instid1(VALU_DEP_1)
	v_dual_sub_nc_u32 v5, v7, v5 :: v_dual_ashrrev_i32 v7, 8, v10
	v_add_nc_u32_e32 v5, 0x3c000000, v5
	s_delay_alu instid0(VALU_DEP_1) | instskip(NEXT) | instid1(VALU_DEP_1)
	v_and_or_b32 v5, 0x7f800000, v7, v5
	v_cndmask_b32_e32 v3, 0, v5, vcc_lo
	s_delay_alu instid0(VALU_DEP_1) | instskip(NEXT) | instid1(VALU_DEP_1)
	v_and_or_b32 v1, 0x80000000, v1, v3
	v_trunc_f32_e32 v1, v1
	s_delay_alu instid0(VALU_DEP_1) | instskip(SKIP_1) | instid1(VALU_DEP_2)
	v_mul_f32_e64 v3, 0x2f800000, |v1|
	v_ashrrev_i32_e32 v10, 31, v1
	v_floor_f32_e32 v3, v3
	s_delay_alu instid0(VALU_DEP_1) | instskip(SKIP_1) | instid1(VALU_DEP_4)
	v_fma_f32 v5, 0xcf800000, v3, |v1|
	v_cvt_u32_f32_e32 v1, v3
	v_mov_b32_e32 v11, v10
	s_delay_alu instid0(VALU_DEP_3) | instskip(NEXT) | instid1(VALU_DEP_3)
	v_cvt_u32_f32_e32 v3, v5
	v_xor_b32_e32 v35, v1, v10
	s_delay_alu instid0(VALU_DEP_2) | instskip(NEXT) | instid1(VALU_DEP_1)
	v_xor_b32_e32 v34, v3, v10
	v_sub_nc_u64_e32 v[10:11], v[34:35], v[10:11]
.LBB127_3556:
	s_mov_b32 s1, 0
.LBB127_3557:
	s_delay_alu instid0(SALU_CYCLE_1)
	s_and_not1_b32 vcc_lo, exec_lo, s1
	s_cbranch_vccnz .LBB127_3559
; %bb.3558:
	global_load_u8 v1, v[32:33], off
	s_wait_loadcnt 0x0
	v_lshlrev_b32_e32 v3, 25, v1
	v_lshlrev_b16 v1, 8, v1
	s_delay_alu instid0(VALU_DEP_1) | instskip(SKIP_1) | instid1(VALU_DEP_2)
	v_and_or_b32 v7, 0x7f00, v1, 0.5
	v_bfe_i32 v1, v1, 0, 16
	v_add_f32_e32 v7, -0.5, v7
	v_lshrrev_b32_e32 v5, 4, v3
	v_cmp_gt_u32_e32 vcc_lo, 0x8000000, v3
	s_delay_alu instid0(VALU_DEP_2) | instskip(NEXT) | instid1(VALU_DEP_1)
	v_or_b32_e32 v5, 0x70000000, v5
	v_mul_f32_e32 v5, 0x7800000, v5
	s_delay_alu instid0(VALU_DEP_1) | instskip(NEXT) | instid1(VALU_DEP_1)
	v_cndmask_b32_e32 v3, v5, v7, vcc_lo
	v_and_or_b32 v1, 0x80000000, v1, v3
	s_delay_alu instid0(VALU_DEP_1) | instskip(NEXT) | instid1(VALU_DEP_1)
	v_trunc_f32_e32 v1, v1
	v_mul_f32_e64 v3, 0x2f800000, |v1|
	v_ashrrev_i32_e32 v10, 31, v1
	s_delay_alu instid0(VALU_DEP_2) | instskip(NEXT) | instid1(VALU_DEP_2)
	v_floor_f32_e32 v3, v3
	v_mov_b32_e32 v11, v10
	s_delay_alu instid0(VALU_DEP_2) | instskip(SKIP_1) | instid1(VALU_DEP_2)
	v_fma_f32 v5, 0xcf800000, v3, |v1|
	v_cvt_u32_f32_e32 v1, v3
	v_cvt_u32_f32_e32 v3, v5
	s_delay_alu instid0(VALU_DEP_2) | instskip(NEXT) | instid1(VALU_DEP_2)
	v_xor_b32_e32 v35, v1, v10
	v_xor_b32_e32 v34, v3, v10
	s_delay_alu instid0(VALU_DEP_1)
	v_sub_nc_u64_e32 v[10:11], v[34:35], v[10:11]
.LBB127_3559:
	s_mov_b32 s1, 0
	s_mov_b32 s6, -1
.LBB127_3560:
	s_and_not1_b32 vcc_lo, exec_lo, s1
	s_mov_b32 s1, 0
	s_cbranch_vccnz .LBB127_3571
; %bb.3561:
	s_cmp_gt_i32 s15, 14
	s_cbranch_scc0 .LBB127_3564
; %bb.3562:
	s_cmp_eq_u32 s15, 15
	s_cbranch_scc0 .LBB127_3567
; %bb.3563:
	global_load_u16 v1, v[32:33], off
	s_mov_b32 s0, 0
	s_mov_b32 s6, -1
	s_wait_loadcnt 0x0
	v_lshlrev_b32_e32 v1, 16, v1
	s_delay_alu instid0(VALU_DEP_1) | instskip(NEXT) | instid1(VALU_DEP_1)
	v_trunc_f32_e32 v1, v1
	v_mul_f32_e64 v3, 0x2f800000, |v1|
	v_ashrrev_i32_e32 v10, 31, v1
	s_delay_alu instid0(VALU_DEP_2) | instskip(NEXT) | instid1(VALU_DEP_2)
	v_floor_f32_e32 v3, v3
	v_mov_b32_e32 v11, v10
	s_delay_alu instid0(VALU_DEP_2) | instskip(SKIP_1) | instid1(VALU_DEP_2)
	v_fma_f32 v5, 0xcf800000, v3, |v1|
	v_cvt_u32_f32_e32 v1, v3
	v_cvt_u32_f32_e32 v3, v5
	s_delay_alu instid0(VALU_DEP_2) | instskip(NEXT) | instid1(VALU_DEP_2)
	v_xor_b32_e32 v35, v1, v10
	v_xor_b32_e32 v34, v3, v10
	s_delay_alu instid0(VALU_DEP_1)
	v_sub_nc_u64_e32 v[10:11], v[34:35], v[10:11]
	s_branch .LBB127_3569
.LBB127_3564:
	s_mov_b32 s1, -1
	s_branch .LBB127_3568
.LBB127_3565:
	s_and_not1_saveexec_b32 s1, s1
	s_cbranch_execz .LBB127_3546
.LBB127_3566:
	v_cmp_ne_u16_e32 vcc_lo, 0, v1
	s_and_not1_b32 s6, s6, exec_lo
	s_and_b32 s7, vcc_lo, exec_lo
	s_delay_alu instid0(SALU_CYCLE_1)
	s_or_b32 s6, s6, s7
	s_or_b32 exec_lo, exec_lo, s1
	v_mov_b64_e32 v[10:11], 0
	s_and_saveexec_b32 s1, s6
	s_cbranch_execnz .LBB127_3547
	s_branch .LBB127_3548
.LBB127_3567:
	s_mov_b32 s0, -1
.LBB127_3568:
                                        ; implicit-def: $vgpr10_vgpr11
.LBB127_3569:
	s_and_b32 vcc_lo, exec_lo, s1
	s_mov_b32 s1, 0
	s_cbranch_vccz .LBB127_3571
; %bb.3570:
	s_cmp_lg_u32 s15, 11
	s_mov_b32 s1, -1
	s_cselect_b32 s0, -1, 0
.LBB127_3571:
	s_delay_alu instid0(SALU_CYCLE_1)
	s_and_b32 vcc_lo, exec_lo, s0
	s_cbranch_vccnz .LBB127_4104
; %bb.3572:
	s_and_not1_b32 vcc_lo, exec_lo, s1
	s_cbranch_vccnz .LBB127_3574
.LBB127_3573:
	global_load_u8 v1, v[32:33], off
	s_mov_b32 s0, 0
	s_mov_b32 s6, -1
	s_wait_loadcnt 0x1
	v_mov_b32_e32 v11, s0
	s_wait_loadcnt 0x0
	v_cmp_ne_u16_e32 vcc_lo, 0, v1
	v_cndmask_b32_e64 v10, 0, 1, vcc_lo
.LBB127_3574:
	s_mov_b32 s0, 0
.LBB127_3575:
	s_delay_alu instid0(SALU_CYCLE_1)
	s_and_b32 vcc_lo, exec_lo, s0
	s_cbranch_vccz .LBB127_3624
; %bb.3576:
	s_cmp_lt_i32 s15, 5
	s_cbranch_scc1 .LBB127_3581
; %bb.3577:
	s_cmp_lt_i32 s15, 8
	s_cbranch_scc1 .LBB127_3582
	;; [unrolled: 3-line block ×3, first 2 shown]
; %bb.3579:
	s_cmp_gt_i32 s15, 9
	s_cbranch_scc0 .LBB127_3584
; %bb.3580:
	s_wait_loadcnt 0x0
	global_load_b64 v[10:11], v[32:33], off
	s_mov_b32 s0, 0
	s_wait_loadcnt 0x0
	v_trunc_f64_e32 v[10:11], v[10:11]
	s_delay_alu instid0(VALU_DEP_1) | instskip(NEXT) | instid1(VALU_DEP_1)
	v_ldexp_f64 v[34:35], v[10:11], 0xffffffe0
	v_floor_f64_e32 v[34:35], v[34:35]
	s_delay_alu instid0(VALU_DEP_1) | instskip(SKIP_1) | instid1(VALU_DEP_2)
	v_fmamk_f64 v[36:37], v[34:35], 0xc1f00000, v[10:11]
	v_cvt_i32_f64_e32 v11, v[34:35]
	v_cvt_u32_f64_e32 v10, v[36:37]
	s_branch .LBB127_3585
.LBB127_3581:
	s_mov_b32 s0, -1
                                        ; implicit-def: $vgpr10_vgpr11
	s_branch .LBB127_3603
.LBB127_3582:
	s_mov_b32 s0, -1
                                        ; implicit-def: $vgpr10_vgpr11
	s_branch .LBB127_3591
.LBB127_3583:
	s_mov_b32 s0, -1
                                        ; implicit-def: $vgpr10_vgpr11
	s_branch .LBB127_3588
.LBB127_3584:
	s_mov_b32 s0, -1
                                        ; implicit-def: $vgpr10_vgpr11
.LBB127_3585:
	s_delay_alu instid0(SALU_CYCLE_1)
	s_and_not1_b32 vcc_lo, exec_lo, s0
	s_cbranch_vccnz .LBB127_3587
; %bb.3586:
	global_load_b32 v1, v[32:33], off
	s_wait_loadcnt 0x0
	v_trunc_f32_e32 v1, v1
	s_delay_alu instid0(VALU_DEP_1) | instskip(SKIP_1) | instid1(VALU_DEP_2)
	v_mul_f32_e64 v3, 0x2f800000, |v1|
	v_ashrrev_i32_e32 v10, 31, v1
	v_floor_f32_e32 v3, v3
	s_delay_alu instid0(VALU_DEP_1) | instskip(SKIP_1) | instid1(VALU_DEP_4)
	v_fma_f32 v5, 0xcf800000, v3, |v1|
	v_cvt_u32_f32_e32 v1, v3
	v_mov_b32_e32 v11, v10
	s_delay_alu instid0(VALU_DEP_3) | instskip(NEXT) | instid1(VALU_DEP_3)
	v_cvt_u32_f32_e32 v3, v5
	v_xor_b32_e32 v35, v1, v10
	s_delay_alu instid0(VALU_DEP_2) | instskip(NEXT) | instid1(VALU_DEP_1)
	v_xor_b32_e32 v34, v3, v10
	v_sub_nc_u64_e32 v[10:11], v[34:35], v[10:11]
.LBB127_3587:
	s_mov_b32 s0, 0
.LBB127_3588:
	s_delay_alu instid0(SALU_CYCLE_1)
	s_and_not1_b32 vcc_lo, exec_lo, s0
	s_cbranch_vccnz .LBB127_3590
; %bb.3589:
	global_load_b32 v1, v[32:33], off
	s_wait_loadcnt 0x0
	v_cvt_f32_f16_e32 v1, v1
	s_delay_alu instid0(VALU_DEP_1) | instskip(NEXT) | instid1(VALU_DEP_1)
	v_cvt_i32_f32_e32 v10, v1
	v_ashrrev_i32_e32 v11, 31, v10
.LBB127_3590:
	s_mov_b32 s0, 0
.LBB127_3591:
	s_delay_alu instid0(SALU_CYCLE_1)
	s_and_not1_b32 vcc_lo, exec_lo, s0
	s_cbranch_vccnz .LBB127_3602
; %bb.3592:
	s_cmp_lt_i32 s15, 6
	s_cbranch_scc1 .LBB127_3595
; %bb.3593:
	s_cmp_gt_i32 s15, 6
	s_cbranch_scc0 .LBB127_3596
; %bb.3594:
	s_wait_loadcnt 0x0
	global_load_b64 v[10:11], v[32:33], off
	s_mov_b32 s0, 0
	s_wait_loadcnt 0x0
	v_trunc_f64_e32 v[10:11], v[10:11]
	s_delay_alu instid0(VALU_DEP_1) | instskip(NEXT) | instid1(VALU_DEP_1)
	v_ldexp_f64 v[34:35], v[10:11], 0xffffffe0
	v_floor_f64_e32 v[34:35], v[34:35]
	s_delay_alu instid0(VALU_DEP_1) | instskip(SKIP_1) | instid1(VALU_DEP_2)
	v_fmamk_f64 v[36:37], v[34:35], 0xc1f00000, v[10:11]
	v_cvt_i32_f64_e32 v11, v[34:35]
	v_cvt_u32_f64_e32 v10, v[36:37]
	s_branch .LBB127_3597
.LBB127_3595:
	s_mov_b32 s0, -1
                                        ; implicit-def: $vgpr10_vgpr11
	s_branch .LBB127_3600
.LBB127_3596:
	s_mov_b32 s0, -1
                                        ; implicit-def: $vgpr10_vgpr11
.LBB127_3597:
	s_delay_alu instid0(SALU_CYCLE_1)
	s_and_not1_b32 vcc_lo, exec_lo, s0
	s_cbranch_vccnz .LBB127_3599
; %bb.3598:
	global_load_b32 v1, v[32:33], off
	s_wait_loadcnt 0x0
	v_trunc_f32_e32 v1, v1
	s_delay_alu instid0(VALU_DEP_1) | instskip(SKIP_1) | instid1(VALU_DEP_2)
	v_mul_f32_e64 v3, 0x2f800000, |v1|
	v_ashrrev_i32_e32 v10, 31, v1
	v_floor_f32_e32 v3, v3
	s_delay_alu instid0(VALU_DEP_1) | instskip(SKIP_1) | instid1(VALU_DEP_4)
	v_fma_f32 v5, 0xcf800000, v3, |v1|
	v_cvt_u32_f32_e32 v1, v3
	v_mov_b32_e32 v11, v10
	s_delay_alu instid0(VALU_DEP_3) | instskip(NEXT) | instid1(VALU_DEP_3)
	v_cvt_u32_f32_e32 v3, v5
	v_xor_b32_e32 v35, v1, v10
	s_delay_alu instid0(VALU_DEP_2) | instskip(NEXT) | instid1(VALU_DEP_1)
	v_xor_b32_e32 v34, v3, v10
	v_sub_nc_u64_e32 v[10:11], v[34:35], v[10:11]
.LBB127_3599:
	s_mov_b32 s0, 0
.LBB127_3600:
	s_delay_alu instid0(SALU_CYCLE_1)
	s_and_not1_b32 vcc_lo, exec_lo, s0
	s_cbranch_vccnz .LBB127_3602
; %bb.3601:
	global_load_u16 v1, v[32:33], off
	s_wait_loadcnt 0x0
	v_cvt_f32_f16_e32 v1, v1
	s_delay_alu instid0(VALU_DEP_1) | instskip(NEXT) | instid1(VALU_DEP_1)
	v_cvt_i32_f32_e32 v10, v1
	v_ashrrev_i32_e32 v11, 31, v10
.LBB127_3602:
	s_mov_b32 s0, 0
.LBB127_3603:
	s_delay_alu instid0(SALU_CYCLE_1)
	s_and_not1_b32 vcc_lo, exec_lo, s0
	s_cbranch_vccnz .LBB127_3623
; %bb.3604:
	s_cmp_lt_i32 s15, 2
	s_cbranch_scc1 .LBB127_3608
; %bb.3605:
	s_cmp_lt_i32 s15, 3
	s_cbranch_scc1 .LBB127_3609
; %bb.3606:
	s_cmp_gt_i32 s15, 3
	s_cbranch_scc0 .LBB127_3610
; %bb.3607:
	s_wait_loadcnt 0x0
	global_load_b64 v[10:11], v[32:33], off
	s_mov_b32 s0, 0
	s_branch .LBB127_3611
.LBB127_3608:
	s_mov_b32 s0, -1
                                        ; implicit-def: $vgpr10_vgpr11
	s_branch .LBB127_3617
.LBB127_3609:
	s_mov_b32 s0, -1
                                        ; implicit-def: $vgpr10_vgpr11
	s_branch .LBB127_3614
.LBB127_3610:
	s_mov_b32 s0, -1
                                        ; implicit-def: $vgpr10_vgpr11
.LBB127_3611:
	s_delay_alu instid0(SALU_CYCLE_1)
	s_and_not1_b32 vcc_lo, exec_lo, s0
	s_cbranch_vccnz .LBB127_3613
; %bb.3612:
	s_wait_loadcnt 0x0
	global_load_b32 v10, v[32:33], off
	s_wait_loadcnt 0x0
	v_ashrrev_i32_e32 v11, 31, v10
.LBB127_3613:
	s_mov_b32 s0, 0
.LBB127_3614:
	s_delay_alu instid0(SALU_CYCLE_1)
	s_and_not1_b32 vcc_lo, exec_lo, s0
	s_cbranch_vccnz .LBB127_3616
; %bb.3615:
	global_load_u16 v1, v[32:33], off
	s_wait_loadcnt 0x0
	v_bfe_i32 v10, v1, 0, 16
	s_delay_alu instid0(VALU_DEP_1)
	v_ashrrev_i32_e32 v11, 31, v10
.LBB127_3616:
	s_mov_b32 s0, 0
.LBB127_3617:
	s_delay_alu instid0(SALU_CYCLE_1)
	s_and_not1_b32 vcc_lo, exec_lo, s0
	s_cbranch_vccnz .LBB127_3623
; %bb.3618:
	s_cmp_gt_i32 s15, 0
	s_mov_b32 s0, 0
	s_cbranch_scc0 .LBB127_3620
; %bb.3619:
	global_load_i8 v1, v[32:33], off
	s_wait_loadcnt 0x0
	v_bfe_i32 v10, v1, 0, 16
	s_delay_alu instid0(VALU_DEP_1)
	v_ashrrev_i32_e32 v11, 31, v10
	s_branch .LBB127_3621
.LBB127_3620:
	s_mov_b32 s0, -1
                                        ; implicit-def: $vgpr10_vgpr11
.LBB127_3621:
	s_delay_alu instid0(SALU_CYCLE_1)
	s_and_not1_b32 vcc_lo, exec_lo, s0
	s_cbranch_vccnz .LBB127_3623
; %bb.3622:
	global_load_u8 v1, v[32:33], off
	s_mov_b32 s0, 0
	s_wait_loadcnt 0x1
	v_mov_b32_e32 v11, s0
	s_wait_loadcnt 0x0
	v_and_b32_e32 v10, 0xffff, v1
.LBB127_3623:
	s_mov_b32 s6, -1
.LBB127_3624:
	s_delay_alu instid0(SALU_CYCLE_1)
	s_and_not1_b32 vcc_lo, exec_lo, s6
	s_cbranch_vccnz .LBB127_4058
; %bb.3625:
	v_mov_b32_e32 v7, 0
	s_wait_loadcnt 0x0
	v_max_i64 v[8:9], v[8:9], v[12:13]
	global_load_u8 v1, v7, s[2:3] offset:489
	s_wait_xcnt 0x0
	v_add_nc_u64_e32 v[6:7], s[4:5], v[6:7]
	v_min_i64 v[8:9], v[8:9], v[16:17]
	s_wait_loadcnt 0x0
	v_and_b32_e32 v3, 0xffff, v1
	v_readfirstlane_b32 s1, v1
	s_delay_alu instid0(VALU_DEP_2)
	v_cmp_gt_i32_e32 vcc_lo, 11, v3
	s_cbranch_vccnz .LBB127_3703
; %bb.3626:
	s_and_b32 s2, 0xffff, s1
	s_mov_b32 s7, -1
	s_mov_b32 s3, 0
	s_cmp_gt_i32 s2, 25
	s_mov_b32 s6, 0
	s_mov_b32 s0, 0
	s_cbranch_scc0 .LBB127_3659
; %bb.3627:
	s_cmp_gt_i32 s2, 28
	s_cbranch_scc0 .LBB127_3642
; %bb.3628:
	s_cmp_gt_i32 s2, 43
	;; [unrolled: 3-line block ×3, first 2 shown]
	s_cbranch_scc0 .LBB127_3632
; %bb.3630:
	s_mov_b32 s0, -1
	s_mov_b32 s7, 0
	s_cmp_eq_u32 s2, 46
	s_cbranch_scc0 .LBB127_3632
; %bb.3631:
	v_xor_b32_e32 v1, v8, v9
	v_cls_i32_e32 v3, v9
	s_mov_b32 s6, -1
	s_mov_b32 s0, 0
	s_delay_alu instid0(VALU_DEP_2) | instskip(NEXT) | instid1(VALU_DEP_1)
	v_ashrrev_i32_e32 v1, 31, v1
	v_add_nc_u32_e32 v1, 32, v1
	s_delay_alu instid0(VALU_DEP_1) | instskip(NEXT) | instid1(VALU_DEP_1)
	v_add_min_u32_e64 v1, v3, -1, v1
	v_lshlrev_b64_e32 v[12:13], v1, v[8:9]
	v_sub_nc_u32_e32 v1, 32, v1
	s_delay_alu instid0(VALU_DEP_2) | instskip(NEXT) | instid1(VALU_DEP_1)
	v_min_u32_e32 v3, 1, v12
	v_or_b32_e32 v3, v13, v3
	s_delay_alu instid0(VALU_DEP_1) | instskip(NEXT) | instid1(VALU_DEP_1)
	v_cvt_f32_i32_e32 v3, v3
	v_ldexp_f32 v1, v3, v1
	s_delay_alu instid0(VALU_DEP_1) | instskip(NEXT) | instid1(VALU_DEP_1)
	v_bfe_u32 v3, v1, 16, 1
	v_add3_u32 v1, v1, v3, 0x7fff
	s_delay_alu instid0(VALU_DEP_1)
	v_lshrrev_b32_e32 v1, 16, v1
	global_store_b32 v[6:7], v1, off
.LBB127_3632:
	s_and_b32 vcc_lo, exec_lo, s7
	s_cbranch_vccz .LBB127_3637
; %bb.3633:
	s_cmp_eq_u32 s2, 44
	s_mov_b32 s0, -1
	s_cbranch_scc0 .LBB127_3637
; %bb.3634:
	s_wait_xcnt 0x0
	v_xor_b32_e32 v1, v8, v9
	v_cls_i32_e32 v3, v9
	s_mov_b32 s6, -1
	s_mov_b32 s7, exec_lo
	s_delay_alu instid0(VALU_DEP_2) | instskip(NEXT) | instid1(VALU_DEP_1)
	v_ashrrev_i32_e32 v1, 31, v1
	v_add_nc_u32_e32 v1, 32, v1
	s_delay_alu instid0(VALU_DEP_1) | instskip(NEXT) | instid1(VALU_DEP_1)
	v_add_min_u32_e64 v1, v3, -1, v1
	v_lshlrev_b64_e32 v[12:13], v1, v[8:9]
	v_sub_nc_u32_e32 v1, 32, v1
	s_delay_alu instid0(VALU_DEP_2) | instskip(NEXT) | instid1(VALU_DEP_1)
	v_min_u32_e32 v3, 1, v12
	v_or_b32_e32 v3, v13, v3
	s_delay_alu instid0(VALU_DEP_1) | instskip(NEXT) | instid1(VALU_DEP_1)
	v_cvt_f32_i32_e32 v3, v3
	v_ldexp_f32 v1, v3, v1
	v_mov_b32_e32 v3, 0xff
	s_delay_alu instid0(VALU_DEP_2) | instskip(NEXT) | instid1(VALU_DEP_1)
	v_bfe_u32 v5, v1, 23, 8
	v_cmpx_ne_u32_e32 0xff, v5
	s_cbranch_execz .LBB127_3636
; %bb.3635:
	v_and_b32_e32 v3, 0x400000, v1
	v_and_or_b32 v5, 0x3fffff, v1, v5
	v_lshrrev_b32_e32 v1, 23, v1
	s_delay_alu instid0(VALU_DEP_3) | instskip(NEXT) | instid1(VALU_DEP_3)
	v_cmp_ne_u32_e32 vcc_lo, 0, v3
	v_cmp_ne_u32_e64 s0, 0, v5
	s_and_b32 s0, vcc_lo, s0
	s_delay_alu instid0(SALU_CYCLE_1) | instskip(NEXT) | instid1(VALU_DEP_1)
	v_cndmask_b32_e64 v3, 0, 1, s0
	v_add_nc_u32_e32 v3, v1, v3
.LBB127_3636:
	s_or_b32 exec_lo, exec_lo, s7
	s_mov_b32 s0, 0
	global_store_b8 v[6:7], v3, off
.LBB127_3637:
	s_mov_b32 s7, 0
.LBB127_3638:
	s_delay_alu instid0(SALU_CYCLE_1)
	s_and_b32 vcc_lo, exec_lo, s7
	s_cbranch_vccz .LBB127_3641
; %bb.3639:
	s_cmp_eq_u32 s2, 29
	s_mov_b32 s0, -1
	s_cbranch_scc0 .LBB127_3641
; %bb.3640:
	s_mov_b32 s0, 0
	s_mov_b32 s6, -1
	global_store_b64 v[6:7], v[8:9], off
.LBB127_3641:
	s_mov_b32 s7, 0
.LBB127_3642:
	s_delay_alu instid0(SALU_CYCLE_1)
	s_and_b32 vcc_lo, exec_lo, s7
	s_cbranch_vccz .LBB127_3658
; %bb.3643:
	s_cmp_lt_i32 s2, 27
	s_mov_b32 s6, -1
	s_cbranch_scc1 .LBB127_3649
; %bb.3644:
	s_cmp_gt_i32 s2, 27
	s_cbranch_scc0 .LBB127_3646
; %bb.3645:
	s_mov_b32 s6, 0
	global_store_b32 v[6:7], v8, off
.LBB127_3646:
	s_and_not1_b32 vcc_lo, exec_lo, s6
	s_cbranch_vccnz .LBB127_3648
; %bb.3647:
	global_store_b16 v[6:7], v8, off
.LBB127_3648:
	s_mov_b32 s6, 0
.LBB127_3649:
	s_delay_alu instid0(SALU_CYCLE_1)
	s_and_not1_b32 vcc_lo, exec_lo, s6
	s_cbranch_vccnz .LBB127_3657
; %bb.3650:
	s_wait_xcnt 0x0
	v_xor_b32_e32 v1, v8, v9
	v_cls_i32_e32 v3, v9
	v_mov_b32_e32 v5, 0x80
	s_mov_b32 s6, exec_lo
	s_delay_alu instid0(VALU_DEP_3) | instskip(NEXT) | instid1(VALU_DEP_1)
	v_ashrrev_i32_e32 v1, 31, v1
	v_add_nc_u32_e32 v1, 32, v1
	s_delay_alu instid0(VALU_DEP_1) | instskip(NEXT) | instid1(VALU_DEP_1)
	v_add_min_u32_e64 v1, v3, -1, v1
	v_lshlrev_b64_e32 v[12:13], v1, v[8:9]
	v_sub_nc_u32_e32 v1, 32, v1
	s_delay_alu instid0(VALU_DEP_2) | instskip(NEXT) | instid1(VALU_DEP_1)
	v_min_u32_e32 v3, 1, v12
	v_or_b32_e32 v3, v13, v3
	s_delay_alu instid0(VALU_DEP_1) | instskip(NEXT) | instid1(VALU_DEP_1)
	v_cvt_f32_i32_e32 v3, v3
	v_ldexp_f32 v1, v3, v1
	s_delay_alu instid0(VALU_DEP_1) | instskip(NEXT) | instid1(VALU_DEP_1)
	v_and_b32_e32 v3, 0x7fffffff, v1
	v_cmpx_gt_u32_e32 0x43800000, v3
	s_cbranch_execz .LBB127_3656
; %bb.3651:
	v_cmp_lt_u32_e32 vcc_lo, 0x3bffffff, v3
	s_mov_b32 s7, 0
                                        ; implicit-def: $vgpr3
	s_and_saveexec_b32 s8, vcc_lo
	s_delay_alu instid0(SALU_CYCLE_1)
	s_xor_b32 s8, exec_lo, s8
	s_cbranch_execz .LBB127_4105
; %bb.3652:
	v_bfe_u32 v3, v1, 20, 1
	s_mov_b32 s7, exec_lo
	s_delay_alu instid0(VALU_DEP_1) | instskip(NEXT) | instid1(VALU_DEP_1)
	v_add3_u32 v3, v1, v3, 0x487ffff
	v_lshrrev_b32_e32 v3, 20, v3
	s_and_not1_saveexec_b32 s8, s8
	s_cbranch_execnz .LBB127_4106
.LBB127_3653:
	s_or_b32 exec_lo, exec_lo, s8
	v_mov_b32_e32 v5, 0
	s_and_saveexec_b32 s8, s7
.LBB127_3654:
	v_lshrrev_b32_e32 v1, 24, v1
	s_delay_alu instid0(VALU_DEP_1)
	v_and_or_b32 v5, 0x80, v1, v3
.LBB127_3655:
	s_or_b32 exec_lo, exec_lo, s8
.LBB127_3656:
	s_delay_alu instid0(SALU_CYCLE_1)
	s_or_b32 exec_lo, exec_lo, s6
	global_store_b8 v[6:7], v5, off
.LBB127_3657:
	s_mov_b32 s6, -1
.LBB127_3658:
	s_mov_b32 s7, 0
.LBB127_3659:
	s_delay_alu instid0(SALU_CYCLE_1)
	s_and_b32 vcc_lo, exec_lo, s7
	s_cbranch_vccz .LBB127_3699
; %bb.3660:
	s_cmp_gt_i32 s2, 22
	s_mov_b32 s3, -1
	s_cbranch_scc0 .LBB127_3692
; %bb.3661:
	s_cmp_lt_i32 s2, 24
	s_cbranch_scc1 .LBB127_3681
; %bb.3662:
	s_cmp_gt_i32 s2, 24
	s_cbranch_scc0 .LBB127_3670
; %bb.3663:
	s_wait_xcnt 0x0
	v_xor_b32_e32 v1, v8, v9
	v_cls_i32_e32 v3, v9
	v_mov_b32_e32 v5, 0x80
	s_mov_b32 s3, exec_lo
	s_delay_alu instid0(VALU_DEP_3) | instskip(NEXT) | instid1(VALU_DEP_1)
	v_ashrrev_i32_e32 v1, 31, v1
	v_add_nc_u32_e32 v1, 32, v1
	s_delay_alu instid0(VALU_DEP_1) | instskip(NEXT) | instid1(VALU_DEP_1)
	v_add_min_u32_e64 v1, v3, -1, v1
	v_lshlrev_b64_e32 v[12:13], v1, v[8:9]
	v_sub_nc_u32_e32 v1, 32, v1
	s_delay_alu instid0(VALU_DEP_2) | instskip(NEXT) | instid1(VALU_DEP_1)
	v_min_u32_e32 v3, 1, v12
	v_or_b32_e32 v3, v13, v3
	s_delay_alu instid0(VALU_DEP_1) | instskip(NEXT) | instid1(VALU_DEP_1)
	v_cvt_f32_i32_e32 v3, v3
	v_ldexp_f32 v1, v3, v1
	s_delay_alu instid0(VALU_DEP_1) | instskip(NEXT) | instid1(VALU_DEP_1)
	v_and_b32_e32 v3, 0x7fffffff, v1
	v_cmpx_gt_u32_e32 0x47800000, v3
	s_cbranch_execz .LBB127_3669
; %bb.3664:
	v_cmp_lt_u32_e32 vcc_lo, 0x37ffffff, v3
	s_mov_b32 s6, 0
                                        ; implicit-def: $vgpr3
	s_and_saveexec_b32 s7, vcc_lo
	s_delay_alu instid0(SALU_CYCLE_1)
	s_xor_b32 s7, exec_lo, s7
	s_cbranch_execz .LBB127_4108
; %bb.3665:
	v_bfe_u32 v3, v1, 21, 1
	s_mov_b32 s6, exec_lo
	s_delay_alu instid0(VALU_DEP_1) | instskip(NEXT) | instid1(VALU_DEP_1)
	v_add3_u32 v3, v1, v3, 0x88fffff
	v_lshrrev_b32_e32 v3, 21, v3
	s_and_not1_saveexec_b32 s7, s7
	s_cbranch_execnz .LBB127_4109
.LBB127_3666:
	s_or_b32 exec_lo, exec_lo, s7
	v_mov_b32_e32 v5, 0
	s_and_saveexec_b32 s7, s6
.LBB127_3667:
	v_lshrrev_b32_e32 v1, 24, v1
	s_delay_alu instid0(VALU_DEP_1)
	v_and_or_b32 v5, 0x80, v1, v3
.LBB127_3668:
	s_or_b32 exec_lo, exec_lo, s7
.LBB127_3669:
	s_delay_alu instid0(SALU_CYCLE_1)
	s_or_b32 exec_lo, exec_lo, s3
	s_mov_b32 s3, 0
	global_store_b8 v[6:7], v5, off
.LBB127_3670:
	s_and_b32 vcc_lo, exec_lo, s3
	s_cbranch_vccz .LBB127_3680
; %bb.3671:
	s_wait_xcnt 0x0
	v_xor_b32_e32 v1, v8, v9
	v_cls_i32_e32 v3, v9
	s_mov_b32 s3, exec_lo
	s_delay_alu instid0(VALU_DEP_2) | instskip(NEXT) | instid1(VALU_DEP_1)
	v_ashrrev_i32_e32 v1, 31, v1
	v_add_nc_u32_e32 v1, 32, v1
	s_delay_alu instid0(VALU_DEP_1) | instskip(NEXT) | instid1(VALU_DEP_1)
	v_add_min_u32_e64 v1, v3, -1, v1
	v_lshlrev_b64_e32 v[12:13], v1, v[8:9]
	v_sub_nc_u32_e32 v1, 32, v1
	s_delay_alu instid0(VALU_DEP_2) | instskip(NEXT) | instid1(VALU_DEP_1)
	v_min_u32_e32 v3, 1, v12
	v_or_b32_e32 v3, v13, v3
	s_delay_alu instid0(VALU_DEP_1) | instskip(NEXT) | instid1(VALU_DEP_1)
	v_cvt_f32_i32_e32 v3, v3
	v_ldexp_f32 v1, v3, v1
                                        ; implicit-def: $vgpr3
	s_delay_alu instid0(VALU_DEP_1) | instskip(NEXT) | instid1(VALU_DEP_1)
	v_and_b32_e32 v5, 0x7fffffff, v1
	v_cmpx_gt_u32_e32 0x43f00000, v5
	s_xor_b32 s3, exec_lo, s3
	s_cbranch_execz .LBB127_3677
; %bb.3672:
	s_mov_b32 s6, exec_lo
                                        ; implicit-def: $vgpr3
	v_cmpx_lt_u32_e32 0x3c7fffff, v5
	s_xor_b32 s6, exec_lo, s6
; %bb.3673:
	v_bfe_u32 v3, v1, 20, 1
	s_delay_alu instid0(VALU_DEP_1) | instskip(NEXT) | instid1(VALU_DEP_1)
	v_add3_u32 v3, v1, v3, 0x407ffff
	v_and_b32_e32 v5, 0xff00000, v3
	v_lshrrev_b32_e32 v3, 20, v3
	s_delay_alu instid0(VALU_DEP_2) | instskip(NEXT) | instid1(VALU_DEP_2)
	v_cmp_ne_u32_e32 vcc_lo, 0x7f00000, v5
	v_cndmask_b32_e32 v3, 0x7e, v3, vcc_lo
; %bb.3674:
	s_and_not1_saveexec_b32 s6, s6
; %bb.3675:
	v_add_f32_e64 v3, 0x46800000, |v1|
; %bb.3676:
	s_or_b32 exec_lo, exec_lo, s6
                                        ; implicit-def: $vgpr5
.LBB127_3677:
	s_and_not1_saveexec_b32 s3, s3
; %bb.3678:
	v_mov_b32_e32 v3, 0x7f
	v_cmp_lt_u32_e32 vcc_lo, 0x7f800000, v5
	s_delay_alu instid0(VALU_DEP_2)
	v_cndmask_b32_e32 v3, 0x7e, v3, vcc_lo
; %bb.3679:
	s_or_b32 exec_lo, exec_lo, s3
	v_lshrrev_b32_e32 v1, 24, v1
	s_delay_alu instid0(VALU_DEP_1)
	v_and_or_b32 v1, 0x80, v1, v3
	global_store_b8 v[6:7], v1, off
.LBB127_3680:
	s_mov_b32 s3, 0
.LBB127_3681:
	s_delay_alu instid0(SALU_CYCLE_1)
	s_and_not1_b32 vcc_lo, exec_lo, s3
	s_cbranch_vccnz .LBB127_3691
; %bb.3682:
	s_wait_xcnt 0x0
	v_xor_b32_e32 v1, v8, v9
	v_cls_i32_e32 v3, v9
	s_mov_b32 s3, exec_lo
	s_delay_alu instid0(VALU_DEP_2) | instskip(NEXT) | instid1(VALU_DEP_1)
	v_ashrrev_i32_e32 v1, 31, v1
	v_add_nc_u32_e32 v1, 32, v1
	s_delay_alu instid0(VALU_DEP_1) | instskip(NEXT) | instid1(VALU_DEP_1)
	v_add_min_u32_e64 v1, v3, -1, v1
	v_lshlrev_b64_e32 v[12:13], v1, v[8:9]
	v_sub_nc_u32_e32 v1, 32, v1
	s_delay_alu instid0(VALU_DEP_2) | instskip(NEXT) | instid1(VALU_DEP_1)
	v_min_u32_e32 v3, 1, v12
	v_or_b32_e32 v3, v13, v3
	s_delay_alu instid0(VALU_DEP_1) | instskip(NEXT) | instid1(VALU_DEP_1)
	v_cvt_f32_i32_e32 v3, v3
	v_ldexp_f32 v1, v3, v1
                                        ; implicit-def: $vgpr3
	s_delay_alu instid0(VALU_DEP_1) | instskip(NEXT) | instid1(VALU_DEP_1)
	v_and_b32_e32 v5, 0x7fffffff, v1
	v_cmpx_gt_u32_e32 0x47800000, v5
	s_xor_b32 s3, exec_lo, s3
	s_cbranch_execz .LBB127_3688
; %bb.3683:
	s_mov_b32 s6, exec_lo
                                        ; implicit-def: $vgpr3
	v_cmpx_lt_u32_e32 0x387fffff, v5
	s_xor_b32 s6, exec_lo, s6
; %bb.3684:
	v_bfe_u32 v3, v1, 21, 1
	s_delay_alu instid0(VALU_DEP_1) | instskip(NEXT) | instid1(VALU_DEP_1)
	v_add3_u32 v3, v1, v3, 0x80fffff
	v_lshrrev_b32_e32 v3, 21, v3
; %bb.3685:
	s_and_not1_saveexec_b32 s6, s6
; %bb.3686:
	v_add_f32_e64 v3, 0x43000000, |v1|
; %bb.3687:
	s_or_b32 exec_lo, exec_lo, s6
                                        ; implicit-def: $vgpr5
.LBB127_3688:
	s_and_not1_saveexec_b32 s3, s3
; %bb.3689:
	v_mov_b32_e32 v3, 0x7f
	v_cmp_lt_u32_e32 vcc_lo, 0x7f800000, v5
	s_delay_alu instid0(VALU_DEP_2)
	v_cndmask_b32_e32 v3, 0x7c, v3, vcc_lo
; %bb.3690:
	s_or_b32 exec_lo, exec_lo, s3
	v_lshrrev_b32_e32 v1, 24, v1
	s_delay_alu instid0(VALU_DEP_1)
	v_and_or_b32 v1, 0x80, v1, v3
	global_store_b8 v[6:7], v1, off
.LBB127_3691:
	s_mov_b32 s3, 0
	s_mov_b32 s6, -1
.LBB127_3692:
	s_and_not1_b32 vcc_lo, exec_lo, s3
	s_mov_b32 s3, 0
	s_cbranch_vccnz .LBB127_3699
; %bb.3693:
	s_cmp_gt_i32 s2, 14
	s_mov_b32 s3, -1
	s_cbranch_scc0 .LBB127_3697
; %bb.3694:
	s_cmp_eq_u32 s2, 15
	s_mov_b32 s0, -1
	s_cbranch_scc0 .LBB127_3696
; %bb.3695:
	s_wait_xcnt 0x0
	v_xor_b32_e32 v1, v8, v9
	v_cls_i32_e32 v3, v9
	s_mov_b32 s6, -1
	s_mov_b32 s0, 0
	s_delay_alu instid0(VALU_DEP_2) | instskip(NEXT) | instid1(VALU_DEP_1)
	v_ashrrev_i32_e32 v1, 31, v1
	v_add_nc_u32_e32 v1, 32, v1
	s_delay_alu instid0(VALU_DEP_1) | instskip(NEXT) | instid1(VALU_DEP_1)
	v_add_min_u32_e64 v1, v3, -1, v1
	v_lshlrev_b64_e32 v[12:13], v1, v[8:9]
	v_sub_nc_u32_e32 v1, 32, v1
	s_delay_alu instid0(VALU_DEP_2) | instskip(NEXT) | instid1(VALU_DEP_1)
	v_min_u32_e32 v3, 1, v12
	v_or_b32_e32 v3, v13, v3
	s_delay_alu instid0(VALU_DEP_1) | instskip(NEXT) | instid1(VALU_DEP_1)
	v_cvt_f32_i32_e32 v3, v3
	v_ldexp_f32 v1, v3, v1
	s_delay_alu instid0(VALU_DEP_1) | instskip(NEXT) | instid1(VALU_DEP_1)
	v_bfe_u32 v3, v1, 16, 1
	v_add3_u32 v1, v1, v3, 0x7fff
	global_store_d16_hi_b16 v[6:7], v1, off
.LBB127_3696:
	s_mov_b32 s3, 0
.LBB127_3697:
	s_delay_alu instid0(SALU_CYCLE_1)
	s_and_b32 vcc_lo, exec_lo, s3
	s_mov_b32 s3, 0
	s_cbranch_vccz .LBB127_3699
; %bb.3698:
	s_cmp_lg_u32 s2, 11
	s_mov_b32 s3, -1
	s_cselect_b32 s0, -1, 0
.LBB127_3699:
	s_delay_alu instid0(SALU_CYCLE_1)
	s_and_b32 vcc_lo, exec_lo, s0
	s_cbranch_vccnz .LBB127_4107
; %bb.3700:
	s_and_not1_b32 vcc_lo, exec_lo, s3
	s_cbranch_vccnz .LBB127_3702
.LBB127_3701:
	v_cmp_ne_u64_e32 vcc_lo, 0, v[8:9]
	s_mov_b32 s6, -1
	s_wait_xcnt 0x0
	v_cndmask_b32_e64 v1, 0, 1, vcc_lo
	global_store_b8 v[6:7], v1, off
.LBB127_3702:
	s_mov_b32 s0, 0
	s_branch .LBB127_3704
.LBB127_3703:
	s_mov_b32 s0, -1
	s_mov_b32 s6, 0
.LBB127_3704:
	s_and_b32 vcc_lo, exec_lo, s0
	s_cbranch_vccz .LBB127_3743
; %bb.3705:
	s_and_b32 s0, 0xffff, s1
	s_mov_b32 s2, -1
	s_cmp_lt_i32 s0, 5
	s_cbranch_scc1 .LBB127_3726
; %bb.3706:
	s_cmp_lt_i32 s0, 8
	s_cbranch_scc1 .LBB127_3716
; %bb.3707:
	;; [unrolled: 3-line block ×3, first 2 shown]
	s_cmp_gt_i32 s0, 9
	s_cbranch_scc0 .LBB127_3710
; %bb.3709:
	v_cvt_f64_i32_e32 v[12:13], v9
	v_cvt_f64_u32_e32 v[16:17], v8
	s_mov_b32 s2, 0
	v_mov_b32_e32 v34, 0
	s_delay_alu instid0(VALU_DEP_1) | instskip(NEXT) | instid1(VALU_DEP_4)
	v_mov_b32_e32 v35, v34
	v_ldexp_f64 v[12:13], v[12:13], 32
	s_delay_alu instid0(VALU_DEP_1)
	v_add_f64_e32 v[32:33], v[12:13], v[16:17]
	global_store_b128 v[6:7], v[32:35], off
.LBB127_3710:
	s_and_not1_b32 vcc_lo, exec_lo, s2
	s_cbranch_vccnz .LBB127_3712
; %bb.3711:
	s_wait_xcnt 0x0
	v_xor_b32_e32 v1, v8, v9
	v_cls_i32_e32 v3, v9
	s_delay_alu instid0(VALU_DEP_2) | instskip(NEXT) | instid1(VALU_DEP_1)
	v_ashrrev_i32_e32 v1, 31, v1
	v_add_nc_u32_e32 v1, 32, v1
	s_delay_alu instid0(VALU_DEP_1) | instskip(NEXT) | instid1(VALU_DEP_1)
	v_add_min_u32_e64 v1, v3, -1, v1
	v_lshlrev_b64_e32 v[12:13], v1, v[8:9]
	v_sub_nc_u32_e32 v1, 32, v1
	s_delay_alu instid0(VALU_DEP_2) | instskip(NEXT) | instid1(VALU_DEP_1)
	v_min_u32_e32 v3, 1, v12
	v_dual_mov_b32 v13, 0 :: v_dual_bitop2_b32 v3, v13, v3 bitop3:0x54
	s_delay_alu instid0(VALU_DEP_1) | instskip(NEXT) | instid1(VALU_DEP_1)
	v_cvt_f32_i32_e32 v3, v3
	v_ldexp_f32 v12, v3, v1
	global_store_b64 v[6:7], v[12:13], off
.LBB127_3712:
	s_mov_b32 s2, 0
.LBB127_3713:
	s_delay_alu instid0(SALU_CYCLE_1)
	s_and_not1_b32 vcc_lo, exec_lo, s2
	s_cbranch_vccnz .LBB127_3715
; %bb.3714:
	s_wait_xcnt 0x0
	v_xor_b32_e32 v1, v8, v9
	v_cls_i32_e32 v3, v9
	s_delay_alu instid0(VALU_DEP_2) | instskip(NEXT) | instid1(VALU_DEP_1)
	v_ashrrev_i32_e32 v1, 31, v1
	v_add_nc_u32_e32 v1, 32, v1
	s_delay_alu instid0(VALU_DEP_1) | instskip(NEXT) | instid1(VALU_DEP_1)
	v_add_min_u32_e64 v1, v3, -1, v1
	v_lshlrev_b64_e32 v[12:13], v1, v[8:9]
	v_sub_nc_u32_e32 v1, 32, v1
	s_delay_alu instid0(VALU_DEP_2) | instskip(NEXT) | instid1(VALU_DEP_1)
	v_min_u32_e32 v3, 1, v12
	v_or_b32_e32 v3, v13, v3
	s_delay_alu instid0(VALU_DEP_1) | instskip(NEXT) | instid1(VALU_DEP_1)
	v_cvt_f32_i32_e32 v3, v3
	v_ldexp_f32 v1, v3, v1
	s_delay_alu instid0(VALU_DEP_1) | instskip(NEXT) | instid1(VALU_DEP_1)
	v_cvt_f16_f32_e32 v1, v1
	v_and_b32_e32 v1, 0xffff, v1
	global_store_b32 v[6:7], v1, off
.LBB127_3715:
	s_mov_b32 s2, 0
.LBB127_3716:
	s_delay_alu instid0(SALU_CYCLE_1)
	s_and_not1_b32 vcc_lo, exec_lo, s2
	s_cbranch_vccnz .LBB127_3725
; %bb.3717:
	s_cmp_lt_i32 s0, 6
	s_mov_b32 s2, -1
	s_cbranch_scc1 .LBB127_3723
; %bb.3718:
	s_cmp_gt_i32 s0, 6
	s_cbranch_scc0 .LBB127_3720
; %bb.3719:
	s_wait_xcnt 0x0
	v_cvt_f64_i32_e32 v[12:13], v9
	v_cvt_f64_u32_e32 v[16:17], v8
	s_mov_b32 s2, 0
	s_delay_alu instid0(VALU_DEP_2) | instskip(NEXT) | instid1(VALU_DEP_1)
	v_ldexp_f64 v[12:13], v[12:13], 32
	v_add_f64_e32 v[12:13], v[12:13], v[16:17]
	global_store_b64 v[6:7], v[12:13], off
.LBB127_3720:
	s_and_not1_b32 vcc_lo, exec_lo, s2
	s_cbranch_vccnz .LBB127_3722
; %bb.3721:
	s_wait_xcnt 0x0
	v_xor_b32_e32 v1, v8, v9
	v_cls_i32_e32 v3, v9
	s_delay_alu instid0(VALU_DEP_2) | instskip(NEXT) | instid1(VALU_DEP_1)
	v_ashrrev_i32_e32 v1, 31, v1
	v_add_nc_u32_e32 v1, 32, v1
	s_delay_alu instid0(VALU_DEP_1) | instskip(NEXT) | instid1(VALU_DEP_1)
	v_add_min_u32_e64 v1, v3, -1, v1
	v_lshlrev_b64_e32 v[12:13], v1, v[8:9]
	v_sub_nc_u32_e32 v1, 32, v1
	s_delay_alu instid0(VALU_DEP_2) | instskip(NEXT) | instid1(VALU_DEP_1)
	v_min_u32_e32 v3, 1, v12
	v_or_b32_e32 v3, v13, v3
	s_delay_alu instid0(VALU_DEP_1) | instskip(NEXT) | instid1(VALU_DEP_1)
	v_cvt_f32_i32_e32 v3, v3
	v_ldexp_f32 v1, v3, v1
	global_store_b32 v[6:7], v1, off
.LBB127_3722:
	s_mov_b32 s2, 0
.LBB127_3723:
	s_delay_alu instid0(SALU_CYCLE_1)
	s_and_not1_b32 vcc_lo, exec_lo, s2
	s_cbranch_vccnz .LBB127_3725
; %bb.3724:
	s_wait_xcnt 0x0
	v_xor_b32_e32 v1, v8, v9
	v_cls_i32_e32 v3, v9
	s_delay_alu instid0(VALU_DEP_2) | instskip(NEXT) | instid1(VALU_DEP_1)
	v_ashrrev_i32_e32 v1, 31, v1
	v_add_nc_u32_e32 v1, 32, v1
	s_delay_alu instid0(VALU_DEP_1) | instskip(NEXT) | instid1(VALU_DEP_1)
	v_add_min_u32_e64 v1, v3, -1, v1
	v_lshlrev_b64_e32 v[12:13], v1, v[8:9]
	v_sub_nc_u32_e32 v1, 32, v1
	s_delay_alu instid0(VALU_DEP_2) | instskip(NEXT) | instid1(VALU_DEP_1)
	v_min_u32_e32 v3, 1, v12
	v_or_b32_e32 v3, v13, v3
	s_delay_alu instid0(VALU_DEP_1) | instskip(NEXT) | instid1(VALU_DEP_1)
	v_cvt_f32_i32_e32 v3, v3
	v_ldexp_f32 v1, v3, v1
	s_delay_alu instid0(VALU_DEP_1)
	v_cvt_f16_f32_e32 v1, v1
	global_store_b16 v[6:7], v1, off
.LBB127_3725:
	s_mov_b32 s2, 0
.LBB127_3726:
	s_delay_alu instid0(SALU_CYCLE_1)
	s_and_not1_b32 vcc_lo, exec_lo, s2
	s_cbranch_vccnz .LBB127_3742
; %bb.3727:
	s_cmp_lt_i32 s0, 2
	s_mov_b32 s2, -1
	s_cbranch_scc1 .LBB127_3737
; %bb.3728:
	s_cmp_lt_i32 s0, 3
	s_cbranch_scc1 .LBB127_3734
; %bb.3729:
	s_cmp_gt_i32 s0, 3
	s_cbranch_scc0 .LBB127_3731
; %bb.3730:
	s_mov_b32 s2, 0
	global_store_b64 v[6:7], v[8:9], off
.LBB127_3731:
	s_and_not1_b32 vcc_lo, exec_lo, s2
	s_cbranch_vccnz .LBB127_3733
; %bb.3732:
	global_store_b32 v[6:7], v8, off
.LBB127_3733:
	s_mov_b32 s2, 0
.LBB127_3734:
	s_delay_alu instid0(SALU_CYCLE_1)
	s_and_not1_b32 vcc_lo, exec_lo, s2
	s_cbranch_vccnz .LBB127_3736
; %bb.3735:
	global_store_b16 v[6:7], v8, off
.LBB127_3736:
	s_mov_b32 s2, 0
.LBB127_3737:
	s_delay_alu instid0(SALU_CYCLE_1)
	s_and_not1_b32 vcc_lo, exec_lo, s2
	s_cbranch_vccnz .LBB127_3742
; %bb.3738:
	s_cmp_gt_i32 s0, 0
	s_mov_b32 s0, -1
	s_cbranch_scc0 .LBB127_3740
; %bb.3739:
	s_mov_b32 s0, 0
	global_store_b8 v[6:7], v8, off
.LBB127_3740:
	s_and_not1_b32 vcc_lo, exec_lo, s0
	s_cbranch_vccnz .LBB127_3742
; %bb.3741:
	global_store_b8 v[6:7], v8, off
.LBB127_3742:
	s_mov_b32 s6, -1
.LBB127_3743:
	s_delay_alu instid0(SALU_CYCLE_1)
	s_and_not1_b32 vcc_lo, exec_lo, s6
	s_cbranch_vccnz .LBB127_4058
; %bb.3744:
	s_wait_xcnt 0x0
	v_max_i64 v[6:7], v[18:19], v[22:23]
	v_mov_b32_e32 v5, 0
	s_and_b32 s2, 0xffff, s1
	s_delay_alu instid0(SALU_CYCLE_1) | instskip(NEXT) | instid1(VALU_DEP_1)
	s_cmp_lt_i32 s2, 11
	v_add_nc_u64_e32 v[4:5], s[4:5], v[4:5]
	s_delay_alu instid0(VALU_DEP_3)
	v_min_i64 v[6:7], v[6:7], v[26:27]
	s_cbranch_scc1 .LBB127_3822
; %bb.3745:
	s_mov_b32 s7, -1
	s_mov_b32 s3, 0
	s_cmp_gt_i32 s2, 25
	s_mov_b32 s6, 0
	s_mov_b32 s0, 0
	s_cbranch_scc0 .LBB127_3778
; %bb.3746:
	s_cmp_gt_i32 s2, 28
	s_cbranch_scc0 .LBB127_3761
; %bb.3747:
	s_cmp_gt_i32 s2, 43
	;; [unrolled: 3-line block ×3, first 2 shown]
	s_cbranch_scc0 .LBB127_3751
; %bb.3749:
	s_mov_b32 s0, -1
	s_mov_b32 s7, 0
	s_cmp_eq_u32 s2, 46
	s_cbranch_scc0 .LBB127_3751
; %bb.3750:
	s_delay_alu instid0(VALU_DEP_1) | instskip(SKIP_3) | instid1(VALU_DEP_2)
	v_xor_b32_e32 v1, v6, v7
	v_cls_i32_e32 v3, v7
	s_mov_b32 s6, -1
	s_mov_b32 s0, 0
	v_ashrrev_i32_e32 v1, 31, v1
	s_delay_alu instid0(VALU_DEP_1) | instskip(NEXT) | instid1(VALU_DEP_1)
	v_add_nc_u32_e32 v1, 32, v1
	v_add_min_u32_e64 v1, v3, -1, v1
	s_delay_alu instid0(VALU_DEP_1) | instskip(SKIP_1) | instid1(VALU_DEP_2)
	v_lshlrev_b64_e32 v[8:9], v1, v[6:7]
	v_sub_nc_u32_e32 v1, 32, v1
	v_min_u32_e32 v3, 1, v8
	s_delay_alu instid0(VALU_DEP_1) | instskip(NEXT) | instid1(VALU_DEP_1)
	v_or_b32_e32 v3, v9, v3
	v_cvt_f32_i32_e32 v3, v3
	s_delay_alu instid0(VALU_DEP_1) | instskip(NEXT) | instid1(VALU_DEP_1)
	v_ldexp_f32 v1, v3, v1
	v_bfe_u32 v3, v1, 16, 1
	s_delay_alu instid0(VALU_DEP_1) | instskip(NEXT) | instid1(VALU_DEP_1)
	v_add3_u32 v1, v1, v3, 0x7fff
	v_lshrrev_b32_e32 v1, 16, v1
	global_store_b32 v[4:5], v1, off
.LBB127_3751:
	s_and_b32 vcc_lo, exec_lo, s7
	s_cbranch_vccz .LBB127_3756
; %bb.3752:
	s_cmp_eq_u32 s2, 44
	s_mov_b32 s0, -1
	s_cbranch_scc0 .LBB127_3756
; %bb.3753:
	s_wait_xcnt 0x0
	s_delay_alu instid0(VALU_DEP_1) | instskip(SKIP_3) | instid1(VALU_DEP_2)
	v_xor_b32_e32 v1, v6, v7
	v_cls_i32_e32 v3, v7
	s_mov_b32 s6, -1
	s_mov_b32 s7, exec_lo
	v_ashrrev_i32_e32 v1, 31, v1
	s_delay_alu instid0(VALU_DEP_1) | instskip(NEXT) | instid1(VALU_DEP_1)
	v_add_nc_u32_e32 v1, 32, v1
	v_add_min_u32_e64 v1, v3, -1, v1
	s_delay_alu instid0(VALU_DEP_1) | instskip(SKIP_1) | instid1(VALU_DEP_2)
	v_lshlrev_b64_e32 v[8:9], v1, v[6:7]
	v_sub_nc_u32_e32 v1, 32, v1
	v_min_u32_e32 v3, 1, v8
	s_delay_alu instid0(VALU_DEP_1) | instskip(NEXT) | instid1(VALU_DEP_1)
	v_or_b32_e32 v3, v9, v3
	v_cvt_f32_i32_e32 v3, v3
	s_delay_alu instid0(VALU_DEP_1) | instskip(SKIP_1) | instid1(VALU_DEP_2)
	v_ldexp_f32 v1, v3, v1
	v_mov_b32_e32 v3, 0xff
	v_bfe_u32 v8, v1, 23, 8
	s_delay_alu instid0(VALU_DEP_1)
	v_cmpx_ne_u32_e32 0xff, v8
	s_cbranch_execz .LBB127_3755
; %bb.3754:
	v_and_b32_e32 v3, 0x400000, v1
	v_and_or_b32 v8, 0x3fffff, v1, v8
	v_lshrrev_b32_e32 v1, 23, v1
	s_delay_alu instid0(VALU_DEP_3) | instskip(NEXT) | instid1(VALU_DEP_3)
	v_cmp_ne_u32_e32 vcc_lo, 0, v3
	v_cmp_ne_u32_e64 s0, 0, v8
	s_and_b32 s0, vcc_lo, s0
	s_delay_alu instid0(SALU_CYCLE_1) | instskip(NEXT) | instid1(VALU_DEP_1)
	v_cndmask_b32_e64 v3, 0, 1, s0
	v_add_nc_u32_e32 v3, v1, v3
.LBB127_3755:
	s_or_b32 exec_lo, exec_lo, s7
	s_mov_b32 s0, 0
	global_store_b8 v[4:5], v3, off
.LBB127_3756:
	s_mov_b32 s7, 0
.LBB127_3757:
	s_delay_alu instid0(SALU_CYCLE_1)
	s_and_b32 vcc_lo, exec_lo, s7
	s_cbranch_vccz .LBB127_3760
; %bb.3758:
	s_cmp_eq_u32 s2, 29
	s_mov_b32 s0, -1
	s_cbranch_scc0 .LBB127_3760
; %bb.3759:
	s_mov_b32 s0, 0
	s_mov_b32 s6, -1
	global_store_b64 v[4:5], v[6:7], off
.LBB127_3760:
	s_mov_b32 s7, 0
.LBB127_3761:
	s_delay_alu instid0(SALU_CYCLE_1)
	s_and_b32 vcc_lo, exec_lo, s7
	s_cbranch_vccz .LBB127_3777
; %bb.3762:
	s_cmp_lt_i32 s2, 27
	s_mov_b32 s6, -1
	s_cbranch_scc1 .LBB127_3768
; %bb.3763:
	s_cmp_gt_i32 s2, 27
	s_cbranch_scc0 .LBB127_3765
; %bb.3764:
	s_mov_b32 s6, 0
	global_store_b32 v[4:5], v6, off
.LBB127_3765:
	s_and_not1_b32 vcc_lo, exec_lo, s6
	s_cbranch_vccnz .LBB127_3767
; %bb.3766:
	global_store_b16 v[4:5], v6, off
.LBB127_3767:
	s_mov_b32 s6, 0
.LBB127_3768:
	s_delay_alu instid0(SALU_CYCLE_1)
	s_and_not1_b32 vcc_lo, exec_lo, s6
	s_cbranch_vccnz .LBB127_3776
; %bb.3769:
	s_wait_xcnt 0x0
	s_delay_alu instid0(VALU_DEP_1) | instskip(SKIP_2) | instid1(VALU_DEP_2)
	v_xor_b32_e32 v1, v6, v7
	v_cls_i32_e32 v3, v7
	s_mov_b32 s6, exec_lo
	v_ashrrev_i32_e32 v1, 31, v1
	s_delay_alu instid0(VALU_DEP_1) | instskip(NEXT) | instid1(VALU_DEP_1)
	v_add_nc_u32_e32 v1, 32, v1
	v_add_min_u32_e64 v1, v3, -1, v1
	s_delay_alu instid0(VALU_DEP_1) | instskip(SKIP_1) | instid1(VALU_DEP_2)
	v_lshlrev_b64_e32 v[8:9], v1, v[6:7]
	v_sub_nc_u32_e32 v1, 32, v1
	v_min_u32_e32 v3, 1, v8
	v_mov_b32_e32 v8, 0x80
	s_delay_alu instid0(VALU_DEP_2) | instskip(NEXT) | instid1(VALU_DEP_1)
	v_or_b32_e32 v3, v9, v3
	v_cvt_f32_i32_e32 v3, v3
	s_delay_alu instid0(VALU_DEP_1) | instskip(NEXT) | instid1(VALU_DEP_1)
	v_ldexp_f32 v1, v3, v1
	v_and_b32_e32 v3, 0x7fffffff, v1
	s_delay_alu instid0(VALU_DEP_1)
	v_cmpx_gt_u32_e32 0x43800000, v3
	s_cbranch_execz .LBB127_3775
; %bb.3770:
	v_cmp_lt_u32_e32 vcc_lo, 0x3bffffff, v3
	s_mov_b32 s7, 0
                                        ; implicit-def: $vgpr3
	s_and_saveexec_b32 s8, vcc_lo
	s_delay_alu instid0(SALU_CYCLE_1)
	s_xor_b32 s8, exec_lo, s8
	s_cbranch_execz .LBB127_4110
; %bb.3771:
	v_bfe_u32 v3, v1, 20, 1
	s_mov_b32 s7, exec_lo
	s_delay_alu instid0(VALU_DEP_1) | instskip(NEXT) | instid1(VALU_DEP_1)
	v_add3_u32 v3, v1, v3, 0x487ffff
	v_lshrrev_b32_e32 v3, 20, v3
	s_and_not1_saveexec_b32 s8, s8
	s_cbranch_execnz .LBB127_4111
.LBB127_3772:
	s_or_b32 exec_lo, exec_lo, s8
	v_mov_b32_e32 v8, 0
	s_and_saveexec_b32 s8, s7
.LBB127_3773:
	v_lshrrev_b32_e32 v1, 24, v1
	s_delay_alu instid0(VALU_DEP_1)
	v_and_or_b32 v8, 0x80, v1, v3
.LBB127_3774:
	s_or_b32 exec_lo, exec_lo, s8
.LBB127_3775:
	s_delay_alu instid0(SALU_CYCLE_1)
	s_or_b32 exec_lo, exec_lo, s6
	global_store_b8 v[4:5], v8, off
.LBB127_3776:
	s_mov_b32 s6, -1
.LBB127_3777:
	s_mov_b32 s7, 0
.LBB127_3778:
	s_delay_alu instid0(SALU_CYCLE_1)
	s_and_b32 vcc_lo, exec_lo, s7
	s_cbranch_vccz .LBB127_3818
; %bb.3779:
	s_cmp_gt_i32 s2, 22
	s_mov_b32 s3, -1
	s_cbranch_scc0 .LBB127_3811
; %bb.3780:
	s_cmp_lt_i32 s2, 24
	s_cbranch_scc1 .LBB127_3800
; %bb.3781:
	s_cmp_gt_i32 s2, 24
	s_cbranch_scc0 .LBB127_3789
; %bb.3782:
	s_wait_xcnt 0x0
	s_delay_alu instid0(VALU_DEP_1) | instskip(SKIP_2) | instid1(VALU_DEP_2)
	v_xor_b32_e32 v1, v6, v7
	v_cls_i32_e32 v3, v7
	s_mov_b32 s3, exec_lo
	v_ashrrev_i32_e32 v1, 31, v1
	s_delay_alu instid0(VALU_DEP_1) | instskip(NEXT) | instid1(VALU_DEP_1)
	v_add_nc_u32_e32 v1, 32, v1
	v_add_min_u32_e64 v1, v3, -1, v1
	s_delay_alu instid0(VALU_DEP_1) | instskip(SKIP_1) | instid1(VALU_DEP_2)
	v_lshlrev_b64_e32 v[8:9], v1, v[6:7]
	v_sub_nc_u32_e32 v1, 32, v1
	v_min_u32_e32 v3, 1, v8
	v_mov_b32_e32 v8, 0x80
	s_delay_alu instid0(VALU_DEP_2) | instskip(NEXT) | instid1(VALU_DEP_1)
	v_or_b32_e32 v3, v9, v3
	v_cvt_f32_i32_e32 v3, v3
	s_delay_alu instid0(VALU_DEP_1) | instskip(NEXT) | instid1(VALU_DEP_1)
	v_ldexp_f32 v1, v3, v1
	v_and_b32_e32 v3, 0x7fffffff, v1
	s_delay_alu instid0(VALU_DEP_1)
	v_cmpx_gt_u32_e32 0x47800000, v3
	s_cbranch_execz .LBB127_3788
; %bb.3783:
	v_cmp_lt_u32_e32 vcc_lo, 0x37ffffff, v3
	s_mov_b32 s6, 0
                                        ; implicit-def: $vgpr3
	s_and_saveexec_b32 s7, vcc_lo
	s_delay_alu instid0(SALU_CYCLE_1)
	s_xor_b32 s7, exec_lo, s7
	s_cbranch_execz .LBB127_4113
; %bb.3784:
	v_bfe_u32 v3, v1, 21, 1
	s_mov_b32 s6, exec_lo
	s_delay_alu instid0(VALU_DEP_1) | instskip(NEXT) | instid1(VALU_DEP_1)
	v_add3_u32 v3, v1, v3, 0x88fffff
	v_lshrrev_b32_e32 v3, 21, v3
	s_and_not1_saveexec_b32 s7, s7
	s_cbranch_execnz .LBB127_4114
.LBB127_3785:
	s_or_b32 exec_lo, exec_lo, s7
	v_mov_b32_e32 v8, 0
	s_and_saveexec_b32 s7, s6
.LBB127_3786:
	v_lshrrev_b32_e32 v1, 24, v1
	s_delay_alu instid0(VALU_DEP_1)
	v_and_or_b32 v8, 0x80, v1, v3
.LBB127_3787:
	s_or_b32 exec_lo, exec_lo, s7
.LBB127_3788:
	s_delay_alu instid0(SALU_CYCLE_1)
	s_or_b32 exec_lo, exec_lo, s3
	s_mov_b32 s3, 0
	global_store_b8 v[4:5], v8, off
.LBB127_3789:
	s_and_b32 vcc_lo, exec_lo, s3
	s_cbranch_vccz .LBB127_3799
; %bb.3790:
	s_wait_xcnt 0x0
	s_delay_alu instid0(VALU_DEP_1) | instskip(SKIP_2) | instid1(VALU_DEP_2)
	v_xor_b32_e32 v1, v6, v7
	v_cls_i32_e32 v3, v7
	s_mov_b32 s3, exec_lo
	v_ashrrev_i32_e32 v1, 31, v1
	s_delay_alu instid0(VALU_DEP_1) | instskip(NEXT) | instid1(VALU_DEP_1)
	v_add_nc_u32_e32 v1, 32, v1
	v_add_min_u32_e64 v1, v3, -1, v1
	s_delay_alu instid0(VALU_DEP_1) | instskip(SKIP_1) | instid1(VALU_DEP_2)
	v_lshlrev_b64_e32 v[8:9], v1, v[6:7]
	v_sub_nc_u32_e32 v1, 32, v1
	v_min_u32_e32 v3, 1, v8
	s_delay_alu instid0(VALU_DEP_1) | instskip(NEXT) | instid1(VALU_DEP_1)
	v_or_b32_e32 v3, v9, v3
	v_cvt_f32_i32_e32 v3, v3
	s_delay_alu instid0(VALU_DEP_1) | instskip(NEXT) | instid1(VALU_DEP_1)
	v_ldexp_f32 v1, v3, v1
                                        ; implicit-def: $vgpr3
	v_and_b32_e32 v8, 0x7fffffff, v1
	s_delay_alu instid0(VALU_DEP_1)
	v_cmpx_gt_u32_e32 0x43f00000, v8
	s_xor_b32 s3, exec_lo, s3
	s_cbranch_execz .LBB127_3796
; %bb.3791:
	s_mov_b32 s6, exec_lo
                                        ; implicit-def: $vgpr3
	v_cmpx_lt_u32_e32 0x3c7fffff, v8
	s_xor_b32 s6, exec_lo, s6
; %bb.3792:
	v_bfe_u32 v3, v1, 20, 1
	s_delay_alu instid0(VALU_DEP_1) | instskip(NEXT) | instid1(VALU_DEP_1)
	v_add3_u32 v3, v1, v3, 0x407ffff
	v_and_b32_e32 v8, 0xff00000, v3
	v_lshrrev_b32_e32 v3, 20, v3
	s_delay_alu instid0(VALU_DEP_2) | instskip(NEXT) | instid1(VALU_DEP_2)
	v_cmp_ne_u32_e32 vcc_lo, 0x7f00000, v8
	v_cndmask_b32_e32 v3, 0x7e, v3, vcc_lo
; %bb.3793:
	s_and_not1_saveexec_b32 s6, s6
; %bb.3794:
	v_add_f32_e64 v3, 0x46800000, |v1|
; %bb.3795:
	s_or_b32 exec_lo, exec_lo, s6
                                        ; implicit-def: $vgpr8
.LBB127_3796:
	s_and_not1_saveexec_b32 s3, s3
; %bb.3797:
	v_mov_b32_e32 v3, 0x7f
	v_cmp_lt_u32_e32 vcc_lo, 0x7f800000, v8
	s_delay_alu instid0(VALU_DEP_2)
	v_cndmask_b32_e32 v3, 0x7e, v3, vcc_lo
; %bb.3798:
	s_or_b32 exec_lo, exec_lo, s3
	v_lshrrev_b32_e32 v1, 24, v1
	s_delay_alu instid0(VALU_DEP_1)
	v_and_or_b32 v1, 0x80, v1, v3
	global_store_b8 v[4:5], v1, off
.LBB127_3799:
	s_mov_b32 s3, 0
.LBB127_3800:
	s_delay_alu instid0(SALU_CYCLE_1)
	s_and_not1_b32 vcc_lo, exec_lo, s3
	s_cbranch_vccnz .LBB127_3810
; %bb.3801:
	s_wait_xcnt 0x0
	s_delay_alu instid0(VALU_DEP_1) | instskip(SKIP_2) | instid1(VALU_DEP_2)
	v_xor_b32_e32 v1, v6, v7
	v_cls_i32_e32 v3, v7
	s_mov_b32 s3, exec_lo
	v_ashrrev_i32_e32 v1, 31, v1
	s_delay_alu instid0(VALU_DEP_1) | instskip(NEXT) | instid1(VALU_DEP_1)
	v_add_nc_u32_e32 v1, 32, v1
	v_add_min_u32_e64 v1, v3, -1, v1
	s_delay_alu instid0(VALU_DEP_1) | instskip(SKIP_1) | instid1(VALU_DEP_2)
	v_lshlrev_b64_e32 v[8:9], v1, v[6:7]
	v_sub_nc_u32_e32 v1, 32, v1
	v_min_u32_e32 v3, 1, v8
	s_delay_alu instid0(VALU_DEP_1) | instskip(NEXT) | instid1(VALU_DEP_1)
	v_or_b32_e32 v3, v9, v3
	v_cvt_f32_i32_e32 v3, v3
	s_delay_alu instid0(VALU_DEP_1) | instskip(NEXT) | instid1(VALU_DEP_1)
	v_ldexp_f32 v1, v3, v1
                                        ; implicit-def: $vgpr3
	v_and_b32_e32 v8, 0x7fffffff, v1
	s_delay_alu instid0(VALU_DEP_1)
	v_cmpx_gt_u32_e32 0x47800000, v8
	s_xor_b32 s3, exec_lo, s3
	s_cbranch_execz .LBB127_3807
; %bb.3802:
	s_mov_b32 s6, exec_lo
                                        ; implicit-def: $vgpr3
	v_cmpx_lt_u32_e32 0x387fffff, v8
	s_xor_b32 s6, exec_lo, s6
; %bb.3803:
	v_bfe_u32 v3, v1, 21, 1
	s_delay_alu instid0(VALU_DEP_1) | instskip(NEXT) | instid1(VALU_DEP_1)
	v_add3_u32 v3, v1, v3, 0x80fffff
	v_lshrrev_b32_e32 v3, 21, v3
; %bb.3804:
	s_and_not1_saveexec_b32 s6, s6
; %bb.3805:
	v_add_f32_e64 v3, 0x43000000, |v1|
; %bb.3806:
	s_or_b32 exec_lo, exec_lo, s6
                                        ; implicit-def: $vgpr8
.LBB127_3807:
	s_and_not1_saveexec_b32 s3, s3
; %bb.3808:
	v_mov_b32_e32 v3, 0x7f
	v_cmp_lt_u32_e32 vcc_lo, 0x7f800000, v8
	s_delay_alu instid0(VALU_DEP_2)
	v_cndmask_b32_e32 v3, 0x7c, v3, vcc_lo
; %bb.3809:
	s_or_b32 exec_lo, exec_lo, s3
	v_lshrrev_b32_e32 v1, 24, v1
	s_delay_alu instid0(VALU_DEP_1)
	v_and_or_b32 v1, 0x80, v1, v3
	global_store_b8 v[4:5], v1, off
.LBB127_3810:
	s_mov_b32 s3, 0
	s_mov_b32 s6, -1
.LBB127_3811:
	s_and_not1_b32 vcc_lo, exec_lo, s3
	s_mov_b32 s3, 0
	s_cbranch_vccnz .LBB127_3818
; %bb.3812:
	s_cmp_gt_i32 s2, 14
	s_mov_b32 s3, -1
	s_cbranch_scc0 .LBB127_3816
; %bb.3813:
	s_cmp_eq_u32 s2, 15
	s_mov_b32 s0, -1
	s_cbranch_scc0 .LBB127_3815
; %bb.3814:
	s_wait_xcnt 0x0
	s_delay_alu instid0(VALU_DEP_1) | instskip(SKIP_3) | instid1(VALU_DEP_2)
	v_xor_b32_e32 v1, v6, v7
	v_cls_i32_e32 v3, v7
	s_mov_b32 s6, -1
	s_mov_b32 s0, 0
	v_ashrrev_i32_e32 v1, 31, v1
	s_delay_alu instid0(VALU_DEP_1) | instskip(NEXT) | instid1(VALU_DEP_1)
	v_add_nc_u32_e32 v1, 32, v1
	v_add_min_u32_e64 v1, v3, -1, v1
	s_delay_alu instid0(VALU_DEP_1) | instskip(SKIP_1) | instid1(VALU_DEP_2)
	v_lshlrev_b64_e32 v[8:9], v1, v[6:7]
	v_sub_nc_u32_e32 v1, 32, v1
	v_min_u32_e32 v3, 1, v8
	s_delay_alu instid0(VALU_DEP_1) | instskip(NEXT) | instid1(VALU_DEP_1)
	v_or_b32_e32 v3, v9, v3
	v_cvt_f32_i32_e32 v3, v3
	s_delay_alu instid0(VALU_DEP_1) | instskip(NEXT) | instid1(VALU_DEP_1)
	v_ldexp_f32 v1, v3, v1
	v_bfe_u32 v3, v1, 16, 1
	s_delay_alu instid0(VALU_DEP_1)
	v_add3_u32 v1, v1, v3, 0x7fff
	global_store_d16_hi_b16 v[4:5], v1, off
.LBB127_3815:
	s_mov_b32 s3, 0
.LBB127_3816:
	s_delay_alu instid0(SALU_CYCLE_1)
	s_and_b32 vcc_lo, exec_lo, s3
	s_mov_b32 s3, 0
	s_cbranch_vccz .LBB127_3818
; %bb.3817:
	s_cmp_lg_u32 s2, 11
	s_mov_b32 s3, -1
	s_cselect_b32 s0, -1, 0
.LBB127_3818:
	s_delay_alu instid0(SALU_CYCLE_1)
	s_and_b32 vcc_lo, exec_lo, s0
	s_cbranch_vccnz .LBB127_4112
; %bb.3819:
	s_and_not1_b32 vcc_lo, exec_lo, s3
	s_cbranch_vccnz .LBB127_3821
.LBB127_3820:
	s_delay_alu instid0(VALU_DEP_1)
	v_cmp_ne_u64_e32 vcc_lo, 0, v[6:7]
	s_mov_b32 s6, -1
	s_wait_xcnt 0x0
	v_cndmask_b32_e64 v1, 0, 1, vcc_lo
	global_store_b8 v[4:5], v1, off
.LBB127_3821:
	s_mov_b32 s0, 0
	s_branch .LBB127_3823
.LBB127_3822:
	s_mov_b32 s0, -1
	s_mov_b32 s6, 0
.LBB127_3823:
	s_and_b32 vcc_lo, exec_lo, s0
	s_cbranch_vccz .LBB127_3862
; %bb.3824:
	s_cmp_lt_i32 s2, 5
	s_mov_b32 s0, -1
	s_cbranch_scc1 .LBB127_3845
; %bb.3825:
	s_cmp_lt_i32 s2, 8
	s_cbranch_scc1 .LBB127_3835
; %bb.3826:
	s_cmp_lt_i32 s2, 9
	s_cbranch_scc1 .LBB127_3832
; %bb.3827:
	s_cmp_gt_i32 s2, 9
	s_cbranch_scc0 .LBB127_3829
; %bb.3828:
	s_wait_xcnt 0x0
	s_delay_alu instid0(VALU_DEP_1) | instskip(NEXT) | instid1(VALU_DEP_2)
	v_cvt_f64_i32_e32 v[8:9], v7
	v_cvt_f64_u32_e32 v[12:13], v6
	s_mov_b32 s0, 0
	v_mov_b32_e32 v18, 0
	s_delay_alu instid0(VALU_DEP_1) | instskip(NEXT) | instid1(VALU_DEP_4)
	v_mov_b32_e32 v19, v18
	v_ldexp_f64 v[8:9], v[8:9], 32
	s_delay_alu instid0(VALU_DEP_1)
	v_add_f64_e32 v[16:17], v[8:9], v[12:13]
	global_store_b128 v[4:5], v[16:19], off
.LBB127_3829:
	s_and_not1_b32 vcc_lo, exec_lo, s0
	s_cbranch_vccnz .LBB127_3831
; %bb.3830:
	s_wait_xcnt 0x0
	s_delay_alu instid0(VALU_DEP_1) | instskip(SKIP_1) | instid1(VALU_DEP_2)
	v_xor_b32_e32 v1, v6, v7
	v_cls_i32_e32 v3, v7
	v_ashrrev_i32_e32 v1, 31, v1
	s_delay_alu instid0(VALU_DEP_1) | instskip(NEXT) | instid1(VALU_DEP_1)
	v_add_nc_u32_e32 v1, 32, v1
	v_add_min_u32_e64 v1, v3, -1, v1
	s_delay_alu instid0(VALU_DEP_1) | instskip(SKIP_1) | instid1(VALU_DEP_2)
	v_lshlrev_b64_e32 v[8:9], v1, v[6:7]
	v_sub_nc_u32_e32 v1, 32, v1
	v_min_u32_e32 v3, 1, v8
	s_delay_alu instid0(VALU_DEP_1) | instskip(NEXT) | instid1(VALU_DEP_1)
	v_dual_mov_b32 v9, 0 :: v_dual_bitop2_b32 v3, v9, v3 bitop3:0x54
	v_cvt_f32_i32_e32 v3, v3
	s_delay_alu instid0(VALU_DEP_1)
	v_ldexp_f32 v8, v3, v1
	global_store_b64 v[4:5], v[8:9], off
.LBB127_3831:
	s_mov_b32 s0, 0
.LBB127_3832:
	s_delay_alu instid0(SALU_CYCLE_1)
	s_and_not1_b32 vcc_lo, exec_lo, s0
	s_cbranch_vccnz .LBB127_3834
; %bb.3833:
	s_wait_xcnt 0x0
	s_delay_alu instid0(VALU_DEP_1) | instskip(SKIP_1) | instid1(VALU_DEP_2)
	v_xor_b32_e32 v1, v6, v7
	v_cls_i32_e32 v3, v7
	v_ashrrev_i32_e32 v1, 31, v1
	s_delay_alu instid0(VALU_DEP_1) | instskip(NEXT) | instid1(VALU_DEP_1)
	v_add_nc_u32_e32 v1, 32, v1
	v_add_min_u32_e64 v1, v3, -1, v1
	s_delay_alu instid0(VALU_DEP_1) | instskip(SKIP_1) | instid1(VALU_DEP_2)
	v_lshlrev_b64_e32 v[8:9], v1, v[6:7]
	v_sub_nc_u32_e32 v1, 32, v1
	v_min_u32_e32 v3, 1, v8
	s_delay_alu instid0(VALU_DEP_1) | instskip(NEXT) | instid1(VALU_DEP_1)
	v_or_b32_e32 v3, v9, v3
	v_cvt_f32_i32_e32 v3, v3
	s_delay_alu instid0(VALU_DEP_1) | instskip(NEXT) | instid1(VALU_DEP_1)
	v_ldexp_f32 v1, v3, v1
	v_cvt_f16_f32_e32 v1, v1
	s_delay_alu instid0(VALU_DEP_1)
	v_and_b32_e32 v1, 0xffff, v1
	global_store_b32 v[4:5], v1, off
.LBB127_3834:
	s_mov_b32 s0, 0
.LBB127_3835:
	s_delay_alu instid0(SALU_CYCLE_1)
	s_and_not1_b32 vcc_lo, exec_lo, s0
	s_cbranch_vccnz .LBB127_3844
; %bb.3836:
	s_cmp_lt_i32 s2, 6
	s_mov_b32 s0, -1
	s_cbranch_scc1 .LBB127_3842
; %bb.3837:
	s_cmp_gt_i32 s2, 6
	s_cbranch_scc0 .LBB127_3839
; %bb.3838:
	s_wait_xcnt 0x0
	s_delay_alu instid0(VALU_DEP_1) | instskip(NEXT) | instid1(VALU_DEP_2)
	v_cvt_f64_i32_e32 v[8:9], v7
	v_cvt_f64_u32_e32 v[12:13], v6
	s_mov_b32 s0, 0
	s_delay_alu instid0(VALU_DEP_2) | instskip(NEXT) | instid1(VALU_DEP_1)
	v_ldexp_f64 v[8:9], v[8:9], 32
	v_add_f64_e32 v[8:9], v[8:9], v[12:13]
	global_store_b64 v[4:5], v[8:9], off
.LBB127_3839:
	s_and_not1_b32 vcc_lo, exec_lo, s0
	s_cbranch_vccnz .LBB127_3841
; %bb.3840:
	s_wait_xcnt 0x0
	s_delay_alu instid0(VALU_DEP_1) | instskip(SKIP_1) | instid1(VALU_DEP_2)
	v_xor_b32_e32 v1, v6, v7
	v_cls_i32_e32 v3, v7
	v_ashrrev_i32_e32 v1, 31, v1
	s_delay_alu instid0(VALU_DEP_1) | instskip(NEXT) | instid1(VALU_DEP_1)
	v_add_nc_u32_e32 v1, 32, v1
	v_add_min_u32_e64 v1, v3, -1, v1
	s_delay_alu instid0(VALU_DEP_1) | instskip(SKIP_1) | instid1(VALU_DEP_2)
	v_lshlrev_b64_e32 v[8:9], v1, v[6:7]
	v_sub_nc_u32_e32 v1, 32, v1
	v_min_u32_e32 v3, 1, v8
	s_delay_alu instid0(VALU_DEP_1) | instskip(NEXT) | instid1(VALU_DEP_1)
	v_or_b32_e32 v3, v9, v3
	v_cvt_f32_i32_e32 v3, v3
	s_delay_alu instid0(VALU_DEP_1)
	v_ldexp_f32 v1, v3, v1
	global_store_b32 v[4:5], v1, off
.LBB127_3841:
	s_mov_b32 s0, 0
.LBB127_3842:
	s_delay_alu instid0(SALU_CYCLE_1)
	s_and_not1_b32 vcc_lo, exec_lo, s0
	s_cbranch_vccnz .LBB127_3844
; %bb.3843:
	s_wait_xcnt 0x0
	s_delay_alu instid0(VALU_DEP_1) | instskip(SKIP_1) | instid1(VALU_DEP_2)
	v_xor_b32_e32 v1, v6, v7
	v_cls_i32_e32 v3, v7
	v_ashrrev_i32_e32 v1, 31, v1
	s_delay_alu instid0(VALU_DEP_1) | instskip(NEXT) | instid1(VALU_DEP_1)
	v_add_nc_u32_e32 v1, 32, v1
	v_add_min_u32_e64 v1, v3, -1, v1
	s_delay_alu instid0(VALU_DEP_1) | instskip(SKIP_1) | instid1(VALU_DEP_2)
	v_lshlrev_b64_e32 v[8:9], v1, v[6:7]
	v_sub_nc_u32_e32 v1, 32, v1
	v_min_u32_e32 v3, 1, v8
	s_delay_alu instid0(VALU_DEP_1) | instskip(NEXT) | instid1(VALU_DEP_1)
	v_or_b32_e32 v3, v9, v3
	v_cvt_f32_i32_e32 v3, v3
	s_delay_alu instid0(VALU_DEP_1) | instskip(NEXT) | instid1(VALU_DEP_1)
	v_ldexp_f32 v1, v3, v1
	v_cvt_f16_f32_e32 v1, v1
	global_store_b16 v[4:5], v1, off
.LBB127_3844:
	s_mov_b32 s0, 0
.LBB127_3845:
	s_delay_alu instid0(SALU_CYCLE_1)
	s_and_not1_b32 vcc_lo, exec_lo, s0
	s_cbranch_vccnz .LBB127_3861
; %bb.3846:
	s_cmp_lt_i32 s2, 2
	s_mov_b32 s0, -1
	s_cbranch_scc1 .LBB127_3856
; %bb.3847:
	s_cmp_lt_i32 s2, 3
	s_cbranch_scc1 .LBB127_3853
; %bb.3848:
	s_cmp_gt_i32 s2, 3
	s_cbranch_scc0 .LBB127_3850
; %bb.3849:
	s_mov_b32 s0, 0
	global_store_b64 v[4:5], v[6:7], off
.LBB127_3850:
	s_and_not1_b32 vcc_lo, exec_lo, s0
	s_cbranch_vccnz .LBB127_3852
; %bb.3851:
	global_store_b32 v[4:5], v6, off
.LBB127_3852:
	s_mov_b32 s0, 0
.LBB127_3853:
	s_delay_alu instid0(SALU_CYCLE_1)
	s_and_not1_b32 vcc_lo, exec_lo, s0
	s_cbranch_vccnz .LBB127_3855
; %bb.3854:
	global_store_b16 v[4:5], v6, off
.LBB127_3855:
	s_mov_b32 s0, 0
.LBB127_3856:
	s_delay_alu instid0(SALU_CYCLE_1)
	s_and_not1_b32 vcc_lo, exec_lo, s0
	s_cbranch_vccnz .LBB127_3861
; %bb.3857:
	s_cmp_gt_i32 s2, 0
	s_mov_b32 s0, -1
	s_cbranch_scc0 .LBB127_3859
; %bb.3858:
	s_mov_b32 s0, 0
	global_store_b8 v[4:5], v6, off
.LBB127_3859:
	s_and_not1_b32 vcc_lo, exec_lo, s0
	s_cbranch_vccnz .LBB127_3861
; %bb.3860:
	global_store_b8 v[4:5], v6, off
.LBB127_3861:
	s_mov_b32 s6, -1
.LBB127_3862:
	s_delay_alu instid0(SALU_CYCLE_1)
	s_and_not1_b32 vcc_lo, exec_lo, s6
	s_cbranch_vccnz .LBB127_4058
; %bb.3863:
	s_wait_xcnt 0x0
	v_max_i64 v[4:5], v[28:29], v[30:31]
	v_mov_b32_e32 v3, 0
	s_cmp_lt_i32 s2, 11
	s_delay_alu instid0(VALU_DEP_1) | instskip(NEXT) | instid1(VALU_DEP_3)
	v_add_nc_u64_e32 v[2:3], s[4:5], v[2:3]
	v_min_i64 v[4:5], v[4:5], v[24:25]
	s_cbranch_scc1 .LBB127_3941
; %bb.3864:
	s_mov_b32 s7, -1
	s_mov_b32 s3, 0
	s_cmp_gt_i32 s2, 25
	s_mov_b32 s6, 0
	s_mov_b32 s0, 0
	s_cbranch_scc0 .LBB127_3897
; %bb.3865:
	s_cmp_gt_i32 s2, 28
	s_cbranch_scc0 .LBB127_3880
; %bb.3866:
	s_cmp_gt_i32 s2, 43
	;; [unrolled: 3-line block ×3, first 2 shown]
	s_cbranch_scc0 .LBB127_3870
; %bb.3868:
	s_mov_b32 s0, -1
	s_mov_b32 s7, 0
	s_cmp_eq_u32 s2, 46
	s_cbranch_scc0 .LBB127_3870
; %bb.3869:
	s_delay_alu instid0(VALU_DEP_1) | instskip(SKIP_3) | instid1(VALU_DEP_2)
	v_xor_b32_e32 v1, v4, v5
	v_cls_i32_e32 v6, v5
	s_mov_b32 s6, -1
	s_mov_b32 s0, 0
	v_ashrrev_i32_e32 v1, 31, v1
	s_delay_alu instid0(VALU_DEP_1) | instskip(NEXT) | instid1(VALU_DEP_1)
	v_add_nc_u32_e32 v1, 32, v1
	v_add_min_u32_e64 v1, v6, -1, v1
	s_delay_alu instid0(VALU_DEP_1) | instskip(SKIP_1) | instid1(VALU_DEP_2)
	v_lshlrev_b64_e32 v[6:7], v1, v[4:5]
	v_sub_nc_u32_e32 v1, 32, v1
	v_min_u32_e32 v6, 1, v6
	s_delay_alu instid0(VALU_DEP_1) | instskip(NEXT) | instid1(VALU_DEP_1)
	v_or_b32_e32 v6, v7, v6
	v_cvt_f32_i32_e32 v6, v6
	s_delay_alu instid0(VALU_DEP_1) | instskip(NEXT) | instid1(VALU_DEP_1)
	v_ldexp_f32 v1, v6, v1
	v_bfe_u32 v6, v1, 16, 1
	s_delay_alu instid0(VALU_DEP_1) | instskip(NEXT) | instid1(VALU_DEP_1)
	v_add3_u32 v1, v1, v6, 0x7fff
	v_lshrrev_b32_e32 v1, 16, v1
	global_store_b32 v[2:3], v1, off
.LBB127_3870:
	s_and_b32 vcc_lo, exec_lo, s7
	s_cbranch_vccz .LBB127_3875
; %bb.3871:
	s_cmp_eq_u32 s2, 44
	s_mov_b32 s0, -1
	s_cbranch_scc0 .LBB127_3875
; %bb.3872:
	s_wait_xcnt 0x0
	s_delay_alu instid0(VALU_DEP_1) | instskip(SKIP_3) | instid1(VALU_DEP_2)
	v_xor_b32_e32 v1, v4, v5
	v_cls_i32_e32 v6, v5
	s_mov_b32 s6, -1
	s_mov_b32 s7, exec_lo
	v_ashrrev_i32_e32 v1, 31, v1
	s_delay_alu instid0(VALU_DEP_1) | instskip(NEXT) | instid1(VALU_DEP_1)
	v_add_nc_u32_e32 v1, 32, v1
	v_add_min_u32_e64 v1, v6, -1, v1
	s_delay_alu instid0(VALU_DEP_1) | instskip(SKIP_1) | instid1(VALU_DEP_2)
	v_lshlrev_b64_e32 v[6:7], v1, v[4:5]
	v_sub_nc_u32_e32 v1, 32, v1
	v_min_u32_e32 v6, 1, v6
	s_delay_alu instid0(VALU_DEP_1) | instskip(NEXT) | instid1(VALU_DEP_1)
	v_or_b32_e32 v6, v7, v6
	v_cvt_f32_i32_e32 v6, v6
	s_delay_alu instid0(VALU_DEP_1) | instskip(SKIP_1) | instid1(VALU_DEP_2)
	v_ldexp_f32 v1, v6, v1
	v_mov_b32_e32 v6, 0xff
	v_bfe_u32 v7, v1, 23, 8
	s_delay_alu instid0(VALU_DEP_1)
	v_cmpx_ne_u32_e32 0xff, v7
	s_cbranch_execz .LBB127_3874
; %bb.3873:
	v_and_b32_e32 v6, 0x400000, v1
	v_and_or_b32 v7, 0x3fffff, v1, v7
	v_lshrrev_b32_e32 v1, 23, v1
	s_delay_alu instid0(VALU_DEP_3) | instskip(NEXT) | instid1(VALU_DEP_3)
	v_cmp_ne_u32_e32 vcc_lo, 0, v6
	v_cmp_ne_u32_e64 s0, 0, v7
	s_and_b32 s0, vcc_lo, s0
	s_delay_alu instid0(SALU_CYCLE_1) | instskip(NEXT) | instid1(VALU_DEP_1)
	v_cndmask_b32_e64 v6, 0, 1, s0
	v_add_nc_u32_e32 v6, v1, v6
.LBB127_3874:
	s_or_b32 exec_lo, exec_lo, s7
	s_mov_b32 s0, 0
	global_store_b8 v[2:3], v6, off
.LBB127_3875:
	s_mov_b32 s7, 0
.LBB127_3876:
	s_delay_alu instid0(SALU_CYCLE_1)
	s_and_b32 vcc_lo, exec_lo, s7
	s_cbranch_vccz .LBB127_3879
; %bb.3877:
	s_cmp_eq_u32 s2, 29
	s_mov_b32 s0, -1
	s_cbranch_scc0 .LBB127_3879
; %bb.3878:
	s_mov_b32 s0, 0
	s_mov_b32 s6, -1
	global_store_b64 v[2:3], v[4:5], off
.LBB127_3879:
	s_mov_b32 s7, 0
.LBB127_3880:
	s_delay_alu instid0(SALU_CYCLE_1)
	s_and_b32 vcc_lo, exec_lo, s7
	s_cbranch_vccz .LBB127_3896
; %bb.3881:
	s_cmp_lt_i32 s2, 27
	s_mov_b32 s6, -1
	s_cbranch_scc1 .LBB127_3887
; %bb.3882:
	s_cmp_gt_i32 s2, 27
	s_cbranch_scc0 .LBB127_3884
; %bb.3883:
	s_mov_b32 s6, 0
	global_store_b32 v[2:3], v4, off
.LBB127_3884:
	s_and_not1_b32 vcc_lo, exec_lo, s6
	s_cbranch_vccnz .LBB127_3886
; %bb.3885:
	global_store_b16 v[2:3], v4, off
.LBB127_3886:
	s_mov_b32 s6, 0
.LBB127_3887:
	s_delay_alu instid0(SALU_CYCLE_1)
	s_and_not1_b32 vcc_lo, exec_lo, s6
	s_cbranch_vccnz .LBB127_3895
; %bb.3888:
	s_wait_xcnt 0x0
	s_delay_alu instid0(VALU_DEP_1) | instskip(SKIP_2) | instid1(VALU_DEP_2)
	v_xor_b32_e32 v1, v4, v5
	v_cls_i32_e32 v6, v5
	s_mov_b32 s6, exec_lo
	v_ashrrev_i32_e32 v1, 31, v1
	s_delay_alu instid0(VALU_DEP_1) | instskip(NEXT) | instid1(VALU_DEP_1)
	v_add_nc_u32_e32 v1, 32, v1
	v_add_min_u32_e64 v1, v6, -1, v1
	s_delay_alu instid0(VALU_DEP_1) | instskip(SKIP_1) | instid1(VALU_DEP_2)
	v_lshlrev_b64_e32 v[6:7], v1, v[4:5]
	v_sub_nc_u32_e32 v1, 32, v1
	v_min_u32_e32 v6, 1, v6
	s_delay_alu instid0(VALU_DEP_1) | instskip(SKIP_1) | instid1(VALU_DEP_2)
	v_or_b32_e32 v6, v7, v6
	v_mov_b32_e32 v7, 0x80
	v_cvt_f32_i32_e32 v6, v6
	s_delay_alu instid0(VALU_DEP_1) | instskip(NEXT) | instid1(VALU_DEP_1)
	v_ldexp_f32 v1, v6, v1
	v_and_b32_e32 v6, 0x7fffffff, v1
	s_delay_alu instid0(VALU_DEP_1)
	v_cmpx_gt_u32_e32 0x43800000, v6
	s_cbranch_execz .LBB127_3894
; %bb.3889:
	v_cmp_lt_u32_e32 vcc_lo, 0x3bffffff, v6
	s_mov_b32 s7, 0
                                        ; implicit-def: $vgpr6
	s_and_saveexec_b32 s8, vcc_lo
	s_delay_alu instid0(SALU_CYCLE_1)
	s_xor_b32 s8, exec_lo, s8
	s_cbranch_execz .LBB127_4115
; %bb.3890:
	v_bfe_u32 v6, v1, 20, 1
	s_mov_b32 s7, exec_lo
	s_delay_alu instid0(VALU_DEP_1) | instskip(NEXT) | instid1(VALU_DEP_1)
	v_add3_u32 v6, v1, v6, 0x487ffff
	v_lshrrev_b32_e32 v6, 20, v6
	s_and_not1_saveexec_b32 s8, s8
	s_cbranch_execnz .LBB127_4116
.LBB127_3891:
	s_or_b32 exec_lo, exec_lo, s8
	v_mov_b32_e32 v7, 0
	s_and_saveexec_b32 s8, s7
.LBB127_3892:
	v_lshrrev_b32_e32 v1, 24, v1
	s_delay_alu instid0(VALU_DEP_1)
	v_and_or_b32 v7, 0x80, v1, v6
.LBB127_3893:
	s_or_b32 exec_lo, exec_lo, s8
.LBB127_3894:
	s_delay_alu instid0(SALU_CYCLE_1)
	s_or_b32 exec_lo, exec_lo, s6
	global_store_b8 v[2:3], v7, off
.LBB127_3895:
	s_mov_b32 s6, -1
.LBB127_3896:
	s_mov_b32 s7, 0
.LBB127_3897:
	s_delay_alu instid0(SALU_CYCLE_1)
	s_and_b32 vcc_lo, exec_lo, s7
	s_cbranch_vccz .LBB127_3937
; %bb.3898:
	s_cmp_gt_i32 s2, 22
	s_mov_b32 s3, -1
	s_cbranch_scc0 .LBB127_3930
; %bb.3899:
	s_cmp_lt_i32 s2, 24
	s_cbranch_scc1 .LBB127_3919
; %bb.3900:
	s_cmp_gt_i32 s2, 24
	s_cbranch_scc0 .LBB127_3908
; %bb.3901:
	s_wait_xcnt 0x0
	s_delay_alu instid0(VALU_DEP_1) | instskip(SKIP_2) | instid1(VALU_DEP_2)
	v_xor_b32_e32 v1, v4, v5
	v_cls_i32_e32 v6, v5
	s_mov_b32 s3, exec_lo
	v_ashrrev_i32_e32 v1, 31, v1
	s_delay_alu instid0(VALU_DEP_1) | instskip(NEXT) | instid1(VALU_DEP_1)
	v_add_nc_u32_e32 v1, 32, v1
	v_add_min_u32_e64 v1, v6, -1, v1
	s_delay_alu instid0(VALU_DEP_1) | instskip(SKIP_1) | instid1(VALU_DEP_2)
	v_lshlrev_b64_e32 v[6:7], v1, v[4:5]
	v_sub_nc_u32_e32 v1, 32, v1
	v_min_u32_e32 v6, 1, v6
	s_delay_alu instid0(VALU_DEP_1) | instskip(SKIP_1) | instid1(VALU_DEP_2)
	v_or_b32_e32 v6, v7, v6
	v_mov_b32_e32 v7, 0x80
	v_cvt_f32_i32_e32 v6, v6
	s_delay_alu instid0(VALU_DEP_1) | instskip(NEXT) | instid1(VALU_DEP_1)
	v_ldexp_f32 v1, v6, v1
	v_and_b32_e32 v6, 0x7fffffff, v1
	s_delay_alu instid0(VALU_DEP_1)
	v_cmpx_gt_u32_e32 0x47800000, v6
	s_cbranch_execz .LBB127_3907
; %bb.3902:
	v_cmp_lt_u32_e32 vcc_lo, 0x37ffffff, v6
	s_mov_b32 s6, 0
                                        ; implicit-def: $vgpr6
	s_and_saveexec_b32 s7, vcc_lo
	s_delay_alu instid0(SALU_CYCLE_1)
	s_xor_b32 s7, exec_lo, s7
	s_cbranch_execz .LBB127_4118
; %bb.3903:
	v_bfe_u32 v6, v1, 21, 1
	s_mov_b32 s6, exec_lo
	s_delay_alu instid0(VALU_DEP_1) | instskip(NEXT) | instid1(VALU_DEP_1)
	v_add3_u32 v6, v1, v6, 0x88fffff
	v_lshrrev_b32_e32 v6, 21, v6
	s_and_not1_saveexec_b32 s7, s7
	s_cbranch_execnz .LBB127_4119
.LBB127_3904:
	s_or_b32 exec_lo, exec_lo, s7
	v_mov_b32_e32 v7, 0
	s_and_saveexec_b32 s7, s6
.LBB127_3905:
	v_lshrrev_b32_e32 v1, 24, v1
	s_delay_alu instid0(VALU_DEP_1)
	v_and_or_b32 v7, 0x80, v1, v6
.LBB127_3906:
	s_or_b32 exec_lo, exec_lo, s7
.LBB127_3907:
	s_delay_alu instid0(SALU_CYCLE_1)
	s_or_b32 exec_lo, exec_lo, s3
	s_mov_b32 s3, 0
	global_store_b8 v[2:3], v7, off
.LBB127_3908:
	s_and_b32 vcc_lo, exec_lo, s3
	s_cbranch_vccz .LBB127_3918
; %bb.3909:
	s_wait_xcnt 0x0
	s_delay_alu instid0(VALU_DEP_1) | instskip(SKIP_2) | instid1(VALU_DEP_2)
	v_xor_b32_e32 v1, v4, v5
	v_cls_i32_e32 v6, v5
	s_mov_b32 s3, exec_lo
	v_ashrrev_i32_e32 v1, 31, v1
	s_delay_alu instid0(VALU_DEP_1) | instskip(NEXT) | instid1(VALU_DEP_1)
	v_add_nc_u32_e32 v1, 32, v1
	v_add_min_u32_e64 v1, v6, -1, v1
	s_delay_alu instid0(VALU_DEP_1) | instskip(SKIP_1) | instid1(VALU_DEP_2)
	v_lshlrev_b64_e32 v[6:7], v1, v[4:5]
	v_sub_nc_u32_e32 v1, 32, v1
	v_min_u32_e32 v6, 1, v6
	s_delay_alu instid0(VALU_DEP_1) | instskip(NEXT) | instid1(VALU_DEP_1)
	v_or_b32_e32 v6, v7, v6
	v_cvt_f32_i32_e32 v6, v6
	s_delay_alu instid0(VALU_DEP_1) | instskip(NEXT) | instid1(VALU_DEP_1)
	v_ldexp_f32 v1, v6, v1
                                        ; implicit-def: $vgpr6
	v_and_b32_e32 v7, 0x7fffffff, v1
	s_delay_alu instid0(VALU_DEP_1)
	v_cmpx_gt_u32_e32 0x43f00000, v7
	s_xor_b32 s3, exec_lo, s3
	s_cbranch_execz .LBB127_3915
; %bb.3910:
	s_mov_b32 s6, exec_lo
                                        ; implicit-def: $vgpr6
	v_cmpx_lt_u32_e32 0x3c7fffff, v7
	s_xor_b32 s6, exec_lo, s6
; %bb.3911:
	v_bfe_u32 v6, v1, 20, 1
	s_delay_alu instid0(VALU_DEP_1) | instskip(NEXT) | instid1(VALU_DEP_1)
	v_add3_u32 v6, v1, v6, 0x407ffff
	v_and_b32_e32 v7, 0xff00000, v6
	v_lshrrev_b32_e32 v6, 20, v6
	s_delay_alu instid0(VALU_DEP_2) | instskip(NEXT) | instid1(VALU_DEP_2)
	v_cmp_ne_u32_e32 vcc_lo, 0x7f00000, v7
	v_cndmask_b32_e32 v6, 0x7e, v6, vcc_lo
; %bb.3912:
	s_and_not1_saveexec_b32 s6, s6
; %bb.3913:
	v_add_f32_e64 v6, 0x46800000, |v1|
; %bb.3914:
	s_or_b32 exec_lo, exec_lo, s6
                                        ; implicit-def: $vgpr7
.LBB127_3915:
	s_and_not1_saveexec_b32 s3, s3
; %bb.3916:
	v_mov_b32_e32 v6, 0x7f
	v_cmp_lt_u32_e32 vcc_lo, 0x7f800000, v7
	s_delay_alu instid0(VALU_DEP_2)
	v_cndmask_b32_e32 v6, 0x7e, v6, vcc_lo
; %bb.3917:
	s_or_b32 exec_lo, exec_lo, s3
	v_lshrrev_b32_e32 v1, 24, v1
	s_delay_alu instid0(VALU_DEP_1)
	v_and_or_b32 v1, 0x80, v1, v6
	global_store_b8 v[2:3], v1, off
.LBB127_3918:
	s_mov_b32 s3, 0
.LBB127_3919:
	s_delay_alu instid0(SALU_CYCLE_1)
	s_and_not1_b32 vcc_lo, exec_lo, s3
	s_cbranch_vccnz .LBB127_3929
; %bb.3920:
	s_wait_xcnt 0x0
	s_delay_alu instid0(VALU_DEP_1) | instskip(SKIP_2) | instid1(VALU_DEP_2)
	v_xor_b32_e32 v1, v4, v5
	v_cls_i32_e32 v6, v5
	s_mov_b32 s3, exec_lo
	v_ashrrev_i32_e32 v1, 31, v1
	s_delay_alu instid0(VALU_DEP_1) | instskip(NEXT) | instid1(VALU_DEP_1)
	v_add_nc_u32_e32 v1, 32, v1
	v_add_min_u32_e64 v1, v6, -1, v1
	s_delay_alu instid0(VALU_DEP_1) | instskip(SKIP_1) | instid1(VALU_DEP_2)
	v_lshlrev_b64_e32 v[6:7], v1, v[4:5]
	v_sub_nc_u32_e32 v1, 32, v1
	v_min_u32_e32 v6, 1, v6
	s_delay_alu instid0(VALU_DEP_1) | instskip(NEXT) | instid1(VALU_DEP_1)
	v_or_b32_e32 v6, v7, v6
	v_cvt_f32_i32_e32 v6, v6
	s_delay_alu instid0(VALU_DEP_1) | instskip(NEXT) | instid1(VALU_DEP_1)
	v_ldexp_f32 v1, v6, v1
                                        ; implicit-def: $vgpr6
	v_and_b32_e32 v7, 0x7fffffff, v1
	s_delay_alu instid0(VALU_DEP_1)
	v_cmpx_gt_u32_e32 0x47800000, v7
	s_xor_b32 s3, exec_lo, s3
	s_cbranch_execz .LBB127_3926
; %bb.3921:
	s_mov_b32 s6, exec_lo
                                        ; implicit-def: $vgpr6
	v_cmpx_lt_u32_e32 0x387fffff, v7
	s_xor_b32 s6, exec_lo, s6
; %bb.3922:
	v_bfe_u32 v6, v1, 21, 1
	s_delay_alu instid0(VALU_DEP_1) | instskip(NEXT) | instid1(VALU_DEP_1)
	v_add3_u32 v6, v1, v6, 0x80fffff
	v_lshrrev_b32_e32 v6, 21, v6
; %bb.3923:
	s_and_not1_saveexec_b32 s6, s6
; %bb.3924:
	v_add_f32_e64 v6, 0x43000000, |v1|
; %bb.3925:
	s_or_b32 exec_lo, exec_lo, s6
                                        ; implicit-def: $vgpr7
.LBB127_3926:
	s_and_not1_saveexec_b32 s3, s3
; %bb.3927:
	v_mov_b32_e32 v6, 0x7f
	v_cmp_lt_u32_e32 vcc_lo, 0x7f800000, v7
	s_delay_alu instid0(VALU_DEP_2)
	v_cndmask_b32_e32 v6, 0x7c, v6, vcc_lo
; %bb.3928:
	s_or_b32 exec_lo, exec_lo, s3
	v_lshrrev_b32_e32 v1, 24, v1
	s_delay_alu instid0(VALU_DEP_1)
	v_and_or_b32 v1, 0x80, v1, v6
	global_store_b8 v[2:3], v1, off
.LBB127_3929:
	s_mov_b32 s3, 0
	s_mov_b32 s6, -1
.LBB127_3930:
	s_and_not1_b32 vcc_lo, exec_lo, s3
	s_mov_b32 s3, 0
	s_cbranch_vccnz .LBB127_3937
; %bb.3931:
	s_cmp_gt_i32 s2, 14
	s_mov_b32 s3, -1
	s_cbranch_scc0 .LBB127_3935
; %bb.3932:
	s_cmp_eq_u32 s2, 15
	s_mov_b32 s0, -1
	s_cbranch_scc0 .LBB127_3934
; %bb.3933:
	s_wait_xcnt 0x0
	s_delay_alu instid0(VALU_DEP_1) | instskip(SKIP_3) | instid1(VALU_DEP_2)
	v_xor_b32_e32 v1, v4, v5
	v_cls_i32_e32 v6, v5
	s_mov_b32 s6, -1
	s_mov_b32 s0, 0
	v_ashrrev_i32_e32 v1, 31, v1
	s_delay_alu instid0(VALU_DEP_1) | instskip(NEXT) | instid1(VALU_DEP_1)
	v_add_nc_u32_e32 v1, 32, v1
	v_add_min_u32_e64 v1, v6, -1, v1
	s_delay_alu instid0(VALU_DEP_1) | instskip(SKIP_1) | instid1(VALU_DEP_2)
	v_lshlrev_b64_e32 v[6:7], v1, v[4:5]
	v_sub_nc_u32_e32 v1, 32, v1
	v_min_u32_e32 v6, 1, v6
	s_delay_alu instid0(VALU_DEP_1) | instskip(NEXT) | instid1(VALU_DEP_1)
	v_or_b32_e32 v6, v7, v6
	v_cvt_f32_i32_e32 v6, v6
	s_delay_alu instid0(VALU_DEP_1) | instskip(NEXT) | instid1(VALU_DEP_1)
	v_ldexp_f32 v1, v6, v1
	v_bfe_u32 v6, v1, 16, 1
	s_delay_alu instid0(VALU_DEP_1)
	v_add3_u32 v1, v1, v6, 0x7fff
	global_store_d16_hi_b16 v[2:3], v1, off
.LBB127_3934:
	s_mov_b32 s3, 0
.LBB127_3935:
	s_delay_alu instid0(SALU_CYCLE_1)
	s_and_b32 vcc_lo, exec_lo, s3
	s_mov_b32 s3, 0
	s_cbranch_vccz .LBB127_3937
; %bb.3936:
	s_cmp_lg_u32 s2, 11
	s_mov_b32 s3, -1
	s_cselect_b32 s0, -1, 0
.LBB127_3937:
	s_delay_alu instid0(SALU_CYCLE_1)
	s_and_b32 vcc_lo, exec_lo, s0
	s_cbranch_vccnz .LBB127_4117
; %bb.3938:
	s_and_not1_b32 vcc_lo, exec_lo, s3
	s_cbranch_vccnz .LBB127_3940
.LBB127_3939:
	s_delay_alu instid0(VALU_DEP_1)
	v_cmp_ne_u64_e32 vcc_lo, 0, v[4:5]
	s_mov_b32 s6, -1
	s_wait_xcnt 0x0
	v_cndmask_b32_e64 v1, 0, 1, vcc_lo
	global_store_b8 v[2:3], v1, off
.LBB127_3940:
	s_mov_b32 s0, 0
	s_branch .LBB127_3942
.LBB127_3941:
	s_mov_b32 s0, -1
	s_mov_b32 s6, 0
.LBB127_3942:
	s_and_b32 vcc_lo, exec_lo, s0
	s_cbranch_vccz .LBB127_3981
; %bb.3943:
	s_cmp_lt_i32 s2, 5
	s_mov_b32 s0, -1
	s_cbranch_scc1 .LBB127_3964
; %bb.3944:
	s_cmp_lt_i32 s2, 8
	s_cbranch_scc1 .LBB127_3954
; %bb.3945:
	s_cmp_lt_i32 s2, 9
	s_cbranch_scc1 .LBB127_3951
; %bb.3946:
	s_cmp_gt_i32 s2, 9
	s_cbranch_scc0 .LBB127_3948
; %bb.3947:
	s_wait_xcnt 0x0
	s_delay_alu instid0(VALU_DEP_1) | instskip(NEXT) | instid1(VALU_DEP_2)
	v_cvt_f64_i32_e32 v[6:7], v5
	v_cvt_f64_u32_e32 v[8:9], v4
	s_mov_b32 s0, 0
	s_delay_alu instid0(VALU_DEP_2) | instskip(NEXT) | instid1(VALU_DEP_1)
	v_ldexp_f64 v[6:7], v[6:7], 32
	v_dual_add_f64 v[6:7], v[6:7], v[8:9] :: v_dual_mov_b32 v8, 0
	s_delay_alu instid0(VALU_DEP_1)
	v_mov_b32_e32 v9, v8
	global_store_b128 v[2:3], v[6:9], off
.LBB127_3948:
	s_and_not1_b32 vcc_lo, exec_lo, s0
	s_cbranch_vccnz .LBB127_3950
; %bb.3949:
	s_wait_xcnt 0x0
	s_delay_alu instid0(VALU_DEP_1) | instskip(SKIP_1) | instid1(VALU_DEP_2)
	v_xor_b32_e32 v1, v4, v5
	v_cls_i32_e32 v6, v5
	v_ashrrev_i32_e32 v1, 31, v1
	s_delay_alu instid0(VALU_DEP_1) | instskip(NEXT) | instid1(VALU_DEP_1)
	v_add_nc_u32_e32 v1, 32, v1
	v_add_min_u32_e64 v1, v6, -1, v1
	s_delay_alu instid0(VALU_DEP_1) | instskip(SKIP_1) | instid1(VALU_DEP_2)
	v_lshlrev_b64_e32 v[6:7], v1, v[4:5]
	v_sub_nc_u32_e32 v1, 32, v1
	v_min_u32_e32 v6, 1, v6
	s_delay_alu instid0(VALU_DEP_1) | instskip(NEXT) | instid1(VALU_DEP_1)
	v_dual_mov_b32 v7, 0 :: v_dual_bitop2_b32 v6, v7, v6 bitop3:0x54
	v_cvt_f32_i32_e32 v6, v6
	s_delay_alu instid0(VALU_DEP_1)
	v_ldexp_f32 v6, v6, v1
	global_store_b64 v[2:3], v[6:7], off
.LBB127_3950:
	s_mov_b32 s0, 0
.LBB127_3951:
	s_delay_alu instid0(SALU_CYCLE_1)
	s_and_not1_b32 vcc_lo, exec_lo, s0
	s_cbranch_vccnz .LBB127_3953
; %bb.3952:
	s_wait_xcnt 0x0
	s_delay_alu instid0(VALU_DEP_1) | instskip(SKIP_1) | instid1(VALU_DEP_2)
	v_xor_b32_e32 v1, v4, v5
	v_cls_i32_e32 v6, v5
	v_ashrrev_i32_e32 v1, 31, v1
	s_delay_alu instid0(VALU_DEP_1) | instskip(NEXT) | instid1(VALU_DEP_1)
	v_add_nc_u32_e32 v1, 32, v1
	v_add_min_u32_e64 v1, v6, -1, v1
	s_delay_alu instid0(VALU_DEP_1) | instskip(SKIP_1) | instid1(VALU_DEP_2)
	v_lshlrev_b64_e32 v[6:7], v1, v[4:5]
	v_sub_nc_u32_e32 v1, 32, v1
	v_min_u32_e32 v6, 1, v6
	s_delay_alu instid0(VALU_DEP_1) | instskip(NEXT) | instid1(VALU_DEP_1)
	v_or_b32_e32 v6, v7, v6
	v_cvt_f32_i32_e32 v6, v6
	s_delay_alu instid0(VALU_DEP_1) | instskip(NEXT) | instid1(VALU_DEP_1)
	v_ldexp_f32 v1, v6, v1
	v_cvt_f16_f32_e32 v1, v1
	s_delay_alu instid0(VALU_DEP_1)
	v_and_b32_e32 v1, 0xffff, v1
	global_store_b32 v[2:3], v1, off
.LBB127_3953:
	s_mov_b32 s0, 0
.LBB127_3954:
	s_delay_alu instid0(SALU_CYCLE_1)
	s_and_not1_b32 vcc_lo, exec_lo, s0
	s_cbranch_vccnz .LBB127_3963
; %bb.3955:
	s_cmp_lt_i32 s2, 6
	s_mov_b32 s0, -1
	s_cbranch_scc1 .LBB127_3961
; %bb.3956:
	s_cmp_gt_i32 s2, 6
	s_cbranch_scc0 .LBB127_3958
; %bb.3957:
	s_wait_xcnt 0x0
	s_delay_alu instid0(VALU_DEP_1) | instskip(NEXT) | instid1(VALU_DEP_2)
	v_cvt_f64_i32_e32 v[6:7], v5
	v_cvt_f64_u32_e32 v[8:9], v4
	s_mov_b32 s0, 0
	s_delay_alu instid0(VALU_DEP_2) | instskip(NEXT) | instid1(VALU_DEP_1)
	v_ldexp_f64 v[6:7], v[6:7], 32
	v_add_f64_e32 v[6:7], v[6:7], v[8:9]
	global_store_b64 v[2:3], v[6:7], off
.LBB127_3958:
	s_and_not1_b32 vcc_lo, exec_lo, s0
	s_cbranch_vccnz .LBB127_3960
; %bb.3959:
	s_wait_xcnt 0x0
	s_delay_alu instid0(VALU_DEP_1) | instskip(SKIP_1) | instid1(VALU_DEP_2)
	v_xor_b32_e32 v1, v4, v5
	v_cls_i32_e32 v6, v5
	v_ashrrev_i32_e32 v1, 31, v1
	s_delay_alu instid0(VALU_DEP_1) | instskip(NEXT) | instid1(VALU_DEP_1)
	v_add_nc_u32_e32 v1, 32, v1
	v_add_min_u32_e64 v1, v6, -1, v1
	s_delay_alu instid0(VALU_DEP_1) | instskip(SKIP_1) | instid1(VALU_DEP_2)
	v_lshlrev_b64_e32 v[6:7], v1, v[4:5]
	v_sub_nc_u32_e32 v1, 32, v1
	v_min_u32_e32 v6, 1, v6
	s_delay_alu instid0(VALU_DEP_1) | instskip(NEXT) | instid1(VALU_DEP_1)
	v_or_b32_e32 v6, v7, v6
	v_cvt_f32_i32_e32 v6, v6
	s_delay_alu instid0(VALU_DEP_1)
	v_ldexp_f32 v1, v6, v1
	global_store_b32 v[2:3], v1, off
.LBB127_3960:
	s_mov_b32 s0, 0
.LBB127_3961:
	s_delay_alu instid0(SALU_CYCLE_1)
	s_and_not1_b32 vcc_lo, exec_lo, s0
	s_cbranch_vccnz .LBB127_3963
; %bb.3962:
	s_wait_xcnt 0x0
	s_delay_alu instid0(VALU_DEP_1) | instskip(SKIP_1) | instid1(VALU_DEP_2)
	v_xor_b32_e32 v1, v4, v5
	v_cls_i32_e32 v6, v5
	v_ashrrev_i32_e32 v1, 31, v1
	s_delay_alu instid0(VALU_DEP_1) | instskip(NEXT) | instid1(VALU_DEP_1)
	v_add_nc_u32_e32 v1, 32, v1
	v_add_min_u32_e64 v1, v6, -1, v1
	s_delay_alu instid0(VALU_DEP_1) | instskip(SKIP_1) | instid1(VALU_DEP_2)
	v_lshlrev_b64_e32 v[6:7], v1, v[4:5]
	v_sub_nc_u32_e32 v1, 32, v1
	v_min_u32_e32 v6, 1, v6
	s_delay_alu instid0(VALU_DEP_1) | instskip(NEXT) | instid1(VALU_DEP_1)
	v_or_b32_e32 v6, v7, v6
	v_cvt_f32_i32_e32 v6, v6
	s_delay_alu instid0(VALU_DEP_1) | instskip(NEXT) | instid1(VALU_DEP_1)
	v_ldexp_f32 v1, v6, v1
	v_cvt_f16_f32_e32 v1, v1
	global_store_b16 v[2:3], v1, off
.LBB127_3963:
	s_mov_b32 s0, 0
.LBB127_3964:
	s_delay_alu instid0(SALU_CYCLE_1)
	s_and_not1_b32 vcc_lo, exec_lo, s0
	s_cbranch_vccnz .LBB127_3980
; %bb.3965:
	s_cmp_lt_i32 s2, 2
	s_mov_b32 s0, -1
	s_cbranch_scc1 .LBB127_3975
; %bb.3966:
	s_cmp_lt_i32 s2, 3
	s_cbranch_scc1 .LBB127_3972
; %bb.3967:
	s_cmp_gt_i32 s2, 3
	s_cbranch_scc0 .LBB127_3969
; %bb.3968:
	s_mov_b32 s0, 0
	global_store_b64 v[2:3], v[4:5], off
.LBB127_3969:
	s_and_not1_b32 vcc_lo, exec_lo, s0
	s_cbranch_vccnz .LBB127_3971
; %bb.3970:
	global_store_b32 v[2:3], v4, off
.LBB127_3971:
	s_mov_b32 s0, 0
.LBB127_3972:
	s_delay_alu instid0(SALU_CYCLE_1)
	s_and_not1_b32 vcc_lo, exec_lo, s0
	s_cbranch_vccnz .LBB127_3974
; %bb.3973:
	global_store_b16 v[2:3], v4, off
.LBB127_3974:
	s_mov_b32 s0, 0
.LBB127_3975:
	s_delay_alu instid0(SALU_CYCLE_1)
	s_and_not1_b32 vcc_lo, exec_lo, s0
	s_cbranch_vccnz .LBB127_3980
; %bb.3976:
	s_cmp_gt_i32 s2, 0
	s_mov_b32 s0, -1
	s_cbranch_scc0 .LBB127_3978
; %bb.3977:
	s_mov_b32 s0, 0
	global_store_b8 v[2:3], v4, off
.LBB127_3978:
	s_and_not1_b32 vcc_lo, exec_lo, s0
	s_cbranch_vccnz .LBB127_3980
; %bb.3979:
	global_store_b8 v[2:3], v4, off
.LBB127_3980:
	s_mov_b32 s6, -1
.LBB127_3981:
	s_delay_alu instid0(SALU_CYCLE_1)
	s_and_not1_b32 vcc_lo, exec_lo, s6
	s_cbranch_vccnz .LBB127_4058
; %bb.3982:
	s_wait_xcnt 0x0
	v_max_i64 v[2:3], v[20:21], v[14:15]
	v_mov_b32_e32 v1, 0
	s_cmp_lt_i32 s2, 11
	s_delay_alu instid0(VALU_DEP_2) | instskip(NEXT) | instid1(VALU_DEP_2)
	v_min_i64 v[4:5], v[2:3], v[10:11]
	v_add_nc_u64_e32 v[2:3], s[4:5], v[0:1]
	s_cbranch_scc1 .LBB127_4103
; %bb.3983:
	s_mov_b32 s4, -1
	s_mov_b32 s3, 0
	s_cmp_gt_i32 s2, 25
	s_mov_b32 s0, 0
	s_cbranch_scc0 .LBB127_4016
; %bb.3984:
	s_cmp_gt_i32 s2, 28
	s_cbranch_scc0 .LBB127_4000
; %bb.3985:
	s_cmp_gt_i32 s2, 43
	;; [unrolled: 3-line block ×3, first 2 shown]
	s_cbranch_scc0 .LBB127_3990
; %bb.3987:
	s_cmp_eq_u32 s2, 46
	s_mov_b32 s0, -1
	s_cbranch_scc0 .LBB127_3989
; %bb.3988:
	s_delay_alu instid0(VALU_DEP_2) | instskip(SKIP_2) | instid1(VALU_DEP_2)
	v_xor_b32_e32 v0, v4, v5
	v_cls_i32_e32 v1, v5
	s_mov_b32 s0, 0
	v_ashrrev_i32_e32 v0, 31, v0
	s_delay_alu instid0(VALU_DEP_1) | instskip(NEXT) | instid1(VALU_DEP_1)
	v_add_nc_u32_e32 v0, 32, v0
	v_add_min_u32_e64 v6, v1, -1, v0
	s_delay_alu instid0(VALU_DEP_1) | instskip(NEXT) | instid1(VALU_DEP_1)
	v_lshlrev_b64_e32 v[0:1], v6, v[4:5]
	v_min_u32_e32 v0, 1, v0
	s_delay_alu instid0(VALU_DEP_1) | instskip(NEXT) | instid1(VALU_DEP_1)
	v_dual_sub_nc_u32 v1, 32, v6 :: v_dual_bitop2_b32 v0, v1, v0 bitop3:0x54
	v_cvt_f32_i32_e32 v0, v0
	s_delay_alu instid0(VALU_DEP_1) | instskip(NEXT) | instid1(VALU_DEP_1)
	v_ldexp_f32 v0, v0, v1
	v_bfe_u32 v1, v0, 16, 1
	s_delay_alu instid0(VALU_DEP_1) | instskip(NEXT) | instid1(VALU_DEP_1)
	v_add3_u32 v0, v0, v1, 0x7fff
	v_lshrrev_b32_e32 v0, 16, v0
	global_store_b32 v[2:3], v0, off
.LBB127_3989:
	s_mov_b32 s4, 0
.LBB127_3990:
	s_delay_alu instid0(SALU_CYCLE_1)
	s_and_b32 vcc_lo, exec_lo, s4
	s_cbranch_vccz .LBB127_3995
; %bb.3991:
	s_cmp_eq_u32 s2, 44
	s_mov_b32 s0, -1
	s_cbranch_scc0 .LBB127_3995
; %bb.3992:
	s_wait_xcnt 0x0
	s_delay_alu instid0(VALU_DEP_2) | instskip(SKIP_2) | instid1(VALU_DEP_2)
	v_xor_b32_e32 v0, v4, v5
	v_cls_i32_e32 v1, v5
	s_mov_b32 s4, exec_lo
	v_ashrrev_i32_e32 v0, 31, v0
	s_delay_alu instid0(VALU_DEP_1) | instskip(NEXT) | instid1(VALU_DEP_1)
	v_add_nc_u32_e32 v0, 32, v0
	v_add_min_u32_e64 v6, v1, -1, v0
	s_delay_alu instid0(VALU_DEP_1) | instskip(NEXT) | instid1(VALU_DEP_1)
	v_lshlrev_b64_e32 v[0:1], v6, v[4:5]
	v_min_u32_e32 v0, 1, v0
	s_delay_alu instid0(VALU_DEP_1) | instskip(NEXT) | instid1(VALU_DEP_1)
	v_dual_sub_nc_u32 v1, 32, v6 :: v_dual_bitop2_b32 v0, v1, v0 bitop3:0x54
	v_cvt_f32_i32_e32 v0, v0
	s_delay_alu instid0(VALU_DEP_1) | instskip(SKIP_1) | instid1(VALU_DEP_2)
	v_ldexp_f32 v0, v0, v1
	v_mov_b32_e32 v1, 0xff
	v_bfe_u32 v6, v0, 23, 8
	s_delay_alu instid0(VALU_DEP_1)
	v_cmpx_ne_u32_e32 0xff, v6
	s_cbranch_execz .LBB127_3994
; %bb.3993:
	v_and_b32_e32 v1, 0x400000, v0
	v_and_or_b32 v6, 0x3fffff, v0, v6
	v_lshrrev_b32_e32 v0, 23, v0
	s_delay_alu instid0(VALU_DEP_3) | instskip(NEXT) | instid1(VALU_DEP_3)
	v_cmp_ne_u32_e32 vcc_lo, 0, v1
	v_cmp_ne_u32_e64 s0, 0, v6
	s_and_b32 s0, vcc_lo, s0
	s_delay_alu instid0(SALU_CYCLE_1) | instskip(NEXT) | instid1(VALU_DEP_1)
	v_cndmask_b32_e64 v1, 0, 1, s0
	v_add_nc_u32_e32 v1, v0, v1
.LBB127_3994:
	s_or_b32 exec_lo, exec_lo, s4
	s_mov_b32 s0, 0
	global_store_b8 v[2:3], v1, off
.LBB127_3995:
	s_mov_b32 s4, 0
.LBB127_3996:
	s_delay_alu instid0(SALU_CYCLE_1)
	s_and_b32 vcc_lo, exec_lo, s4
	s_cbranch_vccz .LBB127_3999
; %bb.3997:
	s_cmp_eq_u32 s2, 29
	s_mov_b32 s0, -1
	s_cbranch_scc0 .LBB127_3999
; %bb.3998:
	s_mov_b32 s0, 0
	global_store_b64 v[2:3], v[4:5], off
.LBB127_3999:
	s_mov_b32 s4, 0
.LBB127_4000:
	s_delay_alu instid0(SALU_CYCLE_1)
	s_and_b32 vcc_lo, exec_lo, s4
	s_cbranch_vccz .LBB127_4015
; %bb.4001:
	s_cmp_lt_i32 s2, 27
	s_mov_b32 s4, -1
	s_cbranch_scc1 .LBB127_4007
; %bb.4002:
	s_cmp_gt_i32 s2, 27
	s_cbranch_scc0 .LBB127_4004
; %bb.4003:
	s_mov_b32 s4, 0
	global_store_b32 v[2:3], v4, off
.LBB127_4004:
	s_and_not1_b32 vcc_lo, exec_lo, s4
	s_cbranch_vccnz .LBB127_4006
; %bb.4005:
	global_store_b16 v[2:3], v4, off
.LBB127_4006:
	s_mov_b32 s4, 0
.LBB127_4007:
	s_delay_alu instid0(SALU_CYCLE_1)
	s_and_not1_b32 vcc_lo, exec_lo, s4
	s_cbranch_vccnz .LBB127_4015
; %bb.4008:
	s_wait_xcnt 0x0
	s_delay_alu instid0(VALU_DEP_2) | instskip(SKIP_2) | instid1(VALU_DEP_2)
	v_xor_b32_e32 v0, v4, v5
	v_cls_i32_e32 v1, v5
	s_mov_b32 s4, exec_lo
	v_ashrrev_i32_e32 v0, 31, v0
	s_delay_alu instid0(VALU_DEP_1) | instskip(NEXT) | instid1(VALU_DEP_1)
	v_add_nc_u32_e32 v0, 32, v0
	v_add_min_u32_e64 v6, v1, -1, v0
	s_delay_alu instid0(VALU_DEP_1) | instskip(NEXT) | instid1(VALU_DEP_1)
	v_lshlrev_b64_e32 v[0:1], v6, v[4:5]
	v_min_u32_e32 v0, 1, v0
	s_delay_alu instid0(VALU_DEP_1) | instskip(SKIP_1) | instid1(VALU_DEP_2)
	v_dual_sub_nc_u32 v1, 32, v6 :: v_dual_bitop2_b32 v0, v1, v0 bitop3:0x54
	v_mov_b32_e32 v6, 0x80
	v_cvt_f32_i32_e32 v0, v0
	s_delay_alu instid0(VALU_DEP_1) | instskip(NEXT) | instid1(VALU_DEP_1)
	v_ldexp_f32 v0, v0, v1
	v_and_b32_e32 v1, 0x7fffffff, v0
	s_delay_alu instid0(VALU_DEP_1)
	v_cmpx_gt_u32_e32 0x43800000, v1
	s_cbranch_execz .LBB127_4014
; %bb.4009:
	v_cmp_lt_u32_e32 vcc_lo, 0x3bffffff, v1
	s_mov_b32 s5, 0
                                        ; implicit-def: $vgpr1
	s_and_saveexec_b32 s6, vcc_lo
	s_delay_alu instid0(SALU_CYCLE_1)
	s_xor_b32 s6, exec_lo, s6
	s_cbranch_execz .LBB127_4120
; %bb.4010:
	v_bfe_u32 v1, v0, 20, 1
	s_mov_b32 s5, exec_lo
	s_delay_alu instid0(VALU_DEP_1) | instskip(NEXT) | instid1(VALU_DEP_1)
	v_add3_u32 v1, v0, v1, 0x487ffff
	v_lshrrev_b32_e32 v1, 20, v1
	s_and_not1_saveexec_b32 s6, s6
	s_cbranch_execnz .LBB127_4121
.LBB127_4011:
	s_or_b32 exec_lo, exec_lo, s6
	v_mov_b32_e32 v6, 0
	s_and_saveexec_b32 s6, s5
.LBB127_4012:
	v_lshrrev_b32_e32 v0, 24, v0
	s_delay_alu instid0(VALU_DEP_1)
	v_and_or_b32 v6, 0x80, v0, v1
.LBB127_4013:
	s_or_b32 exec_lo, exec_lo, s6
.LBB127_4014:
	s_delay_alu instid0(SALU_CYCLE_1)
	s_or_b32 exec_lo, exec_lo, s4
	global_store_b8 v[2:3], v6, off
.LBB127_4015:
	s_mov_b32 s4, 0
.LBB127_4016:
	s_delay_alu instid0(SALU_CYCLE_1)
	s_and_b32 vcc_lo, exec_lo, s4
	s_cbranch_vccz .LBB127_4056
; %bb.4017:
	s_cmp_gt_i32 s2, 22
	s_mov_b32 s3, -1
	s_cbranch_scc0 .LBB127_4049
; %bb.4018:
	s_cmp_lt_i32 s2, 24
	s_cbranch_scc1 .LBB127_4038
; %bb.4019:
	s_cmp_gt_i32 s2, 24
	s_cbranch_scc0 .LBB127_4027
; %bb.4020:
	s_wait_xcnt 0x0
	s_delay_alu instid0(VALU_DEP_2) | instskip(SKIP_2) | instid1(VALU_DEP_2)
	v_xor_b32_e32 v0, v4, v5
	v_cls_i32_e32 v1, v5
	s_mov_b32 s3, exec_lo
	v_ashrrev_i32_e32 v0, 31, v0
	s_delay_alu instid0(VALU_DEP_1) | instskip(NEXT) | instid1(VALU_DEP_1)
	v_add_nc_u32_e32 v0, 32, v0
	v_add_min_u32_e64 v6, v1, -1, v0
	s_delay_alu instid0(VALU_DEP_1) | instskip(NEXT) | instid1(VALU_DEP_1)
	v_lshlrev_b64_e32 v[0:1], v6, v[4:5]
	v_min_u32_e32 v0, 1, v0
	s_delay_alu instid0(VALU_DEP_1) | instskip(SKIP_1) | instid1(VALU_DEP_2)
	v_dual_sub_nc_u32 v1, 32, v6 :: v_dual_bitop2_b32 v0, v1, v0 bitop3:0x54
	v_mov_b32_e32 v6, 0x80
	v_cvt_f32_i32_e32 v0, v0
	s_delay_alu instid0(VALU_DEP_1) | instskip(NEXT) | instid1(VALU_DEP_1)
	v_ldexp_f32 v0, v0, v1
	v_and_b32_e32 v1, 0x7fffffff, v0
	s_delay_alu instid0(VALU_DEP_1)
	v_cmpx_gt_u32_e32 0x47800000, v1
	s_cbranch_execz .LBB127_4026
; %bb.4021:
	v_cmp_lt_u32_e32 vcc_lo, 0x37ffffff, v1
	s_mov_b32 s4, 0
                                        ; implicit-def: $vgpr1
	s_and_saveexec_b32 s5, vcc_lo
	s_delay_alu instid0(SALU_CYCLE_1)
	s_xor_b32 s5, exec_lo, s5
	s_cbranch_execz .LBB127_4123
; %bb.4022:
	v_bfe_u32 v1, v0, 21, 1
	s_mov_b32 s4, exec_lo
	s_delay_alu instid0(VALU_DEP_1) | instskip(NEXT) | instid1(VALU_DEP_1)
	v_add3_u32 v1, v0, v1, 0x88fffff
	v_lshrrev_b32_e32 v1, 21, v1
	s_and_not1_saveexec_b32 s5, s5
	s_cbranch_execnz .LBB127_4124
.LBB127_4023:
	s_or_b32 exec_lo, exec_lo, s5
	v_mov_b32_e32 v6, 0
	s_and_saveexec_b32 s5, s4
.LBB127_4024:
	v_lshrrev_b32_e32 v0, 24, v0
	s_delay_alu instid0(VALU_DEP_1)
	v_and_or_b32 v6, 0x80, v0, v1
.LBB127_4025:
	s_or_b32 exec_lo, exec_lo, s5
.LBB127_4026:
	s_delay_alu instid0(SALU_CYCLE_1)
	s_or_b32 exec_lo, exec_lo, s3
	s_mov_b32 s3, 0
	global_store_b8 v[2:3], v6, off
.LBB127_4027:
	s_and_b32 vcc_lo, exec_lo, s3
	s_cbranch_vccz .LBB127_4037
; %bb.4028:
	s_wait_xcnt 0x0
	s_delay_alu instid0(VALU_DEP_2) | instskip(SKIP_2) | instid1(VALU_DEP_2)
	v_xor_b32_e32 v0, v4, v5
	v_cls_i32_e32 v1, v5
	s_mov_b32 s3, exec_lo
	v_ashrrev_i32_e32 v0, 31, v0
	s_delay_alu instid0(VALU_DEP_1) | instskip(NEXT) | instid1(VALU_DEP_1)
	v_add_nc_u32_e32 v0, 32, v0
	v_add_min_u32_e64 v6, v1, -1, v0
	s_delay_alu instid0(VALU_DEP_1) | instskip(NEXT) | instid1(VALU_DEP_1)
	v_lshlrev_b64_e32 v[0:1], v6, v[4:5]
	v_min_u32_e32 v0, 1, v0
	s_delay_alu instid0(VALU_DEP_1) | instskip(NEXT) | instid1(VALU_DEP_1)
	v_dual_sub_nc_u32 v1, 32, v6 :: v_dual_bitop2_b32 v0, v1, v0 bitop3:0x54
	v_cvt_f32_i32_e32 v0, v0
	s_delay_alu instid0(VALU_DEP_1) | instskip(NEXT) | instid1(VALU_DEP_1)
	v_ldexp_f32 v0, v0, v1
                                        ; implicit-def: $vgpr1
	v_and_b32_e32 v6, 0x7fffffff, v0
	s_delay_alu instid0(VALU_DEP_1)
	v_cmpx_gt_u32_e32 0x43f00000, v6
	s_xor_b32 s3, exec_lo, s3
	s_cbranch_execz .LBB127_4034
; %bb.4029:
	s_mov_b32 s4, exec_lo
                                        ; implicit-def: $vgpr1
	v_cmpx_lt_u32_e32 0x3c7fffff, v6
	s_xor_b32 s4, exec_lo, s4
; %bb.4030:
	v_bfe_u32 v1, v0, 20, 1
	s_delay_alu instid0(VALU_DEP_1) | instskip(NEXT) | instid1(VALU_DEP_1)
	v_add3_u32 v1, v0, v1, 0x407ffff
	v_and_b32_e32 v6, 0xff00000, v1
	v_lshrrev_b32_e32 v1, 20, v1
	s_delay_alu instid0(VALU_DEP_2) | instskip(NEXT) | instid1(VALU_DEP_2)
	v_cmp_ne_u32_e32 vcc_lo, 0x7f00000, v6
	v_cndmask_b32_e32 v1, 0x7e, v1, vcc_lo
; %bb.4031:
	s_and_not1_saveexec_b32 s4, s4
; %bb.4032:
	v_add_f32_e64 v1, 0x46800000, |v0|
; %bb.4033:
	s_or_b32 exec_lo, exec_lo, s4
                                        ; implicit-def: $vgpr6
.LBB127_4034:
	s_and_not1_saveexec_b32 s3, s3
; %bb.4035:
	v_mov_b32_e32 v1, 0x7f
	v_cmp_lt_u32_e32 vcc_lo, 0x7f800000, v6
	s_delay_alu instid0(VALU_DEP_2)
	v_cndmask_b32_e32 v1, 0x7e, v1, vcc_lo
; %bb.4036:
	s_or_b32 exec_lo, exec_lo, s3
	v_lshrrev_b32_e32 v0, 24, v0
	s_delay_alu instid0(VALU_DEP_1)
	v_and_or_b32 v0, 0x80, v0, v1
	global_store_b8 v[2:3], v0, off
.LBB127_4037:
	s_mov_b32 s3, 0
.LBB127_4038:
	s_delay_alu instid0(SALU_CYCLE_1)
	s_and_not1_b32 vcc_lo, exec_lo, s3
	s_cbranch_vccnz .LBB127_4048
; %bb.4039:
	s_wait_xcnt 0x0
	s_delay_alu instid0(VALU_DEP_2) | instskip(SKIP_2) | instid1(VALU_DEP_2)
	v_xor_b32_e32 v0, v4, v5
	v_cls_i32_e32 v1, v5
	s_mov_b32 s3, exec_lo
	v_ashrrev_i32_e32 v0, 31, v0
	s_delay_alu instid0(VALU_DEP_1) | instskip(NEXT) | instid1(VALU_DEP_1)
	v_add_nc_u32_e32 v0, 32, v0
	v_add_min_u32_e64 v6, v1, -1, v0
	s_delay_alu instid0(VALU_DEP_1) | instskip(NEXT) | instid1(VALU_DEP_1)
	v_lshlrev_b64_e32 v[0:1], v6, v[4:5]
	v_min_u32_e32 v0, 1, v0
	s_delay_alu instid0(VALU_DEP_1) | instskip(NEXT) | instid1(VALU_DEP_1)
	v_dual_sub_nc_u32 v1, 32, v6 :: v_dual_bitop2_b32 v0, v1, v0 bitop3:0x54
	v_cvt_f32_i32_e32 v0, v0
	s_delay_alu instid0(VALU_DEP_1) | instskip(NEXT) | instid1(VALU_DEP_1)
	v_ldexp_f32 v0, v0, v1
                                        ; implicit-def: $vgpr1
	v_and_b32_e32 v6, 0x7fffffff, v0
	s_delay_alu instid0(VALU_DEP_1)
	v_cmpx_gt_u32_e32 0x47800000, v6
	s_xor_b32 s3, exec_lo, s3
	s_cbranch_execz .LBB127_4045
; %bb.4040:
	s_mov_b32 s4, exec_lo
                                        ; implicit-def: $vgpr1
	v_cmpx_lt_u32_e32 0x387fffff, v6
	s_xor_b32 s4, exec_lo, s4
; %bb.4041:
	v_bfe_u32 v1, v0, 21, 1
	s_delay_alu instid0(VALU_DEP_1) | instskip(NEXT) | instid1(VALU_DEP_1)
	v_add3_u32 v1, v0, v1, 0x80fffff
	v_lshrrev_b32_e32 v1, 21, v1
; %bb.4042:
	s_and_not1_saveexec_b32 s4, s4
; %bb.4043:
	v_add_f32_e64 v1, 0x43000000, |v0|
; %bb.4044:
	s_or_b32 exec_lo, exec_lo, s4
                                        ; implicit-def: $vgpr6
.LBB127_4045:
	s_and_not1_saveexec_b32 s3, s3
; %bb.4046:
	v_mov_b32_e32 v1, 0x7f
	v_cmp_lt_u32_e32 vcc_lo, 0x7f800000, v6
	s_delay_alu instid0(VALU_DEP_2)
	v_cndmask_b32_e32 v1, 0x7c, v1, vcc_lo
; %bb.4047:
	s_or_b32 exec_lo, exec_lo, s3
	v_lshrrev_b32_e32 v0, 24, v0
	s_delay_alu instid0(VALU_DEP_1)
	v_and_or_b32 v0, 0x80, v0, v1
	global_store_b8 v[2:3], v0, off
.LBB127_4048:
	s_mov_b32 s3, 0
.LBB127_4049:
	s_delay_alu instid0(SALU_CYCLE_1)
	s_and_not1_b32 vcc_lo, exec_lo, s3
	s_mov_b32 s3, 0
	s_cbranch_vccnz .LBB127_4056
; %bb.4050:
	s_cmp_gt_i32 s2, 14
	s_mov_b32 s3, -1
	s_cbranch_scc0 .LBB127_4054
; %bb.4051:
	s_cmp_eq_u32 s2, 15
	s_mov_b32 s0, -1
	s_cbranch_scc0 .LBB127_4053
; %bb.4052:
	s_wait_xcnt 0x0
	s_delay_alu instid0(VALU_DEP_2) | instskip(SKIP_2) | instid1(VALU_DEP_2)
	v_xor_b32_e32 v0, v4, v5
	v_cls_i32_e32 v1, v5
	s_mov_b32 s0, 0
	v_ashrrev_i32_e32 v0, 31, v0
	s_delay_alu instid0(VALU_DEP_1) | instskip(NEXT) | instid1(VALU_DEP_1)
	v_add_nc_u32_e32 v0, 32, v0
	v_add_min_u32_e64 v6, v1, -1, v0
	s_delay_alu instid0(VALU_DEP_1) | instskip(NEXT) | instid1(VALU_DEP_1)
	v_lshlrev_b64_e32 v[0:1], v6, v[4:5]
	v_min_u32_e32 v0, 1, v0
	s_delay_alu instid0(VALU_DEP_1) | instskip(NEXT) | instid1(VALU_DEP_1)
	v_dual_sub_nc_u32 v1, 32, v6 :: v_dual_bitop2_b32 v0, v1, v0 bitop3:0x54
	v_cvt_f32_i32_e32 v0, v0
	s_delay_alu instid0(VALU_DEP_1) | instskip(NEXT) | instid1(VALU_DEP_1)
	v_ldexp_f32 v0, v0, v1
	v_bfe_u32 v1, v0, 16, 1
	s_delay_alu instid0(VALU_DEP_1)
	v_add3_u32 v0, v0, v1, 0x7fff
	global_store_d16_hi_b16 v[2:3], v0, off
.LBB127_4053:
	s_mov_b32 s3, 0
.LBB127_4054:
	s_delay_alu instid0(SALU_CYCLE_1)
	s_and_b32 vcc_lo, exec_lo, s3
	s_mov_b32 s3, 0
	s_cbranch_vccz .LBB127_4056
; %bb.4055:
	s_cmp_lg_u32 s2, 11
	s_mov_b32 s3, -1
	s_cselect_b32 s0, -1, 0
.LBB127_4056:
	s_delay_alu instid0(SALU_CYCLE_1)
	s_and_b32 vcc_lo, exec_lo, s0
	s_cbranch_vccnz .LBB127_4122
.LBB127_4057:
	s_mov_b32 s0, 0
	s_branch .LBB127_4059
.LBB127_4058:
	s_mov_b32 s0, 0
	s_wait_xcnt 0x0
	s_mov_b32 s3, 0
                                        ; implicit-def: $vgpr2_vgpr3
                                        ; implicit-def: $sgpr1
                                        ; implicit-def: $vgpr4_vgpr5
.LBB127_4059:
	s_and_not1_b32 s2, s10, exec_lo
	s_and_b32 s4, s12, exec_lo
	s_and_b32 s0, s0, exec_lo
	;; [unrolled: 1-line block ×3, first 2 shown]
	s_or_b32 s10, s2, s4
.LBB127_4060:
	s_wait_xcnt 0x0
	s_or_b32 exec_lo, exec_lo, s11
	s_and_saveexec_b32 s2, s10
	s_cbranch_execz .LBB127_4063
; %bb.4061:
	; divergent unreachable
	s_or_b32 exec_lo, exec_lo, s2
	s_and_saveexec_b32 s2, s35
	s_delay_alu instid0(SALU_CYCLE_1)
	s_xor_b32 s2, exec_lo, s2
	s_cbranch_execnz .LBB127_4064
.LBB127_4062:
	s_or_b32 exec_lo, exec_lo, s2
	s_and_saveexec_b32 s2, s0
	s_cbranch_execnz .LBB127_4065
	s_branch .LBB127_4102
.LBB127_4063:
	s_or_b32 exec_lo, exec_lo, s2
	s_and_saveexec_b32 s2, s35
	s_delay_alu instid0(SALU_CYCLE_1)
	s_xor_b32 s2, exec_lo, s2
	s_cbranch_execz .LBB127_4062
.LBB127_4064:
	s_wait_loadcnt 0x0
	s_delay_alu instid0(VALU_DEP_1)
	v_cmp_ne_u64_e32 vcc_lo, 0, v[4:5]
	v_cndmask_b32_e64 v0, 0, 1, vcc_lo
	global_store_b8 v[2:3], v0, off
	s_wait_xcnt 0x0
	s_or_b32 exec_lo, exec_lo, s2
	s_and_saveexec_b32 s2, s0
	s_cbranch_execz .LBB127_4102
.LBB127_4065:
	s_sext_i32_i16 s2, s1
	s_mov_b32 s0, -1
	s_cmp_lt_i32 s2, 5
	s_cbranch_scc1 .LBB127_4086
; %bb.4066:
	s_cmp_lt_i32 s2, 8
	s_cbranch_scc1 .LBB127_4076
; %bb.4067:
	;; [unrolled: 3-line block ×3, first 2 shown]
	s_cmp_gt_i32 s2, 9
	s_cbranch_scc0 .LBB127_4070
; %bb.4069:
	s_wait_loadcnt 0x0
	v_cvt_f64_i32_e32 v[0:1], v5
	v_cvt_f64_u32_e32 v[6:7], v4
	s_mov_b32 s0, 0
	v_mov_b32_e32 v8, 0
	s_delay_alu instid0(VALU_DEP_1) | instskip(NEXT) | instid1(VALU_DEP_4)
	v_mov_b32_e32 v9, v8
	v_ldexp_f64 v[0:1], v[0:1], 32
	s_delay_alu instid0(VALU_DEP_1)
	v_add_f64_e32 v[6:7], v[0:1], v[6:7]
	global_store_b128 v[2:3], v[6:9], off
.LBB127_4070:
	s_and_not1_b32 vcc_lo, exec_lo, s0
	s_cbranch_vccnz .LBB127_4072
; %bb.4071:
	s_wait_loadcnt 0x0
	v_xor_b32_e32 v0, v4, v5
	v_cls_i32_e32 v1, v5
	s_delay_alu instid0(VALU_DEP_2) | instskip(NEXT) | instid1(VALU_DEP_1)
	v_ashrrev_i32_e32 v0, 31, v0
	v_add_nc_u32_e32 v0, 32, v0
	s_wait_xcnt 0x0
	s_delay_alu instid0(VALU_DEP_1) | instskip(NEXT) | instid1(VALU_DEP_1)
	v_add_min_u32_e64 v6, v1, -1, v0
	v_lshlrev_b64_e32 v[0:1], v6, v[4:5]
	s_delay_alu instid0(VALU_DEP_1) | instskip(NEXT) | instid1(VALU_DEP_1)
	v_min_u32_e32 v0, 1, v0
	v_dual_sub_nc_u32 v1, 32, v6 :: v_dual_bitop2_b32 v0, v1, v0 bitop3:0x54
	s_delay_alu instid0(VALU_DEP_1) | instskip(NEXT) | instid1(VALU_DEP_1)
	v_cvt_f32_i32_e32 v0, v0
	v_ldexp_f32 v0, v0, v1
	v_mov_b32_e32 v1, 0
	global_store_b64 v[2:3], v[0:1], off
.LBB127_4072:
	s_mov_b32 s0, 0
.LBB127_4073:
	s_delay_alu instid0(SALU_CYCLE_1)
	s_and_not1_b32 vcc_lo, exec_lo, s0
	s_cbranch_vccnz .LBB127_4075
; %bb.4074:
	s_wait_loadcnt 0x0
	v_xor_b32_e32 v0, v4, v5
	v_cls_i32_e32 v1, v5
	s_delay_alu instid0(VALU_DEP_2) | instskip(NEXT) | instid1(VALU_DEP_1)
	v_ashrrev_i32_e32 v0, 31, v0
	v_add_nc_u32_e32 v0, 32, v0
	s_delay_alu instid0(VALU_DEP_1) | instskip(NEXT) | instid1(VALU_DEP_1)
	v_add_min_u32_e64 v6, v1, -1, v0
	v_lshlrev_b64_e32 v[0:1], v6, v[4:5]
	s_delay_alu instid0(VALU_DEP_1) | instskip(NEXT) | instid1(VALU_DEP_1)
	v_min_u32_e32 v0, 1, v0
	v_dual_sub_nc_u32 v1, 32, v6 :: v_dual_bitop2_b32 v0, v1, v0 bitop3:0x54
	s_delay_alu instid0(VALU_DEP_1) | instskip(NEXT) | instid1(VALU_DEP_1)
	v_cvt_f32_i32_e32 v0, v0
	v_ldexp_f32 v0, v0, v1
	s_delay_alu instid0(VALU_DEP_1) | instskip(NEXT) | instid1(VALU_DEP_1)
	v_cvt_f16_f32_e32 v0, v0
	v_and_b32_e32 v0, 0xffff, v0
	global_store_b32 v[2:3], v0, off
.LBB127_4075:
	s_mov_b32 s0, 0
.LBB127_4076:
	s_delay_alu instid0(SALU_CYCLE_1)
	s_and_not1_b32 vcc_lo, exec_lo, s0
	s_cbranch_vccnz .LBB127_4085
; %bb.4077:
	s_sext_i32_i16 s2, s1
	s_mov_b32 s0, -1
	s_cmp_lt_i32 s2, 6
	s_cbranch_scc1 .LBB127_4083
; %bb.4078:
	s_cmp_gt_i32 s2, 6
	s_cbranch_scc0 .LBB127_4080
; %bb.4079:
	s_wait_loadcnt 0x0
	v_cvt_f64_i32_e32 v[0:1], v5
	v_cvt_f64_u32_e32 v[6:7], v4
	s_mov_b32 s0, 0
	s_delay_alu instid0(VALU_DEP_2) | instskip(NEXT) | instid1(VALU_DEP_1)
	v_ldexp_f64 v[0:1], v[0:1], 32
	v_add_f64_e32 v[0:1], v[0:1], v[6:7]
	global_store_b64 v[2:3], v[0:1], off
.LBB127_4080:
	s_and_not1_b32 vcc_lo, exec_lo, s0
	s_cbranch_vccnz .LBB127_4082
; %bb.4081:
	s_wait_loadcnt 0x0
	v_xor_b32_e32 v0, v4, v5
	v_cls_i32_e32 v1, v5
	s_delay_alu instid0(VALU_DEP_2) | instskip(NEXT) | instid1(VALU_DEP_1)
	v_ashrrev_i32_e32 v0, 31, v0
	v_add_nc_u32_e32 v0, 32, v0
	s_delay_alu instid0(VALU_DEP_1) | instskip(NEXT) | instid1(VALU_DEP_1)
	v_add_min_u32_e64 v6, v1, -1, v0
	v_lshlrev_b64_e32 v[0:1], v6, v[4:5]
	s_delay_alu instid0(VALU_DEP_1) | instskip(NEXT) | instid1(VALU_DEP_1)
	v_min_u32_e32 v0, 1, v0
	v_dual_sub_nc_u32 v1, 32, v6 :: v_dual_bitop2_b32 v0, v1, v0 bitop3:0x54
	s_delay_alu instid0(VALU_DEP_1) | instskip(NEXT) | instid1(VALU_DEP_1)
	v_cvt_f32_i32_e32 v0, v0
	v_ldexp_f32 v0, v0, v1
	global_store_b32 v[2:3], v0, off
.LBB127_4082:
	s_mov_b32 s0, 0
.LBB127_4083:
	s_delay_alu instid0(SALU_CYCLE_1)
	s_and_not1_b32 vcc_lo, exec_lo, s0
	s_cbranch_vccnz .LBB127_4085
; %bb.4084:
	s_wait_loadcnt 0x0
	v_xor_b32_e32 v0, v4, v5
	v_cls_i32_e32 v1, v5
	s_delay_alu instid0(VALU_DEP_2) | instskip(NEXT) | instid1(VALU_DEP_1)
	v_ashrrev_i32_e32 v0, 31, v0
	v_add_nc_u32_e32 v0, 32, v0
	s_delay_alu instid0(VALU_DEP_1) | instskip(NEXT) | instid1(VALU_DEP_1)
	v_add_min_u32_e64 v6, v1, -1, v0
	v_lshlrev_b64_e32 v[0:1], v6, v[4:5]
	s_delay_alu instid0(VALU_DEP_1) | instskip(NEXT) | instid1(VALU_DEP_1)
	v_min_u32_e32 v0, 1, v0
	v_dual_sub_nc_u32 v1, 32, v6 :: v_dual_bitop2_b32 v0, v1, v0 bitop3:0x54
	s_delay_alu instid0(VALU_DEP_1) | instskip(NEXT) | instid1(VALU_DEP_1)
	v_cvt_f32_i32_e32 v0, v0
	v_ldexp_f32 v0, v0, v1
	s_delay_alu instid0(VALU_DEP_1)
	v_cvt_f16_f32_e32 v0, v0
	global_store_b16 v[2:3], v0, off
.LBB127_4085:
	s_mov_b32 s0, 0
.LBB127_4086:
	s_delay_alu instid0(SALU_CYCLE_1)
	s_and_not1_b32 vcc_lo, exec_lo, s0
	s_cbranch_vccnz .LBB127_4102
; %bb.4087:
	s_sext_i32_i16 s2, s1
	s_mov_b32 s0, -1
	s_cmp_lt_i32 s2, 2
	s_cbranch_scc1 .LBB127_4097
; %bb.4088:
	s_cmp_lt_i32 s2, 3
	s_cbranch_scc1 .LBB127_4094
; %bb.4089:
	s_cmp_gt_i32 s2, 3
	s_cbranch_scc0 .LBB127_4091
; %bb.4090:
	s_mov_b32 s0, 0
	s_wait_loadcnt 0x0
	global_store_b64 v[2:3], v[4:5], off
.LBB127_4091:
	s_and_not1_b32 vcc_lo, exec_lo, s0
	s_cbranch_vccnz .LBB127_4093
; %bb.4092:
	s_wait_loadcnt 0x0
	global_store_b32 v[2:3], v4, off
.LBB127_4093:
	s_mov_b32 s0, 0
.LBB127_4094:
	s_delay_alu instid0(SALU_CYCLE_1)
	s_and_not1_b32 vcc_lo, exec_lo, s0
	s_cbranch_vccnz .LBB127_4096
; %bb.4095:
	s_wait_loadcnt 0x0
	global_store_b16 v[2:3], v4, off
.LBB127_4096:
	s_mov_b32 s0, 0
.LBB127_4097:
	s_delay_alu instid0(SALU_CYCLE_1)
	s_and_not1_b32 vcc_lo, exec_lo, s0
	s_cbranch_vccnz .LBB127_4102
; %bb.4098:
	s_sext_i32_i16 s0, s1
	s_delay_alu instid0(SALU_CYCLE_1)
	s_cmp_gt_i32 s0, 0
	s_mov_b32 s0, -1
	s_cbranch_scc0 .LBB127_4100
; %bb.4099:
	s_mov_b32 s0, 0
	s_wait_loadcnt 0x0
	global_store_b8 v[2:3], v4, off
.LBB127_4100:
	s_and_not1_b32 vcc_lo, exec_lo, s0
	s_cbranch_vccnz .LBB127_4102
; %bb.4101:
	s_wait_loadcnt 0x0
	global_store_b8 v[2:3], v4, off
	s_endpgm
.LBB127_4102:
	s_endpgm
.LBB127_4103:
	s_mov_b32 s3, 0
	s_mov_b32 s0, -1
	s_branch .LBB127_4059
.LBB127_4104:
	s_or_b32 s12, s12, exec_lo
	s_trap 2
	s_cbranch_execz .LBB127_3573
	s_branch .LBB127_3574
.LBB127_4105:
	s_and_not1_saveexec_b32 s8, s8
	s_cbranch_execz .LBB127_3653
.LBB127_4106:
	v_add_f32_e64 v3, 0x46000000, |v1|
	s_and_not1_b32 s7, s7, exec_lo
	s_delay_alu instid0(VALU_DEP_1) | instskip(NEXT) | instid1(VALU_DEP_1)
	v_and_b32_e32 v3, 0xff, v3
	v_cmp_ne_u32_e32 vcc_lo, 0, v3
	s_and_b32 s9, vcc_lo, exec_lo
	s_delay_alu instid0(SALU_CYCLE_1)
	s_or_b32 s7, s7, s9
	s_or_b32 exec_lo, exec_lo, s8
	v_mov_b32_e32 v5, 0
	s_and_saveexec_b32 s8, s7
	s_cbranch_execnz .LBB127_3654
	s_branch .LBB127_3655
.LBB127_4107:
	s_or_b32 s12, s12, exec_lo
	s_trap 2
	s_cbranch_execz .LBB127_3701
	s_branch .LBB127_3702
.LBB127_4108:
	s_and_not1_saveexec_b32 s7, s7
	s_cbranch_execz .LBB127_3666
.LBB127_4109:
	v_add_f32_e64 v3, 0x42800000, |v1|
	s_and_not1_b32 s6, s6, exec_lo
	s_delay_alu instid0(VALU_DEP_1) | instskip(NEXT) | instid1(VALU_DEP_1)
	v_and_b32_e32 v3, 0xff, v3
	v_cmp_ne_u32_e32 vcc_lo, 0, v3
	s_and_b32 s8, vcc_lo, exec_lo
	s_delay_alu instid0(SALU_CYCLE_1)
	s_or_b32 s6, s6, s8
	s_or_b32 exec_lo, exec_lo, s7
	v_mov_b32_e32 v5, 0
	s_and_saveexec_b32 s7, s6
	s_cbranch_execnz .LBB127_3667
	s_branch .LBB127_3668
.LBB127_4110:
	s_and_not1_saveexec_b32 s8, s8
	s_cbranch_execz .LBB127_3772
.LBB127_4111:
	v_add_f32_e64 v3, 0x46000000, |v1|
	s_and_not1_b32 s7, s7, exec_lo
	s_delay_alu instid0(VALU_DEP_1) | instskip(NEXT) | instid1(VALU_DEP_1)
	v_and_b32_e32 v3, 0xff, v3
	v_cmp_ne_u32_e32 vcc_lo, 0, v3
	s_and_b32 s9, vcc_lo, exec_lo
	s_delay_alu instid0(SALU_CYCLE_1)
	s_or_b32 s7, s7, s9
	s_or_b32 exec_lo, exec_lo, s8
	v_mov_b32_e32 v8, 0
	s_and_saveexec_b32 s8, s7
	s_cbranch_execnz .LBB127_3773
	s_branch .LBB127_3774
.LBB127_4112:
	s_or_b32 s12, s12, exec_lo
	s_trap 2
	s_cbranch_execz .LBB127_3820
	s_branch .LBB127_3821
.LBB127_4113:
	s_and_not1_saveexec_b32 s7, s7
	s_cbranch_execz .LBB127_3785
.LBB127_4114:
	v_add_f32_e64 v3, 0x42800000, |v1|
	s_and_not1_b32 s6, s6, exec_lo
	s_delay_alu instid0(VALU_DEP_1) | instskip(NEXT) | instid1(VALU_DEP_1)
	v_and_b32_e32 v3, 0xff, v3
	v_cmp_ne_u32_e32 vcc_lo, 0, v3
	s_and_b32 s8, vcc_lo, exec_lo
	s_delay_alu instid0(SALU_CYCLE_1)
	s_or_b32 s6, s6, s8
	s_or_b32 exec_lo, exec_lo, s7
	v_mov_b32_e32 v8, 0
	s_and_saveexec_b32 s7, s6
	s_cbranch_execnz .LBB127_3786
	s_branch .LBB127_3787
.LBB127_4115:
	s_and_not1_saveexec_b32 s8, s8
	s_cbranch_execz .LBB127_3891
.LBB127_4116:
	v_add_f32_e64 v6, 0x46000000, |v1|
	s_and_not1_b32 s7, s7, exec_lo
	s_delay_alu instid0(VALU_DEP_1) | instskip(NEXT) | instid1(VALU_DEP_1)
	v_and_b32_e32 v6, 0xff, v6
	v_cmp_ne_u32_e32 vcc_lo, 0, v6
	s_and_b32 s9, vcc_lo, exec_lo
	s_delay_alu instid0(SALU_CYCLE_1)
	s_or_b32 s7, s7, s9
	s_or_b32 exec_lo, exec_lo, s8
	v_mov_b32_e32 v7, 0
	s_and_saveexec_b32 s8, s7
	s_cbranch_execnz .LBB127_3892
	s_branch .LBB127_3893
.LBB127_4117:
	s_or_b32 s12, s12, exec_lo
	s_trap 2
	s_cbranch_execz .LBB127_3939
	s_branch .LBB127_3940
.LBB127_4118:
	s_and_not1_saveexec_b32 s7, s7
	s_cbranch_execz .LBB127_3904
.LBB127_4119:
	v_add_f32_e64 v6, 0x42800000, |v1|
	s_and_not1_b32 s6, s6, exec_lo
	s_delay_alu instid0(VALU_DEP_1) | instskip(NEXT) | instid1(VALU_DEP_1)
	v_and_b32_e32 v6, 0xff, v6
	v_cmp_ne_u32_e32 vcc_lo, 0, v6
	s_and_b32 s8, vcc_lo, exec_lo
	s_delay_alu instid0(SALU_CYCLE_1)
	s_or_b32 s6, s6, s8
	s_or_b32 exec_lo, exec_lo, s7
	v_mov_b32_e32 v7, 0
	s_and_saveexec_b32 s7, s6
	s_cbranch_execnz .LBB127_3905
	s_branch .LBB127_3906
.LBB127_4120:
	s_and_not1_saveexec_b32 s6, s6
	s_cbranch_execz .LBB127_4011
.LBB127_4121:
	v_add_f32_e64 v1, 0x46000000, |v0|
	s_and_not1_b32 s5, s5, exec_lo
	s_delay_alu instid0(VALU_DEP_1) | instskip(NEXT) | instid1(VALU_DEP_1)
	v_and_b32_e32 v1, 0xff, v1
	v_cmp_ne_u32_e32 vcc_lo, 0, v1
	s_and_b32 s7, vcc_lo, exec_lo
	s_delay_alu instid0(SALU_CYCLE_1)
	s_or_b32 s5, s5, s7
	s_or_b32 exec_lo, exec_lo, s6
	v_mov_b32_e32 v6, 0
	s_and_saveexec_b32 s6, s5
	s_cbranch_execnz .LBB127_4012
	s_branch .LBB127_4013
.LBB127_4122:
	s_mov_b32 s3, 0
	s_or_b32 s12, s12, exec_lo
	s_trap 2
	s_branch .LBB127_4057
.LBB127_4123:
	s_and_not1_saveexec_b32 s5, s5
	s_cbranch_execz .LBB127_4023
.LBB127_4124:
	v_add_f32_e64 v1, 0x42800000, |v0|
	s_and_not1_b32 s4, s4, exec_lo
	s_delay_alu instid0(VALU_DEP_1) | instskip(NEXT) | instid1(VALU_DEP_1)
	v_and_b32_e32 v1, 0xff, v1
	v_cmp_ne_u32_e32 vcc_lo, 0, v1
	s_and_b32 s6, vcc_lo, exec_lo
	s_delay_alu instid0(SALU_CYCLE_1)
	s_or_b32 s4, s4, s6
	s_or_b32 exec_lo, exec_lo, s5
	v_mov_b32_e32 v6, 0
	s_and_saveexec_b32 s5, s4
	s_cbranch_execnz .LBB127_4024
	s_branch .LBB127_4025
	.section	.rodata,"a",@progbits
	.p2align	6, 0x0
	.amdhsa_kernel _ZN2at6native32elementwise_kernel_manual_unrollILi128ELi4EZNS0_15gpu_kernel_implIZZZNS0_12_GLOBAL__N_117clamp_kernel_implERNS_18TensorIteratorBaseEENKUlvE_clEvENKUlvE2_clEvEUllllE_EEvS5_RKT_EUlibE0_EEviT1_
		.amdhsa_group_segment_fixed_size 0
		.amdhsa_private_segment_fixed_size 0
		.amdhsa_kernarg_size 504
		.amdhsa_user_sgpr_count 2
		.amdhsa_user_sgpr_dispatch_ptr 0
		.amdhsa_user_sgpr_queue_ptr 0
		.amdhsa_user_sgpr_kernarg_segment_ptr 1
		.amdhsa_user_sgpr_dispatch_id 0
		.amdhsa_user_sgpr_kernarg_preload_length 0
		.amdhsa_user_sgpr_kernarg_preload_offset 0
		.amdhsa_user_sgpr_private_segment_size 0
		.amdhsa_wavefront_size32 1
		.amdhsa_uses_dynamic_stack 0
		.amdhsa_enable_private_segment 0
		.amdhsa_system_sgpr_workgroup_id_x 1
		.amdhsa_system_sgpr_workgroup_id_y 0
		.amdhsa_system_sgpr_workgroup_id_z 0
		.amdhsa_system_sgpr_workgroup_info 0
		.amdhsa_system_vgpr_workitem_id 0
		.amdhsa_next_free_vgpr 38
		.amdhsa_next_free_sgpr 74
		.amdhsa_named_barrier_count 0
		.amdhsa_reserve_vcc 1
		.amdhsa_float_round_mode_32 0
		.amdhsa_float_round_mode_16_64 0
		.amdhsa_float_denorm_mode_32 3
		.amdhsa_float_denorm_mode_16_64 3
		.amdhsa_fp16_overflow 0
		.amdhsa_memory_ordered 1
		.amdhsa_forward_progress 1
		.amdhsa_inst_pref_size 255
		.amdhsa_round_robin_scheduling 0
		.amdhsa_exception_fp_ieee_invalid_op 0
		.amdhsa_exception_fp_denorm_src 0
		.amdhsa_exception_fp_ieee_div_zero 0
		.amdhsa_exception_fp_ieee_overflow 0
		.amdhsa_exception_fp_ieee_underflow 0
		.amdhsa_exception_fp_ieee_inexact 0
		.amdhsa_exception_int_div_zero 0
	.end_amdhsa_kernel
	.section	.text._ZN2at6native32elementwise_kernel_manual_unrollILi128ELi4EZNS0_15gpu_kernel_implIZZZNS0_12_GLOBAL__N_117clamp_kernel_implERNS_18TensorIteratorBaseEENKUlvE_clEvENKUlvE2_clEvEUllllE_EEvS5_RKT_EUlibE0_EEviT1_,"axG",@progbits,_ZN2at6native32elementwise_kernel_manual_unrollILi128ELi4EZNS0_15gpu_kernel_implIZZZNS0_12_GLOBAL__N_117clamp_kernel_implERNS_18TensorIteratorBaseEENKUlvE_clEvENKUlvE2_clEvEUllllE_EEvS5_RKT_EUlibE0_EEviT1_,comdat
.Lfunc_end127:
	.size	_ZN2at6native32elementwise_kernel_manual_unrollILi128ELi4EZNS0_15gpu_kernel_implIZZZNS0_12_GLOBAL__N_117clamp_kernel_implERNS_18TensorIteratorBaseEENKUlvE_clEvENKUlvE2_clEvEUllllE_EEvS5_RKT_EUlibE0_EEviT1_, .Lfunc_end127-_ZN2at6native32elementwise_kernel_manual_unrollILi128ELi4EZNS0_15gpu_kernel_implIZZZNS0_12_GLOBAL__N_117clamp_kernel_implERNS_18TensorIteratorBaseEENKUlvE_clEvENKUlvE2_clEvEUllllE_EEvS5_RKT_EUlibE0_EEviT1_
                                        ; -- End function
	.set _ZN2at6native32elementwise_kernel_manual_unrollILi128ELi4EZNS0_15gpu_kernel_implIZZZNS0_12_GLOBAL__N_117clamp_kernel_implERNS_18TensorIteratorBaseEENKUlvE_clEvENKUlvE2_clEvEUllllE_EEvS5_RKT_EUlibE0_EEviT1_.num_vgpr, 38
	.set _ZN2at6native32elementwise_kernel_manual_unrollILi128ELi4EZNS0_15gpu_kernel_implIZZZNS0_12_GLOBAL__N_117clamp_kernel_implERNS_18TensorIteratorBaseEENKUlvE_clEvENKUlvE2_clEvEUllllE_EEvS5_RKT_EUlibE0_EEviT1_.num_agpr, 0
	.set _ZN2at6native32elementwise_kernel_manual_unrollILi128ELi4EZNS0_15gpu_kernel_implIZZZNS0_12_GLOBAL__N_117clamp_kernel_implERNS_18TensorIteratorBaseEENKUlvE_clEvENKUlvE2_clEvEUllllE_EEvS5_RKT_EUlibE0_EEviT1_.numbered_sgpr, 74
	.set _ZN2at6native32elementwise_kernel_manual_unrollILi128ELi4EZNS0_15gpu_kernel_implIZZZNS0_12_GLOBAL__N_117clamp_kernel_implERNS_18TensorIteratorBaseEENKUlvE_clEvENKUlvE2_clEvEUllllE_EEvS5_RKT_EUlibE0_EEviT1_.num_named_barrier, 0
	.set _ZN2at6native32elementwise_kernel_manual_unrollILi128ELi4EZNS0_15gpu_kernel_implIZZZNS0_12_GLOBAL__N_117clamp_kernel_implERNS_18TensorIteratorBaseEENKUlvE_clEvENKUlvE2_clEvEUllllE_EEvS5_RKT_EUlibE0_EEviT1_.private_seg_size, 0
	.set _ZN2at6native32elementwise_kernel_manual_unrollILi128ELi4EZNS0_15gpu_kernel_implIZZZNS0_12_GLOBAL__N_117clamp_kernel_implERNS_18TensorIteratorBaseEENKUlvE_clEvENKUlvE2_clEvEUllllE_EEvS5_RKT_EUlibE0_EEviT1_.uses_vcc, 1
	.set _ZN2at6native32elementwise_kernel_manual_unrollILi128ELi4EZNS0_15gpu_kernel_implIZZZNS0_12_GLOBAL__N_117clamp_kernel_implERNS_18TensorIteratorBaseEENKUlvE_clEvENKUlvE2_clEvEUllllE_EEvS5_RKT_EUlibE0_EEviT1_.uses_flat_scratch, 0
	.set _ZN2at6native32elementwise_kernel_manual_unrollILi128ELi4EZNS0_15gpu_kernel_implIZZZNS0_12_GLOBAL__N_117clamp_kernel_implERNS_18TensorIteratorBaseEENKUlvE_clEvENKUlvE2_clEvEUllllE_EEvS5_RKT_EUlibE0_EEviT1_.has_dyn_sized_stack, 0
	.set _ZN2at6native32elementwise_kernel_manual_unrollILi128ELi4EZNS0_15gpu_kernel_implIZZZNS0_12_GLOBAL__N_117clamp_kernel_implERNS_18TensorIteratorBaseEENKUlvE_clEvENKUlvE2_clEvEUllllE_EEvS5_RKT_EUlibE0_EEviT1_.has_recursion, 0
	.set _ZN2at6native32elementwise_kernel_manual_unrollILi128ELi4EZNS0_15gpu_kernel_implIZZZNS0_12_GLOBAL__N_117clamp_kernel_implERNS_18TensorIteratorBaseEENKUlvE_clEvENKUlvE2_clEvEUllllE_EEvS5_RKT_EUlibE0_EEviT1_.has_indirect_call, 0
	.section	.AMDGPU.csdata,"",@progbits
; Kernel info:
; codeLenInByte = 99740
; TotalNumSgprs: 76
; NumVgprs: 38
; ScratchSize: 0
; MemoryBound: 1
; FloatMode: 240
; IeeeMode: 1
; LDSByteSize: 0 bytes/workgroup (compile time only)
; SGPRBlocks: 0
; VGPRBlocks: 2
; NumSGPRsForWavesPerEU: 76
; NumVGPRsForWavesPerEU: 38
; NamedBarCnt: 0
; Occupancy: 16
; WaveLimiterHint : 1
; COMPUTE_PGM_RSRC2:SCRATCH_EN: 0
; COMPUTE_PGM_RSRC2:USER_SGPR: 2
; COMPUTE_PGM_RSRC2:TRAP_HANDLER: 0
; COMPUTE_PGM_RSRC2:TGID_X_EN: 1
; COMPUTE_PGM_RSRC2:TGID_Y_EN: 0
; COMPUTE_PGM_RSRC2:TGID_Z_EN: 0
; COMPUTE_PGM_RSRC2:TIDIG_COMP_CNT: 0
	.section	.text._ZN2at6native29vectorized_elementwise_kernelILi16EZZZNS0_12_GLOBAL__N_117clamp_kernel_implERNS_18TensorIteratorBaseEENKUlvE_clEvENKUlvE3_clEvEUlsssE_St5arrayIPcLm4EEEEviT0_T1_,"axG",@progbits,_ZN2at6native29vectorized_elementwise_kernelILi16EZZZNS0_12_GLOBAL__N_117clamp_kernel_implERNS_18TensorIteratorBaseEENKUlvE_clEvENKUlvE3_clEvEUlsssE_St5arrayIPcLm4EEEEviT0_T1_,comdat
	.globl	_ZN2at6native29vectorized_elementwise_kernelILi16EZZZNS0_12_GLOBAL__N_117clamp_kernel_implERNS_18TensorIteratorBaseEENKUlvE_clEvENKUlvE3_clEvEUlsssE_St5arrayIPcLm4EEEEviT0_T1_ ; -- Begin function _ZN2at6native29vectorized_elementwise_kernelILi16EZZZNS0_12_GLOBAL__N_117clamp_kernel_implERNS_18TensorIteratorBaseEENKUlvE_clEvENKUlvE3_clEvEUlsssE_St5arrayIPcLm4EEEEviT0_T1_
	.p2align	8
	.type	_ZN2at6native29vectorized_elementwise_kernelILi16EZZZNS0_12_GLOBAL__N_117clamp_kernel_implERNS_18TensorIteratorBaseEENKUlvE_clEvENKUlvE3_clEvEUlsssE_St5arrayIPcLm4EEEEviT0_T1_,@function
_ZN2at6native29vectorized_elementwise_kernelILi16EZZZNS0_12_GLOBAL__N_117clamp_kernel_implERNS_18TensorIteratorBaseEENKUlvE_clEvENKUlvE3_clEvEUlsssE_St5arrayIPcLm4EEEEviT0_T1_: ; @_ZN2at6native29vectorized_elementwise_kernelILi16EZZZNS0_12_GLOBAL__N_117clamp_kernel_implERNS_18TensorIteratorBaseEENKUlvE_clEvENKUlvE3_clEvEUlsssE_St5arrayIPcLm4EEEEviT0_T1_
; %bb.0:
	s_clause 0x1
	s_load_b32 s3, s[0:1], 0x0
	s_load_b256 s[4:11], s[0:1], 0x8
	s_wait_xcnt 0x0
	s_bfe_u32 s0, ttmp6, 0x4000c
	s_and_b32 s1, ttmp6, 15
	s_add_co_i32 s0, s0, 1
	s_getreg_b32 s2, hwreg(HW_REG_IB_STS2, 6, 4)
	s_mul_i32 s0, ttmp9, s0
	s_delay_alu instid0(SALU_CYCLE_1) | instskip(SKIP_2) | instid1(SALU_CYCLE_1)
	s_add_co_i32 s1, s1, s0
	s_cmp_eq_u32 s2, 0
	s_cselect_b32 s0, ttmp9, s1
	s_lshl_b32 s2, s0, 11
	s_mov_b32 s0, -1
	s_wait_kmcnt 0x0
	s_sub_co_i32 s1, s3, s2
	s_delay_alu instid0(SALU_CYCLE_1)
	s_cmp_gt_i32 s1, 0x7ff
	s_cbranch_scc0 .LBB128_2
; %bb.1:
	s_ashr_i32 s3, s2, 31
	s_mov_b32 s0, 0
	s_lshl_b64 s[12:13], s[2:3], 1
	s_delay_alu instid0(SALU_CYCLE_1)
	s_add_nc_u64 s[14:15], s[6:7], s[12:13]
	s_add_nc_u64 s[16:17], s[8:9], s[12:13]
	s_clause 0x1
	global_load_b128 v[2:5], v0, s[14:15] scale_offset
	global_load_b128 v[6:9], v0, s[16:17] scale_offset
	s_wait_xcnt 0x1
	s_add_nc_u64 s[14:15], s[10:11], s[12:13]
	s_add_nc_u64 s[12:13], s[4:5], s[12:13]
	global_load_b128 v[10:13], v0, s[14:15] scale_offset
	s_wait_loadcnt 0x1
	v_pk_max_i16 v1, v3, v7
	v_pk_max_i16 v2, v2, v6
	v_pk_max_i16 v5, v5, v9
	v_pk_max_i16 v4, v4, v8
	s_wait_loadcnt 0x0
	v_pk_min_i16 v3, v1, v11
	v_pk_min_i16 v2, v2, v10
	;; [unrolled: 1-line block ×4, first 2 shown]
	global_store_b128 v0, v[2:5], s[12:13] scale_offset
.LBB128_2:
	s_and_not1_b32 vcc_lo, exec_lo, s0
	s_cbranch_vccnz .LBB128_26
; %bb.3:
	v_cmp_gt_i32_e32 vcc_lo, s1, v0
	s_wait_xcnt 0x0
	v_dual_mov_b32 v1, 0 :: v_dual_bitop2_b32 v2, s2, v0 bitop3:0x54
	v_or_b32_e32 v3, 0x100, v0
	v_dual_mov_b32 v4, 0 :: v_dual_mov_b32 v6, v0
	s_and_saveexec_b32 s0, vcc_lo
	s_cbranch_execz .LBB128_5
; %bb.4:
	s_clause 0x2
	global_load_u16 v4, v2, s[6:7] scale_offset
	global_load_u16 v5, v2, s[8:9] scale_offset
	;; [unrolled: 1-line block ×3, first 2 shown]
	v_or_b32_e32 v6, 0x100, v0
	s_wait_loadcnt 0x1
	v_max_i16 v4, v4, v5
	s_wait_loadcnt 0x0
	s_delay_alu instid0(VALU_DEP_1)
	v_min_i16 v4, v4, v7
.LBB128_5:
	s_wait_xcnt 0x0
	s_or_b32 exec_lo, exec_lo, s0
	s_delay_alu instid0(SALU_CYCLE_1)
	s_mov_b32 s3, exec_lo
	v_cmpx_gt_i32_e64 s1, v6
	s_cbranch_execz .LBB128_7
; %bb.6:
	v_add_nc_u32_e32 v1, s2, v6
	v_add_nc_u32_e32 v6, 0x100, v6
	s_clause 0x2
	global_load_u16 v5, v1, s[6:7] scale_offset
	global_load_u16 v7, v1, s[8:9] scale_offset
	global_load_u16 v8, v1, s[10:11] scale_offset
	s_wait_loadcnt 0x1
	s_wait_xcnt 0x0
	v_max_i16 v1, v5, v7
	s_wait_loadcnt 0x0
	s_delay_alu instid0(VALU_DEP_1)
	v_min_i16 v1, v1, v8
.LBB128_7:
	s_or_b32 exec_lo, exec_lo, s3
	v_dual_mov_b32 v5, 0 :: v_dual_mov_b32 v7, 0
	s_mov_b32 s3, exec_lo
	v_cmpx_gt_i32_e64 s1, v6
	s_cbranch_execz .LBB128_9
; %bb.8:
	v_add_nc_u32_e32 v7, s2, v6
	v_add_nc_u32_e32 v6, 0x100, v6
	s_clause 0x2
	global_load_u16 v8, v7, s[6:7] scale_offset
	global_load_u16 v9, v7, s[8:9] scale_offset
	;; [unrolled: 1-line block ×3, first 2 shown]
	s_wait_loadcnt 0x1
	s_wait_xcnt 0x0
	v_max_i16 v7, v8, v9
	s_wait_loadcnt 0x0
	s_delay_alu instid0(VALU_DEP_1)
	v_min_i16 v7, v7, v10
.LBB128_9:
	s_or_b32 exec_lo, exec_lo, s3
	s_delay_alu instid0(SALU_CYCLE_1)
	s_mov_b32 s3, exec_lo
	v_cmpx_gt_i32_e64 s1, v6
	s_cbranch_execz .LBB128_11
; %bb.10:
	v_add_nc_u32_e32 v5, s2, v6
	v_add_nc_u32_e32 v6, 0x100, v6
	s_clause 0x2
	global_load_u16 v8, v5, s[6:7] scale_offset
	global_load_u16 v9, v5, s[8:9] scale_offset
	;; [unrolled: 1-line block ×3, first 2 shown]
	s_wait_loadcnt 0x1
	s_wait_xcnt 0x0
	v_max_i16 v5, v8, v9
	s_wait_loadcnt 0x0
	s_delay_alu instid0(VALU_DEP_1)
	v_min_i16 v5, v5, v10
.LBB128_11:
	s_or_b32 exec_lo, exec_lo, s3
	v_dual_mov_b32 v8, 0 :: v_dual_mov_b32 v9, 0
	s_mov_b32 s3, exec_lo
	v_cmpx_gt_i32_e64 s1, v6
	s_cbranch_execz .LBB128_13
; %bb.12:
	v_add_nc_u32_e32 v9, s2, v6
	v_add_nc_u32_e32 v6, 0x100, v6
	s_clause 0x2
	global_load_u16 v10, v9, s[6:7] scale_offset
	global_load_u16 v11, v9, s[8:9] scale_offset
	;; [unrolled: 1-line block ×3, first 2 shown]
	s_wait_loadcnt 0x1
	s_wait_xcnt 0x0
	v_max_i16 v9, v10, v11
	s_wait_loadcnt 0x0
	s_delay_alu instid0(VALU_DEP_1)
	v_min_i16 v9, v9, v12
.LBB128_13:
	s_or_b32 exec_lo, exec_lo, s3
	s_delay_alu instid0(SALU_CYCLE_1)
	s_mov_b32 s3, exec_lo
	v_cmpx_gt_i32_e64 s1, v6
	s_cbranch_execz .LBB128_15
; %bb.14:
	v_add_nc_u32_e32 v8, s2, v6
	v_add_nc_u32_e32 v6, 0x100, v6
	s_clause 0x2
	global_load_u16 v10, v8, s[6:7] scale_offset
	global_load_u16 v11, v8, s[8:9] scale_offset
	;; [unrolled: 1-line block ×3, first 2 shown]
	s_wait_loadcnt 0x1
	s_wait_xcnt 0x0
	v_max_i16 v8, v10, v11
	s_wait_loadcnt 0x0
	s_delay_alu instid0(VALU_DEP_1)
	v_min_i16 v8, v8, v12
.LBB128_15:
	s_or_b32 exec_lo, exec_lo, s3
	v_dual_mov_b32 v10, 0 :: v_dual_mov_b32 v11, 0
	s_mov_b32 s3, exec_lo
	v_cmpx_gt_i32_e64 s1, v6
	s_cbranch_execnz .LBB128_27
; %bb.16:
	s_or_b32 exec_lo, exec_lo, s3
	s_delay_alu instid0(SALU_CYCLE_1)
	s_mov_b32 s3, exec_lo
	v_cmpx_gt_i32_e64 s1, v6
	s_cbranch_execnz .LBB128_28
.LBB128_17:
	s_or_b32 exec_lo, exec_lo, s3
	s_and_saveexec_b32 s0, vcc_lo
	s_cbranch_execnz .LBB128_29
.LBB128_18:
	s_or_b32 exec_lo, exec_lo, s0
	s_delay_alu instid0(SALU_CYCLE_1)
	s_mov_b32 s0, exec_lo
	v_cmpx_gt_i32_e64 s1, v0
	s_cbranch_execnz .LBB128_30
.LBB128_19:
	s_or_b32 exec_lo, exec_lo, s0
	s_delay_alu instid0(SALU_CYCLE_1)
	s_mov_b32 s0, exec_lo
	v_cmpx_gt_i32_e64 s1, v0
	s_cbranch_execnz .LBB128_31
.LBB128_20:
	s_or_b32 exec_lo, exec_lo, s0
	s_delay_alu instid0(SALU_CYCLE_1)
	s_mov_b32 s0, exec_lo
	v_cmpx_gt_i32_e64 s1, v0
	s_cbranch_execnz .LBB128_32
.LBB128_21:
	s_or_b32 exec_lo, exec_lo, s0
	s_delay_alu instid0(SALU_CYCLE_1)
	s_mov_b32 s0, exec_lo
	v_cmpx_gt_i32_e64 s1, v0
	s_cbranch_execnz .LBB128_33
.LBB128_22:
	s_or_b32 exec_lo, exec_lo, s0
	s_delay_alu instid0(SALU_CYCLE_1)
	s_mov_b32 s0, exec_lo
	v_cmpx_gt_i32_e64 s1, v0
	s_cbranch_execnz .LBB128_34
.LBB128_23:
	s_or_b32 exec_lo, exec_lo, s0
	s_delay_alu instid0(SALU_CYCLE_1)
	s_mov_b32 s0, exec_lo
	v_cmpx_gt_i32_e64 s1, v0
	s_cbranch_execnz .LBB128_35
.LBB128_24:
	s_or_b32 exec_lo, exec_lo, s0
	s_delay_alu instid0(SALU_CYCLE_1)
	s_mov_b32 s0, exec_lo
	v_cmpx_gt_i32_e64 s1, v0
	s_cbranch_execz .LBB128_26
.LBB128_25:
	v_add_nc_u32_e32 v0, s2, v0
	global_store_b16 v0, v10, s[4:5] scale_offset
.LBB128_26:
	s_endpgm
.LBB128_27:
	v_add_nc_u32_e32 v11, s2, v6
	v_add_nc_u32_e32 v6, 0x100, v6
	s_clause 0x2
	global_load_u16 v12, v11, s[6:7] scale_offset
	global_load_u16 v13, v11, s[8:9] scale_offset
	;; [unrolled: 1-line block ×3, first 2 shown]
	s_wait_loadcnt 0x1
	s_wait_xcnt 0x0
	v_max_i16 v11, v12, v13
	s_wait_loadcnt 0x0
	s_delay_alu instid0(VALU_DEP_1) | instskip(SKIP_1) | instid1(SALU_CYCLE_1)
	v_min_i16 v11, v11, v14
	s_or_b32 exec_lo, exec_lo, s3
	s_mov_b32 s3, exec_lo
	v_cmpx_gt_i32_e64 s1, v6
	s_cbranch_execz .LBB128_17
.LBB128_28:
	v_add_nc_u32_e32 v6, s2, v6
	s_clause 0x2
	global_load_u16 v10, v6, s[6:7] scale_offset
	global_load_u16 v12, v6, s[8:9] scale_offset
	;; [unrolled: 1-line block ×3, first 2 shown]
	s_wait_loadcnt 0x1
	s_wait_xcnt 0x0
	v_max_i16 v6, v10, v12
	s_wait_loadcnt 0x0
	s_delay_alu instid0(VALU_DEP_1)
	v_min_i16 v10, v6, v13
	s_or_b32 exec_lo, exec_lo, s3
	s_and_saveexec_b32 s0, vcc_lo
	s_cbranch_execz .LBB128_18
.LBB128_29:
	v_mov_b32_e32 v0, v3
	global_store_b16 v2, v4, s[4:5] scale_offset
	s_wait_xcnt 0x0
	s_or_b32 exec_lo, exec_lo, s0
	s_delay_alu instid0(SALU_CYCLE_1)
	s_mov_b32 s0, exec_lo
	v_cmpx_gt_i32_e64 s1, v0
	s_cbranch_execz .LBB128_19
.LBB128_30:
	v_add_nc_u32_e32 v2, s2, v0
	v_add_nc_u32_e32 v0, 0x100, v0
	global_store_b16 v2, v1, s[4:5] scale_offset
	s_wait_xcnt 0x0
	s_or_b32 exec_lo, exec_lo, s0
	s_delay_alu instid0(SALU_CYCLE_1)
	s_mov_b32 s0, exec_lo
	v_cmpx_gt_i32_e64 s1, v0
	s_cbranch_execz .LBB128_20
.LBB128_31:
	v_add_nc_u32_e32 v1, s2, v0
	v_add_nc_u32_e32 v0, 0x100, v0
	global_store_b16 v1, v7, s[4:5] scale_offset
	s_wait_xcnt 0x0
	s_or_b32 exec_lo, exec_lo, s0
	s_delay_alu instid0(SALU_CYCLE_1)
	s_mov_b32 s0, exec_lo
	v_cmpx_gt_i32_e64 s1, v0
	s_cbranch_execz .LBB128_21
.LBB128_32:
	v_add_nc_u32_e32 v1, s2, v0
	v_add_nc_u32_e32 v0, 0x100, v0
	global_store_b16 v1, v5, s[4:5] scale_offset
	s_wait_xcnt 0x0
	s_or_b32 exec_lo, exec_lo, s0
	s_delay_alu instid0(SALU_CYCLE_1)
	s_mov_b32 s0, exec_lo
	v_cmpx_gt_i32_e64 s1, v0
	s_cbranch_execz .LBB128_22
.LBB128_33:
	v_add_nc_u32_e32 v1, s2, v0
	v_add_nc_u32_e32 v0, 0x100, v0
	global_store_b16 v1, v9, s[4:5] scale_offset
	s_wait_xcnt 0x0
	s_or_b32 exec_lo, exec_lo, s0
	s_delay_alu instid0(SALU_CYCLE_1)
	s_mov_b32 s0, exec_lo
	v_cmpx_gt_i32_e64 s1, v0
	s_cbranch_execz .LBB128_23
.LBB128_34:
	v_add_nc_u32_e32 v1, s2, v0
	v_add_nc_u32_e32 v0, 0x100, v0
	global_store_b16 v1, v8, s[4:5] scale_offset
	s_wait_xcnt 0x0
	s_or_b32 exec_lo, exec_lo, s0
	s_delay_alu instid0(SALU_CYCLE_1)
	s_mov_b32 s0, exec_lo
	v_cmpx_gt_i32_e64 s1, v0
	s_cbranch_execz .LBB128_24
.LBB128_35:
	v_add_nc_u32_e32 v1, s2, v0
	v_add_nc_u32_e32 v0, 0x100, v0
	global_store_b16 v1, v11, s[4:5] scale_offset
	s_wait_xcnt 0x0
	s_or_b32 exec_lo, exec_lo, s0
	s_delay_alu instid0(SALU_CYCLE_1)
	s_mov_b32 s0, exec_lo
	v_cmpx_gt_i32_e64 s1, v0
	s_cbranch_execnz .LBB128_25
	s_branch .LBB128_26
	.section	.rodata,"a",@progbits
	.p2align	6, 0x0
	.amdhsa_kernel _ZN2at6native29vectorized_elementwise_kernelILi16EZZZNS0_12_GLOBAL__N_117clamp_kernel_implERNS_18TensorIteratorBaseEENKUlvE_clEvENKUlvE3_clEvEUlsssE_St5arrayIPcLm4EEEEviT0_T1_
		.amdhsa_group_segment_fixed_size 0
		.amdhsa_private_segment_fixed_size 0
		.amdhsa_kernarg_size 40
		.amdhsa_user_sgpr_count 2
		.amdhsa_user_sgpr_dispatch_ptr 0
		.amdhsa_user_sgpr_queue_ptr 0
		.amdhsa_user_sgpr_kernarg_segment_ptr 1
		.amdhsa_user_sgpr_dispatch_id 0
		.amdhsa_user_sgpr_kernarg_preload_length 0
		.amdhsa_user_sgpr_kernarg_preload_offset 0
		.amdhsa_user_sgpr_private_segment_size 0
		.amdhsa_wavefront_size32 1
		.amdhsa_uses_dynamic_stack 0
		.amdhsa_enable_private_segment 0
		.amdhsa_system_sgpr_workgroup_id_x 1
		.amdhsa_system_sgpr_workgroup_id_y 0
		.amdhsa_system_sgpr_workgroup_id_z 0
		.amdhsa_system_sgpr_workgroup_info 0
		.amdhsa_system_vgpr_workitem_id 0
		.amdhsa_next_free_vgpr 15
		.amdhsa_next_free_sgpr 18
		.amdhsa_named_barrier_count 0
		.amdhsa_reserve_vcc 1
		.amdhsa_float_round_mode_32 0
		.amdhsa_float_round_mode_16_64 0
		.amdhsa_float_denorm_mode_32 3
		.amdhsa_float_denorm_mode_16_64 3
		.amdhsa_fp16_overflow 0
		.amdhsa_memory_ordered 1
		.amdhsa_forward_progress 1
		.amdhsa_inst_pref_size 14
		.amdhsa_round_robin_scheduling 0
		.amdhsa_exception_fp_ieee_invalid_op 0
		.amdhsa_exception_fp_denorm_src 0
		.amdhsa_exception_fp_ieee_div_zero 0
		.amdhsa_exception_fp_ieee_overflow 0
		.amdhsa_exception_fp_ieee_underflow 0
		.amdhsa_exception_fp_ieee_inexact 0
		.amdhsa_exception_int_div_zero 0
	.end_amdhsa_kernel
	.section	.text._ZN2at6native29vectorized_elementwise_kernelILi16EZZZNS0_12_GLOBAL__N_117clamp_kernel_implERNS_18TensorIteratorBaseEENKUlvE_clEvENKUlvE3_clEvEUlsssE_St5arrayIPcLm4EEEEviT0_T1_,"axG",@progbits,_ZN2at6native29vectorized_elementwise_kernelILi16EZZZNS0_12_GLOBAL__N_117clamp_kernel_implERNS_18TensorIteratorBaseEENKUlvE_clEvENKUlvE3_clEvEUlsssE_St5arrayIPcLm4EEEEviT0_T1_,comdat
.Lfunc_end128:
	.size	_ZN2at6native29vectorized_elementwise_kernelILi16EZZZNS0_12_GLOBAL__N_117clamp_kernel_implERNS_18TensorIteratorBaseEENKUlvE_clEvENKUlvE3_clEvEUlsssE_St5arrayIPcLm4EEEEviT0_T1_, .Lfunc_end128-_ZN2at6native29vectorized_elementwise_kernelILi16EZZZNS0_12_GLOBAL__N_117clamp_kernel_implERNS_18TensorIteratorBaseEENKUlvE_clEvENKUlvE3_clEvEUlsssE_St5arrayIPcLm4EEEEviT0_T1_
                                        ; -- End function
	.set _ZN2at6native29vectorized_elementwise_kernelILi16EZZZNS0_12_GLOBAL__N_117clamp_kernel_implERNS_18TensorIteratorBaseEENKUlvE_clEvENKUlvE3_clEvEUlsssE_St5arrayIPcLm4EEEEviT0_T1_.num_vgpr, 15
	.set _ZN2at6native29vectorized_elementwise_kernelILi16EZZZNS0_12_GLOBAL__N_117clamp_kernel_implERNS_18TensorIteratorBaseEENKUlvE_clEvENKUlvE3_clEvEUlsssE_St5arrayIPcLm4EEEEviT0_T1_.num_agpr, 0
	.set _ZN2at6native29vectorized_elementwise_kernelILi16EZZZNS0_12_GLOBAL__N_117clamp_kernel_implERNS_18TensorIteratorBaseEENKUlvE_clEvENKUlvE3_clEvEUlsssE_St5arrayIPcLm4EEEEviT0_T1_.numbered_sgpr, 18
	.set _ZN2at6native29vectorized_elementwise_kernelILi16EZZZNS0_12_GLOBAL__N_117clamp_kernel_implERNS_18TensorIteratorBaseEENKUlvE_clEvENKUlvE3_clEvEUlsssE_St5arrayIPcLm4EEEEviT0_T1_.num_named_barrier, 0
	.set _ZN2at6native29vectorized_elementwise_kernelILi16EZZZNS0_12_GLOBAL__N_117clamp_kernel_implERNS_18TensorIteratorBaseEENKUlvE_clEvENKUlvE3_clEvEUlsssE_St5arrayIPcLm4EEEEviT0_T1_.private_seg_size, 0
	.set _ZN2at6native29vectorized_elementwise_kernelILi16EZZZNS0_12_GLOBAL__N_117clamp_kernel_implERNS_18TensorIteratorBaseEENKUlvE_clEvENKUlvE3_clEvEUlsssE_St5arrayIPcLm4EEEEviT0_T1_.uses_vcc, 1
	.set _ZN2at6native29vectorized_elementwise_kernelILi16EZZZNS0_12_GLOBAL__N_117clamp_kernel_implERNS_18TensorIteratorBaseEENKUlvE_clEvENKUlvE3_clEvEUlsssE_St5arrayIPcLm4EEEEviT0_T1_.uses_flat_scratch, 0
	.set _ZN2at6native29vectorized_elementwise_kernelILi16EZZZNS0_12_GLOBAL__N_117clamp_kernel_implERNS_18TensorIteratorBaseEENKUlvE_clEvENKUlvE3_clEvEUlsssE_St5arrayIPcLm4EEEEviT0_T1_.has_dyn_sized_stack, 0
	.set _ZN2at6native29vectorized_elementwise_kernelILi16EZZZNS0_12_GLOBAL__N_117clamp_kernel_implERNS_18TensorIteratorBaseEENKUlvE_clEvENKUlvE3_clEvEUlsssE_St5arrayIPcLm4EEEEviT0_T1_.has_recursion, 0
	.set _ZN2at6native29vectorized_elementwise_kernelILi16EZZZNS0_12_GLOBAL__N_117clamp_kernel_implERNS_18TensorIteratorBaseEENKUlvE_clEvENKUlvE3_clEvEUlsssE_St5arrayIPcLm4EEEEviT0_T1_.has_indirect_call, 0
	.section	.AMDGPU.csdata,"",@progbits
; Kernel info:
; codeLenInByte = 1748
; TotalNumSgprs: 20
; NumVgprs: 15
; ScratchSize: 0
; MemoryBound: 0
; FloatMode: 240
; IeeeMode: 1
; LDSByteSize: 0 bytes/workgroup (compile time only)
; SGPRBlocks: 0
; VGPRBlocks: 0
; NumSGPRsForWavesPerEU: 20
; NumVGPRsForWavesPerEU: 15
; NamedBarCnt: 0
; Occupancy: 16
; WaveLimiterHint : 0
; COMPUTE_PGM_RSRC2:SCRATCH_EN: 0
; COMPUTE_PGM_RSRC2:USER_SGPR: 2
; COMPUTE_PGM_RSRC2:TRAP_HANDLER: 0
; COMPUTE_PGM_RSRC2:TGID_X_EN: 1
; COMPUTE_PGM_RSRC2:TGID_Y_EN: 0
; COMPUTE_PGM_RSRC2:TGID_Z_EN: 0
; COMPUTE_PGM_RSRC2:TIDIG_COMP_CNT: 0
	.section	.text._ZN2at6native29vectorized_elementwise_kernelILi8EZZZNS0_12_GLOBAL__N_117clamp_kernel_implERNS_18TensorIteratorBaseEENKUlvE_clEvENKUlvE3_clEvEUlsssE_St5arrayIPcLm4EEEEviT0_T1_,"axG",@progbits,_ZN2at6native29vectorized_elementwise_kernelILi8EZZZNS0_12_GLOBAL__N_117clamp_kernel_implERNS_18TensorIteratorBaseEENKUlvE_clEvENKUlvE3_clEvEUlsssE_St5arrayIPcLm4EEEEviT0_T1_,comdat
	.globl	_ZN2at6native29vectorized_elementwise_kernelILi8EZZZNS0_12_GLOBAL__N_117clamp_kernel_implERNS_18TensorIteratorBaseEENKUlvE_clEvENKUlvE3_clEvEUlsssE_St5arrayIPcLm4EEEEviT0_T1_ ; -- Begin function _ZN2at6native29vectorized_elementwise_kernelILi8EZZZNS0_12_GLOBAL__N_117clamp_kernel_implERNS_18TensorIteratorBaseEENKUlvE_clEvENKUlvE3_clEvEUlsssE_St5arrayIPcLm4EEEEviT0_T1_
	.p2align	8
	.type	_ZN2at6native29vectorized_elementwise_kernelILi8EZZZNS0_12_GLOBAL__N_117clamp_kernel_implERNS_18TensorIteratorBaseEENKUlvE_clEvENKUlvE3_clEvEUlsssE_St5arrayIPcLm4EEEEviT0_T1_,@function
_ZN2at6native29vectorized_elementwise_kernelILi8EZZZNS0_12_GLOBAL__N_117clamp_kernel_implERNS_18TensorIteratorBaseEENKUlvE_clEvENKUlvE3_clEvEUlsssE_St5arrayIPcLm4EEEEviT0_T1_: ; @_ZN2at6native29vectorized_elementwise_kernelILi8EZZZNS0_12_GLOBAL__N_117clamp_kernel_implERNS_18TensorIteratorBaseEENKUlvE_clEvENKUlvE3_clEvEUlsssE_St5arrayIPcLm4EEEEviT0_T1_
; %bb.0:
	s_clause 0x1
	s_load_b32 s3, s[0:1], 0x0
	s_load_b256 s[4:11], s[0:1], 0x8
	s_wait_xcnt 0x0
	s_bfe_u32 s0, ttmp6, 0x4000c
	s_and_b32 s1, ttmp6, 15
	s_add_co_i32 s0, s0, 1
	s_getreg_b32 s2, hwreg(HW_REG_IB_STS2, 6, 4)
	s_mul_i32 s0, ttmp9, s0
	s_delay_alu instid0(SALU_CYCLE_1) | instskip(SKIP_2) | instid1(SALU_CYCLE_1)
	s_add_co_i32 s1, s1, s0
	s_cmp_eq_u32 s2, 0
	s_cselect_b32 s0, ttmp9, s1
	s_lshl_b32 s2, s0, 11
	s_mov_b32 s0, -1
	s_wait_kmcnt 0x0
	s_sub_co_i32 s1, s3, s2
	s_delay_alu instid0(SALU_CYCLE_1)
	s_cmp_gt_i32 s1, 0x7ff
	s_cbranch_scc0 .LBB129_2
; %bb.1:
	s_ashr_i32 s3, s2, 31
	s_mov_b32 s0, 0
	s_lshl_b64 s[12:13], s[2:3], 1
	s_delay_alu instid0(SALU_CYCLE_1)
	s_add_nc_u64 s[14:15], s[6:7], s[12:13]
	s_add_nc_u64 s[16:17], s[8:9], s[12:13]
	s_clause 0x1
	global_load_b128 v[2:5], v0, s[14:15] scale_offset
	global_load_b128 v[6:9], v0, s[16:17] scale_offset
	s_wait_xcnt 0x1
	s_add_nc_u64 s[14:15], s[10:11], s[12:13]
	s_add_nc_u64 s[12:13], s[4:5], s[12:13]
	global_load_b128 v[10:13], v0, s[14:15] scale_offset
	s_wait_loadcnt 0x1
	v_pk_max_i16 v1, v3, v7
	v_pk_max_i16 v2, v2, v6
	;; [unrolled: 1-line block ×4, first 2 shown]
	s_wait_loadcnt 0x0
	v_pk_min_i16 v3, v1, v11
	v_pk_min_i16 v2, v2, v10
	;; [unrolled: 1-line block ×4, first 2 shown]
	global_store_b128 v0, v[2:5], s[12:13] scale_offset
.LBB129_2:
	s_and_not1_b32 vcc_lo, exec_lo, s0
	s_cbranch_vccnz .LBB129_26
; %bb.3:
	v_cmp_gt_i32_e32 vcc_lo, s1, v0
	s_wait_xcnt 0x0
	v_dual_mov_b32 v1, 0 :: v_dual_bitop2_b32 v2, s2, v0 bitop3:0x54
	v_or_b32_e32 v3, 0x100, v0
	v_dual_mov_b32 v4, 0 :: v_dual_mov_b32 v6, v0
	s_and_saveexec_b32 s0, vcc_lo
	s_cbranch_execz .LBB129_5
; %bb.4:
	s_clause 0x2
	global_load_u16 v4, v2, s[6:7] scale_offset
	global_load_u16 v5, v2, s[8:9] scale_offset
	;; [unrolled: 1-line block ×3, first 2 shown]
	v_or_b32_e32 v6, 0x100, v0
	s_wait_loadcnt 0x1
	v_max_i16 v4, v4, v5
	s_wait_loadcnt 0x0
	s_delay_alu instid0(VALU_DEP_1)
	v_min_i16 v4, v4, v7
.LBB129_5:
	s_wait_xcnt 0x0
	s_or_b32 exec_lo, exec_lo, s0
	s_delay_alu instid0(SALU_CYCLE_1)
	s_mov_b32 s3, exec_lo
	v_cmpx_gt_i32_e64 s1, v6
	s_cbranch_execz .LBB129_7
; %bb.6:
	v_add_nc_u32_e32 v1, s2, v6
	v_add_nc_u32_e32 v6, 0x100, v6
	s_clause 0x2
	global_load_u16 v5, v1, s[6:7] scale_offset
	global_load_u16 v7, v1, s[8:9] scale_offset
	;; [unrolled: 1-line block ×3, first 2 shown]
	s_wait_loadcnt 0x1
	s_wait_xcnt 0x0
	v_max_i16 v1, v5, v7
	s_wait_loadcnt 0x0
	s_delay_alu instid0(VALU_DEP_1)
	v_min_i16 v1, v1, v8
.LBB129_7:
	s_or_b32 exec_lo, exec_lo, s3
	v_dual_mov_b32 v5, 0 :: v_dual_mov_b32 v7, 0
	s_mov_b32 s3, exec_lo
	v_cmpx_gt_i32_e64 s1, v6
	s_cbranch_execz .LBB129_9
; %bb.8:
	v_add_nc_u32_e32 v7, s2, v6
	v_add_nc_u32_e32 v6, 0x100, v6
	s_clause 0x2
	global_load_u16 v8, v7, s[6:7] scale_offset
	global_load_u16 v9, v7, s[8:9] scale_offset
	;; [unrolled: 1-line block ×3, first 2 shown]
	s_wait_loadcnt 0x1
	s_wait_xcnt 0x0
	v_max_i16 v7, v8, v9
	s_wait_loadcnt 0x0
	s_delay_alu instid0(VALU_DEP_1)
	v_min_i16 v7, v7, v10
.LBB129_9:
	s_or_b32 exec_lo, exec_lo, s3
	s_delay_alu instid0(SALU_CYCLE_1)
	s_mov_b32 s3, exec_lo
	v_cmpx_gt_i32_e64 s1, v6
	s_cbranch_execz .LBB129_11
; %bb.10:
	v_add_nc_u32_e32 v5, s2, v6
	v_add_nc_u32_e32 v6, 0x100, v6
	s_clause 0x2
	global_load_u16 v8, v5, s[6:7] scale_offset
	global_load_u16 v9, v5, s[8:9] scale_offset
	;; [unrolled: 1-line block ×3, first 2 shown]
	s_wait_loadcnt 0x1
	s_wait_xcnt 0x0
	v_max_i16 v5, v8, v9
	s_wait_loadcnt 0x0
	s_delay_alu instid0(VALU_DEP_1)
	v_min_i16 v5, v5, v10
.LBB129_11:
	s_or_b32 exec_lo, exec_lo, s3
	v_dual_mov_b32 v8, 0 :: v_dual_mov_b32 v9, 0
	s_mov_b32 s3, exec_lo
	v_cmpx_gt_i32_e64 s1, v6
	s_cbranch_execz .LBB129_13
; %bb.12:
	v_add_nc_u32_e32 v9, s2, v6
	v_add_nc_u32_e32 v6, 0x100, v6
	s_clause 0x2
	global_load_u16 v10, v9, s[6:7] scale_offset
	global_load_u16 v11, v9, s[8:9] scale_offset
	;; [unrolled: 1-line block ×3, first 2 shown]
	s_wait_loadcnt 0x1
	s_wait_xcnt 0x0
	v_max_i16 v9, v10, v11
	s_wait_loadcnt 0x0
	s_delay_alu instid0(VALU_DEP_1)
	v_min_i16 v9, v9, v12
.LBB129_13:
	s_or_b32 exec_lo, exec_lo, s3
	s_delay_alu instid0(SALU_CYCLE_1)
	s_mov_b32 s3, exec_lo
	v_cmpx_gt_i32_e64 s1, v6
	s_cbranch_execz .LBB129_15
; %bb.14:
	v_add_nc_u32_e32 v8, s2, v6
	v_add_nc_u32_e32 v6, 0x100, v6
	s_clause 0x2
	global_load_u16 v10, v8, s[6:7] scale_offset
	global_load_u16 v11, v8, s[8:9] scale_offset
	global_load_u16 v12, v8, s[10:11] scale_offset
	s_wait_loadcnt 0x1
	s_wait_xcnt 0x0
	v_max_i16 v8, v10, v11
	s_wait_loadcnt 0x0
	s_delay_alu instid0(VALU_DEP_1)
	v_min_i16 v8, v8, v12
.LBB129_15:
	s_or_b32 exec_lo, exec_lo, s3
	v_dual_mov_b32 v10, 0 :: v_dual_mov_b32 v11, 0
	s_mov_b32 s3, exec_lo
	v_cmpx_gt_i32_e64 s1, v6
	s_cbranch_execnz .LBB129_27
; %bb.16:
	s_or_b32 exec_lo, exec_lo, s3
	s_delay_alu instid0(SALU_CYCLE_1)
	s_mov_b32 s3, exec_lo
	v_cmpx_gt_i32_e64 s1, v6
	s_cbranch_execnz .LBB129_28
.LBB129_17:
	s_or_b32 exec_lo, exec_lo, s3
	s_and_saveexec_b32 s0, vcc_lo
	s_cbranch_execnz .LBB129_29
.LBB129_18:
	s_or_b32 exec_lo, exec_lo, s0
	s_delay_alu instid0(SALU_CYCLE_1)
	s_mov_b32 s0, exec_lo
	v_cmpx_gt_i32_e64 s1, v0
	s_cbranch_execnz .LBB129_30
.LBB129_19:
	s_or_b32 exec_lo, exec_lo, s0
	s_delay_alu instid0(SALU_CYCLE_1)
	s_mov_b32 s0, exec_lo
	v_cmpx_gt_i32_e64 s1, v0
	s_cbranch_execnz .LBB129_31
.LBB129_20:
	s_or_b32 exec_lo, exec_lo, s0
	s_delay_alu instid0(SALU_CYCLE_1)
	s_mov_b32 s0, exec_lo
	v_cmpx_gt_i32_e64 s1, v0
	s_cbranch_execnz .LBB129_32
.LBB129_21:
	s_or_b32 exec_lo, exec_lo, s0
	s_delay_alu instid0(SALU_CYCLE_1)
	s_mov_b32 s0, exec_lo
	v_cmpx_gt_i32_e64 s1, v0
	s_cbranch_execnz .LBB129_33
.LBB129_22:
	s_or_b32 exec_lo, exec_lo, s0
	s_delay_alu instid0(SALU_CYCLE_1)
	s_mov_b32 s0, exec_lo
	v_cmpx_gt_i32_e64 s1, v0
	s_cbranch_execnz .LBB129_34
.LBB129_23:
	s_or_b32 exec_lo, exec_lo, s0
	s_delay_alu instid0(SALU_CYCLE_1)
	s_mov_b32 s0, exec_lo
	v_cmpx_gt_i32_e64 s1, v0
	s_cbranch_execnz .LBB129_35
.LBB129_24:
	s_or_b32 exec_lo, exec_lo, s0
	s_delay_alu instid0(SALU_CYCLE_1)
	s_mov_b32 s0, exec_lo
	v_cmpx_gt_i32_e64 s1, v0
	s_cbranch_execz .LBB129_26
.LBB129_25:
	v_add_nc_u32_e32 v0, s2, v0
	global_store_b16 v0, v10, s[4:5] scale_offset
.LBB129_26:
	s_endpgm
.LBB129_27:
	v_add_nc_u32_e32 v11, s2, v6
	v_add_nc_u32_e32 v6, 0x100, v6
	s_clause 0x2
	global_load_u16 v12, v11, s[6:7] scale_offset
	global_load_u16 v13, v11, s[8:9] scale_offset
	;; [unrolled: 1-line block ×3, first 2 shown]
	s_wait_loadcnt 0x1
	s_wait_xcnt 0x0
	v_max_i16 v11, v12, v13
	s_wait_loadcnt 0x0
	s_delay_alu instid0(VALU_DEP_1) | instskip(SKIP_1) | instid1(SALU_CYCLE_1)
	v_min_i16 v11, v11, v14
	s_or_b32 exec_lo, exec_lo, s3
	s_mov_b32 s3, exec_lo
	v_cmpx_gt_i32_e64 s1, v6
	s_cbranch_execz .LBB129_17
.LBB129_28:
	v_add_nc_u32_e32 v6, s2, v6
	s_clause 0x2
	global_load_u16 v10, v6, s[6:7] scale_offset
	global_load_u16 v12, v6, s[8:9] scale_offset
	;; [unrolled: 1-line block ×3, first 2 shown]
	s_wait_loadcnt 0x1
	s_wait_xcnt 0x0
	v_max_i16 v6, v10, v12
	s_wait_loadcnt 0x0
	s_delay_alu instid0(VALU_DEP_1)
	v_min_i16 v10, v6, v13
	s_or_b32 exec_lo, exec_lo, s3
	s_and_saveexec_b32 s0, vcc_lo
	s_cbranch_execz .LBB129_18
.LBB129_29:
	v_mov_b32_e32 v0, v3
	global_store_b16 v2, v4, s[4:5] scale_offset
	s_wait_xcnt 0x0
	s_or_b32 exec_lo, exec_lo, s0
	s_delay_alu instid0(SALU_CYCLE_1)
	s_mov_b32 s0, exec_lo
	v_cmpx_gt_i32_e64 s1, v0
	s_cbranch_execz .LBB129_19
.LBB129_30:
	v_add_nc_u32_e32 v2, s2, v0
	v_add_nc_u32_e32 v0, 0x100, v0
	global_store_b16 v2, v1, s[4:5] scale_offset
	s_wait_xcnt 0x0
	s_or_b32 exec_lo, exec_lo, s0
	s_delay_alu instid0(SALU_CYCLE_1)
	s_mov_b32 s0, exec_lo
	v_cmpx_gt_i32_e64 s1, v0
	s_cbranch_execz .LBB129_20
.LBB129_31:
	v_add_nc_u32_e32 v1, s2, v0
	v_add_nc_u32_e32 v0, 0x100, v0
	global_store_b16 v1, v7, s[4:5] scale_offset
	s_wait_xcnt 0x0
	s_or_b32 exec_lo, exec_lo, s0
	s_delay_alu instid0(SALU_CYCLE_1)
	s_mov_b32 s0, exec_lo
	v_cmpx_gt_i32_e64 s1, v0
	s_cbranch_execz .LBB129_21
.LBB129_32:
	v_add_nc_u32_e32 v1, s2, v0
	v_add_nc_u32_e32 v0, 0x100, v0
	global_store_b16 v1, v5, s[4:5] scale_offset
	s_wait_xcnt 0x0
	s_or_b32 exec_lo, exec_lo, s0
	s_delay_alu instid0(SALU_CYCLE_1)
	s_mov_b32 s0, exec_lo
	v_cmpx_gt_i32_e64 s1, v0
	s_cbranch_execz .LBB129_22
.LBB129_33:
	v_add_nc_u32_e32 v1, s2, v0
	v_add_nc_u32_e32 v0, 0x100, v0
	global_store_b16 v1, v9, s[4:5] scale_offset
	s_wait_xcnt 0x0
	s_or_b32 exec_lo, exec_lo, s0
	s_delay_alu instid0(SALU_CYCLE_1)
	s_mov_b32 s0, exec_lo
	v_cmpx_gt_i32_e64 s1, v0
	s_cbranch_execz .LBB129_23
.LBB129_34:
	v_add_nc_u32_e32 v1, s2, v0
	v_add_nc_u32_e32 v0, 0x100, v0
	global_store_b16 v1, v8, s[4:5] scale_offset
	s_wait_xcnt 0x0
	s_or_b32 exec_lo, exec_lo, s0
	s_delay_alu instid0(SALU_CYCLE_1)
	s_mov_b32 s0, exec_lo
	v_cmpx_gt_i32_e64 s1, v0
	s_cbranch_execz .LBB129_24
.LBB129_35:
	v_add_nc_u32_e32 v1, s2, v0
	v_add_nc_u32_e32 v0, 0x100, v0
	global_store_b16 v1, v11, s[4:5] scale_offset
	s_wait_xcnt 0x0
	s_or_b32 exec_lo, exec_lo, s0
	s_delay_alu instid0(SALU_CYCLE_1)
	s_mov_b32 s0, exec_lo
	v_cmpx_gt_i32_e64 s1, v0
	s_cbranch_execnz .LBB129_25
	s_branch .LBB129_26
	.section	.rodata,"a",@progbits
	.p2align	6, 0x0
	.amdhsa_kernel _ZN2at6native29vectorized_elementwise_kernelILi8EZZZNS0_12_GLOBAL__N_117clamp_kernel_implERNS_18TensorIteratorBaseEENKUlvE_clEvENKUlvE3_clEvEUlsssE_St5arrayIPcLm4EEEEviT0_T1_
		.amdhsa_group_segment_fixed_size 0
		.amdhsa_private_segment_fixed_size 0
		.amdhsa_kernarg_size 40
		.amdhsa_user_sgpr_count 2
		.amdhsa_user_sgpr_dispatch_ptr 0
		.amdhsa_user_sgpr_queue_ptr 0
		.amdhsa_user_sgpr_kernarg_segment_ptr 1
		.amdhsa_user_sgpr_dispatch_id 0
		.amdhsa_user_sgpr_kernarg_preload_length 0
		.amdhsa_user_sgpr_kernarg_preload_offset 0
		.amdhsa_user_sgpr_private_segment_size 0
		.amdhsa_wavefront_size32 1
		.amdhsa_uses_dynamic_stack 0
		.amdhsa_enable_private_segment 0
		.amdhsa_system_sgpr_workgroup_id_x 1
		.amdhsa_system_sgpr_workgroup_id_y 0
		.amdhsa_system_sgpr_workgroup_id_z 0
		.amdhsa_system_sgpr_workgroup_info 0
		.amdhsa_system_vgpr_workitem_id 0
		.amdhsa_next_free_vgpr 15
		.amdhsa_next_free_sgpr 18
		.amdhsa_named_barrier_count 0
		.amdhsa_reserve_vcc 1
		.amdhsa_float_round_mode_32 0
		.amdhsa_float_round_mode_16_64 0
		.amdhsa_float_denorm_mode_32 3
		.amdhsa_float_denorm_mode_16_64 3
		.amdhsa_fp16_overflow 0
		.amdhsa_memory_ordered 1
		.amdhsa_forward_progress 1
		.amdhsa_inst_pref_size 14
		.amdhsa_round_robin_scheduling 0
		.amdhsa_exception_fp_ieee_invalid_op 0
		.amdhsa_exception_fp_denorm_src 0
		.amdhsa_exception_fp_ieee_div_zero 0
		.amdhsa_exception_fp_ieee_overflow 0
		.amdhsa_exception_fp_ieee_underflow 0
		.amdhsa_exception_fp_ieee_inexact 0
		.amdhsa_exception_int_div_zero 0
	.end_amdhsa_kernel
	.section	.text._ZN2at6native29vectorized_elementwise_kernelILi8EZZZNS0_12_GLOBAL__N_117clamp_kernel_implERNS_18TensorIteratorBaseEENKUlvE_clEvENKUlvE3_clEvEUlsssE_St5arrayIPcLm4EEEEviT0_T1_,"axG",@progbits,_ZN2at6native29vectorized_elementwise_kernelILi8EZZZNS0_12_GLOBAL__N_117clamp_kernel_implERNS_18TensorIteratorBaseEENKUlvE_clEvENKUlvE3_clEvEUlsssE_St5arrayIPcLm4EEEEviT0_T1_,comdat
.Lfunc_end129:
	.size	_ZN2at6native29vectorized_elementwise_kernelILi8EZZZNS0_12_GLOBAL__N_117clamp_kernel_implERNS_18TensorIteratorBaseEENKUlvE_clEvENKUlvE3_clEvEUlsssE_St5arrayIPcLm4EEEEviT0_T1_, .Lfunc_end129-_ZN2at6native29vectorized_elementwise_kernelILi8EZZZNS0_12_GLOBAL__N_117clamp_kernel_implERNS_18TensorIteratorBaseEENKUlvE_clEvENKUlvE3_clEvEUlsssE_St5arrayIPcLm4EEEEviT0_T1_
                                        ; -- End function
	.set _ZN2at6native29vectorized_elementwise_kernelILi8EZZZNS0_12_GLOBAL__N_117clamp_kernel_implERNS_18TensorIteratorBaseEENKUlvE_clEvENKUlvE3_clEvEUlsssE_St5arrayIPcLm4EEEEviT0_T1_.num_vgpr, 15
	.set _ZN2at6native29vectorized_elementwise_kernelILi8EZZZNS0_12_GLOBAL__N_117clamp_kernel_implERNS_18TensorIteratorBaseEENKUlvE_clEvENKUlvE3_clEvEUlsssE_St5arrayIPcLm4EEEEviT0_T1_.num_agpr, 0
	.set _ZN2at6native29vectorized_elementwise_kernelILi8EZZZNS0_12_GLOBAL__N_117clamp_kernel_implERNS_18TensorIteratorBaseEENKUlvE_clEvENKUlvE3_clEvEUlsssE_St5arrayIPcLm4EEEEviT0_T1_.numbered_sgpr, 18
	.set _ZN2at6native29vectorized_elementwise_kernelILi8EZZZNS0_12_GLOBAL__N_117clamp_kernel_implERNS_18TensorIteratorBaseEENKUlvE_clEvENKUlvE3_clEvEUlsssE_St5arrayIPcLm4EEEEviT0_T1_.num_named_barrier, 0
	.set _ZN2at6native29vectorized_elementwise_kernelILi8EZZZNS0_12_GLOBAL__N_117clamp_kernel_implERNS_18TensorIteratorBaseEENKUlvE_clEvENKUlvE3_clEvEUlsssE_St5arrayIPcLm4EEEEviT0_T1_.private_seg_size, 0
	.set _ZN2at6native29vectorized_elementwise_kernelILi8EZZZNS0_12_GLOBAL__N_117clamp_kernel_implERNS_18TensorIteratorBaseEENKUlvE_clEvENKUlvE3_clEvEUlsssE_St5arrayIPcLm4EEEEviT0_T1_.uses_vcc, 1
	.set _ZN2at6native29vectorized_elementwise_kernelILi8EZZZNS0_12_GLOBAL__N_117clamp_kernel_implERNS_18TensorIteratorBaseEENKUlvE_clEvENKUlvE3_clEvEUlsssE_St5arrayIPcLm4EEEEviT0_T1_.uses_flat_scratch, 0
	.set _ZN2at6native29vectorized_elementwise_kernelILi8EZZZNS0_12_GLOBAL__N_117clamp_kernel_implERNS_18TensorIteratorBaseEENKUlvE_clEvENKUlvE3_clEvEUlsssE_St5arrayIPcLm4EEEEviT0_T1_.has_dyn_sized_stack, 0
	.set _ZN2at6native29vectorized_elementwise_kernelILi8EZZZNS0_12_GLOBAL__N_117clamp_kernel_implERNS_18TensorIteratorBaseEENKUlvE_clEvENKUlvE3_clEvEUlsssE_St5arrayIPcLm4EEEEviT0_T1_.has_recursion, 0
	.set _ZN2at6native29vectorized_elementwise_kernelILi8EZZZNS0_12_GLOBAL__N_117clamp_kernel_implERNS_18TensorIteratorBaseEENKUlvE_clEvENKUlvE3_clEvEUlsssE_St5arrayIPcLm4EEEEviT0_T1_.has_indirect_call, 0
	.section	.AMDGPU.csdata,"",@progbits
; Kernel info:
; codeLenInByte = 1748
; TotalNumSgprs: 20
; NumVgprs: 15
; ScratchSize: 0
; MemoryBound: 0
; FloatMode: 240
; IeeeMode: 1
; LDSByteSize: 0 bytes/workgroup (compile time only)
; SGPRBlocks: 0
; VGPRBlocks: 0
; NumSGPRsForWavesPerEU: 20
; NumVGPRsForWavesPerEU: 15
; NamedBarCnt: 0
; Occupancy: 16
; WaveLimiterHint : 0
; COMPUTE_PGM_RSRC2:SCRATCH_EN: 0
; COMPUTE_PGM_RSRC2:USER_SGPR: 2
; COMPUTE_PGM_RSRC2:TRAP_HANDLER: 0
; COMPUTE_PGM_RSRC2:TGID_X_EN: 1
; COMPUTE_PGM_RSRC2:TGID_Y_EN: 0
; COMPUTE_PGM_RSRC2:TGID_Z_EN: 0
; COMPUTE_PGM_RSRC2:TIDIG_COMP_CNT: 0
	.section	.text._ZN2at6native29vectorized_elementwise_kernelILi4EZZZNS0_12_GLOBAL__N_117clamp_kernel_implERNS_18TensorIteratorBaseEENKUlvE_clEvENKUlvE3_clEvEUlsssE_St5arrayIPcLm4EEEEviT0_T1_,"axG",@progbits,_ZN2at6native29vectorized_elementwise_kernelILi4EZZZNS0_12_GLOBAL__N_117clamp_kernel_implERNS_18TensorIteratorBaseEENKUlvE_clEvENKUlvE3_clEvEUlsssE_St5arrayIPcLm4EEEEviT0_T1_,comdat
	.globl	_ZN2at6native29vectorized_elementwise_kernelILi4EZZZNS0_12_GLOBAL__N_117clamp_kernel_implERNS_18TensorIteratorBaseEENKUlvE_clEvENKUlvE3_clEvEUlsssE_St5arrayIPcLm4EEEEviT0_T1_ ; -- Begin function _ZN2at6native29vectorized_elementwise_kernelILi4EZZZNS0_12_GLOBAL__N_117clamp_kernel_implERNS_18TensorIteratorBaseEENKUlvE_clEvENKUlvE3_clEvEUlsssE_St5arrayIPcLm4EEEEviT0_T1_
	.p2align	8
	.type	_ZN2at6native29vectorized_elementwise_kernelILi4EZZZNS0_12_GLOBAL__N_117clamp_kernel_implERNS_18TensorIteratorBaseEENKUlvE_clEvENKUlvE3_clEvEUlsssE_St5arrayIPcLm4EEEEviT0_T1_,@function
_ZN2at6native29vectorized_elementwise_kernelILi4EZZZNS0_12_GLOBAL__N_117clamp_kernel_implERNS_18TensorIteratorBaseEENKUlvE_clEvENKUlvE3_clEvEUlsssE_St5arrayIPcLm4EEEEviT0_T1_: ; @_ZN2at6native29vectorized_elementwise_kernelILi4EZZZNS0_12_GLOBAL__N_117clamp_kernel_implERNS_18TensorIteratorBaseEENKUlvE_clEvENKUlvE3_clEvEUlsssE_St5arrayIPcLm4EEEEviT0_T1_
; %bb.0:
	s_clause 0x1
	s_load_b32 s3, s[0:1], 0x0
	s_load_b256 s[4:11], s[0:1], 0x8
	s_wait_xcnt 0x0
	s_bfe_u32 s0, ttmp6, 0x4000c
	s_and_b32 s1, ttmp6, 15
	s_add_co_i32 s0, s0, 1
	s_getreg_b32 s2, hwreg(HW_REG_IB_STS2, 6, 4)
	s_mul_i32 s0, ttmp9, s0
	s_delay_alu instid0(SALU_CYCLE_1) | instskip(SKIP_2) | instid1(SALU_CYCLE_1)
	s_add_co_i32 s1, s1, s0
	s_cmp_eq_u32 s2, 0
	s_cselect_b32 s0, ttmp9, s1
	s_lshl_b32 s2, s0, 11
	s_mov_b32 s0, -1
	s_wait_kmcnt 0x0
	s_sub_co_i32 s1, s3, s2
	s_delay_alu instid0(SALU_CYCLE_1)
	s_cmp_gt_i32 s1, 0x7ff
	s_cbranch_scc0 .LBB130_2
; %bb.1:
	s_ashr_i32 s3, s2, 31
	s_mov_b32 s0, 0
	s_lshl_b64 s[12:13], s[2:3], 1
	s_delay_alu instid0(SALU_CYCLE_1)
	s_add_nc_u64 s[14:15], s[6:7], s[12:13]
	s_add_nc_u64 s[16:17], s[8:9], s[12:13]
	s_clause 0x2
	global_load_b64 v[2:3], v0, s[14:15] scale_offset
	global_load_b64 v[4:5], v0, s[14:15] offset:2048 scale_offset
	global_load_b64 v[6:7], v0, s[16:17] scale_offset
	s_wait_xcnt 0x1
	s_add_nc_u64 s[14:15], s[10:11], s[12:13]
	s_clause 0x2
	global_load_b64 v[8:9], v0, s[16:17] offset:2048 scale_offset
	global_load_b64 v[10:11], v0, s[14:15] scale_offset
	global_load_b64 v[12:13], v0, s[14:15] offset:2048 scale_offset
	s_add_nc_u64 s[12:13], s[4:5], s[12:13]
	s_wait_loadcnt 0x4
	v_dual_lshrrev_b32 v15, 16, v4 :: v_dual_lshrrev_b32 v16, 16, v5
	v_dual_lshrrev_b32 v1, 16, v2 :: v_dual_lshrrev_b32 v14, 16, v3
	s_wait_loadcnt 0x3
	v_dual_lshrrev_b32 v17, 16, v6 :: v_dual_lshrrev_b32 v18, 16, v7
	s_wait_loadcnt 0x2
	;; [unrolled: 2-line block ×3, first 2 shown]
	v_dual_lshrrev_b32 v21, 16, v10 :: v_dual_lshrrev_b32 v22, 16, v11
	v_max_i16 v2, v2, v6
	v_max_i16 v1, v1, v17
	s_wait_loadcnt 0x0
	v_dual_lshrrev_b32 v23, 16, v12 :: v_dual_lshrrev_b32 v6, 16, v13
	v_max_i16 v4, v4, v8
	v_max_i16 v8, v15, v19
	;; [unrolled: 1-line block ×3, first 2 shown]
	v_min_i16 v2, v2, v10
	v_max_i16 v7, v14, v18
	v_min_i16 v1, v1, v21
	v_max_i16 v5, v5, v9
	;; [unrolled: 2-line block ×3, first 2 shown]
	v_min_i16 v8, v8, v23
	v_min_i16 v3, v3, v11
	v_and_b32_e32 v2, 0xffff, v2
	v_min_i16 v7, v7, v22
	s_delay_alu instid0(VALU_DEP_4)
	v_dual_lshlrev_b32 v1, 16, v1 :: v_dual_lshlrev_b32 v8, 16, v8
	v_min_i16 v5, v5, v13
	v_and_b32_e32 v4, 0xffff, v4
	v_min_i16 v6, v9, v6
	v_and_b32_e32 v3, 0xffff, v3
	v_dual_lshlrev_b32 v7, 16, v7 :: v_dual_bitop2_b32 v1, v1, v2 bitop3:0x54
	v_and_b32_e32 v5, 0xffff, v5
	s_delay_alu instid0(VALU_DEP_4) | instskip(NEXT) | instid1(VALU_DEP_3)
	v_dual_lshlrev_b32 v6, 16, v6 :: v_dual_bitop2_b32 v4, v8, v4 bitop3:0x54
	v_or3_b32 v3, 0, v3, v7
	s_delay_alu instid0(VALU_DEP_4) | instskip(NEXT) | instid1(VALU_DEP_3)
	v_or3_b32 v2, v1, 0, 0
	v_or3_b32 v5, 0, v5, v6
	s_delay_alu instid0(VALU_DEP_4)
	v_or3_b32 v4, v4, 0, 0
	s_clause 0x1
	global_store_b64 v0, v[2:3], s[12:13] scale_offset
	global_store_b64 v0, v[4:5], s[12:13] offset:2048 scale_offset
.LBB130_2:
	s_and_not1_b32 vcc_lo, exec_lo, s0
	s_cbranch_vccnz .LBB130_26
; %bb.3:
	v_cmp_gt_i32_e32 vcc_lo, s1, v0
	s_wait_xcnt 0x1
	v_dual_mov_b32 v1, 0 :: v_dual_bitop2_b32 v2, s2, v0 bitop3:0x54
	v_or_b32_e32 v3, 0x100, v0
	s_wait_xcnt 0x0
	v_dual_mov_b32 v4, 0 :: v_dual_mov_b32 v6, v0
	s_and_saveexec_b32 s0, vcc_lo
	s_cbranch_execz .LBB130_5
; %bb.4:
	s_clause 0x2
	global_load_u16 v4, v2, s[6:7] scale_offset
	global_load_u16 v5, v2, s[8:9] scale_offset
	;; [unrolled: 1-line block ×3, first 2 shown]
	v_or_b32_e32 v6, 0x100, v0
	s_wait_loadcnt 0x1
	v_max_i16 v4, v4, v5
	s_wait_loadcnt 0x0
	s_delay_alu instid0(VALU_DEP_1)
	v_min_i16 v4, v4, v7
.LBB130_5:
	s_wait_xcnt 0x0
	s_or_b32 exec_lo, exec_lo, s0
	s_delay_alu instid0(SALU_CYCLE_1)
	s_mov_b32 s3, exec_lo
	v_cmpx_gt_i32_e64 s1, v6
	s_cbranch_execz .LBB130_7
; %bb.6:
	v_add_nc_u32_e32 v1, s2, v6
	v_add_nc_u32_e32 v6, 0x100, v6
	s_clause 0x2
	global_load_u16 v5, v1, s[6:7] scale_offset
	global_load_u16 v7, v1, s[8:9] scale_offset
	;; [unrolled: 1-line block ×3, first 2 shown]
	s_wait_loadcnt 0x1
	s_wait_xcnt 0x0
	v_max_i16 v1, v5, v7
	s_wait_loadcnt 0x0
	s_delay_alu instid0(VALU_DEP_1)
	v_min_i16 v1, v1, v8
.LBB130_7:
	s_or_b32 exec_lo, exec_lo, s3
	v_dual_mov_b32 v5, 0 :: v_dual_mov_b32 v7, 0
	s_mov_b32 s3, exec_lo
	v_cmpx_gt_i32_e64 s1, v6
	s_cbranch_execz .LBB130_9
; %bb.8:
	v_add_nc_u32_e32 v7, s2, v6
	v_add_nc_u32_e32 v6, 0x100, v6
	s_clause 0x2
	global_load_u16 v8, v7, s[6:7] scale_offset
	global_load_u16 v9, v7, s[8:9] scale_offset
	;; [unrolled: 1-line block ×3, first 2 shown]
	s_wait_loadcnt 0x1
	s_wait_xcnt 0x0
	v_max_i16 v7, v8, v9
	s_wait_loadcnt 0x0
	s_delay_alu instid0(VALU_DEP_1)
	v_min_i16 v7, v7, v10
.LBB130_9:
	s_or_b32 exec_lo, exec_lo, s3
	s_delay_alu instid0(SALU_CYCLE_1)
	s_mov_b32 s3, exec_lo
	v_cmpx_gt_i32_e64 s1, v6
	s_cbranch_execz .LBB130_11
; %bb.10:
	v_add_nc_u32_e32 v5, s2, v6
	v_add_nc_u32_e32 v6, 0x100, v6
	s_clause 0x2
	global_load_u16 v8, v5, s[6:7] scale_offset
	global_load_u16 v9, v5, s[8:9] scale_offset
	;; [unrolled: 1-line block ×3, first 2 shown]
	s_wait_loadcnt 0x1
	s_wait_xcnt 0x0
	v_max_i16 v5, v8, v9
	s_wait_loadcnt 0x0
	s_delay_alu instid0(VALU_DEP_1)
	v_min_i16 v5, v5, v10
.LBB130_11:
	s_or_b32 exec_lo, exec_lo, s3
	v_dual_mov_b32 v8, 0 :: v_dual_mov_b32 v9, 0
	s_mov_b32 s3, exec_lo
	v_cmpx_gt_i32_e64 s1, v6
	s_cbranch_execz .LBB130_13
; %bb.12:
	v_add_nc_u32_e32 v9, s2, v6
	v_add_nc_u32_e32 v6, 0x100, v6
	s_clause 0x2
	global_load_u16 v10, v9, s[6:7] scale_offset
	global_load_u16 v11, v9, s[8:9] scale_offset
	;; [unrolled: 1-line block ×3, first 2 shown]
	s_wait_loadcnt 0x1
	s_wait_xcnt 0x0
	v_max_i16 v9, v10, v11
	s_wait_loadcnt 0x0
	s_delay_alu instid0(VALU_DEP_1)
	v_min_i16 v9, v9, v12
.LBB130_13:
	s_or_b32 exec_lo, exec_lo, s3
	s_delay_alu instid0(SALU_CYCLE_1)
	s_mov_b32 s3, exec_lo
	v_cmpx_gt_i32_e64 s1, v6
	s_cbranch_execz .LBB130_15
; %bb.14:
	v_add_nc_u32_e32 v8, s2, v6
	v_add_nc_u32_e32 v6, 0x100, v6
	s_clause 0x2
	global_load_u16 v10, v8, s[6:7] scale_offset
	global_load_u16 v11, v8, s[8:9] scale_offset
	;; [unrolled: 1-line block ×3, first 2 shown]
	s_wait_loadcnt 0x1
	s_wait_xcnt 0x0
	v_max_i16 v8, v10, v11
	s_wait_loadcnt 0x0
	s_delay_alu instid0(VALU_DEP_1)
	v_min_i16 v8, v8, v12
.LBB130_15:
	s_or_b32 exec_lo, exec_lo, s3
	v_dual_mov_b32 v10, 0 :: v_dual_mov_b32 v11, 0
	s_mov_b32 s3, exec_lo
	v_cmpx_gt_i32_e64 s1, v6
	s_cbranch_execnz .LBB130_27
; %bb.16:
	s_or_b32 exec_lo, exec_lo, s3
	s_delay_alu instid0(SALU_CYCLE_1)
	s_mov_b32 s3, exec_lo
	v_cmpx_gt_i32_e64 s1, v6
	s_cbranch_execnz .LBB130_28
.LBB130_17:
	s_or_b32 exec_lo, exec_lo, s3
	s_and_saveexec_b32 s0, vcc_lo
	s_cbranch_execnz .LBB130_29
.LBB130_18:
	s_or_b32 exec_lo, exec_lo, s0
	s_delay_alu instid0(SALU_CYCLE_1)
	s_mov_b32 s0, exec_lo
	v_cmpx_gt_i32_e64 s1, v0
	s_cbranch_execnz .LBB130_30
.LBB130_19:
	s_or_b32 exec_lo, exec_lo, s0
	s_delay_alu instid0(SALU_CYCLE_1)
	s_mov_b32 s0, exec_lo
	v_cmpx_gt_i32_e64 s1, v0
	s_cbranch_execnz .LBB130_31
.LBB130_20:
	s_or_b32 exec_lo, exec_lo, s0
	s_delay_alu instid0(SALU_CYCLE_1)
	s_mov_b32 s0, exec_lo
	v_cmpx_gt_i32_e64 s1, v0
	s_cbranch_execnz .LBB130_32
.LBB130_21:
	s_or_b32 exec_lo, exec_lo, s0
	s_delay_alu instid0(SALU_CYCLE_1)
	s_mov_b32 s0, exec_lo
	v_cmpx_gt_i32_e64 s1, v0
	s_cbranch_execnz .LBB130_33
.LBB130_22:
	s_or_b32 exec_lo, exec_lo, s0
	s_delay_alu instid0(SALU_CYCLE_1)
	s_mov_b32 s0, exec_lo
	v_cmpx_gt_i32_e64 s1, v0
	s_cbranch_execnz .LBB130_34
.LBB130_23:
	s_or_b32 exec_lo, exec_lo, s0
	s_delay_alu instid0(SALU_CYCLE_1)
	s_mov_b32 s0, exec_lo
	v_cmpx_gt_i32_e64 s1, v0
	s_cbranch_execnz .LBB130_35
.LBB130_24:
	s_or_b32 exec_lo, exec_lo, s0
	s_delay_alu instid0(SALU_CYCLE_1)
	s_mov_b32 s0, exec_lo
	v_cmpx_gt_i32_e64 s1, v0
	s_cbranch_execz .LBB130_26
.LBB130_25:
	v_add_nc_u32_e32 v0, s2, v0
	global_store_b16 v0, v10, s[4:5] scale_offset
.LBB130_26:
	s_endpgm
.LBB130_27:
	v_add_nc_u32_e32 v11, s2, v6
	v_add_nc_u32_e32 v6, 0x100, v6
	s_clause 0x2
	global_load_u16 v12, v11, s[6:7] scale_offset
	global_load_u16 v13, v11, s[8:9] scale_offset
	;; [unrolled: 1-line block ×3, first 2 shown]
	s_wait_loadcnt 0x1
	s_wait_xcnt 0x0
	v_max_i16 v11, v12, v13
	s_wait_loadcnt 0x0
	s_delay_alu instid0(VALU_DEP_1) | instskip(SKIP_1) | instid1(SALU_CYCLE_1)
	v_min_i16 v11, v11, v14
	s_or_b32 exec_lo, exec_lo, s3
	s_mov_b32 s3, exec_lo
	v_cmpx_gt_i32_e64 s1, v6
	s_cbranch_execz .LBB130_17
.LBB130_28:
	v_add_nc_u32_e32 v6, s2, v6
	s_clause 0x2
	global_load_u16 v10, v6, s[6:7] scale_offset
	global_load_u16 v12, v6, s[8:9] scale_offset
	;; [unrolled: 1-line block ×3, first 2 shown]
	s_wait_loadcnt 0x1
	s_wait_xcnt 0x0
	v_max_i16 v6, v10, v12
	s_wait_loadcnt 0x0
	s_delay_alu instid0(VALU_DEP_1)
	v_min_i16 v10, v6, v13
	s_or_b32 exec_lo, exec_lo, s3
	s_and_saveexec_b32 s0, vcc_lo
	s_cbranch_execz .LBB130_18
.LBB130_29:
	v_mov_b32_e32 v0, v3
	global_store_b16 v2, v4, s[4:5] scale_offset
	s_wait_xcnt 0x0
	s_or_b32 exec_lo, exec_lo, s0
	s_delay_alu instid0(SALU_CYCLE_1)
	s_mov_b32 s0, exec_lo
	v_cmpx_gt_i32_e64 s1, v0
	s_cbranch_execz .LBB130_19
.LBB130_30:
	v_add_nc_u32_e32 v2, s2, v0
	v_add_nc_u32_e32 v0, 0x100, v0
	global_store_b16 v2, v1, s[4:5] scale_offset
	s_wait_xcnt 0x0
	s_or_b32 exec_lo, exec_lo, s0
	s_delay_alu instid0(SALU_CYCLE_1)
	s_mov_b32 s0, exec_lo
	v_cmpx_gt_i32_e64 s1, v0
	s_cbranch_execz .LBB130_20
.LBB130_31:
	v_add_nc_u32_e32 v1, s2, v0
	v_add_nc_u32_e32 v0, 0x100, v0
	global_store_b16 v1, v7, s[4:5] scale_offset
	s_wait_xcnt 0x0
	s_or_b32 exec_lo, exec_lo, s0
	s_delay_alu instid0(SALU_CYCLE_1)
	s_mov_b32 s0, exec_lo
	v_cmpx_gt_i32_e64 s1, v0
	s_cbranch_execz .LBB130_21
.LBB130_32:
	v_add_nc_u32_e32 v1, s2, v0
	v_add_nc_u32_e32 v0, 0x100, v0
	global_store_b16 v1, v5, s[4:5] scale_offset
	s_wait_xcnt 0x0
	s_or_b32 exec_lo, exec_lo, s0
	s_delay_alu instid0(SALU_CYCLE_1)
	s_mov_b32 s0, exec_lo
	v_cmpx_gt_i32_e64 s1, v0
	s_cbranch_execz .LBB130_22
.LBB130_33:
	v_add_nc_u32_e32 v1, s2, v0
	v_add_nc_u32_e32 v0, 0x100, v0
	global_store_b16 v1, v9, s[4:5] scale_offset
	s_wait_xcnt 0x0
	s_or_b32 exec_lo, exec_lo, s0
	s_delay_alu instid0(SALU_CYCLE_1)
	s_mov_b32 s0, exec_lo
	v_cmpx_gt_i32_e64 s1, v0
	s_cbranch_execz .LBB130_23
.LBB130_34:
	v_add_nc_u32_e32 v1, s2, v0
	v_add_nc_u32_e32 v0, 0x100, v0
	global_store_b16 v1, v8, s[4:5] scale_offset
	s_wait_xcnt 0x0
	s_or_b32 exec_lo, exec_lo, s0
	s_delay_alu instid0(SALU_CYCLE_1)
	s_mov_b32 s0, exec_lo
	v_cmpx_gt_i32_e64 s1, v0
	s_cbranch_execz .LBB130_24
.LBB130_35:
	v_add_nc_u32_e32 v1, s2, v0
	v_add_nc_u32_e32 v0, 0x100, v0
	global_store_b16 v1, v11, s[4:5] scale_offset
	s_wait_xcnt 0x0
	s_or_b32 exec_lo, exec_lo, s0
	s_delay_alu instid0(SALU_CYCLE_1)
	s_mov_b32 s0, exec_lo
	v_cmpx_gt_i32_e64 s1, v0
	s_cbranch_execnz .LBB130_25
	s_branch .LBB130_26
	.section	.rodata,"a",@progbits
	.p2align	6, 0x0
	.amdhsa_kernel _ZN2at6native29vectorized_elementwise_kernelILi4EZZZNS0_12_GLOBAL__N_117clamp_kernel_implERNS_18TensorIteratorBaseEENKUlvE_clEvENKUlvE3_clEvEUlsssE_St5arrayIPcLm4EEEEviT0_T1_
		.amdhsa_group_segment_fixed_size 0
		.amdhsa_private_segment_fixed_size 0
		.amdhsa_kernarg_size 40
		.amdhsa_user_sgpr_count 2
		.amdhsa_user_sgpr_dispatch_ptr 0
		.amdhsa_user_sgpr_queue_ptr 0
		.amdhsa_user_sgpr_kernarg_segment_ptr 1
		.amdhsa_user_sgpr_dispatch_id 0
		.amdhsa_user_sgpr_kernarg_preload_length 0
		.amdhsa_user_sgpr_kernarg_preload_offset 0
		.amdhsa_user_sgpr_private_segment_size 0
		.amdhsa_wavefront_size32 1
		.amdhsa_uses_dynamic_stack 0
		.amdhsa_enable_private_segment 0
		.amdhsa_system_sgpr_workgroup_id_x 1
		.amdhsa_system_sgpr_workgroup_id_y 0
		.amdhsa_system_sgpr_workgroup_id_z 0
		.amdhsa_system_sgpr_workgroup_info 0
		.amdhsa_system_vgpr_workitem_id 0
		.amdhsa_next_free_vgpr 24
		.amdhsa_next_free_sgpr 18
		.amdhsa_named_barrier_count 0
		.amdhsa_reserve_vcc 1
		.amdhsa_float_round_mode_32 0
		.amdhsa_float_round_mode_16_64 0
		.amdhsa_float_denorm_mode_32 3
		.amdhsa_float_denorm_mode_16_64 3
		.amdhsa_fp16_overflow 0
		.amdhsa_memory_ordered 1
		.amdhsa_forward_progress 1
		.amdhsa_inst_pref_size 17
		.amdhsa_round_robin_scheduling 0
		.amdhsa_exception_fp_ieee_invalid_op 0
		.amdhsa_exception_fp_denorm_src 0
		.amdhsa_exception_fp_ieee_div_zero 0
		.amdhsa_exception_fp_ieee_overflow 0
		.amdhsa_exception_fp_ieee_underflow 0
		.amdhsa_exception_fp_ieee_inexact 0
		.amdhsa_exception_int_div_zero 0
	.end_amdhsa_kernel
	.section	.text._ZN2at6native29vectorized_elementwise_kernelILi4EZZZNS0_12_GLOBAL__N_117clamp_kernel_implERNS_18TensorIteratorBaseEENKUlvE_clEvENKUlvE3_clEvEUlsssE_St5arrayIPcLm4EEEEviT0_T1_,"axG",@progbits,_ZN2at6native29vectorized_elementwise_kernelILi4EZZZNS0_12_GLOBAL__N_117clamp_kernel_implERNS_18TensorIteratorBaseEENKUlvE_clEvENKUlvE3_clEvEUlsssE_St5arrayIPcLm4EEEEviT0_T1_,comdat
.Lfunc_end130:
	.size	_ZN2at6native29vectorized_elementwise_kernelILi4EZZZNS0_12_GLOBAL__N_117clamp_kernel_implERNS_18TensorIteratorBaseEENKUlvE_clEvENKUlvE3_clEvEUlsssE_St5arrayIPcLm4EEEEviT0_T1_, .Lfunc_end130-_ZN2at6native29vectorized_elementwise_kernelILi4EZZZNS0_12_GLOBAL__N_117clamp_kernel_implERNS_18TensorIteratorBaseEENKUlvE_clEvENKUlvE3_clEvEUlsssE_St5arrayIPcLm4EEEEviT0_T1_
                                        ; -- End function
	.set _ZN2at6native29vectorized_elementwise_kernelILi4EZZZNS0_12_GLOBAL__N_117clamp_kernel_implERNS_18TensorIteratorBaseEENKUlvE_clEvENKUlvE3_clEvEUlsssE_St5arrayIPcLm4EEEEviT0_T1_.num_vgpr, 24
	.set _ZN2at6native29vectorized_elementwise_kernelILi4EZZZNS0_12_GLOBAL__N_117clamp_kernel_implERNS_18TensorIteratorBaseEENKUlvE_clEvENKUlvE3_clEvEUlsssE_St5arrayIPcLm4EEEEviT0_T1_.num_agpr, 0
	.set _ZN2at6native29vectorized_elementwise_kernelILi4EZZZNS0_12_GLOBAL__N_117clamp_kernel_implERNS_18TensorIteratorBaseEENKUlvE_clEvENKUlvE3_clEvEUlsssE_St5arrayIPcLm4EEEEviT0_T1_.numbered_sgpr, 18
	.set _ZN2at6native29vectorized_elementwise_kernelILi4EZZZNS0_12_GLOBAL__N_117clamp_kernel_implERNS_18TensorIteratorBaseEENKUlvE_clEvENKUlvE3_clEvEUlsssE_St5arrayIPcLm4EEEEviT0_T1_.num_named_barrier, 0
	.set _ZN2at6native29vectorized_elementwise_kernelILi4EZZZNS0_12_GLOBAL__N_117clamp_kernel_implERNS_18TensorIteratorBaseEENKUlvE_clEvENKUlvE3_clEvEUlsssE_St5arrayIPcLm4EEEEviT0_T1_.private_seg_size, 0
	.set _ZN2at6native29vectorized_elementwise_kernelILi4EZZZNS0_12_GLOBAL__N_117clamp_kernel_implERNS_18TensorIteratorBaseEENKUlvE_clEvENKUlvE3_clEvEUlsssE_St5arrayIPcLm4EEEEviT0_T1_.uses_vcc, 1
	.set _ZN2at6native29vectorized_elementwise_kernelILi4EZZZNS0_12_GLOBAL__N_117clamp_kernel_implERNS_18TensorIteratorBaseEENKUlvE_clEvENKUlvE3_clEvEUlsssE_St5arrayIPcLm4EEEEviT0_T1_.uses_flat_scratch, 0
	.set _ZN2at6native29vectorized_elementwise_kernelILi4EZZZNS0_12_GLOBAL__N_117clamp_kernel_implERNS_18TensorIteratorBaseEENKUlvE_clEvENKUlvE3_clEvEUlsssE_St5arrayIPcLm4EEEEviT0_T1_.has_dyn_sized_stack, 0
	.set _ZN2at6native29vectorized_elementwise_kernelILi4EZZZNS0_12_GLOBAL__N_117clamp_kernel_implERNS_18TensorIteratorBaseEENKUlvE_clEvENKUlvE3_clEvEUlsssE_St5arrayIPcLm4EEEEviT0_T1_.has_recursion, 0
	.set _ZN2at6native29vectorized_elementwise_kernelILi4EZZZNS0_12_GLOBAL__N_117clamp_kernel_implERNS_18TensorIteratorBaseEENKUlvE_clEvENKUlvE3_clEvEUlsssE_St5arrayIPcLm4EEEEviT0_T1_.has_indirect_call, 0
	.section	.AMDGPU.csdata,"",@progbits
; Kernel info:
; codeLenInByte = 2072
; TotalNumSgprs: 20
; NumVgprs: 24
; ScratchSize: 0
; MemoryBound: 0
; FloatMode: 240
; IeeeMode: 1
; LDSByteSize: 0 bytes/workgroup (compile time only)
; SGPRBlocks: 0
; VGPRBlocks: 1
; NumSGPRsForWavesPerEU: 20
; NumVGPRsForWavesPerEU: 24
; NamedBarCnt: 0
; Occupancy: 16
; WaveLimiterHint : 1
; COMPUTE_PGM_RSRC2:SCRATCH_EN: 0
; COMPUTE_PGM_RSRC2:USER_SGPR: 2
; COMPUTE_PGM_RSRC2:TRAP_HANDLER: 0
; COMPUTE_PGM_RSRC2:TGID_X_EN: 1
; COMPUTE_PGM_RSRC2:TGID_Y_EN: 0
; COMPUTE_PGM_RSRC2:TGID_Z_EN: 0
; COMPUTE_PGM_RSRC2:TIDIG_COMP_CNT: 0
	.section	.text._ZN2at6native29vectorized_elementwise_kernelILi2EZZZNS0_12_GLOBAL__N_117clamp_kernel_implERNS_18TensorIteratorBaseEENKUlvE_clEvENKUlvE3_clEvEUlsssE_St5arrayIPcLm4EEEEviT0_T1_,"axG",@progbits,_ZN2at6native29vectorized_elementwise_kernelILi2EZZZNS0_12_GLOBAL__N_117clamp_kernel_implERNS_18TensorIteratorBaseEENKUlvE_clEvENKUlvE3_clEvEUlsssE_St5arrayIPcLm4EEEEviT0_T1_,comdat
	.globl	_ZN2at6native29vectorized_elementwise_kernelILi2EZZZNS0_12_GLOBAL__N_117clamp_kernel_implERNS_18TensorIteratorBaseEENKUlvE_clEvENKUlvE3_clEvEUlsssE_St5arrayIPcLm4EEEEviT0_T1_ ; -- Begin function _ZN2at6native29vectorized_elementwise_kernelILi2EZZZNS0_12_GLOBAL__N_117clamp_kernel_implERNS_18TensorIteratorBaseEENKUlvE_clEvENKUlvE3_clEvEUlsssE_St5arrayIPcLm4EEEEviT0_T1_
	.p2align	8
	.type	_ZN2at6native29vectorized_elementwise_kernelILi2EZZZNS0_12_GLOBAL__N_117clamp_kernel_implERNS_18TensorIteratorBaseEENKUlvE_clEvENKUlvE3_clEvEUlsssE_St5arrayIPcLm4EEEEviT0_T1_,@function
_ZN2at6native29vectorized_elementwise_kernelILi2EZZZNS0_12_GLOBAL__N_117clamp_kernel_implERNS_18TensorIteratorBaseEENKUlvE_clEvENKUlvE3_clEvEUlsssE_St5arrayIPcLm4EEEEviT0_T1_: ; @_ZN2at6native29vectorized_elementwise_kernelILi2EZZZNS0_12_GLOBAL__N_117clamp_kernel_implERNS_18TensorIteratorBaseEENKUlvE_clEvENKUlvE3_clEvEUlsssE_St5arrayIPcLm4EEEEviT0_T1_
; %bb.0:
	s_clause 0x1
	s_load_b32 s3, s[0:1], 0x0
	s_load_b256 s[4:11], s[0:1], 0x8
	s_wait_xcnt 0x0
	s_bfe_u32 s0, ttmp6, 0x4000c
	s_and_b32 s1, ttmp6, 15
	s_add_co_i32 s0, s0, 1
	s_getreg_b32 s2, hwreg(HW_REG_IB_STS2, 6, 4)
	s_mul_i32 s0, ttmp9, s0
	s_delay_alu instid0(SALU_CYCLE_1) | instskip(SKIP_2) | instid1(SALU_CYCLE_1)
	s_add_co_i32 s1, s1, s0
	s_cmp_eq_u32 s2, 0
	s_cselect_b32 s0, ttmp9, s1
	s_lshl_b32 s2, s0, 11
	s_mov_b32 s0, -1
	s_wait_kmcnt 0x0
	s_sub_co_i32 s1, s3, s2
	s_delay_alu instid0(SALU_CYCLE_1)
	s_cmp_gt_i32 s1, 0x7ff
	s_cbranch_scc0 .LBB131_2
; %bb.1:
	s_ashr_i32 s3, s2, 31
	s_mov_b32 s0, 0
	s_lshl_b64 s[12:13], s[2:3], 1
	s_delay_alu instid0(SALU_CYCLE_1)
	s_add_nc_u64 s[14:15], s[6:7], s[12:13]
	s_add_nc_u64 s[16:17], s[8:9], s[12:13]
	s_add_nc_u64 s[18:19], s[10:11], s[12:13]
	s_clause 0xb
	global_load_b32 v1, v0, s[14:15] scale_offset
	global_load_b32 v2, v0, s[14:15] offset:1024 scale_offset
	global_load_b32 v3, v0, s[14:15] offset:2048 scale_offset
	global_load_b32 v4, v0, s[14:15] offset:3072 scale_offset
	global_load_b32 v5, v0, s[16:17] scale_offset
	global_load_b32 v6, v0, s[16:17] offset:1024 scale_offset
	global_load_b32 v7, v0, s[16:17] offset:2048 scale_offset
	global_load_b32 v8, v0, s[16:17] offset:3072 scale_offset
	;; [unrolled: 4-line block ×3, first 2 shown]
	s_add_nc_u64 s[12:13], s[4:5], s[12:13]
	s_wait_loadcnt 0xa
	v_dual_lshrrev_b32 v13, 16, v1 :: v_dual_lshrrev_b32 v14, 16, v2
	s_wait_loadcnt 0x8
	v_dual_lshrrev_b32 v15, 16, v3 :: v_dual_lshrrev_b32 v16, 16, v4
	;; [unrolled: 2-line block ×4, first 2 shown]
	v_max_i16 v1, v1, v5
	s_wait_loadcnt 0x2
	v_dual_lshrrev_b32 v21, 16, v9 :: v_dual_lshrrev_b32 v22, 16, v10
	v_max_i16 v2, v2, v6
	v_max_i16 v6, v13, v17
	;; [unrolled: 1-line block ×4, first 2 shown]
	s_wait_loadcnt 0x0
	v_dual_lshrrev_b32 v23, 16, v11 :: v_dual_lshrrev_b32 v5, 16, v12
	v_max_i16 v4, v4, v8
	v_max_i16 v8, v15, v19
	v_min_i16 v1, v1, v9
	v_max_i16 v9, v16, v20
	v_min_i16 v6, v6, v21
	v_min_i16 v2, v2, v10
	v_min_i16 v7, v7, v22
	v_min_i16 v3, v3, v11
	v_min_i16 v8, v8, v23
	v_min_i16 v4, v4, v12
	v_min_i16 v5, v9, v5
	v_and_b32_e32 v1, 0xffff, v1
	v_dual_lshlrev_b32 v6, 16, v6 :: v_dual_lshlrev_b32 v7, 16, v7
	v_and_b32_e32 v2, 0xffff, v2
	v_and_b32_e32 v3, 0xffff, v3
	v_dual_lshlrev_b32 v8, 16, v8 :: v_dual_lshlrev_b32 v5, 16, v5
	v_and_b32_e32 v4, 0xffff, v4
	v_or_b32_e32 v1, v6, v1
	v_or_b32_e32 v2, v7, v2
	s_delay_alu instid0(VALU_DEP_4) | instskip(NEXT) | instid1(VALU_DEP_4)
	v_or_b32_e32 v3, v8, v3
	v_or_b32_e32 v4, v5, v4
	s_clause 0x3
	global_store_b32 v0, v1, s[12:13] scale_offset
	global_store_b32 v0, v2, s[12:13] offset:1024 scale_offset
	global_store_b32 v0, v3, s[12:13] offset:2048 scale_offset
	global_store_b32 v0, v4, s[12:13] offset:3072 scale_offset
.LBB131_2:
	s_and_not1_b32 vcc_lo, exec_lo, s0
	s_cbranch_vccnz .LBB131_26
; %bb.3:
	v_cmp_gt_i32_e32 vcc_lo, s1, v0
	s_wait_xcnt 0x2
	v_dual_mov_b32 v1, 0 :: v_dual_bitop2_b32 v2, s2, v0 bitop3:0x54
	s_wait_xcnt 0x1
	v_or_b32_e32 v3, 0x100, v0
	s_wait_xcnt 0x0
	v_dual_mov_b32 v4, 0 :: v_dual_mov_b32 v6, v0
	s_and_saveexec_b32 s0, vcc_lo
	s_cbranch_execz .LBB131_5
; %bb.4:
	s_clause 0x2
	global_load_u16 v4, v2, s[6:7] scale_offset
	global_load_u16 v5, v2, s[8:9] scale_offset
	global_load_u16 v7, v2, s[10:11] scale_offset
	v_or_b32_e32 v6, 0x100, v0
	s_wait_loadcnt 0x1
	v_max_i16 v4, v4, v5
	s_wait_loadcnt 0x0
	s_delay_alu instid0(VALU_DEP_1)
	v_min_i16 v4, v4, v7
.LBB131_5:
	s_wait_xcnt 0x0
	s_or_b32 exec_lo, exec_lo, s0
	s_delay_alu instid0(SALU_CYCLE_1)
	s_mov_b32 s3, exec_lo
	v_cmpx_gt_i32_e64 s1, v6
	s_cbranch_execz .LBB131_7
; %bb.6:
	v_add_nc_u32_e32 v1, s2, v6
	v_add_nc_u32_e32 v6, 0x100, v6
	s_clause 0x2
	global_load_u16 v5, v1, s[6:7] scale_offset
	global_load_u16 v7, v1, s[8:9] scale_offset
	;; [unrolled: 1-line block ×3, first 2 shown]
	s_wait_loadcnt 0x1
	s_wait_xcnt 0x0
	v_max_i16 v1, v5, v7
	s_wait_loadcnt 0x0
	s_delay_alu instid0(VALU_DEP_1)
	v_min_i16 v1, v1, v8
.LBB131_7:
	s_or_b32 exec_lo, exec_lo, s3
	v_dual_mov_b32 v5, 0 :: v_dual_mov_b32 v7, 0
	s_mov_b32 s3, exec_lo
	v_cmpx_gt_i32_e64 s1, v6
	s_cbranch_execz .LBB131_9
; %bb.8:
	v_add_nc_u32_e32 v7, s2, v6
	v_add_nc_u32_e32 v6, 0x100, v6
	s_clause 0x2
	global_load_u16 v8, v7, s[6:7] scale_offset
	global_load_u16 v9, v7, s[8:9] scale_offset
	;; [unrolled: 1-line block ×3, first 2 shown]
	s_wait_loadcnt 0x1
	s_wait_xcnt 0x0
	v_max_i16 v7, v8, v9
	s_wait_loadcnt 0x0
	s_delay_alu instid0(VALU_DEP_1)
	v_min_i16 v7, v7, v10
.LBB131_9:
	s_or_b32 exec_lo, exec_lo, s3
	s_delay_alu instid0(SALU_CYCLE_1)
	s_mov_b32 s3, exec_lo
	v_cmpx_gt_i32_e64 s1, v6
	s_cbranch_execz .LBB131_11
; %bb.10:
	v_add_nc_u32_e32 v5, s2, v6
	v_add_nc_u32_e32 v6, 0x100, v6
	s_clause 0x2
	global_load_u16 v8, v5, s[6:7] scale_offset
	global_load_u16 v9, v5, s[8:9] scale_offset
	;; [unrolled: 1-line block ×3, first 2 shown]
	s_wait_loadcnt 0x1
	s_wait_xcnt 0x0
	v_max_i16 v5, v8, v9
	s_wait_loadcnt 0x0
	s_delay_alu instid0(VALU_DEP_1)
	v_min_i16 v5, v5, v10
.LBB131_11:
	s_or_b32 exec_lo, exec_lo, s3
	v_dual_mov_b32 v8, 0 :: v_dual_mov_b32 v9, 0
	s_mov_b32 s3, exec_lo
	v_cmpx_gt_i32_e64 s1, v6
	s_cbranch_execz .LBB131_13
; %bb.12:
	v_add_nc_u32_e32 v9, s2, v6
	v_add_nc_u32_e32 v6, 0x100, v6
	s_clause 0x2
	global_load_u16 v10, v9, s[6:7] scale_offset
	global_load_u16 v11, v9, s[8:9] scale_offset
	;; [unrolled: 1-line block ×3, first 2 shown]
	s_wait_loadcnt 0x1
	s_wait_xcnt 0x0
	v_max_i16 v9, v10, v11
	s_wait_loadcnt 0x0
	s_delay_alu instid0(VALU_DEP_1)
	v_min_i16 v9, v9, v12
.LBB131_13:
	s_or_b32 exec_lo, exec_lo, s3
	s_delay_alu instid0(SALU_CYCLE_1)
	s_mov_b32 s3, exec_lo
	v_cmpx_gt_i32_e64 s1, v6
	s_cbranch_execz .LBB131_15
; %bb.14:
	v_add_nc_u32_e32 v8, s2, v6
	v_add_nc_u32_e32 v6, 0x100, v6
	s_clause 0x2
	global_load_u16 v10, v8, s[6:7] scale_offset
	global_load_u16 v11, v8, s[8:9] scale_offset
	;; [unrolled: 1-line block ×3, first 2 shown]
	s_wait_loadcnt 0x1
	s_wait_xcnt 0x0
	v_max_i16 v8, v10, v11
	s_wait_loadcnt 0x0
	s_delay_alu instid0(VALU_DEP_1)
	v_min_i16 v8, v8, v12
.LBB131_15:
	s_or_b32 exec_lo, exec_lo, s3
	v_dual_mov_b32 v10, 0 :: v_dual_mov_b32 v11, 0
	s_mov_b32 s3, exec_lo
	v_cmpx_gt_i32_e64 s1, v6
	s_cbranch_execnz .LBB131_27
; %bb.16:
	s_or_b32 exec_lo, exec_lo, s3
	s_delay_alu instid0(SALU_CYCLE_1)
	s_mov_b32 s3, exec_lo
	v_cmpx_gt_i32_e64 s1, v6
	s_cbranch_execnz .LBB131_28
.LBB131_17:
	s_or_b32 exec_lo, exec_lo, s3
	s_and_saveexec_b32 s0, vcc_lo
	s_cbranch_execnz .LBB131_29
.LBB131_18:
	s_or_b32 exec_lo, exec_lo, s0
	s_delay_alu instid0(SALU_CYCLE_1)
	s_mov_b32 s0, exec_lo
	v_cmpx_gt_i32_e64 s1, v0
	s_cbranch_execnz .LBB131_30
.LBB131_19:
	s_or_b32 exec_lo, exec_lo, s0
	s_delay_alu instid0(SALU_CYCLE_1)
	s_mov_b32 s0, exec_lo
	v_cmpx_gt_i32_e64 s1, v0
	s_cbranch_execnz .LBB131_31
.LBB131_20:
	s_or_b32 exec_lo, exec_lo, s0
	s_delay_alu instid0(SALU_CYCLE_1)
	s_mov_b32 s0, exec_lo
	v_cmpx_gt_i32_e64 s1, v0
	s_cbranch_execnz .LBB131_32
.LBB131_21:
	s_or_b32 exec_lo, exec_lo, s0
	s_delay_alu instid0(SALU_CYCLE_1)
	s_mov_b32 s0, exec_lo
	v_cmpx_gt_i32_e64 s1, v0
	s_cbranch_execnz .LBB131_33
.LBB131_22:
	s_or_b32 exec_lo, exec_lo, s0
	s_delay_alu instid0(SALU_CYCLE_1)
	s_mov_b32 s0, exec_lo
	v_cmpx_gt_i32_e64 s1, v0
	s_cbranch_execnz .LBB131_34
.LBB131_23:
	s_or_b32 exec_lo, exec_lo, s0
	s_delay_alu instid0(SALU_CYCLE_1)
	s_mov_b32 s0, exec_lo
	v_cmpx_gt_i32_e64 s1, v0
	s_cbranch_execnz .LBB131_35
.LBB131_24:
	s_or_b32 exec_lo, exec_lo, s0
	s_delay_alu instid0(SALU_CYCLE_1)
	s_mov_b32 s0, exec_lo
	v_cmpx_gt_i32_e64 s1, v0
	s_cbranch_execz .LBB131_26
.LBB131_25:
	v_add_nc_u32_e32 v0, s2, v0
	global_store_b16 v0, v10, s[4:5] scale_offset
.LBB131_26:
	s_endpgm
.LBB131_27:
	v_add_nc_u32_e32 v11, s2, v6
	v_add_nc_u32_e32 v6, 0x100, v6
	s_clause 0x2
	global_load_u16 v12, v11, s[6:7] scale_offset
	global_load_u16 v13, v11, s[8:9] scale_offset
	;; [unrolled: 1-line block ×3, first 2 shown]
	s_wait_loadcnt 0x1
	s_wait_xcnt 0x0
	v_max_i16 v11, v12, v13
	s_wait_loadcnt 0x0
	s_delay_alu instid0(VALU_DEP_1) | instskip(SKIP_1) | instid1(SALU_CYCLE_1)
	v_min_i16 v11, v11, v14
	s_or_b32 exec_lo, exec_lo, s3
	s_mov_b32 s3, exec_lo
	v_cmpx_gt_i32_e64 s1, v6
	s_cbranch_execz .LBB131_17
.LBB131_28:
	v_add_nc_u32_e32 v6, s2, v6
	s_clause 0x2
	global_load_u16 v10, v6, s[6:7] scale_offset
	global_load_u16 v12, v6, s[8:9] scale_offset
	;; [unrolled: 1-line block ×3, first 2 shown]
	s_wait_loadcnt 0x1
	s_wait_xcnt 0x0
	v_max_i16 v6, v10, v12
	s_wait_loadcnt 0x0
	s_delay_alu instid0(VALU_DEP_1)
	v_min_i16 v10, v6, v13
	s_or_b32 exec_lo, exec_lo, s3
	s_and_saveexec_b32 s0, vcc_lo
	s_cbranch_execz .LBB131_18
.LBB131_29:
	v_mov_b32_e32 v0, v3
	global_store_b16 v2, v4, s[4:5] scale_offset
	s_wait_xcnt 0x0
	s_or_b32 exec_lo, exec_lo, s0
	s_delay_alu instid0(SALU_CYCLE_1)
	s_mov_b32 s0, exec_lo
	v_cmpx_gt_i32_e64 s1, v0
	s_cbranch_execz .LBB131_19
.LBB131_30:
	v_add_nc_u32_e32 v2, s2, v0
	v_add_nc_u32_e32 v0, 0x100, v0
	global_store_b16 v2, v1, s[4:5] scale_offset
	s_wait_xcnt 0x0
	s_or_b32 exec_lo, exec_lo, s0
	s_delay_alu instid0(SALU_CYCLE_1)
	s_mov_b32 s0, exec_lo
	v_cmpx_gt_i32_e64 s1, v0
	s_cbranch_execz .LBB131_20
.LBB131_31:
	v_add_nc_u32_e32 v1, s2, v0
	v_add_nc_u32_e32 v0, 0x100, v0
	global_store_b16 v1, v7, s[4:5] scale_offset
	s_wait_xcnt 0x0
	s_or_b32 exec_lo, exec_lo, s0
	s_delay_alu instid0(SALU_CYCLE_1)
	s_mov_b32 s0, exec_lo
	v_cmpx_gt_i32_e64 s1, v0
	s_cbranch_execz .LBB131_21
.LBB131_32:
	v_add_nc_u32_e32 v1, s2, v0
	v_add_nc_u32_e32 v0, 0x100, v0
	global_store_b16 v1, v5, s[4:5] scale_offset
	s_wait_xcnt 0x0
	s_or_b32 exec_lo, exec_lo, s0
	s_delay_alu instid0(SALU_CYCLE_1)
	s_mov_b32 s0, exec_lo
	v_cmpx_gt_i32_e64 s1, v0
	s_cbranch_execz .LBB131_22
.LBB131_33:
	v_add_nc_u32_e32 v1, s2, v0
	v_add_nc_u32_e32 v0, 0x100, v0
	global_store_b16 v1, v9, s[4:5] scale_offset
	s_wait_xcnt 0x0
	s_or_b32 exec_lo, exec_lo, s0
	s_delay_alu instid0(SALU_CYCLE_1)
	s_mov_b32 s0, exec_lo
	v_cmpx_gt_i32_e64 s1, v0
	s_cbranch_execz .LBB131_23
.LBB131_34:
	v_add_nc_u32_e32 v1, s2, v0
	v_add_nc_u32_e32 v0, 0x100, v0
	global_store_b16 v1, v8, s[4:5] scale_offset
	s_wait_xcnt 0x0
	s_or_b32 exec_lo, exec_lo, s0
	s_delay_alu instid0(SALU_CYCLE_1)
	s_mov_b32 s0, exec_lo
	v_cmpx_gt_i32_e64 s1, v0
	s_cbranch_execz .LBB131_24
.LBB131_35:
	v_add_nc_u32_e32 v1, s2, v0
	v_add_nc_u32_e32 v0, 0x100, v0
	global_store_b16 v1, v11, s[4:5] scale_offset
	s_wait_xcnt 0x0
	s_or_b32 exec_lo, exec_lo, s0
	s_delay_alu instid0(SALU_CYCLE_1)
	s_mov_b32 s0, exec_lo
	v_cmpx_gt_i32_e64 s1, v0
	s_cbranch_execnz .LBB131_25
	s_branch .LBB131_26
	.section	.rodata,"a",@progbits
	.p2align	6, 0x0
	.amdhsa_kernel _ZN2at6native29vectorized_elementwise_kernelILi2EZZZNS0_12_GLOBAL__N_117clamp_kernel_implERNS_18TensorIteratorBaseEENKUlvE_clEvENKUlvE3_clEvEUlsssE_St5arrayIPcLm4EEEEviT0_T1_
		.amdhsa_group_segment_fixed_size 0
		.amdhsa_private_segment_fixed_size 0
		.amdhsa_kernarg_size 40
		.amdhsa_user_sgpr_count 2
		.amdhsa_user_sgpr_dispatch_ptr 0
		.amdhsa_user_sgpr_queue_ptr 0
		.amdhsa_user_sgpr_kernarg_segment_ptr 1
		.amdhsa_user_sgpr_dispatch_id 0
		.amdhsa_user_sgpr_kernarg_preload_length 0
		.amdhsa_user_sgpr_kernarg_preload_offset 0
		.amdhsa_user_sgpr_private_segment_size 0
		.amdhsa_wavefront_size32 1
		.amdhsa_uses_dynamic_stack 0
		.amdhsa_enable_private_segment 0
		.amdhsa_system_sgpr_workgroup_id_x 1
		.amdhsa_system_sgpr_workgroup_id_y 0
		.amdhsa_system_sgpr_workgroup_id_z 0
		.amdhsa_system_sgpr_workgroup_info 0
		.amdhsa_system_vgpr_workitem_id 0
		.amdhsa_next_free_vgpr 24
		.amdhsa_next_free_sgpr 20
		.amdhsa_named_barrier_count 0
		.amdhsa_reserve_vcc 1
		.amdhsa_float_round_mode_32 0
		.amdhsa_float_round_mode_16_64 0
		.amdhsa_float_denorm_mode_32 3
		.amdhsa_float_denorm_mode_16_64 3
		.amdhsa_fp16_overflow 0
		.amdhsa_memory_ordered 1
		.amdhsa_forward_progress 1
		.amdhsa_inst_pref_size 17
		.amdhsa_round_robin_scheduling 0
		.amdhsa_exception_fp_ieee_invalid_op 0
		.amdhsa_exception_fp_denorm_src 0
		.amdhsa_exception_fp_ieee_div_zero 0
		.amdhsa_exception_fp_ieee_overflow 0
		.amdhsa_exception_fp_ieee_underflow 0
		.amdhsa_exception_fp_ieee_inexact 0
		.amdhsa_exception_int_div_zero 0
	.end_amdhsa_kernel
	.section	.text._ZN2at6native29vectorized_elementwise_kernelILi2EZZZNS0_12_GLOBAL__N_117clamp_kernel_implERNS_18TensorIteratorBaseEENKUlvE_clEvENKUlvE3_clEvEUlsssE_St5arrayIPcLm4EEEEviT0_T1_,"axG",@progbits,_ZN2at6native29vectorized_elementwise_kernelILi2EZZZNS0_12_GLOBAL__N_117clamp_kernel_implERNS_18TensorIteratorBaseEENKUlvE_clEvENKUlvE3_clEvEUlsssE_St5arrayIPcLm4EEEEviT0_T1_,comdat
.Lfunc_end131:
	.size	_ZN2at6native29vectorized_elementwise_kernelILi2EZZZNS0_12_GLOBAL__N_117clamp_kernel_implERNS_18TensorIteratorBaseEENKUlvE_clEvENKUlvE3_clEvEUlsssE_St5arrayIPcLm4EEEEviT0_T1_, .Lfunc_end131-_ZN2at6native29vectorized_elementwise_kernelILi2EZZZNS0_12_GLOBAL__N_117clamp_kernel_implERNS_18TensorIteratorBaseEENKUlvE_clEvENKUlvE3_clEvEUlsssE_St5arrayIPcLm4EEEEviT0_T1_
                                        ; -- End function
	.set _ZN2at6native29vectorized_elementwise_kernelILi2EZZZNS0_12_GLOBAL__N_117clamp_kernel_implERNS_18TensorIteratorBaseEENKUlvE_clEvENKUlvE3_clEvEUlsssE_St5arrayIPcLm4EEEEviT0_T1_.num_vgpr, 24
	.set _ZN2at6native29vectorized_elementwise_kernelILi2EZZZNS0_12_GLOBAL__N_117clamp_kernel_implERNS_18TensorIteratorBaseEENKUlvE_clEvENKUlvE3_clEvEUlsssE_St5arrayIPcLm4EEEEviT0_T1_.num_agpr, 0
	.set _ZN2at6native29vectorized_elementwise_kernelILi2EZZZNS0_12_GLOBAL__N_117clamp_kernel_implERNS_18TensorIteratorBaseEENKUlvE_clEvENKUlvE3_clEvEUlsssE_St5arrayIPcLm4EEEEviT0_T1_.numbered_sgpr, 20
	.set _ZN2at6native29vectorized_elementwise_kernelILi2EZZZNS0_12_GLOBAL__N_117clamp_kernel_implERNS_18TensorIteratorBaseEENKUlvE_clEvENKUlvE3_clEvEUlsssE_St5arrayIPcLm4EEEEviT0_T1_.num_named_barrier, 0
	.set _ZN2at6native29vectorized_elementwise_kernelILi2EZZZNS0_12_GLOBAL__N_117clamp_kernel_implERNS_18TensorIteratorBaseEENKUlvE_clEvENKUlvE3_clEvEUlsssE_St5arrayIPcLm4EEEEviT0_T1_.private_seg_size, 0
	.set _ZN2at6native29vectorized_elementwise_kernelILi2EZZZNS0_12_GLOBAL__N_117clamp_kernel_implERNS_18TensorIteratorBaseEENKUlvE_clEvENKUlvE3_clEvEUlsssE_St5arrayIPcLm4EEEEviT0_T1_.uses_vcc, 1
	.set _ZN2at6native29vectorized_elementwise_kernelILi2EZZZNS0_12_GLOBAL__N_117clamp_kernel_implERNS_18TensorIteratorBaseEENKUlvE_clEvENKUlvE3_clEvEUlsssE_St5arrayIPcLm4EEEEviT0_T1_.uses_flat_scratch, 0
	.set _ZN2at6native29vectorized_elementwise_kernelILi2EZZZNS0_12_GLOBAL__N_117clamp_kernel_implERNS_18TensorIteratorBaseEENKUlvE_clEvENKUlvE3_clEvEUlsssE_St5arrayIPcLm4EEEEviT0_T1_.has_dyn_sized_stack, 0
	.set _ZN2at6native29vectorized_elementwise_kernelILi2EZZZNS0_12_GLOBAL__N_117clamp_kernel_implERNS_18TensorIteratorBaseEENKUlvE_clEvENKUlvE3_clEvEUlsssE_St5arrayIPcLm4EEEEviT0_T1_.has_recursion, 0
	.set _ZN2at6native29vectorized_elementwise_kernelILi2EZZZNS0_12_GLOBAL__N_117clamp_kernel_implERNS_18TensorIteratorBaseEENKUlvE_clEvENKUlvE3_clEvEUlsssE_St5arrayIPcLm4EEEEviT0_T1_.has_indirect_call, 0
	.section	.AMDGPU.csdata,"",@progbits
; Kernel info:
; codeLenInByte = 2128
; TotalNumSgprs: 22
; NumVgprs: 24
; ScratchSize: 0
; MemoryBound: 0
; FloatMode: 240
; IeeeMode: 1
; LDSByteSize: 0 bytes/workgroup (compile time only)
; SGPRBlocks: 0
; VGPRBlocks: 1
; NumSGPRsForWavesPerEU: 22
; NumVGPRsForWavesPerEU: 24
; NamedBarCnt: 0
; Occupancy: 16
; WaveLimiterHint : 1
; COMPUTE_PGM_RSRC2:SCRATCH_EN: 0
; COMPUTE_PGM_RSRC2:USER_SGPR: 2
; COMPUTE_PGM_RSRC2:TRAP_HANDLER: 0
; COMPUTE_PGM_RSRC2:TGID_X_EN: 1
; COMPUTE_PGM_RSRC2:TGID_Y_EN: 0
; COMPUTE_PGM_RSRC2:TGID_Z_EN: 0
; COMPUTE_PGM_RSRC2:TIDIG_COMP_CNT: 0
	.section	.text._ZN2at6native27unrolled_elementwise_kernelIZZZNS0_12_GLOBAL__N_117clamp_kernel_implERNS_18TensorIteratorBaseEENKUlvE_clEvENKUlvE3_clEvEUlsssE_St5arrayIPcLm4EELi4E23TrivialOffsetCalculatorILi3EjESB_ILi1EjENS0_6memory15LoadWithoutCastENSE_16StoreWithoutCastEEEviT_T0_T2_T3_T4_T5_,"axG",@progbits,_ZN2at6native27unrolled_elementwise_kernelIZZZNS0_12_GLOBAL__N_117clamp_kernel_implERNS_18TensorIteratorBaseEENKUlvE_clEvENKUlvE3_clEvEUlsssE_St5arrayIPcLm4EELi4E23TrivialOffsetCalculatorILi3EjESB_ILi1EjENS0_6memory15LoadWithoutCastENSE_16StoreWithoutCastEEEviT_T0_T2_T3_T4_T5_,comdat
	.globl	_ZN2at6native27unrolled_elementwise_kernelIZZZNS0_12_GLOBAL__N_117clamp_kernel_implERNS_18TensorIteratorBaseEENKUlvE_clEvENKUlvE3_clEvEUlsssE_St5arrayIPcLm4EELi4E23TrivialOffsetCalculatorILi3EjESB_ILi1EjENS0_6memory15LoadWithoutCastENSE_16StoreWithoutCastEEEviT_T0_T2_T3_T4_T5_ ; -- Begin function _ZN2at6native27unrolled_elementwise_kernelIZZZNS0_12_GLOBAL__N_117clamp_kernel_implERNS_18TensorIteratorBaseEENKUlvE_clEvENKUlvE3_clEvEUlsssE_St5arrayIPcLm4EELi4E23TrivialOffsetCalculatorILi3EjESB_ILi1EjENS0_6memory15LoadWithoutCastENSE_16StoreWithoutCastEEEviT_T0_T2_T3_T4_T5_
	.p2align	8
	.type	_ZN2at6native27unrolled_elementwise_kernelIZZZNS0_12_GLOBAL__N_117clamp_kernel_implERNS_18TensorIteratorBaseEENKUlvE_clEvENKUlvE3_clEvEUlsssE_St5arrayIPcLm4EELi4E23TrivialOffsetCalculatorILi3EjESB_ILi1EjENS0_6memory15LoadWithoutCastENSE_16StoreWithoutCastEEEviT_T0_T2_T3_T4_T5_,@function
_ZN2at6native27unrolled_elementwise_kernelIZZZNS0_12_GLOBAL__N_117clamp_kernel_implERNS_18TensorIteratorBaseEENKUlvE_clEvENKUlvE3_clEvEUlsssE_St5arrayIPcLm4EELi4E23TrivialOffsetCalculatorILi3EjESB_ILi1EjENS0_6memory15LoadWithoutCastENSE_16StoreWithoutCastEEEviT_T0_T2_T3_T4_T5_: ; @_ZN2at6native27unrolled_elementwise_kernelIZZZNS0_12_GLOBAL__N_117clamp_kernel_implERNS_18TensorIteratorBaseEENKUlvE_clEvENKUlvE3_clEvEUlsssE_St5arrayIPcLm4EELi4E23TrivialOffsetCalculatorILi3EjESB_ILi1EjENS0_6memory15LoadWithoutCastENSE_16StoreWithoutCastEEEviT_T0_T2_T3_T4_T5_
; %bb.0:
	s_load_b32 s2, s[0:1], 0x0
	s_bfe_u32 s3, ttmp6, 0x4000c
	s_load_b256 s[4:11], s[0:1], 0x8
	s_add_co_i32 s3, s3, 1
	s_wait_xcnt 0x0
	s_and_b32 s0, ttmp6, 15
	s_mul_i32 s1, ttmp9, s3
	s_getreg_b32 s3, hwreg(HW_REG_IB_STS2, 6, 4)
	s_add_co_i32 s0, s0, s1
	s_cmp_eq_u32 s3, 0
	v_dual_mov_b32 v1, 0 :: v_dual_mov_b32 v4, 0
	s_cselect_b32 s0, ttmp9, s0
	v_or_b32_e32 v2, 0x100, v0
	s_lshl_b32 s1, s0, 10
	s_delay_alu instid0(SALU_CYCLE_1) | instskip(SKIP_2) | instid1(SALU_CYCLE_1)
	v_dual_mov_b32 v7, v0 :: v_dual_bitop2_b32 v3, s1, v0 bitop3:0x54
	s_wait_kmcnt 0x0
	s_sub_co_i32 s2, s2, s1
	v_cmp_gt_i32_e32 vcc_lo, s2, v0
	s_and_saveexec_b32 s0, vcc_lo
	s_cbranch_execz .LBB132_2
; %bb.1:
	s_clause 0x2
	global_load_u16 v4, v3, s[6:7] scale_offset
	global_load_u16 v5, v3, s[8:9] scale_offset
	;; [unrolled: 1-line block ×3, first 2 shown]
	v_or_b32_e32 v7, 0x100, v0
	s_wait_loadcnt 0x1
	v_max_i16 v4, v4, v5
	s_wait_loadcnt 0x0
	s_delay_alu instid0(VALU_DEP_1)
	v_min_i16 v4, v4, v6
.LBB132_2:
	s_or_b32 exec_lo, exec_lo, s0
	s_delay_alu instid0(SALU_CYCLE_1)
	s_mov_b32 s3, exec_lo
	v_cmpx_gt_i32_e64 s2, v7
	s_cbranch_execz .LBB132_4
; %bb.3:
	v_add_nc_u32_e32 v1, s1, v7
	v_add_nc_u32_e32 v7, 0x100, v7
	s_clause 0x2
	global_load_u16 v5, v1, s[6:7] scale_offset
	global_load_u16 v6, v1, s[8:9] scale_offset
	;; [unrolled: 1-line block ×3, first 2 shown]
	s_wait_loadcnt 0x1
	s_wait_xcnt 0x0
	v_max_i16 v1, v5, v6
	s_wait_loadcnt 0x0
	s_delay_alu instid0(VALU_DEP_1)
	v_min_i16 v1, v1, v8
.LBB132_4:
	s_or_b32 exec_lo, exec_lo, s3
	v_dual_mov_b32 v5, 0 :: v_dual_mov_b32 v6, 0
	s_mov_b32 s3, exec_lo
	v_cmpx_gt_i32_e64 s2, v7
	s_cbranch_execnz .LBB132_11
; %bb.5:
	s_or_b32 exec_lo, exec_lo, s3
	s_delay_alu instid0(SALU_CYCLE_1)
	s_mov_b32 s3, exec_lo
	v_cmpx_gt_i32_e64 s2, v7
	s_cbranch_execnz .LBB132_12
.LBB132_6:
	s_or_b32 exec_lo, exec_lo, s3
	s_and_saveexec_b32 s0, vcc_lo
	s_cbranch_execnz .LBB132_13
.LBB132_7:
	s_or_b32 exec_lo, exec_lo, s0
	s_delay_alu instid0(SALU_CYCLE_1)
	s_mov_b32 s0, exec_lo
	v_cmpx_gt_i32_e64 s2, v0
	s_cbranch_execnz .LBB132_14
.LBB132_8:
	s_or_b32 exec_lo, exec_lo, s0
	s_delay_alu instid0(SALU_CYCLE_1)
	s_mov_b32 s0, exec_lo
	v_cmpx_gt_i32_e64 s2, v0
	s_cbranch_execnz .LBB132_15
.LBB132_9:
	s_or_b32 exec_lo, exec_lo, s0
	s_delay_alu instid0(SALU_CYCLE_1)
	s_mov_b32 s0, exec_lo
	v_cmpx_gt_i32_e64 s2, v0
	s_cbranch_execnz .LBB132_16
.LBB132_10:
	s_endpgm
.LBB132_11:
	v_add_nc_u32_e32 v6, s1, v7
	v_add_nc_u32_e32 v7, 0x100, v7
	s_clause 0x2
	global_load_u16 v8, v6, s[6:7] scale_offset
	global_load_u16 v9, v6, s[8:9] scale_offset
	;; [unrolled: 1-line block ×3, first 2 shown]
	s_wait_loadcnt 0x1
	s_wait_xcnt 0x0
	v_max_i16 v6, v8, v9
	s_wait_loadcnt 0x0
	s_delay_alu instid0(VALU_DEP_1) | instskip(SKIP_1) | instid1(SALU_CYCLE_1)
	v_min_i16 v6, v6, v10
	s_or_b32 exec_lo, exec_lo, s3
	s_mov_b32 s3, exec_lo
	v_cmpx_gt_i32_e64 s2, v7
	s_cbranch_execz .LBB132_6
.LBB132_12:
	v_add_nc_u32_e32 v5, s1, v7
	s_clause 0x2
	global_load_u16 v7, v5, s[6:7] scale_offset
	global_load_u16 v8, v5, s[8:9] scale_offset
	;; [unrolled: 1-line block ×3, first 2 shown]
	s_wait_loadcnt 0x1
	s_wait_xcnt 0x0
	v_max_i16 v5, v7, v8
	s_wait_loadcnt 0x0
	s_delay_alu instid0(VALU_DEP_1)
	v_min_i16 v5, v5, v9
	s_or_b32 exec_lo, exec_lo, s3
	s_and_saveexec_b32 s0, vcc_lo
	s_cbranch_execz .LBB132_7
.LBB132_13:
	v_mov_b32_e32 v0, v2
	global_store_b16 v3, v4, s[4:5] scale_offset
	s_wait_xcnt 0x0
	s_or_b32 exec_lo, exec_lo, s0
	s_delay_alu instid0(SALU_CYCLE_1)
	s_mov_b32 s0, exec_lo
	v_cmpx_gt_i32_e64 s2, v0
	s_cbranch_execz .LBB132_8
.LBB132_14:
	v_add_nc_u32_e32 v2, 0x100, v0
	s_delay_alu instid0(VALU_DEP_1) | instskip(SKIP_3) | instid1(SALU_CYCLE_1)
	v_dual_mov_b32 v0, v2 :: v_dual_add_nc_u32 v3, s1, v0
	global_store_b16 v3, v1, s[4:5] scale_offset
	s_wait_xcnt 0x0
	s_or_b32 exec_lo, exec_lo, s0
	s_mov_b32 s0, exec_lo
	v_cmpx_gt_i32_e64 s2, v0
	s_cbranch_execz .LBB132_9
.LBB132_15:
	v_add_nc_u32_e32 v1, 0x100, v0
	s_delay_alu instid0(VALU_DEP_1) | instskip(SKIP_3) | instid1(SALU_CYCLE_1)
	v_dual_add_nc_u32 v2, s1, v0 :: v_dual_mov_b32 v0, v1
	global_store_b16 v2, v6, s[4:5] scale_offset
	s_wait_xcnt 0x0
	s_or_b32 exec_lo, exec_lo, s0
	s_mov_b32 s0, exec_lo
	v_cmpx_gt_i32_e64 s2, v0
	s_cbranch_execz .LBB132_10
.LBB132_16:
	v_add_nc_u32_e32 v0, s1, v0
	global_store_b16 v0, v5, s[4:5] scale_offset
	s_endpgm
	.section	.rodata,"a",@progbits
	.p2align	6, 0x0
	.amdhsa_kernel _ZN2at6native27unrolled_elementwise_kernelIZZZNS0_12_GLOBAL__N_117clamp_kernel_implERNS_18TensorIteratorBaseEENKUlvE_clEvENKUlvE3_clEvEUlsssE_St5arrayIPcLm4EELi4E23TrivialOffsetCalculatorILi3EjESB_ILi1EjENS0_6memory15LoadWithoutCastENSE_16StoreWithoutCastEEEviT_T0_T2_T3_T4_T5_
		.amdhsa_group_segment_fixed_size 0
		.amdhsa_private_segment_fixed_size 0
		.amdhsa_kernarg_size 44
		.amdhsa_user_sgpr_count 2
		.amdhsa_user_sgpr_dispatch_ptr 0
		.amdhsa_user_sgpr_queue_ptr 0
		.amdhsa_user_sgpr_kernarg_segment_ptr 1
		.amdhsa_user_sgpr_dispatch_id 0
		.amdhsa_user_sgpr_kernarg_preload_length 0
		.amdhsa_user_sgpr_kernarg_preload_offset 0
		.amdhsa_user_sgpr_private_segment_size 0
		.amdhsa_wavefront_size32 1
		.amdhsa_uses_dynamic_stack 0
		.amdhsa_enable_private_segment 0
		.amdhsa_system_sgpr_workgroup_id_x 1
		.amdhsa_system_sgpr_workgroup_id_y 0
		.amdhsa_system_sgpr_workgroup_id_z 0
		.amdhsa_system_sgpr_workgroup_info 0
		.amdhsa_system_vgpr_workitem_id 0
		.amdhsa_next_free_vgpr 11
		.amdhsa_next_free_sgpr 12
		.amdhsa_named_barrier_count 0
		.amdhsa_reserve_vcc 1
		.amdhsa_float_round_mode_32 0
		.amdhsa_float_round_mode_16_64 0
		.amdhsa_float_denorm_mode_32 3
		.amdhsa_float_denorm_mode_16_64 3
		.amdhsa_fp16_overflow 0
		.amdhsa_memory_ordered 1
		.amdhsa_forward_progress 1
		.amdhsa_inst_pref_size 7
		.amdhsa_round_robin_scheduling 0
		.amdhsa_exception_fp_ieee_invalid_op 0
		.amdhsa_exception_fp_denorm_src 0
		.amdhsa_exception_fp_ieee_div_zero 0
		.amdhsa_exception_fp_ieee_overflow 0
		.amdhsa_exception_fp_ieee_underflow 0
		.amdhsa_exception_fp_ieee_inexact 0
		.amdhsa_exception_int_div_zero 0
	.end_amdhsa_kernel
	.section	.text._ZN2at6native27unrolled_elementwise_kernelIZZZNS0_12_GLOBAL__N_117clamp_kernel_implERNS_18TensorIteratorBaseEENKUlvE_clEvENKUlvE3_clEvEUlsssE_St5arrayIPcLm4EELi4E23TrivialOffsetCalculatorILi3EjESB_ILi1EjENS0_6memory15LoadWithoutCastENSE_16StoreWithoutCastEEEviT_T0_T2_T3_T4_T5_,"axG",@progbits,_ZN2at6native27unrolled_elementwise_kernelIZZZNS0_12_GLOBAL__N_117clamp_kernel_implERNS_18TensorIteratorBaseEENKUlvE_clEvENKUlvE3_clEvEUlsssE_St5arrayIPcLm4EELi4E23TrivialOffsetCalculatorILi3EjESB_ILi1EjENS0_6memory15LoadWithoutCastENSE_16StoreWithoutCastEEEviT_T0_T2_T3_T4_T5_,comdat
.Lfunc_end132:
	.size	_ZN2at6native27unrolled_elementwise_kernelIZZZNS0_12_GLOBAL__N_117clamp_kernel_implERNS_18TensorIteratorBaseEENKUlvE_clEvENKUlvE3_clEvEUlsssE_St5arrayIPcLm4EELi4E23TrivialOffsetCalculatorILi3EjESB_ILi1EjENS0_6memory15LoadWithoutCastENSE_16StoreWithoutCastEEEviT_T0_T2_T3_T4_T5_, .Lfunc_end132-_ZN2at6native27unrolled_elementwise_kernelIZZZNS0_12_GLOBAL__N_117clamp_kernel_implERNS_18TensorIteratorBaseEENKUlvE_clEvENKUlvE3_clEvEUlsssE_St5arrayIPcLm4EELi4E23TrivialOffsetCalculatorILi3EjESB_ILi1EjENS0_6memory15LoadWithoutCastENSE_16StoreWithoutCastEEEviT_T0_T2_T3_T4_T5_
                                        ; -- End function
	.set _ZN2at6native27unrolled_elementwise_kernelIZZZNS0_12_GLOBAL__N_117clamp_kernel_implERNS_18TensorIteratorBaseEENKUlvE_clEvENKUlvE3_clEvEUlsssE_St5arrayIPcLm4EELi4E23TrivialOffsetCalculatorILi3EjESB_ILi1EjENS0_6memory15LoadWithoutCastENSE_16StoreWithoutCastEEEviT_T0_T2_T3_T4_T5_.num_vgpr, 11
	.set _ZN2at6native27unrolled_elementwise_kernelIZZZNS0_12_GLOBAL__N_117clamp_kernel_implERNS_18TensorIteratorBaseEENKUlvE_clEvENKUlvE3_clEvEUlsssE_St5arrayIPcLm4EELi4E23TrivialOffsetCalculatorILi3EjESB_ILi1EjENS0_6memory15LoadWithoutCastENSE_16StoreWithoutCastEEEviT_T0_T2_T3_T4_T5_.num_agpr, 0
	.set _ZN2at6native27unrolled_elementwise_kernelIZZZNS0_12_GLOBAL__N_117clamp_kernel_implERNS_18TensorIteratorBaseEENKUlvE_clEvENKUlvE3_clEvEUlsssE_St5arrayIPcLm4EELi4E23TrivialOffsetCalculatorILi3EjESB_ILi1EjENS0_6memory15LoadWithoutCastENSE_16StoreWithoutCastEEEviT_T0_T2_T3_T4_T5_.numbered_sgpr, 12
	.set _ZN2at6native27unrolled_elementwise_kernelIZZZNS0_12_GLOBAL__N_117clamp_kernel_implERNS_18TensorIteratorBaseEENKUlvE_clEvENKUlvE3_clEvEUlsssE_St5arrayIPcLm4EELi4E23TrivialOffsetCalculatorILi3EjESB_ILi1EjENS0_6memory15LoadWithoutCastENSE_16StoreWithoutCastEEEviT_T0_T2_T3_T4_T5_.num_named_barrier, 0
	.set _ZN2at6native27unrolled_elementwise_kernelIZZZNS0_12_GLOBAL__N_117clamp_kernel_implERNS_18TensorIteratorBaseEENKUlvE_clEvENKUlvE3_clEvEUlsssE_St5arrayIPcLm4EELi4E23TrivialOffsetCalculatorILi3EjESB_ILi1EjENS0_6memory15LoadWithoutCastENSE_16StoreWithoutCastEEEviT_T0_T2_T3_T4_T5_.private_seg_size, 0
	.set _ZN2at6native27unrolled_elementwise_kernelIZZZNS0_12_GLOBAL__N_117clamp_kernel_implERNS_18TensorIteratorBaseEENKUlvE_clEvENKUlvE3_clEvEUlsssE_St5arrayIPcLm4EELi4E23TrivialOffsetCalculatorILi3EjESB_ILi1EjENS0_6memory15LoadWithoutCastENSE_16StoreWithoutCastEEEviT_T0_T2_T3_T4_T5_.uses_vcc, 1
	.set _ZN2at6native27unrolled_elementwise_kernelIZZZNS0_12_GLOBAL__N_117clamp_kernel_implERNS_18TensorIteratorBaseEENKUlvE_clEvENKUlvE3_clEvEUlsssE_St5arrayIPcLm4EELi4E23TrivialOffsetCalculatorILi3EjESB_ILi1EjENS0_6memory15LoadWithoutCastENSE_16StoreWithoutCastEEEviT_T0_T2_T3_T4_T5_.uses_flat_scratch, 0
	.set _ZN2at6native27unrolled_elementwise_kernelIZZZNS0_12_GLOBAL__N_117clamp_kernel_implERNS_18TensorIteratorBaseEENKUlvE_clEvENKUlvE3_clEvEUlsssE_St5arrayIPcLm4EELi4E23TrivialOffsetCalculatorILi3EjESB_ILi1EjENS0_6memory15LoadWithoutCastENSE_16StoreWithoutCastEEEviT_T0_T2_T3_T4_T5_.has_dyn_sized_stack, 0
	.set _ZN2at6native27unrolled_elementwise_kernelIZZZNS0_12_GLOBAL__N_117clamp_kernel_implERNS_18TensorIteratorBaseEENKUlvE_clEvENKUlvE3_clEvEUlsssE_St5arrayIPcLm4EELi4E23TrivialOffsetCalculatorILi3EjESB_ILi1EjENS0_6memory15LoadWithoutCastENSE_16StoreWithoutCastEEEviT_T0_T2_T3_T4_T5_.has_recursion, 0
	.set _ZN2at6native27unrolled_elementwise_kernelIZZZNS0_12_GLOBAL__N_117clamp_kernel_implERNS_18TensorIteratorBaseEENKUlvE_clEvENKUlvE3_clEvEUlsssE_St5arrayIPcLm4EELi4E23TrivialOffsetCalculatorILi3EjESB_ILi1EjENS0_6memory15LoadWithoutCastENSE_16StoreWithoutCastEEEviT_T0_T2_T3_T4_T5_.has_indirect_call, 0
	.section	.AMDGPU.csdata,"",@progbits
; Kernel info:
; codeLenInByte = 808
; TotalNumSgprs: 14
; NumVgprs: 11
; ScratchSize: 0
; MemoryBound: 0
; FloatMode: 240
; IeeeMode: 1
; LDSByteSize: 0 bytes/workgroup (compile time only)
; SGPRBlocks: 0
; VGPRBlocks: 0
; NumSGPRsForWavesPerEU: 14
; NumVGPRsForWavesPerEU: 11
; NamedBarCnt: 0
; Occupancy: 16
; WaveLimiterHint : 0
; COMPUTE_PGM_RSRC2:SCRATCH_EN: 0
; COMPUTE_PGM_RSRC2:USER_SGPR: 2
; COMPUTE_PGM_RSRC2:TRAP_HANDLER: 0
; COMPUTE_PGM_RSRC2:TGID_X_EN: 1
; COMPUTE_PGM_RSRC2:TGID_Y_EN: 0
; COMPUTE_PGM_RSRC2:TGID_Z_EN: 0
; COMPUTE_PGM_RSRC2:TIDIG_COMP_CNT: 0
	.section	.text._ZN2at6native32elementwise_kernel_manual_unrollILi128ELi8EZNS0_22gpu_kernel_impl_nocastIZZZNS0_12_GLOBAL__N_117clamp_kernel_implERNS_18TensorIteratorBaseEENKUlvE_clEvENKUlvE3_clEvEUlsssE_EEvS5_RKT_EUlibE_EEviT1_,"axG",@progbits,_ZN2at6native32elementwise_kernel_manual_unrollILi128ELi8EZNS0_22gpu_kernel_impl_nocastIZZZNS0_12_GLOBAL__N_117clamp_kernel_implERNS_18TensorIteratorBaseEENKUlvE_clEvENKUlvE3_clEvEUlsssE_EEvS5_RKT_EUlibE_EEviT1_,comdat
	.globl	_ZN2at6native32elementwise_kernel_manual_unrollILi128ELi8EZNS0_22gpu_kernel_impl_nocastIZZZNS0_12_GLOBAL__N_117clamp_kernel_implERNS_18TensorIteratorBaseEENKUlvE_clEvENKUlvE3_clEvEUlsssE_EEvS5_RKT_EUlibE_EEviT1_ ; -- Begin function _ZN2at6native32elementwise_kernel_manual_unrollILi128ELi8EZNS0_22gpu_kernel_impl_nocastIZZZNS0_12_GLOBAL__N_117clamp_kernel_implERNS_18TensorIteratorBaseEENKUlvE_clEvENKUlvE3_clEvEUlsssE_EEvS5_RKT_EUlibE_EEviT1_
	.p2align	8
	.type	_ZN2at6native32elementwise_kernel_manual_unrollILi128ELi8EZNS0_22gpu_kernel_impl_nocastIZZZNS0_12_GLOBAL__N_117clamp_kernel_implERNS_18TensorIteratorBaseEENKUlvE_clEvENKUlvE3_clEvEUlsssE_EEvS5_RKT_EUlibE_EEviT1_,@function
_ZN2at6native32elementwise_kernel_manual_unrollILi128ELi8EZNS0_22gpu_kernel_impl_nocastIZZZNS0_12_GLOBAL__N_117clamp_kernel_implERNS_18TensorIteratorBaseEENKUlvE_clEvENKUlvE3_clEvEUlsssE_EEvS5_RKT_EUlibE_EEviT1_: ; @_ZN2at6native32elementwise_kernel_manual_unrollILi128ELi8EZNS0_22gpu_kernel_impl_nocastIZZZNS0_12_GLOBAL__N_117clamp_kernel_implERNS_18TensorIteratorBaseEENKUlvE_clEvENKUlvE3_clEvEUlsssE_EEvS5_RKT_EUlibE_EEviT1_
; %bb.0:
	s_clause 0x1
	s_load_b32 s33, s[0:1], 0x8
	s_load_b32 s39, s[0:1], 0x0
	s_bfe_u32 s2, ttmp6, 0x4000c
	s_and_b32 s3, ttmp6, 15
	s_add_co_i32 s2, s2, 1
	s_getreg_b32 s4, hwreg(HW_REG_IB_STS2, 6, 4)
	s_mul_i32 s2, ttmp9, s2
	s_add_nc_u64 s[20:21], s[0:1], 8
	s_add_co_i32 s3, s3, s2
	s_cmp_eq_u32 s4, 0
	s_mov_b32 s25, 0
	s_cselect_b32 s2, ttmp9, s3
	s_wait_xcnt 0x0
	s_mov_b32 s0, exec_lo
	v_lshl_or_b32 v0, s2, 10, v0
	s_delay_alu instid0(VALU_DEP_1) | instskip(SKIP_2) | instid1(SALU_CYCLE_1)
	v_or_b32_e32 v5, 0x380, v0
	s_wait_kmcnt 0x0
	s_add_co_i32 s34, s33, -1
	s_cmp_gt_u32 s34, 1
	s_cselect_b32 s35, -1, 0
	v_cmpx_le_i32_e64 s39, v5
	s_xor_b32 s36, exec_lo, s0
	s_cbranch_execz .LBB133_106
; %bb.1:
	s_clause 0x3
	s_load_b128 s[16:19], s[20:21], 0x4
	s_load_b64 s[22:23], s[20:21], 0x14
	s_load_b256 s[8:15], s[20:21], 0xc4
	s_load_b256 s[0:7], s[20:21], 0x1c8
	s_cmp_lg_u32 s33, 0
	s_mov_b32 s27, s25
	s_cselect_b32 s40, -1, 0
	s_min_u32 s38, s34, 15
	s_cmp_gt_u32 s33, 1
	s_cselect_b32 s37, -1, 0
	s_wait_kmcnt 0x0
	s_mov_b32 s24, s17
	s_mov_b32 s26, s22
	s_mov_b32 s17, exec_lo
	v_cmpx_gt_i32_e64 s39, v0
	s_cbranch_execnz .LBB133_9
; %bb.2:
	s_or_b32 exec_lo, exec_lo, s17
	s_delay_alu instid0(SALU_CYCLE_1)
	s_mov_b32 s17, exec_lo
	v_cmpx_gt_i32_e64 s39, v0
	s_cbranch_execnz .LBB133_21
.LBB133_3:
	s_or_b32 exec_lo, exec_lo, s17
	s_delay_alu instid0(SALU_CYCLE_1)
	s_mov_b32 s17, exec_lo
	v_cmpx_gt_i32_e64 s39, v0
	s_cbranch_execnz .LBB133_33
.LBB133_4:
	s_or_b32 exec_lo, exec_lo, s17
	s_delay_alu instid0(SALU_CYCLE_1)
	s_mov_b32 s17, exec_lo
	v_cmpx_gt_i32_e64 s39, v0
	s_cbranch_execnz .LBB133_45
.LBB133_5:
	s_or_b32 exec_lo, exec_lo, s17
	s_delay_alu instid0(SALU_CYCLE_1)
	s_mov_b32 s17, exec_lo
	v_cmpx_gt_i32_e64 s39, v0
	s_cbranch_execnz .LBB133_57
.LBB133_6:
	s_or_b32 exec_lo, exec_lo, s17
	s_delay_alu instid0(SALU_CYCLE_1)
	s_mov_b32 s17, exec_lo
	v_cmpx_gt_i32_e64 s39, v0
	s_cbranch_execnz .LBB133_69
.LBB133_7:
	s_or_b32 exec_lo, exec_lo, s17
	s_delay_alu instid0(SALU_CYCLE_1)
	s_mov_b32 s17, exec_lo
	v_cmpx_gt_i32_e64 s39, v0
	s_cbranch_execnz .LBB133_81
.LBB133_8:
	s_or_b32 exec_lo, exec_lo, s17
	s_delay_alu instid0(SALU_CYCLE_1)
	s_mov_b32 s17, exec_lo
	v_cmpx_gt_i32_e64 s39, v0
	s_cbranch_execnz .LBB133_93
	s_branch .LBB133_105
.LBB133_9:
	s_and_not1_b32 vcc_lo, exec_lo, s35
	s_cbranch_vccnz .LBB133_15
; %bb.10:
	s_and_not1_b32 vcc_lo, exec_lo, s40
	s_cbranch_vccnz .LBB133_16
; %bb.11:
	v_dual_mov_b32 v5, 0 :: v_dual_mov_b32 v1, v0
	v_dual_mov_b32 v7, 0 :: v_dual_mov_b32 v4, 0
	v_mov_b32_e32 v6, 0
	s_add_co_i32 s22, s38, 1
	s_mov_b64 s[28:29], 0xffffffffffffffe0
	s_and_b32 s22, s22, 30
	s_add_nc_u64 s[28:29], s[20:21], s[28:29]
	s_mov_b64 s[30:31], s[20:21]
.LBB133_12:                             ; =>This Inner Loop Header: Depth=1
	s_clause 0x1
	s_load_b128 s[52:55], s[30:31], 0x4
	s_load_b64 s[42:43], s[30:31], 0x14
	s_load_b256 s[44:51], s[28:29], 0xe4
	s_add_co_i32 s22, s22, -2
	s_wait_xcnt 0x0
	s_add_nc_u64 s[30:31], s[30:31], 24
	s_cmp_lg_u32 s22, 0
	s_add_nc_u64 s[28:29], s[28:29], 32
	s_wait_kmcnt 0x0
	v_mul_hi_u32 v2, s53, v1
	s_delay_alu instid0(VALU_DEP_1) | instskip(NEXT) | instid1(VALU_DEP_1)
	v_add_nc_u32_e32 v2, v1, v2
	v_lshrrev_b32_e32 v2, s54, v2
	s_delay_alu instid0(VALU_DEP_1) | instskip(SKIP_1) | instid1(VALU_DEP_1)
	v_mul_hi_u32 v3, s42, v2
	v_mul_lo_u32 v8, v2, s52
	v_dual_add_nc_u32 v3, v2, v3 :: v_dual_sub_nc_u32 v8, v1, v8
	s_delay_alu instid0(VALU_DEP_1) | instskip(NEXT) | instid1(VALU_DEP_2)
	v_lshrrev_b32_e32 v1, s43, v3
	v_mad_u32 v6, v8, s45, v6
	v_mad_u32 v4, v8, s44, v4
	;; [unrolled: 1-line block ×4, first 2 shown]
	v_mul_lo_u32 v3, v1, s55
	s_delay_alu instid0(VALU_DEP_1) | instskip(NEXT) | instid1(VALU_DEP_1)
	v_sub_nc_u32_e32 v2, v2, v3
	v_mad_u32 v6, v2, s49, v6
	v_mad_u32 v4, v2, s48, v4
	;; [unrolled: 1-line block ×4, first 2 shown]
	s_cbranch_scc1 .LBB133_12
; %bb.13:
	s_bitcmp1_b32 s38, 0
	s_cselect_b32 s22, -1, 0
	s_delay_alu instid0(SALU_CYCLE_1)
	s_and_b32 vcc_lo, exec_lo, s22
	s_cbranch_vccnz .LBB133_17
; %bb.14:
	s_load_b96 s[48:50], s[30:31], 0x4
	s_load_b128 s[44:47], s[28:29], 0xe4
	s_wait_kmcnt 0x0
	v_mul_hi_u32 v2, s49, v1
	s_delay_alu instid0(VALU_DEP_1) | instskip(NEXT) | instid1(VALU_DEP_1)
	v_add_nc_u32_e32 v2, v1, v2
	v_lshrrev_b32_e32 v2, s50, v2
	s_delay_alu instid0(VALU_DEP_1) | instskip(NEXT) | instid1(VALU_DEP_1)
	v_mul_lo_u32 v2, v2, s48
	v_sub_nc_u32_e32 v1, v1, v2
	s_delay_alu instid0(VALU_DEP_1)
	v_mad_u32 v4, v1, s44, v4
	v_mad_u32 v6, v1, s45, v6
	;; [unrolled: 1-line block ×4, first 2 shown]
	s_cbranch_execz .LBB133_18
	s_branch .LBB133_20
.LBB133_15:
                                        ; implicit-def: $vgpr6
                                        ; implicit-def: $vgpr4
                                        ; implicit-def: $vgpr7
                                        ; implicit-def: $vgpr5
	s_branch .LBB133_18
.LBB133_16:
	v_dual_mov_b32 v6, 0 :: v_dual_mov_b32 v4, 0
	v_dual_mov_b32 v7, 0 :: v_dual_mov_b32 v5, 0
.LBB133_17:
	s_cbranch_execnz .LBB133_20
.LBB133_18:
	v_mov_b32_e32 v1, 0
	s_and_not1_b32 vcc_lo, exec_lo, s37
	s_delay_alu instid0(VALU_DEP_1) | instskip(NEXT) | instid1(VALU_DEP_1)
	v_mul_u64_e32 v[2:3], s[24:25], v[0:1]
	v_add_nc_u32_e32 v2, v0, v3
	s_delay_alu instid0(VALU_DEP_1) | instskip(NEXT) | instid1(VALU_DEP_1)
	v_lshrrev_b32_e32 v2, s18, v2
	v_mul_lo_u32 v3, v2, s16
	s_delay_alu instid0(VALU_DEP_1) | instskip(NEXT) | instid1(VALU_DEP_1)
	v_sub_nc_u32_e32 v3, v0, v3
	v_mul_lo_u32 v6, v3, s9
	v_mul_lo_u32 v4, v3, s8
	v_mul_lo_u32 v7, v3, s11
	v_mul_lo_u32 v5, v3, s10
	s_cbranch_vccnz .LBB133_20
; %bb.19:
	v_mov_b32_e32 v3, v1
	s_delay_alu instid0(VALU_DEP_1) | instskip(NEXT) | instid1(VALU_DEP_1)
	v_mul_u64_e32 v[8:9], s[26:27], v[2:3]
	v_add_nc_u32_e32 v1, v2, v9
	s_delay_alu instid0(VALU_DEP_1) | instskip(NEXT) | instid1(VALU_DEP_1)
	v_lshrrev_b32_e32 v1, s23, v1
	v_mul_lo_u32 v1, v1, s19
	s_delay_alu instid0(VALU_DEP_1) | instskip(NEXT) | instid1(VALU_DEP_1)
	v_sub_nc_u32_e32 v1, v2, v1
	v_mad_u32 v4, v1, s12, v4
	v_mad_u32 v6, v1, s13, v6
	;; [unrolled: 1-line block ×4, first 2 shown]
.LBB133_20:
	global_load_u16 v1, v6, s[2:3]
	global_load_u16 v2, v5, s[4:5]
	global_load_u16 v3, v7, s[6:7]
	v_add_nc_u32_e32 v0, 0x80, v0
	s_wait_loadcnt 0x1
	v_max_i16 v1, v1, v2
	s_wait_loadcnt 0x0
	s_delay_alu instid0(VALU_DEP_1) | instskip(SKIP_3) | instid1(SALU_CYCLE_1)
	v_min_i16 v1, v1, v3
	global_store_b16 v4, v1, s[0:1]
	s_wait_xcnt 0x0
	s_or_b32 exec_lo, exec_lo, s17
	s_mov_b32 s17, exec_lo
	v_cmpx_gt_i32_e64 s39, v0
	s_cbranch_execz .LBB133_3
.LBB133_21:
	s_and_not1_b32 vcc_lo, exec_lo, s35
	s_cbranch_vccnz .LBB133_27
; %bb.22:
	s_and_not1_b32 vcc_lo, exec_lo, s40
	s_cbranch_vccnz .LBB133_28
; %bb.23:
	v_dual_mov_b32 v6, 0 :: v_dual_mov_b32 v1, v0
	v_dual_mov_b32 v7, 0 :: v_dual_mov_b32 v4, 0
	v_mov_b32_e32 v5, 0
	s_add_co_i32 s22, s38, 1
	s_mov_b64 s[28:29], 0xffffffffffffffe0
	s_and_b32 s22, s22, 30
	s_add_nc_u64 s[28:29], s[20:21], s[28:29]
	s_mov_b64 s[30:31], s[20:21]
.LBB133_24:                             ; =>This Inner Loop Header: Depth=1
	s_clause 0x1
	s_load_b128 s[52:55], s[30:31], 0x4
	s_load_b64 s[42:43], s[30:31], 0x14
	s_load_b256 s[44:51], s[28:29], 0xe4
	s_add_co_i32 s22, s22, -2
	s_wait_xcnt 0x0
	s_add_nc_u64 s[30:31], s[30:31], 24
	s_cmp_eq_u32 s22, 0
	s_add_nc_u64 s[28:29], s[28:29], 32
	s_wait_kmcnt 0x0
	v_mul_hi_u32 v2, s53, v1
	s_delay_alu instid0(VALU_DEP_1) | instskip(NEXT) | instid1(VALU_DEP_1)
	v_add_nc_u32_e32 v2, v1, v2
	v_lshrrev_b32_e32 v2, s54, v2
	s_delay_alu instid0(VALU_DEP_1) | instskip(SKIP_1) | instid1(VALU_DEP_1)
	v_mul_hi_u32 v3, s42, v2
	v_mul_lo_u32 v8, v2, s52
	v_dual_add_nc_u32 v3, v2, v3 :: v_dual_sub_nc_u32 v8, v1, v8
	s_delay_alu instid0(VALU_DEP_1) | instskip(NEXT) | instid1(VALU_DEP_2)
	v_lshrrev_b32_e32 v1, s43, v3
	v_mad_u32 v5, v8, s45, v5
	v_mad_u32 v4, v8, s44, v4
	;; [unrolled: 1-line block ×4, first 2 shown]
	v_mul_lo_u32 v3, v1, s55
	s_delay_alu instid0(VALU_DEP_1) | instskip(NEXT) | instid1(VALU_DEP_1)
	v_sub_nc_u32_e32 v2, v2, v3
	v_mad_u32 v5, v2, s49, v5
	v_mad_u32 v4, v2, s48, v4
	;; [unrolled: 1-line block ×4, first 2 shown]
	s_cbranch_scc0 .LBB133_24
; %bb.25:
	s_bitcmp1_b32 s38, 0
	s_cselect_b32 s22, -1, 0
	s_delay_alu instid0(SALU_CYCLE_1)
	s_and_b32 vcc_lo, exec_lo, s22
	s_cbranch_vccnz .LBB133_29
; %bb.26:
	s_load_b96 s[48:50], s[30:31], 0x4
	s_load_b128 s[44:47], s[28:29], 0xe4
	s_wait_kmcnt 0x0
	v_mul_hi_u32 v2, s49, v1
	s_delay_alu instid0(VALU_DEP_1) | instskip(NEXT) | instid1(VALU_DEP_1)
	v_add_nc_u32_e32 v2, v1, v2
	v_lshrrev_b32_e32 v2, s50, v2
	s_delay_alu instid0(VALU_DEP_1) | instskip(NEXT) | instid1(VALU_DEP_1)
	v_mul_lo_u32 v2, v2, s48
	v_sub_nc_u32_e32 v1, v1, v2
	s_delay_alu instid0(VALU_DEP_1)
	v_mad_u32 v4, v1, s44, v4
	v_mad_u32 v5, v1, s45, v5
	;; [unrolled: 1-line block ×4, first 2 shown]
	s_branch .LBB133_29
.LBB133_27:
                                        ; implicit-def: $vgpr5
                                        ; implicit-def: $vgpr4
                                        ; implicit-def: $vgpr7
                                        ; implicit-def: $vgpr6
	s_branch .LBB133_30
.LBB133_28:
	v_dual_mov_b32 v5, 0 :: v_dual_mov_b32 v4, 0
	v_dual_mov_b32 v7, 0 :: v_dual_mov_b32 v6, 0
.LBB133_29:
	s_cbranch_execnz .LBB133_32
.LBB133_30:
	v_mov_b32_e32 v1, 0
	s_and_not1_b32 vcc_lo, exec_lo, s37
	s_delay_alu instid0(VALU_DEP_1) | instskip(NEXT) | instid1(VALU_DEP_1)
	v_mul_u64_e32 v[2:3], s[24:25], v[0:1]
	v_add_nc_u32_e32 v2, v0, v3
	s_delay_alu instid0(VALU_DEP_1) | instskip(NEXT) | instid1(VALU_DEP_1)
	v_lshrrev_b32_e32 v2, s18, v2
	v_mul_lo_u32 v3, v2, s16
	s_delay_alu instid0(VALU_DEP_1) | instskip(NEXT) | instid1(VALU_DEP_1)
	v_sub_nc_u32_e32 v3, v0, v3
	v_mul_lo_u32 v5, v3, s9
	v_mul_lo_u32 v4, v3, s8
	;; [unrolled: 1-line block ×4, first 2 shown]
	s_cbranch_vccnz .LBB133_32
; %bb.31:
	v_mov_b32_e32 v3, v1
	s_delay_alu instid0(VALU_DEP_1) | instskip(NEXT) | instid1(VALU_DEP_1)
	v_mul_u64_e32 v[8:9], s[26:27], v[2:3]
	v_add_nc_u32_e32 v1, v2, v9
	s_delay_alu instid0(VALU_DEP_1) | instskip(NEXT) | instid1(VALU_DEP_1)
	v_lshrrev_b32_e32 v1, s23, v1
	v_mul_lo_u32 v1, v1, s19
	s_delay_alu instid0(VALU_DEP_1) | instskip(NEXT) | instid1(VALU_DEP_1)
	v_sub_nc_u32_e32 v1, v2, v1
	v_mad_u32 v4, v1, s12, v4
	v_mad_u32 v5, v1, s13, v5
	;; [unrolled: 1-line block ×4, first 2 shown]
.LBB133_32:
	global_load_u16 v1, v5, s[2:3]
	global_load_u16 v2, v6, s[4:5]
	;; [unrolled: 1-line block ×3, first 2 shown]
	v_add_nc_u32_e32 v0, 0x80, v0
	s_wait_loadcnt 0x1
	v_max_i16 v1, v1, v2
	s_wait_loadcnt 0x0
	s_delay_alu instid0(VALU_DEP_1) | instskip(SKIP_3) | instid1(SALU_CYCLE_1)
	v_min_i16 v1, v1, v3
	global_store_b16 v4, v1, s[0:1]
	s_wait_xcnt 0x0
	s_or_b32 exec_lo, exec_lo, s17
	s_mov_b32 s17, exec_lo
	v_cmpx_gt_i32_e64 s39, v0
	s_cbranch_execz .LBB133_4
.LBB133_33:
	s_and_not1_b32 vcc_lo, exec_lo, s35
	s_cbranch_vccnz .LBB133_39
; %bb.34:
	s_and_not1_b32 vcc_lo, exec_lo, s40
	s_cbranch_vccnz .LBB133_40
; %bb.35:
	v_dual_mov_b32 v6, 0 :: v_dual_mov_b32 v1, v0
	v_dual_mov_b32 v7, 0 :: v_dual_mov_b32 v4, 0
	v_mov_b32_e32 v5, 0
	s_add_co_i32 s22, s38, 1
	s_mov_b64 s[28:29], 0xffffffffffffffe0
	s_and_b32 s22, s22, 30
	s_add_nc_u64 s[28:29], s[20:21], s[28:29]
	s_mov_b64 s[30:31], s[20:21]
.LBB133_36:                             ; =>This Inner Loop Header: Depth=1
	s_clause 0x1
	s_load_b128 s[52:55], s[30:31], 0x4
	s_load_b64 s[42:43], s[30:31], 0x14
	s_load_b256 s[44:51], s[28:29], 0xe4
	s_add_co_i32 s22, s22, -2
	s_wait_xcnt 0x0
	s_add_nc_u64 s[30:31], s[30:31], 24
	s_cmp_eq_u32 s22, 0
	s_add_nc_u64 s[28:29], s[28:29], 32
	s_wait_kmcnt 0x0
	v_mul_hi_u32 v2, s53, v1
	s_delay_alu instid0(VALU_DEP_1) | instskip(NEXT) | instid1(VALU_DEP_1)
	v_add_nc_u32_e32 v2, v1, v2
	v_lshrrev_b32_e32 v2, s54, v2
	s_delay_alu instid0(VALU_DEP_1) | instskip(SKIP_1) | instid1(VALU_DEP_1)
	v_mul_hi_u32 v3, s42, v2
	v_mul_lo_u32 v8, v2, s52
	v_dual_add_nc_u32 v3, v2, v3 :: v_dual_sub_nc_u32 v8, v1, v8
	s_delay_alu instid0(VALU_DEP_1) | instskip(NEXT) | instid1(VALU_DEP_2)
	v_lshrrev_b32_e32 v1, s43, v3
	v_mad_u32 v5, v8, s45, v5
	v_mad_u32 v4, v8, s44, v4
	v_mad_u32 v7, v8, s47, v7
	v_mad_u32 v6, v8, s46, v6
	v_mul_lo_u32 v3, v1, s55
	s_delay_alu instid0(VALU_DEP_1) | instskip(NEXT) | instid1(VALU_DEP_1)
	v_sub_nc_u32_e32 v2, v2, v3
	v_mad_u32 v5, v2, s49, v5
	v_mad_u32 v4, v2, s48, v4
	;; [unrolled: 1-line block ×4, first 2 shown]
	s_cbranch_scc0 .LBB133_36
; %bb.37:
	s_bitcmp1_b32 s38, 0
	s_cselect_b32 s22, -1, 0
	s_delay_alu instid0(SALU_CYCLE_1)
	s_and_b32 vcc_lo, exec_lo, s22
	s_cbranch_vccnz .LBB133_41
; %bb.38:
	s_load_b96 s[48:50], s[30:31], 0x4
	s_load_b128 s[44:47], s[28:29], 0xe4
	s_wait_kmcnt 0x0
	v_mul_hi_u32 v2, s49, v1
	s_delay_alu instid0(VALU_DEP_1) | instskip(NEXT) | instid1(VALU_DEP_1)
	v_add_nc_u32_e32 v2, v1, v2
	v_lshrrev_b32_e32 v2, s50, v2
	s_delay_alu instid0(VALU_DEP_1) | instskip(NEXT) | instid1(VALU_DEP_1)
	v_mul_lo_u32 v2, v2, s48
	v_sub_nc_u32_e32 v1, v1, v2
	s_delay_alu instid0(VALU_DEP_1)
	v_mad_u32 v4, v1, s44, v4
	v_mad_u32 v5, v1, s45, v5
	;; [unrolled: 1-line block ×4, first 2 shown]
	s_branch .LBB133_41
.LBB133_39:
                                        ; implicit-def: $vgpr5
                                        ; implicit-def: $vgpr4
                                        ; implicit-def: $vgpr7
                                        ; implicit-def: $vgpr6
	s_branch .LBB133_42
.LBB133_40:
	v_dual_mov_b32 v5, 0 :: v_dual_mov_b32 v4, 0
	v_dual_mov_b32 v7, 0 :: v_dual_mov_b32 v6, 0
.LBB133_41:
	s_cbranch_execnz .LBB133_44
.LBB133_42:
	v_mov_b32_e32 v1, 0
	s_and_not1_b32 vcc_lo, exec_lo, s37
	s_delay_alu instid0(VALU_DEP_1) | instskip(NEXT) | instid1(VALU_DEP_1)
	v_mul_u64_e32 v[2:3], s[24:25], v[0:1]
	v_add_nc_u32_e32 v2, v0, v3
	s_delay_alu instid0(VALU_DEP_1) | instskip(NEXT) | instid1(VALU_DEP_1)
	v_lshrrev_b32_e32 v2, s18, v2
	v_mul_lo_u32 v3, v2, s16
	s_delay_alu instid0(VALU_DEP_1) | instskip(NEXT) | instid1(VALU_DEP_1)
	v_sub_nc_u32_e32 v3, v0, v3
	v_mul_lo_u32 v5, v3, s9
	v_mul_lo_u32 v4, v3, s8
	;; [unrolled: 1-line block ×4, first 2 shown]
	s_cbranch_vccnz .LBB133_44
; %bb.43:
	v_mov_b32_e32 v3, v1
	s_delay_alu instid0(VALU_DEP_1) | instskip(NEXT) | instid1(VALU_DEP_1)
	v_mul_u64_e32 v[8:9], s[26:27], v[2:3]
	v_add_nc_u32_e32 v1, v2, v9
	s_delay_alu instid0(VALU_DEP_1) | instskip(NEXT) | instid1(VALU_DEP_1)
	v_lshrrev_b32_e32 v1, s23, v1
	v_mul_lo_u32 v1, v1, s19
	s_delay_alu instid0(VALU_DEP_1) | instskip(NEXT) | instid1(VALU_DEP_1)
	v_sub_nc_u32_e32 v1, v2, v1
	v_mad_u32 v4, v1, s12, v4
	v_mad_u32 v5, v1, s13, v5
	;; [unrolled: 1-line block ×4, first 2 shown]
.LBB133_44:
	global_load_u16 v1, v5, s[2:3]
	global_load_u16 v2, v6, s[4:5]
	;; [unrolled: 1-line block ×3, first 2 shown]
	v_add_nc_u32_e32 v0, 0x80, v0
	s_wait_loadcnt 0x1
	v_max_i16 v1, v1, v2
	s_wait_loadcnt 0x0
	s_delay_alu instid0(VALU_DEP_1) | instskip(SKIP_3) | instid1(SALU_CYCLE_1)
	v_min_i16 v1, v1, v3
	global_store_b16 v4, v1, s[0:1]
	s_wait_xcnt 0x0
	s_or_b32 exec_lo, exec_lo, s17
	s_mov_b32 s17, exec_lo
	v_cmpx_gt_i32_e64 s39, v0
	s_cbranch_execz .LBB133_5
.LBB133_45:
	s_and_not1_b32 vcc_lo, exec_lo, s35
	s_cbranch_vccnz .LBB133_51
; %bb.46:
	s_and_not1_b32 vcc_lo, exec_lo, s40
	s_cbranch_vccnz .LBB133_52
; %bb.47:
	v_dual_mov_b32 v5, 0 :: v_dual_mov_b32 v1, v0
	v_dual_mov_b32 v7, 0 :: v_dual_mov_b32 v4, 0
	v_mov_b32_e32 v6, 0
	s_add_co_i32 s22, s38, 1
	s_mov_b64 s[28:29], 0xffffffffffffffe0
	s_and_b32 s22, s22, 30
	s_add_nc_u64 s[28:29], s[20:21], s[28:29]
	s_mov_b64 s[30:31], s[20:21]
.LBB133_48:                             ; =>This Inner Loop Header: Depth=1
	s_clause 0x1
	s_load_b128 s[52:55], s[30:31], 0x4
	s_load_b64 s[42:43], s[30:31], 0x14
	s_load_b256 s[44:51], s[28:29], 0xe4
	s_add_co_i32 s22, s22, -2
	s_wait_xcnt 0x0
	s_add_nc_u64 s[30:31], s[30:31], 24
	s_cmp_eq_u32 s22, 0
	s_add_nc_u64 s[28:29], s[28:29], 32
	s_wait_kmcnt 0x0
	v_mul_hi_u32 v2, s53, v1
	s_delay_alu instid0(VALU_DEP_1) | instskip(NEXT) | instid1(VALU_DEP_1)
	v_add_nc_u32_e32 v2, v1, v2
	v_lshrrev_b32_e32 v2, s54, v2
	s_delay_alu instid0(VALU_DEP_1) | instskip(SKIP_1) | instid1(VALU_DEP_1)
	v_mul_hi_u32 v3, s42, v2
	v_mul_lo_u32 v8, v2, s52
	v_dual_add_nc_u32 v3, v2, v3 :: v_dual_sub_nc_u32 v8, v1, v8
	s_delay_alu instid0(VALU_DEP_1) | instskip(NEXT) | instid1(VALU_DEP_2)
	v_lshrrev_b32_e32 v1, s43, v3
	v_mad_u32 v6, v8, s45, v6
	v_mad_u32 v4, v8, s44, v4
	;; [unrolled: 1-line block ×4, first 2 shown]
	v_mul_lo_u32 v3, v1, s55
	s_delay_alu instid0(VALU_DEP_1) | instskip(NEXT) | instid1(VALU_DEP_1)
	v_sub_nc_u32_e32 v2, v2, v3
	v_mad_u32 v6, v2, s49, v6
	v_mad_u32 v4, v2, s48, v4
	;; [unrolled: 1-line block ×4, first 2 shown]
	s_cbranch_scc0 .LBB133_48
; %bb.49:
	s_bitcmp1_b32 s38, 0
	s_cselect_b32 s22, -1, 0
	s_delay_alu instid0(SALU_CYCLE_1)
	s_and_b32 vcc_lo, exec_lo, s22
	s_cbranch_vccnz .LBB133_53
; %bb.50:
	s_load_b96 s[48:50], s[30:31], 0x4
	s_load_b128 s[44:47], s[28:29], 0xe4
	s_wait_kmcnt 0x0
	v_mul_hi_u32 v2, s49, v1
	s_delay_alu instid0(VALU_DEP_1) | instskip(NEXT) | instid1(VALU_DEP_1)
	v_add_nc_u32_e32 v2, v1, v2
	v_lshrrev_b32_e32 v2, s50, v2
	s_delay_alu instid0(VALU_DEP_1) | instskip(NEXT) | instid1(VALU_DEP_1)
	v_mul_lo_u32 v2, v2, s48
	v_sub_nc_u32_e32 v1, v1, v2
	s_delay_alu instid0(VALU_DEP_1)
	v_mad_u32 v4, v1, s44, v4
	v_mad_u32 v6, v1, s45, v6
	;; [unrolled: 1-line block ×4, first 2 shown]
	s_branch .LBB133_53
.LBB133_51:
                                        ; implicit-def: $vgpr6
                                        ; implicit-def: $vgpr4
                                        ; implicit-def: $vgpr7
                                        ; implicit-def: $vgpr5
	s_branch .LBB133_54
.LBB133_52:
	v_dual_mov_b32 v6, 0 :: v_dual_mov_b32 v4, 0
	v_dual_mov_b32 v7, 0 :: v_dual_mov_b32 v5, 0
.LBB133_53:
	s_cbranch_execnz .LBB133_56
.LBB133_54:
	v_mov_b32_e32 v1, 0
	s_and_not1_b32 vcc_lo, exec_lo, s37
	s_delay_alu instid0(VALU_DEP_1) | instskip(NEXT) | instid1(VALU_DEP_1)
	v_mul_u64_e32 v[2:3], s[24:25], v[0:1]
	v_add_nc_u32_e32 v2, v0, v3
	s_delay_alu instid0(VALU_DEP_1) | instskip(NEXT) | instid1(VALU_DEP_1)
	v_lshrrev_b32_e32 v2, s18, v2
	v_mul_lo_u32 v3, v2, s16
	s_delay_alu instid0(VALU_DEP_1) | instskip(NEXT) | instid1(VALU_DEP_1)
	v_sub_nc_u32_e32 v3, v0, v3
	v_mul_lo_u32 v6, v3, s9
	v_mul_lo_u32 v4, v3, s8
	;; [unrolled: 1-line block ×4, first 2 shown]
	s_cbranch_vccnz .LBB133_56
; %bb.55:
	v_mov_b32_e32 v3, v1
	s_delay_alu instid0(VALU_DEP_1) | instskip(NEXT) | instid1(VALU_DEP_1)
	v_mul_u64_e32 v[8:9], s[26:27], v[2:3]
	v_add_nc_u32_e32 v1, v2, v9
	s_delay_alu instid0(VALU_DEP_1) | instskip(NEXT) | instid1(VALU_DEP_1)
	v_lshrrev_b32_e32 v1, s23, v1
	v_mul_lo_u32 v1, v1, s19
	s_delay_alu instid0(VALU_DEP_1) | instskip(NEXT) | instid1(VALU_DEP_1)
	v_sub_nc_u32_e32 v1, v2, v1
	v_mad_u32 v4, v1, s12, v4
	v_mad_u32 v6, v1, s13, v6
	;; [unrolled: 1-line block ×4, first 2 shown]
.LBB133_56:
	global_load_u16 v1, v6, s[2:3]
	global_load_u16 v2, v5, s[4:5]
	;; [unrolled: 1-line block ×3, first 2 shown]
	v_add_nc_u32_e32 v0, 0x80, v0
	s_wait_loadcnt 0x1
	v_max_i16 v1, v1, v2
	s_wait_loadcnt 0x0
	s_delay_alu instid0(VALU_DEP_1) | instskip(SKIP_3) | instid1(SALU_CYCLE_1)
	v_min_i16 v1, v1, v3
	global_store_b16 v4, v1, s[0:1]
	s_wait_xcnt 0x0
	s_or_b32 exec_lo, exec_lo, s17
	s_mov_b32 s17, exec_lo
	v_cmpx_gt_i32_e64 s39, v0
	s_cbranch_execz .LBB133_6
.LBB133_57:
	s_and_not1_b32 vcc_lo, exec_lo, s35
	s_cbranch_vccnz .LBB133_63
; %bb.58:
	s_and_not1_b32 vcc_lo, exec_lo, s40
	s_cbranch_vccnz .LBB133_64
; %bb.59:
	v_dual_mov_b32 v6, 0 :: v_dual_mov_b32 v1, v0
	v_dual_mov_b32 v7, 0 :: v_dual_mov_b32 v4, 0
	v_mov_b32_e32 v5, 0
	s_add_co_i32 s22, s38, 1
	s_mov_b64 s[28:29], 0xffffffffffffffe0
	s_and_b32 s22, s22, 30
	s_add_nc_u64 s[28:29], s[20:21], s[28:29]
	s_mov_b64 s[30:31], s[20:21]
.LBB133_60:                             ; =>This Inner Loop Header: Depth=1
	s_clause 0x1
	s_load_b128 s[52:55], s[30:31], 0x4
	s_load_b64 s[42:43], s[30:31], 0x14
	s_load_b256 s[44:51], s[28:29], 0xe4
	s_add_co_i32 s22, s22, -2
	s_wait_xcnt 0x0
	s_add_nc_u64 s[30:31], s[30:31], 24
	s_cmp_eq_u32 s22, 0
	s_add_nc_u64 s[28:29], s[28:29], 32
	s_wait_kmcnt 0x0
	v_mul_hi_u32 v2, s53, v1
	s_delay_alu instid0(VALU_DEP_1) | instskip(NEXT) | instid1(VALU_DEP_1)
	v_add_nc_u32_e32 v2, v1, v2
	v_lshrrev_b32_e32 v2, s54, v2
	s_delay_alu instid0(VALU_DEP_1) | instskip(SKIP_1) | instid1(VALU_DEP_1)
	v_mul_hi_u32 v3, s42, v2
	v_mul_lo_u32 v8, v2, s52
	v_dual_add_nc_u32 v3, v2, v3 :: v_dual_sub_nc_u32 v8, v1, v8
	s_delay_alu instid0(VALU_DEP_1) | instskip(NEXT) | instid1(VALU_DEP_2)
	v_lshrrev_b32_e32 v1, s43, v3
	v_mad_u32 v5, v8, s45, v5
	v_mad_u32 v4, v8, s44, v4
	v_mad_u32 v7, v8, s47, v7
	v_mad_u32 v6, v8, s46, v6
	v_mul_lo_u32 v3, v1, s55
	s_delay_alu instid0(VALU_DEP_1) | instskip(NEXT) | instid1(VALU_DEP_1)
	v_sub_nc_u32_e32 v2, v2, v3
	v_mad_u32 v5, v2, s49, v5
	v_mad_u32 v4, v2, s48, v4
	;; [unrolled: 1-line block ×4, first 2 shown]
	s_cbranch_scc0 .LBB133_60
; %bb.61:
	s_bitcmp1_b32 s38, 0
	s_cselect_b32 s22, -1, 0
	s_delay_alu instid0(SALU_CYCLE_1)
	s_and_b32 vcc_lo, exec_lo, s22
	s_cbranch_vccnz .LBB133_65
; %bb.62:
	s_load_b96 s[48:50], s[30:31], 0x4
	s_load_b128 s[44:47], s[28:29], 0xe4
	s_wait_kmcnt 0x0
	v_mul_hi_u32 v2, s49, v1
	s_delay_alu instid0(VALU_DEP_1) | instskip(NEXT) | instid1(VALU_DEP_1)
	v_add_nc_u32_e32 v2, v1, v2
	v_lshrrev_b32_e32 v2, s50, v2
	s_delay_alu instid0(VALU_DEP_1) | instskip(NEXT) | instid1(VALU_DEP_1)
	v_mul_lo_u32 v2, v2, s48
	v_sub_nc_u32_e32 v1, v1, v2
	s_delay_alu instid0(VALU_DEP_1)
	v_mad_u32 v4, v1, s44, v4
	v_mad_u32 v5, v1, s45, v5
	;; [unrolled: 1-line block ×4, first 2 shown]
	s_branch .LBB133_65
.LBB133_63:
                                        ; implicit-def: $vgpr5
                                        ; implicit-def: $vgpr4
                                        ; implicit-def: $vgpr7
                                        ; implicit-def: $vgpr6
	s_branch .LBB133_66
.LBB133_64:
	v_dual_mov_b32 v5, 0 :: v_dual_mov_b32 v4, 0
	v_dual_mov_b32 v7, 0 :: v_dual_mov_b32 v6, 0
.LBB133_65:
	s_cbranch_execnz .LBB133_68
.LBB133_66:
	v_mov_b32_e32 v1, 0
	s_and_not1_b32 vcc_lo, exec_lo, s37
	s_delay_alu instid0(VALU_DEP_1) | instskip(NEXT) | instid1(VALU_DEP_1)
	v_mul_u64_e32 v[2:3], s[24:25], v[0:1]
	v_add_nc_u32_e32 v2, v0, v3
	s_delay_alu instid0(VALU_DEP_1) | instskip(NEXT) | instid1(VALU_DEP_1)
	v_lshrrev_b32_e32 v2, s18, v2
	v_mul_lo_u32 v3, v2, s16
	s_delay_alu instid0(VALU_DEP_1) | instskip(NEXT) | instid1(VALU_DEP_1)
	v_sub_nc_u32_e32 v3, v0, v3
	v_mul_lo_u32 v5, v3, s9
	v_mul_lo_u32 v4, v3, s8
	;; [unrolled: 1-line block ×4, first 2 shown]
	s_cbranch_vccnz .LBB133_68
; %bb.67:
	v_mov_b32_e32 v3, v1
	s_delay_alu instid0(VALU_DEP_1) | instskip(NEXT) | instid1(VALU_DEP_1)
	v_mul_u64_e32 v[8:9], s[26:27], v[2:3]
	v_add_nc_u32_e32 v1, v2, v9
	s_delay_alu instid0(VALU_DEP_1) | instskip(NEXT) | instid1(VALU_DEP_1)
	v_lshrrev_b32_e32 v1, s23, v1
	v_mul_lo_u32 v1, v1, s19
	s_delay_alu instid0(VALU_DEP_1) | instskip(NEXT) | instid1(VALU_DEP_1)
	v_sub_nc_u32_e32 v1, v2, v1
	v_mad_u32 v4, v1, s12, v4
	v_mad_u32 v5, v1, s13, v5
	;; [unrolled: 1-line block ×4, first 2 shown]
.LBB133_68:
	global_load_u16 v1, v5, s[2:3]
	global_load_u16 v2, v6, s[4:5]
	;; [unrolled: 1-line block ×3, first 2 shown]
	v_add_nc_u32_e32 v0, 0x80, v0
	s_wait_loadcnt 0x1
	v_max_i16 v1, v1, v2
	s_wait_loadcnt 0x0
	s_delay_alu instid0(VALU_DEP_1) | instskip(SKIP_3) | instid1(SALU_CYCLE_1)
	v_min_i16 v1, v1, v3
	global_store_b16 v4, v1, s[0:1]
	s_wait_xcnt 0x0
	s_or_b32 exec_lo, exec_lo, s17
	s_mov_b32 s17, exec_lo
	v_cmpx_gt_i32_e64 s39, v0
	s_cbranch_execz .LBB133_7
.LBB133_69:
	s_and_not1_b32 vcc_lo, exec_lo, s35
	s_cbranch_vccnz .LBB133_75
; %bb.70:
	s_and_not1_b32 vcc_lo, exec_lo, s40
	s_cbranch_vccnz .LBB133_76
; %bb.71:
	v_dual_mov_b32 v6, 0 :: v_dual_mov_b32 v1, v0
	v_dual_mov_b32 v7, 0 :: v_dual_mov_b32 v4, 0
	v_mov_b32_e32 v5, 0
	s_add_co_i32 s22, s38, 1
	s_mov_b64 s[28:29], 0xffffffffffffffe0
	s_and_b32 s22, s22, 30
	s_add_nc_u64 s[28:29], s[20:21], s[28:29]
	s_mov_b64 s[30:31], s[20:21]
.LBB133_72:                             ; =>This Inner Loop Header: Depth=1
	s_clause 0x1
	s_load_b128 s[52:55], s[30:31], 0x4
	s_load_b64 s[42:43], s[30:31], 0x14
	s_load_b256 s[44:51], s[28:29], 0xe4
	s_add_co_i32 s22, s22, -2
	s_wait_xcnt 0x0
	s_add_nc_u64 s[30:31], s[30:31], 24
	s_cmp_eq_u32 s22, 0
	s_add_nc_u64 s[28:29], s[28:29], 32
	s_wait_kmcnt 0x0
	v_mul_hi_u32 v2, s53, v1
	s_delay_alu instid0(VALU_DEP_1) | instskip(NEXT) | instid1(VALU_DEP_1)
	v_add_nc_u32_e32 v2, v1, v2
	v_lshrrev_b32_e32 v2, s54, v2
	s_delay_alu instid0(VALU_DEP_1) | instskip(SKIP_1) | instid1(VALU_DEP_1)
	v_mul_hi_u32 v3, s42, v2
	v_mul_lo_u32 v8, v2, s52
	v_dual_add_nc_u32 v3, v2, v3 :: v_dual_sub_nc_u32 v8, v1, v8
	s_delay_alu instid0(VALU_DEP_1) | instskip(NEXT) | instid1(VALU_DEP_2)
	v_lshrrev_b32_e32 v1, s43, v3
	v_mad_u32 v5, v8, s45, v5
	v_mad_u32 v4, v8, s44, v4
	;; [unrolled: 1-line block ×4, first 2 shown]
	v_mul_lo_u32 v3, v1, s55
	s_delay_alu instid0(VALU_DEP_1) | instskip(NEXT) | instid1(VALU_DEP_1)
	v_sub_nc_u32_e32 v2, v2, v3
	v_mad_u32 v5, v2, s49, v5
	v_mad_u32 v4, v2, s48, v4
	;; [unrolled: 1-line block ×4, first 2 shown]
	s_cbranch_scc0 .LBB133_72
; %bb.73:
	s_bitcmp1_b32 s38, 0
	s_cselect_b32 s22, -1, 0
	s_delay_alu instid0(SALU_CYCLE_1)
	s_and_b32 vcc_lo, exec_lo, s22
	s_cbranch_vccnz .LBB133_77
; %bb.74:
	s_load_b96 s[48:50], s[30:31], 0x4
	s_load_b128 s[44:47], s[28:29], 0xe4
	s_wait_kmcnt 0x0
	v_mul_hi_u32 v2, s49, v1
	s_delay_alu instid0(VALU_DEP_1) | instskip(NEXT) | instid1(VALU_DEP_1)
	v_add_nc_u32_e32 v2, v1, v2
	v_lshrrev_b32_e32 v2, s50, v2
	s_delay_alu instid0(VALU_DEP_1) | instskip(NEXT) | instid1(VALU_DEP_1)
	v_mul_lo_u32 v2, v2, s48
	v_sub_nc_u32_e32 v1, v1, v2
	s_delay_alu instid0(VALU_DEP_1)
	v_mad_u32 v4, v1, s44, v4
	v_mad_u32 v5, v1, s45, v5
	;; [unrolled: 1-line block ×4, first 2 shown]
	s_branch .LBB133_77
.LBB133_75:
                                        ; implicit-def: $vgpr5
                                        ; implicit-def: $vgpr4
                                        ; implicit-def: $vgpr7
                                        ; implicit-def: $vgpr6
	s_branch .LBB133_78
.LBB133_76:
	v_dual_mov_b32 v5, 0 :: v_dual_mov_b32 v4, 0
	v_dual_mov_b32 v7, 0 :: v_dual_mov_b32 v6, 0
.LBB133_77:
	s_cbranch_execnz .LBB133_80
.LBB133_78:
	v_mov_b32_e32 v1, 0
	s_and_not1_b32 vcc_lo, exec_lo, s37
	s_delay_alu instid0(VALU_DEP_1) | instskip(NEXT) | instid1(VALU_DEP_1)
	v_mul_u64_e32 v[2:3], s[24:25], v[0:1]
	v_add_nc_u32_e32 v2, v0, v3
	s_delay_alu instid0(VALU_DEP_1) | instskip(NEXT) | instid1(VALU_DEP_1)
	v_lshrrev_b32_e32 v2, s18, v2
	v_mul_lo_u32 v3, v2, s16
	s_delay_alu instid0(VALU_DEP_1) | instskip(NEXT) | instid1(VALU_DEP_1)
	v_sub_nc_u32_e32 v3, v0, v3
	v_mul_lo_u32 v5, v3, s9
	v_mul_lo_u32 v4, v3, s8
	;; [unrolled: 1-line block ×4, first 2 shown]
	s_cbranch_vccnz .LBB133_80
; %bb.79:
	v_mov_b32_e32 v3, v1
	s_delay_alu instid0(VALU_DEP_1) | instskip(NEXT) | instid1(VALU_DEP_1)
	v_mul_u64_e32 v[8:9], s[26:27], v[2:3]
	v_add_nc_u32_e32 v1, v2, v9
	s_delay_alu instid0(VALU_DEP_1) | instskip(NEXT) | instid1(VALU_DEP_1)
	v_lshrrev_b32_e32 v1, s23, v1
	v_mul_lo_u32 v1, v1, s19
	s_delay_alu instid0(VALU_DEP_1) | instskip(NEXT) | instid1(VALU_DEP_1)
	v_sub_nc_u32_e32 v1, v2, v1
	v_mad_u32 v4, v1, s12, v4
	v_mad_u32 v5, v1, s13, v5
	;; [unrolled: 1-line block ×4, first 2 shown]
.LBB133_80:
	global_load_u16 v1, v5, s[2:3]
	global_load_u16 v2, v6, s[4:5]
	;; [unrolled: 1-line block ×3, first 2 shown]
	v_add_nc_u32_e32 v0, 0x80, v0
	s_wait_loadcnt 0x1
	v_max_i16 v1, v1, v2
	s_wait_loadcnt 0x0
	s_delay_alu instid0(VALU_DEP_1) | instskip(SKIP_3) | instid1(SALU_CYCLE_1)
	v_min_i16 v1, v1, v3
	global_store_b16 v4, v1, s[0:1]
	s_wait_xcnt 0x0
	s_or_b32 exec_lo, exec_lo, s17
	s_mov_b32 s17, exec_lo
	v_cmpx_gt_i32_e64 s39, v0
	s_cbranch_execz .LBB133_8
.LBB133_81:
	s_and_not1_b32 vcc_lo, exec_lo, s35
	s_cbranch_vccnz .LBB133_87
; %bb.82:
	s_and_not1_b32 vcc_lo, exec_lo, s40
	s_cbranch_vccnz .LBB133_88
; %bb.83:
	v_dual_mov_b32 v5, 0 :: v_dual_mov_b32 v1, v0
	v_dual_mov_b32 v7, 0 :: v_dual_mov_b32 v4, 0
	v_mov_b32_e32 v6, 0
	s_add_co_i32 s22, s38, 1
	s_mov_b64 s[28:29], 0xffffffffffffffe0
	s_and_b32 s22, s22, 30
	s_add_nc_u64 s[28:29], s[20:21], s[28:29]
	s_mov_b64 s[30:31], s[20:21]
.LBB133_84:                             ; =>This Inner Loop Header: Depth=1
	s_clause 0x1
	s_load_b128 s[52:55], s[30:31], 0x4
	s_load_b64 s[42:43], s[30:31], 0x14
	s_load_b256 s[44:51], s[28:29], 0xe4
	s_add_co_i32 s22, s22, -2
	s_wait_xcnt 0x0
	s_add_nc_u64 s[30:31], s[30:31], 24
	s_cmp_eq_u32 s22, 0
	s_add_nc_u64 s[28:29], s[28:29], 32
	s_wait_kmcnt 0x0
	v_mul_hi_u32 v2, s53, v1
	s_delay_alu instid0(VALU_DEP_1) | instskip(NEXT) | instid1(VALU_DEP_1)
	v_add_nc_u32_e32 v2, v1, v2
	v_lshrrev_b32_e32 v2, s54, v2
	s_delay_alu instid0(VALU_DEP_1) | instskip(SKIP_1) | instid1(VALU_DEP_1)
	v_mul_hi_u32 v3, s42, v2
	v_mul_lo_u32 v8, v2, s52
	v_dual_add_nc_u32 v3, v2, v3 :: v_dual_sub_nc_u32 v8, v1, v8
	s_delay_alu instid0(VALU_DEP_1) | instskip(NEXT) | instid1(VALU_DEP_2)
	v_lshrrev_b32_e32 v1, s43, v3
	v_mad_u32 v6, v8, s45, v6
	v_mad_u32 v4, v8, s44, v4
	;; [unrolled: 1-line block ×4, first 2 shown]
	v_mul_lo_u32 v3, v1, s55
	s_delay_alu instid0(VALU_DEP_1) | instskip(NEXT) | instid1(VALU_DEP_1)
	v_sub_nc_u32_e32 v2, v2, v3
	v_mad_u32 v6, v2, s49, v6
	v_mad_u32 v4, v2, s48, v4
	;; [unrolled: 1-line block ×4, first 2 shown]
	s_cbranch_scc0 .LBB133_84
; %bb.85:
	s_bitcmp1_b32 s38, 0
	s_cselect_b32 s22, -1, 0
	s_delay_alu instid0(SALU_CYCLE_1)
	s_and_b32 vcc_lo, exec_lo, s22
	s_cbranch_vccnz .LBB133_89
; %bb.86:
	s_load_b96 s[48:50], s[30:31], 0x4
	s_load_b128 s[44:47], s[28:29], 0xe4
	s_wait_kmcnt 0x0
	v_mul_hi_u32 v2, s49, v1
	s_delay_alu instid0(VALU_DEP_1) | instskip(NEXT) | instid1(VALU_DEP_1)
	v_add_nc_u32_e32 v2, v1, v2
	v_lshrrev_b32_e32 v2, s50, v2
	s_delay_alu instid0(VALU_DEP_1) | instskip(NEXT) | instid1(VALU_DEP_1)
	v_mul_lo_u32 v2, v2, s48
	v_sub_nc_u32_e32 v1, v1, v2
	s_delay_alu instid0(VALU_DEP_1)
	v_mad_u32 v4, v1, s44, v4
	v_mad_u32 v6, v1, s45, v6
	;; [unrolled: 1-line block ×4, first 2 shown]
	s_branch .LBB133_89
.LBB133_87:
                                        ; implicit-def: $vgpr6
                                        ; implicit-def: $vgpr4
                                        ; implicit-def: $vgpr7
                                        ; implicit-def: $vgpr5
	s_branch .LBB133_90
.LBB133_88:
	v_dual_mov_b32 v6, 0 :: v_dual_mov_b32 v4, 0
	v_dual_mov_b32 v7, 0 :: v_dual_mov_b32 v5, 0
.LBB133_89:
	s_cbranch_execnz .LBB133_92
.LBB133_90:
	v_mov_b32_e32 v1, 0
	s_and_not1_b32 vcc_lo, exec_lo, s37
	s_delay_alu instid0(VALU_DEP_1) | instskip(NEXT) | instid1(VALU_DEP_1)
	v_mul_u64_e32 v[2:3], s[24:25], v[0:1]
	v_add_nc_u32_e32 v2, v0, v3
	s_delay_alu instid0(VALU_DEP_1) | instskip(NEXT) | instid1(VALU_DEP_1)
	v_lshrrev_b32_e32 v2, s18, v2
	v_mul_lo_u32 v3, v2, s16
	s_delay_alu instid0(VALU_DEP_1) | instskip(NEXT) | instid1(VALU_DEP_1)
	v_sub_nc_u32_e32 v3, v0, v3
	v_mul_lo_u32 v6, v3, s9
	v_mul_lo_u32 v4, v3, s8
	;; [unrolled: 1-line block ×4, first 2 shown]
	s_cbranch_vccnz .LBB133_92
; %bb.91:
	v_mov_b32_e32 v3, v1
	s_delay_alu instid0(VALU_DEP_1) | instskip(NEXT) | instid1(VALU_DEP_1)
	v_mul_u64_e32 v[8:9], s[26:27], v[2:3]
	v_add_nc_u32_e32 v1, v2, v9
	s_delay_alu instid0(VALU_DEP_1) | instskip(NEXT) | instid1(VALU_DEP_1)
	v_lshrrev_b32_e32 v1, s23, v1
	v_mul_lo_u32 v1, v1, s19
	s_delay_alu instid0(VALU_DEP_1) | instskip(NEXT) | instid1(VALU_DEP_1)
	v_sub_nc_u32_e32 v1, v2, v1
	v_mad_u32 v4, v1, s12, v4
	v_mad_u32 v6, v1, s13, v6
	v_mad_u32 v5, v1, s14, v5
	v_mad_u32 v7, v1, s15, v7
.LBB133_92:
	global_load_u16 v1, v6, s[2:3]
	global_load_u16 v2, v5, s[4:5]
	;; [unrolled: 1-line block ×3, first 2 shown]
	v_add_nc_u32_e32 v0, 0x80, v0
	s_wait_loadcnt 0x1
	v_max_i16 v1, v1, v2
	s_wait_loadcnt 0x0
	s_delay_alu instid0(VALU_DEP_1) | instskip(SKIP_3) | instid1(SALU_CYCLE_1)
	v_min_i16 v1, v1, v3
	global_store_b16 v4, v1, s[0:1]
	s_wait_xcnt 0x0
	s_or_b32 exec_lo, exec_lo, s17
	s_mov_b32 s17, exec_lo
	v_cmpx_gt_i32_e64 s39, v0
	s_cbranch_execz .LBB133_105
.LBB133_93:
	s_and_not1_b32 vcc_lo, exec_lo, s35
	s_cbranch_vccnz .LBB133_99
; %bb.94:
	s_and_not1_b32 vcc_lo, exec_lo, s40
	s_cbranch_vccnz .LBB133_100
; %bb.95:
	v_dual_mov_b32 v5, 0 :: v_dual_mov_b32 v1, v0
	v_dual_mov_b32 v7, 0 :: v_dual_mov_b32 v4, 0
	v_mov_b32_e32 v6, 0
	s_add_co_i32 s22, s38, 1
	s_mov_b64 s[28:29], 0xffffffffffffffe0
	s_and_b32 s22, s22, 30
	s_add_nc_u64 s[28:29], s[20:21], s[28:29]
	s_mov_b64 s[30:31], s[20:21]
.LBB133_96:                             ; =>This Inner Loop Header: Depth=1
	s_clause 0x1
	s_load_b128 s[48:51], s[30:31], 0x4
	s_load_b64 s[52:53], s[30:31], 0x14
	s_load_b256 s[40:47], s[28:29], 0xe4
	s_add_co_i32 s22, s22, -2
	s_wait_xcnt 0x0
	s_add_nc_u64 s[30:31], s[30:31], 24
	s_cmp_eq_u32 s22, 0
	s_add_nc_u64 s[28:29], s[28:29], 32
	s_wait_kmcnt 0x0
	v_mul_hi_u32 v2, s49, v1
	s_delay_alu instid0(VALU_DEP_1) | instskip(NEXT) | instid1(VALU_DEP_1)
	v_add_nc_u32_e32 v2, v1, v2
	v_lshrrev_b32_e32 v2, s50, v2
	s_delay_alu instid0(VALU_DEP_1) | instskip(SKIP_1) | instid1(VALU_DEP_1)
	v_mul_hi_u32 v3, s52, v2
	v_mul_lo_u32 v8, v2, s48
	v_dual_add_nc_u32 v3, v2, v3 :: v_dual_sub_nc_u32 v8, v1, v8
	s_delay_alu instid0(VALU_DEP_1) | instskip(NEXT) | instid1(VALU_DEP_2)
	v_lshrrev_b32_e32 v1, s53, v3
	v_mad_u32 v6, v8, s41, v6
	v_mad_u32 v4, v8, s40, v4
	;; [unrolled: 1-line block ×4, first 2 shown]
	v_mul_lo_u32 v3, v1, s51
	s_delay_alu instid0(VALU_DEP_1) | instskip(NEXT) | instid1(VALU_DEP_1)
	v_sub_nc_u32_e32 v2, v2, v3
	v_mad_u32 v6, v2, s45, v6
	v_mad_u32 v4, v2, s44, v4
	;; [unrolled: 1-line block ×4, first 2 shown]
	s_cbranch_scc0 .LBB133_96
; %bb.97:
	s_bitcmp1_b32 s38, 0
	s_cselect_b32 s22, -1, 0
	s_delay_alu instid0(SALU_CYCLE_1)
	s_and_b32 vcc_lo, exec_lo, s22
	s_cbranch_vccnz .LBB133_101
; %bb.98:
	s_load_b96 s[44:46], s[30:31], 0x4
	s_load_b128 s[40:43], s[28:29], 0xe4
	s_wait_kmcnt 0x0
	v_mul_hi_u32 v2, s45, v1
	s_delay_alu instid0(VALU_DEP_1) | instskip(NEXT) | instid1(VALU_DEP_1)
	v_add_nc_u32_e32 v2, v1, v2
	v_lshrrev_b32_e32 v2, s46, v2
	s_delay_alu instid0(VALU_DEP_1) | instskip(NEXT) | instid1(VALU_DEP_1)
	v_mul_lo_u32 v2, v2, s44
	v_sub_nc_u32_e32 v1, v1, v2
	s_delay_alu instid0(VALU_DEP_1)
	v_mad_u32 v4, v1, s40, v4
	v_mad_u32 v6, v1, s41, v6
	;; [unrolled: 1-line block ×4, first 2 shown]
	s_branch .LBB133_101
.LBB133_99:
                                        ; implicit-def: $vgpr6
                                        ; implicit-def: $vgpr4
                                        ; implicit-def: $vgpr7
                                        ; implicit-def: $vgpr5
	s_branch .LBB133_102
.LBB133_100:
	v_dual_mov_b32 v6, 0 :: v_dual_mov_b32 v4, 0
	v_dual_mov_b32 v7, 0 :: v_dual_mov_b32 v5, 0
.LBB133_101:
	s_cbranch_execnz .LBB133_104
.LBB133_102:
	v_mov_b32_e32 v1, 0
	s_and_not1_b32 vcc_lo, exec_lo, s37
	s_delay_alu instid0(VALU_DEP_1) | instskip(NEXT) | instid1(VALU_DEP_1)
	v_mul_u64_e32 v[2:3], s[24:25], v[0:1]
	v_add_nc_u32_e32 v2, v0, v3
	s_delay_alu instid0(VALU_DEP_1) | instskip(NEXT) | instid1(VALU_DEP_1)
	v_lshrrev_b32_e32 v2, s18, v2
	v_mul_lo_u32 v3, v2, s16
	s_delay_alu instid0(VALU_DEP_1) | instskip(NEXT) | instid1(VALU_DEP_1)
	v_sub_nc_u32_e32 v0, v0, v3
	v_mul_lo_u32 v6, v0, s9
	v_mul_lo_u32 v4, v0, s8
	;; [unrolled: 1-line block ×4, first 2 shown]
	s_cbranch_vccnz .LBB133_104
; %bb.103:
	v_mov_b32_e32 v3, v1
	s_delay_alu instid0(VALU_DEP_1) | instskip(NEXT) | instid1(VALU_DEP_1)
	v_mul_u64_e32 v[0:1], s[26:27], v[2:3]
	v_add_nc_u32_e32 v0, v2, v1
	s_delay_alu instid0(VALU_DEP_1) | instskip(NEXT) | instid1(VALU_DEP_1)
	v_lshrrev_b32_e32 v0, s23, v0
	v_mul_lo_u32 v0, v0, s19
	s_delay_alu instid0(VALU_DEP_1) | instskip(NEXT) | instid1(VALU_DEP_1)
	v_sub_nc_u32_e32 v0, v2, v0
	v_mad_u32 v4, v0, s12, v4
	v_mad_u32 v6, v0, s13, v6
	;; [unrolled: 1-line block ×4, first 2 shown]
.LBB133_104:
	global_load_u16 v0, v6, s[2:3]
	global_load_u16 v1, v5, s[4:5]
	;; [unrolled: 1-line block ×3, first 2 shown]
	s_wait_loadcnt 0x1
	v_max_i16 v0, v0, v1
	s_wait_loadcnt 0x0
	s_delay_alu instid0(VALU_DEP_1)
	v_min_i16 v0, v0, v2
	global_store_b16 v4, v0, s[0:1]
.LBB133_105:
	s_wait_xcnt 0x0
	s_or_b32 exec_lo, exec_lo, s17
                                        ; implicit-def: $vgpr5
                                        ; implicit-def: $vgpr0
.LBB133_106:
	s_and_not1_saveexec_b32 s0, s36
	s_cbranch_execz .LBB133_113
; %bb.107:
	v_cndmask_b32_e64 v10, 0, 1, s35
	s_and_not1_b32 vcc_lo, exec_lo, s35
	s_cbranch_vccnz .LBB133_114
; %bb.108:
	s_cmp_lg_u32 s33, 0
	s_mov_b32 s4, 0
	s_cbranch_scc0 .LBB133_118
; %bb.109:
	s_min_u32 s5, s34, 15
	v_dual_mov_b32 v4, 0 :: v_dual_mov_b32 v6, v0
	v_dual_mov_b32 v2, 0 :: v_dual_mov_b32 v1, 0
	v_mov_b32_e32 v3, 0
	s_add_co_i32 s2, s5, 1
	s_mov_b64 s[0:1], 0xffffffffffffffe0
	s_and_b32 s6, s2, 30
	s_add_nc_u64 s[0:1], s[20:21], s[0:1]
	s_mov_b64 s[2:3], s[20:21]
.LBB133_110:                            ; =>This Inner Loop Header: Depth=1
	s_clause 0x1
	s_load_b128 s[16:19], s[2:3], 0x4
	s_load_b64 s[22:23], s[2:3], 0x14
	s_load_b256 s[8:15], s[0:1], 0xe4
	s_add_co_i32 s6, s6, -2
	s_wait_xcnt 0x0
	s_add_nc_u64 s[2:3], s[2:3], 24
	s_cmp_lg_u32 s6, 0
	s_add_nc_u64 s[0:1], s[0:1], 32
	s_wait_kmcnt 0x0
	v_mul_hi_u32 v7, s17, v6
	s_delay_alu instid0(VALU_DEP_1) | instskip(NEXT) | instid1(VALU_DEP_1)
	v_add_nc_u32_e32 v7, v6, v7
	v_lshrrev_b32_e32 v7, s18, v7
	s_delay_alu instid0(VALU_DEP_1) | instskip(SKIP_1) | instid1(VALU_DEP_1)
	v_mul_hi_u32 v8, s22, v7
	v_mul_lo_u32 v9, v7, s16
	v_dual_add_nc_u32 v8, v7, v8 :: v_dual_sub_nc_u32 v9, v6, v9
	s_delay_alu instid0(VALU_DEP_1) | instskip(NEXT) | instid1(VALU_DEP_2)
	v_lshrrev_b32_e32 v6, s23, v8
	v_mad_u32 v3, v9, s9, v3
	v_mad_u32 v1, v9, s8, v1
	;; [unrolled: 1-line block ×4, first 2 shown]
	v_mul_lo_u32 v8, v6, s19
	s_delay_alu instid0(VALU_DEP_1) | instskip(NEXT) | instid1(VALU_DEP_1)
	v_sub_nc_u32_e32 v7, v7, v8
	v_mad_u32 v3, v7, s13, v3
	v_mad_u32 v1, v7, s12, v1
	;; [unrolled: 1-line block ×4, first 2 shown]
	s_cbranch_scc1 .LBB133_110
; %bb.111:
	s_bitcmp1_b32 s5, 0
	s_cselect_b32 s5, -1, 0
	s_delay_alu instid0(SALU_CYCLE_1)
	s_and_b32 vcc_lo, exec_lo, s5
	s_cbranch_vccnz .LBB133_115
; %bb.112:
	s_load_b96 s[12:14], s[2:3], 0x4
	s_load_b128 s[8:11], s[0:1], 0xe4
	s_wait_kmcnt 0x0
	v_mul_hi_u32 v7, s13, v6
	s_delay_alu instid0(VALU_DEP_1) | instskip(NEXT) | instid1(VALU_DEP_1)
	v_add_nc_u32_e32 v7, v6, v7
	v_lshrrev_b32_e32 v7, s14, v7
	s_delay_alu instid0(VALU_DEP_1) | instskip(NEXT) | instid1(VALU_DEP_1)
	v_mul_lo_u32 v7, v7, s12
	v_sub_nc_u32_e32 v6, v6, v7
	s_delay_alu instid0(VALU_DEP_1)
	v_mad_u32 v1, v6, s8, v1
	v_mad_u32 v3, v6, s9, v3
	;; [unrolled: 1-line block ×4, first 2 shown]
	s_and_not1_b32 vcc_lo, exec_lo, s4
	s_cbranch_vccz .LBB133_116
	s_branch .LBB133_119
.LBB133_113:
	s_endpgm
.LBB133_114:
	s_mov_b32 s4, -1
                                        ; implicit-def: $vgpr3
                                        ; implicit-def: $vgpr1
                                        ; implicit-def: $vgpr2
                                        ; implicit-def: $vgpr4
.LBB133_115:
	s_delay_alu instid0(SALU_CYCLE_1)
	s_and_not1_b32 vcc_lo, exec_lo, s4
	s_cbranch_vccnz .LBB133_119
.LBB133_116:
	s_clause 0x1
	s_load_b96 s[4:6], s[20:21], 0x4
	s_load_b128 s[0:3], s[20:21], 0xc4
	s_cmp_lt_u32 s33, 2
	s_wait_kmcnt 0x0
	v_mul_hi_u32 v1, s5, v0
	s_delay_alu instid0(VALU_DEP_1) | instskip(NEXT) | instid1(VALU_DEP_1)
	v_add_nc_u32_e32 v1, v0, v1
	v_lshrrev_b32_e32 v6, s6, v1
	s_delay_alu instid0(VALU_DEP_1) | instskip(NEXT) | instid1(VALU_DEP_1)
	v_mul_lo_u32 v1, v6, s4
	v_sub_nc_u32_e32 v4, v0, v1
	s_delay_alu instid0(VALU_DEP_1)
	v_mul_lo_u32 v3, v4, s1
	v_mul_lo_u32 v1, v4, s0
	;; [unrolled: 1-line block ×4, first 2 shown]
	s_cbranch_scc1 .LBB133_119
; %bb.117:
	s_clause 0x1
	s_load_b96 s[4:6], s[20:21], 0x10
	s_load_b128 s[0:3], s[20:21], 0xd4
	s_wait_kmcnt 0x0
	v_mul_hi_u32 v7, s5, v6
	s_delay_alu instid0(VALU_DEP_1) | instskip(NEXT) | instid1(VALU_DEP_1)
	v_add_nc_u32_e32 v7, v6, v7
	v_lshrrev_b32_e32 v7, s6, v7
	s_delay_alu instid0(VALU_DEP_1) | instskip(NEXT) | instid1(VALU_DEP_1)
	v_mul_lo_u32 v7, v7, s4
	v_sub_nc_u32_e32 v6, v6, v7
	s_delay_alu instid0(VALU_DEP_1)
	v_mad_u32 v1, v6, s0, v1
	v_mad_u32 v3, v6, s1, v3
	;; [unrolled: 1-line block ×4, first 2 shown]
	s_branch .LBB133_119
.LBB133_118:
	v_dual_mov_b32 v3, 0 :: v_dual_mov_b32 v1, 0
	v_dual_mov_b32 v2, 0 :: v_dual_mov_b32 v4, 0
	s_and_not1_b32 vcc_lo, exec_lo, s4
	s_cbranch_vccz .LBB133_116
.LBB133_119:
	v_cmp_ne_u32_e32 vcc_lo, 1, v10
	v_add_nc_u32_e32 v11, 0x80, v0
	s_cbranch_vccnz .LBB133_125
; %bb.120:
	s_cmp_lg_u32 s33, 0
	s_mov_b32 s4, 0
	s_cbranch_scc0 .LBB133_129
; %bb.121:
	s_min_u32 s5, s34, 15
	v_dual_mov_b32 v8, 0 :: v_dual_mov_b32 v12, v11
	v_dual_mov_b32 v7, 0 :: v_dual_mov_b32 v6, 0
	v_mov_b32_e32 v9, 0
	s_add_co_i32 s2, s5, 1
	s_mov_b64 s[0:1], 0xffffffffffffffe0
	s_and_b32 s6, s2, 30
	s_add_nc_u64 s[0:1], s[20:21], s[0:1]
	s_mov_b64 s[2:3], s[20:21]
.LBB133_122:                            ; =>This Inner Loop Header: Depth=1
	s_clause 0x1
	s_load_b128 s[16:19], s[2:3], 0x4
	s_load_b64 s[22:23], s[2:3], 0x14
	s_load_b256 s[8:15], s[0:1], 0xe4
	s_add_co_i32 s6, s6, -2
	s_wait_xcnt 0x0
	s_add_nc_u64 s[2:3], s[2:3], 24
	s_cmp_lg_u32 s6, 0
	s_add_nc_u64 s[0:1], s[0:1], 32
	s_wait_kmcnt 0x0
	v_mul_hi_u32 v13, s17, v12
	s_delay_alu instid0(VALU_DEP_1) | instskip(NEXT) | instid1(VALU_DEP_1)
	v_add_nc_u32_e32 v13, v12, v13
	v_lshrrev_b32_e32 v13, s18, v13
	s_delay_alu instid0(VALU_DEP_1) | instskip(SKIP_1) | instid1(VALU_DEP_1)
	v_mul_hi_u32 v14, s22, v13
	v_mul_lo_u32 v15, v13, s16
	v_dual_add_nc_u32 v14, v13, v14 :: v_dual_sub_nc_u32 v15, v12, v15
	s_delay_alu instid0(VALU_DEP_1) | instskip(NEXT) | instid1(VALU_DEP_2)
	v_lshrrev_b32_e32 v12, s23, v14
	v_mad_u32 v9, v15, s9, v9
	v_mad_u32 v6, v15, s8, v6
	;; [unrolled: 1-line block ×4, first 2 shown]
	v_mul_lo_u32 v14, v12, s19
	s_delay_alu instid0(VALU_DEP_1) | instskip(NEXT) | instid1(VALU_DEP_1)
	v_sub_nc_u32_e32 v13, v13, v14
	v_mad_u32 v9, v13, s13, v9
	v_mad_u32 v6, v13, s12, v6
	;; [unrolled: 1-line block ×4, first 2 shown]
	s_cbranch_scc1 .LBB133_122
; %bb.123:
	s_bitcmp1_b32 s5, 0
	s_cselect_b32 s5, -1, 0
	s_delay_alu instid0(SALU_CYCLE_1)
	s_and_b32 vcc_lo, exec_lo, s5
	s_cbranch_vccnz .LBB133_126
; %bb.124:
	s_load_b96 s[12:14], s[2:3], 0x4
	s_load_b128 s[8:11], s[0:1], 0xe4
	s_wait_kmcnt 0x0
	v_mul_hi_u32 v13, s13, v12
	s_delay_alu instid0(VALU_DEP_1) | instskip(NEXT) | instid1(VALU_DEP_1)
	v_add_nc_u32_e32 v13, v12, v13
	v_lshrrev_b32_e32 v13, s14, v13
	s_delay_alu instid0(VALU_DEP_1) | instskip(NEXT) | instid1(VALU_DEP_1)
	v_mul_lo_u32 v13, v13, s12
	v_sub_nc_u32_e32 v12, v12, v13
	s_delay_alu instid0(VALU_DEP_1)
	v_mad_u32 v6, v12, s8, v6
	v_mad_u32 v9, v12, s9, v9
	;; [unrolled: 1-line block ×4, first 2 shown]
	s_and_not1_b32 vcc_lo, exec_lo, s4
	s_cbranch_vccz .LBB133_127
	s_branch .LBB133_130
.LBB133_125:
	s_mov_b32 s4, -1
                                        ; implicit-def: $vgpr9
                                        ; implicit-def: $vgpr6
                                        ; implicit-def: $vgpr7
                                        ; implicit-def: $vgpr8
.LBB133_126:
	s_delay_alu instid0(SALU_CYCLE_1)
	s_and_not1_b32 vcc_lo, exec_lo, s4
	s_cbranch_vccnz .LBB133_130
.LBB133_127:
	s_clause 0x1
	s_load_b96 s[4:6], s[20:21], 0x4
	s_load_b128 s[0:3], s[20:21], 0xc4
	s_cmp_lt_u32 s33, 2
	s_wait_kmcnt 0x0
	v_mul_hi_u32 v6, s5, v11
	s_delay_alu instid0(VALU_DEP_1) | instskip(NEXT) | instid1(VALU_DEP_1)
	v_add_nc_u32_e32 v6, v11, v6
	v_lshrrev_b32_e32 v12, s6, v6
	s_delay_alu instid0(VALU_DEP_1) | instskip(NEXT) | instid1(VALU_DEP_1)
	v_mul_lo_u32 v6, v12, s4
	v_sub_nc_u32_e32 v8, v11, v6
	s_delay_alu instid0(VALU_DEP_1)
	v_mul_lo_u32 v9, v8, s1
	v_mul_lo_u32 v6, v8, s0
	;; [unrolled: 1-line block ×4, first 2 shown]
	s_cbranch_scc1 .LBB133_130
; %bb.128:
	s_clause 0x1
	s_load_b96 s[4:6], s[20:21], 0x10
	s_load_b128 s[0:3], s[20:21], 0xd4
	s_wait_kmcnt 0x0
	v_mul_hi_u32 v11, s5, v12
	s_delay_alu instid0(VALU_DEP_1) | instskip(NEXT) | instid1(VALU_DEP_1)
	v_add_nc_u32_e32 v11, v12, v11
	v_lshrrev_b32_e32 v11, s6, v11
	s_delay_alu instid0(VALU_DEP_1) | instskip(NEXT) | instid1(VALU_DEP_1)
	v_mul_lo_u32 v11, v11, s4
	v_sub_nc_u32_e32 v11, v12, v11
	s_delay_alu instid0(VALU_DEP_1)
	v_mad_u32 v6, v11, s0, v6
	v_mad_u32 v9, v11, s1, v9
	;; [unrolled: 1-line block ×4, first 2 shown]
	s_branch .LBB133_130
.LBB133_129:
	v_dual_mov_b32 v9, 0 :: v_dual_mov_b32 v6, 0
	v_dual_mov_b32 v7, 0 :: v_dual_mov_b32 v8, 0
	s_and_not1_b32 vcc_lo, exec_lo, s4
	s_cbranch_vccz .LBB133_127
.LBB133_130:
	v_cmp_ne_u32_e32 vcc_lo, 1, v10
	v_add_nc_u32_e32 v15, 0x100, v0
	s_cbranch_vccnz .LBB133_136
; %bb.131:
	s_cmp_lg_u32 s33, 0
	s_mov_b32 s4, 0
	s_cbranch_scc0 .LBB133_140
; %bb.132:
	s_min_u32 s5, s34, 15
	v_dual_mov_b32 v14, 0 :: v_dual_mov_b32 v16, v15
	v_dual_mov_b32 v12, 0 :: v_dual_mov_b32 v11, 0
	v_mov_b32_e32 v13, 0
	s_add_co_i32 s2, s5, 1
	s_mov_b64 s[0:1], 0xffffffffffffffe0
	s_and_b32 s6, s2, 30
	s_add_nc_u64 s[0:1], s[20:21], s[0:1]
	s_mov_b64 s[2:3], s[20:21]
.LBB133_133:                            ; =>This Inner Loop Header: Depth=1
	s_clause 0x1
	s_load_b128 s[16:19], s[2:3], 0x4
	s_load_b64 s[22:23], s[2:3], 0x14
	s_load_b256 s[8:15], s[0:1], 0xe4
	s_add_co_i32 s6, s6, -2
	s_wait_xcnt 0x0
	s_add_nc_u64 s[2:3], s[2:3], 24
	s_cmp_lg_u32 s6, 0
	s_add_nc_u64 s[0:1], s[0:1], 32
	s_wait_kmcnt 0x0
	v_mul_hi_u32 v17, s17, v16
	s_delay_alu instid0(VALU_DEP_1) | instskip(NEXT) | instid1(VALU_DEP_1)
	v_add_nc_u32_e32 v17, v16, v17
	v_lshrrev_b32_e32 v17, s18, v17
	s_delay_alu instid0(VALU_DEP_1) | instskip(SKIP_1) | instid1(VALU_DEP_1)
	v_mul_hi_u32 v18, s22, v17
	v_mul_lo_u32 v19, v17, s16
	v_dual_add_nc_u32 v18, v17, v18 :: v_dual_sub_nc_u32 v19, v16, v19
	s_delay_alu instid0(VALU_DEP_1) | instskip(NEXT) | instid1(VALU_DEP_2)
	v_lshrrev_b32_e32 v16, s23, v18
	v_mad_u32 v13, v19, s9, v13
	v_mad_u32 v11, v19, s8, v11
	;; [unrolled: 1-line block ×4, first 2 shown]
	v_mul_lo_u32 v18, v16, s19
	s_delay_alu instid0(VALU_DEP_1) | instskip(NEXT) | instid1(VALU_DEP_1)
	v_sub_nc_u32_e32 v17, v17, v18
	v_mad_u32 v13, v17, s13, v13
	v_mad_u32 v11, v17, s12, v11
	;; [unrolled: 1-line block ×4, first 2 shown]
	s_cbranch_scc1 .LBB133_133
; %bb.134:
	s_bitcmp1_b32 s5, 0
	s_cselect_b32 s5, -1, 0
	s_delay_alu instid0(SALU_CYCLE_1)
	s_and_b32 vcc_lo, exec_lo, s5
	s_cbranch_vccnz .LBB133_137
; %bb.135:
	s_load_b96 s[12:14], s[2:3], 0x4
	s_load_b128 s[8:11], s[0:1], 0xe4
	s_wait_kmcnt 0x0
	v_mul_hi_u32 v17, s13, v16
	s_delay_alu instid0(VALU_DEP_1) | instskip(NEXT) | instid1(VALU_DEP_1)
	v_add_nc_u32_e32 v17, v16, v17
	v_lshrrev_b32_e32 v17, s14, v17
	s_delay_alu instid0(VALU_DEP_1) | instskip(NEXT) | instid1(VALU_DEP_1)
	v_mul_lo_u32 v17, v17, s12
	v_sub_nc_u32_e32 v16, v16, v17
	s_delay_alu instid0(VALU_DEP_1)
	v_mad_u32 v11, v16, s8, v11
	v_mad_u32 v13, v16, s9, v13
	;; [unrolled: 1-line block ×4, first 2 shown]
	s_and_not1_b32 vcc_lo, exec_lo, s4
	s_cbranch_vccz .LBB133_138
	s_branch .LBB133_141
.LBB133_136:
	s_mov_b32 s4, -1
                                        ; implicit-def: $vgpr13
                                        ; implicit-def: $vgpr11
                                        ; implicit-def: $vgpr12
                                        ; implicit-def: $vgpr14
.LBB133_137:
	s_delay_alu instid0(SALU_CYCLE_1)
	s_and_not1_b32 vcc_lo, exec_lo, s4
	s_cbranch_vccnz .LBB133_141
.LBB133_138:
	s_clause 0x1
	s_load_b96 s[4:6], s[20:21], 0x4
	s_load_b128 s[0:3], s[20:21], 0xc4
	s_cmp_lt_u32 s33, 2
	s_wait_kmcnt 0x0
	v_mul_hi_u32 v11, s5, v15
	s_delay_alu instid0(VALU_DEP_1) | instskip(NEXT) | instid1(VALU_DEP_1)
	v_add_nc_u32_e32 v11, v15, v11
	v_lshrrev_b32_e32 v16, s6, v11
	s_delay_alu instid0(VALU_DEP_1) | instskip(NEXT) | instid1(VALU_DEP_1)
	v_mul_lo_u32 v11, v16, s4
	v_sub_nc_u32_e32 v14, v15, v11
	s_delay_alu instid0(VALU_DEP_1)
	v_mul_lo_u32 v13, v14, s1
	v_mul_lo_u32 v11, v14, s0
	;; [unrolled: 1-line block ×4, first 2 shown]
	s_cbranch_scc1 .LBB133_141
; %bb.139:
	s_clause 0x1
	s_load_b96 s[4:6], s[20:21], 0x10
	s_load_b128 s[0:3], s[20:21], 0xd4
	s_wait_kmcnt 0x0
	v_mul_hi_u32 v15, s5, v16
	s_delay_alu instid0(VALU_DEP_1) | instskip(NEXT) | instid1(VALU_DEP_1)
	v_add_nc_u32_e32 v15, v16, v15
	v_lshrrev_b32_e32 v15, s6, v15
	s_delay_alu instid0(VALU_DEP_1) | instskip(NEXT) | instid1(VALU_DEP_1)
	v_mul_lo_u32 v15, v15, s4
	v_sub_nc_u32_e32 v15, v16, v15
	s_delay_alu instid0(VALU_DEP_1)
	v_mad_u32 v11, v15, s0, v11
	v_mad_u32 v13, v15, s1, v13
	v_mad_u32 v14, v15, s2, v14
	v_mad_u32 v12, v15, s3, v12
	s_branch .LBB133_141
.LBB133_140:
	v_dual_mov_b32 v13, 0 :: v_dual_mov_b32 v11, 0
	v_dual_mov_b32 v12, 0 :: v_dual_mov_b32 v14, 0
	s_and_not1_b32 vcc_lo, exec_lo, s4
	s_cbranch_vccz .LBB133_138
.LBB133_141:
	v_cmp_ne_u32_e32 vcc_lo, 1, v10
	v_add_nc_u32_e32 v19, 0x180, v0
	s_cbranch_vccnz .LBB133_147
; %bb.142:
	s_cmp_lg_u32 s33, 0
	s_mov_b32 s4, 0
	s_cbranch_scc0 .LBB133_151
; %bb.143:
	s_min_u32 s5, s34, 15
	v_dual_mov_b32 v18, 0 :: v_dual_mov_b32 v20, v19
	v_dual_mov_b32 v16, 0 :: v_dual_mov_b32 v15, 0
	v_mov_b32_e32 v17, 0
	s_add_co_i32 s2, s5, 1
	s_mov_b64 s[0:1], 0xffffffffffffffe0
	s_and_b32 s6, s2, 30
	s_add_nc_u64 s[0:1], s[20:21], s[0:1]
	s_mov_b64 s[2:3], s[20:21]
.LBB133_144:                            ; =>This Inner Loop Header: Depth=1
	s_clause 0x1
	s_load_b128 s[16:19], s[2:3], 0x4
	s_load_b64 s[22:23], s[2:3], 0x14
	s_load_b256 s[8:15], s[0:1], 0xe4
	s_add_co_i32 s6, s6, -2
	s_wait_xcnt 0x0
	s_add_nc_u64 s[2:3], s[2:3], 24
	s_cmp_lg_u32 s6, 0
	s_add_nc_u64 s[0:1], s[0:1], 32
	s_wait_kmcnt 0x0
	v_mul_hi_u32 v21, s17, v20
	s_delay_alu instid0(VALU_DEP_1) | instskip(NEXT) | instid1(VALU_DEP_1)
	v_add_nc_u32_e32 v21, v20, v21
	v_lshrrev_b32_e32 v21, s18, v21
	s_delay_alu instid0(VALU_DEP_1) | instskip(SKIP_1) | instid1(VALU_DEP_1)
	v_mul_hi_u32 v22, s22, v21
	v_mul_lo_u32 v23, v21, s16
	v_dual_add_nc_u32 v22, v21, v22 :: v_dual_sub_nc_u32 v23, v20, v23
	s_delay_alu instid0(VALU_DEP_1) | instskip(NEXT) | instid1(VALU_DEP_2)
	v_lshrrev_b32_e32 v20, s23, v22
	v_mad_u32 v17, v23, s9, v17
	v_mad_u32 v15, v23, s8, v15
	v_mad_u32 v16, v23, s11, v16
	v_mad_u32 v18, v23, s10, v18
	v_mul_lo_u32 v22, v20, s19
	s_delay_alu instid0(VALU_DEP_1) | instskip(NEXT) | instid1(VALU_DEP_1)
	v_sub_nc_u32_e32 v21, v21, v22
	v_mad_u32 v17, v21, s13, v17
	v_mad_u32 v15, v21, s12, v15
	;; [unrolled: 1-line block ×4, first 2 shown]
	s_cbranch_scc1 .LBB133_144
; %bb.145:
	s_bitcmp1_b32 s5, 0
	s_cselect_b32 s5, -1, 0
	s_delay_alu instid0(SALU_CYCLE_1)
	s_and_b32 vcc_lo, exec_lo, s5
	s_cbranch_vccnz .LBB133_148
; %bb.146:
	s_load_b96 s[12:14], s[2:3], 0x4
	s_load_b128 s[8:11], s[0:1], 0xe4
	s_wait_kmcnt 0x0
	v_mul_hi_u32 v21, s13, v20
	s_delay_alu instid0(VALU_DEP_1) | instskip(NEXT) | instid1(VALU_DEP_1)
	v_add_nc_u32_e32 v21, v20, v21
	v_lshrrev_b32_e32 v21, s14, v21
	s_delay_alu instid0(VALU_DEP_1) | instskip(NEXT) | instid1(VALU_DEP_1)
	v_mul_lo_u32 v21, v21, s12
	v_sub_nc_u32_e32 v20, v20, v21
	s_delay_alu instid0(VALU_DEP_1)
	v_mad_u32 v15, v20, s8, v15
	v_mad_u32 v17, v20, s9, v17
	;; [unrolled: 1-line block ×4, first 2 shown]
	s_and_not1_b32 vcc_lo, exec_lo, s4
	s_cbranch_vccz .LBB133_149
	s_branch .LBB133_152
.LBB133_147:
	s_mov_b32 s4, -1
                                        ; implicit-def: $vgpr17
                                        ; implicit-def: $vgpr15
                                        ; implicit-def: $vgpr16
                                        ; implicit-def: $vgpr18
.LBB133_148:
	s_delay_alu instid0(SALU_CYCLE_1)
	s_and_not1_b32 vcc_lo, exec_lo, s4
	s_cbranch_vccnz .LBB133_152
.LBB133_149:
	s_clause 0x1
	s_load_b96 s[4:6], s[20:21], 0x4
	s_load_b128 s[0:3], s[20:21], 0xc4
	s_cmp_lt_u32 s33, 2
	s_wait_kmcnt 0x0
	v_mul_hi_u32 v15, s5, v19
	s_delay_alu instid0(VALU_DEP_1) | instskip(NEXT) | instid1(VALU_DEP_1)
	v_add_nc_u32_e32 v15, v19, v15
	v_lshrrev_b32_e32 v20, s6, v15
	s_delay_alu instid0(VALU_DEP_1) | instskip(NEXT) | instid1(VALU_DEP_1)
	v_mul_lo_u32 v15, v20, s4
	v_sub_nc_u32_e32 v18, v19, v15
	s_delay_alu instid0(VALU_DEP_1)
	v_mul_lo_u32 v17, v18, s1
	v_mul_lo_u32 v15, v18, s0
	;; [unrolled: 1-line block ×4, first 2 shown]
	s_cbranch_scc1 .LBB133_152
; %bb.150:
	s_clause 0x1
	s_load_b96 s[4:6], s[20:21], 0x10
	s_load_b128 s[0:3], s[20:21], 0xd4
	s_wait_kmcnt 0x0
	v_mul_hi_u32 v19, s5, v20
	s_delay_alu instid0(VALU_DEP_1) | instskip(NEXT) | instid1(VALU_DEP_1)
	v_add_nc_u32_e32 v19, v20, v19
	v_lshrrev_b32_e32 v19, s6, v19
	s_delay_alu instid0(VALU_DEP_1) | instskip(NEXT) | instid1(VALU_DEP_1)
	v_mul_lo_u32 v19, v19, s4
	v_sub_nc_u32_e32 v19, v20, v19
	s_delay_alu instid0(VALU_DEP_1)
	v_mad_u32 v15, v19, s0, v15
	v_mad_u32 v17, v19, s1, v17
	;; [unrolled: 1-line block ×4, first 2 shown]
	s_branch .LBB133_152
.LBB133_151:
	v_dual_mov_b32 v17, 0 :: v_dual_mov_b32 v15, 0
	v_dual_mov_b32 v16, 0 :: v_dual_mov_b32 v18, 0
	s_and_not1_b32 vcc_lo, exec_lo, s4
	s_cbranch_vccz .LBB133_149
.LBB133_152:
	v_cmp_ne_u32_e32 vcc_lo, 1, v10
	v_add_nc_u32_e32 v23, 0x200, v0
	s_cbranch_vccnz .LBB133_158
; %bb.153:
	s_cmp_lg_u32 s33, 0
	s_mov_b32 s4, 0
	s_cbranch_scc0 .LBB133_162
; %bb.154:
	s_min_u32 s5, s34, 15
	v_dual_mov_b32 v22, 0 :: v_dual_mov_b32 v24, v23
	v_dual_mov_b32 v20, 0 :: v_dual_mov_b32 v19, 0
	v_mov_b32_e32 v21, 0
	s_add_co_i32 s2, s5, 1
	s_mov_b64 s[0:1], 0xffffffffffffffe0
	s_and_b32 s6, s2, 30
	s_add_nc_u64 s[0:1], s[20:21], s[0:1]
	s_mov_b64 s[2:3], s[20:21]
.LBB133_155:                            ; =>This Inner Loop Header: Depth=1
	s_clause 0x1
	s_load_b128 s[16:19], s[2:3], 0x4
	s_load_b64 s[22:23], s[2:3], 0x14
	s_load_b256 s[8:15], s[0:1], 0xe4
	s_add_co_i32 s6, s6, -2
	s_wait_xcnt 0x0
	s_add_nc_u64 s[2:3], s[2:3], 24
	s_cmp_lg_u32 s6, 0
	s_add_nc_u64 s[0:1], s[0:1], 32
	s_wait_kmcnt 0x0
	v_mul_hi_u32 v25, s17, v24
	s_delay_alu instid0(VALU_DEP_1) | instskip(NEXT) | instid1(VALU_DEP_1)
	v_add_nc_u32_e32 v25, v24, v25
	v_lshrrev_b32_e32 v25, s18, v25
	s_delay_alu instid0(VALU_DEP_1) | instskip(SKIP_1) | instid1(VALU_DEP_1)
	v_mul_hi_u32 v26, s22, v25
	v_mul_lo_u32 v27, v25, s16
	v_dual_add_nc_u32 v26, v25, v26 :: v_dual_sub_nc_u32 v27, v24, v27
	s_delay_alu instid0(VALU_DEP_1) | instskip(NEXT) | instid1(VALU_DEP_2)
	v_lshrrev_b32_e32 v24, s23, v26
	v_mad_u32 v21, v27, s9, v21
	v_mad_u32 v19, v27, s8, v19
	;; [unrolled: 1-line block ×4, first 2 shown]
	v_mul_lo_u32 v26, v24, s19
	s_delay_alu instid0(VALU_DEP_1) | instskip(NEXT) | instid1(VALU_DEP_1)
	v_sub_nc_u32_e32 v25, v25, v26
	v_mad_u32 v21, v25, s13, v21
	v_mad_u32 v19, v25, s12, v19
	;; [unrolled: 1-line block ×4, first 2 shown]
	s_cbranch_scc1 .LBB133_155
; %bb.156:
	s_bitcmp1_b32 s5, 0
	s_cselect_b32 s5, -1, 0
	s_delay_alu instid0(SALU_CYCLE_1)
	s_and_b32 vcc_lo, exec_lo, s5
	s_cbranch_vccnz .LBB133_159
; %bb.157:
	s_load_b96 s[12:14], s[2:3], 0x4
	s_load_b128 s[8:11], s[0:1], 0xe4
	s_wait_kmcnt 0x0
	v_mul_hi_u32 v25, s13, v24
	s_delay_alu instid0(VALU_DEP_1) | instskip(NEXT) | instid1(VALU_DEP_1)
	v_add_nc_u32_e32 v25, v24, v25
	v_lshrrev_b32_e32 v25, s14, v25
	s_delay_alu instid0(VALU_DEP_1) | instskip(NEXT) | instid1(VALU_DEP_1)
	v_mul_lo_u32 v25, v25, s12
	v_sub_nc_u32_e32 v24, v24, v25
	s_delay_alu instid0(VALU_DEP_1)
	v_mad_u32 v19, v24, s8, v19
	v_mad_u32 v21, v24, s9, v21
	;; [unrolled: 1-line block ×4, first 2 shown]
	s_and_not1_b32 vcc_lo, exec_lo, s4
	s_cbranch_vccz .LBB133_160
	s_branch .LBB133_163
.LBB133_158:
	s_mov_b32 s4, -1
                                        ; implicit-def: $vgpr21
                                        ; implicit-def: $vgpr19
                                        ; implicit-def: $vgpr20
                                        ; implicit-def: $vgpr22
.LBB133_159:
	s_delay_alu instid0(SALU_CYCLE_1)
	s_and_not1_b32 vcc_lo, exec_lo, s4
	s_cbranch_vccnz .LBB133_163
.LBB133_160:
	s_clause 0x1
	s_load_b96 s[4:6], s[20:21], 0x4
	s_load_b128 s[0:3], s[20:21], 0xc4
	s_cmp_lt_u32 s33, 2
	s_wait_kmcnt 0x0
	v_mul_hi_u32 v19, s5, v23
	s_delay_alu instid0(VALU_DEP_1) | instskip(NEXT) | instid1(VALU_DEP_1)
	v_add_nc_u32_e32 v19, v23, v19
	v_lshrrev_b32_e32 v24, s6, v19
	s_delay_alu instid0(VALU_DEP_1) | instskip(NEXT) | instid1(VALU_DEP_1)
	v_mul_lo_u32 v19, v24, s4
	v_sub_nc_u32_e32 v22, v23, v19
	s_delay_alu instid0(VALU_DEP_1)
	v_mul_lo_u32 v21, v22, s1
	v_mul_lo_u32 v19, v22, s0
	;; [unrolled: 1-line block ×4, first 2 shown]
	s_cbranch_scc1 .LBB133_163
; %bb.161:
	s_clause 0x1
	s_load_b96 s[4:6], s[20:21], 0x10
	s_load_b128 s[0:3], s[20:21], 0xd4
	s_wait_kmcnt 0x0
	v_mul_hi_u32 v23, s5, v24
	s_delay_alu instid0(VALU_DEP_1) | instskip(NEXT) | instid1(VALU_DEP_1)
	v_add_nc_u32_e32 v23, v24, v23
	v_lshrrev_b32_e32 v23, s6, v23
	s_delay_alu instid0(VALU_DEP_1) | instskip(NEXT) | instid1(VALU_DEP_1)
	v_mul_lo_u32 v23, v23, s4
	v_sub_nc_u32_e32 v23, v24, v23
	s_delay_alu instid0(VALU_DEP_1)
	v_mad_u32 v19, v23, s0, v19
	v_mad_u32 v21, v23, s1, v21
	;; [unrolled: 1-line block ×4, first 2 shown]
	s_branch .LBB133_163
.LBB133_162:
	v_dual_mov_b32 v21, 0 :: v_dual_mov_b32 v19, 0
	v_dual_mov_b32 v20, 0 :: v_dual_mov_b32 v22, 0
	s_and_not1_b32 vcc_lo, exec_lo, s4
	s_cbranch_vccz .LBB133_160
.LBB133_163:
	v_cmp_ne_u32_e32 vcc_lo, 1, v10
	v_add_nc_u32_e32 v27, 0x280, v0
	s_cbranch_vccnz .LBB133_169
; %bb.164:
	s_cmp_lg_u32 s33, 0
	s_mov_b32 s4, 0
	s_cbranch_scc0 .LBB133_173
; %bb.165:
	s_min_u32 s5, s34, 15
	v_dual_mov_b32 v25, 0 :: v_dual_mov_b32 v28, v27
	v_dual_mov_b32 v24, 0 :: v_dual_mov_b32 v23, 0
	v_mov_b32_e32 v26, 0
	s_add_co_i32 s2, s5, 1
	s_mov_b64 s[0:1], 0xffffffffffffffe0
	s_and_b32 s6, s2, 30
	s_add_nc_u64 s[0:1], s[20:21], s[0:1]
	s_mov_b64 s[2:3], s[20:21]
.LBB133_166:                            ; =>This Inner Loop Header: Depth=1
	s_clause 0x1
	s_load_b128 s[16:19], s[2:3], 0x4
	s_load_b64 s[22:23], s[2:3], 0x14
	s_load_b256 s[8:15], s[0:1], 0xe4
	s_add_co_i32 s6, s6, -2
	s_wait_xcnt 0x0
	s_add_nc_u64 s[2:3], s[2:3], 24
	s_cmp_lg_u32 s6, 0
	s_add_nc_u64 s[0:1], s[0:1], 32
	s_wait_kmcnt 0x0
	v_mul_hi_u32 v29, s17, v28
	s_delay_alu instid0(VALU_DEP_1) | instskip(NEXT) | instid1(VALU_DEP_1)
	v_add_nc_u32_e32 v29, v28, v29
	v_lshrrev_b32_e32 v29, s18, v29
	s_delay_alu instid0(VALU_DEP_1) | instskip(SKIP_1) | instid1(VALU_DEP_1)
	v_mul_hi_u32 v30, s22, v29
	v_mul_lo_u32 v31, v29, s16
	v_dual_add_nc_u32 v30, v29, v30 :: v_dual_sub_nc_u32 v31, v28, v31
	s_delay_alu instid0(VALU_DEP_1) | instskip(NEXT) | instid1(VALU_DEP_2)
	v_lshrrev_b32_e32 v28, s23, v30
	v_mad_u32 v26, v31, s9, v26
	v_mad_u32 v23, v31, s8, v23
	;; [unrolled: 1-line block ×4, first 2 shown]
	v_mul_lo_u32 v30, v28, s19
	s_delay_alu instid0(VALU_DEP_1) | instskip(NEXT) | instid1(VALU_DEP_1)
	v_sub_nc_u32_e32 v29, v29, v30
	v_mad_u32 v26, v29, s13, v26
	v_mad_u32 v23, v29, s12, v23
	v_mad_u32 v24, v29, s15, v24
	v_mad_u32 v25, v29, s14, v25
	s_cbranch_scc1 .LBB133_166
; %bb.167:
	s_bitcmp1_b32 s5, 0
	s_cselect_b32 s5, -1, 0
	s_delay_alu instid0(SALU_CYCLE_1)
	s_and_b32 vcc_lo, exec_lo, s5
	s_cbranch_vccnz .LBB133_170
; %bb.168:
	s_load_b96 s[12:14], s[2:3], 0x4
	s_load_b128 s[8:11], s[0:1], 0xe4
	s_wait_kmcnt 0x0
	v_mul_hi_u32 v29, s13, v28
	s_delay_alu instid0(VALU_DEP_1) | instskip(NEXT) | instid1(VALU_DEP_1)
	v_add_nc_u32_e32 v29, v28, v29
	v_lshrrev_b32_e32 v29, s14, v29
	s_delay_alu instid0(VALU_DEP_1) | instskip(NEXT) | instid1(VALU_DEP_1)
	v_mul_lo_u32 v29, v29, s12
	v_sub_nc_u32_e32 v28, v28, v29
	s_delay_alu instid0(VALU_DEP_1)
	v_mad_u32 v23, v28, s8, v23
	v_mad_u32 v26, v28, s9, v26
	;; [unrolled: 1-line block ×4, first 2 shown]
	s_and_not1_b32 vcc_lo, exec_lo, s4
	s_cbranch_vccz .LBB133_171
	s_branch .LBB133_174
.LBB133_169:
	s_mov_b32 s4, -1
                                        ; implicit-def: $vgpr26
                                        ; implicit-def: $vgpr23
                                        ; implicit-def: $vgpr24
                                        ; implicit-def: $vgpr25
.LBB133_170:
	s_delay_alu instid0(SALU_CYCLE_1)
	s_and_not1_b32 vcc_lo, exec_lo, s4
	s_cbranch_vccnz .LBB133_174
.LBB133_171:
	s_clause 0x1
	s_load_b96 s[4:6], s[20:21], 0x4
	s_load_b128 s[0:3], s[20:21], 0xc4
	s_cmp_lt_u32 s33, 2
	s_wait_kmcnt 0x0
	v_mul_hi_u32 v23, s5, v27
	s_delay_alu instid0(VALU_DEP_1) | instskip(NEXT) | instid1(VALU_DEP_1)
	v_add_nc_u32_e32 v23, v27, v23
	v_lshrrev_b32_e32 v28, s6, v23
	s_delay_alu instid0(VALU_DEP_1) | instskip(NEXT) | instid1(VALU_DEP_1)
	v_mul_lo_u32 v23, v28, s4
	v_sub_nc_u32_e32 v25, v27, v23
	s_delay_alu instid0(VALU_DEP_1)
	v_mul_lo_u32 v26, v25, s1
	v_mul_lo_u32 v23, v25, s0
	;; [unrolled: 1-line block ×4, first 2 shown]
	s_cbranch_scc1 .LBB133_174
; %bb.172:
	s_clause 0x1
	s_load_b96 s[4:6], s[20:21], 0x10
	s_load_b128 s[0:3], s[20:21], 0xd4
	s_wait_kmcnt 0x0
	v_mul_hi_u32 v27, s5, v28
	s_delay_alu instid0(VALU_DEP_1) | instskip(NEXT) | instid1(VALU_DEP_1)
	v_add_nc_u32_e32 v27, v28, v27
	v_lshrrev_b32_e32 v27, s6, v27
	s_delay_alu instid0(VALU_DEP_1) | instskip(NEXT) | instid1(VALU_DEP_1)
	v_mul_lo_u32 v27, v27, s4
	v_sub_nc_u32_e32 v27, v28, v27
	s_delay_alu instid0(VALU_DEP_1)
	v_mad_u32 v23, v27, s0, v23
	v_mad_u32 v26, v27, s1, v26
	;; [unrolled: 1-line block ×4, first 2 shown]
	s_branch .LBB133_174
.LBB133_173:
	v_dual_mov_b32 v26, 0 :: v_dual_mov_b32 v23, 0
	v_dual_mov_b32 v24, 0 :: v_dual_mov_b32 v25, 0
	s_and_not1_b32 vcc_lo, exec_lo, s4
	s_cbranch_vccz .LBB133_171
.LBB133_174:
	v_cmp_ne_u32_e32 vcc_lo, 1, v10
	v_add_nc_u32_e32 v30, 0x300, v0
	s_cbranch_vccnz .LBB133_180
; %bb.175:
	s_cmp_lg_u32 s33, 0
	s_mov_b32 s4, 0
	s_cbranch_scc0 .LBB133_184
; %bb.176:
	s_min_u32 s5, s34, 15
	v_dual_mov_b32 v29, 0 :: v_dual_mov_b32 v31, v30
	v_dual_mov_b32 v27, 0 :: v_dual_mov_b32 v0, 0
	v_mov_b32_e32 v28, 0
	s_add_co_i32 s2, s5, 1
	s_mov_b64 s[0:1], 0xffffffffffffffe0
	s_and_b32 s6, s2, 30
	s_add_nc_u64 s[0:1], s[20:21], s[0:1]
	s_mov_b64 s[2:3], s[20:21]
.LBB133_177:                            ; =>This Inner Loop Header: Depth=1
	s_clause 0x1
	s_load_b128 s[16:19], s[2:3], 0x4
	s_load_b64 s[22:23], s[2:3], 0x14
	s_load_b256 s[8:15], s[0:1], 0xe4
	s_add_co_i32 s6, s6, -2
	s_wait_xcnt 0x0
	s_add_nc_u64 s[2:3], s[2:3], 24
	s_cmp_lg_u32 s6, 0
	s_add_nc_u64 s[0:1], s[0:1], 32
	s_wait_kmcnt 0x0
	v_mul_hi_u32 v32, s17, v31
	s_delay_alu instid0(VALU_DEP_1) | instskip(NEXT) | instid1(VALU_DEP_1)
	v_add_nc_u32_e32 v32, v31, v32
	v_lshrrev_b32_e32 v32, s18, v32
	s_delay_alu instid0(VALU_DEP_1) | instskip(SKIP_1) | instid1(VALU_DEP_1)
	v_mul_hi_u32 v33, s22, v32
	v_mul_lo_u32 v34, v32, s16
	v_dual_add_nc_u32 v33, v32, v33 :: v_dual_sub_nc_u32 v34, v31, v34
	s_delay_alu instid0(VALU_DEP_1) | instskip(NEXT) | instid1(VALU_DEP_2)
	v_lshrrev_b32_e32 v31, s23, v33
	v_mad_u32 v28, v34, s9, v28
	v_mad_u32 v0, v34, s8, v0
	;; [unrolled: 1-line block ×4, first 2 shown]
	v_mul_lo_u32 v33, v31, s19
	s_delay_alu instid0(VALU_DEP_1) | instskip(NEXT) | instid1(VALU_DEP_1)
	v_sub_nc_u32_e32 v32, v32, v33
	v_mad_u32 v28, v32, s13, v28
	v_mad_u32 v0, v32, s12, v0
	;; [unrolled: 1-line block ×4, first 2 shown]
	s_cbranch_scc1 .LBB133_177
; %bb.178:
	s_bitcmp1_b32 s5, 0
	s_cselect_b32 s5, -1, 0
	s_delay_alu instid0(SALU_CYCLE_1)
	s_and_b32 vcc_lo, exec_lo, s5
	s_cbranch_vccnz .LBB133_181
; %bb.179:
	s_load_b96 s[12:14], s[2:3], 0x4
	s_load_b128 s[8:11], s[0:1], 0xe4
	s_wait_kmcnt 0x0
	v_mul_hi_u32 v32, s13, v31
	s_delay_alu instid0(VALU_DEP_1) | instskip(NEXT) | instid1(VALU_DEP_1)
	v_add_nc_u32_e32 v32, v31, v32
	v_lshrrev_b32_e32 v32, s14, v32
	s_delay_alu instid0(VALU_DEP_1) | instskip(NEXT) | instid1(VALU_DEP_1)
	v_mul_lo_u32 v32, v32, s12
	v_sub_nc_u32_e32 v31, v31, v32
	s_delay_alu instid0(VALU_DEP_1)
	v_mad_u32 v0, v31, s8, v0
	v_mad_u32 v28, v31, s9, v28
	;; [unrolled: 1-line block ×4, first 2 shown]
	s_and_not1_b32 vcc_lo, exec_lo, s4
	s_cbranch_vccz .LBB133_182
	s_branch .LBB133_185
.LBB133_180:
	s_mov_b32 s4, -1
                                        ; implicit-def: $vgpr28
                                        ; implicit-def: $vgpr0
                                        ; implicit-def: $vgpr27
                                        ; implicit-def: $vgpr29
.LBB133_181:
	s_delay_alu instid0(SALU_CYCLE_1)
	s_and_not1_b32 vcc_lo, exec_lo, s4
	s_cbranch_vccnz .LBB133_185
.LBB133_182:
	s_clause 0x1
	s_load_b96 s[4:6], s[20:21], 0x4
	s_load_b128 s[0:3], s[20:21], 0xc4
	s_cmp_lt_u32 s33, 2
	s_wait_kmcnt 0x0
	v_mul_hi_u32 v0, s5, v30
	s_delay_alu instid0(VALU_DEP_1) | instskip(NEXT) | instid1(VALU_DEP_1)
	v_add_nc_u32_e32 v0, v30, v0
	v_lshrrev_b32_e32 v31, s6, v0
	s_delay_alu instid0(VALU_DEP_1) | instskip(NEXT) | instid1(VALU_DEP_1)
	v_mul_lo_u32 v0, v31, s4
	v_sub_nc_u32_e32 v29, v30, v0
	s_delay_alu instid0(VALU_DEP_1)
	v_mul_lo_u32 v28, v29, s1
	v_mul_lo_u32 v0, v29, s0
	;; [unrolled: 1-line block ×4, first 2 shown]
	s_cbranch_scc1 .LBB133_185
; %bb.183:
	s_clause 0x1
	s_load_b96 s[4:6], s[20:21], 0x10
	s_load_b128 s[0:3], s[20:21], 0xd4
	s_wait_kmcnt 0x0
	v_mul_hi_u32 v30, s5, v31
	s_delay_alu instid0(VALU_DEP_1) | instskip(NEXT) | instid1(VALU_DEP_1)
	v_add_nc_u32_e32 v30, v31, v30
	v_lshrrev_b32_e32 v30, s6, v30
	s_delay_alu instid0(VALU_DEP_1) | instskip(NEXT) | instid1(VALU_DEP_1)
	v_mul_lo_u32 v30, v30, s4
	v_sub_nc_u32_e32 v30, v31, v30
	s_delay_alu instid0(VALU_DEP_1)
	v_mad_u32 v0, v30, s0, v0
	v_mad_u32 v28, v30, s1, v28
	;; [unrolled: 1-line block ×4, first 2 shown]
	s_branch .LBB133_185
.LBB133_184:
	v_dual_mov_b32 v28, 0 :: v_dual_mov_b32 v0, 0
	v_dual_mov_b32 v27, 0 :: v_dual_mov_b32 v29, 0
	s_and_not1_b32 vcc_lo, exec_lo, s4
	s_cbranch_vccz .LBB133_182
.LBB133_185:
	v_cmp_ne_u32_e32 vcc_lo, 1, v10
	s_cbranch_vccnz .LBB133_191
; %bb.186:
	s_cmp_lg_u32 s33, 0
	s_mov_b32 s4, 0
	s_cbranch_scc0 .LBB133_195
; %bb.187:
	s_min_u32 s5, s34, 15
	v_dual_mov_b32 v31, 0 :: v_dual_mov_b32 v33, v5
	v_dual_mov_b32 v30, 0 :: v_dual_mov_b32 v10, 0
	v_mov_b32_e32 v32, 0
	s_add_co_i32 s2, s5, 1
	s_mov_b64 s[0:1], 0xffffffffffffffe0
	s_and_b32 s6, s2, 30
	s_add_nc_u64 s[0:1], s[20:21], s[0:1]
	s_mov_b64 s[2:3], s[20:21]
.LBB133_188:                            ; =>This Inner Loop Header: Depth=1
	s_clause 0x1
	s_load_b128 s[16:19], s[2:3], 0x4
	s_load_b64 s[22:23], s[2:3], 0x14
	s_load_b256 s[8:15], s[0:1], 0xe4
	s_add_co_i32 s6, s6, -2
	s_wait_xcnt 0x0
	s_add_nc_u64 s[2:3], s[2:3], 24
	s_cmp_lg_u32 s6, 0
	s_add_nc_u64 s[0:1], s[0:1], 32
	s_wait_kmcnt 0x0
	v_mul_hi_u32 v34, s17, v33
	s_delay_alu instid0(VALU_DEP_1) | instskip(NEXT) | instid1(VALU_DEP_1)
	v_add_nc_u32_e32 v34, v33, v34
	v_lshrrev_b32_e32 v34, s18, v34
	s_delay_alu instid0(VALU_DEP_1) | instskip(SKIP_1) | instid1(VALU_DEP_1)
	v_mul_hi_u32 v35, s22, v34
	v_mul_lo_u32 v36, v34, s16
	v_dual_add_nc_u32 v35, v34, v35 :: v_dual_sub_nc_u32 v36, v33, v36
	s_delay_alu instid0(VALU_DEP_1) | instskip(NEXT) | instid1(VALU_DEP_2)
	v_lshrrev_b32_e32 v33, s23, v35
	v_mad_u32 v32, v36, s9, v32
	v_mad_u32 v10, v36, s8, v10
	;; [unrolled: 1-line block ×4, first 2 shown]
	v_mul_lo_u32 v35, v33, s19
	s_delay_alu instid0(VALU_DEP_1) | instskip(NEXT) | instid1(VALU_DEP_1)
	v_sub_nc_u32_e32 v34, v34, v35
	v_mad_u32 v32, v34, s13, v32
	v_mad_u32 v10, v34, s12, v10
	v_mad_u32 v30, v34, s15, v30
	v_mad_u32 v31, v34, s14, v31
	s_cbranch_scc1 .LBB133_188
; %bb.189:
	s_bitcmp1_b32 s5, 0
	s_cselect_b32 s5, -1, 0
	s_delay_alu instid0(SALU_CYCLE_1)
	s_and_b32 vcc_lo, exec_lo, s5
	s_cbranch_vccnz .LBB133_192
; %bb.190:
	s_load_b96 s[12:14], s[2:3], 0x4
	s_load_b128 s[8:11], s[0:1], 0xe4
	s_wait_kmcnt 0x0
	v_mul_hi_u32 v34, s13, v33
	s_delay_alu instid0(VALU_DEP_1) | instskip(NEXT) | instid1(VALU_DEP_1)
	v_add_nc_u32_e32 v34, v33, v34
	v_lshrrev_b32_e32 v34, s14, v34
	s_delay_alu instid0(VALU_DEP_1) | instskip(NEXT) | instid1(VALU_DEP_1)
	v_mul_lo_u32 v34, v34, s12
	v_sub_nc_u32_e32 v33, v33, v34
	s_delay_alu instid0(VALU_DEP_1)
	v_mad_u32 v10, v33, s8, v10
	v_mad_u32 v32, v33, s9, v32
	;; [unrolled: 1-line block ×4, first 2 shown]
	s_and_not1_b32 vcc_lo, exec_lo, s4
	s_cbranch_vccz .LBB133_193
	s_branch .LBB133_196
.LBB133_191:
	s_mov_b32 s4, -1
                                        ; implicit-def: $vgpr32
                                        ; implicit-def: $vgpr10
                                        ; implicit-def: $vgpr30
                                        ; implicit-def: $vgpr31
.LBB133_192:
	s_delay_alu instid0(SALU_CYCLE_1)
	s_and_not1_b32 vcc_lo, exec_lo, s4
	s_cbranch_vccnz .LBB133_196
.LBB133_193:
	s_clause 0x1
	s_load_b96 s[4:6], s[20:21], 0x4
	s_load_b128 s[0:3], s[20:21], 0xc4
	s_cmp_lt_u32 s33, 2
	s_wait_kmcnt 0x0
	v_mul_hi_u32 v10, s5, v5
	s_delay_alu instid0(VALU_DEP_1) | instskip(NEXT) | instid1(VALU_DEP_1)
	v_add_nc_u32_e32 v10, v5, v10
	v_lshrrev_b32_e32 v33, s6, v10
	s_delay_alu instid0(VALU_DEP_1) | instskip(NEXT) | instid1(VALU_DEP_1)
	v_mul_lo_u32 v10, v33, s4
	v_sub_nc_u32_e32 v5, v5, v10
	s_delay_alu instid0(VALU_DEP_1)
	v_mul_lo_u32 v32, v5, s1
	v_mul_lo_u32 v10, v5, s0
	;; [unrolled: 1-line block ×4, first 2 shown]
	s_cbranch_scc1 .LBB133_196
; %bb.194:
	s_clause 0x1
	s_load_b96 s[4:6], s[20:21], 0x10
	s_load_b128 s[0:3], s[20:21], 0xd4
	s_wait_kmcnt 0x0
	v_mul_hi_u32 v5, s5, v33
	s_delay_alu instid0(VALU_DEP_1) | instskip(NEXT) | instid1(VALU_DEP_1)
	v_add_nc_u32_e32 v5, v33, v5
	v_lshrrev_b32_e32 v5, s6, v5
	s_delay_alu instid0(VALU_DEP_1) | instskip(NEXT) | instid1(VALU_DEP_1)
	v_mul_lo_u32 v5, v5, s4
	v_sub_nc_u32_e32 v5, v33, v5
	s_delay_alu instid0(VALU_DEP_1)
	v_mad_u32 v10, v5, s0, v10
	v_mad_u32 v32, v5, s1, v32
	;; [unrolled: 1-line block ×4, first 2 shown]
	s_branch .LBB133_196
.LBB133_195:
	v_dual_mov_b32 v32, 0 :: v_dual_mov_b32 v10, 0
	v_dual_mov_b32 v30, 0 :: v_dual_mov_b32 v31, 0
	s_and_not1_b32 vcc_lo, exec_lo, s4
	s_cbranch_vccz .LBB133_193
.LBB133_196:
	s_load_b256 s[0:7], s[20:21], 0x1c8
	s_wait_kmcnt 0x0
	global_load_u16 v5, v3, s[2:3]
	global_load_u16 v33, v4, s[4:5]
	;; [unrolled: 1-line block ×15, first 2 shown]
                                        ; kill: killed $vgpr29
                                        ; kill: killed $vgpr26
                                        ; kill: killed $vgpr14
                                        ; kill: killed $vgpr9
                                        ; kill: killed $vgpr28
                                        ; kill: killed $vgpr18
                                        ; kill: killed $vgpr13
                                        ; kill: killed $sgpr2_sgpr3
                                        ; kill: killed $vgpr32
                                        ; kill: killed $vgpr22
                                        ; kill: killed $vgpr17
                                        ; kill: killed $vgpr4
                                        ; kill: killed $vgpr25
                                        ; kill: killed $vgpr21
                                        ; kill: killed $vgpr8
                                        ; kill: killed $vgpr3
	global_load_u16 v3, v31, s[4:5]
	s_clause 0x7
	global_load_u16 v4, v2, s[6:7]
	global_load_u16 v8, v7, s[6:7]
	;; [unrolled: 1-line block ×8, first 2 shown]
	s_wait_loadcnt 0x16
	s_wait_xcnt 0x7
	v_max_i16 v2, v5, v33
	s_wait_loadcnt 0x14
	v_max_i16 v5, v34, v35
	s_wait_loadcnt 0x12
	s_wait_xcnt 0x6
	v_max_i16 v7, v36, v37
	s_wait_loadcnt 0x10
	s_wait_xcnt 0x5
	;; [unrolled: 3-line block ×4, first 2 shown]
	v_max_i16 v20, v42, v43
	s_wait_loadcnt 0xa
	v_max_i16 v22, v44, v45
	s_wait_loadcnt 0x8
	;; [unrolled: 2-line block ×3, first 2 shown]
	v_min_i16 v2, v2, v4
	s_wait_loadcnt 0x6
	v_min_i16 v4, v5, v8
	s_wait_loadcnt 0x5
	;; [unrolled: 2-line block ×7, first 2 shown]
	v_min_i16 v3, v3, v21
	s_clause 0x7
	global_store_b16 v1, v2, s[0:1]
	global_store_b16 v6, v4, s[0:1]
	;; [unrolled: 1-line block ×8, first 2 shown]
	s_endpgm
	.section	.rodata,"a",@progbits
	.p2align	6, 0x0
	.amdhsa_kernel _ZN2at6native32elementwise_kernel_manual_unrollILi128ELi8EZNS0_22gpu_kernel_impl_nocastIZZZNS0_12_GLOBAL__N_117clamp_kernel_implERNS_18TensorIteratorBaseEENKUlvE_clEvENKUlvE3_clEvEUlsssE_EEvS5_RKT_EUlibE_EEviT1_
		.amdhsa_group_segment_fixed_size 0
		.amdhsa_private_segment_fixed_size 0
		.amdhsa_kernarg_size 504
		.amdhsa_user_sgpr_count 2
		.amdhsa_user_sgpr_dispatch_ptr 0
		.amdhsa_user_sgpr_queue_ptr 0
		.amdhsa_user_sgpr_kernarg_segment_ptr 1
		.amdhsa_user_sgpr_dispatch_id 0
		.amdhsa_user_sgpr_kernarg_preload_length 0
		.amdhsa_user_sgpr_kernarg_preload_offset 0
		.amdhsa_user_sgpr_private_segment_size 0
		.amdhsa_wavefront_size32 1
		.amdhsa_uses_dynamic_stack 0
		.amdhsa_enable_private_segment 0
		.amdhsa_system_sgpr_workgroup_id_x 1
		.amdhsa_system_sgpr_workgroup_id_y 0
		.amdhsa_system_sgpr_workgroup_id_z 0
		.amdhsa_system_sgpr_workgroup_info 0
		.amdhsa_system_vgpr_workitem_id 0
		.amdhsa_next_free_vgpr 47
		.amdhsa_next_free_sgpr 56
		.amdhsa_named_barrier_count 0
		.amdhsa_reserve_vcc 1
		.amdhsa_float_round_mode_32 0
		.amdhsa_float_round_mode_16_64 0
		.amdhsa_float_denorm_mode_32 3
		.amdhsa_float_denorm_mode_16_64 3
		.amdhsa_fp16_overflow 0
		.amdhsa_memory_ordered 1
		.amdhsa_forward_progress 1
		.amdhsa_inst_pref_size 90
		.amdhsa_round_robin_scheduling 0
		.amdhsa_exception_fp_ieee_invalid_op 0
		.amdhsa_exception_fp_denorm_src 0
		.amdhsa_exception_fp_ieee_div_zero 0
		.amdhsa_exception_fp_ieee_overflow 0
		.amdhsa_exception_fp_ieee_underflow 0
		.amdhsa_exception_fp_ieee_inexact 0
		.amdhsa_exception_int_div_zero 0
	.end_amdhsa_kernel
	.section	.text._ZN2at6native32elementwise_kernel_manual_unrollILi128ELi8EZNS0_22gpu_kernel_impl_nocastIZZZNS0_12_GLOBAL__N_117clamp_kernel_implERNS_18TensorIteratorBaseEENKUlvE_clEvENKUlvE3_clEvEUlsssE_EEvS5_RKT_EUlibE_EEviT1_,"axG",@progbits,_ZN2at6native32elementwise_kernel_manual_unrollILi128ELi8EZNS0_22gpu_kernel_impl_nocastIZZZNS0_12_GLOBAL__N_117clamp_kernel_implERNS_18TensorIteratorBaseEENKUlvE_clEvENKUlvE3_clEvEUlsssE_EEvS5_RKT_EUlibE_EEviT1_,comdat
.Lfunc_end133:
	.size	_ZN2at6native32elementwise_kernel_manual_unrollILi128ELi8EZNS0_22gpu_kernel_impl_nocastIZZZNS0_12_GLOBAL__N_117clamp_kernel_implERNS_18TensorIteratorBaseEENKUlvE_clEvENKUlvE3_clEvEUlsssE_EEvS5_RKT_EUlibE_EEviT1_, .Lfunc_end133-_ZN2at6native32elementwise_kernel_manual_unrollILi128ELi8EZNS0_22gpu_kernel_impl_nocastIZZZNS0_12_GLOBAL__N_117clamp_kernel_implERNS_18TensorIteratorBaseEENKUlvE_clEvENKUlvE3_clEvEUlsssE_EEvS5_RKT_EUlibE_EEviT1_
                                        ; -- End function
	.set _ZN2at6native32elementwise_kernel_manual_unrollILi128ELi8EZNS0_22gpu_kernel_impl_nocastIZZZNS0_12_GLOBAL__N_117clamp_kernel_implERNS_18TensorIteratorBaseEENKUlvE_clEvENKUlvE3_clEvEUlsssE_EEvS5_RKT_EUlibE_EEviT1_.num_vgpr, 47
	.set _ZN2at6native32elementwise_kernel_manual_unrollILi128ELi8EZNS0_22gpu_kernel_impl_nocastIZZZNS0_12_GLOBAL__N_117clamp_kernel_implERNS_18TensorIteratorBaseEENKUlvE_clEvENKUlvE3_clEvEUlsssE_EEvS5_RKT_EUlibE_EEviT1_.num_agpr, 0
	.set _ZN2at6native32elementwise_kernel_manual_unrollILi128ELi8EZNS0_22gpu_kernel_impl_nocastIZZZNS0_12_GLOBAL__N_117clamp_kernel_implERNS_18TensorIteratorBaseEENKUlvE_clEvENKUlvE3_clEvEUlsssE_EEvS5_RKT_EUlibE_EEviT1_.numbered_sgpr, 56
	.set _ZN2at6native32elementwise_kernel_manual_unrollILi128ELi8EZNS0_22gpu_kernel_impl_nocastIZZZNS0_12_GLOBAL__N_117clamp_kernel_implERNS_18TensorIteratorBaseEENKUlvE_clEvENKUlvE3_clEvEUlsssE_EEvS5_RKT_EUlibE_EEviT1_.num_named_barrier, 0
	.set _ZN2at6native32elementwise_kernel_manual_unrollILi128ELi8EZNS0_22gpu_kernel_impl_nocastIZZZNS0_12_GLOBAL__N_117clamp_kernel_implERNS_18TensorIteratorBaseEENKUlvE_clEvENKUlvE3_clEvEUlsssE_EEvS5_RKT_EUlibE_EEviT1_.private_seg_size, 0
	.set _ZN2at6native32elementwise_kernel_manual_unrollILi128ELi8EZNS0_22gpu_kernel_impl_nocastIZZZNS0_12_GLOBAL__N_117clamp_kernel_implERNS_18TensorIteratorBaseEENKUlvE_clEvENKUlvE3_clEvEUlsssE_EEvS5_RKT_EUlibE_EEviT1_.uses_vcc, 1
	.set _ZN2at6native32elementwise_kernel_manual_unrollILi128ELi8EZNS0_22gpu_kernel_impl_nocastIZZZNS0_12_GLOBAL__N_117clamp_kernel_implERNS_18TensorIteratorBaseEENKUlvE_clEvENKUlvE3_clEvEUlsssE_EEvS5_RKT_EUlibE_EEviT1_.uses_flat_scratch, 0
	.set _ZN2at6native32elementwise_kernel_manual_unrollILi128ELi8EZNS0_22gpu_kernel_impl_nocastIZZZNS0_12_GLOBAL__N_117clamp_kernel_implERNS_18TensorIteratorBaseEENKUlvE_clEvENKUlvE3_clEvEUlsssE_EEvS5_RKT_EUlibE_EEviT1_.has_dyn_sized_stack, 0
	.set _ZN2at6native32elementwise_kernel_manual_unrollILi128ELi8EZNS0_22gpu_kernel_impl_nocastIZZZNS0_12_GLOBAL__N_117clamp_kernel_implERNS_18TensorIteratorBaseEENKUlvE_clEvENKUlvE3_clEvEUlsssE_EEvS5_RKT_EUlibE_EEviT1_.has_recursion, 0
	.set _ZN2at6native32elementwise_kernel_manual_unrollILi128ELi8EZNS0_22gpu_kernel_impl_nocastIZZZNS0_12_GLOBAL__N_117clamp_kernel_implERNS_18TensorIteratorBaseEENKUlvE_clEvENKUlvE3_clEvEUlsssE_EEvS5_RKT_EUlibE_EEviT1_.has_indirect_call, 0
	.section	.AMDGPU.csdata,"",@progbits
; Kernel info:
; codeLenInByte = 11480
; TotalNumSgprs: 58
; NumVgprs: 47
; ScratchSize: 0
; MemoryBound: 0
; FloatMode: 240
; IeeeMode: 1
; LDSByteSize: 0 bytes/workgroup (compile time only)
; SGPRBlocks: 0
; VGPRBlocks: 2
; NumSGPRsForWavesPerEU: 58
; NumVGPRsForWavesPerEU: 47
; NamedBarCnt: 0
; Occupancy: 16
; WaveLimiterHint : 1
; COMPUTE_PGM_RSRC2:SCRATCH_EN: 0
; COMPUTE_PGM_RSRC2:USER_SGPR: 2
; COMPUTE_PGM_RSRC2:TRAP_HANDLER: 0
; COMPUTE_PGM_RSRC2:TGID_X_EN: 1
; COMPUTE_PGM_RSRC2:TGID_Y_EN: 0
; COMPUTE_PGM_RSRC2:TGID_Z_EN: 0
; COMPUTE_PGM_RSRC2:TIDIG_COMP_CNT: 0
	.section	.text._ZN2at6native32elementwise_kernel_manual_unrollILi128ELi4EZNS0_15gpu_kernel_implIZZZNS0_12_GLOBAL__N_117clamp_kernel_implERNS_18TensorIteratorBaseEENKUlvE_clEvENKUlvE3_clEvEUlsssE_EEvS5_RKT_EUlibE_EEviT1_,"axG",@progbits,_ZN2at6native32elementwise_kernel_manual_unrollILi128ELi4EZNS0_15gpu_kernel_implIZZZNS0_12_GLOBAL__N_117clamp_kernel_implERNS_18TensorIteratorBaseEENKUlvE_clEvENKUlvE3_clEvEUlsssE_EEvS5_RKT_EUlibE_EEviT1_,comdat
	.globl	_ZN2at6native32elementwise_kernel_manual_unrollILi128ELi4EZNS0_15gpu_kernel_implIZZZNS0_12_GLOBAL__N_117clamp_kernel_implERNS_18TensorIteratorBaseEENKUlvE_clEvENKUlvE3_clEvEUlsssE_EEvS5_RKT_EUlibE_EEviT1_ ; -- Begin function _ZN2at6native32elementwise_kernel_manual_unrollILi128ELi4EZNS0_15gpu_kernel_implIZZZNS0_12_GLOBAL__N_117clamp_kernel_implERNS_18TensorIteratorBaseEENKUlvE_clEvENKUlvE3_clEvEUlsssE_EEvS5_RKT_EUlibE_EEviT1_
	.p2align	8
	.type	_ZN2at6native32elementwise_kernel_manual_unrollILi128ELi4EZNS0_15gpu_kernel_implIZZZNS0_12_GLOBAL__N_117clamp_kernel_implERNS_18TensorIteratorBaseEENKUlvE_clEvENKUlvE3_clEvEUlsssE_EEvS5_RKT_EUlibE_EEviT1_,@function
_ZN2at6native32elementwise_kernel_manual_unrollILi128ELi4EZNS0_15gpu_kernel_implIZZZNS0_12_GLOBAL__N_117clamp_kernel_implERNS_18TensorIteratorBaseEENKUlvE_clEvENKUlvE3_clEvEUlsssE_EEvS5_RKT_EUlibE_EEviT1_: ; @_ZN2at6native32elementwise_kernel_manual_unrollILi128ELi4EZNS0_15gpu_kernel_implIZZZNS0_12_GLOBAL__N_117clamp_kernel_implERNS_18TensorIteratorBaseEENKUlvE_clEvENKUlvE3_clEvEUlsssE_EEvS5_RKT_EUlibE_EEviT1_
; %bb.0:
	v_mov_b32_e32 v1, 0
	s_bfe_u32 s3, ttmp6, 0x4000c
	s_clause 0x1
	s_load_b128 s[12:15], s[0:1], 0x28
	s_load_b256 s[4:11], s[0:1], 0x8
	s_add_co_i32 s3, s3, 1
	global_load_b32 v1, v1, s[0:1] offset:57
	s_load_b32 s20, s[0:1], 0x0
	s_and_b32 s16, ttmp6, 15
	s_wait_xcnt 0x0
	s_mul_i32 s0, ttmp9, s3
	s_getreg_b32 s18, hwreg(HW_REG_IB_STS2, 6, 4)
	s_add_co_i32 s16, s16, s0
	s_mov_b32 s19, 0
	s_wait_loadcnt 0x0
	v_readfirstlane_b32 s2, v1
	s_lshr_b32 s3, s2, 16
	s_lshr_b32 s17, s2, 8
	;; [unrolled: 1-line block ×3, first 2 shown]
	s_cmp_eq_u32 s18, 0
	s_cselect_b32 s0, ttmp9, s16
	s_mov_b32 s16, 0
	v_lshl_or_b32 v26, s0, 9, v0
	s_mov_b32 s0, exec_lo
	s_delay_alu instid0(VALU_DEP_1) | instskip(SKIP_1) | instid1(VALU_DEP_1)
	v_or_b32_e32 v0, 0x180, v26
	s_wait_kmcnt 0x0
	v_cmpx_le_i32_e64 s20, v0
	s_xor_b32 s18, exec_lo, s0
	s_cbranch_execz .LBB134_2015
; %bb.1:
	s_mov_b32 s28, -1
	s_mov_b32 s25, 0
	s_mov_b32 s23, 0
	;; [unrolled: 1-line block ×4, first 2 shown]
	s_mov_b32 s24, exec_lo
	v_cmpx_gt_i32_e64 s20, v26
	s_cbranch_execz .LBB134_500
; %bb.2:
	v_mul_lo_u32 v0, v26, s13
	s_and_b32 s0, s17, 0xff
	s_delay_alu instid0(SALU_CYCLE_1) | instskip(NEXT) | instid1(VALU_DEP_1)
	s_cmp_lt_i32 s0, 11
	v_ashrrev_i32_e32 v1, 31, v0
	s_delay_alu instid0(VALU_DEP_1)
	v_add_nc_u64_e32 v[2:3], s[6:7], v[0:1]
	s_cbranch_scc1 .LBB134_9
; %bb.3:
	s_and_b32 s19, 0xffff, s0
	s_delay_alu instid0(SALU_CYCLE_1)
	s_cmp_gt_i32 s19, 25
	s_cbranch_scc0 .LBB134_18
; %bb.4:
	s_cmp_gt_i32 s19, 28
	s_cbranch_scc0 .LBB134_28
; %bb.5:
	;; [unrolled: 3-line block ×4, first 2 shown]
	s_cmp_eq_u32 s19, 46
	s_cbranch_scc0 .LBB134_37
; %bb.8:
	global_load_b32 v0, v[2:3], off
	s_mov_b32 s21, -1
	s_wait_loadcnt 0x0
	v_lshlrev_b32_e32 v0, 16, v0
	s_delay_alu instid0(VALU_DEP_1)
	v_cvt_i32_f32_e32 v0, v0
	s_branch .LBB134_39
.LBB134_9:
                                        ; implicit-def: $vgpr0
	s_cbranch_execnz .LBB134_101
.LBB134_10:
	s_and_not1_b32 vcc_lo, exec_lo, s21
	s_cbranch_vccnz .LBB134_148
.LBB134_11:
	s_wait_xcnt 0x0
	v_mul_lo_u32 v2, v26, s14
	s_and_b32 s0, s3, 0xff
	s_delay_alu instid0(SALU_CYCLE_1) | instskip(NEXT) | instid1(VALU_DEP_1)
	s_cmp_lt_i32 s0, 11
	v_ashrrev_i32_e32 v3, 31, v2
	s_delay_alu instid0(VALU_DEP_1)
	v_add_nc_u64_e32 v[4:5], s[8:9], v[2:3]
	s_cbranch_scc1 .LBB134_19
; %bb.12:
	s_and_b32 s19, 0xffff, s0
	s_delay_alu instid0(SALU_CYCLE_1)
	s_cmp_gt_i32 s19, 25
	s_cbranch_scc0 .LBB134_29
; %bb.13:
	s_cmp_gt_i32 s19, 28
	s_cbranch_scc0 .LBB134_32
; %bb.14:
	s_cmp_gt_i32 s19, 43
	s_cbranch_scc0 .LBB134_35
; %bb.15:
	s_cmp_gt_i32 s19, 45
	s_cbranch_scc0 .LBB134_42
; %bb.16:
	s_cmp_eq_u32 s19, 46
	s_mov_b32 s26, 0
	s_cbranch_scc0 .LBB134_149
; %bb.17:
	s_wait_loadcnt 0x0
	global_load_b32 v1, v[4:5], off
	s_mov_b32 s21, -1
	s_mov_b32 s22, 0
	s_wait_loadcnt 0x0
	v_lshlrev_b32_e32 v1, 16, v1
	s_delay_alu instid0(VALU_DEP_1)
	v_cvt_i32_f32_e32 v2, v1
	s_branch .LBB134_151
.LBB134_18:
                                        ; implicit-def: $vgpr0
	s_cbranch_execnz .LBB134_68
	s_branch .LBB134_100
.LBB134_19:
	s_mov_b32 s22, 0
	s_mov_b32 s21, 0
                                        ; implicit-def: $vgpr2
	s_cbranch_execnz .LBB134_213
.LBB134_20:
	s_and_not1_b32 vcc_lo, exec_lo, s21
	s_cbranch_vccnz .LBB134_261
.LBB134_21:
	s_wait_xcnt 0x0
	v_mul_lo_u32 v4, v26, s15
	s_and_b32 s0, 0xffff, s1
	s_delay_alu instid0(SALU_CYCLE_1) | instskip(NEXT) | instid1(VALU_DEP_1)
	s_cmp_lt_i32 s0, 11
	v_ashrrev_i32_e32 v5, 31, v4
	s_delay_alu instid0(VALU_DEP_1)
	v_add_nc_u64_e32 v[4:5], s[10:11], v[4:5]
	s_cbranch_scc1 .LBB134_30
; %bb.22:
	s_cmp_gt_i32 s0, 25
	s_cbranch_scc0 .LBB134_33
; %bb.23:
	s_cmp_gt_i32 s0, 28
	s_cbranch_scc0 .LBB134_36
	;; [unrolled: 3-line block ×4, first 2 shown]
; %bb.26:
	s_cmp_eq_u32 s0, 46
	s_mov_b32 s26, 0
	s_cbranch_scc0 .LBB134_262
; %bb.27:
	s_wait_loadcnt 0x0
	global_load_b32 v1, v[4:5], off
	s_mov_b32 s19, -1
	s_mov_b32 s21, 0
	s_wait_loadcnt 0x0
	v_lshlrev_b32_e32 v1, 16, v1
	s_delay_alu instid0(VALU_DEP_1)
	v_cvt_i32_f32_e32 v6, v1
	s_branch .LBB134_264
.LBB134_28:
	s_mov_b32 s22, -1
                                        ; implicit-def: $vgpr0
	s_branch .LBB134_51
.LBB134_29:
	s_mov_b32 s26, -1
	s_mov_b32 s22, 0
	s_mov_b32 s21, 0
                                        ; implicit-def: $vgpr2
	s_branch .LBB134_179
.LBB134_30:
	s_mov_b32 s26, -1
	s_mov_b32 s21, 0
	s_mov_b32 s19, 0
                                        ; implicit-def: $vgpr6
	s_branch .LBB134_325
.LBB134_31:
	s_mov_b32 s22, -1
                                        ; implicit-def: $vgpr0
	s_branch .LBB134_46
.LBB134_32:
	s_mov_b32 s26, -1
	s_mov_b32 s22, 0
	s_mov_b32 s21, 0
                                        ; implicit-def: $vgpr2
	s_branch .LBB134_162
.LBB134_33:
	s_mov_b32 s26, -1
	s_mov_b32 s21, 0
	s_mov_b32 s19, 0
                                        ; implicit-def: $vgpr6
	s_branch .LBB134_291
.LBB134_34:
	s_mov_b32 s22, -1
	s_branch .LBB134_38
.LBB134_35:
	s_mov_b32 s26, -1
	s_mov_b32 s22, 0
	s_mov_b32 s21, 0
                                        ; implicit-def: $vgpr2
	s_branch .LBB134_157
.LBB134_36:
	s_mov_b32 s26, -1
	s_mov_b32 s21, 0
	s_mov_b32 s19, 0
                                        ; implicit-def: $vgpr6
	s_branch .LBB134_274
.LBB134_37:
	s_mov_b32 s23, -1
.LBB134_38:
                                        ; implicit-def: $vgpr0
.LBB134_39:
	s_and_b32 vcc_lo, exec_lo, s22
	s_cbranch_vccz .LBB134_45
; %bb.40:
	s_cmp_eq_u32 s19, 44
	s_cbranch_scc0 .LBB134_44
; %bb.41:
	global_load_u8 v0, v[2:3], off
	s_mov_b32 s23, 0
	s_mov_b32 s21, -1
	s_wait_loadcnt 0x0
	v_lshlrev_b32_e32 v1, 23, v0
	v_cmp_ne_u32_e32 vcc_lo, 0, v0
	s_delay_alu instid0(VALU_DEP_2) | instskip(NEXT) | instid1(VALU_DEP_1)
	v_cvt_i32_f32_e32 v1, v1
	v_cndmask_b32_e32 v0, 0, v1, vcc_lo
	s_branch .LBB134_45
.LBB134_42:
	s_mov_b32 s26, -1
	s_mov_b32 s22, 0
	s_branch .LBB134_150
.LBB134_43:
	s_mov_b32 s26, -1
	s_mov_b32 s21, 0
	s_mov_b32 s19, 0
                                        ; implicit-def: $vgpr6
	s_branch .LBB134_269
.LBB134_44:
	s_mov_b32 s23, -1
                                        ; implicit-def: $vgpr0
.LBB134_45:
	s_mov_b32 s22, 0
.LBB134_46:
	s_delay_alu instid0(SALU_CYCLE_1)
	s_and_b32 vcc_lo, exec_lo, s22
	s_cbranch_vccz .LBB134_50
; %bb.47:
	s_cmp_eq_u32 s19, 29
	s_cbranch_scc0 .LBB134_49
; %bb.48:
	global_load_b64 v[0:1], v[2:3], off
	s_mov_b32 s21, -1
	s_mov_b32 s23, 0
	s_branch .LBB134_50
.LBB134_49:
	s_mov_b32 s23, -1
                                        ; implicit-def: $vgpr0
.LBB134_50:
	s_mov_b32 s22, 0
.LBB134_51:
	s_delay_alu instid0(SALU_CYCLE_1)
	s_and_b32 vcc_lo, exec_lo, s22
	s_cbranch_vccz .LBB134_67
; %bb.52:
	s_cmp_lt_i32 s19, 27
	s_cbranch_scc1 .LBB134_55
; %bb.53:
	s_cmp_gt_i32 s19, 27
	s_cbranch_scc0 .LBB134_56
; %bb.54:
	s_wait_loadcnt 0x0
	global_load_b32 v0, v[2:3], off
	s_mov_b32 s21, 0
	s_branch .LBB134_57
.LBB134_55:
	s_mov_b32 s21, -1
                                        ; implicit-def: $vgpr0
	s_branch .LBB134_60
.LBB134_56:
	s_mov_b32 s21, -1
                                        ; implicit-def: $vgpr0
.LBB134_57:
	s_delay_alu instid0(SALU_CYCLE_1)
	s_and_not1_b32 vcc_lo, exec_lo, s21
	s_cbranch_vccnz .LBB134_59
; %bb.58:
	s_wait_loadcnt 0x0
	global_load_u16 v0, v[2:3], off
.LBB134_59:
	s_mov_b32 s21, 0
.LBB134_60:
	s_delay_alu instid0(SALU_CYCLE_1)
	s_and_not1_b32 vcc_lo, exec_lo, s21
	s_cbranch_vccnz .LBB134_66
; %bb.61:
	s_wait_loadcnt 0x0
	global_load_u8 v1, v[2:3], off
	s_mov_b32 s22, 0
	s_mov_b32 s21, exec_lo
	s_wait_loadcnt 0x0
	v_cmpx_lt_i16_e32 0x7f, v1
	s_xor_b32 s21, exec_lo, s21
	s_cbranch_execz .LBB134_77
; %bb.62:
	v_cmp_ne_u16_e32 vcc_lo, 0x80, v1
	s_and_b32 s22, vcc_lo, exec_lo
	s_and_not1_saveexec_b32 s21, s21
	s_cbranch_execnz .LBB134_78
.LBB134_63:
	s_or_b32 exec_lo, exec_lo, s21
	v_mov_b32_e32 v0, 0
	s_and_saveexec_b32 s21, s22
	s_cbranch_execz .LBB134_65
.LBB134_64:
	v_and_b32_e32 v0, 0xffff, v1
	s_delay_alu instid0(VALU_DEP_1) | instskip(SKIP_1) | instid1(VALU_DEP_2)
	v_and_b32_e32 v4, 7, v0
	v_bfe_u32 v7, v0, 3, 4
	v_clz_i32_u32_e32 v5, v4
	s_delay_alu instid0(VALU_DEP_2) | instskip(NEXT) | instid1(VALU_DEP_2)
	v_cmp_eq_u32_e32 vcc_lo, 0, v7
	v_min_u32_e32 v5, 32, v5
	s_delay_alu instid0(VALU_DEP_1) | instskip(NEXT) | instid1(VALU_DEP_1)
	v_subrev_nc_u32_e32 v6, 28, v5
	v_dual_lshlrev_b32 v0, v6, v0 :: v_dual_sub_nc_u32 v5, 29, v5
	s_delay_alu instid0(VALU_DEP_1) | instskip(NEXT) | instid1(VALU_DEP_1)
	v_dual_lshlrev_b32 v1, 24, v1 :: v_dual_bitop2_b32 v0, 7, v0 bitop3:0x40
	v_dual_cndmask_b32 v0, v4, v0 :: v_dual_cndmask_b32 v5, v7, v5
	s_delay_alu instid0(VALU_DEP_2) | instskip(NEXT) | instid1(VALU_DEP_2)
	v_and_b32_e32 v1, 0x80000000, v1
	v_lshlrev_b32_e32 v0, 20, v0
	s_delay_alu instid0(VALU_DEP_3) | instskip(NEXT) | instid1(VALU_DEP_1)
	v_lshl_add_u32 v4, v5, 23, 0x3b800000
	v_or3_b32 v0, v1, v4, v0
	s_delay_alu instid0(VALU_DEP_1)
	v_cvt_i32_f32_e32 v0, v0
.LBB134_65:
	s_or_b32 exec_lo, exec_lo, s21
.LBB134_66:
	s_mov_b32 s21, -1
.LBB134_67:
	s_branch .LBB134_100
.LBB134_68:
	s_cmp_gt_i32 s19, 22
	s_cbranch_scc0 .LBB134_76
; %bb.69:
	s_cmp_lt_i32 s19, 24
	s_cbranch_scc1 .LBB134_79
; %bb.70:
	s_cmp_gt_i32 s19, 24
	s_cbranch_scc0 .LBB134_80
; %bb.71:
	s_wait_loadcnt 0x0
	global_load_u8 v1, v[2:3], off
	s_mov_b32 s22, 0
	s_mov_b32 s21, exec_lo
	s_wait_loadcnt 0x0
	v_cmpx_lt_i16_e32 0x7f, v1
	s_xor_b32 s21, exec_lo, s21
	s_cbranch_execz .LBB134_92
; %bb.72:
	v_cmp_ne_u16_e32 vcc_lo, 0x80, v1
	s_and_b32 s22, vcc_lo, exec_lo
	s_and_not1_saveexec_b32 s21, s21
	s_cbranch_execnz .LBB134_93
.LBB134_73:
	s_or_b32 exec_lo, exec_lo, s21
	v_mov_b32_e32 v0, 0
	s_and_saveexec_b32 s21, s22
	s_cbranch_execz .LBB134_75
.LBB134_74:
	v_and_b32_e32 v0, 0xffff, v1
	s_delay_alu instid0(VALU_DEP_1) | instskip(SKIP_1) | instid1(VALU_DEP_2)
	v_and_b32_e32 v4, 3, v0
	v_bfe_u32 v7, v0, 2, 5
	v_clz_i32_u32_e32 v5, v4
	s_delay_alu instid0(VALU_DEP_2) | instskip(NEXT) | instid1(VALU_DEP_2)
	v_cmp_eq_u32_e32 vcc_lo, 0, v7
	v_min_u32_e32 v5, 32, v5
	s_delay_alu instid0(VALU_DEP_1) | instskip(NEXT) | instid1(VALU_DEP_1)
	v_subrev_nc_u32_e32 v6, 29, v5
	v_dual_lshlrev_b32 v0, v6, v0 :: v_dual_sub_nc_u32 v5, 30, v5
	s_delay_alu instid0(VALU_DEP_1) | instskip(NEXT) | instid1(VALU_DEP_1)
	v_dual_lshlrev_b32 v1, 24, v1 :: v_dual_bitop2_b32 v0, 3, v0 bitop3:0x40
	v_dual_cndmask_b32 v0, v4, v0 :: v_dual_cndmask_b32 v5, v7, v5
	s_delay_alu instid0(VALU_DEP_2) | instskip(NEXT) | instid1(VALU_DEP_2)
	v_and_b32_e32 v1, 0x80000000, v1
	v_lshlrev_b32_e32 v0, 21, v0
	s_delay_alu instid0(VALU_DEP_3) | instskip(NEXT) | instid1(VALU_DEP_1)
	v_lshl_add_u32 v4, v5, 23, 0x37800000
	v_or3_b32 v0, v1, v4, v0
	s_delay_alu instid0(VALU_DEP_1)
	v_cvt_i32_f32_e32 v0, v0
.LBB134_75:
	s_or_b32 exec_lo, exec_lo, s21
	s_mov_b32 s21, 0
	s_branch .LBB134_81
.LBB134_76:
	s_mov_b32 s22, -1
                                        ; implicit-def: $vgpr0
	s_branch .LBB134_87
.LBB134_77:
	s_and_not1_saveexec_b32 s21, s21
	s_cbranch_execz .LBB134_63
.LBB134_78:
	v_cmp_ne_u16_e32 vcc_lo, 0, v1
	s_and_not1_b32 s22, s22, exec_lo
	s_and_b32 s26, vcc_lo, exec_lo
	s_delay_alu instid0(SALU_CYCLE_1)
	s_or_b32 s22, s22, s26
	s_or_b32 exec_lo, exec_lo, s21
	v_mov_b32_e32 v0, 0
	s_and_saveexec_b32 s21, s22
	s_cbranch_execnz .LBB134_64
	s_branch .LBB134_65
.LBB134_79:
	s_mov_b32 s21, -1
                                        ; implicit-def: $vgpr0
	s_branch .LBB134_84
.LBB134_80:
	s_mov_b32 s21, -1
                                        ; implicit-def: $vgpr0
.LBB134_81:
	s_delay_alu instid0(SALU_CYCLE_1)
	s_and_b32 vcc_lo, exec_lo, s21
	s_cbranch_vccz .LBB134_83
; %bb.82:
	s_wait_loadcnt 0x0
	global_load_u8 v0, v[2:3], off
	s_wait_loadcnt 0x0
	v_lshlrev_b32_e32 v0, 24, v0
	s_delay_alu instid0(VALU_DEP_1) | instskip(NEXT) | instid1(VALU_DEP_1)
	v_and_b32_e32 v1, 0x7f000000, v0
	v_clz_i32_u32_e32 v4, v1
	v_cmp_ne_u32_e32 vcc_lo, 0, v1
	v_add_nc_u32_e32 v6, 0x1000000, v1
	s_delay_alu instid0(VALU_DEP_3) | instskip(NEXT) | instid1(VALU_DEP_1)
	v_min_u32_e32 v4, 32, v4
	v_sub_nc_u32_e64 v4, v4, 4 clamp
	s_delay_alu instid0(VALU_DEP_1) | instskip(NEXT) | instid1(VALU_DEP_1)
	v_dual_lshlrev_b32 v5, v4, v1 :: v_dual_lshlrev_b32 v4, 23, v4
	v_lshrrev_b32_e32 v5, 4, v5
	s_delay_alu instid0(VALU_DEP_1) | instskip(NEXT) | instid1(VALU_DEP_1)
	v_dual_sub_nc_u32 v4, v5, v4 :: v_dual_ashrrev_i32 v5, 8, v6
	v_add_nc_u32_e32 v4, 0x3c000000, v4
	s_delay_alu instid0(VALU_DEP_1) | instskip(NEXT) | instid1(VALU_DEP_1)
	v_and_or_b32 v4, 0x7f800000, v5, v4
	v_cndmask_b32_e32 v1, 0, v4, vcc_lo
	s_delay_alu instid0(VALU_DEP_1) | instskip(NEXT) | instid1(VALU_DEP_1)
	v_and_or_b32 v0, 0x80000000, v0, v1
	v_cvt_i32_f32_e32 v0, v0
.LBB134_83:
	s_mov_b32 s21, 0
.LBB134_84:
	s_delay_alu instid0(SALU_CYCLE_1)
	s_and_not1_b32 vcc_lo, exec_lo, s21
	s_cbranch_vccnz .LBB134_86
; %bb.85:
	s_wait_loadcnt 0x0
	global_load_u8 v0, v[2:3], off
	s_wait_loadcnt 0x0
	v_lshlrev_b32_e32 v1, 25, v0
	v_lshlrev_b16 v0, 8, v0
	s_delay_alu instid0(VALU_DEP_1) | instskip(SKIP_1) | instid1(VALU_DEP_2)
	v_and_or_b32 v5, 0x7f00, v0, 0.5
	v_bfe_i32 v0, v0, 0, 16
	v_add_f32_e32 v5, -0.5, v5
	v_lshrrev_b32_e32 v4, 4, v1
	v_cmp_gt_u32_e32 vcc_lo, 0x8000000, v1
	s_delay_alu instid0(VALU_DEP_2) | instskip(NEXT) | instid1(VALU_DEP_1)
	v_or_b32_e32 v4, 0x70000000, v4
	v_mul_f32_e32 v4, 0x7800000, v4
	s_delay_alu instid0(VALU_DEP_1) | instskip(NEXT) | instid1(VALU_DEP_1)
	v_cndmask_b32_e32 v1, v4, v5, vcc_lo
	v_and_or_b32 v0, 0x80000000, v0, v1
	s_delay_alu instid0(VALU_DEP_1)
	v_cvt_i32_f32_e32 v0, v0
.LBB134_86:
	s_mov_b32 s22, 0
	s_mov_b32 s21, -1
.LBB134_87:
	s_and_not1_b32 vcc_lo, exec_lo, s22
	s_cbranch_vccnz .LBB134_100
; %bb.88:
	s_cmp_gt_i32 s19, 14
	s_cbranch_scc0 .LBB134_91
; %bb.89:
	s_cmp_eq_u32 s19, 15
	s_cbranch_scc0 .LBB134_94
; %bb.90:
	s_wait_loadcnt 0x0
	global_load_u16 v0, v[2:3], off
	s_mov_b32 s21, -1
	s_mov_b32 s23, 0
	s_wait_loadcnt 0x0
	v_lshlrev_b32_e32 v0, 16, v0
	s_delay_alu instid0(VALU_DEP_1)
	v_cvt_i32_f32_e32 v0, v0
	s_branch .LBB134_95
.LBB134_91:
	s_mov_b32 s22, -1
                                        ; implicit-def: $vgpr0
	s_branch .LBB134_96
.LBB134_92:
	s_and_not1_saveexec_b32 s21, s21
	s_cbranch_execz .LBB134_73
.LBB134_93:
	v_cmp_ne_u16_e32 vcc_lo, 0, v1
	s_and_not1_b32 s22, s22, exec_lo
	s_and_b32 s26, vcc_lo, exec_lo
	s_delay_alu instid0(SALU_CYCLE_1)
	s_or_b32 s22, s22, s26
	s_or_b32 exec_lo, exec_lo, s21
	v_mov_b32_e32 v0, 0
	s_and_saveexec_b32 s21, s22
	s_cbranch_execnz .LBB134_74
	s_branch .LBB134_75
.LBB134_94:
	s_mov_b32 s23, -1
                                        ; implicit-def: $vgpr0
.LBB134_95:
	s_mov_b32 s22, 0
.LBB134_96:
	s_delay_alu instid0(SALU_CYCLE_1)
	s_and_b32 vcc_lo, exec_lo, s22
	s_cbranch_vccz .LBB134_100
; %bb.97:
	s_cmp_eq_u32 s19, 11
	s_cbranch_scc0 .LBB134_99
; %bb.98:
	s_wait_loadcnt 0x0
	global_load_u8 v0, v[2:3], off
	s_mov_b32 s23, 0
	s_mov_b32 s21, -1
	s_wait_loadcnt 0x0
	v_cmp_ne_u16_e32 vcc_lo, 0, v0
	v_cndmask_b32_e64 v0, 0, 1, vcc_lo
	s_branch .LBB134_100
.LBB134_99:
	s_mov_b32 s23, -1
                                        ; implicit-def: $vgpr0
.LBB134_100:
	s_branch .LBB134_10
.LBB134_101:
	s_and_b32 s0, 0xffff, s0
	s_delay_alu instid0(SALU_CYCLE_1)
	s_cmp_lt_i32 s0, 5
	s_cbranch_scc1 .LBB134_106
; %bb.102:
	s_cmp_lt_i32 s0, 8
	s_cbranch_scc1 .LBB134_107
; %bb.103:
	;; [unrolled: 3-line block ×3, first 2 shown]
	s_cmp_gt_i32 s0, 9
	s_cbranch_scc0 .LBB134_109
; %bb.105:
	s_wait_loadcnt 0x0
	global_load_b64 v[0:1], v[2:3], off
	s_mov_b32 s19, 0
	s_wait_loadcnt 0x0
	v_cvt_i32_f64_e32 v0, v[0:1]
	s_branch .LBB134_110
.LBB134_106:
                                        ; implicit-def: $vgpr0
	s_branch .LBB134_128
.LBB134_107:
	s_mov_b32 s19, -1
                                        ; implicit-def: $vgpr0
	s_branch .LBB134_116
.LBB134_108:
	s_mov_b32 s19, -1
                                        ; implicit-def: $vgpr0
	s_branch .LBB134_113
.LBB134_109:
	s_mov_b32 s19, -1
                                        ; implicit-def: $vgpr0
.LBB134_110:
	s_delay_alu instid0(SALU_CYCLE_1)
	s_and_not1_b32 vcc_lo, exec_lo, s19
	s_cbranch_vccnz .LBB134_112
; %bb.111:
	s_wait_loadcnt 0x0
	global_load_b32 v0, v[2:3], off
	s_wait_loadcnt 0x0
	v_cvt_i32_f32_e32 v0, v0
.LBB134_112:
	s_mov_b32 s19, 0
.LBB134_113:
	s_delay_alu instid0(SALU_CYCLE_1)
	s_and_not1_b32 vcc_lo, exec_lo, s19
	s_cbranch_vccnz .LBB134_115
; %bb.114:
	s_wait_loadcnt 0x0
	global_load_b32 v0, v[2:3], off
	s_wait_loadcnt 0x0
	v_cvt_i16_f16_e32 v0, v0
.LBB134_115:
	s_mov_b32 s19, 0
.LBB134_116:
	s_delay_alu instid0(SALU_CYCLE_1)
	s_and_not1_b32 vcc_lo, exec_lo, s19
	s_cbranch_vccnz .LBB134_127
; %bb.117:
	s_cmp_lt_i32 s0, 6
	s_cbranch_scc1 .LBB134_120
; %bb.118:
	s_cmp_gt_i32 s0, 6
	s_cbranch_scc0 .LBB134_121
; %bb.119:
	s_wait_loadcnt 0x0
	global_load_b64 v[0:1], v[2:3], off
	s_mov_b32 s19, 0
	s_wait_loadcnt 0x0
	v_cvt_i32_f64_e32 v0, v[0:1]
	s_branch .LBB134_122
.LBB134_120:
	s_mov_b32 s19, -1
                                        ; implicit-def: $vgpr0
	s_branch .LBB134_125
.LBB134_121:
	s_mov_b32 s19, -1
                                        ; implicit-def: $vgpr0
.LBB134_122:
	s_delay_alu instid0(SALU_CYCLE_1)
	s_and_not1_b32 vcc_lo, exec_lo, s19
	s_cbranch_vccnz .LBB134_124
; %bb.123:
	s_wait_loadcnt 0x0
	global_load_b32 v0, v[2:3], off
	s_wait_loadcnt 0x0
	v_cvt_i32_f32_e32 v0, v0
.LBB134_124:
	s_mov_b32 s19, 0
.LBB134_125:
	s_delay_alu instid0(SALU_CYCLE_1)
	s_and_not1_b32 vcc_lo, exec_lo, s19
	s_cbranch_vccnz .LBB134_127
; %bb.126:
	s_wait_loadcnt 0x0
	global_load_u16 v0, v[2:3], off
	s_wait_loadcnt 0x0
	v_cvt_i16_f16_e32 v0, v0
.LBB134_127:
	s_cbranch_execnz .LBB134_147
.LBB134_128:
	s_cmp_lt_i32 s0, 2
	s_cbranch_scc1 .LBB134_132
; %bb.129:
	s_cmp_lt_i32 s0, 3
	s_cbranch_scc1 .LBB134_133
; %bb.130:
	s_cmp_gt_i32 s0, 3
	s_cbranch_scc0 .LBB134_134
; %bb.131:
	s_wait_loadcnt 0x0
	global_load_b64 v[0:1], v[2:3], off
	s_mov_b32 s19, 0
	s_branch .LBB134_135
.LBB134_132:
	s_mov_b32 s19, -1
                                        ; implicit-def: $vgpr0
	s_branch .LBB134_141
.LBB134_133:
	s_mov_b32 s19, -1
                                        ; implicit-def: $vgpr0
	s_branch .LBB134_138
.LBB134_134:
	s_mov_b32 s19, -1
                                        ; implicit-def: $vgpr0
.LBB134_135:
	s_delay_alu instid0(SALU_CYCLE_1)
	s_and_not1_b32 vcc_lo, exec_lo, s19
	s_cbranch_vccnz .LBB134_137
; %bb.136:
	s_wait_loadcnt 0x0
	global_load_b32 v0, v[2:3], off
.LBB134_137:
	s_mov_b32 s19, 0
.LBB134_138:
	s_delay_alu instid0(SALU_CYCLE_1)
	s_and_not1_b32 vcc_lo, exec_lo, s19
	s_cbranch_vccnz .LBB134_140
; %bb.139:
	s_wait_loadcnt 0x0
	global_load_u16 v0, v[2:3], off
.LBB134_140:
	s_mov_b32 s19, 0
.LBB134_141:
	s_delay_alu instid0(SALU_CYCLE_1)
	s_and_not1_b32 vcc_lo, exec_lo, s19
	s_cbranch_vccnz .LBB134_147
; %bb.142:
	s_cmp_gt_i32 s0, 0
	s_mov_b32 s0, 0
	s_cbranch_scc0 .LBB134_144
; %bb.143:
	s_wait_loadcnt 0x0
	global_load_i8 v0, v[2:3], off
	s_branch .LBB134_145
.LBB134_144:
	s_mov_b32 s0, -1
                                        ; implicit-def: $vgpr0
.LBB134_145:
	s_delay_alu instid0(SALU_CYCLE_1)
	s_and_not1_b32 vcc_lo, exec_lo, s0
	s_cbranch_vccnz .LBB134_147
; %bb.146:
	s_wait_loadcnt 0x0
	global_load_u8 v0, v[2:3], off
.LBB134_147:
	s_branch .LBB134_11
.LBB134_148:
	s_mov_b32 s0, 0
	s_mov_b32 s21, 0
	;; [unrolled: 1-line block ×3, first 2 shown]
	s_branch .LBB134_498
.LBB134_149:
	s_mov_b32 s22, -1
.LBB134_150:
	s_mov_b32 s21, 0
                                        ; implicit-def: $vgpr2
.LBB134_151:
	s_and_b32 vcc_lo, exec_lo, s26
	s_cbranch_vccz .LBB134_156
; %bb.152:
	s_cmp_eq_u32 s19, 44
	s_cbranch_scc0 .LBB134_155
; %bb.153:
	s_wait_loadcnt 0x0
	global_load_u8 v1, v[4:5], off
	s_mov_b32 s22, 0
	s_mov_b32 s21, -1
	s_wait_loadcnt 0x0
	v_lshlrev_b32_e32 v2, 23, v1
	v_cmp_ne_u32_e32 vcc_lo, 0, v1
	s_delay_alu instid0(VALU_DEP_2) | instskip(NEXT) | instid1(VALU_DEP_1)
	v_cvt_i32_f32_e32 v2, v2
	v_cndmask_b32_e32 v2, 0, v2, vcc_lo
	s_branch .LBB134_156
.LBB134_154:
	s_mov_b32 s26, -1
	s_mov_b32 s21, 0
	s_branch .LBB134_263
.LBB134_155:
	s_mov_b32 s22, -1
                                        ; implicit-def: $vgpr2
.LBB134_156:
	s_mov_b32 s26, 0
.LBB134_157:
	s_delay_alu instid0(SALU_CYCLE_1)
	s_and_b32 vcc_lo, exec_lo, s26
	s_cbranch_vccz .LBB134_161
; %bb.158:
	s_cmp_eq_u32 s19, 29
	s_cbranch_scc0 .LBB134_160
; %bb.159:
	global_load_b64 v[2:3], v[4:5], off
	s_mov_b32 s21, -1
	s_mov_b32 s22, 0
	s_branch .LBB134_161
.LBB134_160:
	s_mov_b32 s22, -1
                                        ; implicit-def: $vgpr2
.LBB134_161:
	s_mov_b32 s26, 0
.LBB134_162:
	s_delay_alu instid0(SALU_CYCLE_1)
	s_and_b32 vcc_lo, exec_lo, s26
	s_cbranch_vccz .LBB134_178
; %bb.163:
	s_cmp_lt_i32 s19, 27
	s_cbranch_scc1 .LBB134_166
; %bb.164:
	s_cmp_gt_i32 s19, 27
	s_cbranch_scc0 .LBB134_167
; %bb.165:
	s_wait_loadcnt 0x0
	global_load_b32 v2, v[4:5], off
	s_mov_b32 s21, 0
	s_branch .LBB134_168
.LBB134_166:
	s_mov_b32 s21, -1
                                        ; implicit-def: $vgpr2
	s_branch .LBB134_171
.LBB134_167:
	s_mov_b32 s21, -1
                                        ; implicit-def: $vgpr2
.LBB134_168:
	s_delay_alu instid0(SALU_CYCLE_1)
	s_and_not1_b32 vcc_lo, exec_lo, s21
	s_cbranch_vccnz .LBB134_170
; %bb.169:
	s_wait_loadcnt 0x0
	global_load_u16 v2, v[4:5], off
.LBB134_170:
	s_mov_b32 s21, 0
.LBB134_171:
	s_delay_alu instid0(SALU_CYCLE_1)
	s_and_not1_b32 vcc_lo, exec_lo, s21
	s_cbranch_vccnz .LBB134_177
; %bb.172:
	s_wait_loadcnt 0x0
	global_load_u8 v1, v[4:5], off
	s_mov_b32 s26, 0
	s_mov_b32 s21, exec_lo
	s_wait_loadcnt 0x0
	v_cmpx_lt_i16_e32 0x7f, v1
	s_xor_b32 s21, exec_lo, s21
	s_cbranch_execz .LBB134_189
; %bb.173:
	v_cmp_ne_u16_e32 vcc_lo, 0x80, v1
	s_and_b32 s26, vcc_lo, exec_lo
	s_and_not1_saveexec_b32 s21, s21
	s_cbranch_execnz .LBB134_190
.LBB134_174:
	s_or_b32 exec_lo, exec_lo, s21
	v_mov_b32_e32 v2, 0
	s_and_saveexec_b32 s21, s26
	s_cbranch_execz .LBB134_176
.LBB134_175:
	v_and_b32_e32 v2, 0xffff, v1
	s_delay_alu instid0(VALU_DEP_1) | instskip(SKIP_1) | instid1(VALU_DEP_2)
	v_dual_lshlrev_b32 v1, 24, v1 :: v_dual_bitop2_b32 v3, 7, v2 bitop3:0x40
	v_bfe_u32 v8, v2, 3, 4
	v_and_b32_e32 v1, 0x80000000, v1
	s_delay_alu instid0(VALU_DEP_3) | instskip(NEXT) | instid1(VALU_DEP_3)
	v_clz_i32_u32_e32 v6, v3
	v_cmp_eq_u32_e32 vcc_lo, 0, v8
	s_delay_alu instid0(VALU_DEP_2) | instskip(NEXT) | instid1(VALU_DEP_1)
	v_min_u32_e32 v6, 32, v6
	v_subrev_nc_u32_e32 v7, 28, v6
	v_sub_nc_u32_e32 v6, 29, v6
	s_delay_alu instid0(VALU_DEP_2) | instskip(NEXT) | instid1(VALU_DEP_2)
	v_lshlrev_b32_e32 v2, v7, v2
	v_cndmask_b32_e32 v6, v8, v6, vcc_lo
	s_delay_alu instid0(VALU_DEP_2) | instskip(NEXT) | instid1(VALU_DEP_1)
	v_and_b32_e32 v2, 7, v2
	v_cndmask_b32_e32 v2, v3, v2, vcc_lo
	s_delay_alu instid0(VALU_DEP_3) | instskip(NEXT) | instid1(VALU_DEP_2)
	v_lshl_add_u32 v3, v6, 23, 0x3b800000
	v_lshlrev_b32_e32 v2, 20, v2
	s_delay_alu instid0(VALU_DEP_1) | instskip(NEXT) | instid1(VALU_DEP_1)
	v_or3_b32 v1, v1, v3, v2
	v_cvt_i32_f32_e32 v2, v1
.LBB134_176:
	s_or_b32 exec_lo, exec_lo, s21
.LBB134_177:
	s_mov_b32 s21, -1
.LBB134_178:
	s_mov_b32 s26, 0
.LBB134_179:
	s_delay_alu instid0(SALU_CYCLE_1)
	s_and_b32 vcc_lo, exec_lo, s26
	s_cbranch_vccz .LBB134_212
; %bb.180:
	s_cmp_gt_i32 s19, 22
	s_cbranch_scc0 .LBB134_188
; %bb.181:
	s_cmp_lt_i32 s19, 24
	s_cbranch_scc1 .LBB134_191
; %bb.182:
	s_cmp_gt_i32 s19, 24
	s_cbranch_scc0 .LBB134_192
; %bb.183:
	s_wait_loadcnt 0x0
	global_load_u8 v1, v[4:5], off
	s_mov_b32 s26, 0
	s_mov_b32 s21, exec_lo
	s_wait_loadcnt 0x0
	v_cmpx_lt_i16_e32 0x7f, v1
	s_xor_b32 s21, exec_lo, s21
	s_cbranch_execz .LBB134_204
; %bb.184:
	v_cmp_ne_u16_e32 vcc_lo, 0x80, v1
	s_and_b32 s26, vcc_lo, exec_lo
	s_and_not1_saveexec_b32 s21, s21
	s_cbranch_execnz .LBB134_205
.LBB134_185:
	s_or_b32 exec_lo, exec_lo, s21
	v_mov_b32_e32 v2, 0
	s_and_saveexec_b32 s21, s26
	s_cbranch_execz .LBB134_187
.LBB134_186:
	v_and_b32_e32 v2, 0xffff, v1
	s_delay_alu instid0(VALU_DEP_1) | instskip(SKIP_1) | instid1(VALU_DEP_2)
	v_dual_lshlrev_b32 v1, 24, v1 :: v_dual_bitop2_b32 v3, 3, v2 bitop3:0x40
	v_bfe_u32 v8, v2, 2, 5
	v_and_b32_e32 v1, 0x80000000, v1
	s_delay_alu instid0(VALU_DEP_3) | instskip(NEXT) | instid1(VALU_DEP_3)
	v_clz_i32_u32_e32 v6, v3
	v_cmp_eq_u32_e32 vcc_lo, 0, v8
	s_delay_alu instid0(VALU_DEP_2) | instskip(NEXT) | instid1(VALU_DEP_1)
	v_min_u32_e32 v6, 32, v6
	v_subrev_nc_u32_e32 v7, 29, v6
	v_sub_nc_u32_e32 v6, 30, v6
	s_delay_alu instid0(VALU_DEP_2) | instskip(NEXT) | instid1(VALU_DEP_2)
	v_lshlrev_b32_e32 v2, v7, v2
	v_cndmask_b32_e32 v6, v8, v6, vcc_lo
	s_delay_alu instid0(VALU_DEP_2) | instskip(NEXT) | instid1(VALU_DEP_1)
	v_and_b32_e32 v2, 3, v2
	v_cndmask_b32_e32 v2, v3, v2, vcc_lo
	s_delay_alu instid0(VALU_DEP_3) | instskip(NEXT) | instid1(VALU_DEP_2)
	v_lshl_add_u32 v3, v6, 23, 0x37800000
	v_lshlrev_b32_e32 v2, 21, v2
	s_delay_alu instid0(VALU_DEP_1) | instskip(NEXT) | instid1(VALU_DEP_1)
	v_or3_b32 v1, v1, v3, v2
	v_cvt_i32_f32_e32 v2, v1
.LBB134_187:
	s_or_b32 exec_lo, exec_lo, s21
	s_mov_b32 s21, 0
	s_branch .LBB134_193
.LBB134_188:
	s_mov_b32 s26, -1
                                        ; implicit-def: $vgpr2
	s_branch .LBB134_199
.LBB134_189:
	s_and_not1_saveexec_b32 s21, s21
	s_cbranch_execz .LBB134_174
.LBB134_190:
	v_cmp_ne_u16_e32 vcc_lo, 0, v1
	s_and_not1_b32 s26, s26, exec_lo
	s_and_b32 s27, vcc_lo, exec_lo
	s_delay_alu instid0(SALU_CYCLE_1)
	s_or_b32 s26, s26, s27
	s_or_b32 exec_lo, exec_lo, s21
	v_mov_b32_e32 v2, 0
	s_and_saveexec_b32 s21, s26
	s_cbranch_execnz .LBB134_175
	s_branch .LBB134_176
.LBB134_191:
	s_mov_b32 s21, -1
                                        ; implicit-def: $vgpr2
	s_branch .LBB134_196
.LBB134_192:
	s_mov_b32 s21, -1
                                        ; implicit-def: $vgpr2
.LBB134_193:
	s_delay_alu instid0(SALU_CYCLE_1)
	s_and_b32 vcc_lo, exec_lo, s21
	s_cbranch_vccz .LBB134_195
; %bb.194:
	s_wait_loadcnt 0x0
	global_load_u8 v1, v[4:5], off
	s_wait_loadcnt 0x0
	v_lshlrev_b32_e32 v1, 24, v1
	s_delay_alu instid0(VALU_DEP_1) | instskip(NEXT) | instid1(VALU_DEP_1)
	v_and_b32_e32 v2, 0x7f000000, v1
	v_clz_i32_u32_e32 v3, v2
	v_cmp_ne_u32_e32 vcc_lo, 0, v2
	v_add_nc_u32_e32 v7, 0x1000000, v2
	s_delay_alu instid0(VALU_DEP_3) | instskip(NEXT) | instid1(VALU_DEP_1)
	v_min_u32_e32 v3, 32, v3
	v_sub_nc_u32_e64 v3, v3, 4 clamp
	s_delay_alu instid0(VALU_DEP_1) | instskip(NEXT) | instid1(VALU_DEP_1)
	v_dual_lshlrev_b32 v6, v3, v2 :: v_dual_lshlrev_b32 v3, 23, v3
	v_lshrrev_b32_e32 v6, 4, v6
	s_delay_alu instid0(VALU_DEP_1) | instskip(SKIP_1) | instid1(VALU_DEP_2)
	v_sub_nc_u32_e32 v3, v6, v3
	v_ashrrev_i32_e32 v6, 8, v7
	v_add_nc_u32_e32 v3, 0x3c000000, v3
	s_delay_alu instid0(VALU_DEP_1) | instskip(NEXT) | instid1(VALU_DEP_1)
	v_and_or_b32 v3, 0x7f800000, v6, v3
	v_cndmask_b32_e32 v2, 0, v3, vcc_lo
	s_delay_alu instid0(VALU_DEP_1) | instskip(NEXT) | instid1(VALU_DEP_1)
	v_and_or_b32 v1, 0x80000000, v1, v2
	v_cvt_i32_f32_e32 v2, v1
.LBB134_195:
	s_mov_b32 s21, 0
.LBB134_196:
	s_delay_alu instid0(SALU_CYCLE_1)
	s_and_not1_b32 vcc_lo, exec_lo, s21
	s_cbranch_vccnz .LBB134_198
; %bb.197:
	s_wait_loadcnt 0x0
	global_load_u8 v1, v[4:5], off
	s_wait_loadcnt 0x0
	v_lshlrev_b32_e32 v2, 25, v1
	v_lshlrev_b16 v1, 8, v1
	s_delay_alu instid0(VALU_DEP_1) | instskip(SKIP_1) | instid1(VALU_DEP_2)
	v_and_or_b32 v6, 0x7f00, v1, 0.5
	v_bfe_i32 v1, v1, 0, 16
	v_add_f32_e32 v6, -0.5, v6
	v_lshrrev_b32_e32 v3, 4, v2
	v_cmp_gt_u32_e32 vcc_lo, 0x8000000, v2
	s_delay_alu instid0(VALU_DEP_2) | instskip(NEXT) | instid1(VALU_DEP_1)
	v_or_b32_e32 v3, 0x70000000, v3
	v_mul_f32_e32 v3, 0x7800000, v3
	s_delay_alu instid0(VALU_DEP_1) | instskip(NEXT) | instid1(VALU_DEP_1)
	v_cndmask_b32_e32 v2, v3, v6, vcc_lo
	v_and_or_b32 v1, 0x80000000, v1, v2
	s_delay_alu instid0(VALU_DEP_1)
	v_cvt_i32_f32_e32 v2, v1
.LBB134_198:
	s_mov_b32 s26, 0
	s_mov_b32 s21, -1
.LBB134_199:
	s_and_not1_b32 vcc_lo, exec_lo, s26
	s_cbranch_vccnz .LBB134_212
; %bb.200:
	s_cmp_gt_i32 s19, 14
	s_cbranch_scc0 .LBB134_203
; %bb.201:
	s_cmp_eq_u32 s19, 15
	s_cbranch_scc0 .LBB134_206
; %bb.202:
	s_wait_loadcnt 0x0
	global_load_u16 v1, v[4:5], off
	s_mov_b32 s21, -1
	s_mov_b32 s22, 0
	s_wait_loadcnt 0x0
	v_lshlrev_b32_e32 v1, 16, v1
	s_delay_alu instid0(VALU_DEP_1)
	v_cvt_i32_f32_e32 v2, v1
	s_branch .LBB134_207
.LBB134_203:
	s_mov_b32 s26, -1
                                        ; implicit-def: $vgpr2
	s_branch .LBB134_208
.LBB134_204:
	s_and_not1_saveexec_b32 s21, s21
	s_cbranch_execz .LBB134_185
.LBB134_205:
	v_cmp_ne_u16_e32 vcc_lo, 0, v1
	s_and_not1_b32 s26, s26, exec_lo
	s_and_b32 s27, vcc_lo, exec_lo
	s_delay_alu instid0(SALU_CYCLE_1)
	s_or_b32 s26, s26, s27
	s_or_b32 exec_lo, exec_lo, s21
	v_mov_b32_e32 v2, 0
	s_and_saveexec_b32 s21, s26
	s_cbranch_execnz .LBB134_186
	s_branch .LBB134_187
.LBB134_206:
	s_mov_b32 s22, -1
                                        ; implicit-def: $vgpr2
.LBB134_207:
	s_mov_b32 s26, 0
.LBB134_208:
	s_delay_alu instid0(SALU_CYCLE_1)
	s_and_b32 vcc_lo, exec_lo, s26
	s_cbranch_vccz .LBB134_212
; %bb.209:
	s_cmp_eq_u32 s19, 11
	s_cbranch_scc0 .LBB134_211
; %bb.210:
	s_wait_loadcnt 0x0
	global_load_u8 v1, v[4:5], off
	s_mov_b32 s22, 0
	s_mov_b32 s21, -1
	s_wait_loadcnt 0x0
	v_cmp_ne_u16_e32 vcc_lo, 0, v1
	v_cndmask_b32_e64 v2, 0, 1, vcc_lo
	s_branch .LBB134_212
.LBB134_211:
	s_mov_b32 s22, -1
                                        ; implicit-def: $vgpr2
.LBB134_212:
	s_branch .LBB134_20
.LBB134_213:
	s_and_b32 s0, 0xffff, s0
	s_delay_alu instid0(SALU_CYCLE_1)
	s_cmp_lt_i32 s0, 5
	s_cbranch_scc1 .LBB134_218
; %bb.214:
	s_cmp_lt_i32 s0, 8
	s_cbranch_scc1 .LBB134_219
; %bb.215:
	;; [unrolled: 3-line block ×3, first 2 shown]
	s_cmp_gt_i32 s0, 9
	s_cbranch_scc0 .LBB134_221
; %bb.217:
	s_wait_loadcnt 0x0
	global_load_b64 v[2:3], v[4:5], off
	s_mov_b32 s19, 0
	s_wait_loadcnt 0x0
	v_cvt_i32_f64_e32 v2, v[2:3]
	s_branch .LBB134_222
.LBB134_218:
	s_mov_b32 s19, -1
                                        ; implicit-def: $vgpr2
	s_branch .LBB134_240
.LBB134_219:
	s_mov_b32 s19, -1
                                        ; implicit-def: $vgpr2
	s_branch .LBB134_228
.LBB134_220:
	s_mov_b32 s19, -1
                                        ; implicit-def: $vgpr2
	s_branch .LBB134_225
.LBB134_221:
	s_mov_b32 s19, -1
                                        ; implicit-def: $vgpr2
.LBB134_222:
	s_delay_alu instid0(SALU_CYCLE_1)
	s_and_not1_b32 vcc_lo, exec_lo, s19
	s_cbranch_vccnz .LBB134_224
; %bb.223:
	s_wait_loadcnt 0x0
	global_load_b32 v1, v[4:5], off
	s_wait_loadcnt 0x0
	v_cvt_i32_f32_e32 v2, v1
.LBB134_224:
	s_mov_b32 s19, 0
.LBB134_225:
	s_delay_alu instid0(SALU_CYCLE_1)
	s_and_not1_b32 vcc_lo, exec_lo, s19
	s_cbranch_vccnz .LBB134_227
; %bb.226:
	s_wait_loadcnt 0x0
	global_load_b32 v1, v[4:5], off
	s_wait_loadcnt 0x0
	v_cvt_i16_f16_e32 v2, v1
.LBB134_227:
	s_mov_b32 s19, 0
.LBB134_228:
	s_delay_alu instid0(SALU_CYCLE_1)
	s_and_not1_b32 vcc_lo, exec_lo, s19
	s_cbranch_vccnz .LBB134_239
; %bb.229:
	s_cmp_lt_i32 s0, 6
	s_cbranch_scc1 .LBB134_232
; %bb.230:
	s_cmp_gt_i32 s0, 6
	s_cbranch_scc0 .LBB134_233
; %bb.231:
	s_wait_loadcnt 0x0
	global_load_b64 v[2:3], v[4:5], off
	s_mov_b32 s19, 0
	s_wait_loadcnt 0x0
	v_cvt_i32_f64_e32 v2, v[2:3]
	s_branch .LBB134_234
.LBB134_232:
	s_mov_b32 s19, -1
                                        ; implicit-def: $vgpr2
	s_branch .LBB134_237
.LBB134_233:
	s_mov_b32 s19, -1
                                        ; implicit-def: $vgpr2
.LBB134_234:
	s_delay_alu instid0(SALU_CYCLE_1)
	s_and_not1_b32 vcc_lo, exec_lo, s19
	s_cbranch_vccnz .LBB134_236
; %bb.235:
	s_wait_loadcnt 0x0
	global_load_b32 v1, v[4:5], off
	s_wait_loadcnt 0x0
	v_cvt_i32_f32_e32 v2, v1
.LBB134_236:
	s_mov_b32 s19, 0
.LBB134_237:
	s_delay_alu instid0(SALU_CYCLE_1)
	s_and_not1_b32 vcc_lo, exec_lo, s19
	s_cbranch_vccnz .LBB134_239
; %bb.238:
	s_wait_loadcnt 0x0
	global_load_u16 v1, v[4:5], off
	s_wait_loadcnt 0x0
	v_cvt_i16_f16_e32 v2, v1
.LBB134_239:
	s_mov_b32 s19, 0
.LBB134_240:
	s_delay_alu instid0(SALU_CYCLE_1)
	s_and_not1_b32 vcc_lo, exec_lo, s19
	s_cbranch_vccnz .LBB134_260
; %bb.241:
	s_cmp_lt_i32 s0, 2
	s_cbranch_scc1 .LBB134_245
; %bb.242:
	s_cmp_lt_i32 s0, 3
	s_cbranch_scc1 .LBB134_246
; %bb.243:
	s_cmp_gt_i32 s0, 3
	s_cbranch_scc0 .LBB134_247
; %bb.244:
	s_wait_loadcnt 0x0
	global_load_b64 v[2:3], v[4:5], off
	s_mov_b32 s19, 0
	s_branch .LBB134_248
.LBB134_245:
	s_mov_b32 s19, -1
                                        ; implicit-def: $vgpr2
	s_branch .LBB134_254
.LBB134_246:
	s_mov_b32 s19, -1
                                        ; implicit-def: $vgpr2
	s_branch .LBB134_251
.LBB134_247:
	s_mov_b32 s19, -1
                                        ; implicit-def: $vgpr2
.LBB134_248:
	s_delay_alu instid0(SALU_CYCLE_1)
	s_and_not1_b32 vcc_lo, exec_lo, s19
	s_cbranch_vccnz .LBB134_250
; %bb.249:
	s_wait_loadcnt 0x0
	global_load_b32 v2, v[4:5], off
.LBB134_250:
	s_mov_b32 s19, 0
.LBB134_251:
	s_delay_alu instid0(SALU_CYCLE_1)
	s_and_not1_b32 vcc_lo, exec_lo, s19
	s_cbranch_vccnz .LBB134_253
; %bb.252:
	s_wait_loadcnt 0x0
	global_load_u16 v2, v[4:5], off
.LBB134_253:
	s_mov_b32 s19, 0
.LBB134_254:
	s_delay_alu instid0(SALU_CYCLE_1)
	s_and_not1_b32 vcc_lo, exec_lo, s19
	s_cbranch_vccnz .LBB134_260
; %bb.255:
	s_cmp_gt_i32 s0, 0
	s_mov_b32 s0, 0
	s_cbranch_scc0 .LBB134_257
; %bb.256:
	s_wait_loadcnt 0x0
	global_load_i8 v2, v[4:5], off
	s_branch .LBB134_258
.LBB134_257:
	s_mov_b32 s0, -1
                                        ; implicit-def: $vgpr2
.LBB134_258:
	s_delay_alu instid0(SALU_CYCLE_1)
	s_and_not1_b32 vcc_lo, exec_lo, s0
	s_cbranch_vccnz .LBB134_260
; %bb.259:
	s_wait_loadcnt 0x0
	global_load_u8 v2, v[4:5], off
.LBB134_260:
	s_branch .LBB134_21
.LBB134_261:
	s_mov_b32 s0, 0
	s_mov_b32 s21, 0
	s_branch .LBB134_498
.LBB134_262:
	s_mov_b32 s21, -1
.LBB134_263:
	s_mov_b32 s19, 0
                                        ; implicit-def: $vgpr6
.LBB134_264:
	s_and_b32 vcc_lo, exec_lo, s26
	s_cbranch_vccz .LBB134_268
; %bb.265:
	s_cmp_eq_u32 s0, 44
	s_cbranch_scc0 .LBB134_267
; %bb.266:
	s_wait_loadcnt 0x0
	global_load_u8 v1, v[4:5], off
	s_mov_b32 s21, 0
	s_mov_b32 s19, -1
	s_wait_loadcnt 0x0
	v_lshlrev_b32_e32 v3, 23, v1
	v_cmp_ne_u32_e32 vcc_lo, 0, v1
	s_delay_alu instid0(VALU_DEP_2) | instskip(NEXT) | instid1(VALU_DEP_1)
	v_cvt_i32_f32_e32 v3, v3
	v_cndmask_b32_e32 v6, 0, v3, vcc_lo
	s_branch .LBB134_268
.LBB134_267:
	s_mov_b32 s21, -1
                                        ; implicit-def: $vgpr6
.LBB134_268:
	s_mov_b32 s26, 0
.LBB134_269:
	s_delay_alu instid0(SALU_CYCLE_1)
	s_and_b32 vcc_lo, exec_lo, s26
	s_cbranch_vccz .LBB134_273
; %bb.270:
	s_cmp_eq_u32 s0, 29
	s_cbranch_scc0 .LBB134_272
; %bb.271:
	global_load_b64 v[6:7], v[4:5], off
	s_mov_b32 s19, -1
	s_mov_b32 s21, 0
	s_branch .LBB134_273
.LBB134_272:
	s_mov_b32 s21, -1
                                        ; implicit-def: $vgpr6
.LBB134_273:
	s_mov_b32 s26, 0
.LBB134_274:
	s_delay_alu instid0(SALU_CYCLE_1)
	s_and_b32 vcc_lo, exec_lo, s26
	s_cbranch_vccz .LBB134_290
; %bb.275:
	s_cmp_lt_i32 s0, 27
	s_cbranch_scc1 .LBB134_278
; %bb.276:
	s_cmp_gt_i32 s0, 27
	s_cbranch_scc0 .LBB134_279
; %bb.277:
	s_wait_loadcnt 0x0
	global_load_b32 v6, v[4:5], off
	s_mov_b32 s19, 0
	s_branch .LBB134_280
.LBB134_278:
	s_mov_b32 s19, -1
                                        ; implicit-def: $vgpr6
	s_branch .LBB134_283
.LBB134_279:
	s_mov_b32 s19, -1
                                        ; implicit-def: $vgpr6
.LBB134_280:
	s_delay_alu instid0(SALU_CYCLE_1)
	s_and_not1_b32 vcc_lo, exec_lo, s19
	s_cbranch_vccnz .LBB134_282
; %bb.281:
	s_wait_loadcnt 0x0
	global_load_u16 v6, v[4:5], off
.LBB134_282:
	s_mov_b32 s19, 0
.LBB134_283:
	s_delay_alu instid0(SALU_CYCLE_1)
	s_and_not1_b32 vcc_lo, exec_lo, s19
	s_cbranch_vccnz .LBB134_289
; %bb.284:
	s_wait_loadcnt 0x0
	global_load_u8 v1, v[4:5], off
	s_mov_b32 s26, 0
	s_mov_b32 s19, exec_lo
	s_wait_loadcnt 0x0
	v_cmpx_lt_i16_e32 0x7f, v1
	s_xor_b32 s19, exec_lo, s19
	s_cbranch_execz .LBB134_301
; %bb.285:
	v_cmp_ne_u16_e32 vcc_lo, 0x80, v1
	s_and_b32 s26, vcc_lo, exec_lo
	s_and_not1_saveexec_b32 s19, s19
	s_cbranch_execnz .LBB134_302
.LBB134_286:
	s_or_b32 exec_lo, exec_lo, s19
	v_mov_b32_e32 v6, 0
	s_and_saveexec_b32 s19, s26
	s_cbranch_execz .LBB134_288
.LBB134_287:
	v_and_b32_e32 v3, 0xffff, v1
	s_delay_alu instid0(VALU_DEP_1) | instskip(SKIP_1) | instid1(VALU_DEP_2)
	v_dual_lshlrev_b32 v1, 24, v1 :: v_dual_bitop2_b32 v6, 7, v3 bitop3:0x40
	v_bfe_u32 v9, v3, 3, 4
	v_and_b32_e32 v1, 0x80000000, v1
	s_delay_alu instid0(VALU_DEP_3) | instskip(NEXT) | instid1(VALU_DEP_3)
	v_clz_i32_u32_e32 v7, v6
	v_cmp_eq_u32_e32 vcc_lo, 0, v9
	s_delay_alu instid0(VALU_DEP_2) | instskip(NEXT) | instid1(VALU_DEP_1)
	v_min_u32_e32 v7, 32, v7
	v_subrev_nc_u32_e32 v8, 28, v7
	v_sub_nc_u32_e32 v7, 29, v7
	s_delay_alu instid0(VALU_DEP_2) | instskip(NEXT) | instid1(VALU_DEP_2)
	v_lshlrev_b32_e32 v3, v8, v3
	v_cndmask_b32_e32 v7, v9, v7, vcc_lo
	s_delay_alu instid0(VALU_DEP_2) | instskip(NEXT) | instid1(VALU_DEP_1)
	v_and_b32_e32 v3, 7, v3
	v_cndmask_b32_e32 v3, v6, v3, vcc_lo
	s_delay_alu instid0(VALU_DEP_3) | instskip(NEXT) | instid1(VALU_DEP_2)
	v_lshl_add_u32 v6, v7, 23, 0x3b800000
	v_lshlrev_b32_e32 v3, 20, v3
	s_delay_alu instid0(VALU_DEP_1) | instskip(NEXT) | instid1(VALU_DEP_1)
	v_or3_b32 v1, v1, v6, v3
	v_cvt_i32_f32_e32 v6, v1
.LBB134_288:
	s_or_b32 exec_lo, exec_lo, s19
.LBB134_289:
	s_mov_b32 s19, -1
.LBB134_290:
	s_mov_b32 s26, 0
.LBB134_291:
	s_delay_alu instid0(SALU_CYCLE_1)
	s_and_b32 vcc_lo, exec_lo, s26
	s_cbranch_vccz .LBB134_324
; %bb.292:
	s_cmp_gt_i32 s0, 22
	s_cbranch_scc0 .LBB134_300
; %bb.293:
	s_cmp_lt_i32 s0, 24
	s_cbranch_scc1 .LBB134_303
; %bb.294:
	s_cmp_gt_i32 s0, 24
	s_cbranch_scc0 .LBB134_304
; %bb.295:
	s_wait_loadcnt 0x0
	global_load_u8 v1, v[4:5], off
	s_mov_b32 s26, 0
	s_mov_b32 s19, exec_lo
	s_wait_loadcnt 0x0
	v_cmpx_lt_i16_e32 0x7f, v1
	s_xor_b32 s19, exec_lo, s19
	s_cbranch_execz .LBB134_316
; %bb.296:
	v_cmp_ne_u16_e32 vcc_lo, 0x80, v1
	s_and_b32 s26, vcc_lo, exec_lo
	s_and_not1_saveexec_b32 s19, s19
	s_cbranch_execnz .LBB134_317
.LBB134_297:
	s_or_b32 exec_lo, exec_lo, s19
	v_mov_b32_e32 v6, 0
	s_and_saveexec_b32 s19, s26
	s_cbranch_execz .LBB134_299
.LBB134_298:
	v_and_b32_e32 v3, 0xffff, v1
	s_delay_alu instid0(VALU_DEP_1) | instskip(SKIP_1) | instid1(VALU_DEP_2)
	v_dual_lshlrev_b32 v1, 24, v1 :: v_dual_bitop2_b32 v6, 3, v3 bitop3:0x40
	v_bfe_u32 v9, v3, 2, 5
	v_and_b32_e32 v1, 0x80000000, v1
	s_delay_alu instid0(VALU_DEP_3) | instskip(NEXT) | instid1(VALU_DEP_3)
	v_clz_i32_u32_e32 v7, v6
	v_cmp_eq_u32_e32 vcc_lo, 0, v9
	s_delay_alu instid0(VALU_DEP_2) | instskip(NEXT) | instid1(VALU_DEP_1)
	v_min_u32_e32 v7, 32, v7
	v_subrev_nc_u32_e32 v8, 29, v7
	v_sub_nc_u32_e32 v7, 30, v7
	s_delay_alu instid0(VALU_DEP_2) | instskip(NEXT) | instid1(VALU_DEP_2)
	v_lshlrev_b32_e32 v3, v8, v3
	v_cndmask_b32_e32 v7, v9, v7, vcc_lo
	s_delay_alu instid0(VALU_DEP_2) | instskip(NEXT) | instid1(VALU_DEP_1)
	v_and_b32_e32 v3, 3, v3
	v_cndmask_b32_e32 v3, v6, v3, vcc_lo
	s_delay_alu instid0(VALU_DEP_3) | instskip(NEXT) | instid1(VALU_DEP_2)
	v_lshl_add_u32 v6, v7, 23, 0x37800000
	v_lshlrev_b32_e32 v3, 21, v3
	s_delay_alu instid0(VALU_DEP_1) | instskip(NEXT) | instid1(VALU_DEP_1)
	v_or3_b32 v1, v1, v6, v3
	v_cvt_i32_f32_e32 v6, v1
.LBB134_299:
	s_or_b32 exec_lo, exec_lo, s19
	s_mov_b32 s19, 0
	s_branch .LBB134_305
.LBB134_300:
	s_mov_b32 s26, -1
                                        ; implicit-def: $vgpr6
	s_branch .LBB134_311
.LBB134_301:
	s_and_not1_saveexec_b32 s19, s19
	s_cbranch_execz .LBB134_286
.LBB134_302:
	v_cmp_ne_u16_e32 vcc_lo, 0, v1
	s_and_not1_b32 s26, s26, exec_lo
	s_and_b32 s27, vcc_lo, exec_lo
	s_delay_alu instid0(SALU_CYCLE_1)
	s_or_b32 s26, s26, s27
	s_or_b32 exec_lo, exec_lo, s19
	v_mov_b32_e32 v6, 0
	s_and_saveexec_b32 s19, s26
	s_cbranch_execnz .LBB134_287
	s_branch .LBB134_288
.LBB134_303:
	s_mov_b32 s19, -1
                                        ; implicit-def: $vgpr6
	s_branch .LBB134_308
.LBB134_304:
	s_mov_b32 s19, -1
                                        ; implicit-def: $vgpr6
.LBB134_305:
	s_delay_alu instid0(SALU_CYCLE_1)
	s_and_b32 vcc_lo, exec_lo, s19
	s_cbranch_vccz .LBB134_307
; %bb.306:
	s_wait_loadcnt 0x0
	global_load_u8 v1, v[4:5], off
	s_wait_loadcnt 0x0
	v_lshlrev_b32_e32 v1, 24, v1
	s_delay_alu instid0(VALU_DEP_1) | instskip(NEXT) | instid1(VALU_DEP_1)
	v_and_b32_e32 v3, 0x7f000000, v1
	v_clz_i32_u32_e32 v6, v3
	v_cmp_ne_u32_e32 vcc_lo, 0, v3
	v_add_nc_u32_e32 v8, 0x1000000, v3
	s_delay_alu instid0(VALU_DEP_3) | instskip(NEXT) | instid1(VALU_DEP_1)
	v_min_u32_e32 v6, 32, v6
	v_sub_nc_u32_e64 v6, v6, 4 clamp
	s_delay_alu instid0(VALU_DEP_1) | instskip(NEXT) | instid1(VALU_DEP_1)
	v_dual_lshlrev_b32 v7, v6, v3 :: v_dual_lshlrev_b32 v6, 23, v6
	v_lshrrev_b32_e32 v7, 4, v7
	s_delay_alu instid0(VALU_DEP_1) | instskip(NEXT) | instid1(VALU_DEP_1)
	v_dual_sub_nc_u32 v6, v7, v6 :: v_dual_ashrrev_i32 v7, 8, v8
	v_add_nc_u32_e32 v6, 0x3c000000, v6
	s_delay_alu instid0(VALU_DEP_1) | instskip(NEXT) | instid1(VALU_DEP_1)
	v_and_or_b32 v6, 0x7f800000, v7, v6
	v_cndmask_b32_e32 v3, 0, v6, vcc_lo
	s_delay_alu instid0(VALU_DEP_1) | instskip(NEXT) | instid1(VALU_DEP_1)
	v_and_or_b32 v1, 0x80000000, v1, v3
	v_cvt_i32_f32_e32 v6, v1
.LBB134_307:
	s_mov_b32 s19, 0
.LBB134_308:
	s_delay_alu instid0(SALU_CYCLE_1)
	s_and_not1_b32 vcc_lo, exec_lo, s19
	s_cbranch_vccnz .LBB134_310
; %bb.309:
	s_wait_loadcnt 0x0
	global_load_u8 v1, v[4:5], off
	s_wait_loadcnt 0x0
	v_lshlrev_b32_e32 v3, 25, v1
	v_lshlrev_b16 v1, 8, v1
	s_delay_alu instid0(VALU_DEP_1) | instskip(SKIP_1) | instid1(VALU_DEP_2)
	v_and_or_b32 v7, 0x7f00, v1, 0.5
	v_bfe_i32 v1, v1, 0, 16
	v_add_f32_e32 v7, -0.5, v7
	v_lshrrev_b32_e32 v6, 4, v3
	v_cmp_gt_u32_e32 vcc_lo, 0x8000000, v3
	s_delay_alu instid0(VALU_DEP_2) | instskip(NEXT) | instid1(VALU_DEP_1)
	v_or_b32_e32 v6, 0x70000000, v6
	v_mul_f32_e32 v6, 0x7800000, v6
	s_delay_alu instid0(VALU_DEP_1) | instskip(NEXT) | instid1(VALU_DEP_1)
	v_cndmask_b32_e32 v3, v6, v7, vcc_lo
	v_and_or_b32 v1, 0x80000000, v1, v3
	s_delay_alu instid0(VALU_DEP_1)
	v_cvt_i32_f32_e32 v6, v1
.LBB134_310:
	s_mov_b32 s26, 0
	s_mov_b32 s19, -1
.LBB134_311:
	s_and_not1_b32 vcc_lo, exec_lo, s26
	s_cbranch_vccnz .LBB134_324
; %bb.312:
	s_cmp_gt_i32 s0, 14
	s_cbranch_scc0 .LBB134_315
; %bb.313:
	s_cmp_eq_u32 s0, 15
	s_cbranch_scc0 .LBB134_318
; %bb.314:
	s_wait_loadcnt 0x0
	global_load_u16 v1, v[4:5], off
	s_mov_b32 s19, -1
	s_mov_b32 s21, 0
	s_wait_loadcnt 0x0
	v_lshlrev_b32_e32 v1, 16, v1
	s_delay_alu instid0(VALU_DEP_1)
	v_cvt_i32_f32_e32 v6, v1
	s_branch .LBB134_319
.LBB134_315:
	s_mov_b32 s26, -1
                                        ; implicit-def: $vgpr6
	s_branch .LBB134_320
.LBB134_316:
	s_and_not1_saveexec_b32 s19, s19
	s_cbranch_execz .LBB134_297
.LBB134_317:
	v_cmp_ne_u16_e32 vcc_lo, 0, v1
	s_and_not1_b32 s26, s26, exec_lo
	s_and_b32 s27, vcc_lo, exec_lo
	s_delay_alu instid0(SALU_CYCLE_1)
	s_or_b32 s26, s26, s27
	s_or_b32 exec_lo, exec_lo, s19
	v_mov_b32_e32 v6, 0
	s_and_saveexec_b32 s19, s26
	s_cbranch_execnz .LBB134_298
	s_branch .LBB134_299
.LBB134_318:
	s_mov_b32 s21, -1
                                        ; implicit-def: $vgpr6
.LBB134_319:
	s_mov_b32 s26, 0
.LBB134_320:
	s_delay_alu instid0(SALU_CYCLE_1)
	s_and_b32 vcc_lo, exec_lo, s26
	s_cbranch_vccz .LBB134_324
; %bb.321:
	s_cmp_eq_u32 s0, 11
	s_cbranch_scc0 .LBB134_323
; %bb.322:
	s_wait_loadcnt 0x0
	global_load_u8 v1, v[4:5], off
	s_mov_b32 s21, 0
	s_mov_b32 s19, -1
	s_wait_loadcnt 0x0
	v_cmp_ne_u16_e32 vcc_lo, 0, v1
	v_cndmask_b32_e64 v6, 0, 1, vcc_lo
	s_branch .LBB134_324
.LBB134_323:
	s_mov_b32 s21, -1
                                        ; implicit-def: $vgpr6
.LBB134_324:
	s_mov_b32 s26, 0
.LBB134_325:
	s_delay_alu instid0(SALU_CYCLE_1)
	s_and_b32 vcc_lo, exec_lo, s26
	s_cbranch_vccz .LBB134_374
; %bb.326:
	s_cmp_lt_i32 s0, 5
	s_cbranch_scc1 .LBB134_331
; %bb.327:
	s_cmp_lt_i32 s0, 8
	s_cbranch_scc1 .LBB134_332
	;; [unrolled: 3-line block ×3, first 2 shown]
; %bb.329:
	s_cmp_gt_i32 s0, 9
	s_cbranch_scc0 .LBB134_334
; %bb.330:
	s_wait_loadcnt 0x0
	global_load_b64 v[6:7], v[4:5], off
	s_mov_b32 s19, 0
	s_wait_loadcnt 0x0
	v_cvt_i32_f64_e32 v6, v[6:7]
	s_branch .LBB134_335
.LBB134_331:
	s_mov_b32 s19, -1
                                        ; implicit-def: $vgpr6
	s_branch .LBB134_353
.LBB134_332:
	s_mov_b32 s19, -1
                                        ; implicit-def: $vgpr6
	s_branch .LBB134_341
.LBB134_333:
	s_mov_b32 s19, -1
                                        ; implicit-def: $vgpr6
	s_branch .LBB134_338
.LBB134_334:
	s_mov_b32 s19, -1
                                        ; implicit-def: $vgpr6
.LBB134_335:
	s_delay_alu instid0(SALU_CYCLE_1)
	s_and_not1_b32 vcc_lo, exec_lo, s19
	s_cbranch_vccnz .LBB134_337
; %bb.336:
	s_wait_loadcnt 0x0
	global_load_b32 v1, v[4:5], off
	s_wait_loadcnt 0x0
	v_cvt_i32_f32_e32 v6, v1
.LBB134_337:
	s_mov_b32 s19, 0
.LBB134_338:
	s_delay_alu instid0(SALU_CYCLE_1)
	s_and_not1_b32 vcc_lo, exec_lo, s19
	s_cbranch_vccnz .LBB134_340
; %bb.339:
	s_wait_loadcnt 0x0
	global_load_b32 v1, v[4:5], off
	s_wait_loadcnt 0x0
	v_cvt_i16_f16_e32 v6, v1
.LBB134_340:
	s_mov_b32 s19, 0
.LBB134_341:
	s_delay_alu instid0(SALU_CYCLE_1)
	s_and_not1_b32 vcc_lo, exec_lo, s19
	s_cbranch_vccnz .LBB134_352
; %bb.342:
	s_cmp_lt_i32 s0, 6
	s_cbranch_scc1 .LBB134_345
; %bb.343:
	s_cmp_gt_i32 s0, 6
	s_cbranch_scc0 .LBB134_346
; %bb.344:
	s_wait_loadcnt 0x0
	global_load_b64 v[6:7], v[4:5], off
	s_mov_b32 s19, 0
	s_wait_loadcnt 0x0
	v_cvt_i32_f64_e32 v6, v[6:7]
	s_branch .LBB134_347
.LBB134_345:
	s_mov_b32 s19, -1
                                        ; implicit-def: $vgpr6
	s_branch .LBB134_350
.LBB134_346:
	s_mov_b32 s19, -1
                                        ; implicit-def: $vgpr6
.LBB134_347:
	s_delay_alu instid0(SALU_CYCLE_1)
	s_and_not1_b32 vcc_lo, exec_lo, s19
	s_cbranch_vccnz .LBB134_349
; %bb.348:
	s_wait_loadcnt 0x0
	global_load_b32 v1, v[4:5], off
	s_wait_loadcnt 0x0
	v_cvt_i32_f32_e32 v6, v1
.LBB134_349:
	s_mov_b32 s19, 0
.LBB134_350:
	s_delay_alu instid0(SALU_CYCLE_1)
	s_and_not1_b32 vcc_lo, exec_lo, s19
	s_cbranch_vccnz .LBB134_352
; %bb.351:
	s_wait_loadcnt 0x0
	global_load_u16 v1, v[4:5], off
	s_wait_loadcnt 0x0
	v_cvt_i16_f16_e32 v6, v1
.LBB134_352:
	s_mov_b32 s19, 0
.LBB134_353:
	s_delay_alu instid0(SALU_CYCLE_1)
	s_and_not1_b32 vcc_lo, exec_lo, s19
	s_cbranch_vccnz .LBB134_373
; %bb.354:
	s_cmp_lt_i32 s0, 2
	s_cbranch_scc1 .LBB134_358
; %bb.355:
	s_cmp_lt_i32 s0, 3
	s_cbranch_scc1 .LBB134_359
; %bb.356:
	s_cmp_gt_i32 s0, 3
	s_cbranch_scc0 .LBB134_360
; %bb.357:
	s_wait_loadcnt 0x0
	global_load_b64 v[6:7], v[4:5], off
	s_mov_b32 s19, 0
	s_branch .LBB134_361
.LBB134_358:
	s_mov_b32 s19, -1
                                        ; implicit-def: $vgpr6
	s_branch .LBB134_367
.LBB134_359:
	s_mov_b32 s19, -1
                                        ; implicit-def: $vgpr6
	s_branch .LBB134_364
.LBB134_360:
	s_mov_b32 s19, -1
                                        ; implicit-def: $vgpr6
.LBB134_361:
	s_delay_alu instid0(SALU_CYCLE_1)
	s_and_not1_b32 vcc_lo, exec_lo, s19
	s_cbranch_vccnz .LBB134_363
; %bb.362:
	s_wait_loadcnt 0x0
	global_load_b32 v6, v[4:5], off
.LBB134_363:
	s_mov_b32 s19, 0
.LBB134_364:
	s_delay_alu instid0(SALU_CYCLE_1)
	s_and_not1_b32 vcc_lo, exec_lo, s19
	s_cbranch_vccnz .LBB134_366
; %bb.365:
	s_wait_loadcnt 0x0
	global_load_u16 v6, v[4:5], off
.LBB134_366:
	s_mov_b32 s19, 0
.LBB134_367:
	s_delay_alu instid0(SALU_CYCLE_1)
	s_and_not1_b32 vcc_lo, exec_lo, s19
	s_cbranch_vccnz .LBB134_373
; %bb.368:
	s_cmp_gt_i32 s0, 0
	s_mov_b32 s0, 0
	s_cbranch_scc0 .LBB134_370
; %bb.369:
	s_wait_loadcnt 0x0
	global_load_i8 v6, v[4:5], off
	s_branch .LBB134_371
.LBB134_370:
	s_mov_b32 s0, -1
                                        ; implicit-def: $vgpr6
.LBB134_371:
	s_delay_alu instid0(SALU_CYCLE_1)
	s_and_not1_b32 vcc_lo, exec_lo, s0
	s_cbranch_vccnz .LBB134_373
; %bb.372:
	s_wait_loadcnt 0x0
	global_load_u8 v6, v[4:5], off
.LBB134_373:
	s_mov_b32 s19, -1
.LBB134_374:
	s_delay_alu instid0(SALU_CYCLE_1)
	s_and_not1_b32 vcc_lo, exec_lo, s19
	s_cbranch_vccnz .LBB134_382
; %bb.375:
	s_wait_xcnt 0x0
	v_mul_lo_u32 v4, v26, s12
	s_wait_loadcnt 0x0
	v_max_i16 v2, v0, v2
	s_and_b32 s19, s2, 0xff
	s_delay_alu instid0(SALU_CYCLE_1) | instskip(NEXT) | instid1(VALU_DEP_2)
	s_cmp_lt_i32 s19, 11
	v_ashrrev_i32_e32 v5, 31, v4
	s_delay_alu instid0(VALU_DEP_1)
	v_add_nc_u64_e32 v[0:1], s[4:5], v[4:5]
	v_min_i16 v4, v2, v6
	s_cbranch_scc1 .LBB134_383
; %bb.376:
	s_and_b32 s26, 0xffff, s19
	s_delay_alu instid0(SALU_CYCLE_1)
	s_cmp_gt_i32 s26, 25
	s_cbranch_scc0 .LBB134_384
; %bb.377:
	s_cmp_gt_i32 s26, 28
	s_cbranch_scc0 .LBB134_385
; %bb.378:
	;; [unrolled: 3-line block ×4, first 2 shown]
	s_mov_b32 s28, 0
	s_mov_b32 s0, -1
	s_cmp_eq_u32 s26, 46
	s_mov_b32 s27, 0
	s_cbranch_scc0 .LBB134_388
; %bb.381:
	v_bfe_i32 v2, v4, 0, 16
	s_mov_b32 s27, -1
	s_mov_b32 s0, 0
	s_delay_alu instid0(VALU_DEP_1) | instskip(NEXT) | instid1(VALU_DEP_1)
	v_cvt_f32_i32_e32 v2, v2
	v_bfe_u32 v3, v2, 16, 1
	s_delay_alu instid0(VALU_DEP_1) | instskip(NEXT) | instid1(VALU_DEP_1)
	v_add3_u32 v2, v2, v3, 0x7fff
	v_lshrrev_b32_e32 v2, 16, v2
	global_store_b32 v[0:1], v2, off
	s_branch .LBB134_388
.LBB134_382:
	s_mov_b32 s0, 0
	s_branch .LBB134_498
.LBB134_383:
	s_mov_b32 s26, -1
	s_mov_b32 s0, 0
	s_mov_b32 s27, 0
	s_branch .LBB134_457
.LBB134_384:
	s_mov_b32 s0, 0
	s_mov_b32 s27, 0
	s_branch .LBB134_415
.LBB134_385:
	s_mov_b32 s0, 0
	s_mov_b32 s27, 0
	s_branch .LBB134_398
.LBB134_386:
	s_mov_b32 s0, 0
	s_mov_b32 s27, 0
	s_branch .LBB134_394
.LBB134_387:
	s_mov_b32 s0, 0
	s_mov_b32 s27, 0
.LBB134_388:
	s_and_b32 vcc_lo, exec_lo, s28
	s_cbranch_vccz .LBB134_393
; %bb.389:
	s_cmp_eq_u32 s26, 44
	s_mov_b32 s0, -1
	s_cbranch_scc0 .LBB134_393
; %bb.390:
	s_wait_xcnt 0x0
	v_bfe_i32 v2, v4, 0, 16
	v_mov_b32_e32 v3, 0xff
	s_mov_b32 s27, exec_lo
	s_delay_alu instid0(VALU_DEP_2) | instskip(NEXT) | instid1(VALU_DEP_1)
	v_cvt_f32_i32_e32 v2, v2
	v_bfe_u32 v5, v2, 23, 8
	s_delay_alu instid0(VALU_DEP_1)
	v_cmpx_ne_u32_e32 0xff, v5
	s_cbranch_execz .LBB134_392
; %bb.391:
	v_and_b32_e32 v3, 0x400000, v2
	v_and_or_b32 v5, 0x3fffff, v2, v5
	v_lshrrev_b32_e32 v2, 23, v2
	s_delay_alu instid0(VALU_DEP_3) | instskip(NEXT) | instid1(VALU_DEP_3)
	v_cmp_ne_u32_e32 vcc_lo, 0, v3
	v_cmp_ne_u32_e64 s0, 0, v5
	s_and_b32 s0, vcc_lo, s0
	s_delay_alu instid0(SALU_CYCLE_1) | instskip(NEXT) | instid1(VALU_DEP_1)
	v_cndmask_b32_e64 v3, 0, 1, s0
	v_add_nc_u32_e32 v3, v2, v3
.LBB134_392:
	s_or_b32 exec_lo, exec_lo, s27
	s_mov_b32 s27, -1
	s_mov_b32 s0, 0
	global_store_b8 v[0:1], v3, off
.LBB134_393:
	s_mov_b32 s28, 0
.LBB134_394:
	s_delay_alu instid0(SALU_CYCLE_1)
	s_and_b32 vcc_lo, exec_lo, s28
	s_cbranch_vccz .LBB134_397
; %bb.395:
	s_cmp_eq_u32 s26, 29
	s_mov_b32 s0, -1
	s_cbranch_scc0 .LBB134_397
; %bb.396:
	s_wait_xcnt 0x0
	v_bfe_i32 v2, v4, 0, 16
	s_mov_b32 s0, 0
	s_mov_b32 s27, -1
	s_mov_b32 s28, 0
	s_delay_alu instid0(VALU_DEP_1)
	v_ashrrev_i32_e32 v3, 31, v2
	global_store_b64 v[0:1], v[2:3], off
	s_branch .LBB134_398
.LBB134_397:
	s_mov_b32 s28, 0
.LBB134_398:
	s_delay_alu instid0(SALU_CYCLE_1)
	s_and_b32 vcc_lo, exec_lo, s28
	s_cbranch_vccz .LBB134_414
; %bb.399:
	s_cmp_lt_i32 s26, 27
	s_mov_b32 s27, -1
	s_cbranch_scc1 .LBB134_405
; %bb.400:
	s_cmp_gt_i32 s26, 27
	s_cbranch_scc0 .LBB134_402
; %bb.401:
	s_wait_xcnt 0x0
	v_bfe_i32 v2, v4, 0, 16
	s_mov_b32 s27, 0
	global_store_b32 v[0:1], v2, off
.LBB134_402:
	s_and_not1_b32 vcc_lo, exec_lo, s27
	s_cbranch_vccnz .LBB134_404
; %bb.403:
	global_store_b16 v[0:1], v4, off
.LBB134_404:
	s_mov_b32 s27, 0
.LBB134_405:
	s_delay_alu instid0(SALU_CYCLE_1)
	s_and_not1_b32 vcc_lo, exec_lo, s27
	s_cbranch_vccnz .LBB134_413
; %bb.406:
	s_wait_xcnt 0x0
	v_bfe_i32 v2, v4, 0, 16
	v_mov_b32_e32 v5, 0x80
	s_mov_b32 s27, exec_lo
	s_delay_alu instid0(VALU_DEP_2) | instskip(NEXT) | instid1(VALU_DEP_1)
	v_cvt_f32_i32_e32 v2, v2
	v_and_b32_e32 v3, 0x7fffffff, v2
	s_delay_alu instid0(VALU_DEP_1)
	v_cmpx_gt_u32_e32 0x43800000, v3
	s_cbranch_execz .LBB134_412
; %bb.407:
	v_cmp_lt_u32_e32 vcc_lo, 0x3bffffff, v3
	s_mov_b32 s28, 0
                                        ; implicit-def: $vgpr3
	s_and_saveexec_b32 s29, vcc_lo
	s_delay_alu instid0(SALU_CYCLE_1)
	s_xor_b32 s29, exec_lo, s29
	s_cbranch_execz .LBB134_642
; %bb.408:
	v_bfe_u32 v3, v2, 20, 1
	s_mov_b32 s28, exec_lo
	s_delay_alu instid0(VALU_DEP_1) | instskip(NEXT) | instid1(VALU_DEP_1)
	v_add3_u32 v3, v2, v3, 0x487ffff
	v_lshrrev_b32_e32 v3, 20, v3
	s_and_not1_saveexec_b32 s29, s29
	s_cbranch_execnz .LBB134_643
.LBB134_409:
	s_or_b32 exec_lo, exec_lo, s29
	v_mov_b32_e32 v5, 0
	s_and_saveexec_b32 s29, s28
.LBB134_410:
	v_lshrrev_b32_e32 v2, 24, v2
	s_delay_alu instid0(VALU_DEP_1)
	v_and_or_b32 v5, 0x80, v2, v3
.LBB134_411:
	s_or_b32 exec_lo, exec_lo, s29
.LBB134_412:
	s_delay_alu instid0(SALU_CYCLE_1)
	s_or_b32 exec_lo, exec_lo, s27
	global_store_b8 v[0:1], v5, off
.LBB134_413:
	s_mov_b32 s27, -1
.LBB134_414:
	s_mov_b32 s28, 0
.LBB134_415:
	s_delay_alu instid0(SALU_CYCLE_1)
	s_and_b32 vcc_lo, exec_lo, s28
	s_cbranch_vccz .LBB134_456
; %bb.416:
	s_cmp_gt_i32 s26, 22
	s_mov_b32 s28, -1
	s_cbranch_scc0 .LBB134_448
; %bb.417:
	s_cmp_lt_i32 s26, 24
	s_mov_b32 s27, -1
	s_cbranch_scc1 .LBB134_437
; %bb.418:
	s_cmp_gt_i32 s26, 24
	s_cbranch_scc0 .LBB134_426
; %bb.419:
	s_wait_xcnt 0x0
	v_bfe_i32 v2, v4, 0, 16
	v_mov_b32_e32 v5, 0x80
	s_mov_b32 s27, exec_lo
	s_delay_alu instid0(VALU_DEP_2) | instskip(NEXT) | instid1(VALU_DEP_1)
	v_cvt_f32_i32_e32 v2, v2
	v_and_b32_e32 v3, 0x7fffffff, v2
	s_delay_alu instid0(VALU_DEP_1)
	v_cmpx_gt_u32_e32 0x47800000, v3
	s_cbranch_execz .LBB134_425
; %bb.420:
	v_cmp_lt_u32_e32 vcc_lo, 0x37ffffff, v3
	s_mov_b32 s28, 0
                                        ; implicit-def: $vgpr3
	s_and_saveexec_b32 s29, vcc_lo
	s_delay_alu instid0(SALU_CYCLE_1)
	s_xor_b32 s29, exec_lo, s29
	s_cbranch_execz .LBB134_770
; %bb.421:
	v_bfe_u32 v3, v2, 21, 1
	s_mov_b32 s28, exec_lo
	s_delay_alu instid0(VALU_DEP_1) | instskip(NEXT) | instid1(VALU_DEP_1)
	v_add3_u32 v3, v2, v3, 0x88fffff
	v_lshrrev_b32_e32 v3, 21, v3
	s_and_not1_saveexec_b32 s29, s29
	s_cbranch_execnz .LBB134_771
.LBB134_422:
	s_or_b32 exec_lo, exec_lo, s29
	v_mov_b32_e32 v5, 0
	s_and_saveexec_b32 s29, s28
.LBB134_423:
	v_lshrrev_b32_e32 v2, 24, v2
	s_delay_alu instid0(VALU_DEP_1)
	v_and_or_b32 v5, 0x80, v2, v3
.LBB134_424:
	s_or_b32 exec_lo, exec_lo, s29
.LBB134_425:
	s_delay_alu instid0(SALU_CYCLE_1)
	s_or_b32 exec_lo, exec_lo, s27
	s_mov_b32 s27, 0
	global_store_b8 v[0:1], v5, off
.LBB134_426:
	s_and_b32 vcc_lo, exec_lo, s27
	s_cbranch_vccz .LBB134_436
; %bb.427:
	s_wait_xcnt 0x0
	v_bfe_i32 v2, v4, 0, 16
	s_mov_b32 s27, exec_lo
                                        ; implicit-def: $vgpr3
	s_delay_alu instid0(VALU_DEP_1) | instskip(NEXT) | instid1(VALU_DEP_1)
	v_cvt_f32_i32_e32 v2, v2
	v_and_b32_e32 v5, 0x7fffffff, v2
	s_delay_alu instid0(VALU_DEP_1)
	v_cmpx_gt_u32_e32 0x43f00000, v5
	s_xor_b32 s27, exec_lo, s27
	s_cbranch_execz .LBB134_433
; %bb.428:
	s_mov_b32 s28, exec_lo
                                        ; implicit-def: $vgpr3
	v_cmpx_lt_u32_e32 0x3c7fffff, v5
	s_xor_b32 s28, exec_lo, s28
; %bb.429:
	v_bfe_u32 v3, v2, 20, 1
	s_delay_alu instid0(VALU_DEP_1) | instskip(NEXT) | instid1(VALU_DEP_1)
	v_add3_u32 v3, v2, v3, 0x407ffff
	v_and_b32_e32 v5, 0xff00000, v3
	v_lshrrev_b32_e32 v3, 20, v3
	s_delay_alu instid0(VALU_DEP_2) | instskip(NEXT) | instid1(VALU_DEP_2)
	v_cmp_ne_u32_e32 vcc_lo, 0x7f00000, v5
	v_cndmask_b32_e32 v3, 0x7e, v3, vcc_lo
; %bb.430:
	s_and_not1_saveexec_b32 s28, s28
; %bb.431:
	v_add_f32_e64 v3, 0x46800000, |v2|
; %bb.432:
	s_or_b32 exec_lo, exec_lo, s28
                                        ; implicit-def: $vgpr5
.LBB134_433:
	s_and_not1_saveexec_b32 s27, s27
; %bb.434:
	v_mov_b32_e32 v3, 0x7f
	v_cmp_lt_u32_e32 vcc_lo, 0x7f800000, v5
	s_delay_alu instid0(VALU_DEP_2)
	v_cndmask_b32_e32 v3, 0x7e, v3, vcc_lo
; %bb.435:
	s_or_b32 exec_lo, exec_lo, s27
	v_lshrrev_b32_e32 v2, 24, v2
	s_delay_alu instid0(VALU_DEP_1)
	v_and_or_b32 v2, 0x80, v2, v3
	global_store_b8 v[0:1], v2, off
.LBB134_436:
	s_mov_b32 s27, 0
.LBB134_437:
	s_delay_alu instid0(SALU_CYCLE_1)
	s_and_not1_b32 vcc_lo, exec_lo, s27
	s_cbranch_vccnz .LBB134_447
; %bb.438:
	s_wait_xcnt 0x0
	v_bfe_i32 v2, v4, 0, 16
	s_mov_b32 s27, exec_lo
                                        ; implicit-def: $vgpr3
	s_delay_alu instid0(VALU_DEP_1) | instskip(NEXT) | instid1(VALU_DEP_1)
	v_cvt_f32_i32_e32 v2, v2
	v_and_b32_e32 v5, 0x7fffffff, v2
	s_delay_alu instid0(VALU_DEP_1)
	v_cmpx_gt_u32_e32 0x47800000, v5
	s_xor_b32 s27, exec_lo, s27
	s_cbranch_execz .LBB134_444
; %bb.439:
	s_mov_b32 s28, exec_lo
                                        ; implicit-def: $vgpr3
	v_cmpx_lt_u32_e32 0x387fffff, v5
	s_xor_b32 s28, exec_lo, s28
; %bb.440:
	v_bfe_u32 v3, v2, 21, 1
	s_delay_alu instid0(VALU_DEP_1) | instskip(NEXT) | instid1(VALU_DEP_1)
	v_add3_u32 v3, v2, v3, 0x80fffff
	v_lshrrev_b32_e32 v3, 21, v3
; %bb.441:
	s_and_not1_saveexec_b32 s28, s28
; %bb.442:
	v_add_f32_e64 v3, 0x43000000, |v2|
; %bb.443:
	s_or_b32 exec_lo, exec_lo, s28
                                        ; implicit-def: $vgpr5
.LBB134_444:
	s_and_not1_saveexec_b32 s27, s27
; %bb.445:
	v_mov_b32_e32 v3, 0x7f
	v_cmp_lt_u32_e32 vcc_lo, 0x7f800000, v5
	s_delay_alu instid0(VALU_DEP_2)
	v_cndmask_b32_e32 v3, 0x7c, v3, vcc_lo
; %bb.446:
	s_or_b32 exec_lo, exec_lo, s27
	v_lshrrev_b32_e32 v2, 24, v2
	s_delay_alu instid0(VALU_DEP_1)
	v_and_or_b32 v2, 0x80, v2, v3
	global_store_b8 v[0:1], v2, off
.LBB134_447:
	s_mov_b32 s28, 0
	s_mov_b32 s27, -1
.LBB134_448:
	s_and_not1_b32 vcc_lo, exec_lo, s28
	s_cbranch_vccnz .LBB134_456
; %bb.449:
	s_cmp_gt_i32 s26, 14
	s_mov_b32 s28, -1
	s_cbranch_scc0 .LBB134_453
; %bb.450:
	s_cmp_eq_u32 s26, 15
	s_mov_b32 s0, -1
	s_cbranch_scc0 .LBB134_452
; %bb.451:
	s_wait_xcnt 0x0
	v_bfe_i32 v2, v4, 0, 16
	s_mov_b32 s27, -1
	s_mov_b32 s0, 0
	s_delay_alu instid0(VALU_DEP_1) | instskip(NEXT) | instid1(VALU_DEP_1)
	v_cvt_f32_i32_e32 v2, v2
	v_bfe_u32 v3, v2, 16, 1
	s_delay_alu instid0(VALU_DEP_1)
	v_add3_u32 v2, v2, v3, 0x7fff
	global_store_d16_hi_b16 v[0:1], v2, off
.LBB134_452:
	s_mov_b32 s28, 0
.LBB134_453:
	s_delay_alu instid0(SALU_CYCLE_1)
	s_and_b32 vcc_lo, exec_lo, s28
	s_cbranch_vccz .LBB134_456
; %bb.454:
	s_cmp_eq_u32 s26, 11
	s_mov_b32 s0, -1
	s_cbranch_scc0 .LBB134_456
; %bb.455:
	v_cmp_ne_u16_e32 vcc_lo, 0, v4
	s_mov_b32 s0, 0
	s_mov_b32 s27, -1
	s_wait_xcnt 0x0
	v_cndmask_b32_e64 v2, 0, 1, vcc_lo
	global_store_b8 v[0:1], v2, off
.LBB134_456:
	s_mov_b32 s26, 0
.LBB134_457:
	s_delay_alu instid0(SALU_CYCLE_1)
	s_and_b32 vcc_lo, exec_lo, s26
	s_cbranch_vccz .LBB134_496
; %bb.458:
	s_and_b32 s19, 0xffff, s19
	s_mov_b32 s26, -1
	s_cmp_lt_i32 s19, 5
	s_cbranch_scc1 .LBB134_479
; %bb.459:
	s_cmp_lt_i32 s19, 8
	s_cbranch_scc1 .LBB134_469
; %bb.460:
	;; [unrolled: 3-line block ×3, first 2 shown]
	s_cmp_gt_i32 s19, 9
	s_cbranch_scc0 .LBB134_463
; %bb.462:
	s_wait_xcnt 0x0
	v_bfe_i32 v2, v4, 0, 16
	v_mov_b32_e32 v8, 0
	s_mov_b32 s26, 0
	s_delay_alu instid0(VALU_DEP_2) | instskip(NEXT) | instid1(VALU_DEP_2)
	v_cvt_f64_i32_e32 v[6:7], v2
	v_mov_b32_e32 v9, v8
	global_store_b128 v[0:1], v[6:9], off
.LBB134_463:
	s_and_not1_b32 vcc_lo, exec_lo, s26
	s_cbranch_vccnz .LBB134_465
; %bb.464:
	s_wait_xcnt 0x0
	v_bfe_i32 v2, v4, 0, 16
	v_mov_b32_e32 v3, 0
	s_delay_alu instid0(VALU_DEP_2)
	v_cvt_f32_i32_e32 v2, v2
	global_store_b64 v[0:1], v[2:3], off
.LBB134_465:
	s_mov_b32 s26, 0
.LBB134_466:
	s_delay_alu instid0(SALU_CYCLE_1)
	s_and_not1_b32 vcc_lo, exec_lo, s26
	s_cbranch_vccnz .LBB134_468
; %bb.467:
	s_wait_xcnt 0x0
	v_cvt_f16_i16_e32 v2, v4
	s_delay_alu instid0(VALU_DEP_1)
	v_and_b32_e32 v2, 0xffff, v2
	global_store_b32 v[0:1], v2, off
.LBB134_468:
	s_mov_b32 s26, 0
.LBB134_469:
	s_delay_alu instid0(SALU_CYCLE_1)
	s_and_not1_b32 vcc_lo, exec_lo, s26
	s_cbranch_vccnz .LBB134_478
; %bb.470:
	s_cmp_lt_i32 s19, 6
	s_mov_b32 s26, -1
	s_cbranch_scc1 .LBB134_476
; %bb.471:
	s_cmp_gt_i32 s19, 6
	s_cbranch_scc0 .LBB134_473
; %bb.472:
	s_wait_xcnt 0x0
	v_bfe_i32 v2, v4, 0, 16
	s_mov_b32 s26, 0
	s_delay_alu instid0(VALU_DEP_1)
	v_cvt_f64_i32_e32 v[2:3], v2
	global_store_b64 v[0:1], v[2:3], off
.LBB134_473:
	s_and_not1_b32 vcc_lo, exec_lo, s26
	s_cbranch_vccnz .LBB134_475
; %bb.474:
	s_wait_xcnt 0x0
	v_bfe_i32 v2, v4, 0, 16
	s_delay_alu instid0(VALU_DEP_1)
	v_cvt_f32_i32_e32 v2, v2
	global_store_b32 v[0:1], v2, off
.LBB134_475:
	s_mov_b32 s26, 0
.LBB134_476:
	s_delay_alu instid0(SALU_CYCLE_1)
	s_and_not1_b32 vcc_lo, exec_lo, s26
	s_cbranch_vccnz .LBB134_478
; %bb.477:
	s_wait_xcnt 0x0
	v_cvt_f16_i16_e32 v2, v4
	global_store_b16 v[0:1], v2, off
.LBB134_478:
	s_mov_b32 s26, 0
.LBB134_479:
	s_delay_alu instid0(SALU_CYCLE_1)
	s_and_not1_b32 vcc_lo, exec_lo, s26
	s_cbranch_vccnz .LBB134_495
; %bb.480:
	s_cmp_lt_i32 s19, 2
	s_mov_b32 s26, -1
	s_cbranch_scc1 .LBB134_490
; %bb.481:
	s_cmp_lt_i32 s19, 3
	s_cbranch_scc1 .LBB134_487
; %bb.482:
	s_wait_xcnt 0x0
	v_bfe_i32 v2, v4, 0, 16
	s_cmp_gt_i32 s19, 3
	s_cbranch_scc0 .LBB134_484
; %bb.483:
	s_delay_alu instid0(VALU_DEP_1)
	v_ashrrev_i32_e32 v3, 31, v2
	s_mov_b32 s26, 0
	global_store_b64 v[0:1], v[2:3], off
.LBB134_484:
	s_and_not1_b32 vcc_lo, exec_lo, s26
	s_cbranch_vccnz .LBB134_486
; %bb.485:
	global_store_b32 v[0:1], v2, off
.LBB134_486:
	s_mov_b32 s26, 0
.LBB134_487:
	s_delay_alu instid0(SALU_CYCLE_1)
	s_and_not1_b32 vcc_lo, exec_lo, s26
	s_cbranch_vccnz .LBB134_489
; %bb.488:
	global_store_b16 v[0:1], v4, off
.LBB134_489:
	s_mov_b32 s26, 0
.LBB134_490:
	s_delay_alu instid0(SALU_CYCLE_1)
	s_and_not1_b32 vcc_lo, exec_lo, s26
	s_cbranch_vccnz .LBB134_495
; %bb.491:
	s_cmp_gt_i32 s19, 0
	s_mov_b32 s19, -1
	s_cbranch_scc0 .LBB134_493
; %bb.492:
	s_mov_b32 s19, 0
	global_store_b8 v[0:1], v4, off
.LBB134_493:
	s_and_not1_b32 vcc_lo, exec_lo, s19
	s_cbranch_vccnz .LBB134_495
; %bb.494:
	global_store_b8 v[0:1], v4, off
.LBB134_495:
	s_mov_b32 s27, -1
.LBB134_496:
	s_delay_alu instid0(SALU_CYCLE_1)
	s_and_not1_b32 vcc_lo, exec_lo, s27
	s_cbranch_vccnz .LBB134_498
; %bb.497:
	v_add_nc_u32_e32 v26, 0x80, v26
	s_mov_b32 s26, -1
	s_branch .LBB134_499
.LBB134_498:
	s_mov_b32 s26, 0
                                        ; implicit-def: $vgpr26
.LBB134_499:
	s_and_b32 s19, s0, exec_lo
	s_and_b32 s21, s21, exec_lo
	;; [unrolled: 1-line block ×4, first 2 shown]
	s_or_not1_b32 s28, s26, exec_lo
.LBB134_500:
	s_wait_xcnt 0x0
	s_or_b32 exec_lo, exec_lo, s24
	s_mov_b32 s27, 0
	s_mov_b32 s26, 0
                                        ; implicit-def: $sgpr0
                                        ; implicit-def: $vgpr2_vgpr3
                                        ; implicit-def: $vgpr0
	s_and_saveexec_b32 s24, s28
	s_cbranch_execz .LBB134_509
; %bb.501:
	s_mov_b32 s31, -1
	s_mov_b32 s25, s23
	s_mov_b32 s28, s22
	;; [unrolled: 1-line block ×4, first 2 shown]
	s_mov_b32 s29, exec_lo
	v_cmpx_gt_i32_e64 s20, v26
	s_cbranch_execz .LBB134_1011
; %bb.502:
	s_wait_loadcnt 0x0
	v_mul_lo_u32 v0, v26, s13
	s_and_b32 s0, s17, 0xff
	s_delay_alu instid0(SALU_CYCLE_1) | instskip(NEXT) | instid1(VALU_DEP_1)
	s_cmp_lt_i32 s0, 11
	v_ashrrev_i32_e32 v1, 31, v0
	s_delay_alu instid0(VALU_DEP_1)
	v_add_nc_u64_e32 v[2:3], s[6:7], v[0:1]
	s_cbranch_scc1 .LBB134_512
; %bb.503:
	s_and_b32 s26, 0xffff, s0
	s_delay_alu instid0(SALU_CYCLE_1)
	s_cmp_gt_i32 s26, 25
	s_cbranch_scc0 .LBB134_521
; %bb.504:
	s_cmp_gt_i32 s26, 28
	s_cbranch_scc0 .LBB134_523
; %bb.505:
	;; [unrolled: 3-line block ×4, first 2 shown]
	s_cmp_eq_u32 s26, 46
	s_mov_b32 s28, 0
	s_cbranch_scc0 .LBB134_529
; %bb.508:
	global_load_b32 v0, v[2:3], off
	s_mov_b32 s27, -1
	s_mov_b32 s25, 0
	s_wait_loadcnt 0x0
	v_lshlrev_b32_e32 v0, 16, v0
	s_delay_alu instid0(VALU_DEP_1)
	v_cvt_i32_f32_e32 v0, v0
	s_branch .LBB134_531
.LBB134_509:
	s_or_b32 exec_lo, exec_lo, s24
	s_mov_b32 s20, 0
	s_and_saveexec_b32 s24, s23
	s_cbranch_execnz .LBB134_1599
.LBB134_510:
	s_or_b32 exec_lo, exec_lo, s24
	s_and_saveexec_b32 s23, s25
	s_delay_alu instid0(SALU_CYCLE_1)
	s_xor_b32 s23, exec_lo, s23
	s_cbranch_execz .LBB134_1600
.LBB134_511:
	s_wait_loadcnt 0x0
	global_load_u8 v0, v[2:3], off
	s_or_b32 s26, s26, exec_lo
	s_wait_loadcnt 0x0
	v_cmp_ne_u16_e32 vcc_lo, 0, v0
	v_cndmask_b32_e64 v0, 0, 1, vcc_lo
	s_wait_xcnt 0x0
	s_or_b32 exec_lo, exec_lo, s23
	s_and_saveexec_b32 s23, s27
	s_cbranch_execz .LBB134_1646
	s_branch .LBB134_1601
.LBB134_512:
	s_mov_b32 s27, 0
	s_mov_b32 s25, s23
                                        ; implicit-def: $vgpr0
	s_cbranch_execnz .LBB134_593
.LBB134_513:
	s_and_not1_b32 vcc_lo, exec_lo, s27
	s_cbranch_vccnz .LBB134_641
.LBB134_514:
	s_wait_xcnt 0x0
	v_mul_lo_u32 v2, v26, s14
	s_and_b32 s0, s3, 0xff
	s_delay_alu instid0(SALU_CYCLE_1) | instskip(NEXT) | instid1(VALU_DEP_1)
	s_cmp_lt_i32 s0, 11
	v_ashrrev_i32_e32 v3, 31, v2
	s_delay_alu instid0(VALU_DEP_1)
	v_add_nc_u64_e32 v[4:5], s[8:9], v[2:3]
	s_cbranch_scc1 .LBB134_522
; %bb.515:
	s_and_b32 s26, 0xffff, s0
	s_delay_alu instid0(SALU_CYCLE_1)
	s_cmp_gt_i32 s26, 25
	s_cbranch_scc0 .LBB134_524
; %bb.516:
	s_cmp_gt_i32 s26, 28
	s_cbranch_scc0 .LBB134_526
; %bb.517:
	;; [unrolled: 3-line block ×4, first 2 shown]
	s_cmp_eq_u32 s26, 46
	s_mov_b32 s30, 0
	s_cbranch_scc0 .LBB134_644
; %bb.520:
	s_wait_loadcnt 0x0
	global_load_b32 v1, v[4:5], off
	s_mov_b32 s27, -1
	s_mov_b32 s28, 0
	s_wait_loadcnt 0x0
	v_lshlrev_b32_e32 v1, 16, v1
	s_delay_alu instid0(VALU_DEP_1)
	v_cvt_i32_f32_e32 v2, v1
	s_branch .LBB134_646
.LBB134_521:
	s_mov_b32 s28, -1
	s_mov_b32 s27, 0
	s_mov_b32 s25, s23
                                        ; implicit-def: $vgpr0
	s_branch .LBB134_559
.LBB134_522:
	s_mov_b32 s26, -1
	s_mov_b32 s27, 0
	s_mov_b32 s28, s22
                                        ; implicit-def: $vgpr2
	s_branch .LBB134_707
.LBB134_523:
	s_mov_b32 s28, -1
	s_mov_b32 s27, 0
	s_mov_b32 s25, s23
                                        ; implicit-def: $vgpr0
	s_branch .LBB134_542
.LBB134_524:
	s_mov_b32 s30, -1
	s_mov_b32 s27, 0
	s_mov_b32 s28, s22
                                        ; implicit-def: $vgpr2
	s_branch .LBB134_673
.LBB134_525:
	s_mov_b32 s28, -1
	s_mov_b32 s27, 0
	s_mov_b32 s25, s23
                                        ; implicit-def: $vgpr0
	s_branch .LBB134_537
.LBB134_526:
	s_mov_b32 s30, -1
	s_mov_b32 s27, 0
	s_mov_b32 s28, s22
                                        ; implicit-def: $vgpr2
	s_branch .LBB134_656
.LBB134_527:
	s_mov_b32 s28, -1
	s_mov_b32 s27, 0
	s_mov_b32 s25, s23
	s_branch .LBB134_530
.LBB134_528:
	s_mov_b32 s30, -1
	s_mov_b32 s27, 0
	s_mov_b32 s28, s22
                                        ; implicit-def: $vgpr2
	s_branch .LBB134_651
.LBB134_529:
	s_mov_b32 s25, -1
	s_mov_b32 s27, 0
.LBB134_530:
                                        ; implicit-def: $vgpr0
.LBB134_531:
	s_and_b32 vcc_lo, exec_lo, s28
	s_cbranch_vccz .LBB134_536
; %bb.532:
	s_cmp_eq_u32 s26, 44
	s_cbranch_scc0 .LBB134_535
; %bb.533:
	global_load_u8 v0, v[2:3], off
	s_mov_b32 s25, 0
	s_mov_b32 s27, -1
	s_wait_loadcnt 0x0
	v_lshlrev_b32_e32 v1, 23, v0
	v_cmp_ne_u32_e32 vcc_lo, 0, v0
	s_delay_alu instid0(VALU_DEP_2) | instskip(NEXT) | instid1(VALU_DEP_1)
	v_cvt_i32_f32_e32 v1, v1
	v_cndmask_b32_e32 v0, 0, v1, vcc_lo
	s_branch .LBB134_536
.LBB134_534:
	s_mov_b32 s30, -1
	s_mov_b32 s27, 0
	s_mov_b32 s28, s22
	s_branch .LBB134_645
.LBB134_535:
	s_mov_b32 s25, -1
                                        ; implicit-def: $vgpr0
.LBB134_536:
	s_mov_b32 s28, 0
.LBB134_537:
	s_delay_alu instid0(SALU_CYCLE_1)
	s_and_b32 vcc_lo, exec_lo, s28
	s_cbranch_vccz .LBB134_541
; %bb.538:
	s_cmp_eq_u32 s26, 29
	s_cbranch_scc0 .LBB134_540
; %bb.539:
	global_load_b64 v[0:1], v[2:3], off
	s_mov_b32 s27, -1
	s_mov_b32 s25, 0
	s_branch .LBB134_541
.LBB134_540:
	s_mov_b32 s25, -1
                                        ; implicit-def: $vgpr0
.LBB134_541:
	s_mov_b32 s28, 0
.LBB134_542:
	s_delay_alu instid0(SALU_CYCLE_1)
	s_and_b32 vcc_lo, exec_lo, s28
	s_cbranch_vccz .LBB134_558
; %bb.543:
	s_cmp_lt_i32 s26, 27
	s_cbranch_scc1 .LBB134_546
; %bb.544:
	s_cmp_gt_i32 s26, 27
	s_cbranch_scc0 .LBB134_547
; %bb.545:
	s_wait_loadcnt 0x0
	global_load_b32 v0, v[2:3], off
	s_mov_b32 s27, 0
	s_branch .LBB134_548
.LBB134_546:
	s_mov_b32 s27, -1
                                        ; implicit-def: $vgpr0
	s_branch .LBB134_551
.LBB134_547:
	s_mov_b32 s27, -1
                                        ; implicit-def: $vgpr0
.LBB134_548:
	s_delay_alu instid0(SALU_CYCLE_1)
	s_and_not1_b32 vcc_lo, exec_lo, s27
	s_cbranch_vccnz .LBB134_550
; %bb.549:
	s_wait_loadcnt 0x0
	global_load_u16 v0, v[2:3], off
.LBB134_550:
	s_mov_b32 s27, 0
.LBB134_551:
	s_delay_alu instid0(SALU_CYCLE_1)
	s_and_not1_b32 vcc_lo, exec_lo, s27
	s_cbranch_vccnz .LBB134_557
; %bb.552:
	s_wait_loadcnt 0x0
	global_load_u8 v1, v[2:3], off
	s_mov_b32 s28, 0
	s_mov_b32 s27, exec_lo
	s_wait_loadcnt 0x0
	v_cmpx_lt_i16_e32 0x7f, v1
	s_xor_b32 s27, exec_lo, s27
	s_cbranch_execz .LBB134_569
; %bb.553:
	v_cmp_ne_u16_e32 vcc_lo, 0x80, v1
	s_and_b32 s28, vcc_lo, exec_lo
	s_and_not1_saveexec_b32 s27, s27
	s_cbranch_execnz .LBB134_570
.LBB134_554:
	s_or_b32 exec_lo, exec_lo, s27
	v_mov_b32_e32 v0, 0
	s_and_saveexec_b32 s27, s28
	s_cbranch_execz .LBB134_556
.LBB134_555:
	v_and_b32_e32 v0, 0xffff, v1
	s_delay_alu instid0(VALU_DEP_1) | instskip(SKIP_1) | instid1(VALU_DEP_2)
	v_and_b32_e32 v4, 7, v0
	v_bfe_u32 v7, v0, 3, 4
	v_clz_i32_u32_e32 v5, v4
	s_delay_alu instid0(VALU_DEP_2) | instskip(NEXT) | instid1(VALU_DEP_2)
	v_cmp_eq_u32_e32 vcc_lo, 0, v7
	v_min_u32_e32 v5, 32, v5
	s_delay_alu instid0(VALU_DEP_1) | instskip(NEXT) | instid1(VALU_DEP_1)
	v_subrev_nc_u32_e32 v6, 28, v5
	v_dual_lshlrev_b32 v0, v6, v0 :: v_dual_sub_nc_u32 v5, 29, v5
	s_delay_alu instid0(VALU_DEP_1) | instskip(NEXT) | instid1(VALU_DEP_1)
	v_dual_lshlrev_b32 v1, 24, v1 :: v_dual_bitop2_b32 v0, 7, v0 bitop3:0x40
	v_dual_cndmask_b32 v0, v4, v0 :: v_dual_cndmask_b32 v5, v7, v5
	s_delay_alu instid0(VALU_DEP_2) | instskip(NEXT) | instid1(VALU_DEP_2)
	v_and_b32_e32 v1, 0x80000000, v1
	v_lshlrev_b32_e32 v0, 20, v0
	s_delay_alu instid0(VALU_DEP_3) | instskip(NEXT) | instid1(VALU_DEP_1)
	v_lshl_add_u32 v4, v5, 23, 0x3b800000
	v_or3_b32 v0, v1, v4, v0
	s_delay_alu instid0(VALU_DEP_1)
	v_cvt_i32_f32_e32 v0, v0
.LBB134_556:
	s_or_b32 exec_lo, exec_lo, s27
.LBB134_557:
	s_mov_b32 s27, -1
.LBB134_558:
	s_mov_b32 s28, 0
.LBB134_559:
	s_delay_alu instid0(SALU_CYCLE_1)
	s_and_b32 vcc_lo, exec_lo, s28
	s_cbranch_vccz .LBB134_592
; %bb.560:
	s_cmp_gt_i32 s26, 22
	s_cbranch_scc0 .LBB134_568
; %bb.561:
	s_cmp_lt_i32 s26, 24
	s_cbranch_scc1 .LBB134_571
; %bb.562:
	s_cmp_gt_i32 s26, 24
	s_cbranch_scc0 .LBB134_572
; %bb.563:
	s_wait_loadcnt 0x0
	global_load_u8 v1, v[2:3], off
	s_mov_b32 s28, 0
	s_mov_b32 s27, exec_lo
	s_wait_loadcnt 0x0
	v_cmpx_lt_i16_e32 0x7f, v1
	s_xor_b32 s27, exec_lo, s27
	s_cbranch_execz .LBB134_584
; %bb.564:
	v_cmp_ne_u16_e32 vcc_lo, 0x80, v1
	s_and_b32 s28, vcc_lo, exec_lo
	s_and_not1_saveexec_b32 s27, s27
	s_cbranch_execnz .LBB134_585
.LBB134_565:
	s_or_b32 exec_lo, exec_lo, s27
	v_mov_b32_e32 v0, 0
	s_and_saveexec_b32 s27, s28
	s_cbranch_execz .LBB134_567
.LBB134_566:
	v_and_b32_e32 v0, 0xffff, v1
	s_delay_alu instid0(VALU_DEP_1) | instskip(SKIP_1) | instid1(VALU_DEP_2)
	v_and_b32_e32 v4, 3, v0
	v_bfe_u32 v7, v0, 2, 5
	v_clz_i32_u32_e32 v5, v4
	s_delay_alu instid0(VALU_DEP_2) | instskip(NEXT) | instid1(VALU_DEP_2)
	v_cmp_eq_u32_e32 vcc_lo, 0, v7
	v_min_u32_e32 v5, 32, v5
	s_delay_alu instid0(VALU_DEP_1) | instskip(NEXT) | instid1(VALU_DEP_1)
	v_subrev_nc_u32_e32 v6, 29, v5
	v_dual_lshlrev_b32 v0, v6, v0 :: v_dual_sub_nc_u32 v5, 30, v5
	s_delay_alu instid0(VALU_DEP_1) | instskip(NEXT) | instid1(VALU_DEP_1)
	v_dual_lshlrev_b32 v1, 24, v1 :: v_dual_bitop2_b32 v0, 3, v0 bitop3:0x40
	v_dual_cndmask_b32 v0, v4, v0 :: v_dual_cndmask_b32 v5, v7, v5
	s_delay_alu instid0(VALU_DEP_2) | instskip(NEXT) | instid1(VALU_DEP_2)
	v_and_b32_e32 v1, 0x80000000, v1
	v_lshlrev_b32_e32 v0, 21, v0
	s_delay_alu instid0(VALU_DEP_3) | instskip(NEXT) | instid1(VALU_DEP_1)
	v_lshl_add_u32 v4, v5, 23, 0x37800000
	v_or3_b32 v0, v1, v4, v0
	s_delay_alu instid0(VALU_DEP_1)
	v_cvt_i32_f32_e32 v0, v0
.LBB134_567:
	s_or_b32 exec_lo, exec_lo, s27
	s_mov_b32 s27, 0
	s_branch .LBB134_573
.LBB134_568:
	s_mov_b32 s28, -1
                                        ; implicit-def: $vgpr0
	s_branch .LBB134_579
.LBB134_569:
	s_and_not1_saveexec_b32 s27, s27
	s_cbranch_execz .LBB134_554
.LBB134_570:
	v_cmp_ne_u16_e32 vcc_lo, 0, v1
	s_and_not1_b32 s28, s28, exec_lo
	s_and_b32 s30, vcc_lo, exec_lo
	s_delay_alu instid0(SALU_CYCLE_1)
	s_or_b32 s28, s28, s30
	s_or_b32 exec_lo, exec_lo, s27
	v_mov_b32_e32 v0, 0
	s_and_saveexec_b32 s27, s28
	s_cbranch_execnz .LBB134_555
	s_branch .LBB134_556
.LBB134_571:
	s_mov_b32 s27, -1
                                        ; implicit-def: $vgpr0
	s_branch .LBB134_576
.LBB134_572:
	s_mov_b32 s27, -1
                                        ; implicit-def: $vgpr0
.LBB134_573:
	s_delay_alu instid0(SALU_CYCLE_1)
	s_and_b32 vcc_lo, exec_lo, s27
	s_cbranch_vccz .LBB134_575
; %bb.574:
	s_wait_loadcnt 0x0
	global_load_u8 v0, v[2:3], off
	s_wait_loadcnt 0x0
	v_lshlrev_b32_e32 v0, 24, v0
	s_delay_alu instid0(VALU_DEP_1) | instskip(NEXT) | instid1(VALU_DEP_1)
	v_and_b32_e32 v1, 0x7f000000, v0
	v_clz_i32_u32_e32 v4, v1
	v_cmp_ne_u32_e32 vcc_lo, 0, v1
	v_add_nc_u32_e32 v6, 0x1000000, v1
	s_delay_alu instid0(VALU_DEP_3) | instskip(NEXT) | instid1(VALU_DEP_1)
	v_min_u32_e32 v4, 32, v4
	v_sub_nc_u32_e64 v4, v4, 4 clamp
	s_delay_alu instid0(VALU_DEP_1) | instskip(NEXT) | instid1(VALU_DEP_1)
	v_dual_lshlrev_b32 v5, v4, v1 :: v_dual_lshlrev_b32 v4, 23, v4
	v_lshrrev_b32_e32 v5, 4, v5
	s_delay_alu instid0(VALU_DEP_1) | instskip(NEXT) | instid1(VALU_DEP_1)
	v_dual_sub_nc_u32 v4, v5, v4 :: v_dual_ashrrev_i32 v5, 8, v6
	v_add_nc_u32_e32 v4, 0x3c000000, v4
	s_delay_alu instid0(VALU_DEP_1) | instskip(NEXT) | instid1(VALU_DEP_1)
	v_and_or_b32 v4, 0x7f800000, v5, v4
	v_cndmask_b32_e32 v1, 0, v4, vcc_lo
	s_delay_alu instid0(VALU_DEP_1) | instskip(NEXT) | instid1(VALU_DEP_1)
	v_and_or_b32 v0, 0x80000000, v0, v1
	v_cvt_i32_f32_e32 v0, v0
.LBB134_575:
	s_mov_b32 s27, 0
.LBB134_576:
	s_delay_alu instid0(SALU_CYCLE_1)
	s_and_not1_b32 vcc_lo, exec_lo, s27
	s_cbranch_vccnz .LBB134_578
; %bb.577:
	s_wait_loadcnt 0x0
	global_load_u8 v0, v[2:3], off
	s_wait_loadcnt 0x0
	v_lshlrev_b32_e32 v1, 25, v0
	v_lshlrev_b16 v0, 8, v0
	s_delay_alu instid0(VALU_DEP_1) | instskip(SKIP_1) | instid1(VALU_DEP_2)
	v_and_or_b32 v5, 0x7f00, v0, 0.5
	v_bfe_i32 v0, v0, 0, 16
	v_add_f32_e32 v5, -0.5, v5
	v_lshrrev_b32_e32 v4, 4, v1
	v_cmp_gt_u32_e32 vcc_lo, 0x8000000, v1
	s_delay_alu instid0(VALU_DEP_2) | instskip(NEXT) | instid1(VALU_DEP_1)
	v_or_b32_e32 v4, 0x70000000, v4
	v_mul_f32_e32 v4, 0x7800000, v4
	s_delay_alu instid0(VALU_DEP_1) | instskip(NEXT) | instid1(VALU_DEP_1)
	v_cndmask_b32_e32 v1, v4, v5, vcc_lo
	v_and_or_b32 v0, 0x80000000, v0, v1
	s_delay_alu instid0(VALU_DEP_1)
	v_cvt_i32_f32_e32 v0, v0
.LBB134_578:
	s_mov_b32 s28, 0
	s_mov_b32 s27, -1
.LBB134_579:
	s_and_not1_b32 vcc_lo, exec_lo, s28
	s_cbranch_vccnz .LBB134_592
; %bb.580:
	s_cmp_gt_i32 s26, 14
	s_cbranch_scc0 .LBB134_583
; %bb.581:
	s_cmp_eq_u32 s26, 15
	s_cbranch_scc0 .LBB134_586
; %bb.582:
	s_wait_loadcnt 0x0
	global_load_u16 v0, v[2:3], off
	s_mov_b32 s27, -1
	s_mov_b32 s25, 0
	s_wait_loadcnt 0x0
	v_lshlrev_b32_e32 v0, 16, v0
	s_delay_alu instid0(VALU_DEP_1)
	v_cvt_i32_f32_e32 v0, v0
	s_branch .LBB134_587
.LBB134_583:
	s_mov_b32 s28, -1
                                        ; implicit-def: $vgpr0
	s_branch .LBB134_588
.LBB134_584:
	s_and_not1_saveexec_b32 s27, s27
	s_cbranch_execz .LBB134_565
.LBB134_585:
	v_cmp_ne_u16_e32 vcc_lo, 0, v1
	s_and_not1_b32 s28, s28, exec_lo
	s_and_b32 s30, vcc_lo, exec_lo
	s_delay_alu instid0(SALU_CYCLE_1)
	s_or_b32 s28, s28, s30
	s_or_b32 exec_lo, exec_lo, s27
	v_mov_b32_e32 v0, 0
	s_and_saveexec_b32 s27, s28
	s_cbranch_execnz .LBB134_566
	s_branch .LBB134_567
.LBB134_586:
	s_mov_b32 s25, -1
                                        ; implicit-def: $vgpr0
.LBB134_587:
	s_mov_b32 s28, 0
.LBB134_588:
	s_delay_alu instid0(SALU_CYCLE_1)
	s_and_b32 vcc_lo, exec_lo, s28
	s_cbranch_vccz .LBB134_592
; %bb.589:
	s_cmp_eq_u32 s26, 11
	s_cbranch_scc0 .LBB134_591
; %bb.590:
	s_wait_loadcnt 0x0
	global_load_u8 v0, v[2:3], off
	s_mov_b32 s25, 0
	s_mov_b32 s27, -1
	s_wait_loadcnt 0x0
	v_cmp_ne_u16_e32 vcc_lo, 0, v0
	v_cndmask_b32_e64 v0, 0, 1, vcc_lo
	s_branch .LBB134_592
.LBB134_591:
	s_mov_b32 s25, -1
                                        ; implicit-def: $vgpr0
.LBB134_592:
	s_branch .LBB134_513
.LBB134_593:
	s_and_b32 s0, 0xffff, s0
	s_delay_alu instid0(SALU_CYCLE_1)
	s_cmp_lt_i32 s0, 5
	s_cbranch_scc1 .LBB134_598
; %bb.594:
	s_cmp_lt_i32 s0, 8
	s_cbranch_scc1 .LBB134_599
; %bb.595:
	;; [unrolled: 3-line block ×3, first 2 shown]
	s_cmp_gt_i32 s0, 9
	s_cbranch_scc0 .LBB134_601
; %bb.597:
	s_wait_loadcnt 0x0
	global_load_b64 v[0:1], v[2:3], off
	s_mov_b32 s26, 0
	s_wait_loadcnt 0x0
	v_cvt_i32_f64_e32 v0, v[0:1]
	s_branch .LBB134_602
.LBB134_598:
	s_mov_b32 s26, -1
                                        ; implicit-def: $vgpr0
	s_branch .LBB134_620
.LBB134_599:
	s_mov_b32 s26, -1
                                        ; implicit-def: $vgpr0
	s_branch .LBB134_608
.LBB134_600:
	s_mov_b32 s26, -1
                                        ; implicit-def: $vgpr0
	s_branch .LBB134_605
.LBB134_601:
	s_mov_b32 s26, -1
                                        ; implicit-def: $vgpr0
.LBB134_602:
	s_delay_alu instid0(SALU_CYCLE_1)
	s_and_not1_b32 vcc_lo, exec_lo, s26
	s_cbranch_vccnz .LBB134_604
; %bb.603:
	s_wait_loadcnt 0x0
	global_load_b32 v0, v[2:3], off
	s_wait_loadcnt 0x0
	v_cvt_i32_f32_e32 v0, v0
.LBB134_604:
	s_mov_b32 s26, 0
.LBB134_605:
	s_delay_alu instid0(SALU_CYCLE_1)
	s_and_not1_b32 vcc_lo, exec_lo, s26
	s_cbranch_vccnz .LBB134_607
; %bb.606:
	s_wait_loadcnt 0x0
	global_load_b32 v0, v[2:3], off
	s_wait_loadcnt 0x0
	v_cvt_i16_f16_e32 v0, v0
.LBB134_607:
	s_mov_b32 s26, 0
.LBB134_608:
	s_delay_alu instid0(SALU_CYCLE_1)
	s_and_not1_b32 vcc_lo, exec_lo, s26
	s_cbranch_vccnz .LBB134_619
; %bb.609:
	s_cmp_lt_i32 s0, 6
	s_cbranch_scc1 .LBB134_612
; %bb.610:
	s_cmp_gt_i32 s0, 6
	s_cbranch_scc0 .LBB134_613
; %bb.611:
	s_wait_loadcnt 0x0
	global_load_b64 v[0:1], v[2:3], off
	s_mov_b32 s26, 0
	s_wait_loadcnt 0x0
	v_cvt_i32_f64_e32 v0, v[0:1]
	s_branch .LBB134_614
.LBB134_612:
	s_mov_b32 s26, -1
                                        ; implicit-def: $vgpr0
	s_branch .LBB134_617
.LBB134_613:
	s_mov_b32 s26, -1
                                        ; implicit-def: $vgpr0
.LBB134_614:
	s_delay_alu instid0(SALU_CYCLE_1)
	s_and_not1_b32 vcc_lo, exec_lo, s26
	s_cbranch_vccnz .LBB134_616
; %bb.615:
	s_wait_loadcnt 0x0
	global_load_b32 v0, v[2:3], off
	s_wait_loadcnt 0x0
	v_cvt_i32_f32_e32 v0, v0
.LBB134_616:
	s_mov_b32 s26, 0
.LBB134_617:
	s_delay_alu instid0(SALU_CYCLE_1)
	s_and_not1_b32 vcc_lo, exec_lo, s26
	s_cbranch_vccnz .LBB134_619
; %bb.618:
	s_wait_loadcnt 0x0
	global_load_u16 v0, v[2:3], off
	s_wait_loadcnt 0x0
	v_cvt_i16_f16_e32 v0, v0
.LBB134_619:
	s_mov_b32 s26, 0
.LBB134_620:
	s_delay_alu instid0(SALU_CYCLE_1)
	s_and_not1_b32 vcc_lo, exec_lo, s26
	s_cbranch_vccnz .LBB134_640
; %bb.621:
	s_cmp_lt_i32 s0, 2
	s_cbranch_scc1 .LBB134_625
; %bb.622:
	s_cmp_lt_i32 s0, 3
	s_cbranch_scc1 .LBB134_626
; %bb.623:
	s_cmp_gt_i32 s0, 3
	s_cbranch_scc0 .LBB134_627
; %bb.624:
	s_wait_loadcnt 0x0
	global_load_b64 v[0:1], v[2:3], off
	s_mov_b32 s26, 0
	s_branch .LBB134_628
.LBB134_625:
	s_mov_b32 s26, -1
                                        ; implicit-def: $vgpr0
	s_branch .LBB134_634
.LBB134_626:
	s_mov_b32 s26, -1
                                        ; implicit-def: $vgpr0
	s_branch .LBB134_631
.LBB134_627:
	s_mov_b32 s26, -1
                                        ; implicit-def: $vgpr0
.LBB134_628:
	s_delay_alu instid0(SALU_CYCLE_1)
	s_and_not1_b32 vcc_lo, exec_lo, s26
	s_cbranch_vccnz .LBB134_630
; %bb.629:
	s_wait_loadcnt 0x0
	global_load_b32 v0, v[2:3], off
.LBB134_630:
	s_mov_b32 s26, 0
.LBB134_631:
	s_delay_alu instid0(SALU_CYCLE_1)
	s_and_not1_b32 vcc_lo, exec_lo, s26
	s_cbranch_vccnz .LBB134_633
; %bb.632:
	s_wait_loadcnt 0x0
	global_load_u16 v0, v[2:3], off
.LBB134_633:
	s_mov_b32 s26, 0
.LBB134_634:
	s_delay_alu instid0(SALU_CYCLE_1)
	s_and_not1_b32 vcc_lo, exec_lo, s26
	s_cbranch_vccnz .LBB134_640
; %bb.635:
	s_cmp_gt_i32 s0, 0
	s_mov_b32 s0, 0
	s_cbranch_scc0 .LBB134_637
; %bb.636:
	s_wait_loadcnt 0x0
	global_load_i8 v0, v[2:3], off
	s_branch .LBB134_638
.LBB134_637:
	s_mov_b32 s0, -1
                                        ; implicit-def: $vgpr0
.LBB134_638:
	s_delay_alu instid0(SALU_CYCLE_1)
	s_and_not1_b32 vcc_lo, exec_lo, s0
	s_cbranch_vccnz .LBB134_640
; %bb.639:
	s_wait_loadcnt 0x0
	global_load_u8 v0, v[2:3], off
.LBB134_640:
	s_branch .LBB134_514
.LBB134_641:
	s_mov_b32 s30, 0
	s_mov_b32 s0, s19
	;; [unrolled: 1-line block ×4, first 2 shown]
	s_branch .LBB134_1009
.LBB134_642:
	s_and_not1_saveexec_b32 s29, s29
	s_cbranch_execz .LBB134_409
.LBB134_643:
	v_add_f32_e64 v3, 0x46000000, |v2|
	s_and_not1_b32 s28, s28, exec_lo
	s_delay_alu instid0(VALU_DEP_1) | instskip(NEXT) | instid1(VALU_DEP_1)
	v_and_b32_e32 v3, 0xff, v3
	v_cmp_ne_u32_e32 vcc_lo, 0, v3
	s_and_b32 s30, vcc_lo, exec_lo
	s_delay_alu instid0(SALU_CYCLE_1)
	s_or_b32 s28, s28, s30
	s_or_b32 exec_lo, exec_lo, s29
	v_mov_b32_e32 v5, 0
	s_and_saveexec_b32 s29, s28
	s_cbranch_execnz .LBB134_410
	s_branch .LBB134_411
.LBB134_644:
	s_mov_b32 s28, -1
	s_mov_b32 s27, 0
.LBB134_645:
                                        ; implicit-def: $vgpr2
.LBB134_646:
	s_and_b32 vcc_lo, exec_lo, s30
	s_cbranch_vccz .LBB134_650
; %bb.647:
	s_cmp_eq_u32 s26, 44
	s_cbranch_scc0 .LBB134_649
; %bb.648:
	s_wait_loadcnt 0x0
	global_load_u8 v1, v[4:5], off
	s_mov_b32 s28, 0
	s_mov_b32 s27, -1
	s_wait_loadcnt 0x0
	v_lshlrev_b32_e32 v2, 23, v1
	v_cmp_ne_u32_e32 vcc_lo, 0, v1
	s_delay_alu instid0(VALU_DEP_2) | instskip(NEXT) | instid1(VALU_DEP_1)
	v_cvt_i32_f32_e32 v2, v2
	v_cndmask_b32_e32 v2, 0, v2, vcc_lo
	s_branch .LBB134_650
.LBB134_649:
	s_mov_b32 s28, -1
                                        ; implicit-def: $vgpr2
.LBB134_650:
	s_mov_b32 s30, 0
.LBB134_651:
	s_delay_alu instid0(SALU_CYCLE_1)
	s_and_b32 vcc_lo, exec_lo, s30
	s_cbranch_vccz .LBB134_655
; %bb.652:
	s_cmp_eq_u32 s26, 29
	s_cbranch_scc0 .LBB134_654
; %bb.653:
	global_load_b64 v[2:3], v[4:5], off
	s_mov_b32 s27, -1
	s_mov_b32 s28, 0
	s_branch .LBB134_655
.LBB134_654:
	s_mov_b32 s28, -1
                                        ; implicit-def: $vgpr2
.LBB134_655:
	s_mov_b32 s30, 0
.LBB134_656:
	s_delay_alu instid0(SALU_CYCLE_1)
	s_and_b32 vcc_lo, exec_lo, s30
	s_cbranch_vccz .LBB134_672
; %bb.657:
	s_cmp_lt_i32 s26, 27
	s_cbranch_scc1 .LBB134_660
; %bb.658:
	s_cmp_gt_i32 s26, 27
	s_cbranch_scc0 .LBB134_661
; %bb.659:
	s_wait_loadcnt 0x0
	global_load_b32 v2, v[4:5], off
	s_mov_b32 s27, 0
	s_branch .LBB134_662
.LBB134_660:
	s_mov_b32 s27, -1
                                        ; implicit-def: $vgpr2
	s_branch .LBB134_665
.LBB134_661:
	s_mov_b32 s27, -1
                                        ; implicit-def: $vgpr2
.LBB134_662:
	s_delay_alu instid0(SALU_CYCLE_1)
	s_and_not1_b32 vcc_lo, exec_lo, s27
	s_cbranch_vccnz .LBB134_664
; %bb.663:
	s_wait_loadcnt 0x0
	global_load_u16 v2, v[4:5], off
.LBB134_664:
	s_mov_b32 s27, 0
.LBB134_665:
	s_delay_alu instid0(SALU_CYCLE_1)
	s_and_not1_b32 vcc_lo, exec_lo, s27
	s_cbranch_vccnz .LBB134_671
; %bb.666:
	s_wait_loadcnt 0x0
	global_load_u8 v1, v[4:5], off
	s_mov_b32 s30, 0
	s_mov_b32 s27, exec_lo
	s_wait_loadcnt 0x0
	v_cmpx_lt_i16_e32 0x7f, v1
	s_xor_b32 s27, exec_lo, s27
	s_cbranch_execz .LBB134_683
; %bb.667:
	v_cmp_ne_u16_e32 vcc_lo, 0x80, v1
	s_and_b32 s30, vcc_lo, exec_lo
	s_and_not1_saveexec_b32 s27, s27
	s_cbranch_execnz .LBB134_684
.LBB134_668:
	s_or_b32 exec_lo, exec_lo, s27
	v_mov_b32_e32 v2, 0
	s_and_saveexec_b32 s27, s30
	s_cbranch_execz .LBB134_670
.LBB134_669:
	v_and_b32_e32 v2, 0xffff, v1
	s_delay_alu instid0(VALU_DEP_1) | instskip(SKIP_1) | instid1(VALU_DEP_2)
	v_dual_lshlrev_b32 v1, 24, v1 :: v_dual_bitop2_b32 v3, 7, v2 bitop3:0x40
	v_bfe_u32 v8, v2, 3, 4
	v_and_b32_e32 v1, 0x80000000, v1
	s_delay_alu instid0(VALU_DEP_3) | instskip(NEXT) | instid1(VALU_DEP_3)
	v_clz_i32_u32_e32 v6, v3
	v_cmp_eq_u32_e32 vcc_lo, 0, v8
	s_delay_alu instid0(VALU_DEP_2) | instskip(NEXT) | instid1(VALU_DEP_1)
	v_min_u32_e32 v6, 32, v6
	v_subrev_nc_u32_e32 v7, 28, v6
	v_sub_nc_u32_e32 v6, 29, v6
	s_delay_alu instid0(VALU_DEP_2) | instskip(NEXT) | instid1(VALU_DEP_2)
	v_lshlrev_b32_e32 v2, v7, v2
	v_cndmask_b32_e32 v6, v8, v6, vcc_lo
	s_delay_alu instid0(VALU_DEP_2) | instskip(NEXT) | instid1(VALU_DEP_1)
	v_and_b32_e32 v2, 7, v2
	v_cndmask_b32_e32 v2, v3, v2, vcc_lo
	s_delay_alu instid0(VALU_DEP_3) | instskip(NEXT) | instid1(VALU_DEP_2)
	v_lshl_add_u32 v3, v6, 23, 0x3b800000
	v_lshlrev_b32_e32 v2, 20, v2
	s_delay_alu instid0(VALU_DEP_1) | instskip(NEXT) | instid1(VALU_DEP_1)
	v_or3_b32 v1, v1, v3, v2
	v_cvt_i32_f32_e32 v2, v1
.LBB134_670:
	s_or_b32 exec_lo, exec_lo, s27
.LBB134_671:
	s_mov_b32 s27, -1
.LBB134_672:
	s_mov_b32 s30, 0
.LBB134_673:
	s_delay_alu instid0(SALU_CYCLE_1)
	s_and_b32 vcc_lo, exec_lo, s30
	s_cbranch_vccz .LBB134_706
; %bb.674:
	s_cmp_gt_i32 s26, 22
	s_cbranch_scc0 .LBB134_682
; %bb.675:
	s_cmp_lt_i32 s26, 24
	s_cbranch_scc1 .LBB134_685
; %bb.676:
	s_cmp_gt_i32 s26, 24
	s_cbranch_scc0 .LBB134_686
; %bb.677:
	s_wait_loadcnt 0x0
	global_load_u8 v1, v[4:5], off
	s_mov_b32 s30, 0
	s_mov_b32 s27, exec_lo
	s_wait_loadcnt 0x0
	v_cmpx_lt_i16_e32 0x7f, v1
	s_xor_b32 s27, exec_lo, s27
	s_cbranch_execz .LBB134_698
; %bb.678:
	v_cmp_ne_u16_e32 vcc_lo, 0x80, v1
	s_and_b32 s30, vcc_lo, exec_lo
	s_and_not1_saveexec_b32 s27, s27
	s_cbranch_execnz .LBB134_699
.LBB134_679:
	s_or_b32 exec_lo, exec_lo, s27
	v_mov_b32_e32 v2, 0
	s_and_saveexec_b32 s27, s30
	s_cbranch_execz .LBB134_681
.LBB134_680:
	v_and_b32_e32 v2, 0xffff, v1
	s_delay_alu instid0(VALU_DEP_1) | instskip(SKIP_1) | instid1(VALU_DEP_2)
	v_dual_lshlrev_b32 v1, 24, v1 :: v_dual_bitop2_b32 v3, 3, v2 bitop3:0x40
	v_bfe_u32 v8, v2, 2, 5
	v_and_b32_e32 v1, 0x80000000, v1
	s_delay_alu instid0(VALU_DEP_3) | instskip(NEXT) | instid1(VALU_DEP_3)
	v_clz_i32_u32_e32 v6, v3
	v_cmp_eq_u32_e32 vcc_lo, 0, v8
	s_delay_alu instid0(VALU_DEP_2) | instskip(NEXT) | instid1(VALU_DEP_1)
	v_min_u32_e32 v6, 32, v6
	v_subrev_nc_u32_e32 v7, 29, v6
	v_sub_nc_u32_e32 v6, 30, v6
	s_delay_alu instid0(VALU_DEP_2) | instskip(NEXT) | instid1(VALU_DEP_2)
	v_lshlrev_b32_e32 v2, v7, v2
	v_cndmask_b32_e32 v6, v8, v6, vcc_lo
	s_delay_alu instid0(VALU_DEP_2) | instskip(NEXT) | instid1(VALU_DEP_1)
	v_and_b32_e32 v2, 3, v2
	v_cndmask_b32_e32 v2, v3, v2, vcc_lo
	s_delay_alu instid0(VALU_DEP_3) | instskip(NEXT) | instid1(VALU_DEP_2)
	v_lshl_add_u32 v3, v6, 23, 0x37800000
	v_lshlrev_b32_e32 v2, 21, v2
	s_delay_alu instid0(VALU_DEP_1) | instskip(NEXT) | instid1(VALU_DEP_1)
	v_or3_b32 v1, v1, v3, v2
	v_cvt_i32_f32_e32 v2, v1
.LBB134_681:
	s_or_b32 exec_lo, exec_lo, s27
	s_mov_b32 s27, 0
	s_branch .LBB134_687
.LBB134_682:
	s_mov_b32 s30, -1
                                        ; implicit-def: $vgpr2
	s_branch .LBB134_693
.LBB134_683:
	s_and_not1_saveexec_b32 s27, s27
	s_cbranch_execz .LBB134_668
.LBB134_684:
	v_cmp_ne_u16_e32 vcc_lo, 0, v1
	s_and_not1_b32 s30, s30, exec_lo
	s_and_b32 s31, vcc_lo, exec_lo
	s_delay_alu instid0(SALU_CYCLE_1)
	s_or_b32 s30, s30, s31
	s_or_b32 exec_lo, exec_lo, s27
	v_mov_b32_e32 v2, 0
	s_and_saveexec_b32 s27, s30
	s_cbranch_execnz .LBB134_669
	s_branch .LBB134_670
.LBB134_685:
	s_mov_b32 s27, -1
                                        ; implicit-def: $vgpr2
	s_branch .LBB134_690
.LBB134_686:
	s_mov_b32 s27, -1
                                        ; implicit-def: $vgpr2
.LBB134_687:
	s_delay_alu instid0(SALU_CYCLE_1)
	s_and_b32 vcc_lo, exec_lo, s27
	s_cbranch_vccz .LBB134_689
; %bb.688:
	s_wait_loadcnt 0x0
	global_load_u8 v1, v[4:5], off
	s_wait_loadcnt 0x0
	v_lshlrev_b32_e32 v1, 24, v1
	s_delay_alu instid0(VALU_DEP_1) | instskip(NEXT) | instid1(VALU_DEP_1)
	v_and_b32_e32 v2, 0x7f000000, v1
	v_clz_i32_u32_e32 v3, v2
	v_cmp_ne_u32_e32 vcc_lo, 0, v2
	v_add_nc_u32_e32 v7, 0x1000000, v2
	s_delay_alu instid0(VALU_DEP_3) | instskip(NEXT) | instid1(VALU_DEP_1)
	v_min_u32_e32 v3, 32, v3
	v_sub_nc_u32_e64 v3, v3, 4 clamp
	s_delay_alu instid0(VALU_DEP_1) | instskip(NEXT) | instid1(VALU_DEP_1)
	v_dual_lshlrev_b32 v6, v3, v2 :: v_dual_lshlrev_b32 v3, 23, v3
	v_lshrrev_b32_e32 v6, 4, v6
	s_delay_alu instid0(VALU_DEP_1) | instskip(SKIP_1) | instid1(VALU_DEP_2)
	v_sub_nc_u32_e32 v3, v6, v3
	v_ashrrev_i32_e32 v6, 8, v7
	v_add_nc_u32_e32 v3, 0x3c000000, v3
	s_delay_alu instid0(VALU_DEP_1) | instskip(NEXT) | instid1(VALU_DEP_1)
	v_and_or_b32 v3, 0x7f800000, v6, v3
	v_cndmask_b32_e32 v2, 0, v3, vcc_lo
	s_delay_alu instid0(VALU_DEP_1) | instskip(NEXT) | instid1(VALU_DEP_1)
	v_and_or_b32 v1, 0x80000000, v1, v2
	v_cvt_i32_f32_e32 v2, v1
.LBB134_689:
	s_mov_b32 s27, 0
.LBB134_690:
	s_delay_alu instid0(SALU_CYCLE_1)
	s_and_not1_b32 vcc_lo, exec_lo, s27
	s_cbranch_vccnz .LBB134_692
; %bb.691:
	s_wait_loadcnt 0x0
	global_load_u8 v1, v[4:5], off
	s_wait_loadcnt 0x0
	v_lshlrev_b32_e32 v2, 25, v1
	v_lshlrev_b16 v1, 8, v1
	s_delay_alu instid0(VALU_DEP_1) | instskip(SKIP_1) | instid1(VALU_DEP_2)
	v_and_or_b32 v6, 0x7f00, v1, 0.5
	v_bfe_i32 v1, v1, 0, 16
	v_add_f32_e32 v6, -0.5, v6
	v_lshrrev_b32_e32 v3, 4, v2
	v_cmp_gt_u32_e32 vcc_lo, 0x8000000, v2
	s_delay_alu instid0(VALU_DEP_2) | instskip(NEXT) | instid1(VALU_DEP_1)
	v_or_b32_e32 v3, 0x70000000, v3
	v_mul_f32_e32 v3, 0x7800000, v3
	s_delay_alu instid0(VALU_DEP_1) | instskip(NEXT) | instid1(VALU_DEP_1)
	v_cndmask_b32_e32 v2, v3, v6, vcc_lo
	v_and_or_b32 v1, 0x80000000, v1, v2
	s_delay_alu instid0(VALU_DEP_1)
	v_cvt_i32_f32_e32 v2, v1
.LBB134_692:
	s_mov_b32 s30, 0
	s_mov_b32 s27, -1
.LBB134_693:
	s_and_not1_b32 vcc_lo, exec_lo, s30
	s_cbranch_vccnz .LBB134_706
; %bb.694:
	s_cmp_gt_i32 s26, 14
	s_cbranch_scc0 .LBB134_697
; %bb.695:
	s_cmp_eq_u32 s26, 15
	s_cbranch_scc0 .LBB134_700
; %bb.696:
	s_wait_loadcnt 0x0
	global_load_u16 v1, v[4:5], off
	s_mov_b32 s27, -1
	s_mov_b32 s28, 0
	s_wait_loadcnt 0x0
	v_lshlrev_b32_e32 v1, 16, v1
	s_delay_alu instid0(VALU_DEP_1)
	v_cvt_i32_f32_e32 v2, v1
	s_branch .LBB134_701
.LBB134_697:
	s_mov_b32 s30, -1
                                        ; implicit-def: $vgpr2
	s_branch .LBB134_702
.LBB134_698:
	s_and_not1_saveexec_b32 s27, s27
	s_cbranch_execz .LBB134_679
.LBB134_699:
	v_cmp_ne_u16_e32 vcc_lo, 0, v1
	s_and_not1_b32 s30, s30, exec_lo
	s_and_b32 s31, vcc_lo, exec_lo
	s_delay_alu instid0(SALU_CYCLE_1)
	s_or_b32 s30, s30, s31
	s_or_b32 exec_lo, exec_lo, s27
	v_mov_b32_e32 v2, 0
	s_and_saveexec_b32 s27, s30
	s_cbranch_execnz .LBB134_680
	s_branch .LBB134_681
.LBB134_700:
	s_mov_b32 s28, -1
                                        ; implicit-def: $vgpr2
.LBB134_701:
	s_mov_b32 s30, 0
.LBB134_702:
	s_delay_alu instid0(SALU_CYCLE_1)
	s_and_b32 vcc_lo, exec_lo, s30
	s_cbranch_vccz .LBB134_706
; %bb.703:
	s_cmp_eq_u32 s26, 11
	s_cbranch_scc0 .LBB134_705
; %bb.704:
	s_wait_loadcnt 0x0
	global_load_u8 v1, v[4:5], off
	s_mov_b32 s28, 0
	s_mov_b32 s27, -1
	s_wait_loadcnt 0x0
	v_cmp_ne_u16_e32 vcc_lo, 0, v1
	v_cndmask_b32_e64 v2, 0, 1, vcc_lo
	s_branch .LBB134_706
.LBB134_705:
	s_mov_b32 s28, -1
                                        ; implicit-def: $vgpr2
.LBB134_706:
	s_mov_b32 s26, 0
.LBB134_707:
	s_delay_alu instid0(SALU_CYCLE_1)
	s_and_b32 vcc_lo, exec_lo, s26
	s_cbranch_vccz .LBB134_756
; %bb.708:
	s_and_b32 s0, 0xffff, s0
	s_delay_alu instid0(SALU_CYCLE_1)
	s_cmp_lt_i32 s0, 5
	s_cbranch_scc1 .LBB134_713
; %bb.709:
	s_cmp_lt_i32 s0, 8
	s_cbranch_scc1 .LBB134_714
; %bb.710:
	;; [unrolled: 3-line block ×3, first 2 shown]
	s_cmp_gt_i32 s0, 9
	s_cbranch_scc0 .LBB134_716
; %bb.712:
	s_wait_loadcnt 0x0
	global_load_b64 v[2:3], v[4:5], off
	s_mov_b32 s26, 0
	s_wait_loadcnt 0x0
	v_cvt_i32_f64_e32 v2, v[2:3]
	s_branch .LBB134_717
.LBB134_713:
	s_mov_b32 s26, -1
                                        ; implicit-def: $vgpr2
	s_branch .LBB134_735
.LBB134_714:
	s_mov_b32 s26, -1
                                        ; implicit-def: $vgpr2
	s_branch .LBB134_723
.LBB134_715:
	s_mov_b32 s26, -1
                                        ; implicit-def: $vgpr2
	s_branch .LBB134_720
.LBB134_716:
	s_mov_b32 s26, -1
                                        ; implicit-def: $vgpr2
.LBB134_717:
	s_delay_alu instid0(SALU_CYCLE_1)
	s_and_not1_b32 vcc_lo, exec_lo, s26
	s_cbranch_vccnz .LBB134_719
; %bb.718:
	s_wait_loadcnt 0x0
	global_load_b32 v1, v[4:5], off
	s_wait_loadcnt 0x0
	v_cvt_i32_f32_e32 v2, v1
.LBB134_719:
	s_mov_b32 s26, 0
.LBB134_720:
	s_delay_alu instid0(SALU_CYCLE_1)
	s_and_not1_b32 vcc_lo, exec_lo, s26
	s_cbranch_vccnz .LBB134_722
; %bb.721:
	s_wait_loadcnt 0x0
	global_load_b32 v1, v[4:5], off
	s_wait_loadcnt 0x0
	v_cvt_i16_f16_e32 v2, v1
.LBB134_722:
	s_mov_b32 s26, 0
.LBB134_723:
	s_delay_alu instid0(SALU_CYCLE_1)
	s_and_not1_b32 vcc_lo, exec_lo, s26
	s_cbranch_vccnz .LBB134_734
; %bb.724:
	s_cmp_lt_i32 s0, 6
	s_cbranch_scc1 .LBB134_727
; %bb.725:
	s_cmp_gt_i32 s0, 6
	s_cbranch_scc0 .LBB134_728
; %bb.726:
	s_wait_loadcnt 0x0
	global_load_b64 v[2:3], v[4:5], off
	s_mov_b32 s26, 0
	s_wait_loadcnt 0x0
	v_cvt_i32_f64_e32 v2, v[2:3]
	s_branch .LBB134_729
.LBB134_727:
	s_mov_b32 s26, -1
                                        ; implicit-def: $vgpr2
	s_branch .LBB134_732
.LBB134_728:
	s_mov_b32 s26, -1
                                        ; implicit-def: $vgpr2
.LBB134_729:
	s_delay_alu instid0(SALU_CYCLE_1)
	s_and_not1_b32 vcc_lo, exec_lo, s26
	s_cbranch_vccnz .LBB134_731
; %bb.730:
	s_wait_loadcnt 0x0
	global_load_b32 v1, v[4:5], off
	s_wait_loadcnt 0x0
	v_cvt_i32_f32_e32 v2, v1
.LBB134_731:
	s_mov_b32 s26, 0
.LBB134_732:
	s_delay_alu instid0(SALU_CYCLE_1)
	s_and_not1_b32 vcc_lo, exec_lo, s26
	s_cbranch_vccnz .LBB134_734
; %bb.733:
	s_wait_loadcnt 0x0
	global_load_u16 v1, v[4:5], off
	s_wait_loadcnt 0x0
	v_cvt_i16_f16_e32 v2, v1
.LBB134_734:
	s_mov_b32 s26, 0
.LBB134_735:
	s_delay_alu instid0(SALU_CYCLE_1)
	s_and_not1_b32 vcc_lo, exec_lo, s26
	s_cbranch_vccnz .LBB134_755
; %bb.736:
	s_cmp_lt_i32 s0, 2
	s_cbranch_scc1 .LBB134_740
; %bb.737:
	s_cmp_lt_i32 s0, 3
	s_cbranch_scc1 .LBB134_741
; %bb.738:
	s_cmp_gt_i32 s0, 3
	s_cbranch_scc0 .LBB134_742
; %bb.739:
	s_wait_loadcnt 0x0
	global_load_b64 v[2:3], v[4:5], off
	s_mov_b32 s26, 0
	s_branch .LBB134_743
.LBB134_740:
	s_mov_b32 s26, -1
                                        ; implicit-def: $vgpr2
	s_branch .LBB134_749
.LBB134_741:
	s_mov_b32 s26, -1
                                        ; implicit-def: $vgpr2
	s_branch .LBB134_746
.LBB134_742:
	s_mov_b32 s26, -1
                                        ; implicit-def: $vgpr2
.LBB134_743:
	s_delay_alu instid0(SALU_CYCLE_1)
	s_and_not1_b32 vcc_lo, exec_lo, s26
	s_cbranch_vccnz .LBB134_745
; %bb.744:
	s_wait_loadcnt 0x0
	global_load_b32 v2, v[4:5], off
.LBB134_745:
	s_mov_b32 s26, 0
.LBB134_746:
	s_delay_alu instid0(SALU_CYCLE_1)
	s_and_not1_b32 vcc_lo, exec_lo, s26
	s_cbranch_vccnz .LBB134_748
; %bb.747:
	s_wait_loadcnt 0x0
	global_load_u16 v2, v[4:5], off
.LBB134_748:
	s_mov_b32 s26, 0
.LBB134_749:
	s_delay_alu instid0(SALU_CYCLE_1)
	s_and_not1_b32 vcc_lo, exec_lo, s26
	s_cbranch_vccnz .LBB134_755
; %bb.750:
	s_cmp_gt_i32 s0, 0
	s_mov_b32 s0, 0
	s_cbranch_scc0 .LBB134_752
; %bb.751:
	s_wait_loadcnt 0x0
	global_load_i8 v2, v[4:5], off
	s_branch .LBB134_753
.LBB134_752:
	s_mov_b32 s0, -1
                                        ; implicit-def: $vgpr2
.LBB134_753:
	s_delay_alu instid0(SALU_CYCLE_1)
	s_and_not1_b32 vcc_lo, exec_lo, s0
	s_cbranch_vccnz .LBB134_755
; %bb.754:
	s_wait_loadcnt 0x0
	global_load_u8 v2, v[4:5], off
.LBB134_755:
	s_mov_b32 s27, -1
.LBB134_756:
	s_delay_alu instid0(SALU_CYCLE_1)
	s_and_not1_b32 vcc_lo, exec_lo, s27
	s_cbranch_vccnz .LBB134_764
; %bb.757:
	s_wait_xcnt 0x0
	v_mul_lo_u32 v4, v26, s15
	s_and_b32 s0, 0xffff, s1
	s_delay_alu instid0(SALU_CYCLE_1) | instskip(NEXT) | instid1(VALU_DEP_1)
	s_cmp_lt_i32 s0, 11
	v_ashrrev_i32_e32 v5, 31, v4
	s_delay_alu instid0(VALU_DEP_1)
	v_add_nc_u64_e32 v[4:5], s[10:11], v[4:5]
	s_cbranch_scc1 .LBB134_765
; %bb.758:
	s_cmp_gt_i32 s0, 25
	s_cbranch_scc0 .LBB134_766
; %bb.759:
	s_cmp_gt_i32 s0, 28
	s_cbranch_scc0 .LBB134_767
	;; [unrolled: 3-line block ×4, first 2 shown]
; %bb.762:
	s_cmp_eq_u32 s0, 46
	s_mov_b32 s30, 0
	s_cbranch_scc0 .LBB134_772
; %bb.763:
	s_wait_loadcnt 0x0
	global_load_b32 v1, v[4:5], off
	s_mov_b32 s27, -1
	s_mov_b32 s26, 0
	s_wait_loadcnt 0x0
	v_lshlrev_b32_e32 v1, 16, v1
	s_delay_alu instid0(VALU_DEP_1)
	v_cvt_i32_f32_e32 v6, v1
	s_branch .LBB134_774
.LBB134_764:
	s_mov_b32 s30, 0
	s_mov_b32 s0, s19
	;; [unrolled: 1-line block ×3, first 2 shown]
	s_branch .LBB134_1009
.LBB134_765:
	s_mov_b32 s30, -1
	s_mov_b32 s27, 0
	s_mov_b32 s26, s21
                                        ; implicit-def: $vgpr6
	s_branch .LBB134_835
.LBB134_766:
	s_mov_b32 s30, -1
	s_mov_b32 s27, 0
	s_mov_b32 s26, s21
                                        ; implicit-def: $vgpr6
	s_branch .LBB134_801
.LBB134_767:
	s_mov_b32 s30, -1
	s_mov_b32 s27, 0
	s_mov_b32 s26, s21
                                        ; implicit-def: $vgpr6
	s_branch .LBB134_784
.LBB134_768:
	s_mov_b32 s30, -1
	s_mov_b32 s27, 0
	s_mov_b32 s26, s21
                                        ; implicit-def: $vgpr6
	s_branch .LBB134_779
.LBB134_769:
	s_mov_b32 s30, -1
	s_mov_b32 s27, 0
	s_mov_b32 s26, s21
	s_branch .LBB134_773
.LBB134_770:
	s_and_not1_saveexec_b32 s29, s29
	s_cbranch_execz .LBB134_422
.LBB134_771:
	v_add_f32_e64 v3, 0x42800000, |v2|
	s_and_not1_b32 s28, s28, exec_lo
	s_delay_alu instid0(VALU_DEP_1) | instskip(NEXT) | instid1(VALU_DEP_1)
	v_and_b32_e32 v3, 0xff, v3
	v_cmp_ne_u32_e32 vcc_lo, 0, v3
	s_and_b32 s30, vcc_lo, exec_lo
	s_delay_alu instid0(SALU_CYCLE_1)
	s_or_b32 s28, s28, s30
	s_or_b32 exec_lo, exec_lo, s29
	v_mov_b32_e32 v5, 0
	s_and_saveexec_b32 s29, s28
	s_cbranch_execnz .LBB134_423
	s_branch .LBB134_424
.LBB134_772:
	s_mov_b32 s26, -1
	s_mov_b32 s27, 0
.LBB134_773:
                                        ; implicit-def: $vgpr6
.LBB134_774:
	s_and_b32 vcc_lo, exec_lo, s30
	s_cbranch_vccz .LBB134_778
; %bb.775:
	s_cmp_eq_u32 s0, 44
	s_cbranch_scc0 .LBB134_777
; %bb.776:
	s_wait_loadcnt 0x0
	global_load_u8 v1, v[4:5], off
	s_mov_b32 s26, 0
	s_mov_b32 s27, -1
	s_wait_loadcnt 0x0
	v_lshlrev_b32_e32 v3, 23, v1
	v_cmp_ne_u32_e32 vcc_lo, 0, v1
	s_delay_alu instid0(VALU_DEP_2) | instskip(NEXT) | instid1(VALU_DEP_1)
	v_cvt_i32_f32_e32 v3, v3
	v_cndmask_b32_e32 v6, 0, v3, vcc_lo
	s_branch .LBB134_778
.LBB134_777:
	s_mov_b32 s26, -1
                                        ; implicit-def: $vgpr6
.LBB134_778:
	s_mov_b32 s30, 0
.LBB134_779:
	s_delay_alu instid0(SALU_CYCLE_1)
	s_and_b32 vcc_lo, exec_lo, s30
	s_cbranch_vccz .LBB134_783
; %bb.780:
	s_cmp_eq_u32 s0, 29
	s_cbranch_scc0 .LBB134_782
; %bb.781:
	global_load_b64 v[6:7], v[4:5], off
	s_mov_b32 s27, -1
	s_mov_b32 s26, 0
	s_branch .LBB134_783
.LBB134_782:
	s_mov_b32 s26, -1
                                        ; implicit-def: $vgpr6
.LBB134_783:
	s_mov_b32 s30, 0
.LBB134_784:
	s_delay_alu instid0(SALU_CYCLE_1)
	s_and_b32 vcc_lo, exec_lo, s30
	s_cbranch_vccz .LBB134_800
; %bb.785:
	s_cmp_lt_i32 s0, 27
	s_cbranch_scc1 .LBB134_788
; %bb.786:
	s_cmp_gt_i32 s0, 27
	s_cbranch_scc0 .LBB134_789
; %bb.787:
	s_wait_loadcnt 0x0
	global_load_b32 v6, v[4:5], off
	s_mov_b32 s27, 0
	s_branch .LBB134_790
.LBB134_788:
	s_mov_b32 s27, -1
                                        ; implicit-def: $vgpr6
	s_branch .LBB134_793
.LBB134_789:
	s_mov_b32 s27, -1
                                        ; implicit-def: $vgpr6
.LBB134_790:
	s_delay_alu instid0(SALU_CYCLE_1)
	s_and_not1_b32 vcc_lo, exec_lo, s27
	s_cbranch_vccnz .LBB134_792
; %bb.791:
	s_wait_loadcnt 0x0
	global_load_u16 v6, v[4:5], off
.LBB134_792:
	s_mov_b32 s27, 0
.LBB134_793:
	s_delay_alu instid0(SALU_CYCLE_1)
	s_and_not1_b32 vcc_lo, exec_lo, s27
	s_cbranch_vccnz .LBB134_799
; %bb.794:
	s_wait_loadcnt 0x0
	global_load_u8 v1, v[4:5], off
	s_mov_b32 s30, 0
	s_mov_b32 s27, exec_lo
	s_wait_loadcnt 0x0
	v_cmpx_lt_i16_e32 0x7f, v1
	s_xor_b32 s27, exec_lo, s27
	s_cbranch_execz .LBB134_811
; %bb.795:
	v_cmp_ne_u16_e32 vcc_lo, 0x80, v1
	s_and_b32 s30, vcc_lo, exec_lo
	s_and_not1_saveexec_b32 s27, s27
	s_cbranch_execnz .LBB134_812
.LBB134_796:
	s_or_b32 exec_lo, exec_lo, s27
	v_mov_b32_e32 v6, 0
	s_and_saveexec_b32 s27, s30
	s_cbranch_execz .LBB134_798
.LBB134_797:
	v_and_b32_e32 v3, 0xffff, v1
	s_delay_alu instid0(VALU_DEP_1) | instskip(SKIP_1) | instid1(VALU_DEP_2)
	v_dual_lshlrev_b32 v1, 24, v1 :: v_dual_bitop2_b32 v6, 7, v3 bitop3:0x40
	v_bfe_u32 v9, v3, 3, 4
	v_and_b32_e32 v1, 0x80000000, v1
	s_delay_alu instid0(VALU_DEP_3) | instskip(NEXT) | instid1(VALU_DEP_3)
	v_clz_i32_u32_e32 v7, v6
	v_cmp_eq_u32_e32 vcc_lo, 0, v9
	s_delay_alu instid0(VALU_DEP_2) | instskip(NEXT) | instid1(VALU_DEP_1)
	v_min_u32_e32 v7, 32, v7
	v_subrev_nc_u32_e32 v8, 28, v7
	v_sub_nc_u32_e32 v7, 29, v7
	s_delay_alu instid0(VALU_DEP_2) | instskip(NEXT) | instid1(VALU_DEP_2)
	v_lshlrev_b32_e32 v3, v8, v3
	v_cndmask_b32_e32 v7, v9, v7, vcc_lo
	s_delay_alu instid0(VALU_DEP_2) | instskip(NEXT) | instid1(VALU_DEP_1)
	v_and_b32_e32 v3, 7, v3
	v_cndmask_b32_e32 v3, v6, v3, vcc_lo
	s_delay_alu instid0(VALU_DEP_3) | instskip(NEXT) | instid1(VALU_DEP_2)
	v_lshl_add_u32 v6, v7, 23, 0x3b800000
	v_lshlrev_b32_e32 v3, 20, v3
	s_delay_alu instid0(VALU_DEP_1) | instskip(NEXT) | instid1(VALU_DEP_1)
	v_or3_b32 v1, v1, v6, v3
	v_cvt_i32_f32_e32 v6, v1
.LBB134_798:
	s_or_b32 exec_lo, exec_lo, s27
.LBB134_799:
	s_mov_b32 s27, -1
.LBB134_800:
	s_mov_b32 s30, 0
.LBB134_801:
	s_delay_alu instid0(SALU_CYCLE_1)
	s_and_b32 vcc_lo, exec_lo, s30
	s_cbranch_vccz .LBB134_834
; %bb.802:
	s_cmp_gt_i32 s0, 22
	s_cbranch_scc0 .LBB134_810
; %bb.803:
	s_cmp_lt_i32 s0, 24
	s_cbranch_scc1 .LBB134_813
; %bb.804:
	s_cmp_gt_i32 s0, 24
	s_cbranch_scc0 .LBB134_814
; %bb.805:
	s_wait_loadcnt 0x0
	global_load_u8 v1, v[4:5], off
	s_mov_b32 s30, 0
	s_mov_b32 s27, exec_lo
	s_wait_loadcnt 0x0
	v_cmpx_lt_i16_e32 0x7f, v1
	s_xor_b32 s27, exec_lo, s27
	s_cbranch_execz .LBB134_826
; %bb.806:
	v_cmp_ne_u16_e32 vcc_lo, 0x80, v1
	s_and_b32 s30, vcc_lo, exec_lo
	s_and_not1_saveexec_b32 s27, s27
	s_cbranch_execnz .LBB134_827
.LBB134_807:
	s_or_b32 exec_lo, exec_lo, s27
	v_mov_b32_e32 v6, 0
	s_and_saveexec_b32 s27, s30
	s_cbranch_execz .LBB134_809
.LBB134_808:
	v_and_b32_e32 v3, 0xffff, v1
	s_delay_alu instid0(VALU_DEP_1) | instskip(SKIP_1) | instid1(VALU_DEP_2)
	v_dual_lshlrev_b32 v1, 24, v1 :: v_dual_bitop2_b32 v6, 3, v3 bitop3:0x40
	v_bfe_u32 v9, v3, 2, 5
	v_and_b32_e32 v1, 0x80000000, v1
	s_delay_alu instid0(VALU_DEP_3) | instskip(NEXT) | instid1(VALU_DEP_3)
	v_clz_i32_u32_e32 v7, v6
	v_cmp_eq_u32_e32 vcc_lo, 0, v9
	s_delay_alu instid0(VALU_DEP_2) | instskip(NEXT) | instid1(VALU_DEP_1)
	v_min_u32_e32 v7, 32, v7
	v_subrev_nc_u32_e32 v8, 29, v7
	v_sub_nc_u32_e32 v7, 30, v7
	s_delay_alu instid0(VALU_DEP_2) | instskip(NEXT) | instid1(VALU_DEP_2)
	v_lshlrev_b32_e32 v3, v8, v3
	v_cndmask_b32_e32 v7, v9, v7, vcc_lo
	s_delay_alu instid0(VALU_DEP_2) | instskip(NEXT) | instid1(VALU_DEP_1)
	v_and_b32_e32 v3, 3, v3
	v_cndmask_b32_e32 v3, v6, v3, vcc_lo
	s_delay_alu instid0(VALU_DEP_3) | instskip(NEXT) | instid1(VALU_DEP_2)
	v_lshl_add_u32 v6, v7, 23, 0x37800000
	v_lshlrev_b32_e32 v3, 21, v3
	s_delay_alu instid0(VALU_DEP_1) | instskip(NEXT) | instid1(VALU_DEP_1)
	v_or3_b32 v1, v1, v6, v3
	v_cvt_i32_f32_e32 v6, v1
.LBB134_809:
	s_or_b32 exec_lo, exec_lo, s27
	s_mov_b32 s27, 0
	s_branch .LBB134_815
.LBB134_810:
	s_mov_b32 s30, -1
                                        ; implicit-def: $vgpr6
	s_branch .LBB134_821
.LBB134_811:
	s_and_not1_saveexec_b32 s27, s27
	s_cbranch_execz .LBB134_796
.LBB134_812:
	v_cmp_ne_u16_e32 vcc_lo, 0, v1
	s_and_not1_b32 s30, s30, exec_lo
	s_and_b32 s31, vcc_lo, exec_lo
	s_delay_alu instid0(SALU_CYCLE_1)
	s_or_b32 s30, s30, s31
	s_or_b32 exec_lo, exec_lo, s27
	v_mov_b32_e32 v6, 0
	s_and_saveexec_b32 s27, s30
	s_cbranch_execnz .LBB134_797
	s_branch .LBB134_798
.LBB134_813:
	s_mov_b32 s27, -1
                                        ; implicit-def: $vgpr6
	s_branch .LBB134_818
.LBB134_814:
	s_mov_b32 s27, -1
                                        ; implicit-def: $vgpr6
.LBB134_815:
	s_delay_alu instid0(SALU_CYCLE_1)
	s_and_b32 vcc_lo, exec_lo, s27
	s_cbranch_vccz .LBB134_817
; %bb.816:
	s_wait_loadcnt 0x0
	global_load_u8 v1, v[4:5], off
	s_wait_loadcnt 0x0
	v_lshlrev_b32_e32 v1, 24, v1
	s_delay_alu instid0(VALU_DEP_1) | instskip(NEXT) | instid1(VALU_DEP_1)
	v_and_b32_e32 v3, 0x7f000000, v1
	v_clz_i32_u32_e32 v6, v3
	v_cmp_ne_u32_e32 vcc_lo, 0, v3
	v_add_nc_u32_e32 v8, 0x1000000, v3
	s_delay_alu instid0(VALU_DEP_3) | instskip(NEXT) | instid1(VALU_DEP_1)
	v_min_u32_e32 v6, 32, v6
	v_sub_nc_u32_e64 v6, v6, 4 clamp
	s_delay_alu instid0(VALU_DEP_1) | instskip(NEXT) | instid1(VALU_DEP_1)
	v_dual_lshlrev_b32 v7, v6, v3 :: v_dual_lshlrev_b32 v6, 23, v6
	v_lshrrev_b32_e32 v7, 4, v7
	s_delay_alu instid0(VALU_DEP_1) | instskip(NEXT) | instid1(VALU_DEP_1)
	v_dual_sub_nc_u32 v6, v7, v6 :: v_dual_ashrrev_i32 v7, 8, v8
	v_add_nc_u32_e32 v6, 0x3c000000, v6
	s_delay_alu instid0(VALU_DEP_1) | instskip(NEXT) | instid1(VALU_DEP_1)
	v_and_or_b32 v6, 0x7f800000, v7, v6
	v_cndmask_b32_e32 v3, 0, v6, vcc_lo
	s_delay_alu instid0(VALU_DEP_1) | instskip(NEXT) | instid1(VALU_DEP_1)
	v_and_or_b32 v1, 0x80000000, v1, v3
	v_cvt_i32_f32_e32 v6, v1
.LBB134_817:
	s_mov_b32 s27, 0
.LBB134_818:
	s_delay_alu instid0(SALU_CYCLE_1)
	s_and_not1_b32 vcc_lo, exec_lo, s27
	s_cbranch_vccnz .LBB134_820
; %bb.819:
	s_wait_loadcnt 0x0
	global_load_u8 v1, v[4:5], off
	s_wait_loadcnt 0x0
	v_lshlrev_b32_e32 v3, 25, v1
	v_lshlrev_b16 v1, 8, v1
	s_delay_alu instid0(VALU_DEP_1) | instskip(SKIP_1) | instid1(VALU_DEP_2)
	v_and_or_b32 v7, 0x7f00, v1, 0.5
	v_bfe_i32 v1, v1, 0, 16
	v_add_f32_e32 v7, -0.5, v7
	v_lshrrev_b32_e32 v6, 4, v3
	v_cmp_gt_u32_e32 vcc_lo, 0x8000000, v3
	s_delay_alu instid0(VALU_DEP_2) | instskip(NEXT) | instid1(VALU_DEP_1)
	v_or_b32_e32 v6, 0x70000000, v6
	v_mul_f32_e32 v6, 0x7800000, v6
	s_delay_alu instid0(VALU_DEP_1) | instskip(NEXT) | instid1(VALU_DEP_1)
	v_cndmask_b32_e32 v3, v6, v7, vcc_lo
	v_and_or_b32 v1, 0x80000000, v1, v3
	s_delay_alu instid0(VALU_DEP_1)
	v_cvt_i32_f32_e32 v6, v1
.LBB134_820:
	s_mov_b32 s30, 0
	s_mov_b32 s27, -1
.LBB134_821:
	s_and_not1_b32 vcc_lo, exec_lo, s30
	s_cbranch_vccnz .LBB134_834
; %bb.822:
	s_cmp_gt_i32 s0, 14
	s_cbranch_scc0 .LBB134_825
; %bb.823:
	s_cmp_eq_u32 s0, 15
	s_cbranch_scc0 .LBB134_828
; %bb.824:
	s_wait_loadcnt 0x0
	global_load_u16 v1, v[4:5], off
	s_mov_b32 s27, -1
	s_mov_b32 s26, 0
	s_wait_loadcnt 0x0
	v_lshlrev_b32_e32 v1, 16, v1
	s_delay_alu instid0(VALU_DEP_1)
	v_cvt_i32_f32_e32 v6, v1
	s_branch .LBB134_829
.LBB134_825:
	s_mov_b32 s30, -1
                                        ; implicit-def: $vgpr6
	s_branch .LBB134_830
.LBB134_826:
	s_and_not1_saveexec_b32 s27, s27
	s_cbranch_execz .LBB134_807
.LBB134_827:
	v_cmp_ne_u16_e32 vcc_lo, 0, v1
	s_and_not1_b32 s30, s30, exec_lo
	s_and_b32 s31, vcc_lo, exec_lo
	s_delay_alu instid0(SALU_CYCLE_1)
	s_or_b32 s30, s30, s31
	s_or_b32 exec_lo, exec_lo, s27
	v_mov_b32_e32 v6, 0
	s_and_saveexec_b32 s27, s30
	s_cbranch_execnz .LBB134_808
	s_branch .LBB134_809
.LBB134_828:
	s_mov_b32 s26, -1
                                        ; implicit-def: $vgpr6
.LBB134_829:
	s_mov_b32 s30, 0
.LBB134_830:
	s_delay_alu instid0(SALU_CYCLE_1)
	s_and_b32 vcc_lo, exec_lo, s30
	s_cbranch_vccz .LBB134_834
; %bb.831:
	s_cmp_eq_u32 s0, 11
	s_cbranch_scc0 .LBB134_833
; %bb.832:
	s_wait_loadcnt 0x0
	global_load_u8 v1, v[4:5], off
	s_mov_b32 s26, 0
	s_mov_b32 s27, -1
	s_wait_loadcnt 0x0
	v_cmp_ne_u16_e32 vcc_lo, 0, v1
	v_cndmask_b32_e64 v6, 0, 1, vcc_lo
	s_branch .LBB134_834
.LBB134_833:
	s_mov_b32 s26, -1
                                        ; implicit-def: $vgpr6
.LBB134_834:
	s_mov_b32 s30, 0
.LBB134_835:
	s_delay_alu instid0(SALU_CYCLE_1)
	s_and_b32 vcc_lo, exec_lo, s30
	s_cbranch_vccz .LBB134_884
; %bb.836:
	s_cmp_lt_i32 s0, 5
	s_cbranch_scc1 .LBB134_841
; %bb.837:
	s_cmp_lt_i32 s0, 8
	s_cbranch_scc1 .LBB134_842
	;; [unrolled: 3-line block ×3, first 2 shown]
; %bb.839:
	s_cmp_gt_i32 s0, 9
	s_cbranch_scc0 .LBB134_844
; %bb.840:
	s_wait_loadcnt 0x0
	global_load_b64 v[6:7], v[4:5], off
	s_mov_b32 s27, 0
	s_wait_loadcnt 0x0
	v_cvt_i32_f64_e32 v6, v[6:7]
	s_branch .LBB134_845
.LBB134_841:
	s_mov_b32 s27, -1
                                        ; implicit-def: $vgpr6
	s_branch .LBB134_863
.LBB134_842:
	s_mov_b32 s27, -1
                                        ; implicit-def: $vgpr6
	s_branch .LBB134_851
.LBB134_843:
	s_mov_b32 s27, -1
                                        ; implicit-def: $vgpr6
	s_branch .LBB134_848
.LBB134_844:
	s_mov_b32 s27, -1
                                        ; implicit-def: $vgpr6
.LBB134_845:
	s_delay_alu instid0(SALU_CYCLE_1)
	s_and_not1_b32 vcc_lo, exec_lo, s27
	s_cbranch_vccnz .LBB134_847
; %bb.846:
	s_wait_loadcnt 0x0
	global_load_b32 v1, v[4:5], off
	s_wait_loadcnt 0x0
	v_cvt_i32_f32_e32 v6, v1
.LBB134_847:
	s_mov_b32 s27, 0
.LBB134_848:
	s_delay_alu instid0(SALU_CYCLE_1)
	s_and_not1_b32 vcc_lo, exec_lo, s27
	s_cbranch_vccnz .LBB134_850
; %bb.849:
	s_wait_loadcnt 0x0
	global_load_b32 v1, v[4:5], off
	s_wait_loadcnt 0x0
	v_cvt_i16_f16_e32 v6, v1
.LBB134_850:
	s_mov_b32 s27, 0
.LBB134_851:
	s_delay_alu instid0(SALU_CYCLE_1)
	s_and_not1_b32 vcc_lo, exec_lo, s27
	s_cbranch_vccnz .LBB134_862
; %bb.852:
	s_cmp_lt_i32 s0, 6
	s_cbranch_scc1 .LBB134_855
; %bb.853:
	s_cmp_gt_i32 s0, 6
	s_cbranch_scc0 .LBB134_856
; %bb.854:
	s_wait_loadcnt 0x0
	global_load_b64 v[6:7], v[4:5], off
	s_mov_b32 s27, 0
	s_wait_loadcnt 0x0
	v_cvt_i32_f64_e32 v6, v[6:7]
	s_branch .LBB134_857
.LBB134_855:
	s_mov_b32 s27, -1
                                        ; implicit-def: $vgpr6
	s_branch .LBB134_860
.LBB134_856:
	s_mov_b32 s27, -1
                                        ; implicit-def: $vgpr6
.LBB134_857:
	s_delay_alu instid0(SALU_CYCLE_1)
	s_and_not1_b32 vcc_lo, exec_lo, s27
	s_cbranch_vccnz .LBB134_859
; %bb.858:
	s_wait_loadcnt 0x0
	global_load_b32 v1, v[4:5], off
	s_wait_loadcnt 0x0
	v_cvt_i32_f32_e32 v6, v1
.LBB134_859:
	s_mov_b32 s27, 0
.LBB134_860:
	s_delay_alu instid0(SALU_CYCLE_1)
	s_and_not1_b32 vcc_lo, exec_lo, s27
	s_cbranch_vccnz .LBB134_862
; %bb.861:
	s_wait_loadcnt 0x0
	global_load_u16 v1, v[4:5], off
	s_wait_loadcnt 0x0
	v_cvt_i16_f16_e32 v6, v1
.LBB134_862:
	s_mov_b32 s27, 0
.LBB134_863:
	s_delay_alu instid0(SALU_CYCLE_1)
	s_and_not1_b32 vcc_lo, exec_lo, s27
	s_cbranch_vccnz .LBB134_883
; %bb.864:
	s_cmp_lt_i32 s0, 2
	s_cbranch_scc1 .LBB134_868
; %bb.865:
	s_cmp_lt_i32 s0, 3
	s_cbranch_scc1 .LBB134_869
; %bb.866:
	s_cmp_gt_i32 s0, 3
	s_cbranch_scc0 .LBB134_870
; %bb.867:
	s_wait_loadcnt 0x0
	global_load_b64 v[6:7], v[4:5], off
	s_mov_b32 s27, 0
	s_branch .LBB134_871
.LBB134_868:
	s_mov_b32 s27, -1
                                        ; implicit-def: $vgpr6
	s_branch .LBB134_877
.LBB134_869:
	s_mov_b32 s27, -1
                                        ; implicit-def: $vgpr6
	s_branch .LBB134_874
.LBB134_870:
	s_mov_b32 s27, -1
                                        ; implicit-def: $vgpr6
.LBB134_871:
	s_delay_alu instid0(SALU_CYCLE_1)
	s_and_not1_b32 vcc_lo, exec_lo, s27
	s_cbranch_vccnz .LBB134_873
; %bb.872:
	s_wait_loadcnt 0x0
	global_load_b32 v6, v[4:5], off
.LBB134_873:
	s_mov_b32 s27, 0
.LBB134_874:
	s_delay_alu instid0(SALU_CYCLE_1)
	s_and_not1_b32 vcc_lo, exec_lo, s27
	s_cbranch_vccnz .LBB134_876
; %bb.875:
	s_wait_loadcnt 0x0
	global_load_u16 v6, v[4:5], off
.LBB134_876:
	s_mov_b32 s27, 0
.LBB134_877:
	s_delay_alu instid0(SALU_CYCLE_1)
	s_and_not1_b32 vcc_lo, exec_lo, s27
	s_cbranch_vccnz .LBB134_883
; %bb.878:
	s_cmp_gt_i32 s0, 0
	s_mov_b32 s0, 0
	s_cbranch_scc0 .LBB134_880
; %bb.879:
	s_wait_loadcnt 0x0
	global_load_i8 v6, v[4:5], off
	s_branch .LBB134_881
.LBB134_880:
	s_mov_b32 s0, -1
                                        ; implicit-def: $vgpr6
.LBB134_881:
	s_delay_alu instid0(SALU_CYCLE_1)
	s_and_not1_b32 vcc_lo, exec_lo, s0
	s_cbranch_vccnz .LBB134_883
; %bb.882:
	s_wait_loadcnt 0x0
	global_load_u8 v6, v[4:5], off
.LBB134_883:
	s_mov_b32 s27, -1
.LBB134_884:
	s_delay_alu instid0(SALU_CYCLE_1)
	s_and_not1_b32 vcc_lo, exec_lo, s27
	s_cbranch_vccnz .LBB134_892
; %bb.885:
	s_wait_xcnt 0x0
	v_mul_lo_u32 v4, v26, s12
	s_wait_loadcnt 0x0
	v_max_i16 v2, v0, v2
	s_and_b32 s27, s2, 0xff
	s_delay_alu instid0(SALU_CYCLE_1) | instskip(NEXT) | instid1(VALU_DEP_2)
	s_cmp_lt_i32 s27, 11
	v_ashrrev_i32_e32 v5, 31, v4
	s_delay_alu instid0(VALU_DEP_1)
	v_add_nc_u64_e32 v[0:1], s[4:5], v[4:5]
	v_min_i16 v4, v2, v6
	s_cbranch_scc1 .LBB134_893
; %bb.886:
	s_and_b32 s30, 0xffff, s27
	s_delay_alu instid0(SALU_CYCLE_1)
	s_cmp_gt_i32 s30, 25
	s_cbranch_scc0 .LBB134_894
; %bb.887:
	s_cmp_gt_i32 s30, 28
	s_cbranch_scc0 .LBB134_895
; %bb.888:
	;; [unrolled: 3-line block ×4, first 2 shown]
	s_mov_b32 s33, 0
	s_mov_b32 s0, -1
	s_cmp_eq_u32 s30, 46
	s_mov_b32 s31, 0
	s_cbranch_scc0 .LBB134_898
; %bb.891:
	v_bfe_i32 v2, v4, 0, 16
	s_mov_b32 s31, -1
	s_mov_b32 s0, 0
	s_delay_alu instid0(VALU_DEP_1) | instskip(NEXT) | instid1(VALU_DEP_1)
	v_cvt_f32_i32_e32 v2, v2
	v_bfe_u32 v3, v2, 16, 1
	s_delay_alu instid0(VALU_DEP_1) | instskip(NEXT) | instid1(VALU_DEP_1)
	v_add3_u32 v2, v2, v3, 0x7fff
	v_lshrrev_b32_e32 v2, 16, v2
	global_store_b32 v[0:1], v2, off
	s_branch .LBB134_898
.LBB134_892:
	s_mov_b32 s30, 0
	s_mov_b32 s0, s19
	s_branch .LBB134_1009
.LBB134_893:
	s_mov_b32 s30, -1
	s_mov_b32 s31, 0
	s_mov_b32 s0, s19
	s_branch .LBB134_967
.LBB134_894:
	s_mov_b32 s33, -1
	s_mov_b32 s31, 0
	s_mov_b32 s0, s19
	s_branch .LBB134_925
.LBB134_895:
	s_mov_b32 s33, -1
	s_mov_b32 s31, 0
	s_mov_b32 s0, s19
	s_branch .LBB134_908
.LBB134_896:
	s_mov_b32 s33, -1
	s_mov_b32 s31, 0
	s_mov_b32 s0, s19
	s_branch .LBB134_904
.LBB134_897:
	s_mov_b32 s33, -1
	s_mov_b32 s31, 0
	s_mov_b32 s0, s19
.LBB134_898:
	s_and_b32 vcc_lo, exec_lo, s33
	s_cbranch_vccz .LBB134_903
; %bb.899:
	s_cmp_eq_u32 s30, 44
	s_mov_b32 s0, -1
	s_cbranch_scc0 .LBB134_903
; %bb.900:
	s_wait_xcnt 0x0
	v_bfe_i32 v2, v4, 0, 16
	v_mov_b32_e32 v3, 0xff
	s_mov_b32 s31, exec_lo
	s_delay_alu instid0(VALU_DEP_2) | instskip(NEXT) | instid1(VALU_DEP_1)
	v_cvt_f32_i32_e32 v2, v2
	v_bfe_u32 v5, v2, 23, 8
	s_delay_alu instid0(VALU_DEP_1)
	v_cmpx_ne_u32_e32 0xff, v5
	s_cbranch_execz .LBB134_902
; %bb.901:
	v_and_b32_e32 v3, 0x400000, v2
	v_and_or_b32 v5, 0x3fffff, v2, v5
	v_lshrrev_b32_e32 v2, 23, v2
	s_delay_alu instid0(VALU_DEP_3) | instskip(NEXT) | instid1(VALU_DEP_3)
	v_cmp_ne_u32_e32 vcc_lo, 0, v3
	v_cmp_ne_u32_e64 s0, 0, v5
	s_and_b32 s0, vcc_lo, s0
	s_delay_alu instid0(SALU_CYCLE_1) | instskip(NEXT) | instid1(VALU_DEP_1)
	v_cndmask_b32_e64 v3, 0, 1, s0
	v_add_nc_u32_e32 v3, v2, v3
.LBB134_902:
	s_or_b32 exec_lo, exec_lo, s31
	s_mov_b32 s31, -1
	s_mov_b32 s0, 0
	global_store_b8 v[0:1], v3, off
.LBB134_903:
	s_mov_b32 s33, 0
.LBB134_904:
	s_delay_alu instid0(SALU_CYCLE_1)
	s_and_b32 vcc_lo, exec_lo, s33
	s_cbranch_vccz .LBB134_907
; %bb.905:
	s_cmp_eq_u32 s30, 29
	s_mov_b32 s0, -1
	s_cbranch_scc0 .LBB134_907
; %bb.906:
	s_wait_xcnt 0x0
	v_bfe_i32 v2, v4, 0, 16
	s_mov_b32 s0, 0
	s_mov_b32 s31, -1
	s_mov_b32 s33, 0
	s_delay_alu instid0(VALU_DEP_1)
	v_ashrrev_i32_e32 v3, 31, v2
	global_store_b64 v[0:1], v[2:3], off
	s_branch .LBB134_908
.LBB134_907:
	s_mov_b32 s33, 0
.LBB134_908:
	s_delay_alu instid0(SALU_CYCLE_1)
	s_and_b32 vcc_lo, exec_lo, s33
	s_cbranch_vccz .LBB134_924
; %bb.909:
	s_cmp_lt_i32 s30, 27
	s_mov_b32 s31, -1
	s_cbranch_scc1 .LBB134_915
; %bb.910:
	s_cmp_gt_i32 s30, 27
	s_cbranch_scc0 .LBB134_912
; %bb.911:
	s_wait_xcnt 0x0
	v_bfe_i32 v2, v4, 0, 16
	s_mov_b32 s31, 0
	global_store_b32 v[0:1], v2, off
.LBB134_912:
	s_and_not1_b32 vcc_lo, exec_lo, s31
	s_cbranch_vccnz .LBB134_914
; %bb.913:
	global_store_b16 v[0:1], v4, off
.LBB134_914:
	s_mov_b32 s31, 0
.LBB134_915:
	s_delay_alu instid0(SALU_CYCLE_1)
	s_and_not1_b32 vcc_lo, exec_lo, s31
	s_cbranch_vccnz .LBB134_923
; %bb.916:
	s_wait_xcnt 0x0
	v_bfe_i32 v2, v4, 0, 16
	v_mov_b32_e32 v5, 0x80
	s_mov_b32 s31, exec_lo
	s_delay_alu instid0(VALU_DEP_2) | instskip(NEXT) | instid1(VALU_DEP_1)
	v_cvt_f32_i32_e32 v2, v2
	v_and_b32_e32 v3, 0x7fffffff, v2
	s_delay_alu instid0(VALU_DEP_1)
	v_cmpx_gt_u32_e32 0x43800000, v3
	s_cbranch_execz .LBB134_922
; %bb.917:
	v_cmp_lt_u32_e32 vcc_lo, 0x3bffffff, v3
	s_mov_b32 s33, 0
                                        ; implicit-def: $vgpr3
	s_and_saveexec_b32 s34, vcc_lo
	s_delay_alu instid0(SALU_CYCLE_1)
	s_xor_b32 s34, exec_lo, s34
	s_cbranch_execz .LBB134_1151
; %bb.918:
	v_bfe_u32 v3, v2, 20, 1
	s_mov_b32 s33, exec_lo
	s_delay_alu instid0(VALU_DEP_1) | instskip(NEXT) | instid1(VALU_DEP_1)
	v_add3_u32 v3, v2, v3, 0x487ffff
	v_lshrrev_b32_e32 v3, 20, v3
	s_and_not1_saveexec_b32 s34, s34
	s_cbranch_execnz .LBB134_1152
.LBB134_919:
	s_or_b32 exec_lo, exec_lo, s34
	v_mov_b32_e32 v5, 0
	s_and_saveexec_b32 s34, s33
.LBB134_920:
	v_lshrrev_b32_e32 v2, 24, v2
	s_delay_alu instid0(VALU_DEP_1)
	v_and_or_b32 v5, 0x80, v2, v3
.LBB134_921:
	s_or_b32 exec_lo, exec_lo, s34
.LBB134_922:
	s_delay_alu instid0(SALU_CYCLE_1)
	s_or_b32 exec_lo, exec_lo, s31
	global_store_b8 v[0:1], v5, off
.LBB134_923:
	s_mov_b32 s31, -1
.LBB134_924:
	s_mov_b32 s33, 0
.LBB134_925:
	s_delay_alu instid0(SALU_CYCLE_1)
	s_and_b32 vcc_lo, exec_lo, s33
	s_cbranch_vccz .LBB134_966
; %bb.926:
	s_cmp_gt_i32 s30, 22
	s_mov_b32 s33, -1
	s_cbranch_scc0 .LBB134_958
; %bb.927:
	s_cmp_lt_i32 s30, 24
	s_mov_b32 s31, -1
	s_cbranch_scc1 .LBB134_947
; %bb.928:
	s_cmp_gt_i32 s30, 24
	s_cbranch_scc0 .LBB134_936
; %bb.929:
	s_wait_xcnt 0x0
	v_bfe_i32 v2, v4, 0, 16
	v_mov_b32_e32 v5, 0x80
	s_mov_b32 s31, exec_lo
	s_delay_alu instid0(VALU_DEP_2) | instskip(NEXT) | instid1(VALU_DEP_1)
	v_cvt_f32_i32_e32 v2, v2
	v_and_b32_e32 v3, 0x7fffffff, v2
	s_delay_alu instid0(VALU_DEP_1)
	v_cmpx_gt_u32_e32 0x47800000, v3
	s_cbranch_execz .LBB134_935
; %bb.930:
	v_cmp_lt_u32_e32 vcc_lo, 0x37ffffff, v3
	s_mov_b32 s33, 0
                                        ; implicit-def: $vgpr3
	s_and_saveexec_b32 s34, vcc_lo
	s_delay_alu instid0(SALU_CYCLE_1)
	s_xor_b32 s34, exec_lo, s34
	s_cbranch_execz .LBB134_1279
; %bb.931:
	v_bfe_u32 v3, v2, 21, 1
	s_mov_b32 s33, exec_lo
	s_delay_alu instid0(VALU_DEP_1) | instskip(NEXT) | instid1(VALU_DEP_1)
	v_add3_u32 v3, v2, v3, 0x88fffff
	v_lshrrev_b32_e32 v3, 21, v3
	s_and_not1_saveexec_b32 s34, s34
	s_cbranch_execnz .LBB134_1280
.LBB134_932:
	s_or_b32 exec_lo, exec_lo, s34
	v_mov_b32_e32 v5, 0
	s_and_saveexec_b32 s34, s33
.LBB134_933:
	v_lshrrev_b32_e32 v2, 24, v2
	s_delay_alu instid0(VALU_DEP_1)
	v_and_or_b32 v5, 0x80, v2, v3
.LBB134_934:
	s_or_b32 exec_lo, exec_lo, s34
.LBB134_935:
	s_delay_alu instid0(SALU_CYCLE_1)
	s_or_b32 exec_lo, exec_lo, s31
	s_mov_b32 s31, 0
	global_store_b8 v[0:1], v5, off
.LBB134_936:
	s_and_b32 vcc_lo, exec_lo, s31
	s_cbranch_vccz .LBB134_946
; %bb.937:
	s_wait_xcnt 0x0
	v_bfe_i32 v2, v4, 0, 16
	s_mov_b32 s31, exec_lo
                                        ; implicit-def: $vgpr3
	s_delay_alu instid0(VALU_DEP_1) | instskip(NEXT) | instid1(VALU_DEP_1)
	v_cvt_f32_i32_e32 v2, v2
	v_and_b32_e32 v5, 0x7fffffff, v2
	s_delay_alu instid0(VALU_DEP_1)
	v_cmpx_gt_u32_e32 0x43f00000, v5
	s_xor_b32 s31, exec_lo, s31
	s_cbranch_execz .LBB134_943
; %bb.938:
	s_mov_b32 s33, exec_lo
                                        ; implicit-def: $vgpr3
	v_cmpx_lt_u32_e32 0x3c7fffff, v5
	s_xor_b32 s33, exec_lo, s33
; %bb.939:
	v_bfe_u32 v3, v2, 20, 1
	s_delay_alu instid0(VALU_DEP_1) | instskip(NEXT) | instid1(VALU_DEP_1)
	v_add3_u32 v3, v2, v3, 0x407ffff
	v_and_b32_e32 v5, 0xff00000, v3
	v_lshrrev_b32_e32 v3, 20, v3
	s_delay_alu instid0(VALU_DEP_2) | instskip(NEXT) | instid1(VALU_DEP_2)
	v_cmp_ne_u32_e32 vcc_lo, 0x7f00000, v5
	v_cndmask_b32_e32 v3, 0x7e, v3, vcc_lo
; %bb.940:
	s_and_not1_saveexec_b32 s33, s33
; %bb.941:
	v_add_f32_e64 v3, 0x46800000, |v2|
; %bb.942:
	s_or_b32 exec_lo, exec_lo, s33
                                        ; implicit-def: $vgpr5
.LBB134_943:
	s_and_not1_saveexec_b32 s31, s31
; %bb.944:
	v_mov_b32_e32 v3, 0x7f
	v_cmp_lt_u32_e32 vcc_lo, 0x7f800000, v5
	s_delay_alu instid0(VALU_DEP_2)
	v_cndmask_b32_e32 v3, 0x7e, v3, vcc_lo
; %bb.945:
	s_or_b32 exec_lo, exec_lo, s31
	v_lshrrev_b32_e32 v2, 24, v2
	s_delay_alu instid0(VALU_DEP_1)
	v_and_or_b32 v2, 0x80, v2, v3
	global_store_b8 v[0:1], v2, off
.LBB134_946:
	s_mov_b32 s31, 0
.LBB134_947:
	s_delay_alu instid0(SALU_CYCLE_1)
	s_and_not1_b32 vcc_lo, exec_lo, s31
	s_cbranch_vccnz .LBB134_957
; %bb.948:
	s_wait_xcnt 0x0
	v_bfe_i32 v2, v4, 0, 16
	s_mov_b32 s31, exec_lo
                                        ; implicit-def: $vgpr3
	s_delay_alu instid0(VALU_DEP_1) | instskip(NEXT) | instid1(VALU_DEP_1)
	v_cvt_f32_i32_e32 v2, v2
	v_and_b32_e32 v5, 0x7fffffff, v2
	s_delay_alu instid0(VALU_DEP_1)
	v_cmpx_gt_u32_e32 0x47800000, v5
	s_xor_b32 s31, exec_lo, s31
	s_cbranch_execz .LBB134_954
; %bb.949:
	s_mov_b32 s33, exec_lo
                                        ; implicit-def: $vgpr3
	v_cmpx_lt_u32_e32 0x387fffff, v5
	s_xor_b32 s33, exec_lo, s33
; %bb.950:
	v_bfe_u32 v3, v2, 21, 1
	s_delay_alu instid0(VALU_DEP_1) | instskip(NEXT) | instid1(VALU_DEP_1)
	v_add3_u32 v3, v2, v3, 0x80fffff
	v_lshrrev_b32_e32 v3, 21, v3
; %bb.951:
	s_and_not1_saveexec_b32 s33, s33
; %bb.952:
	v_add_f32_e64 v3, 0x43000000, |v2|
; %bb.953:
	s_or_b32 exec_lo, exec_lo, s33
                                        ; implicit-def: $vgpr5
.LBB134_954:
	s_and_not1_saveexec_b32 s31, s31
; %bb.955:
	v_mov_b32_e32 v3, 0x7f
	v_cmp_lt_u32_e32 vcc_lo, 0x7f800000, v5
	s_delay_alu instid0(VALU_DEP_2)
	v_cndmask_b32_e32 v3, 0x7c, v3, vcc_lo
; %bb.956:
	s_or_b32 exec_lo, exec_lo, s31
	v_lshrrev_b32_e32 v2, 24, v2
	s_delay_alu instid0(VALU_DEP_1)
	v_and_or_b32 v2, 0x80, v2, v3
	global_store_b8 v[0:1], v2, off
.LBB134_957:
	s_mov_b32 s33, 0
	s_mov_b32 s31, -1
.LBB134_958:
	s_and_not1_b32 vcc_lo, exec_lo, s33
	s_cbranch_vccnz .LBB134_966
; %bb.959:
	s_cmp_gt_i32 s30, 14
	s_mov_b32 s33, -1
	s_cbranch_scc0 .LBB134_963
; %bb.960:
	s_cmp_eq_u32 s30, 15
	s_mov_b32 s0, -1
	s_cbranch_scc0 .LBB134_962
; %bb.961:
	s_wait_xcnt 0x0
	v_bfe_i32 v2, v4, 0, 16
	s_mov_b32 s31, -1
	s_mov_b32 s0, 0
	s_delay_alu instid0(VALU_DEP_1) | instskip(NEXT) | instid1(VALU_DEP_1)
	v_cvt_f32_i32_e32 v2, v2
	v_bfe_u32 v3, v2, 16, 1
	s_delay_alu instid0(VALU_DEP_1)
	v_add3_u32 v2, v2, v3, 0x7fff
	global_store_d16_hi_b16 v[0:1], v2, off
.LBB134_962:
	s_mov_b32 s33, 0
.LBB134_963:
	s_delay_alu instid0(SALU_CYCLE_1)
	s_and_b32 vcc_lo, exec_lo, s33
	s_cbranch_vccz .LBB134_966
; %bb.964:
	s_cmp_eq_u32 s30, 11
	s_mov_b32 s0, -1
	s_cbranch_scc0 .LBB134_966
; %bb.965:
	v_cmp_ne_u16_e32 vcc_lo, 0, v4
	s_mov_b32 s0, 0
	s_mov_b32 s31, -1
	s_wait_xcnt 0x0
	v_cndmask_b32_e64 v2, 0, 1, vcc_lo
	global_store_b8 v[0:1], v2, off
.LBB134_966:
	s_mov_b32 s30, 0
.LBB134_967:
	s_delay_alu instid0(SALU_CYCLE_1)
	s_and_b32 vcc_lo, exec_lo, s30
	s_cbranch_vccz .LBB134_1006
; %bb.968:
	s_and_b32 s27, 0xffff, s27
	s_mov_b32 s30, -1
	s_cmp_lt_i32 s27, 5
	s_cbranch_scc1 .LBB134_989
; %bb.969:
	s_cmp_lt_i32 s27, 8
	s_cbranch_scc1 .LBB134_979
; %bb.970:
	;; [unrolled: 3-line block ×3, first 2 shown]
	s_cmp_gt_i32 s27, 9
	s_cbranch_scc0 .LBB134_973
; %bb.972:
	s_wait_xcnt 0x0
	v_bfe_i32 v2, v4, 0, 16
	v_mov_b32_e32 v8, 0
	s_mov_b32 s30, 0
	s_delay_alu instid0(VALU_DEP_2) | instskip(NEXT) | instid1(VALU_DEP_2)
	v_cvt_f64_i32_e32 v[6:7], v2
	v_mov_b32_e32 v9, v8
	global_store_b128 v[0:1], v[6:9], off
.LBB134_973:
	s_and_not1_b32 vcc_lo, exec_lo, s30
	s_cbranch_vccnz .LBB134_975
; %bb.974:
	s_wait_xcnt 0x0
	v_bfe_i32 v2, v4, 0, 16
	v_mov_b32_e32 v3, 0
	s_delay_alu instid0(VALU_DEP_2)
	v_cvt_f32_i32_e32 v2, v2
	global_store_b64 v[0:1], v[2:3], off
.LBB134_975:
	s_mov_b32 s30, 0
.LBB134_976:
	s_delay_alu instid0(SALU_CYCLE_1)
	s_and_not1_b32 vcc_lo, exec_lo, s30
	s_cbranch_vccnz .LBB134_978
; %bb.977:
	s_wait_xcnt 0x0
	v_cvt_f16_i16_e32 v2, v4
	s_delay_alu instid0(VALU_DEP_1)
	v_and_b32_e32 v2, 0xffff, v2
	global_store_b32 v[0:1], v2, off
.LBB134_978:
	s_mov_b32 s30, 0
.LBB134_979:
	s_delay_alu instid0(SALU_CYCLE_1)
	s_and_not1_b32 vcc_lo, exec_lo, s30
	s_cbranch_vccnz .LBB134_988
; %bb.980:
	s_cmp_lt_i32 s27, 6
	s_mov_b32 s30, -1
	s_cbranch_scc1 .LBB134_986
; %bb.981:
	s_cmp_gt_i32 s27, 6
	s_cbranch_scc0 .LBB134_983
; %bb.982:
	s_wait_xcnt 0x0
	v_bfe_i32 v2, v4, 0, 16
	s_mov_b32 s30, 0
	s_delay_alu instid0(VALU_DEP_1)
	v_cvt_f64_i32_e32 v[2:3], v2
	global_store_b64 v[0:1], v[2:3], off
.LBB134_983:
	s_and_not1_b32 vcc_lo, exec_lo, s30
	s_cbranch_vccnz .LBB134_985
; %bb.984:
	s_wait_xcnt 0x0
	v_bfe_i32 v2, v4, 0, 16
	s_delay_alu instid0(VALU_DEP_1)
	v_cvt_f32_i32_e32 v2, v2
	global_store_b32 v[0:1], v2, off
.LBB134_985:
	s_mov_b32 s30, 0
.LBB134_986:
	s_delay_alu instid0(SALU_CYCLE_1)
	s_and_not1_b32 vcc_lo, exec_lo, s30
	s_cbranch_vccnz .LBB134_988
; %bb.987:
	s_wait_xcnt 0x0
	v_cvt_f16_i16_e32 v2, v4
	global_store_b16 v[0:1], v2, off
.LBB134_988:
	s_mov_b32 s30, 0
.LBB134_989:
	s_delay_alu instid0(SALU_CYCLE_1)
	s_and_not1_b32 vcc_lo, exec_lo, s30
	s_cbranch_vccnz .LBB134_1005
; %bb.990:
	s_cmp_lt_i32 s27, 2
	s_mov_b32 s30, -1
	s_cbranch_scc1 .LBB134_1000
; %bb.991:
	s_cmp_lt_i32 s27, 3
	s_cbranch_scc1 .LBB134_997
; %bb.992:
	s_wait_xcnt 0x0
	v_bfe_i32 v2, v4, 0, 16
	s_cmp_gt_i32 s27, 3
	s_cbranch_scc0 .LBB134_994
; %bb.993:
	s_delay_alu instid0(VALU_DEP_1)
	v_ashrrev_i32_e32 v3, 31, v2
	s_mov_b32 s30, 0
	global_store_b64 v[0:1], v[2:3], off
.LBB134_994:
	s_and_not1_b32 vcc_lo, exec_lo, s30
	s_cbranch_vccnz .LBB134_996
; %bb.995:
	global_store_b32 v[0:1], v2, off
.LBB134_996:
	s_mov_b32 s30, 0
.LBB134_997:
	s_delay_alu instid0(SALU_CYCLE_1)
	s_and_not1_b32 vcc_lo, exec_lo, s30
	s_cbranch_vccnz .LBB134_999
; %bb.998:
	global_store_b16 v[0:1], v4, off
.LBB134_999:
	s_mov_b32 s30, 0
.LBB134_1000:
	s_delay_alu instid0(SALU_CYCLE_1)
	s_and_not1_b32 vcc_lo, exec_lo, s30
	s_cbranch_vccnz .LBB134_1005
; %bb.1001:
	s_cmp_gt_i32 s27, 0
	s_mov_b32 s27, -1
	s_cbranch_scc0 .LBB134_1003
; %bb.1002:
	s_mov_b32 s27, 0
	global_store_b8 v[0:1], v4, off
.LBB134_1003:
	s_and_not1_b32 vcc_lo, exec_lo, s27
	s_cbranch_vccnz .LBB134_1005
; %bb.1004:
	global_store_b8 v[0:1], v4, off
.LBB134_1005:
	s_mov_b32 s31, -1
.LBB134_1006:
	s_delay_alu instid0(SALU_CYCLE_1)
	s_and_not1_b32 vcc_lo, exec_lo, s31
	s_cbranch_vccnz .LBB134_1008
; %bb.1007:
	v_add_nc_u32_e32 v26, 0x80, v26
	s_mov_b32 s30, -1
	s_branch .LBB134_1010
.LBB134_1008:
	s_mov_b32 s30, 0
.LBB134_1009:
                                        ; implicit-def: $vgpr26
.LBB134_1010:
	s_and_not1_b32 s27, s19, exec_lo
	s_and_b32 s0, s0, exec_lo
	s_and_not1_b32 s31, s21, exec_lo
	s_and_b32 s33, s26, exec_lo
	s_or_b32 s26, s27, s0
	s_or_b32 s27, s31, s33
	s_and_not1_b32 s0, s22, exec_lo
	s_and_b32 s28, s28, exec_lo
	s_and_not1_b32 s31, s23, exec_lo
	s_and_b32 s25, s25, exec_lo
	s_or_b32 s28, s0, s28
	s_or_b32 s25, s31, s25
	s_or_not1_b32 s31, s30, exec_lo
.LBB134_1011:
	s_wait_xcnt 0x0
	s_or_b32 exec_lo, exec_lo, s29
	s_mov_b32 s30, 0
	s_mov_b32 s33, 0
	;; [unrolled: 1-line block ×3, first 2 shown]
                                        ; implicit-def: $sgpr0
                                        ; implicit-def: $vgpr2_vgpr3
                                        ; implicit-def: $vgpr0
	s_and_saveexec_b32 s29, s31
	s_cbranch_execz .LBB134_1598
; %bb.1012:
	s_mov_b32 s39, -1
	s_mov_b32 s31, s25
	s_mov_b32 s33, s28
	;; [unrolled: 1-line block ×4, first 2 shown]
	s_mov_b32 s30, exec_lo
	v_cmpx_gt_i32_e64 s20, v26
	s_cbranch_execz .LBB134_1520
; %bb.1013:
	s_wait_loadcnt 0x0
	v_mul_lo_u32 v0, v26, s13
	s_and_b32 s0, s17, 0xff
	s_delay_alu instid0(SALU_CYCLE_1) | instskip(NEXT) | instid1(VALU_DEP_1)
	s_cmp_lt_i32 s0, 11
	v_ashrrev_i32_e32 v1, 31, v0
	s_delay_alu instid0(VALU_DEP_1)
	v_add_nc_u64_e32 v[2:3], s[6:7], v[0:1]
	s_cbranch_scc1 .LBB134_1020
; %bb.1014:
	s_and_b32 s33, 0xffff, s0
	s_delay_alu instid0(SALU_CYCLE_1)
	s_cmp_gt_i32 s33, 25
	s_cbranch_scc0 .LBB134_1021
; %bb.1015:
	s_cmp_gt_i32 s33, 28
	s_cbranch_scc0 .LBB134_1022
; %bb.1016:
	;; [unrolled: 3-line block ×4, first 2 shown]
	s_cmp_eq_u32 s33, 46
	s_mov_b32 s35, 0
	s_cbranch_scc0 .LBB134_1025
; %bb.1019:
	global_load_b32 v0, v[2:3], off
	s_mov_b32 s34, -1
	s_mov_b32 s31, 0
	s_wait_loadcnt 0x0
	v_lshlrev_b32_e32 v0, 16, v0
	s_delay_alu instid0(VALU_DEP_1)
	v_cvt_i32_f32_e32 v0, v0
	s_branch .LBB134_1027
.LBB134_1020:
	s_mov_b32 s33, -1
	s_mov_b32 s34, 0
	s_mov_b32 s31, s25
                                        ; implicit-def: $vgpr0
	s_branch .LBB134_1088
.LBB134_1021:
	s_mov_b32 s35, -1
	s_mov_b32 s34, 0
	s_mov_b32 s31, s25
                                        ; implicit-def: $vgpr0
	s_branch .LBB134_1054
.LBB134_1022:
	s_mov_b32 s35, -1
	s_mov_b32 s34, 0
	s_mov_b32 s31, s25
                                        ; implicit-def: $vgpr0
	s_branch .LBB134_1037
.LBB134_1023:
	s_mov_b32 s35, -1
	s_mov_b32 s34, 0
	s_mov_b32 s31, s25
                                        ; implicit-def: $vgpr0
	s_branch .LBB134_1032
.LBB134_1024:
	s_mov_b32 s35, -1
	s_mov_b32 s34, 0
	s_mov_b32 s31, s25
	s_branch .LBB134_1026
.LBB134_1025:
	s_mov_b32 s31, -1
	s_mov_b32 s34, 0
.LBB134_1026:
                                        ; implicit-def: $vgpr0
.LBB134_1027:
	s_and_b32 vcc_lo, exec_lo, s35
	s_cbranch_vccz .LBB134_1031
; %bb.1028:
	s_cmp_eq_u32 s33, 44
	s_cbranch_scc0 .LBB134_1030
; %bb.1029:
	global_load_u8 v0, v[2:3], off
	s_mov_b32 s31, 0
	s_mov_b32 s34, -1
	s_wait_loadcnt 0x0
	v_lshlrev_b32_e32 v1, 23, v0
	v_cmp_ne_u32_e32 vcc_lo, 0, v0
	s_delay_alu instid0(VALU_DEP_2) | instskip(NEXT) | instid1(VALU_DEP_1)
	v_cvt_i32_f32_e32 v1, v1
	v_cndmask_b32_e32 v0, 0, v1, vcc_lo
	s_branch .LBB134_1031
.LBB134_1030:
	s_mov_b32 s31, -1
                                        ; implicit-def: $vgpr0
.LBB134_1031:
	s_mov_b32 s35, 0
.LBB134_1032:
	s_delay_alu instid0(SALU_CYCLE_1)
	s_and_b32 vcc_lo, exec_lo, s35
	s_cbranch_vccz .LBB134_1036
; %bb.1033:
	s_cmp_eq_u32 s33, 29
	s_cbranch_scc0 .LBB134_1035
; %bb.1034:
	global_load_b64 v[0:1], v[2:3], off
	s_mov_b32 s34, -1
	s_mov_b32 s31, 0
	s_branch .LBB134_1036
.LBB134_1035:
	s_mov_b32 s31, -1
                                        ; implicit-def: $vgpr0
.LBB134_1036:
	s_mov_b32 s35, 0
.LBB134_1037:
	s_delay_alu instid0(SALU_CYCLE_1)
	s_and_b32 vcc_lo, exec_lo, s35
	s_cbranch_vccz .LBB134_1053
; %bb.1038:
	s_cmp_lt_i32 s33, 27
	s_cbranch_scc1 .LBB134_1041
; %bb.1039:
	s_cmp_gt_i32 s33, 27
	s_cbranch_scc0 .LBB134_1042
; %bb.1040:
	s_wait_loadcnt 0x0
	global_load_b32 v0, v[2:3], off
	s_mov_b32 s34, 0
	s_branch .LBB134_1043
.LBB134_1041:
	s_mov_b32 s34, -1
                                        ; implicit-def: $vgpr0
	s_branch .LBB134_1046
.LBB134_1042:
	s_mov_b32 s34, -1
                                        ; implicit-def: $vgpr0
.LBB134_1043:
	s_delay_alu instid0(SALU_CYCLE_1)
	s_and_not1_b32 vcc_lo, exec_lo, s34
	s_cbranch_vccnz .LBB134_1045
; %bb.1044:
	s_wait_loadcnt 0x0
	global_load_u16 v0, v[2:3], off
.LBB134_1045:
	s_mov_b32 s34, 0
.LBB134_1046:
	s_delay_alu instid0(SALU_CYCLE_1)
	s_and_not1_b32 vcc_lo, exec_lo, s34
	s_cbranch_vccnz .LBB134_1052
; %bb.1047:
	s_wait_loadcnt 0x0
	global_load_u8 v1, v[2:3], off
	s_mov_b32 s35, 0
	s_mov_b32 s34, exec_lo
	s_wait_loadcnt 0x0
	v_cmpx_lt_i16_e32 0x7f, v1
	s_xor_b32 s34, exec_lo, s34
	s_cbranch_execz .LBB134_1064
; %bb.1048:
	v_cmp_ne_u16_e32 vcc_lo, 0x80, v1
	s_and_b32 s35, vcc_lo, exec_lo
	s_and_not1_saveexec_b32 s34, s34
	s_cbranch_execnz .LBB134_1065
.LBB134_1049:
	s_or_b32 exec_lo, exec_lo, s34
	v_mov_b32_e32 v0, 0
	s_and_saveexec_b32 s34, s35
	s_cbranch_execz .LBB134_1051
.LBB134_1050:
	v_and_b32_e32 v0, 0xffff, v1
	s_delay_alu instid0(VALU_DEP_1) | instskip(SKIP_1) | instid1(VALU_DEP_2)
	v_and_b32_e32 v4, 7, v0
	v_bfe_u32 v7, v0, 3, 4
	v_clz_i32_u32_e32 v5, v4
	s_delay_alu instid0(VALU_DEP_2) | instskip(NEXT) | instid1(VALU_DEP_2)
	v_cmp_eq_u32_e32 vcc_lo, 0, v7
	v_min_u32_e32 v5, 32, v5
	s_delay_alu instid0(VALU_DEP_1) | instskip(NEXT) | instid1(VALU_DEP_1)
	v_subrev_nc_u32_e32 v6, 28, v5
	v_dual_lshlrev_b32 v0, v6, v0 :: v_dual_sub_nc_u32 v5, 29, v5
	s_delay_alu instid0(VALU_DEP_1) | instskip(NEXT) | instid1(VALU_DEP_1)
	v_dual_lshlrev_b32 v1, 24, v1 :: v_dual_bitop2_b32 v0, 7, v0 bitop3:0x40
	v_dual_cndmask_b32 v0, v4, v0 :: v_dual_cndmask_b32 v5, v7, v5
	s_delay_alu instid0(VALU_DEP_2) | instskip(NEXT) | instid1(VALU_DEP_2)
	v_and_b32_e32 v1, 0x80000000, v1
	v_lshlrev_b32_e32 v0, 20, v0
	s_delay_alu instid0(VALU_DEP_3) | instskip(NEXT) | instid1(VALU_DEP_1)
	v_lshl_add_u32 v4, v5, 23, 0x3b800000
	v_or3_b32 v0, v1, v4, v0
	s_delay_alu instid0(VALU_DEP_1)
	v_cvt_i32_f32_e32 v0, v0
.LBB134_1051:
	s_or_b32 exec_lo, exec_lo, s34
.LBB134_1052:
	s_mov_b32 s34, -1
.LBB134_1053:
	s_mov_b32 s35, 0
.LBB134_1054:
	s_delay_alu instid0(SALU_CYCLE_1)
	s_and_b32 vcc_lo, exec_lo, s35
	s_cbranch_vccz .LBB134_1087
; %bb.1055:
	s_cmp_gt_i32 s33, 22
	s_cbranch_scc0 .LBB134_1063
; %bb.1056:
	s_cmp_lt_i32 s33, 24
	s_cbranch_scc1 .LBB134_1066
; %bb.1057:
	s_cmp_gt_i32 s33, 24
	s_cbranch_scc0 .LBB134_1067
; %bb.1058:
	s_wait_loadcnt 0x0
	global_load_u8 v1, v[2:3], off
	s_mov_b32 s35, 0
	s_mov_b32 s34, exec_lo
	s_wait_loadcnt 0x0
	v_cmpx_lt_i16_e32 0x7f, v1
	s_xor_b32 s34, exec_lo, s34
	s_cbranch_execz .LBB134_1079
; %bb.1059:
	v_cmp_ne_u16_e32 vcc_lo, 0x80, v1
	s_and_b32 s35, vcc_lo, exec_lo
	s_and_not1_saveexec_b32 s34, s34
	s_cbranch_execnz .LBB134_1080
.LBB134_1060:
	s_or_b32 exec_lo, exec_lo, s34
	v_mov_b32_e32 v0, 0
	s_and_saveexec_b32 s34, s35
	s_cbranch_execz .LBB134_1062
.LBB134_1061:
	v_and_b32_e32 v0, 0xffff, v1
	s_delay_alu instid0(VALU_DEP_1) | instskip(SKIP_1) | instid1(VALU_DEP_2)
	v_and_b32_e32 v4, 3, v0
	v_bfe_u32 v7, v0, 2, 5
	v_clz_i32_u32_e32 v5, v4
	s_delay_alu instid0(VALU_DEP_2) | instskip(NEXT) | instid1(VALU_DEP_2)
	v_cmp_eq_u32_e32 vcc_lo, 0, v7
	v_min_u32_e32 v5, 32, v5
	s_delay_alu instid0(VALU_DEP_1) | instskip(NEXT) | instid1(VALU_DEP_1)
	v_subrev_nc_u32_e32 v6, 29, v5
	v_dual_lshlrev_b32 v0, v6, v0 :: v_dual_sub_nc_u32 v5, 30, v5
	s_delay_alu instid0(VALU_DEP_1) | instskip(NEXT) | instid1(VALU_DEP_1)
	v_dual_lshlrev_b32 v1, 24, v1 :: v_dual_bitop2_b32 v0, 3, v0 bitop3:0x40
	v_dual_cndmask_b32 v0, v4, v0 :: v_dual_cndmask_b32 v5, v7, v5
	s_delay_alu instid0(VALU_DEP_2) | instskip(NEXT) | instid1(VALU_DEP_2)
	v_and_b32_e32 v1, 0x80000000, v1
	v_lshlrev_b32_e32 v0, 21, v0
	s_delay_alu instid0(VALU_DEP_3) | instskip(NEXT) | instid1(VALU_DEP_1)
	v_lshl_add_u32 v4, v5, 23, 0x37800000
	v_or3_b32 v0, v1, v4, v0
	s_delay_alu instid0(VALU_DEP_1)
	v_cvt_i32_f32_e32 v0, v0
.LBB134_1062:
	s_or_b32 exec_lo, exec_lo, s34
	s_mov_b32 s34, 0
	s_branch .LBB134_1068
.LBB134_1063:
	s_mov_b32 s35, -1
                                        ; implicit-def: $vgpr0
	s_branch .LBB134_1074
.LBB134_1064:
	s_and_not1_saveexec_b32 s34, s34
	s_cbranch_execz .LBB134_1049
.LBB134_1065:
	v_cmp_ne_u16_e32 vcc_lo, 0, v1
	s_and_not1_b32 s35, s35, exec_lo
	s_and_b32 s36, vcc_lo, exec_lo
	s_delay_alu instid0(SALU_CYCLE_1)
	s_or_b32 s35, s35, s36
	s_or_b32 exec_lo, exec_lo, s34
	v_mov_b32_e32 v0, 0
	s_and_saveexec_b32 s34, s35
	s_cbranch_execnz .LBB134_1050
	s_branch .LBB134_1051
.LBB134_1066:
	s_mov_b32 s34, -1
                                        ; implicit-def: $vgpr0
	s_branch .LBB134_1071
.LBB134_1067:
	s_mov_b32 s34, -1
                                        ; implicit-def: $vgpr0
.LBB134_1068:
	s_delay_alu instid0(SALU_CYCLE_1)
	s_and_b32 vcc_lo, exec_lo, s34
	s_cbranch_vccz .LBB134_1070
; %bb.1069:
	s_wait_loadcnt 0x0
	global_load_u8 v0, v[2:3], off
	s_wait_loadcnt 0x0
	v_lshlrev_b32_e32 v0, 24, v0
	s_delay_alu instid0(VALU_DEP_1) | instskip(NEXT) | instid1(VALU_DEP_1)
	v_and_b32_e32 v1, 0x7f000000, v0
	v_clz_i32_u32_e32 v4, v1
	v_cmp_ne_u32_e32 vcc_lo, 0, v1
	v_add_nc_u32_e32 v6, 0x1000000, v1
	s_delay_alu instid0(VALU_DEP_3) | instskip(NEXT) | instid1(VALU_DEP_1)
	v_min_u32_e32 v4, 32, v4
	v_sub_nc_u32_e64 v4, v4, 4 clamp
	s_delay_alu instid0(VALU_DEP_1) | instskip(NEXT) | instid1(VALU_DEP_1)
	v_dual_lshlrev_b32 v5, v4, v1 :: v_dual_lshlrev_b32 v4, 23, v4
	v_lshrrev_b32_e32 v5, 4, v5
	s_delay_alu instid0(VALU_DEP_1) | instskip(NEXT) | instid1(VALU_DEP_1)
	v_dual_sub_nc_u32 v4, v5, v4 :: v_dual_ashrrev_i32 v5, 8, v6
	v_add_nc_u32_e32 v4, 0x3c000000, v4
	s_delay_alu instid0(VALU_DEP_1) | instskip(NEXT) | instid1(VALU_DEP_1)
	v_and_or_b32 v4, 0x7f800000, v5, v4
	v_cndmask_b32_e32 v1, 0, v4, vcc_lo
	s_delay_alu instid0(VALU_DEP_1) | instskip(NEXT) | instid1(VALU_DEP_1)
	v_and_or_b32 v0, 0x80000000, v0, v1
	v_cvt_i32_f32_e32 v0, v0
.LBB134_1070:
	s_mov_b32 s34, 0
.LBB134_1071:
	s_delay_alu instid0(SALU_CYCLE_1)
	s_and_not1_b32 vcc_lo, exec_lo, s34
	s_cbranch_vccnz .LBB134_1073
; %bb.1072:
	s_wait_loadcnt 0x0
	global_load_u8 v0, v[2:3], off
	s_wait_loadcnt 0x0
	v_lshlrev_b32_e32 v1, 25, v0
	v_lshlrev_b16 v0, 8, v0
	s_delay_alu instid0(VALU_DEP_1) | instskip(SKIP_1) | instid1(VALU_DEP_2)
	v_and_or_b32 v5, 0x7f00, v0, 0.5
	v_bfe_i32 v0, v0, 0, 16
	v_add_f32_e32 v5, -0.5, v5
	v_lshrrev_b32_e32 v4, 4, v1
	v_cmp_gt_u32_e32 vcc_lo, 0x8000000, v1
	s_delay_alu instid0(VALU_DEP_2) | instskip(NEXT) | instid1(VALU_DEP_1)
	v_or_b32_e32 v4, 0x70000000, v4
	v_mul_f32_e32 v4, 0x7800000, v4
	s_delay_alu instid0(VALU_DEP_1) | instskip(NEXT) | instid1(VALU_DEP_1)
	v_cndmask_b32_e32 v1, v4, v5, vcc_lo
	v_and_or_b32 v0, 0x80000000, v0, v1
	s_delay_alu instid0(VALU_DEP_1)
	v_cvt_i32_f32_e32 v0, v0
.LBB134_1073:
	s_mov_b32 s35, 0
	s_mov_b32 s34, -1
.LBB134_1074:
	s_and_not1_b32 vcc_lo, exec_lo, s35
	s_cbranch_vccnz .LBB134_1087
; %bb.1075:
	s_cmp_gt_i32 s33, 14
	s_cbranch_scc0 .LBB134_1078
; %bb.1076:
	s_cmp_eq_u32 s33, 15
	s_cbranch_scc0 .LBB134_1081
; %bb.1077:
	s_wait_loadcnt 0x0
	global_load_u16 v0, v[2:3], off
	s_mov_b32 s34, -1
	s_mov_b32 s31, 0
	s_wait_loadcnt 0x0
	v_lshlrev_b32_e32 v0, 16, v0
	s_delay_alu instid0(VALU_DEP_1)
	v_cvt_i32_f32_e32 v0, v0
	s_branch .LBB134_1082
.LBB134_1078:
	s_mov_b32 s35, -1
                                        ; implicit-def: $vgpr0
	s_branch .LBB134_1083
.LBB134_1079:
	s_and_not1_saveexec_b32 s34, s34
	s_cbranch_execz .LBB134_1060
.LBB134_1080:
	v_cmp_ne_u16_e32 vcc_lo, 0, v1
	s_and_not1_b32 s35, s35, exec_lo
	s_and_b32 s36, vcc_lo, exec_lo
	s_delay_alu instid0(SALU_CYCLE_1)
	s_or_b32 s35, s35, s36
	s_or_b32 exec_lo, exec_lo, s34
	v_mov_b32_e32 v0, 0
	s_and_saveexec_b32 s34, s35
	s_cbranch_execnz .LBB134_1061
	s_branch .LBB134_1062
.LBB134_1081:
	s_mov_b32 s31, -1
                                        ; implicit-def: $vgpr0
.LBB134_1082:
	s_mov_b32 s35, 0
.LBB134_1083:
	s_delay_alu instid0(SALU_CYCLE_1)
	s_and_b32 vcc_lo, exec_lo, s35
	s_cbranch_vccz .LBB134_1087
; %bb.1084:
	s_cmp_eq_u32 s33, 11
	s_cbranch_scc0 .LBB134_1086
; %bb.1085:
	s_wait_loadcnt 0x0
	global_load_u8 v0, v[2:3], off
	s_mov_b32 s31, 0
	s_mov_b32 s34, -1
	s_wait_loadcnt 0x0
	v_cmp_ne_u16_e32 vcc_lo, 0, v0
	v_cndmask_b32_e64 v0, 0, 1, vcc_lo
	s_branch .LBB134_1087
.LBB134_1086:
	s_mov_b32 s31, -1
                                        ; implicit-def: $vgpr0
.LBB134_1087:
	s_mov_b32 s33, 0
.LBB134_1088:
	s_delay_alu instid0(SALU_CYCLE_1)
	s_and_b32 vcc_lo, exec_lo, s33
	s_cbranch_vccz .LBB134_1137
; %bb.1089:
	s_and_b32 s0, 0xffff, s0
	s_delay_alu instid0(SALU_CYCLE_1)
	s_cmp_lt_i32 s0, 5
	s_cbranch_scc1 .LBB134_1094
; %bb.1090:
	s_cmp_lt_i32 s0, 8
	s_cbranch_scc1 .LBB134_1095
; %bb.1091:
	;; [unrolled: 3-line block ×3, first 2 shown]
	s_cmp_gt_i32 s0, 9
	s_cbranch_scc0 .LBB134_1097
; %bb.1093:
	s_wait_loadcnt 0x0
	global_load_b64 v[0:1], v[2:3], off
	s_mov_b32 s33, 0
	s_wait_loadcnt 0x0
	v_cvt_i32_f64_e32 v0, v[0:1]
	s_branch .LBB134_1098
.LBB134_1094:
	s_mov_b32 s33, -1
                                        ; implicit-def: $vgpr0
	s_branch .LBB134_1116
.LBB134_1095:
	s_mov_b32 s33, -1
                                        ; implicit-def: $vgpr0
	s_branch .LBB134_1104
.LBB134_1096:
	s_mov_b32 s33, -1
                                        ; implicit-def: $vgpr0
	s_branch .LBB134_1101
.LBB134_1097:
	s_mov_b32 s33, -1
                                        ; implicit-def: $vgpr0
.LBB134_1098:
	s_delay_alu instid0(SALU_CYCLE_1)
	s_and_not1_b32 vcc_lo, exec_lo, s33
	s_cbranch_vccnz .LBB134_1100
; %bb.1099:
	s_wait_loadcnt 0x0
	global_load_b32 v0, v[2:3], off
	s_wait_loadcnt 0x0
	v_cvt_i32_f32_e32 v0, v0
.LBB134_1100:
	s_mov_b32 s33, 0
.LBB134_1101:
	s_delay_alu instid0(SALU_CYCLE_1)
	s_and_not1_b32 vcc_lo, exec_lo, s33
	s_cbranch_vccnz .LBB134_1103
; %bb.1102:
	s_wait_loadcnt 0x0
	global_load_b32 v0, v[2:3], off
	s_wait_loadcnt 0x0
	v_cvt_i16_f16_e32 v0, v0
.LBB134_1103:
	s_mov_b32 s33, 0
.LBB134_1104:
	s_delay_alu instid0(SALU_CYCLE_1)
	s_and_not1_b32 vcc_lo, exec_lo, s33
	s_cbranch_vccnz .LBB134_1115
; %bb.1105:
	s_cmp_lt_i32 s0, 6
	s_cbranch_scc1 .LBB134_1108
; %bb.1106:
	s_cmp_gt_i32 s0, 6
	s_cbranch_scc0 .LBB134_1109
; %bb.1107:
	s_wait_loadcnt 0x0
	global_load_b64 v[0:1], v[2:3], off
	s_mov_b32 s33, 0
	s_wait_loadcnt 0x0
	v_cvt_i32_f64_e32 v0, v[0:1]
	s_branch .LBB134_1110
.LBB134_1108:
	s_mov_b32 s33, -1
                                        ; implicit-def: $vgpr0
	s_branch .LBB134_1113
.LBB134_1109:
	s_mov_b32 s33, -1
                                        ; implicit-def: $vgpr0
.LBB134_1110:
	s_delay_alu instid0(SALU_CYCLE_1)
	s_and_not1_b32 vcc_lo, exec_lo, s33
	s_cbranch_vccnz .LBB134_1112
; %bb.1111:
	s_wait_loadcnt 0x0
	global_load_b32 v0, v[2:3], off
	s_wait_loadcnt 0x0
	v_cvt_i32_f32_e32 v0, v0
.LBB134_1112:
	s_mov_b32 s33, 0
.LBB134_1113:
	s_delay_alu instid0(SALU_CYCLE_1)
	s_and_not1_b32 vcc_lo, exec_lo, s33
	s_cbranch_vccnz .LBB134_1115
; %bb.1114:
	s_wait_loadcnt 0x0
	global_load_u16 v0, v[2:3], off
	s_wait_loadcnt 0x0
	v_cvt_i16_f16_e32 v0, v0
.LBB134_1115:
	s_mov_b32 s33, 0
.LBB134_1116:
	s_delay_alu instid0(SALU_CYCLE_1)
	s_and_not1_b32 vcc_lo, exec_lo, s33
	s_cbranch_vccnz .LBB134_1136
; %bb.1117:
	s_cmp_lt_i32 s0, 2
	s_cbranch_scc1 .LBB134_1121
; %bb.1118:
	s_cmp_lt_i32 s0, 3
	s_cbranch_scc1 .LBB134_1122
; %bb.1119:
	s_cmp_gt_i32 s0, 3
	s_cbranch_scc0 .LBB134_1123
; %bb.1120:
	s_wait_loadcnt 0x0
	global_load_b64 v[0:1], v[2:3], off
	s_mov_b32 s33, 0
	s_branch .LBB134_1124
.LBB134_1121:
	s_mov_b32 s33, -1
                                        ; implicit-def: $vgpr0
	s_branch .LBB134_1130
.LBB134_1122:
	s_mov_b32 s33, -1
                                        ; implicit-def: $vgpr0
	s_branch .LBB134_1127
.LBB134_1123:
	s_mov_b32 s33, -1
                                        ; implicit-def: $vgpr0
.LBB134_1124:
	s_delay_alu instid0(SALU_CYCLE_1)
	s_and_not1_b32 vcc_lo, exec_lo, s33
	s_cbranch_vccnz .LBB134_1126
; %bb.1125:
	s_wait_loadcnt 0x0
	global_load_b32 v0, v[2:3], off
.LBB134_1126:
	s_mov_b32 s33, 0
.LBB134_1127:
	s_delay_alu instid0(SALU_CYCLE_1)
	s_and_not1_b32 vcc_lo, exec_lo, s33
	s_cbranch_vccnz .LBB134_1129
; %bb.1128:
	s_wait_loadcnt 0x0
	global_load_u16 v0, v[2:3], off
.LBB134_1129:
	s_mov_b32 s33, 0
.LBB134_1130:
	s_delay_alu instid0(SALU_CYCLE_1)
	s_and_not1_b32 vcc_lo, exec_lo, s33
	s_cbranch_vccnz .LBB134_1136
; %bb.1131:
	s_cmp_gt_i32 s0, 0
	s_mov_b32 s0, 0
	s_cbranch_scc0 .LBB134_1133
; %bb.1132:
	s_wait_loadcnt 0x0
	global_load_i8 v0, v[2:3], off
	s_branch .LBB134_1134
.LBB134_1133:
	s_mov_b32 s0, -1
                                        ; implicit-def: $vgpr0
.LBB134_1134:
	s_delay_alu instid0(SALU_CYCLE_1)
	s_and_not1_b32 vcc_lo, exec_lo, s0
	s_cbranch_vccnz .LBB134_1136
; %bb.1135:
	s_wait_loadcnt 0x0
	global_load_u8 v0, v[2:3], off
.LBB134_1136:
	s_mov_b32 s34, -1
.LBB134_1137:
	s_delay_alu instid0(SALU_CYCLE_1)
	s_and_not1_b32 vcc_lo, exec_lo, s34
	s_cbranch_vccnz .LBB134_1145
; %bb.1138:
	s_wait_xcnt 0x0
	v_mul_lo_u32 v2, v26, s14
	s_and_b32 s0, s3, 0xff
	s_delay_alu instid0(SALU_CYCLE_1) | instskip(NEXT) | instid1(VALU_DEP_1)
	s_cmp_lt_i32 s0, 11
	v_ashrrev_i32_e32 v3, 31, v2
	s_delay_alu instid0(VALU_DEP_1)
	v_add_nc_u64_e32 v[4:5], s[8:9], v[2:3]
	s_cbranch_scc1 .LBB134_1146
; %bb.1139:
	s_and_b32 s34, 0xffff, s0
	s_delay_alu instid0(SALU_CYCLE_1)
	s_cmp_gt_i32 s34, 25
	s_cbranch_scc0 .LBB134_1147
; %bb.1140:
	s_cmp_gt_i32 s34, 28
	s_cbranch_scc0 .LBB134_1148
; %bb.1141:
	;; [unrolled: 3-line block ×4, first 2 shown]
	s_cmp_eq_u32 s34, 46
	s_mov_b32 s36, 0
	s_cbranch_scc0 .LBB134_1153
; %bb.1144:
	s_wait_loadcnt 0x0
	global_load_b32 v1, v[4:5], off
	s_mov_b32 s35, -1
	s_mov_b32 s33, 0
	s_wait_loadcnt 0x0
	v_lshlrev_b32_e32 v1, 16, v1
	s_delay_alu instid0(VALU_DEP_1)
	v_cvt_i32_f32_e32 v2, v1
	s_branch .LBB134_1155
.LBB134_1145:
	s_mov_b32 s36, 0
	s_mov_b32 s0, s26
	;; [unrolled: 1-line block ×4, first 2 shown]
	s_branch .LBB134_1518
.LBB134_1146:
	s_mov_b32 s34, -1
	s_mov_b32 s35, 0
	s_mov_b32 s33, s28
                                        ; implicit-def: $vgpr2
	s_branch .LBB134_1216
.LBB134_1147:
	s_mov_b32 s36, -1
	s_mov_b32 s35, 0
	s_mov_b32 s33, s28
                                        ; implicit-def: $vgpr2
	s_branch .LBB134_1182
.LBB134_1148:
	s_mov_b32 s36, -1
	s_mov_b32 s35, 0
	s_mov_b32 s33, s28
                                        ; implicit-def: $vgpr2
	s_branch .LBB134_1165
.LBB134_1149:
	s_mov_b32 s36, -1
	s_mov_b32 s35, 0
	s_mov_b32 s33, s28
                                        ; implicit-def: $vgpr2
	s_branch .LBB134_1160
.LBB134_1150:
	s_mov_b32 s36, -1
	s_mov_b32 s35, 0
	s_mov_b32 s33, s28
	s_branch .LBB134_1154
.LBB134_1151:
	s_and_not1_saveexec_b32 s34, s34
	s_cbranch_execz .LBB134_919
.LBB134_1152:
	v_add_f32_e64 v3, 0x46000000, |v2|
	s_and_not1_b32 s33, s33, exec_lo
	s_delay_alu instid0(VALU_DEP_1) | instskip(NEXT) | instid1(VALU_DEP_1)
	v_and_b32_e32 v3, 0xff, v3
	v_cmp_ne_u32_e32 vcc_lo, 0, v3
	s_and_b32 s35, vcc_lo, exec_lo
	s_delay_alu instid0(SALU_CYCLE_1)
	s_or_b32 s33, s33, s35
	s_or_b32 exec_lo, exec_lo, s34
	v_mov_b32_e32 v5, 0
	s_and_saveexec_b32 s34, s33
	s_cbranch_execnz .LBB134_920
	s_branch .LBB134_921
.LBB134_1153:
	s_mov_b32 s33, -1
	s_mov_b32 s35, 0
.LBB134_1154:
                                        ; implicit-def: $vgpr2
.LBB134_1155:
	s_and_b32 vcc_lo, exec_lo, s36
	s_cbranch_vccz .LBB134_1159
; %bb.1156:
	s_cmp_eq_u32 s34, 44
	s_cbranch_scc0 .LBB134_1158
; %bb.1157:
	s_wait_loadcnt 0x0
	global_load_u8 v1, v[4:5], off
	s_mov_b32 s33, 0
	s_mov_b32 s35, -1
	s_wait_loadcnt 0x0
	v_lshlrev_b32_e32 v2, 23, v1
	v_cmp_ne_u32_e32 vcc_lo, 0, v1
	s_delay_alu instid0(VALU_DEP_2) | instskip(NEXT) | instid1(VALU_DEP_1)
	v_cvt_i32_f32_e32 v2, v2
	v_cndmask_b32_e32 v2, 0, v2, vcc_lo
	s_branch .LBB134_1159
.LBB134_1158:
	s_mov_b32 s33, -1
                                        ; implicit-def: $vgpr2
.LBB134_1159:
	s_mov_b32 s36, 0
.LBB134_1160:
	s_delay_alu instid0(SALU_CYCLE_1)
	s_and_b32 vcc_lo, exec_lo, s36
	s_cbranch_vccz .LBB134_1164
; %bb.1161:
	s_cmp_eq_u32 s34, 29
	s_cbranch_scc0 .LBB134_1163
; %bb.1162:
	global_load_b64 v[2:3], v[4:5], off
	s_mov_b32 s35, -1
	s_mov_b32 s33, 0
	s_branch .LBB134_1164
.LBB134_1163:
	s_mov_b32 s33, -1
                                        ; implicit-def: $vgpr2
.LBB134_1164:
	s_mov_b32 s36, 0
.LBB134_1165:
	s_delay_alu instid0(SALU_CYCLE_1)
	s_and_b32 vcc_lo, exec_lo, s36
	s_cbranch_vccz .LBB134_1181
; %bb.1166:
	s_cmp_lt_i32 s34, 27
	s_cbranch_scc1 .LBB134_1169
; %bb.1167:
	s_cmp_gt_i32 s34, 27
	s_cbranch_scc0 .LBB134_1170
; %bb.1168:
	s_wait_loadcnt 0x0
	global_load_b32 v2, v[4:5], off
	s_mov_b32 s35, 0
	s_branch .LBB134_1171
.LBB134_1169:
	s_mov_b32 s35, -1
                                        ; implicit-def: $vgpr2
	s_branch .LBB134_1174
.LBB134_1170:
	s_mov_b32 s35, -1
                                        ; implicit-def: $vgpr2
.LBB134_1171:
	s_delay_alu instid0(SALU_CYCLE_1)
	s_and_not1_b32 vcc_lo, exec_lo, s35
	s_cbranch_vccnz .LBB134_1173
; %bb.1172:
	s_wait_loadcnt 0x0
	global_load_u16 v2, v[4:5], off
.LBB134_1173:
	s_mov_b32 s35, 0
.LBB134_1174:
	s_delay_alu instid0(SALU_CYCLE_1)
	s_and_not1_b32 vcc_lo, exec_lo, s35
	s_cbranch_vccnz .LBB134_1180
; %bb.1175:
	s_wait_loadcnt 0x0
	global_load_u8 v1, v[4:5], off
	s_mov_b32 s36, 0
	s_mov_b32 s35, exec_lo
	s_wait_loadcnt 0x0
	v_cmpx_lt_i16_e32 0x7f, v1
	s_xor_b32 s35, exec_lo, s35
	s_cbranch_execz .LBB134_1192
; %bb.1176:
	v_cmp_ne_u16_e32 vcc_lo, 0x80, v1
	s_and_b32 s36, vcc_lo, exec_lo
	s_and_not1_saveexec_b32 s35, s35
	s_cbranch_execnz .LBB134_1193
.LBB134_1177:
	s_or_b32 exec_lo, exec_lo, s35
	v_mov_b32_e32 v2, 0
	s_and_saveexec_b32 s35, s36
	s_cbranch_execz .LBB134_1179
.LBB134_1178:
	v_and_b32_e32 v2, 0xffff, v1
	s_delay_alu instid0(VALU_DEP_1) | instskip(SKIP_1) | instid1(VALU_DEP_2)
	v_dual_lshlrev_b32 v1, 24, v1 :: v_dual_bitop2_b32 v3, 7, v2 bitop3:0x40
	v_bfe_u32 v8, v2, 3, 4
	v_and_b32_e32 v1, 0x80000000, v1
	s_delay_alu instid0(VALU_DEP_3) | instskip(NEXT) | instid1(VALU_DEP_3)
	v_clz_i32_u32_e32 v6, v3
	v_cmp_eq_u32_e32 vcc_lo, 0, v8
	s_delay_alu instid0(VALU_DEP_2) | instskip(NEXT) | instid1(VALU_DEP_1)
	v_min_u32_e32 v6, 32, v6
	v_subrev_nc_u32_e32 v7, 28, v6
	v_sub_nc_u32_e32 v6, 29, v6
	s_delay_alu instid0(VALU_DEP_2) | instskip(NEXT) | instid1(VALU_DEP_2)
	v_lshlrev_b32_e32 v2, v7, v2
	v_cndmask_b32_e32 v6, v8, v6, vcc_lo
	s_delay_alu instid0(VALU_DEP_2) | instskip(NEXT) | instid1(VALU_DEP_1)
	v_and_b32_e32 v2, 7, v2
	v_cndmask_b32_e32 v2, v3, v2, vcc_lo
	s_delay_alu instid0(VALU_DEP_3) | instskip(NEXT) | instid1(VALU_DEP_2)
	v_lshl_add_u32 v3, v6, 23, 0x3b800000
	v_lshlrev_b32_e32 v2, 20, v2
	s_delay_alu instid0(VALU_DEP_1) | instskip(NEXT) | instid1(VALU_DEP_1)
	v_or3_b32 v1, v1, v3, v2
	v_cvt_i32_f32_e32 v2, v1
.LBB134_1179:
	s_or_b32 exec_lo, exec_lo, s35
.LBB134_1180:
	s_mov_b32 s35, -1
.LBB134_1181:
	s_mov_b32 s36, 0
.LBB134_1182:
	s_delay_alu instid0(SALU_CYCLE_1)
	s_and_b32 vcc_lo, exec_lo, s36
	s_cbranch_vccz .LBB134_1215
; %bb.1183:
	s_cmp_gt_i32 s34, 22
	s_cbranch_scc0 .LBB134_1191
; %bb.1184:
	s_cmp_lt_i32 s34, 24
	s_cbranch_scc1 .LBB134_1194
; %bb.1185:
	s_cmp_gt_i32 s34, 24
	s_cbranch_scc0 .LBB134_1195
; %bb.1186:
	s_wait_loadcnt 0x0
	global_load_u8 v1, v[4:5], off
	s_mov_b32 s36, 0
	s_mov_b32 s35, exec_lo
	s_wait_loadcnt 0x0
	v_cmpx_lt_i16_e32 0x7f, v1
	s_xor_b32 s35, exec_lo, s35
	s_cbranch_execz .LBB134_1207
; %bb.1187:
	v_cmp_ne_u16_e32 vcc_lo, 0x80, v1
	s_and_b32 s36, vcc_lo, exec_lo
	s_and_not1_saveexec_b32 s35, s35
	s_cbranch_execnz .LBB134_1208
.LBB134_1188:
	s_or_b32 exec_lo, exec_lo, s35
	v_mov_b32_e32 v2, 0
	s_and_saveexec_b32 s35, s36
	s_cbranch_execz .LBB134_1190
.LBB134_1189:
	v_and_b32_e32 v2, 0xffff, v1
	s_delay_alu instid0(VALU_DEP_1) | instskip(SKIP_1) | instid1(VALU_DEP_2)
	v_dual_lshlrev_b32 v1, 24, v1 :: v_dual_bitop2_b32 v3, 3, v2 bitop3:0x40
	v_bfe_u32 v8, v2, 2, 5
	v_and_b32_e32 v1, 0x80000000, v1
	s_delay_alu instid0(VALU_DEP_3) | instskip(NEXT) | instid1(VALU_DEP_3)
	v_clz_i32_u32_e32 v6, v3
	v_cmp_eq_u32_e32 vcc_lo, 0, v8
	s_delay_alu instid0(VALU_DEP_2) | instskip(NEXT) | instid1(VALU_DEP_1)
	v_min_u32_e32 v6, 32, v6
	v_subrev_nc_u32_e32 v7, 29, v6
	v_sub_nc_u32_e32 v6, 30, v6
	s_delay_alu instid0(VALU_DEP_2) | instskip(NEXT) | instid1(VALU_DEP_2)
	v_lshlrev_b32_e32 v2, v7, v2
	v_cndmask_b32_e32 v6, v8, v6, vcc_lo
	s_delay_alu instid0(VALU_DEP_2) | instskip(NEXT) | instid1(VALU_DEP_1)
	v_and_b32_e32 v2, 3, v2
	v_cndmask_b32_e32 v2, v3, v2, vcc_lo
	s_delay_alu instid0(VALU_DEP_3) | instskip(NEXT) | instid1(VALU_DEP_2)
	v_lshl_add_u32 v3, v6, 23, 0x37800000
	v_lshlrev_b32_e32 v2, 21, v2
	s_delay_alu instid0(VALU_DEP_1) | instskip(NEXT) | instid1(VALU_DEP_1)
	v_or3_b32 v1, v1, v3, v2
	v_cvt_i32_f32_e32 v2, v1
.LBB134_1190:
	s_or_b32 exec_lo, exec_lo, s35
	s_mov_b32 s35, 0
	s_branch .LBB134_1196
.LBB134_1191:
	s_mov_b32 s36, -1
                                        ; implicit-def: $vgpr2
	s_branch .LBB134_1202
.LBB134_1192:
	s_and_not1_saveexec_b32 s35, s35
	s_cbranch_execz .LBB134_1177
.LBB134_1193:
	v_cmp_ne_u16_e32 vcc_lo, 0, v1
	s_and_not1_b32 s36, s36, exec_lo
	s_and_b32 s37, vcc_lo, exec_lo
	s_delay_alu instid0(SALU_CYCLE_1)
	s_or_b32 s36, s36, s37
	s_or_b32 exec_lo, exec_lo, s35
	v_mov_b32_e32 v2, 0
	s_and_saveexec_b32 s35, s36
	s_cbranch_execnz .LBB134_1178
	s_branch .LBB134_1179
.LBB134_1194:
	s_mov_b32 s35, -1
                                        ; implicit-def: $vgpr2
	s_branch .LBB134_1199
.LBB134_1195:
	s_mov_b32 s35, -1
                                        ; implicit-def: $vgpr2
.LBB134_1196:
	s_delay_alu instid0(SALU_CYCLE_1)
	s_and_b32 vcc_lo, exec_lo, s35
	s_cbranch_vccz .LBB134_1198
; %bb.1197:
	s_wait_loadcnt 0x0
	global_load_u8 v1, v[4:5], off
	s_wait_loadcnt 0x0
	v_lshlrev_b32_e32 v1, 24, v1
	s_delay_alu instid0(VALU_DEP_1) | instskip(NEXT) | instid1(VALU_DEP_1)
	v_and_b32_e32 v2, 0x7f000000, v1
	v_clz_i32_u32_e32 v3, v2
	v_cmp_ne_u32_e32 vcc_lo, 0, v2
	v_add_nc_u32_e32 v7, 0x1000000, v2
	s_delay_alu instid0(VALU_DEP_3) | instskip(NEXT) | instid1(VALU_DEP_1)
	v_min_u32_e32 v3, 32, v3
	v_sub_nc_u32_e64 v3, v3, 4 clamp
	s_delay_alu instid0(VALU_DEP_1) | instskip(NEXT) | instid1(VALU_DEP_1)
	v_dual_lshlrev_b32 v6, v3, v2 :: v_dual_lshlrev_b32 v3, 23, v3
	v_lshrrev_b32_e32 v6, 4, v6
	s_delay_alu instid0(VALU_DEP_1) | instskip(SKIP_1) | instid1(VALU_DEP_2)
	v_sub_nc_u32_e32 v3, v6, v3
	v_ashrrev_i32_e32 v6, 8, v7
	v_add_nc_u32_e32 v3, 0x3c000000, v3
	s_delay_alu instid0(VALU_DEP_1) | instskip(NEXT) | instid1(VALU_DEP_1)
	v_and_or_b32 v3, 0x7f800000, v6, v3
	v_cndmask_b32_e32 v2, 0, v3, vcc_lo
	s_delay_alu instid0(VALU_DEP_1) | instskip(NEXT) | instid1(VALU_DEP_1)
	v_and_or_b32 v1, 0x80000000, v1, v2
	v_cvt_i32_f32_e32 v2, v1
.LBB134_1198:
	s_mov_b32 s35, 0
.LBB134_1199:
	s_delay_alu instid0(SALU_CYCLE_1)
	s_and_not1_b32 vcc_lo, exec_lo, s35
	s_cbranch_vccnz .LBB134_1201
; %bb.1200:
	s_wait_loadcnt 0x0
	global_load_u8 v1, v[4:5], off
	s_wait_loadcnt 0x0
	v_lshlrev_b32_e32 v2, 25, v1
	v_lshlrev_b16 v1, 8, v1
	s_delay_alu instid0(VALU_DEP_1) | instskip(SKIP_1) | instid1(VALU_DEP_2)
	v_and_or_b32 v6, 0x7f00, v1, 0.5
	v_bfe_i32 v1, v1, 0, 16
	v_add_f32_e32 v6, -0.5, v6
	v_lshrrev_b32_e32 v3, 4, v2
	v_cmp_gt_u32_e32 vcc_lo, 0x8000000, v2
	s_delay_alu instid0(VALU_DEP_2) | instskip(NEXT) | instid1(VALU_DEP_1)
	v_or_b32_e32 v3, 0x70000000, v3
	v_mul_f32_e32 v3, 0x7800000, v3
	s_delay_alu instid0(VALU_DEP_1) | instskip(NEXT) | instid1(VALU_DEP_1)
	v_cndmask_b32_e32 v2, v3, v6, vcc_lo
	v_and_or_b32 v1, 0x80000000, v1, v2
	s_delay_alu instid0(VALU_DEP_1)
	v_cvt_i32_f32_e32 v2, v1
.LBB134_1201:
	s_mov_b32 s36, 0
	s_mov_b32 s35, -1
.LBB134_1202:
	s_and_not1_b32 vcc_lo, exec_lo, s36
	s_cbranch_vccnz .LBB134_1215
; %bb.1203:
	s_cmp_gt_i32 s34, 14
	s_cbranch_scc0 .LBB134_1206
; %bb.1204:
	s_cmp_eq_u32 s34, 15
	s_cbranch_scc0 .LBB134_1209
; %bb.1205:
	s_wait_loadcnt 0x0
	global_load_u16 v1, v[4:5], off
	s_mov_b32 s35, -1
	s_mov_b32 s33, 0
	s_wait_loadcnt 0x0
	v_lshlrev_b32_e32 v1, 16, v1
	s_delay_alu instid0(VALU_DEP_1)
	v_cvt_i32_f32_e32 v2, v1
	s_branch .LBB134_1210
.LBB134_1206:
	s_mov_b32 s36, -1
                                        ; implicit-def: $vgpr2
	s_branch .LBB134_1211
.LBB134_1207:
	s_and_not1_saveexec_b32 s35, s35
	s_cbranch_execz .LBB134_1188
.LBB134_1208:
	v_cmp_ne_u16_e32 vcc_lo, 0, v1
	s_and_not1_b32 s36, s36, exec_lo
	s_and_b32 s37, vcc_lo, exec_lo
	s_delay_alu instid0(SALU_CYCLE_1)
	s_or_b32 s36, s36, s37
	s_or_b32 exec_lo, exec_lo, s35
	v_mov_b32_e32 v2, 0
	s_and_saveexec_b32 s35, s36
	s_cbranch_execnz .LBB134_1189
	s_branch .LBB134_1190
.LBB134_1209:
	s_mov_b32 s33, -1
                                        ; implicit-def: $vgpr2
.LBB134_1210:
	s_mov_b32 s36, 0
.LBB134_1211:
	s_delay_alu instid0(SALU_CYCLE_1)
	s_and_b32 vcc_lo, exec_lo, s36
	s_cbranch_vccz .LBB134_1215
; %bb.1212:
	s_cmp_eq_u32 s34, 11
	s_cbranch_scc0 .LBB134_1214
; %bb.1213:
	s_wait_loadcnt 0x0
	global_load_u8 v1, v[4:5], off
	s_mov_b32 s33, 0
	s_mov_b32 s35, -1
	s_wait_loadcnt 0x0
	v_cmp_ne_u16_e32 vcc_lo, 0, v1
	v_cndmask_b32_e64 v2, 0, 1, vcc_lo
	s_branch .LBB134_1215
.LBB134_1214:
	s_mov_b32 s33, -1
                                        ; implicit-def: $vgpr2
.LBB134_1215:
	s_mov_b32 s34, 0
.LBB134_1216:
	s_delay_alu instid0(SALU_CYCLE_1)
	s_and_b32 vcc_lo, exec_lo, s34
	s_cbranch_vccz .LBB134_1265
; %bb.1217:
	s_and_b32 s0, 0xffff, s0
	s_delay_alu instid0(SALU_CYCLE_1)
	s_cmp_lt_i32 s0, 5
	s_cbranch_scc1 .LBB134_1222
; %bb.1218:
	s_cmp_lt_i32 s0, 8
	s_cbranch_scc1 .LBB134_1223
; %bb.1219:
	;; [unrolled: 3-line block ×3, first 2 shown]
	s_cmp_gt_i32 s0, 9
	s_cbranch_scc0 .LBB134_1225
; %bb.1221:
	s_wait_loadcnt 0x0
	global_load_b64 v[2:3], v[4:5], off
	s_mov_b32 s34, 0
	s_wait_loadcnt 0x0
	v_cvt_i32_f64_e32 v2, v[2:3]
	s_branch .LBB134_1226
.LBB134_1222:
	s_mov_b32 s34, -1
                                        ; implicit-def: $vgpr2
	s_branch .LBB134_1244
.LBB134_1223:
	s_mov_b32 s34, -1
                                        ; implicit-def: $vgpr2
	s_branch .LBB134_1232
.LBB134_1224:
	s_mov_b32 s34, -1
                                        ; implicit-def: $vgpr2
	s_branch .LBB134_1229
.LBB134_1225:
	s_mov_b32 s34, -1
                                        ; implicit-def: $vgpr2
.LBB134_1226:
	s_delay_alu instid0(SALU_CYCLE_1)
	s_and_not1_b32 vcc_lo, exec_lo, s34
	s_cbranch_vccnz .LBB134_1228
; %bb.1227:
	s_wait_loadcnt 0x0
	global_load_b32 v1, v[4:5], off
	s_wait_loadcnt 0x0
	v_cvt_i32_f32_e32 v2, v1
.LBB134_1228:
	s_mov_b32 s34, 0
.LBB134_1229:
	s_delay_alu instid0(SALU_CYCLE_1)
	s_and_not1_b32 vcc_lo, exec_lo, s34
	s_cbranch_vccnz .LBB134_1231
; %bb.1230:
	s_wait_loadcnt 0x0
	global_load_b32 v1, v[4:5], off
	s_wait_loadcnt 0x0
	v_cvt_i16_f16_e32 v2, v1
.LBB134_1231:
	s_mov_b32 s34, 0
.LBB134_1232:
	s_delay_alu instid0(SALU_CYCLE_1)
	s_and_not1_b32 vcc_lo, exec_lo, s34
	s_cbranch_vccnz .LBB134_1243
; %bb.1233:
	s_cmp_lt_i32 s0, 6
	s_cbranch_scc1 .LBB134_1236
; %bb.1234:
	s_cmp_gt_i32 s0, 6
	s_cbranch_scc0 .LBB134_1237
; %bb.1235:
	s_wait_loadcnt 0x0
	global_load_b64 v[2:3], v[4:5], off
	s_mov_b32 s34, 0
	s_wait_loadcnt 0x0
	v_cvt_i32_f64_e32 v2, v[2:3]
	s_branch .LBB134_1238
.LBB134_1236:
	s_mov_b32 s34, -1
                                        ; implicit-def: $vgpr2
	s_branch .LBB134_1241
.LBB134_1237:
	s_mov_b32 s34, -1
                                        ; implicit-def: $vgpr2
.LBB134_1238:
	s_delay_alu instid0(SALU_CYCLE_1)
	s_and_not1_b32 vcc_lo, exec_lo, s34
	s_cbranch_vccnz .LBB134_1240
; %bb.1239:
	s_wait_loadcnt 0x0
	global_load_b32 v1, v[4:5], off
	s_wait_loadcnt 0x0
	v_cvt_i32_f32_e32 v2, v1
.LBB134_1240:
	s_mov_b32 s34, 0
.LBB134_1241:
	s_delay_alu instid0(SALU_CYCLE_1)
	s_and_not1_b32 vcc_lo, exec_lo, s34
	s_cbranch_vccnz .LBB134_1243
; %bb.1242:
	s_wait_loadcnt 0x0
	global_load_u16 v1, v[4:5], off
	s_wait_loadcnt 0x0
	v_cvt_i16_f16_e32 v2, v1
.LBB134_1243:
	s_mov_b32 s34, 0
.LBB134_1244:
	s_delay_alu instid0(SALU_CYCLE_1)
	s_and_not1_b32 vcc_lo, exec_lo, s34
	s_cbranch_vccnz .LBB134_1264
; %bb.1245:
	s_cmp_lt_i32 s0, 2
	s_cbranch_scc1 .LBB134_1249
; %bb.1246:
	s_cmp_lt_i32 s0, 3
	s_cbranch_scc1 .LBB134_1250
; %bb.1247:
	s_cmp_gt_i32 s0, 3
	s_cbranch_scc0 .LBB134_1251
; %bb.1248:
	s_wait_loadcnt 0x0
	global_load_b64 v[2:3], v[4:5], off
	s_mov_b32 s34, 0
	s_branch .LBB134_1252
.LBB134_1249:
	s_mov_b32 s34, -1
                                        ; implicit-def: $vgpr2
	s_branch .LBB134_1258
.LBB134_1250:
	s_mov_b32 s34, -1
                                        ; implicit-def: $vgpr2
	s_branch .LBB134_1255
.LBB134_1251:
	s_mov_b32 s34, -1
                                        ; implicit-def: $vgpr2
.LBB134_1252:
	s_delay_alu instid0(SALU_CYCLE_1)
	s_and_not1_b32 vcc_lo, exec_lo, s34
	s_cbranch_vccnz .LBB134_1254
; %bb.1253:
	s_wait_loadcnt 0x0
	global_load_b32 v2, v[4:5], off
.LBB134_1254:
	s_mov_b32 s34, 0
.LBB134_1255:
	s_delay_alu instid0(SALU_CYCLE_1)
	s_and_not1_b32 vcc_lo, exec_lo, s34
	s_cbranch_vccnz .LBB134_1257
; %bb.1256:
	s_wait_loadcnt 0x0
	global_load_u16 v2, v[4:5], off
.LBB134_1257:
	s_mov_b32 s34, 0
.LBB134_1258:
	s_delay_alu instid0(SALU_CYCLE_1)
	s_and_not1_b32 vcc_lo, exec_lo, s34
	s_cbranch_vccnz .LBB134_1264
; %bb.1259:
	s_cmp_gt_i32 s0, 0
	s_mov_b32 s0, 0
	s_cbranch_scc0 .LBB134_1261
; %bb.1260:
	s_wait_loadcnt 0x0
	global_load_i8 v2, v[4:5], off
	s_branch .LBB134_1262
.LBB134_1261:
	s_mov_b32 s0, -1
                                        ; implicit-def: $vgpr2
.LBB134_1262:
	s_delay_alu instid0(SALU_CYCLE_1)
	s_and_not1_b32 vcc_lo, exec_lo, s0
	s_cbranch_vccnz .LBB134_1264
; %bb.1263:
	s_wait_loadcnt 0x0
	global_load_u8 v2, v[4:5], off
.LBB134_1264:
	s_mov_b32 s35, -1
.LBB134_1265:
	s_delay_alu instid0(SALU_CYCLE_1)
	s_and_not1_b32 vcc_lo, exec_lo, s35
	s_cbranch_vccnz .LBB134_1273
; %bb.1266:
	s_wait_xcnt 0x0
	v_mul_lo_u32 v4, v26, s15
	s_and_b32 s0, 0xffff, s1
	s_delay_alu instid0(SALU_CYCLE_1) | instskip(NEXT) | instid1(VALU_DEP_1)
	s_cmp_lt_i32 s0, 11
	v_ashrrev_i32_e32 v5, 31, v4
	s_delay_alu instid0(VALU_DEP_1)
	v_add_nc_u64_e32 v[4:5], s[10:11], v[4:5]
	s_cbranch_scc1 .LBB134_1274
; %bb.1267:
	s_cmp_gt_i32 s0, 25
	s_cbranch_scc0 .LBB134_1275
; %bb.1268:
	s_cmp_gt_i32 s0, 28
	s_cbranch_scc0 .LBB134_1276
	;; [unrolled: 3-line block ×4, first 2 shown]
; %bb.1271:
	s_cmp_eq_u32 s0, 46
	s_mov_b32 s36, 0
	s_cbranch_scc0 .LBB134_1281
; %bb.1272:
	s_wait_loadcnt 0x0
	global_load_b32 v1, v[4:5], off
	s_mov_b32 s35, -1
	s_mov_b32 s34, 0
	s_wait_loadcnt 0x0
	v_lshlrev_b32_e32 v1, 16, v1
	s_delay_alu instid0(VALU_DEP_1)
	v_cvt_i32_f32_e32 v6, v1
	s_branch .LBB134_1283
.LBB134_1273:
	s_mov_b32 s36, 0
	s_mov_b32 s0, s26
	;; [unrolled: 1-line block ×3, first 2 shown]
	s_branch .LBB134_1518
.LBB134_1274:
	s_mov_b32 s36, -1
	s_mov_b32 s35, 0
	s_mov_b32 s34, s27
                                        ; implicit-def: $vgpr6
	s_branch .LBB134_1344
.LBB134_1275:
	s_mov_b32 s36, -1
	s_mov_b32 s35, 0
	s_mov_b32 s34, s27
                                        ; implicit-def: $vgpr6
	s_branch .LBB134_1310
.LBB134_1276:
	s_mov_b32 s36, -1
	s_mov_b32 s35, 0
	s_mov_b32 s34, s27
                                        ; implicit-def: $vgpr6
	s_branch .LBB134_1293
.LBB134_1277:
	s_mov_b32 s36, -1
	s_mov_b32 s35, 0
	s_mov_b32 s34, s27
                                        ; implicit-def: $vgpr6
	s_branch .LBB134_1288
.LBB134_1278:
	s_mov_b32 s36, -1
	s_mov_b32 s35, 0
	s_mov_b32 s34, s27
	s_branch .LBB134_1282
.LBB134_1279:
	s_and_not1_saveexec_b32 s34, s34
	s_cbranch_execz .LBB134_932
.LBB134_1280:
	v_add_f32_e64 v3, 0x42800000, |v2|
	s_and_not1_b32 s33, s33, exec_lo
	s_delay_alu instid0(VALU_DEP_1) | instskip(NEXT) | instid1(VALU_DEP_1)
	v_and_b32_e32 v3, 0xff, v3
	v_cmp_ne_u32_e32 vcc_lo, 0, v3
	s_and_b32 s35, vcc_lo, exec_lo
	s_delay_alu instid0(SALU_CYCLE_1)
	s_or_b32 s33, s33, s35
	s_or_b32 exec_lo, exec_lo, s34
	v_mov_b32_e32 v5, 0
	s_and_saveexec_b32 s34, s33
	s_cbranch_execnz .LBB134_933
	s_branch .LBB134_934
.LBB134_1281:
	s_mov_b32 s34, -1
	s_mov_b32 s35, 0
.LBB134_1282:
                                        ; implicit-def: $vgpr6
.LBB134_1283:
	s_and_b32 vcc_lo, exec_lo, s36
	s_cbranch_vccz .LBB134_1287
; %bb.1284:
	s_cmp_eq_u32 s0, 44
	s_cbranch_scc0 .LBB134_1286
; %bb.1285:
	s_wait_loadcnt 0x0
	global_load_u8 v1, v[4:5], off
	s_mov_b32 s34, 0
	s_mov_b32 s35, -1
	s_wait_loadcnt 0x0
	v_lshlrev_b32_e32 v3, 23, v1
	v_cmp_ne_u32_e32 vcc_lo, 0, v1
	s_delay_alu instid0(VALU_DEP_2) | instskip(NEXT) | instid1(VALU_DEP_1)
	v_cvt_i32_f32_e32 v3, v3
	v_cndmask_b32_e32 v6, 0, v3, vcc_lo
	s_branch .LBB134_1287
.LBB134_1286:
	s_mov_b32 s34, -1
                                        ; implicit-def: $vgpr6
.LBB134_1287:
	s_mov_b32 s36, 0
.LBB134_1288:
	s_delay_alu instid0(SALU_CYCLE_1)
	s_and_b32 vcc_lo, exec_lo, s36
	s_cbranch_vccz .LBB134_1292
; %bb.1289:
	s_cmp_eq_u32 s0, 29
	s_cbranch_scc0 .LBB134_1291
; %bb.1290:
	global_load_b64 v[6:7], v[4:5], off
	s_mov_b32 s35, -1
	s_mov_b32 s34, 0
	s_branch .LBB134_1292
.LBB134_1291:
	s_mov_b32 s34, -1
                                        ; implicit-def: $vgpr6
.LBB134_1292:
	s_mov_b32 s36, 0
.LBB134_1293:
	s_delay_alu instid0(SALU_CYCLE_1)
	s_and_b32 vcc_lo, exec_lo, s36
	s_cbranch_vccz .LBB134_1309
; %bb.1294:
	s_cmp_lt_i32 s0, 27
	s_cbranch_scc1 .LBB134_1297
; %bb.1295:
	s_cmp_gt_i32 s0, 27
	s_cbranch_scc0 .LBB134_1298
; %bb.1296:
	s_wait_loadcnt 0x0
	global_load_b32 v6, v[4:5], off
	s_mov_b32 s35, 0
	s_branch .LBB134_1299
.LBB134_1297:
	s_mov_b32 s35, -1
                                        ; implicit-def: $vgpr6
	s_branch .LBB134_1302
.LBB134_1298:
	s_mov_b32 s35, -1
                                        ; implicit-def: $vgpr6
.LBB134_1299:
	s_delay_alu instid0(SALU_CYCLE_1)
	s_and_not1_b32 vcc_lo, exec_lo, s35
	s_cbranch_vccnz .LBB134_1301
; %bb.1300:
	s_wait_loadcnt 0x0
	global_load_u16 v6, v[4:5], off
.LBB134_1301:
	s_mov_b32 s35, 0
.LBB134_1302:
	s_delay_alu instid0(SALU_CYCLE_1)
	s_and_not1_b32 vcc_lo, exec_lo, s35
	s_cbranch_vccnz .LBB134_1308
; %bb.1303:
	s_wait_loadcnt 0x0
	global_load_u8 v1, v[4:5], off
	s_mov_b32 s36, 0
	s_mov_b32 s35, exec_lo
	s_wait_loadcnt 0x0
	v_cmpx_lt_i16_e32 0x7f, v1
	s_xor_b32 s35, exec_lo, s35
	s_cbranch_execz .LBB134_1320
; %bb.1304:
	v_cmp_ne_u16_e32 vcc_lo, 0x80, v1
	s_and_b32 s36, vcc_lo, exec_lo
	s_and_not1_saveexec_b32 s35, s35
	s_cbranch_execnz .LBB134_1321
.LBB134_1305:
	s_or_b32 exec_lo, exec_lo, s35
	v_mov_b32_e32 v6, 0
	s_and_saveexec_b32 s35, s36
	s_cbranch_execz .LBB134_1307
.LBB134_1306:
	v_and_b32_e32 v3, 0xffff, v1
	s_delay_alu instid0(VALU_DEP_1) | instskip(SKIP_1) | instid1(VALU_DEP_2)
	v_dual_lshlrev_b32 v1, 24, v1 :: v_dual_bitop2_b32 v6, 7, v3 bitop3:0x40
	v_bfe_u32 v9, v3, 3, 4
	v_and_b32_e32 v1, 0x80000000, v1
	s_delay_alu instid0(VALU_DEP_3) | instskip(NEXT) | instid1(VALU_DEP_3)
	v_clz_i32_u32_e32 v7, v6
	v_cmp_eq_u32_e32 vcc_lo, 0, v9
	s_delay_alu instid0(VALU_DEP_2) | instskip(NEXT) | instid1(VALU_DEP_1)
	v_min_u32_e32 v7, 32, v7
	v_subrev_nc_u32_e32 v8, 28, v7
	v_sub_nc_u32_e32 v7, 29, v7
	s_delay_alu instid0(VALU_DEP_2) | instskip(NEXT) | instid1(VALU_DEP_2)
	v_lshlrev_b32_e32 v3, v8, v3
	v_cndmask_b32_e32 v7, v9, v7, vcc_lo
	s_delay_alu instid0(VALU_DEP_2) | instskip(NEXT) | instid1(VALU_DEP_1)
	v_and_b32_e32 v3, 7, v3
	v_cndmask_b32_e32 v3, v6, v3, vcc_lo
	s_delay_alu instid0(VALU_DEP_3) | instskip(NEXT) | instid1(VALU_DEP_2)
	v_lshl_add_u32 v6, v7, 23, 0x3b800000
	v_lshlrev_b32_e32 v3, 20, v3
	s_delay_alu instid0(VALU_DEP_1) | instskip(NEXT) | instid1(VALU_DEP_1)
	v_or3_b32 v1, v1, v6, v3
	v_cvt_i32_f32_e32 v6, v1
.LBB134_1307:
	s_or_b32 exec_lo, exec_lo, s35
.LBB134_1308:
	s_mov_b32 s35, -1
.LBB134_1309:
	s_mov_b32 s36, 0
.LBB134_1310:
	s_delay_alu instid0(SALU_CYCLE_1)
	s_and_b32 vcc_lo, exec_lo, s36
	s_cbranch_vccz .LBB134_1343
; %bb.1311:
	s_cmp_gt_i32 s0, 22
	s_cbranch_scc0 .LBB134_1319
; %bb.1312:
	s_cmp_lt_i32 s0, 24
	s_cbranch_scc1 .LBB134_1322
; %bb.1313:
	s_cmp_gt_i32 s0, 24
	s_cbranch_scc0 .LBB134_1323
; %bb.1314:
	s_wait_loadcnt 0x0
	global_load_u8 v1, v[4:5], off
	s_mov_b32 s36, 0
	s_mov_b32 s35, exec_lo
	s_wait_loadcnt 0x0
	v_cmpx_lt_i16_e32 0x7f, v1
	s_xor_b32 s35, exec_lo, s35
	s_cbranch_execz .LBB134_1335
; %bb.1315:
	v_cmp_ne_u16_e32 vcc_lo, 0x80, v1
	s_and_b32 s36, vcc_lo, exec_lo
	s_and_not1_saveexec_b32 s35, s35
	s_cbranch_execnz .LBB134_1336
.LBB134_1316:
	s_or_b32 exec_lo, exec_lo, s35
	v_mov_b32_e32 v6, 0
	s_and_saveexec_b32 s35, s36
	s_cbranch_execz .LBB134_1318
.LBB134_1317:
	v_and_b32_e32 v3, 0xffff, v1
	s_delay_alu instid0(VALU_DEP_1) | instskip(SKIP_1) | instid1(VALU_DEP_2)
	v_dual_lshlrev_b32 v1, 24, v1 :: v_dual_bitop2_b32 v6, 3, v3 bitop3:0x40
	v_bfe_u32 v9, v3, 2, 5
	v_and_b32_e32 v1, 0x80000000, v1
	s_delay_alu instid0(VALU_DEP_3) | instskip(NEXT) | instid1(VALU_DEP_3)
	v_clz_i32_u32_e32 v7, v6
	v_cmp_eq_u32_e32 vcc_lo, 0, v9
	s_delay_alu instid0(VALU_DEP_2) | instskip(NEXT) | instid1(VALU_DEP_1)
	v_min_u32_e32 v7, 32, v7
	v_subrev_nc_u32_e32 v8, 29, v7
	v_sub_nc_u32_e32 v7, 30, v7
	s_delay_alu instid0(VALU_DEP_2) | instskip(NEXT) | instid1(VALU_DEP_2)
	v_lshlrev_b32_e32 v3, v8, v3
	v_cndmask_b32_e32 v7, v9, v7, vcc_lo
	s_delay_alu instid0(VALU_DEP_2) | instskip(NEXT) | instid1(VALU_DEP_1)
	v_and_b32_e32 v3, 3, v3
	v_cndmask_b32_e32 v3, v6, v3, vcc_lo
	s_delay_alu instid0(VALU_DEP_3) | instskip(NEXT) | instid1(VALU_DEP_2)
	v_lshl_add_u32 v6, v7, 23, 0x37800000
	v_lshlrev_b32_e32 v3, 21, v3
	s_delay_alu instid0(VALU_DEP_1) | instskip(NEXT) | instid1(VALU_DEP_1)
	v_or3_b32 v1, v1, v6, v3
	v_cvt_i32_f32_e32 v6, v1
.LBB134_1318:
	s_or_b32 exec_lo, exec_lo, s35
	s_mov_b32 s35, 0
	s_branch .LBB134_1324
.LBB134_1319:
	s_mov_b32 s36, -1
                                        ; implicit-def: $vgpr6
	s_branch .LBB134_1330
.LBB134_1320:
	s_and_not1_saveexec_b32 s35, s35
	s_cbranch_execz .LBB134_1305
.LBB134_1321:
	v_cmp_ne_u16_e32 vcc_lo, 0, v1
	s_and_not1_b32 s36, s36, exec_lo
	s_and_b32 s37, vcc_lo, exec_lo
	s_delay_alu instid0(SALU_CYCLE_1)
	s_or_b32 s36, s36, s37
	s_or_b32 exec_lo, exec_lo, s35
	v_mov_b32_e32 v6, 0
	s_and_saveexec_b32 s35, s36
	s_cbranch_execnz .LBB134_1306
	s_branch .LBB134_1307
.LBB134_1322:
	s_mov_b32 s35, -1
                                        ; implicit-def: $vgpr6
	s_branch .LBB134_1327
.LBB134_1323:
	s_mov_b32 s35, -1
                                        ; implicit-def: $vgpr6
.LBB134_1324:
	s_delay_alu instid0(SALU_CYCLE_1)
	s_and_b32 vcc_lo, exec_lo, s35
	s_cbranch_vccz .LBB134_1326
; %bb.1325:
	s_wait_loadcnt 0x0
	global_load_u8 v1, v[4:5], off
	s_wait_loadcnt 0x0
	v_lshlrev_b32_e32 v1, 24, v1
	s_delay_alu instid0(VALU_DEP_1) | instskip(NEXT) | instid1(VALU_DEP_1)
	v_and_b32_e32 v3, 0x7f000000, v1
	v_clz_i32_u32_e32 v6, v3
	v_cmp_ne_u32_e32 vcc_lo, 0, v3
	v_add_nc_u32_e32 v8, 0x1000000, v3
	s_delay_alu instid0(VALU_DEP_3) | instskip(NEXT) | instid1(VALU_DEP_1)
	v_min_u32_e32 v6, 32, v6
	v_sub_nc_u32_e64 v6, v6, 4 clamp
	s_delay_alu instid0(VALU_DEP_1) | instskip(NEXT) | instid1(VALU_DEP_1)
	v_dual_lshlrev_b32 v7, v6, v3 :: v_dual_lshlrev_b32 v6, 23, v6
	v_lshrrev_b32_e32 v7, 4, v7
	s_delay_alu instid0(VALU_DEP_1) | instskip(NEXT) | instid1(VALU_DEP_1)
	v_dual_sub_nc_u32 v6, v7, v6 :: v_dual_ashrrev_i32 v7, 8, v8
	v_add_nc_u32_e32 v6, 0x3c000000, v6
	s_delay_alu instid0(VALU_DEP_1) | instskip(NEXT) | instid1(VALU_DEP_1)
	v_and_or_b32 v6, 0x7f800000, v7, v6
	v_cndmask_b32_e32 v3, 0, v6, vcc_lo
	s_delay_alu instid0(VALU_DEP_1) | instskip(NEXT) | instid1(VALU_DEP_1)
	v_and_or_b32 v1, 0x80000000, v1, v3
	v_cvt_i32_f32_e32 v6, v1
.LBB134_1326:
	s_mov_b32 s35, 0
.LBB134_1327:
	s_delay_alu instid0(SALU_CYCLE_1)
	s_and_not1_b32 vcc_lo, exec_lo, s35
	s_cbranch_vccnz .LBB134_1329
; %bb.1328:
	s_wait_loadcnt 0x0
	global_load_u8 v1, v[4:5], off
	s_wait_loadcnt 0x0
	v_lshlrev_b32_e32 v3, 25, v1
	v_lshlrev_b16 v1, 8, v1
	s_delay_alu instid0(VALU_DEP_1) | instskip(SKIP_1) | instid1(VALU_DEP_2)
	v_and_or_b32 v7, 0x7f00, v1, 0.5
	v_bfe_i32 v1, v1, 0, 16
	v_add_f32_e32 v7, -0.5, v7
	v_lshrrev_b32_e32 v6, 4, v3
	v_cmp_gt_u32_e32 vcc_lo, 0x8000000, v3
	s_delay_alu instid0(VALU_DEP_2) | instskip(NEXT) | instid1(VALU_DEP_1)
	v_or_b32_e32 v6, 0x70000000, v6
	v_mul_f32_e32 v6, 0x7800000, v6
	s_delay_alu instid0(VALU_DEP_1) | instskip(NEXT) | instid1(VALU_DEP_1)
	v_cndmask_b32_e32 v3, v6, v7, vcc_lo
	v_and_or_b32 v1, 0x80000000, v1, v3
	s_delay_alu instid0(VALU_DEP_1)
	v_cvt_i32_f32_e32 v6, v1
.LBB134_1329:
	s_mov_b32 s36, 0
	s_mov_b32 s35, -1
.LBB134_1330:
	s_and_not1_b32 vcc_lo, exec_lo, s36
	s_cbranch_vccnz .LBB134_1343
; %bb.1331:
	s_cmp_gt_i32 s0, 14
	s_cbranch_scc0 .LBB134_1334
; %bb.1332:
	s_cmp_eq_u32 s0, 15
	s_cbranch_scc0 .LBB134_1337
; %bb.1333:
	s_wait_loadcnt 0x0
	global_load_u16 v1, v[4:5], off
	s_mov_b32 s35, -1
	s_mov_b32 s34, 0
	s_wait_loadcnt 0x0
	v_lshlrev_b32_e32 v1, 16, v1
	s_delay_alu instid0(VALU_DEP_1)
	v_cvt_i32_f32_e32 v6, v1
	s_branch .LBB134_1338
.LBB134_1334:
	s_mov_b32 s36, -1
                                        ; implicit-def: $vgpr6
	s_branch .LBB134_1339
.LBB134_1335:
	s_and_not1_saveexec_b32 s35, s35
	s_cbranch_execz .LBB134_1316
.LBB134_1336:
	v_cmp_ne_u16_e32 vcc_lo, 0, v1
	s_and_not1_b32 s36, s36, exec_lo
	s_and_b32 s37, vcc_lo, exec_lo
	s_delay_alu instid0(SALU_CYCLE_1)
	s_or_b32 s36, s36, s37
	s_or_b32 exec_lo, exec_lo, s35
	v_mov_b32_e32 v6, 0
	s_and_saveexec_b32 s35, s36
	s_cbranch_execnz .LBB134_1317
	s_branch .LBB134_1318
.LBB134_1337:
	s_mov_b32 s34, -1
                                        ; implicit-def: $vgpr6
.LBB134_1338:
	s_mov_b32 s36, 0
.LBB134_1339:
	s_delay_alu instid0(SALU_CYCLE_1)
	s_and_b32 vcc_lo, exec_lo, s36
	s_cbranch_vccz .LBB134_1343
; %bb.1340:
	s_cmp_eq_u32 s0, 11
	s_cbranch_scc0 .LBB134_1342
; %bb.1341:
	s_wait_loadcnt 0x0
	global_load_u8 v1, v[4:5], off
	s_mov_b32 s34, 0
	s_mov_b32 s35, -1
	s_wait_loadcnt 0x0
	v_cmp_ne_u16_e32 vcc_lo, 0, v1
	v_cndmask_b32_e64 v6, 0, 1, vcc_lo
	s_branch .LBB134_1343
.LBB134_1342:
	s_mov_b32 s34, -1
                                        ; implicit-def: $vgpr6
.LBB134_1343:
	s_mov_b32 s36, 0
.LBB134_1344:
	s_delay_alu instid0(SALU_CYCLE_1)
	s_and_b32 vcc_lo, exec_lo, s36
	s_cbranch_vccz .LBB134_1393
; %bb.1345:
	s_cmp_lt_i32 s0, 5
	s_cbranch_scc1 .LBB134_1350
; %bb.1346:
	s_cmp_lt_i32 s0, 8
	s_cbranch_scc1 .LBB134_1351
	;; [unrolled: 3-line block ×3, first 2 shown]
; %bb.1348:
	s_cmp_gt_i32 s0, 9
	s_cbranch_scc0 .LBB134_1353
; %bb.1349:
	s_wait_loadcnt 0x0
	global_load_b64 v[6:7], v[4:5], off
	s_mov_b32 s35, 0
	s_wait_loadcnt 0x0
	v_cvt_i32_f64_e32 v6, v[6:7]
	s_branch .LBB134_1354
.LBB134_1350:
	s_mov_b32 s35, -1
                                        ; implicit-def: $vgpr6
	s_branch .LBB134_1372
.LBB134_1351:
	s_mov_b32 s35, -1
                                        ; implicit-def: $vgpr6
	s_branch .LBB134_1360
.LBB134_1352:
	s_mov_b32 s35, -1
                                        ; implicit-def: $vgpr6
	s_branch .LBB134_1357
.LBB134_1353:
	s_mov_b32 s35, -1
                                        ; implicit-def: $vgpr6
.LBB134_1354:
	s_delay_alu instid0(SALU_CYCLE_1)
	s_and_not1_b32 vcc_lo, exec_lo, s35
	s_cbranch_vccnz .LBB134_1356
; %bb.1355:
	s_wait_loadcnt 0x0
	global_load_b32 v1, v[4:5], off
	s_wait_loadcnt 0x0
	v_cvt_i32_f32_e32 v6, v1
.LBB134_1356:
	s_mov_b32 s35, 0
.LBB134_1357:
	s_delay_alu instid0(SALU_CYCLE_1)
	s_and_not1_b32 vcc_lo, exec_lo, s35
	s_cbranch_vccnz .LBB134_1359
; %bb.1358:
	s_wait_loadcnt 0x0
	global_load_b32 v1, v[4:5], off
	s_wait_loadcnt 0x0
	v_cvt_i16_f16_e32 v6, v1
.LBB134_1359:
	s_mov_b32 s35, 0
.LBB134_1360:
	s_delay_alu instid0(SALU_CYCLE_1)
	s_and_not1_b32 vcc_lo, exec_lo, s35
	s_cbranch_vccnz .LBB134_1371
; %bb.1361:
	s_cmp_lt_i32 s0, 6
	s_cbranch_scc1 .LBB134_1364
; %bb.1362:
	s_cmp_gt_i32 s0, 6
	s_cbranch_scc0 .LBB134_1365
; %bb.1363:
	s_wait_loadcnt 0x0
	global_load_b64 v[6:7], v[4:5], off
	s_mov_b32 s35, 0
	s_wait_loadcnt 0x0
	v_cvt_i32_f64_e32 v6, v[6:7]
	s_branch .LBB134_1366
.LBB134_1364:
	s_mov_b32 s35, -1
                                        ; implicit-def: $vgpr6
	s_branch .LBB134_1369
.LBB134_1365:
	s_mov_b32 s35, -1
                                        ; implicit-def: $vgpr6
.LBB134_1366:
	s_delay_alu instid0(SALU_CYCLE_1)
	s_and_not1_b32 vcc_lo, exec_lo, s35
	s_cbranch_vccnz .LBB134_1368
; %bb.1367:
	s_wait_loadcnt 0x0
	global_load_b32 v1, v[4:5], off
	s_wait_loadcnt 0x0
	v_cvt_i32_f32_e32 v6, v1
.LBB134_1368:
	s_mov_b32 s35, 0
.LBB134_1369:
	s_delay_alu instid0(SALU_CYCLE_1)
	s_and_not1_b32 vcc_lo, exec_lo, s35
	s_cbranch_vccnz .LBB134_1371
; %bb.1370:
	s_wait_loadcnt 0x0
	global_load_u16 v1, v[4:5], off
	s_wait_loadcnt 0x0
	v_cvt_i16_f16_e32 v6, v1
.LBB134_1371:
	s_mov_b32 s35, 0
.LBB134_1372:
	s_delay_alu instid0(SALU_CYCLE_1)
	s_and_not1_b32 vcc_lo, exec_lo, s35
	s_cbranch_vccnz .LBB134_1392
; %bb.1373:
	s_cmp_lt_i32 s0, 2
	s_cbranch_scc1 .LBB134_1377
; %bb.1374:
	s_cmp_lt_i32 s0, 3
	s_cbranch_scc1 .LBB134_1378
; %bb.1375:
	s_cmp_gt_i32 s0, 3
	s_cbranch_scc0 .LBB134_1379
; %bb.1376:
	s_wait_loadcnt 0x0
	global_load_b64 v[6:7], v[4:5], off
	s_mov_b32 s35, 0
	s_branch .LBB134_1380
.LBB134_1377:
	s_mov_b32 s35, -1
                                        ; implicit-def: $vgpr6
	s_branch .LBB134_1386
.LBB134_1378:
	s_mov_b32 s35, -1
                                        ; implicit-def: $vgpr6
	s_branch .LBB134_1383
.LBB134_1379:
	s_mov_b32 s35, -1
                                        ; implicit-def: $vgpr6
.LBB134_1380:
	s_delay_alu instid0(SALU_CYCLE_1)
	s_and_not1_b32 vcc_lo, exec_lo, s35
	s_cbranch_vccnz .LBB134_1382
; %bb.1381:
	s_wait_loadcnt 0x0
	global_load_b32 v6, v[4:5], off
.LBB134_1382:
	s_mov_b32 s35, 0
.LBB134_1383:
	s_delay_alu instid0(SALU_CYCLE_1)
	s_and_not1_b32 vcc_lo, exec_lo, s35
	s_cbranch_vccnz .LBB134_1385
; %bb.1384:
	s_wait_loadcnt 0x0
	global_load_u16 v6, v[4:5], off
.LBB134_1385:
	s_mov_b32 s35, 0
.LBB134_1386:
	s_delay_alu instid0(SALU_CYCLE_1)
	s_and_not1_b32 vcc_lo, exec_lo, s35
	s_cbranch_vccnz .LBB134_1392
; %bb.1387:
	s_cmp_gt_i32 s0, 0
	s_mov_b32 s0, 0
	s_cbranch_scc0 .LBB134_1389
; %bb.1388:
	s_wait_loadcnt 0x0
	global_load_i8 v6, v[4:5], off
	s_branch .LBB134_1390
.LBB134_1389:
	s_mov_b32 s0, -1
                                        ; implicit-def: $vgpr6
.LBB134_1390:
	s_delay_alu instid0(SALU_CYCLE_1)
	s_and_not1_b32 vcc_lo, exec_lo, s0
	s_cbranch_vccnz .LBB134_1392
; %bb.1391:
	s_wait_loadcnt 0x0
	global_load_u8 v6, v[4:5], off
.LBB134_1392:
	s_mov_b32 s35, -1
.LBB134_1393:
	s_delay_alu instid0(SALU_CYCLE_1)
	s_and_not1_b32 vcc_lo, exec_lo, s35
	s_cbranch_vccnz .LBB134_1401
; %bb.1394:
	s_wait_xcnt 0x0
	v_mul_lo_u32 v4, v26, s12
	s_wait_loadcnt 0x0
	v_max_i16 v2, v0, v2
	s_and_b32 s35, s2, 0xff
	s_delay_alu instid0(SALU_CYCLE_1) | instskip(NEXT) | instid1(VALU_DEP_2)
	s_cmp_lt_i32 s35, 11
	v_ashrrev_i32_e32 v5, 31, v4
	s_delay_alu instid0(VALU_DEP_1)
	v_add_nc_u64_e32 v[0:1], s[4:5], v[4:5]
	v_min_i16 v4, v2, v6
	s_cbranch_scc1 .LBB134_1402
; %bb.1395:
	s_and_b32 s36, 0xffff, s35
	s_delay_alu instid0(SALU_CYCLE_1)
	s_cmp_gt_i32 s36, 25
	s_cbranch_scc0 .LBB134_1403
; %bb.1396:
	s_cmp_gt_i32 s36, 28
	s_cbranch_scc0 .LBB134_1404
; %bb.1397:
	;; [unrolled: 3-line block ×4, first 2 shown]
	s_mov_b32 s38, 0
	s_mov_b32 s0, -1
	s_cmp_eq_u32 s36, 46
	s_mov_b32 s37, 0
	s_cbranch_scc0 .LBB134_1407
; %bb.1400:
	v_bfe_i32 v2, v4, 0, 16
	s_mov_b32 s37, -1
	s_mov_b32 s0, 0
	s_delay_alu instid0(VALU_DEP_1) | instskip(NEXT) | instid1(VALU_DEP_1)
	v_cvt_f32_i32_e32 v2, v2
	v_bfe_u32 v3, v2, 16, 1
	s_delay_alu instid0(VALU_DEP_1) | instskip(NEXT) | instid1(VALU_DEP_1)
	v_add3_u32 v2, v2, v3, 0x7fff
	v_lshrrev_b32_e32 v2, 16, v2
	global_store_b32 v[0:1], v2, off
	s_branch .LBB134_1407
.LBB134_1401:
	s_mov_b32 s36, 0
	s_mov_b32 s0, s26
	s_branch .LBB134_1518
.LBB134_1402:
	s_mov_b32 s36, -1
	s_mov_b32 s37, 0
	s_mov_b32 s0, s26
	s_branch .LBB134_1476
.LBB134_1403:
	s_mov_b32 s38, -1
	s_mov_b32 s37, 0
	s_mov_b32 s0, s26
	s_branch .LBB134_1434
.LBB134_1404:
	s_mov_b32 s38, -1
	s_mov_b32 s37, 0
	s_mov_b32 s0, s26
	s_branch .LBB134_1417
.LBB134_1405:
	s_mov_b32 s38, -1
	s_mov_b32 s37, 0
	s_mov_b32 s0, s26
	s_branch .LBB134_1413
.LBB134_1406:
	s_mov_b32 s38, -1
	s_mov_b32 s37, 0
	s_mov_b32 s0, s26
.LBB134_1407:
	s_and_b32 vcc_lo, exec_lo, s38
	s_cbranch_vccz .LBB134_1412
; %bb.1408:
	s_cmp_eq_u32 s36, 44
	s_mov_b32 s0, -1
	s_cbranch_scc0 .LBB134_1412
; %bb.1409:
	s_wait_xcnt 0x0
	v_bfe_i32 v2, v4, 0, 16
	v_mov_b32_e32 v3, 0xff
	s_mov_b32 s37, exec_lo
	s_delay_alu instid0(VALU_DEP_2) | instskip(NEXT) | instid1(VALU_DEP_1)
	v_cvt_f32_i32_e32 v2, v2
	v_bfe_u32 v5, v2, 23, 8
	s_delay_alu instid0(VALU_DEP_1)
	v_cmpx_ne_u32_e32 0xff, v5
	s_cbranch_execz .LBB134_1411
; %bb.1410:
	v_and_b32_e32 v3, 0x400000, v2
	v_and_or_b32 v5, 0x3fffff, v2, v5
	v_lshrrev_b32_e32 v2, 23, v2
	s_delay_alu instid0(VALU_DEP_3) | instskip(NEXT) | instid1(VALU_DEP_3)
	v_cmp_ne_u32_e32 vcc_lo, 0, v3
	v_cmp_ne_u32_e64 s0, 0, v5
	s_and_b32 s0, vcc_lo, s0
	s_delay_alu instid0(SALU_CYCLE_1) | instskip(NEXT) | instid1(VALU_DEP_1)
	v_cndmask_b32_e64 v3, 0, 1, s0
	v_add_nc_u32_e32 v3, v2, v3
.LBB134_1411:
	s_or_b32 exec_lo, exec_lo, s37
	s_mov_b32 s37, -1
	s_mov_b32 s0, 0
	global_store_b8 v[0:1], v3, off
.LBB134_1412:
	s_mov_b32 s38, 0
.LBB134_1413:
	s_delay_alu instid0(SALU_CYCLE_1)
	s_and_b32 vcc_lo, exec_lo, s38
	s_cbranch_vccz .LBB134_1416
; %bb.1414:
	s_cmp_eq_u32 s36, 29
	s_mov_b32 s0, -1
	s_cbranch_scc0 .LBB134_1416
; %bb.1415:
	s_wait_xcnt 0x0
	v_bfe_i32 v2, v4, 0, 16
	s_mov_b32 s0, 0
	s_mov_b32 s37, -1
	s_mov_b32 s38, 0
	s_delay_alu instid0(VALU_DEP_1)
	v_ashrrev_i32_e32 v3, 31, v2
	global_store_b64 v[0:1], v[2:3], off
	s_branch .LBB134_1417
.LBB134_1416:
	s_mov_b32 s38, 0
.LBB134_1417:
	s_delay_alu instid0(SALU_CYCLE_1)
	s_and_b32 vcc_lo, exec_lo, s38
	s_cbranch_vccz .LBB134_1433
; %bb.1418:
	s_cmp_lt_i32 s36, 27
	s_mov_b32 s37, -1
	s_cbranch_scc1 .LBB134_1424
; %bb.1419:
	s_cmp_gt_i32 s36, 27
	s_cbranch_scc0 .LBB134_1421
; %bb.1420:
	s_wait_xcnt 0x0
	v_bfe_i32 v2, v4, 0, 16
	s_mov_b32 s37, 0
	global_store_b32 v[0:1], v2, off
.LBB134_1421:
	s_and_not1_b32 vcc_lo, exec_lo, s37
	s_cbranch_vccnz .LBB134_1423
; %bb.1422:
	global_store_b16 v[0:1], v4, off
.LBB134_1423:
	s_mov_b32 s37, 0
.LBB134_1424:
	s_delay_alu instid0(SALU_CYCLE_1)
	s_and_not1_b32 vcc_lo, exec_lo, s37
	s_cbranch_vccnz .LBB134_1432
; %bb.1425:
	s_wait_xcnt 0x0
	v_bfe_i32 v2, v4, 0, 16
	v_mov_b32_e32 v5, 0x80
	s_mov_b32 s37, exec_lo
	s_delay_alu instid0(VALU_DEP_2) | instskip(NEXT) | instid1(VALU_DEP_1)
	v_cvt_f32_i32_e32 v2, v2
	v_and_b32_e32 v3, 0x7fffffff, v2
	s_delay_alu instid0(VALU_DEP_1)
	v_cmpx_gt_u32_e32 0x43800000, v3
	s_cbranch_execz .LBB134_1431
; %bb.1426:
	v_cmp_lt_u32_e32 vcc_lo, 0x3bffffff, v3
	s_mov_b32 s38, 0
                                        ; implicit-def: $vgpr3
	s_and_saveexec_b32 s39, vcc_lo
	s_delay_alu instid0(SALU_CYCLE_1)
	s_xor_b32 s39, exec_lo, s39
	s_cbranch_execz .LBB134_2655
; %bb.1427:
	v_bfe_u32 v3, v2, 20, 1
	s_mov_b32 s38, exec_lo
	s_delay_alu instid0(VALU_DEP_1) | instskip(NEXT) | instid1(VALU_DEP_1)
	v_add3_u32 v3, v2, v3, 0x487ffff
	v_lshrrev_b32_e32 v3, 20, v3
	s_and_not1_saveexec_b32 s39, s39
	s_cbranch_execnz .LBB134_2656
.LBB134_1428:
	s_or_b32 exec_lo, exec_lo, s39
	v_mov_b32_e32 v5, 0
	s_and_saveexec_b32 s39, s38
.LBB134_1429:
	v_lshrrev_b32_e32 v2, 24, v2
	s_delay_alu instid0(VALU_DEP_1)
	v_and_or_b32 v5, 0x80, v2, v3
.LBB134_1430:
	s_or_b32 exec_lo, exec_lo, s39
.LBB134_1431:
	s_delay_alu instid0(SALU_CYCLE_1)
	s_or_b32 exec_lo, exec_lo, s37
	global_store_b8 v[0:1], v5, off
.LBB134_1432:
	s_mov_b32 s37, -1
.LBB134_1433:
	s_mov_b32 s38, 0
.LBB134_1434:
	s_delay_alu instid0(SALU_CYCLE_1)
	s_and_b32 vcc_lo, exec_lo, s38
	s_cbranch_vccz .LBB134_1475
; %bb.1435:
	s_cmp_gt_i32 s36, 22
	s_mov_b32 s38, -1
	s_cbranch_scc0 .LBB134_1467
; %bb.1436:
	s_cmp_lt_i32 s36, 24
	s_mov_b32 s37, -1
	s_cbranch_scc1 .LBB134_1456
; %bb.1437:
	s_cmp_gt_i32 s36, 24
	s_cbranch_scc0 .LBB134_1445
; %bb.1438:
	s_wait_xcnt 0x0
	v_bfe_i32 v2, v4, 0, 16
	v_mov_b32_e32 v5, 0x80
	s_mov_b32 s37, exec_lo
	s_delay_alu instid0(VALU_DEP_2) | instskip(NEXT) | instid1(VALU_DEP_1)
	v_cvt_f32_i32_e32 v2, v2
	v_and_b32_e32 v3, 0x7fffffff, v2
	s_delay_alu instid0(VALU_DEP_1)
	v_cmpx_gt_u32_e32 0x47800000, v3
	s_cbranch_execz .LBB134_1444
; %bb.1439:
	v_cmp_lt_u32_e32 vcc_lo, 0x37ffffff, v3
	s_mov_b32 s38, 0
                                        ; implicit-def: $vgpr3
	s_and_saveexec_b32 s39, vcc_lo
	s_delay_alu instid0(SALU_CYCLE_1)
	s_xor_b32 s39, exec_lo, s39
	s_cbranch_execz .LBB134_2784
; %bb.1440:
	v_bfe_u32 v3, v2, 21, 1
	s_mov_b32 s38, exec_lo
	s_delay_alu instid0(VALU_DEP_1) | instskip(NEXT) | instid1(VALU_DEP_1)
	v_add3_u32 v3, v2, v3, 0x88fffff
	v_lshrrev_b32_e32 v3, 21, v3
	s_and_not1_saveexec_b32 s39, s39
	s_cbranch_execnz .LBB134_2785
.LBB134_1441:
	s_or_b32 exec_lo, exec_lo, s39
	v_mov_b32_e32 v5, 0
	s_and_saveexec_b32 s39, s38
.LBB134_1442:
	v_lshrrev_b32_e32 v2, 24, v2
	s_delay_alu instid0(VALU_DEP_1)
	v_and_or_b32 v5, 0x80, v2, v3
.LBB134_1443:
	s_or_b32 exec_lo, exec_lo, s39
.LBB134_1444:
	s_delay_alu instid0(SALU_CYCLE_1)
	s_or_b32 exec_lo, exec_lo, s37
	s_mov_b32 s37, 0
	global_store_b8 v[0:1], v5, off
.LBB134_1445:
	s_and_b32 vcc_lo, exec_lo, s37
	s_cbranch_vccz .LBB134_1455
; %bb.1446:
	s_wait_xcnt 0x0
	v_bfe_i32 v2, v4, 0, 16
	s_mov_b32 s37, exec_lo
                                        ; implicit-def: $vgpr3
	s_delay_alu instid0(VALU_DEP_1) | instskip(NEXT) | instid1(VALU_DEP_1)
	v_cvt_f32_i32_e32 v2, v2
	v_and_b32_e32 v5, 0x7fffffff, v2
	s_delay_alu instid0(VALU_DEP_1)
	v_cmpx_gt_u32_e32 0x43f00000, v5
	s_xor_b32 s37, exec_lo, s37
	s_cbranch_execz .LBB134_1452
; %bb.1447:
	s_mov_b32 s38, exec_lo
                                        ; implicit-def: $vgpr3
	v_cmpx_lt_u32_e32 0x3c7fffff, v5
	s_xor_b32 s38, exec_lo, s38
; %bb.1448:
	v_bfe_u32 v3, v2, 20, 1
	s_delay_alu instid0(VALU_DEP_1) | instskip(NEXT) | instid1(VALU_DEP_1)
	v_add3_u32 v3, v2, v3, 0x407ffff
	v_and_b32_e32 v5, 0xff00000, v3
	v_lshrrev_b32_e32 v3, 20, v3
	s_delay_alu instid0(VALU_DEP_2) | instskip(NEXT) | instid1(VALU_DEP_2)
	v_cmp_ne_u32_e32 vcc_lo, 0x7f00000, v5
	v_cndmask_b32_e32 v3, 0x7e, v3, vcc_lo
; %bb.1449:
	s_and_not1_saveexec_b32 s38, s38
; %bb.1450:
	v_add_f32_e64 v3, 0x46800000, |v2|
; %bb.1451:
	s_or_b32 exec_lo, exec_lo, s38
                                        ; implicit-def: $vgpr5
.LBB134_1452:
	s_and_not1_saveexec_b32 s37, s37
; %bb.1453:
	v_mov_b32_e32 v3, 0x7f
	v_cmp_lt_u32_e32 vcc_lo, 0x7f800000, v5
	s_delay_alu instid0(VALU_DEP_2)
	v_cndmask_b32_e32 v3, 0x7e, v3, vcc_lo
; %bb.1454:
	s_or_b32 exec_lo, exec_lo, s37
	v_lshrrev_b32_e32 v2, 24, v2
	s_delay_alu instid0(VALU_DEP_1)
	v_and_or_b32 v2, 0x80, v2, v3
	global_store_b8 v[0:1], v2, off
.LBB134_1455:
	s_mov_b32 s37, 0
.LBB134_1456:
	s_delay_alu instid0(SALU_CYCLE_1)
	s_and_not1_b32 vcc_lo, exec_lo, s37
	s_cbranch_vccnz .LBB134_1466
; %bb.1457:
	s_wait_xcnt 0x0
	v_bfe_i32 v2, v4, 0, 16
	s_mov_b32 s37, exec_lo
                                        ; implicit-def: $vgpr3
	s_delay_alu instid0(VALU_DEP_1) | instskip(NEXT) | instid1(VALU_DEP_1)
	v_cvt_f32_i32_e32 v2, v2
	v_and_b32_e32 v5, 0x7fffffff, v2
	s_delay_alu instid0(VALU_DEP_1)
	v_cmpx_gt_u32_e32 0x47800000, v5
	s_xor_b32 s37, exec_lo, s37
	s_cbranch_execz .LBB134_1463
; %bb.1458:
	s_mov_b32 s38, exec_lo
                                        ; implicit-def: $vgpr3
	v_cmpx_lt_u32_e32 0x387fffff, v5
	s_xor_b32 s38, exec_lo, s38
; %bb.1459:
	v_bfe_u32 v3, v2, 21, 1
	s_delay_alu instid0(VALU_DEP_1) | instskip(NEXT) | instid1(VALU_DEP_1)
	v_add3_u32 v3, v2, v3, 0x80fffff
	v_lshrrev_b32_e32 v3, 21, v3
; %bb.1460:
	s_and_not1_saveexec_b32 s38, s38
; %bb.1461:
	v_add_f32_e64 v3, 0x43000000, |v2|
; %bb.1462:
	s_or_b32 exec_lo, exec_lo, s38
                                        ; implicit-def: $vgpr5
.LBB134_1463:
	s_and_not1_saveexec_b32 s37, s37
; %bb.1464:
	v_mov_b32_e32 v3, 0x7f
	v_cmp_lt_u32_e32 vcc_lo, 0x7f800000, v5
	s_delay_alu instid0(VALU_DEP_2)
	v_cndmask_b32_e32 v3, 0x7c, v3, vcc_lo
; %bb.1465:
	s_or_b32 exec_lo, exec_lo, s37
	v_lshrrev_b32_e32 v2, 24, v2
	s_delay_alu instid0(VALU_DEP_1)
	v_and_or_b32 v2, 0x80, v2, v3
	global_store_b8 v[0:1], v2, off
.LBB134_1466:
	s_mov_b32 s38, 0
	s_mov_b32 s37, -1
.LBB134_1467:
	s_and_not1_b32 vcc_lo, exec_lo, s38
	s_cbranch_vccnz .LBB134_1475
; %bb.1468:
	s_cmp_gt_i32 s36, 14
	s_mov_b32 s38, -1
	s_cbranch_scc0 .LBB134_1472
; %bb.1469:
	s_cmp_eq_u32 s36, 15
	s_mov_b32 s0, -1
	s_cbranch_scc0 .LBB134_1471
; %bb.1470:
	s_wait_xcnt 0x0
	v_bfe_i32 v2, v4, 0, 16
	s_mov_b32 s37, -1
	s_mov_b32 s0, 0
	s_delay_alu instid0(VALU_DEP_1) | instskip(NEXT) | instid1(VALU_DEP_1)
	v_cvt_f32_i32_e32 v2, v2
	v_bfe_u32 v3, v2, 16, 1
	s_delay_alu instid0(VALU_DEP_1)
	v_add3_u32 v2, v2, v3, 0x7fff
	global_store_d16_hi_b16 v[0:1], v2, off
.LBB134_1471:
	s_mov_b32 s38, 0
.LBB134_1472:
	s_delay_alu instid0(SALU_CYCLE_1)
	s_and_b32 vcc_lo, exec_lo, s38
	s_cbranch_vccz .LBB134_1475
; %bb.1473:
	s_cmp_eq_u32 s36, 11
	s_mov_b32 s0, -1
	s_cbranch_scc0 .LBB134_1475
; %bb.1474:
	v_cmp_ne_u16_e32 vcc_lo, 0, v4
	s_mov_b32 s0, 0
	s_mov_b32 s37, -1
	s_wait_xcnt 0x0
	v_cndmask_b32_e64 v2, 0, 1, vcc_lo
	global_store_b8 v[0:1], v2, off
.LBB134_1475:
	s_mov_b32 s36, 0
.LBB134_1476:
	s_delay_alu instid0(SALU_CYCLE_1)
	s_and_b32 vcc_lo, exec_lo, s36
	s_cbranch_vccz .LBB134_1515
; %bb.1477:
	s_and_b32 s35, 0xffff, s35
	s_mov_b32 s36, -1
	s_cmp_lt_i32 s35, 5
	s_cbranch_scc1 .LBB134_1498
; %bb.1478:
	s_cmp_lt_i32 s35, 8
	s_cbranch_scc1 .LBB134_1488
; %bb.1479:
	;; [unrolled: 3-line block ×3, first 2 shown]
	s_cmp_gt_i32 s35, 9
	s_cbranch_scc0 .LBB134_1482
; %bb.1481:
	s_wait_xcnt 0x0
	v_bfe_i32 v2, v4, 0, 16
	v_mov_b32_e32 v8, 0
	s_mov_b32 s36, 0
	s_delay_alu instid0(VALU_DEP_2) | instskip(NEXT) | instid1(VALU_DEP_2)
	v_cvt_f64_i32_e32 v[6:7], v2
	v_mov_b32_e32 v9, v8
	global_store_b128 v[0:1], v[6:9], off
.LBB134_1482:
	s_and_not1_b32 vcc_lo, exec_lo, s36
	s_cbranch_vccnz .LBB134_1484
; %bb.1483:
	s_wait_xcnt 0x0
	v_bfe_i32 v2, v4, 0, 16
	v_mov_b32_e32 v3, 0
	s_delay_alu instid0(VALU_DEP_2)
	v_cvt_f32_i32_e32 v2, v2
	global_store_b64 v[0:1], v[2:3], off
.LBB134_1484:
	s_mov_b32 s36, 0
.LBB134_1485:
	s_delay_alu instid0(SALU_CYCLE_1)
	s_and_not1_b32 vcc_lo, exec_lo, s36
	s_cbranch_vccnz .LBB134_1487
; %bb.1486:
	s_wait_xcnt 0x0
	v_cvt_f16_i16_e32 v2, v4
	s_delay_alu instid0(VALU_DEP_1)
	v_and_b32_e32 v2, 0xffff, v2
	global_store_b32 v[0:1], v2, off
.LBB134_1487:
	s_mov_b32 s36, 0
.LBB134_1488:
	s_delay_alu instid0(SALU_CYCLE_1)
	s_and_not1_b32 vcc_lo, exec_lo, s36
	s_cbranch_vccnz .LBB134_1497
; %bb.1489:
	s_cmp_lt_i32 s35, 6
	s_mov_b32 s36, -1
	s_cbranch_scc1 .LBB134_1495
; %bb.1490:
	s_cmp_gt_i32 s35, 6
	s_cbranch_scc0 .LBB134_1492
; %bb.1491:
	s_wait_xcnt 0x0
	v_bfe_i32 v2, v4, 0, 16
	s_mov_b32 s36, 0
	s_delay_alu instid0(VALU_DEP_1)
	v_cvt_f64_i32_e32 v[2:3], v2
	global_store_b64 v[0:1], v[2:3], off
.LBB134_1492:
	s_and_not1_b32 vcc_lo, exec_lo, s36
	s_cbranch_vccnz .LBB134_1494
; %bb.1493:
	s_wait_xcnt 0x0
	v_bfe_i32 v2, v4, 0, 16
	s_delay_alu instid0(VALU_DEP_1)
	v_cvt_f32_i32_e32 v2, v2
	global_store_b32 v[0:1], v2, off
.LBB134_1494:
	s_mov_b32 s36, 0
.LBB134_1495:
	s_delay_alu instid0(SALU_CYCLE_1)
	s_and_not1_b32 vcc_lo, exec_lo, s36
	s_cbranch_vccnz .LBB134_1497
; %bb.1496:
	s_wait_xcnt 0x0
	v_cvt_f16_i16_e32 v2, v4
	global_store_b16 v[0:1], v2, off
.LBB134_1497:
	s_mov_b32 s36, 0
.LBB134_1498:
	s_delay_alu instid0(SALU_CYCLE_1)
	s_and_not1_b32 vcc_lo, exec_lo, s36
	s_cbranch_vccnz .LBB134_1514
; %bb.1499:
	s_cmp_lt_i32 s35, 2
	s_mov_b32 s36, -1
	s_cbranch_scc1 .LBB134_1509
; %bb.1500:
	s_cmp_lt_i32 s35, 3
	s_cbranch_scc1 .LBB134_1506
; %bb.1501:
	s_wait_xcnt 0x0
	v_bfe_i32 v2, v4, 0, 16
	s_cmp_gt_i32 s35, 3
	s_cbranch_scc0 .LBB134_1503
; %bb.1502:
	s_delay_alu instid0(VALU_DEP_1)
	v_ashrrev_i32_e32 v3, 31, v2
	s_mov_b32 s36, 0
	global_store_b64 v[0:1], v[2:3], off
.LBB134_1503:
	s_and_not1_b32 vcc_lo, exec_lo, s36
	s_cbranch_vccnz .LBB134_1505
; %bb.1504:
	global_store_b32 v[0:1], v2, off
.LBB134_1505:
	s_mov_b32 s36, 0
.LBB134_1506:
	s_delay_alu instid0(SALU_CYCLE_1)
	s_and_not1_b32 vcc_lo, exec_lo, s36
	s_cbranch_vccnz .LBB134_1508
; %bb.1507:
	global_store_b16 v[0:1], v4, off
.LBB134_1508:
	s_mov_b32 s36, 0
.LBB134_1509:
	s_delay_alu instid0(SALU_CYCLE_1)
	s_and_not1_b32 vcc_lo, exec_lo, s36
	s_cbranch_vccnz .LBB134_1514
; %bb.1510:
	s_cmp_gt_i32 s35, 0
	s_mov_b32 s35, -1
	s_cbranch_scc0 .LBB134_1512
; %bb.1511:
	s_mov_b32 s35, 0
	global_store_b8 v[0:1], v4, off
.LBB134_1512:
	s_and_not1_b32 vcc_lo, exec_lo, s35
	s_cbranch_vccnz .LBB134_1514
; %bb.1513:
	global_store_b8 v[0:1], v4, off
.LBB134_1514:
	s_mov_b32 s37, -1
.LBB134_1515:
	s_delay_alu instid0(SALU_CYCLE_1)
	s_and_not1_b32 vcc_lo, exec_lo, s37
	s_cbranch_vccnz .LBB134_1517
; %bb.1516:
	v_add_nc_u32_e32 v26, 0x80, v26
	s_mov_b32 s36, -1
	s_branch .LBB134_1519
.LBB134_1517:
	s_mov_b32 s36, 0
.LBB134_1518:
                                        ; implicit-def: $vgpr26
.LBB134_1519:
	s_and_not1_b32 s35, s26, exec_lo
	s_and_b32 s0, s0, exec_lo
	s_and_not1_b32 s37, s27, exec_lo
	s_and_b32 s34, s34, exec_lo
	s_or_b32 s35, s35, s0
	s_or_b32 s34, s37, s34
	s_and_not1_b32 s0, s28, exec_lo
	s_and_b32 s33, s33, exec_lo
	s_and_not1_b32 s37, s25, exec_lo
	s_and_b32 s31, s31, exec_lo
	s_or_b32 s33, s0, s33
	s_or_b32 s31, s37, s31
	s_or_not1_b32 s39, s36, exec_lo
.LBB134_1520:
	s_wait_xcnt 0x0
	s_or_b32 exec_lo, exec_lo, s30
	s_mov_b32 s36, 0
	s_mov_b32 s37, 0
	;; [unrolled: 1-line block ×3, first 2 shown]
                                        ; implicit-def: $sgpr0
                                        ; implicit-def: $vgpr2_vgpr3
                                        ; implicit-def: $vgpr0
	s_and_saveexec_b32 s30, s39
	s_cbranch_execz .LBB134_1597
; %bb.1521:
	v_cmp_gt_i32_e32 vcc_lo, s20, v26
	s_mov_b32 s40, s31
	s_mov_b32 s39, 0
	;; [unrolled: 1-line block ×3, first 2 shown]
                                        ; implicit-def: $sgpr0
                                        ; implicit-def: $vgpr2_vgpr3
                                        ; implicit-def: $vgpr0
	s_and_saveexec_b32 s20, vcc_lo
	s_cbranch_execz .LBB134_1596
; %bb.1522:
	s_wait_loadcnt 0x0
	v_mul_lo_u32 v0, v26, s13
	s_and_b32 s0, s17, 0xff
	s_delay_alu instid0(SALU_CYCLE_1) | instskip(NEXT) | instid1(VALU_DEP_1)
	s_cmp_lt_i32 s0, 11
	v_ashrrev_i32_e32 v1, 31, v0
	s_delay_alu instid0(VALU_DEP_1)
	v_add_nc_u64_e32 v[2:3], s[6:7], v[0:1]
	s_cbranch_scc1 .LBB134_1529
; %bb.1523:
	s_and_b32 s36, 0xffff, s0
	s_delay_alu instid0(SALU_CYCLE_1)
	s_cmp_gt_i32 s36, 25
	s_cbranch_scc0 .LBB134_1530
; %bb.1524:
	s_cmp_gt_i32 s36, 28
	s_cbranch_scc0 .LBB134_1531
; %bb.1525:
	;; [unrolled: 3-line block ×4, first 2 shown]
	s_cmp_eq_u32 s36, 46
	s_mov_b32 s40, 0
	s_cbranch_scc0 .LBB134_1534
; %bb.1528:
	global_load_b32 v0, v[2:3], off
	s_mov_b32 s39, -1
	s_wait_loadcnt 0x0
	v_lshlrev_b32_e32 v0, 16, v0
	s_delay_alu instid0(VALU_DEP_1)
	v_cvt_i32_f32_e32 v0, v0
	s_branch .LBB134_1536
.LBB134_1529:
	s_mov_b32 s36, -1
	s_mov_b32 s37, s31
                                        ; implicit-def: $vgpr0
	s_branch .LBB134_1595
.LBB134_1530:
	s_mov_b32 s40, -1
	s_mov_b32 s37, s31
                                        ; implicit-def: $vgpr0
	s_branch .LBB134_1563
.LBB134_1531:
	s_mov_b32 s40, -1
	s_mov_b32 s37, s31
                                        ; implicit-def: $vgpr0
	s_branch .LBB134_1546
.LBB134_1532:
	s_mov_b32 s40, -1
	s_mov_b32 s37, s31
                                        ; implicit-def: $vgpr0
	s_branch .LBB134_1541
.LBB134_1533:
	s_mov_b32 s40, -1
	s_mov_b32 s37, s31
	s_branch .LBB134_1535
.LBB134_1534:
	s_mov_b32 s37, -1
.LBB134_1535:
                                        ; implicit-def: $vgpr0
.LBB134_1536:
	s_and_b32 vcc_lo, exec_lo, s40
	s_cbranch_vccz .LBB134_1540
; %bb.1537:
	s_cmp_eq_u32 s36, 44
	s_cbranch_scc0 .LBB134_1539
; %bb.1538:
	global_load_u8 v0, v[2:3], off
	s_mov_b32 s37, 0
	s_mov_b32 s39, -1
	s_wait_loadcnt 0x0
	v_lshlrev_b32_e32 v1, 23, v0
	v_cmp_ne_u32_e32 vcc_lo, 0, v0
	s_delay_alu instid0(VALU_DEP_2) | instskip(NEXT) | instid1(VALU_DEP_1)
	v_cvt_i32_f32_e32 v1, v1
	v_cndmask_b32_e32 v0, 0, v1, vcc_lo
	s_branch .LBB134_1540
.LBB134_1539:
	s_mov_b32 s37, -1
                                        ; implicit-def: $vgpr0
.LBB134_1540:
	s_mov_b32 s40, 0
.LBB134_1541:
	s_delay_alu instid0(SALU_CYCLE_1)
	s_and_b32 vcc_lo, exec_lo, s40
	s_cbranch_vccz .LBB134_1545
; %bb.1542:
	s_cmp_eq_u32 s36, 29
	s_cbranch_scc0 .LBB134_1544
; %bb.1543:
	global_load_b64 v[0:1], v[2:3], off
	s_mov_b32 s37, 0
	s_mov_b32 s39, -1
	s_branch .LBB134_1545
.LBB134_1544:
	s_mov_b32 s37, -1
                                        ; implicit-def: $vgpr0
.LBB134_1545:
	s_mov_b32 s40, 0
.LBB134_1546:
	s_delay_alu instid0(SALU_CYCLE_1)
	s_and_b32 vcc_lo, exec_lo, s40
	s_cbranch_vccz .LBB134_1562
; %bb.1547:
	s_cmp_lt_i32 s36, 27
	s_cbranch_scc1 .LBB134_1550
; %bb.1548:
	s_cmp_gt_i32 s36, 27
	s_cbranch_scc0 .LBB134_1551
; %bb.1549:
	s_wait_loadcnt 0x0
	global_load_b32 v0, v[2:3], off
	s_mov_b32 s39, 0
	s_branch .LBB134_1552
.LBB134_1550:
	s_mov_b32 s39, -1
                                        ; implicit-def: $vgpr0
	s_branch .LBB134_1555
.LBB134_1551:
	s_mov_b32 s39, -1
                                        ; implicit-def: $vgpr0
.LBB134_1552:
	s_delay_alu instid0(SALU_CYCLE_1)
	s_and_not1_b32 vcc_lo, exec_lo, s39
	s_cbranch_vccnz .LBB134_1554
; %bb.1553:
	s_wait_loadcnt 0x0
	global_load_u16 v0, v[2:3], off
.LBB134_1554:
	s_mov_b32 s39, 0
.LBB134_1555:
	s_delay_alu instid0(SALU_CYCLE_1)
	s_and_not1_b32 vcc_lo, exec_lo, s39
	s_cbranch_vccnz .LBB134_1561
; %bb.1556:
	s_wait_loadcnt 0x0
	global_load_u8 v1, v[2:3], off
	s_mov_b32 s40, 0
	s_mov_b32 s39, exec_lo
	s_wait_loadcnt 0x0
	v_cmpx_lt_i16_e32 0x7f, v1
	s_xor_b32 s39, exec_lo, s39
	s_cbranch_execz .LBB134_1573
; %bb.1557:
	v_cmp_ne_u16_e32 vcc_lo, 0x80, v1
	s_and_b32 s40, vcc_lo, exec_lo
	s_and_not1_saveexec_b32 s39, s39
	s_cbranch_execnz .LBB134_1574
.LBB134_1558:
	s_or_b32 exec_lo, exec_lo, s39
	v_mov_b32_e32 v0, 0
	s_and_saveexec_b32 s39, s40
	s_cbranch_execz .LBB134_1560
.LBB134_1559:
	v_and_b32_e32 v0, 0xffff, v1
	s_delay_alu instid0(VALU_DEP_1) | instskip(SKIP_1) | instid1(VALU_DEP_2)
	v_and_b32_e32 v4, 7, v0
	v_bfe_u32 v7, v0, 3, 4
	v_clz_i32_u32_e32 v5, v4
	s_delay_alu instid0(VALU_DEP_2) | instskip(NEXT) | instid1(VALU_DEP_2)
	v_cmp_eq_u32_e32 vcc_lo, 0, v7
	v_min_u32_e32 v5, 32, v5
	s_delay_alu instid0(VALU_DEP_1) | instskip(NEXT) | instid1(VALU_DEP_1)
	v_subrev_nc_u32_e32 v6, 28, v5
	v_dual_lshlrev_b32 v0, v6, v0 :: v_dual_sub_nc_u32 v5, 29, v5
	s_delay_alu instid0(VALU_DEP_1) | instskip(NEXT) | instid1(VALU_DEP_1)
	v_dual_lshlrev_b32 v1, 24, v1 :: v_dual_bitop2_b32 v0, 7, v0 bitop3:0x40
	v_dual_cndmask_b32 v0, v4, v0 :: v_dual_cndmask_b32 v5, v7, v5
	s_delay_alu instid0(VALU_DEP_2) | instskip(NEXT) | instid1(VALU_DEP_2)
	v_and_b32_e32 v1, 0x80000000, v1
	v_lshlrev_b32_e32 v0, 20, v0
	s_delay_alu instid0(VALU_DEP_3) | instskip(NEXT) | instid1(VALU_DEP_1)
	v_lshl_add_u32 v4, v5, 23, 0x3b800000
	v_or3_b32 v0, v1, v4, v0
	s_delay_alu instid0(VALU_DEP_1)
	v_cvt_i32_f32_e32 v0, v0
.LBB134_1560:
	s_or_b32 exec_lo, exec_lo, s39
.LBB134_1561:
	s_mov_b32 s39, -1
.LBB134_1562:
	s_mov_b32 s40, 0
.LBB134_1563:
	s_delay_alu instid0(SALU_CYCLE_1)
	s_and_b32 vcc_lo, exec_lo, s40
	s_cbranch_vccz .LBB134_1594
; %bb.1564:
	s_cmp_gt_i32 s36, 22
	s_cbranch_scc0 .LBB134_1572
; %bb.1565:
	s_cmp_lt_i32 s36, 24
	s_cbranch_scc1 .LBB134_1575
; %bb.1566:
	s_cmp_gt_i32 s36, 24
	s_cbranch_scc0 .LBB134_1576
; %bb.1567:
	s_wait_loadcnt 0x0
	global_load_u8 v1, v[2:3], off
	s_mov_b32 s39, 0
	s_mov_b32 s38, exec_lo
	s_wait_loadcnt 0x0
	v_cmpx_lt_i16_e32 0x7f, v1
	s_xor_b32 s38, exec_lo, s38
	s_cbranch_execz .LBB134_1588
; %bb.1568:
	v_cmp_ne_u16_e32 vcc_lo, 0x80, v1
	s_and_b32 s39, vcc_lo, exec_lo
	s_and_not1_saveexec_b32 s38, s38
	s_cbranch_execnz .LBB134_1589
.LBB134_1569:
	s_or_b32 exec_lo, exec_lo, s38
	v_mov_b32_e32 v0, 0
	s_and_saveexec_b32 s38, s39
	s_cbranch_execz .LBB134_1571
.LBB134_1570:
	v_and_b32_e32 v0, 0xffff, v1
	s_delay_alu instid0(VALU_DEP_1) | instskip(SKIP_1) | instid1(VALU_DEP_2)
	v_and_b32_e32 v4, 3, v0
	v_bfe_u32 v7, v0, 2, 5
	v_clz_i32_u32_e32 v5, v4
	s_delay_alu instid0(VALU_DEP_2) | instskip(NEXT) | instid1(VALU_DEP_2)
	v_cmp_eq_u32_e32 vcc_lo, 0, v7
	v_min_u32_e32 v5, 32, v5
	s_delay_alu instid0(VALU_DEP_1) | instskip(NEXT) | instid1(VALU_DEP_1)
	v_subrev_nc_u32_e32 v6, 29, v5
	v_dual_lshlrev_b32 v0, v6, v0 :: v_dual_sub_nc_u32 v5, 30, v5
	s_delay_alu instid0(VALU_DEP_1) | instskip(NEXT) | instid1(VALU_DEP_1)
	v_dual_lshlrev_b32 v1, 24, v1 :: v_dual_bitop2_b32 v0, 3, v0 bitop3:0x40
	v_dual_cndmask_b32 v0, v4, v0 :: v_dual_cndmask_b32 v5, v7, v5
	s_delay_alu instid0(VALU_DEP_2) | instskip(NEXT) | instid1(VALU_DEP_2)
	v_and_b32_e32 v1, 0x80000000, v1
	v_lshlrev_b32_e32 v0, 21, v0
	s_delay_alu instid0(VALU_DEP_3) | instskip(NEXT) | instid1(VALU_DEP_1)
	v_lshl_add_u32 v4, v5, 23, 0x37800000
	v_or3_b32 v0, v1, v4, v0
	s_delay_alu instid0(VALU_DEP_1)
	v_cvt_i32_f32_e32 v0, v0
.LBB134_1571:
	s_or_b32 exec_lo, exec_lo, s38
	s_mov_b32 s38, 0
	s_branch .LBB134_1577
.LBB134_1572:
	s_mov_b32 s38, -1
                                        ; implicit-def: $vgpr0
	s_branch .LBB134_1583
.LBB134_1573:
	s_and_not1_saveexec_b32 s39, s39
	s_cbranch_execz .LBB134_1558
.LBB134_1574:
	v_cmp_ne_u16_e32 vcc_lo, 0, v1
	s_and_not1_b32 s40, s40, exec_lo
	s_and_b32 s41, vcc_lo, exec_lo
	s_delay_alu instid0(SALU_CYCLE_1)
	s_or_b32 s40, s40, s41
	s_or_b32 exec_lo, exec_lo, s39
	v_mov_b32_e32 v0, 0
	s_and_saveexec_b32 s39, s40
	s_cbranch_execnz .LBB134_1559
	s_branch .LBB134_1560
.LBB134_1575:
	s_mov_b32 s38, -1
                                        ; implicit-def: $vgpr0
	s_branch .LBB134_1580
.LBB134_1576:
	s_mov_b32 s38, -1
                                        ; implicit-def: $vgpr0
.LBB134_1577:
	s_delay_alu instid0(SALU_CYCLE_1)
	s_and_b32 vcc_lo, exec_lo, s38
	s_cbranch_vccz .LBB134_1579
; %bb.1578:
	s_wait_loadcnt 0x0
	global_load_u8 v0, v[2:3], off
	s_wait_loadcnt 0x0
	v_lshlrev_b32_e32 v0, 24, v0
	s_delay_alu instid0(VALU_DEP_1) | instskip(NEXT) | instid1(VALU_DEP_1)
	v_and_b32_e32 v1, 0x7f000000, v0
	v_clz_i32_u32_e32 v4, v1
	v_cmp_ne_u32_e32 vcc_lo, 0, v1
	v_add_nc_u32_e32 v6, 0x1000000, v1
	s_delay_alu instid0(VALU_DEP_3) | instskip(NEXT) | instid1(VALU_DEP_1)
	v_min_u32_e32 v4, 32, v4
	v_sub_nc_u32_e64 v4, v4, 4 clamp
	s_delay_alu instid0(VALU_DEP_1) | instskip(NEXT) | instid1(VALU_DEP_1)
	v_dual_lshlrev_b32 v5, v4, v1 :: v_dual_lshlrev_b32 v4, 23, v4
	v_lshrrev_b32_e32 v5, 4, v5
	s_delay_alu instid0(VALU_DEP_1) | instskip(NEXT) | instid1(VALU_DEP_1)
	v_dual_sub_nc_u32 v4, v5, v4 :: v_dual_ashrrev_i32 v5, 8, v6
	v_add_nc_u32_e32 v4, 0x3c000000, v4
	s_delay_alu instid0(VALU_DEP_1) | instskip(NEXT) | instid1(VALU_DEP_1)
	v_and_or_b32 v4, 0x7f800000, v5, v4
	v_cndmask_b32_e32 v1, 0, v4, vcc_lo
	s_delay_alu instid0(VALU_DEP_1) | instskip(NEXT) | instid1(VALU_DEP_1)
	v_and_or_b32 v0, 0x80000000, v0, v1
	v_cvt_i32_f32_e32 v0, v0
.LBB134_1579:
	s_mov_b32 s38, 0
.LBB134_1580:
	s_delay_alu instid0(SALU_CYCLE_1)
	s_and_not1_b32 vcc_lo, exec_lo, s38
	s_cbranch_vccnz .LBB134_1582
; %bb.1581:
	s_wait_loadcnt 0x0
	global_load_u8 v0, v[2:3], off
	s_wait_loadcnt 0x0
	v_lshlrev_b32_e32 v1, 25, v0
	v_lshlrev_b16 v0, 8, v0
	s_delay_alu instid0(VALU_DEP_1) | instskip(SKIP_1) | instid1(VALU_DEP_2)
	v_and_or_b32 v5, 0x7f00, v0, 0.5
	v_bfe_i32 v0, v0, 0, 16
	v_add_f32_e32 v5, -0.5, v5
	v_lshrrev_b32_e32 v4, 4, v1
	v_cmp_gt_u32_e32 vcc_lo, 0x8000000, v1
	s_delay_alu instid0(VALU_DEP_2) | instskip(NEXT) | instid1(VALU_DEP_1)
	v_or_b32_e32 v4, 0x70000000, v4
	v_mul_f32_e32 v4, 0x7800000, v4
	s_delay_alu instid0(VALU_DEP_1) | instskip(NEXT) | instid1(VALU_DEP_1)
	v_cndmask_b32_e32 v1, v4, v5, vcc_lo
	v_and_or_b32 v0, 0x80000000, v0, v1
	s_delay_alu instid0(VALU_DEP_1)
	v_cvt_i32_f32_e32 v0, v0
.LBB134_1582:
	s_mov_b32 s38, 0
	s_mov_b32 s39, -1
.LBB134_1583:
	s_and_not1_b32 vcc_lo, exec_lo, s38
	s_mov_b32 s38, 0
	s_cbranch_vccnz .LBB134_1594
; %bb.1584:
	s_cmp_gt_i32 s36, 14
	s_cbranch_scc0 .LBB134_1587
; %bb.1585:
	s_cmp_eq_u32 s36, 15
	s_cbranch_scc0 .LBB134_1590
; %bb.1586:
	s_wait_loadcnt 0x0
	global_load_u16 v0, v[2:3], off
	s_mov_b32 s37, 0
	s_mov_b32 s39, -1
	s_wait_loadcnt 0x0
	v_lshlrev_b32_e32 v0, 16, v0
	s_delay_alu instid0(VALU_DEP_1)
	v_cvt_i32_f32_e32 v0, v0
	s_branch .LBB134_1592
.LBB134_1587:
	s_mov_b32 s38, -1
	s_branch .LBB134_1591
.LBB134_1588:
	s_and_not1_saveexec_b32 s38, s38
	s_cbranch_execz .LBB134_1569
.LBB134_1589:
	v_cmp_ne_u16_e32 vcc_lo, 0, v1
	s_and_not1_b32 s39, s39, exec_lo
	s_and_b32 s40, vcc_lo, exec_lo
	s_delay_alu instid0(SALU_CYCLE_1)
	s_or_b32 s39, s39, s40
	s_or_b32 exec_lo, exec_lo, s38
	v_mov_b32_e32 v0, 0
	s_and_saveexec_b32 s38, s39
	s_cbranch_execnz .LBB134_1570
	s_branch .LBB134_1571
.LBB134_1590:
	s_mov_b32 s37, -1
.LBB134_1591:
                                        ; implicit-def: $vgpr0
.LBB134_1592:
	s_and_b32 vcc_lo, exec_lo, s38
	s_mov_b32 s38, 0
	s_cbranch_vccz .LBB134_1594
; %bb.1593:
	s_cmp_lg_u32 s36, 11
	s_mov_b32 s38, -1
	s_cselect_b32 s36, -1, 0
	s_and_not1_b32 s37, s37, exec_lo
	s_and_b32 s36, s36, exec_lo
	s_delay_alu instid0(SALU_CYCLE_1)
	s_or_b32 s37, s37, s36
.LBB134_1594:
	s_mov_b32 s36, 0
.LBB134_1595:
	s_and_not1_b32 s40, s31, exec_lo
	s_and_b32 s37, s37, exec_lo
	s_and_b32 s41, s39, exec_lo
	;; [unrolled: 1-line block ×4, first 2 shown]
	s_or_b32 s40, s40, s37
.LBB134_1596:
	s_wait_xcnt 0x0
	s_or_b32 exec_lo, exec_lo, s20
	s_delay_alu instid0(SALU_CYCLE_1)
	s_and_not1_b32 s20, s31, exec_lo
	s_and_b32 s31, s40, exec_lo
	s_and_b32 s38, s41, exec_lo
	;; [unrolled: 1-line block ×4, first 2 shown]
	s_or_b32 s31, s20, s31
.LBB134_1597:
	s_or_b32 exec_lo, exec_lo, s30
	s_delay_alu instid0(SALU_CYCLE_1)
	s_and_not1_b32 s20, s26, exec_lo
	s_and_b32 s26, s35, exec_lo
	s_and_not1_b32 s28, s28, exec_lo
	s_or_b32 s26, s20, s26
	s_and_not1_b32 s20, s27, exec_lo
	s_and_b32 s27, s34, exec_lo
	s_and_b32 s30, s33, exec_lo
	s_or_b32 s27, s20, s27
	s_and_not1_b32 s20, s25, exec_lo
	s_and_b32 s25, s31, exec_lo
	s_or_b32 s28, s28, s30
	s_and_b32 s34, s38, exec_lo
	s_and_b32 s33, s37, exec_lo
	;; [unrolled: 1-line block ×3, first 2 shown]
	s_or_b32 s25, s20, s25
.LBB134_1598:
	s_or_b32 exec_lo, exec_lo, s29
	s_delay_alu instid0(SALU_CYCLE_1)
	s_and_not1_b32 s19, s19, exec_lo
	s_and_b32 s20, s26, exec_lo
	s_and_not1_b32 s22, s22, exec_lo
	s_or_b32 s19, s19, s20
	s_and_not1_b32 s20, s21, exec_lo
	s_and_b32 s21, s27, exec_lo
	s_and_b32 s26, s28, exec_lo
	s_or_b32 s21, s20, s21
	s_and_not1_b32 s20, s23, exec_lo
	s_and_b32 s23, s25, exec_lo
	s_or_b32 s22, s22, s26
	s_and_b32 s26, s34, exec_lo
	s_and_b32 s27, s33, exec_lo
	;; [unrolled: 1-line block ×3, first 2 shown]
	s_or_b32 s23, s20, s23
	s_or_b32 exec_lo, exec_lo, s24
	s_mov_b32 s20, 0
	s_and_saveexec_b32 s24, s23
	s_cbranch_execz .LBB134_510
.LBB134_1599:
	s_mov_b32 s20, exec_lo
	s_and_not1_b32 s25, s25, exec_lo
	s_trap 2
	s_or_b32 exec_lo, exec_lo, s24
	s_and_saveexec_b32 s23, s25
	s_delay_alu instid0(SALU_CYCLE_1)
	s_xor_b32 s23, exec_lo, s23
	s_cbranch_execnz .LBB134_511
.LBB134_1600:
	s_or_b32 exec_lo, exec_lo, s23
	s_and_saveexec_b32 s23, s27
	s_cbranch_execz .LBB134_1646
.LBB134_1601:
	s_sext_i32_i16 s24, s0
	s_delay_alu instid0(SALU_CYCLE_1)
	s_cmp_lt_i32 s24, 5
	s_cbranch_scc1 .LBB134_1606
; %bb.1602:
	s_cmp_lt_i32 s24, 8
	s_cbranch_scc1 .LBB134_1607
; %bb.1603:
	;; [unrolled: 3-line block ×3, first 2 shown]
	s_cmp_gt_i32 s24, 9
	s_cbranch_scc0 .LBB134_1609
; %bb.1605:
	s_wait_loadcnt 0x0
	global_load_b64 v[0:1], v[2:3], off
	s_mov_b32 s24, 0
	s_wait_loadcnt 0x0
	v_cvt_i32_f64_e32 v0, v[0:1]
	s_branch .LBB134_1610
.LBB134_1606:
                                        ; implicit-def: $vgpr0
	s_branch .LBB134_1627
.LBB134_1607:
                                        ; implicit-def: $vgpr0
	s_branch .LBB134_1616
.LBB134_1608:
	s_mov_b32 s24, -1
                                        ; implicit-def: $vgpr0
	s_branch .LBB134_1613
.LBB134_1609:
	s_mov_b32 s24, -1
                                        ; implicit-def: $vgpr0
.LBB134_1610:
	s_delay_alu instid0(SALU_CYCLE_1)
	s_and_not1_b32 vcc_lo, exec_lo, s24
	s_cbranch_vccnz .LBB134_1612
; %bb.1611:
	s_wait_loadcnt 0x0
	global_load_b32 v0, v[2:3], off
	s_wait_loadcnt 0x0
	v_cvt_i32_f32_e32 v0, v0
.LBB134_1612:
	s_mov_b32 s24, 0
.LBB134_1613:
	s_delay_alu instid0(SALU_CYCLE_1)
	s_and_not1_b32 vcc_lo, exec_lo, s24
	s_cbranch_vccnz .LBB134_1615
; %bb.1614:
	s_wait_loadcnt 0x0
	global_load_b32 v0, v[2:3], off
	s_wait_loadcnt 0x0
	v_cvt_i16_f16_e32 v0, v0
.LBB134_1615:
	s_cbranch_execnz .LBB134_1626
.LBB134_1616:
	s_sext_i32_i16 s24, s0
	s_delay_alu instid0(SALU_CYCLE_1)
	s_cmp_lt_i32 s24, 6
	s_cbranch_scc1 .LBB134_1619
; %bb.1617:
	s_cmp_gt_i32 s24, 6
	s_cbranch_scc0 .LBB134_1620
; %bb.1618:
	s_wait_loadcnt 0x0
	global_load_b64 v[0:1], v[2:3], off
	s_mov_b32 s24, 0
	s_wait_loadcnt 0x0
	v_cvt_i32_f64_e32 v0, v[0:1]
	s_branch .LBB134_1621
.LBB134_1619:
	s_mov_b32 s24, -1
                                        ; implicit-def: $vgpr0
	s_branch .LBB134_1624
.LBB134_1620:
	s_mov_b32 s24, -1
                                        ; implicit-def: $vgpr0
.LBB134_1621:
	s_delay_alu instid0(SALU_CYCLE_1)
	s_and_not1_b32 vcc_lo, exec_lo, s24
	s_cbranch_vccnz .LBB134_1623
; %bb.1622:
	s_wait_loadcnt 0x0
	global_load_b32 v0, v[2:3], off
	s_wait_loadcnt 0x0
	v_cvt_i32_f32_e32 v0, v0
.LBB134_1623:
	s_mov_b32 s24, 0
.LBB134_1624:
	s_delay_alu instid0(SALU_CYCLE_1)
	s_and_not1_b32 vcc_lo, exec_lo, s24
	s_cbranch_vccnz .LBB134_1626
; %bb.1625:
	s_wait_loadcnt 0x0
	global_load_u16 v0, v[2:3], off
	s_wait_loadcnt 0x0
	v_cvt_i16_f16_e32 v0, v0
.LBB134_1626:
	s_cbranch_execnz .LBB134_1645
.LBB134_1627:
	s_sext_i32_i16 s24, s0
	s_delay_alu instid0(SALU_CYCLE_1)
	s_cmp_lt_i32 s24, 2
	s_cbranch_scc1 .LBB134_1631
; %bb.1628:
	s_cmp_lt_i32 s24, 3
	s_cbranch_scc1 .LBB134_1632
; %bb.1629:
	s_cmp_gt_i32 s24, 3
	s_cbranch_scc0 .LBB134_1633
; %bb.1630:
	s_wait_loadcnt 0x0
	global_load_b64 v[0:1], v[2:3], off
	s_mov_b32 s24, 0
	s_branch .LBB134_1634
.LBB134_1631:
                                        ; implicit-def: $vgpr0
	s_branch .LBB134_1640
.LBB134_1632:
	s_mov_b32 s24, -1
                                        ; implicit-def: $vgpr0
	s_branch .LBB134_1637
.LBB134_1633:
	s_mov_b32 s24, -1
                                        ; implicit-def: $vgpr0
.LBB134_1634:
	s_delay_alu instid0(SALU_CYCLE_1)
	s_and_not1_b32 vcc_lo, exec_lo, s24
	s_cbranch_vccnz .LBB134_1636
; %bb.1635:
	s_wait_loadcnt 0x0
	global_load_b32 v0, v[2:3], off
.LBB134_1636:
	s_mov_b32 s24, 0
.LBB134_1637:
	s_delay_alu instid0(SALU_CYCLE_1)
	s_and_not1_b32 vcc_lo, exec_lo, s24
	s_cbranch_vccnz .LBB134_1639
; %bb.1638:
	s_wait_loadcnt 0x0
	global_load_u16 v0, v[2:3], off
.LBB134_1639:
	s_cbranch_execnz .LBB134_1645
.LBB134_1640:
	s_sext_i32_i16 s0, s0
	s_delay_alu instid0(SALU_CYCLE_1)
	s_cmp_gt_i32 s0, 0
	s_mov_b32 s0, 0
	s_cbranch_scc0 .LBB134_1642
; %bb.1641:
	s_wait_loadcnt 0x0
	global_load_i8 v0, v[2:3], off
	s_branch .LBB134_1643
.LBB134_1642:
	s_mov_b32 s0, -1
                                        ; implicit-def: $vgpr0
.LBB134_1643:
	s_delay_alu instid0(SALU_CYCLE_1)
	s_and_not1_b32 vcc_lo, exec_lo, s0
	s_cbranch_vccnz .LBB134_1645
; %bb.1644:
	s_wait_loadcnt 0x0
	global_load_u8 v0, v[2:3], off
.LBB134_1645:
	s_or_b32 s26, s26, exec_lo
.LBB134_1646:
	s_wait_xcnt 0x0
	s_or_b32 exec_lo, exec_lo, s23
	s_mov_b32 s25, 0
	s_mov_b32 s27, 0
	;; [unrolled: 1-line block ×3, first 2 shown]
                                        ; implicit-def: $sgpr0
                                        ; implicit-def: $vgpr4_vgpr5
                                        ; implicit-def: $vgpr2
	s_and_saveexec_b32 s23, s26
	s_cbranch_execz .LBB134_1654
; %bb.1647:
	s_wait_loadcnt 0x0
	v_mul_lo_u32 v2, v26, s14
	s_and_b32 s0, s3, 0xff
	s_delay_alu instid0(SALU_CYCLE_1) | instskip(NEXT) | instid1(VALU_DEP_1)
	s_cmp_lt_i32 s0, 11
	v_ashrrev_i32_e32 v3, 31, v2
	s_delay_alu instid0(VALU_DEP_1)
	v_add_nc_u64_e32 v[4:5], s[8:9], v[2:3]
	s_cbranch_scc1 .LBB134_1657
; %bb.1648:
	s_and_b32 s24, 0xffff, s0
	s_mov_b32 s26, 0
	s_cmp_gt_i32 s24, 25
	s_cbranch_scc0 .LBB134_1658
; %bb.1649:
	s_cmp_gt_i32 s24, 28
	s_cbranch_scc0 .LBB134_1659
; %bb.1650:
	;; [unrolled: 3-line block ×4, first 2 shown]
	s_cmp_eq_u32 s24, 46
	s_mov_b32 s28, 0
	s_cbranch_scc0 .LBB134_1662
; %bb.1653:
	global_load_b32 v1, v[4:5], off
	s_mov_b32 s27, -1
	s_wait_loadcnt 0x0
	v_lshlrev_b32_e32 v1, 16, v1
	s_delay_alu instid0(VALU_DEP_1)
	v_cvt_i32_f32_e32 v2, v1
	s_branch .LBB134_1664
.LBB134_1654:
	s_or_b32 exec_lo, exec_lo, s23
	s_and_saveexec_b32 s23, s22
	s_cbranch_execnz .LBB134_1723
.LBB134_1655:
	s_or_b32 exec_lo, exec_lo, s23
	s_and_saveexec_b32 s22, s25
	s_delay_alu instid0(SALU_CYCLE_1)
	s_xor_b32 s22, exec_lo, s22
	s_cbranch_execz .LBB134_1724
.LBB134_1656:
	s_wait_loadcnt 0x0
	global_load_u8 v1, v[4:5], off
	s_or_b32 s24, s24, exec_lo
	s_wait_loadcnt 0x0
	v_cmp_ne_u16_e32 vcc_lo, 0, v1
	v_cndmask_b32_e64 v2, 0, 1, vcc_lo
	s_wait_xcnt 0x0
	s_or_b32 exec_lo, exec_lo, s22
	s_and_saveexec_b32 s22, s27
	s_cbranch_execz .LBB134_1770
	s_branch .LBB134_1725
.LBB134_1657:
	s_mov_b32 s28, -1
	s_mov_b32 s26, 0
	s_mov_b32 s25, s22
                                        ; implicit-def: $vgpr2
	s_branch .LBB134_1722
.LBB134_1658:
	s_mov_b32 s25, s22
                                        ; implicit-def: $vgpr2
	s_cbranch_execnz .LBB134_1691
	s_branch .LBB134_1721
.LBB134_1659:
	s_mov_b32 s28, -1
	s_mov_b32 s25, s22
                                        ; implicit-def: $vgpr2
	s_branch .LBB134_1674
.LBB134_1660:
	s_mov_b32 s28, -1
	s_mov_b32 s25, s22
                                        ; implicit-def: $vgpr2
	s_branch .LBB134_1669
.LBB134_1661:
	s_mov_b32 s28, -1
	s_mov_b32 s25, s22
	s_branch .LBB134_1663
.LBB134_1662:
	s_mov_b32 s25, -1
.LBB134_1663:
                                        ; implicit-def: $vgpr2
.LBB134_1664:
	s_and_b32 vcc_lo, exec_lo, s28
	s_cbranch_vccz .LBB134_1668
; %bb.1665:
	s_cmp_eq_u32 s24, 44
	s_cbranch_scc0 .LBB134_1667
; %bb.1666:
	global_load_u8 v1, v[4:5], off
	s_mov_b32 s25, 0
	s_mov_b32 s27, -1
	s_wait_loadcnt 0x0
	v_lshlrev_b32_e32 v2, 23, v1
	v_cmp_ne_u32_e32 vcc_lo, 0, v1
	s_delay_alu instid0(VALU_DEP_2) | instskip(NEXT) | instid1(VALU_DEP_1)
	v_cvt_i32_f32_e32 v2, v2
	v_cndmask_b32_e32 v2, 0, v2, vcc_lo
	s_branch .LBB134_1668
.LBB134_1667:
	s_mov_b32 s25, -1
                                        ; implicit-def: $vgpr2
.LBB134_1668:
	s_mov_b32 s28, 0
.LBB134_1669:
	s_delay_alu instid0(SALU_CYCLE_1)
	s_and_b32 vcc_lo, exec_lo, s28
	s_cbranch_vccz .LBB134_1673
; %bb.1670:
	s_cmp_eq_u32 s24, 29
	s_cbranch_scc0 .LBB134_1672
; %bb.1671:
	global_load_b64 v[2:3], v[4:5], off
	s_mov_b32 s25, 0
	s_mov_b32 s27, -1
	s_branch .LBB134_1673
.LBB134_1672:
	s_mov_b32 s25, -1
                                        ; implicit-def: $vgpr2
.LBB134_1673:
	s_mov_b32 s28, 0
.LBB134_1674:
	s_delay_alu instid0(SALU_CYCLE_1)
	s_and_b32 vcc_lo, exec_lo, s28
	s_cbranch_vccz .LBB134_1690
; %bb.1675:
	s_cmp_lt_i32 s24, 27
	s_cbranch_scc1 .LBB134_1678
; %bb.1676:
	s_cmp_gt_i32 s24, 27
	s_cbranch_scc0 .LBB134_1679
; %bb.1677:
	s_wait_loadcnt 0x0
	global_load_b32 v2, v[4:5], off
	s_mov_b32 s27, 0
	s_branch .LBB134_1680
.LBB134_1678:
	s_mov_b32 s27, -1
                                        ; implicit-def: $vgpr2
	s_branch .LBB134_1683
.LBB134_1679:
	s_mov_b32 s27, -1
                                        ; implicit-def: $vgpr2
.LBB134_1680:
	s_delay_alu instid0(SALU_CYCLE_1)
	s_and_not1_b32 vcc_lo, exec_lo, s27
	s_cbranch_vccnz .LBB134_1682
; %bb.1681:
	s_wait_loadcnt 0x0
	global_load_u16 v2, v[4:5], off
.LBB134_1682:
	s_mov_b32 s27, 0
.LBB134_1683:
	s_delay_alu instid0(SALU_CYCLE_1)
	s_and_not1_b32 vcc_lo, exec_lo, s27
	s_cbranch_vccnz .LBB134_1689
; %bb.1684:
	global_load_u8 v1, v[4:5], off
	s_mov_b32 s28, 0
	s_mov_b32 s27, exec_lo
	s_wait_loadcnt 0x0
	v_cmpx_lt_i16_e32 0x7f, v1
	s_xor_b32 s27, exec_lo, s27
	s_cbranch_execz .LBB134_1700
; %bb.1685:
	v_cmp_ne_u16_e32 vcc_lo, 0x80, v1
	s_and_b32 s28, vcc_lo, exec_lo
	s_and_not1_saveexec_b32 s27, s27
	s_cbranch_execnz .LBB134_1701
.LBB134_1686:
	s_or_b32 exec_lo, exec_lo, s27
	v_mov_b32_e32 v2, 0
	s_and_saveexec_b32 s27, s28
	s_cbranch_execz .LBB134_1688
.LBB134_1687:
	v_and_b32_e32 v2, 0xffff, v1
	s_delay_alu instid0(VALU_DEP_1) | instskip(SKIP_1) | instid1(VALU_DEP_2)
	v_dual_lshlrev_b32 v1, 24, v1 :: v_dual_bitop2_b32 v3, 7, v2 bitop3:0x40
	v_bfe_u32 v8, v2, 3, 4
	v_and_b32_e32 v1, 0x80000000, v1
	s_delay_alu instid0(VALU_DEP_3) | instskip(NEXT) | instid1(VALU_DEP_3)
	v_clz_i32_u32_e32 v6, v3
	v_cmp_eq_u32_e32 vcc_lo, 0, v8
	s_delay_alu instid0(VALU_DEP_2) | instskip(NEXT) | instid1(VALU_DEP_1)
	v_min_u32_e32 v6, 32, v6
	v_subrev_nc_u32_e32 v7, 28, v6
	v_sub_nc_u32_e32 v6, 29, v6
	s_delay_alu instid0(VALU_DEP_2) | instskip(NEXT) | instid1(VALU_DEP_2)
	v_lshlrev_b32_e32 v2, v7, v2
	v_cndmask_b32_e32 v6, v8, v6, vcc_lo
	s_delay_alu instid0(VALU_DEP_2) | instskip(NEXT) | instid1(VALU_DEP_1)
	v_and_b32_e32 v2, 7, v2
	v_cndmask_b32_e32 v2, v3, v2, vcc_lo
	s_delay_alu instid0(VALU_DEP_3) | instskip(NEXT) | instid1(VALU_DEP_2)
	v_lshl_add_u32 v3, v6, 23, 0x3b800000
	v_lshlrev_b32_e32 v2, 20, v2
	s_delay_alu instid0(VALU_DEP_1) | instskip(NEXT) | instid1(VALU_DEP_1)
	v_or3_b32 v1, v1, v3, v2
	v_cvt_i32_f32_e32 v2, v1
.LBB134_1688:
	s_or_b32 exec_lo, exec_lo, s27
.LBB134_1689:
	s_mov_b32 s27, -1
.LBB134_1690:
	s_branch .LBB134_1721
.LBB134_1691:
	s_cmp_gt_i32 s24, 22
	s_cbranch_scc0 .LBB134_1699
; %bb.1692:
	s_cmp_lt_i32 s24, 24
	s_cbranch_scc1 .LBB134_1702
; %bb.1693:
	s_cmp_gt_i32 s24, 24
	s_cbranch_scc0 .LBB134_1703
; %bb.1694:
	global_load_u8 v1, v[4:5], off
	s_mov_b32 s27, 0
	s_mov_b32 s26, exec_lo
	s_wait_loadcnt 0x0
	v_cmpx_lt_i16_e32 0x7f, v1
	s_xor_b32 s26, exec_lo, s26
	s_cbranch_execz .LBB134_1715
; %bb.1695:
	v_cmp_ne_u16_e32 vcc_lo, 0x80, v1
	s_and_b32 s27, vcc_lo, exec_lo
	s_and_not1_saveexec_b32 s26, s26
	s_cbranch_execnz .LBB134_1716
.LBB134_1696:
	s_or_b32 exec_lo, exec_lo, s26
	v_mov_b32_e32 v2, 0
	s_and_saveexec_b32 s26, s27
	s_cbranch_execz .LBB134_1698
.LBB134_1697:
	v_and_b32_e32 v2, 0xffff, v1
	s_delay_alu instid0(VALU_DEP_1) | instskip(SKIP_1) | instid1(VALU_DEP_2)
	v_dual_lshlrev_b32 v1, 24, v1 :: v_dual_bitop2_b32 v3, 3, v2 bitop3:0x40
	v_bfe_u32 v8, v2, 2, 5
	v_and_b32_e32 v1, 0x80000000, v1
	s_delay_alu instid0(VALU_DEP_3) | instskip(NEXT) | instid1(VALU_DEP_3)
	v_clz_i32_u32_e32 v6, v3
	v_cmp_eq_u32_e32 vcc_lo, 0, v8
	s_delay_alu instid0(VALU_DEP_2) | instskip(NEXT) | instid1(VALU_DEP_1)
	v_min_u32_e32 v6, 32, v6
	v_subrev_nc_u32_e32 v7, 29, v6
	v_sub_nc_u32_e32 v6, 30, v6
	s_delay_alu instid0(VALU_DEP_2) | instskip(NEXT) | instid1(VALU_DEP_2)
	v_lshlrev_b32_e32 v2, v7, v2
	v_cndmask_b32_e32 v6, v8, v6, vcc_lo
	s_delay_alu instid0(VALU_DEP_2) | instskip(NEXT) | instid1(VALU_DEP_1)
	v_and_b32_e32 v2, 3, v2
	v_cndmask_b32_e32 v2, v3, v2, vcc_lo
	s_delay_alu instid0(VALU_DEP_3) | instskip(NEXT) | instid1(VALU_DEP_2)
	v_lshl_add_u32 v3, v6, 23, 0x37800000
	v_lshlrev_b32_e32 v2, 21, v2
	s_delay_alu instid0(VALU_DEP_1) | instskip(NEXT) | instid1(VALU_DEP_1)
	v_or3_b32 v1, v1, v3, v2
	v_cvt_i32_f32_e32 v2, v1
.LBB134_1698:
	s_or_b32 exec_lo, exec_lo, s26
	s_mov_b32 s26, 0
	s_branch .LBB134_1704
.LBB134_1699:
	s_mov_b32 s26, -1
                                        ; implicit-def: $vgpr2
	s_branch .LBB134_1710
.LBB134_1700:
	s_and_not1_saveexec_b32 s27, s27
	s_cbranch_execz .LBB134_1686
.LBB134_1701:
	v_cmp_ne_u16_e32 vcc_lo, 0, v1
	s_and_not1_b32 s28, s28, exec_lo
	s_and_b32 s29, vcc_lo, exec_lo
	s_delay_alu instid0(SALU_CYCLE_1)
	s_or_b32 s28, s28, s29
	s_or_b32 exec_lo, exec_lo, s27
	v_mov_b32_e32 v2, 0
	s_and_saveexec_b32 s27, s28
	s_cbranch_execnz .LBB134_1687
	s_branch .LBB134_1688
.LBB134_1702:
	s_mov_b32 s26, -1
                                        ; implicit-def: $vgpr2
	s_branch .LBB134_1707
.LBB134_1703:
	s_mov_b32 s26, -1
                                        ; implicit-def: $vgpr2
.LBB134_1704:
	s_delay_alu instid0(SALU_CYCLE_1)
	s_and_b32 vcc_lo, exec_lo, s26
	s_cbranch_vccz .LBB134_1706
; %bb.1705:
	global_load_u8 v1, v[4:5], off
	s_wait_loadcnt 0x0
	v_lshlrev_b32_e32 v1, 24, v1
	s_delay_alu instid0(VALU_DEP_1) | instskip(NEXT) | instid1(VALU_DEP_1)
	v_and_b32_e32 v2, 0x7f000000, v1
	v_clz_i32_u32_e32 v3, v2
	v_cmp_ne_u32_e32 vcc_lo, 0, v2
	v_add_nc_u32_e32 v7, 0x1000000, v2
	s_delay_alu instid0(VALU_DEP_3) | instskip(NEXT) | instid1(VALU_DEP_1)
	v_min_u32_e32 v3, 32, v3
	v_sub_nc_u32_e64 v3, v3, 4 clamp
	s_delay_alu instid0(VALU_DEP_1) | instskip(NEXT) | instid1(VALU_DEP_1)
	v_dual_lshlrev_b32 v6, v3, v2 :: v_dual_lshlrev_b32 v3, 23, v3
	v_lshrrev_b32_e32 v6, 4, v6
	s_delay_alu instid0(VALU_DEP_1) | instskip(SKIP_1) | instid1(VALU_DEP_2)
	v_sub_nc_u32_e32 v3, v6, v3
	v_ashrrev_i32_e32 v6, 8, v7
	v_add_nc_u32_e32 v3, 0x3c000000, v3
	s_delay_alu instid0(VALU_DEP_1) | instskip(NEXT) | instid1(VALU_DEP_1)
	v_and_or_b32 v3, 0x7f800000, v6, v3
	v_cndmask_b32_e32 v2, 0, v3, vcc_lo
	s_delay_alu instid0(VALU_DEP_1) | instskip(NEXT) | instid1(VALU_DEP_1)
	v_and_or_b32 v1, 0x80000000, v1, v2
	v_cvt_i32_f32_e32 v2, v1
.LBB134_1706:
	s_mov_b32 s26, 0
.LBB134_1707:
	s_delay_alu instid0(SALU_CYCLE_1)
	s_and_not1_b32 vcc_lo, exec_lo, s26
	s_cbranch_vccnz .LBB134_1709
; %bb.1708:
	global_load_u8 v1, v[4:5], off
	s_wait_loadcnt 0x0
	v_lshlrev_b32_e32 v2, 25, v1
	v_lshlrev_b16 v1, 8, v1
	s_delay_alu instid0(VALU_DEP_1) | instskip(SKIP_1) | instid1(VALU_DEP_2)
	v_and_or_b32 v6, 0x7f00, v1, 0.5
	v_bfe_i32 v1, v1, 0, 16
	v_add_f32_e32 v6, -0.5, v6
	v_lshrrev_b32_e32 v3, 4, v2
	v_cmp_gt_u32_e32 vcc_lo, 0x8000000, v2
	s_delay_alu instid0(VALU_DEP_2) | instskip(NEXT) | instid1(VALU_DEP_1)
	v_or_b32_e32 v3, 0x70000000, v3
	v_mul_f32_e32 v3, 0x7800000, v3
	s_delay_alu instid0(VALU_DEP_1) | instskip(NEXT) | instid1(VALU_DEP_1)
	v_cndmask_b32_e32 v2, v3, v6, vcc_lo
	v_and_or_b32 v1, 0x80000000, v1, v2
	s_delay_alu instid0(VALU_DEP_1)
	v_cvt_i32_f32_e32 v2, v1
.LBB134_1709:
	s_mov_b32 s26, 0
	s_mov_b32 s27, -1
.LBB134_1710:
	s_and_not1_b32 vcc_lo, exec_lo, s26
	s_mov_b32 s26, 0
	s_cbranch_vccnz .LBB134_1721
; %bb.1711:
	s_cmp_gt_i32 s24, 14
	s_cbranch_scc0 .LBB134_1714
; %bb.1712:
	s_cmp_eq_u32 s24, 15
	s_cbranch_scc0 .LBB134_1717
; %bb.1713:
	global_load_u16 v1, v[4:5], off
	s_mov_b32 s25, 0
	s_mov_b32 s27, -1
	s_wait_loadcnt 0x0
	v_lshlrev_b32_e32 v1, 16, v1
	s_delay_alu instid0(VALU_DEP_1)
	v_cvt_i32_f32_e32 v2, v1
	s_branch .LBB134_1719
.LBB134_1714:
	s_mov_b32 s26, -1
	s_branch .LBB134_1718
.LBB134_1715:
	s_and_not1_saveexec_b32 s26, s26
	s_cbranch_execz .LBB134_1696
.LBB134_1716:
	v_cmp_ne_u16_e32 vcc_lo, 0, v1
	s_and_not1_b32 s27, s27, exec_lo
	s_and_b32 s28, vcc_lo, exec_lo
	s_delay_alu instid0(SALU_CYCLE_1)
	s_or_b32 s27, s27, s28
	s_or_b32 exec_lo, exec_lo, s26
	v_mov_b32_e32 v2, 0
	s_and_saveexec_b32 s26, s27
	s_cbranch_execnz .LBB134_1697
	s_branch .LBB134_1698
.LBB134_1717:
	s_mov_b32 s25, -1
.LBB134_1718:
                                        ; implicit-def: $vgpr2
.LBB134_1719:
	s_and_b32 vcc_lo, exec_lo, s26
	s_mov_b32 s26, 0
	s_cbranch_vccz .LBB134_1721
; %bb.1720:
	s_cmp_lg_u32 s24, 11
	s_mov_b32 s26, -1
	s_cselect_b32 s24, -1, 0
	s_and_not1_b32 s25, s25, exec_lo
	s_and_b32 s24, s24, exec_lo
	s_delay_alu instid0(SALU_CYCLE_1)
	s_or_b32 s25, s25, s24
.LBB134_1721:
	s_mov_b32 s28, 0
.LBB134_1722:
	s_and_b32 s24, s27, exec_lo
	s_and_b32 s27, s28, exec_lo
	s_and_not1_b32 s22, s22, exec_lo
	s_and_b32 s28, s25, exec_lo
	s_and_b32 s25, s26, exec_lo
	s_or_b32 s22, s22, s28
	s_wait_xcnt 0x0
	s_or_b32 exec_lo, exec_lo, s23
	s_and_saveexec_b32 s23, s22
	s_cbranch_execz .LBB134_1655
.LBB134_1723:
	s_or_b32 s20, s20, exec_lo
	s_and_not1_b32 s25, s25, exec_lo
	s_trap 2
	s_or_b32 exec_lo, exec_lo, s23
	s_and_saveexec_b32 s22, s25
	s_delay_alu instid0(SALU_CYCLE_1)
	s_xor_b32 s22, exec_lo, s22
	s_cbranch_execnz .LBB134_1656
.LBB134_1724:
	s_or_b32 exec_lo, exec_lo, s22
	s_and_saveexec_b32 s22, s27
	s_cbranch_execz .LBB134_1770
.LBB134_1725:
	s_sext_i32_i16 s23, s0
	s_delay_alu instid0(SALU_CYCLE_1)
	s_cmp_lt_i32 s23, 5
	s_cbranch_scc1 .LBB134_1730
; %bb.1726:
	s_cmp_lt_i32 s23, 8
	s_cbranch_scc1 .LBB134_1731
; %bb.1727:
	;; [unrolled: 3-line block ×3, first 2 shown]
	s_cmp_gt_i32 s23, 9
	s_cbranch_scc0 .LBB134_1733
; %bb.1729:
	s_wait_loadcnt 0x0
	global_load_b64 v[2:3], v[4:5], off
	s_mov_b32 s23, 0
	s_wait_loadcnt 0x0
	v_cvt_i32_f64_e32 v2, v[2:3]
	s_branch .LBB134_1734
.LBB134_1730:
                                        ; implicit-def: $vgpr2
	s_branch .LBB134_1751
.LBB134_1731:
                                        ; implicit-def: $vgpr2
	s_branch .LBB134_1740
.LBB134_1732:
	s_mov_b32 s23, -1
                                        ; implicit-def: $vgpr2
	s_branch .LBB134_1737
.LBB134_1733:
	s_mov_b32 s23, -1
                                        ; implicit-def: $vgpr2
.LBB134_1734:
	s_delay_alu instid0(SALU_CYCLE_1)
	s_and_not1_b32 vcc_lo, exec_lo, s23
	s_cbranch_vccnz .LBB134_1736
; %bb.1735:
	s_wait_loadcnt 0x0
	global_load_b32 v1, v[4:5], off
	s_wait_loadcnt 0x0
	v_cvt_i32_f32_e32 v2, v1
.LBB134_1736:
	s_mov_b32 s23, 0
.LBB134_1737:
	s_delay_alu instid0(SALU_CYCLE_1)
	s_and_not1_b32 vcc_lo, exec_lo, s23
	s_cbranch_vccnz .LBB134_1739
; %bb.1738:
	s_wait_loadcnt 0x0
	global_load_b32 v1, v[4:5], off
	s_wait_loadcnt 0x0
	v_cvt_i16_f16_e32 v2, v1
.LBB134_1739:
	s_cbranch_execnz .LBB134_1750
.LBB134_1740:
	s_sext_i32_i16 s23, s0
	s_delay_alu instid0(SALU_CYCLE_1)
	s_cmp_lt_i32 s23, 6
	s_cbranch_scc1 .LBB134_1743
; %bb.1741:
	s_cmp_gt_i32 s23, 6
	s_cbranch_scc0 .LBB134_1744
; %bb.1742:
	s_wait_loadcnt 0x0
	global_load_b64 v[2:3], v[4:5], off
	s_mov_b32 s23, 0
	s_wait_loadcnt 0x0
	v_cvt_i32_f64_e32 v2, v[2:3]
	s_branch .LBB134_1745
.LBB134_1743:
	s_mov_b32 s23, -1
                                        ; implicit-def: $vgpr2
	s_branch .LBB134_1748
.LBB134_1744:
	s_mov_b32 s23, -1
                                        ; implicit-def: $vgpr2
.LBB134_1745:
	s_delay_alu instid0(SALU_CYCLE_1)
	s_and_not1_b32 vcc_lo, exec_lo, s23
	s_cbranch_vccnz .LBB134_1747
; %bb.1746:
	s_wait_loadcnt 0x0
	global_load_b32 v1, v[4:5], off
	s_wait_loadcnt 0x0
	v_cvt_i32_f32_e32 v2, v1
.LBB134_1747:
	s_mov_b32 s23, 0
.LBB134_1748:
	s_delay_alu instid0(SALU_CYCLE_1)
	s_and_not1_b32 vcc_lo, exec_lo, s23
	s_cbranch_vccnz .LBB134_1750
; %bb.1749:
	s_wait_loadcnt 0x0
	global_load_u16 v1, v[4:5], off
	s_wait_loadcnt 0x0
	v_cvt_i16_f16_e32 v2, v1
.LBB134_1750:
	s_cbranch_execnz .LBB134_1769
.LBB134_1751:
	s_sext_i32_i16 s23, s0
	s_delay_alu instid0(SALU_CYCLE_1)
	s_cmp_lt_i32 s23, 2
	s_cbranch_scc1 .LBB134_1755
; %bb.1752:
	s_cmp_lt_i32 s23, 3
	s_cbranch_scc1 .LBB134_1756
; %bb.1753:
	s_cmp_gt_i32 s23, 3
	s_cbranch_scc0 .LBB134_1757
; %bb.1754:
	s_wait_loadcnt 0x0
	global_load_b64 v[2:3], v[4:5], off
	s_mov_b32 s23, 0
	s_branch .LBB134_1758
.LBB134_1755:
                                        ; implicit-def: $vgpr2
	s_branch .LBB134_1764
.LBB134_1756:
	s_mov_b32 s23, -1
                                        ; implicit-def: $vgpr2
	s_branch .LBB134_1761
.LBB134_1757:
	s_mov_b32 s23, -1
                                        ; implicit-def: $vgpr2
.LBB134_1758:
	s_delay_alu instid0(SALU_CYCLE_1)
	s_and_not1_b32 vcc_lo, exec_lo, s23
	s_cbranch_vccnz .LBB134_1760
; %bb.1759:
	s_wait_loadcnt 0x0
	global_load_b32 v2, v[4:5], off
.LBB134_1760:
	s_mov_b32 s23, 0
.LBB134_1761:
	s_delay_alu instid0(SALU_CYCLE_1)
	s_and_not1_b32 vcc_lo, exec_lo, s23
	s_cbranch_vccnz .LBB134_1763
; %bb.1762:
	s_wait_loadcnt 0x0
	global_load_u16 v2, v[4:5], off
.LBB134_1763:
	s_cbranch_execnz .LBB134_1769
.LBB134_1764:
	s_sext_i32_i16 s0, s0
	s_delay_alu instid0(SALU_CYCLE_1)
	s_cmp_gt_i32 s0, 0
	s_mov_b32 s0, 0
	s_cbranch_scc0 .LBB134_1766
; %bb.1765:
	s_wait_loadcnt 0x0
	global_load_i8 v2, v[4:5], off
	s_branch .LBB134_1767
.LBB134_1766:
	s_mov_b32 s0, -1
                                        ; implicit-def: $vgpr2
.LBB134_1767:
	s_delay_alu instid0(SALU_CYCLE_1)
	s_and_not1_b32 vcc_lo, exec_lo, s0
	s_cbranch_vccnz .LBB134_1769
; %bb.1768:
	s_wait_loadcnt 0x0
	global_load_u8 v2, v[4:5], off
.LBB134_1769:
	s_or_b32 s24, s24, exec_lo
.LBB134_1770:
	s_wait_xcnt 0x0
	s_or_b32 exec_lo, exec_lo, s22
	s_mov_b32 s23, 0
	s_mov_b32 s22, 0
	;; [unrolled: 1-line block ×3, first 2 shown]
                                        ; implicit-def: $vgpr4_vgpr5
                                        ; implicit-def: $vgpr6
	s_and_saveexec_b32 s0, s24
	s_cbranch_execz .LBB134_1778
; %bb.1771:
	v_mul_lo_u32 v4, v26, s15
	s_and_b32 s22, 0xffff, s1
	s_delay_alu instid0(SALU_CYCLE_1) | instskip(NEXT) | instid1(VALU_DEP_1)
	s_cmp_lt_i32 s22, 11
	v_ashrrev_i32_e32 v5, 31, v4
	s_delay_alu instid0(VALU_DEP_1)
	v_add_nc_u64_e32 v[4:5], s[10:11], v[4:5]
	s_cbranch_scc1 .LBB134_1781
; %bb.1772:
	s_cmp_gt_i32 s22, 25
	s_mov_b32 s24, 0
	s_cbranch_scc0 .LBB134_1782
; %bb.1773:
	s_cmp_gt_i32 s22, 28
	s_cbranch_scc0 .LBB134_1783
; %bb.1774:
	s_cmp_gt_i32 s22, 43
	;; [unrolled: 3-line block ×3, first 2 shown]
	s_cbranch_scc0 .LBB134_1785
; %bb.1776:
	s_cmp_eq_u32 s22, 46
	s_mov_b32 s26, 0
	s_cbranch_scc0 .LBB134_1786
; %bb.1777:
	s_wait_loadcnt 0x0
	global_load_b32 v1, v[4:5], off
	s_mov_b32 s25, -1
	s_wait_loadcnt 0x0
	v_lshlrev_b32_e32 v1, 16, v1
	s_delay_alu instid0(VALU_DEP_1)
	v_cvt_i32_f32_e32 v6, v1
	s_branch .LBB134_1788
.LBB134_1778:
	s_or_b32 exec_lo, exec_lo, s0
	s_and_saveexec_b32 s0, s21
	s_cbranch_execnz .LBB134_1847
.LBB134_1779:
	s_or_b32 exec_lo, exec_lo, s0
	s_and_saveexec_b32 s0, s23
	s_delay_alu instid0(SALU_CYCLE_1)
	s_xor_b32 s0, exec_lo, s0
	s_cbranch_execz .LBB134_1848
.LBB134_1780:
	s_wait_loadcnt 0x0
	global_load_u8 v1, v[4:5], off
	s_or_b32 s25, s25, exec_lo
	s_wait_loadcnt 0x0
	v_cmp_ne_u16_e32 vcc_lo, 0, v1
	v_cndmask_b32_e64 v6, 0, 1, vcc_lo
	s_wait_xcnt 0x0
	s_or_b32 exec_lo, exec_lo, s0
	s_and_saveexec_b32 s0, s22
	s_cbranch_execz .LBB134_1894
	s_branch .LBB134_1849
.LBB134_1781:
	s_mov_b32 s22, -1
	s_mov_b32 s24, 0
	s_mov_b32 s23, s21
                                        ; implicit-def: $vgpr6
	s_branch .LBB134_1846
.LBB134_1782:
	s_mov_b32 s23, s21
                                        ; implicit-def: $vgpr6
	s_cbranch_execnz .LBB134_1815
	s_branch .LBB134_1845
.LBB134_1783:
	s_mov_b32 s26, -1
	s_mov_b32 s23, s21
                                        ; implicit-def: $vgpr6
	s_branch .LBB134_1798
.LBB134_1784:
	s_mov_b32 s26, -1
	s_mov_b32 s23, s21
                                        ; implicit-def: $vgpr6
	s_branch .LBB134_1793
.LBB134_1785:
	s_mov_b32 s26, -1
	s_mov_b32 s23, s21
	s_branch .LBB134_1787
.LBB134_1786:
	s_mov_b32 s23, -1
.LBB134_1787:
                                        ; implicit-def: $vgpr6
.LBB134_1788:
	s_and_b32 vcc_lo, exec_lo, s26
	s_cbranch_vccz .LBB134_1792
; %bb.1789:
	s_cmp_eq_u32 s22, 44
	s_cbranch_scc0 .LBB134_1791
; %bb.1790:
	s_wait_loadcnt 0x0
	global_load_u8 v1, v[4:5], off
	s_mov_b32 s23, 0
	s_mov_b32 s25, -1
	s_wait_loadcnt 0x0
	v_lshlrev_b32_e32 v3, 23, v1
	v_cmp_ne_u32_e32 vcc_lo, 0, v1
	s_delay_alu instid0(VALU_DEP_2) | instskip(NEXT) | instid1(VALU_DEP_1)
	v_cvt_i32_f32_e32 v3, v3
	v_cndmask_b32_e32 v6, 0, v3, vcc_lo
	s_branch .LBB134_1792
.LBB134_1791:
	s_mov_b32 s23, -1
                                        ; implicit-def: $vgpr6
.LBB134_1792:
	s_mov_b32 s26, 0
.LBB134_1793:
	s_delay_alu instid0(SALU_CYCLE_1)
	s_and_b32 vcc_lo, exec_lo, s26
	s_cbranch_vccz .LBB134_1797
; %bb.1794:
	s_cmp_eq_u32 s22, 29
	s_cbranch_scc0 .LBB134_1796
; %bb.1795:
	s_wait_loadcnt 0x0
	global_load_b64 v[6:7], v[4:5], off
	s_mov_b32 s23, 0
	s_mov_b32 s25, -1
	s_branch .LBB134_1797
.LBB134_1796:
	s_mov_b32 s23, -1
                                        ; implicit-def: $vgpr6
.LBB134_1797:
	s_mov_b32 s26, 0
.LBB134_1798:
	s_delay_alu instid0(SALU_CYCLE_1)
	s_and_b32 vcc_lo, exec_lo, s26
	s_cbranch_vccz .LBB134_1814
; %bb.1799:
	s_cmp_lt_i32 s22, 27
	s_cbranch_scc1 .LBB134_1802
; %bb.1800:
	s_cmp_gt_i32 s22, 27
	s_cbranch_scc0 .LBB134_1803
; %bb.1801:
	s_wait_loadcnt 0x0
	global_load_b32 v6, v[4:5], off
	s_mov_b32 s25, 0
	s_branch .LBB134_1804
.LBB134_1802:
	s_mov_b32 s25, -1
                                        ; implicit-def: $vgpr6
	s_branch .LBB134_1807
.LBB134_1803:
	s_mov_b32 s25, -1
                                        ; implicit-def: $vgpr6
.LBB134_1804:
	s_delay_alu instid0(SALU_CYCLE_1)
	s_and_not1_b32 vcc_lo, exec_lo, s25
	s_cbranch_vccnz .LBB134_1806
; %bb.1805:
	s_wait_loadcnt 0x0
	global_load_u16 v6, v[4:5], off
.LBB134_1806:
	s_mov_b32 s25, 0
.LBB134_1807:
	s_delay_alu instid0(SALU_CYCLE_1)
	s_and_not1_b32 vcc_lo, exec_lo, s25
	s_cbranch_vccnz .LBB134_1813
; %bb.1808:
	s_wait_loadcnt 0x0
	global_load_u8 v1, v[4:5], off
	s_mov_b32 s26, 0
	s_mov_b32 s25, exec_lo
	s_wait_loadcnt 0x0
	v_cmpx_lt_i16_e32 0x7f, v1
	s_xor_b32 s25, exec_lo, s25
	s_cbranch_execz .LBB134_1824
; %bb.1809:
	v_cmp_ne_u16_e32 vcc_lo, 0x80, v1
	s_and_b32 s26, vcc_lo, exec_lo
	s_and_not1_saveexec_b32 s25, s25
	s_cbranch_execnz .LBB134_1825
.LBB134_1810:
	s_or_b32 exec_lo, exec_lo, s25
	v_mov_b32_e32 v6, 0
	s_and_saveexec_b32 s25, s26
	s_cbranch_execz .LBB134_1812
.LBB134_1811:
	v_and_b32_e32 v3, 0xffff, v1
	s_delay_alu instid0(VALU_DEP_1) | instskip(SKIP_1) | instid1(VALU_DEP_2)
	v_dual_lshlrev_b32 v1, 24, v1 :: v_dual_bitop2_b32 v6, 7, v3 bitop3:0x40
	v_bfe_u32 v9, v3, 3, 4
	v_and_b32_e32 v1, 0x80000000, v1
	s_delay_alu instid0(VALU_DEP_3) | instskip(NEXT) | instid1(VALU_DEP_3)
	v_clz_i32_u32_e32 v7, v6
	v_cmp_eq_u32_e32 vcc_lo, 0, v9
	s_delay_alu instid0(VALU_DEP_2) | instskip(NEXT) | instid1(VALU_DEP_1)
	v_min_u32_e32 v7, 32, v7
	v_subrev_nc_u32_e32 v8, 28, v7
	v_sub_nc_u32_e32 v7, 29, v7
	s_delay_alu instid0(VALU_DEP_2) | instskip(NEXT) | instid1(VALU_DEP_2)
	v_lshlrev_b32_e32 v3, v8, v3
	v_cndmask_b32_e32 v7, v9, v7, vcc_lo
	s_delay_alu instid0(VALU_DEP_2) | instskip(NEXT) | instid1(VALU_DEP_1)
	v_and_b32_e32 v3, 7, v3
	v_cndmask_b32_e32 v3, v6, v3, vcc_lo
	s_delay_alu instid0(VALU_DEP_3) | instskip(NEXT) | instid1(VALU_DEP_2)
	v_lshl_add_u32 v6, v7, 23, 0x3b800000
	v_lshlrev_b32_e32 v3, 20, v3
	s_delay_alu instid0(VALU_DEP_1) | instskip(NEXT) | instid1(VALU_DEP_1)
	v_or3_b32 v1, v1, v6, v3
	v_cvt_i32_f32_e32 v6, v1
.LBB134_1812:
	s_or_b32 exec_lo, exec_lo, s25
.LBB134_1813:
	s_mov_b32 s25, -1
.LBB134_1814:
	s_branch .LBB134_1845
.LBB134_1815:
	s_cmp_gt_i32 s22, 22
	s_cbranch_scc0 .LBB134_1823
; %bb.1816:
	s_cmp_lt_i32 s22, 24
	s_cbranch_scc1 .LBB134_1826
; %bb.1817:
	s_cmp_gt_i32 s22, 24
	s_cbranch_scc0 .LBB134_1827
; %bb.1818:
	s_wait_loadcnt 0x0
	global_load_u8 v1, v[4:5], off
	s_mov_b32 s25, 0
	s_mov_b32 s24, exec_lo
	s_wait_loadcnt 0x0
	v_cmpx_lt_i16_e32 0x7f, v1
	s_xor_b32 s24, exec_lo, s24
	s_cbranch_execz .LBB134_1839
; %bb.1819:
	v_cmp_ne_u16_e32 vcc_lo, 0x80, v1
	s_and_b32 s25, vcc_lo, exec_lo
	s_and_not1_saveexec_b32 s24, s24
	s_cbranch_execnz .LBB134_1840
.LBB134_1820:
	s_or_b32 exec_lo, exec_lo, s24
	v_mov_b32_e32 v6, 0
	s_and_saveexec_b32 s24, s25
	s_cbranch_execz .LBB134_1822
.LBB134_1821:
	v_and_b32_e32 v3, 0xffff, v1
	s_delay_alu instid0(VALU_DEP_1) | instskip(SKIP_1) | instid1(VALU_DEP_2)
	v_dual_lshlrev_b32 v1, 24, v1 :: v_dual_bitop2_b32 v6, 3, v3 bitop3:0x40
	v_bfe_u32 v9, v3, 2, 5
	v_and_b32_e32 v1, 0x80000000, v1
	s_delay_alu instid0(VALU_DEP_3) | instskip(NEXT) | instid1(VALU_DEP_3)
	v_clz_i32_u32_e32 v7, v6
	v_cmp_eq_u32_e32 vcc_lo, 0, v9
	s_delay_alu instid0(VALU_DEP_2) | instskip(NEXT) | instid1(VALU_DEP_1)
	v_min_u32_e32 v7, 32, v7
	v_subrev_nc_u32_e32 v8, 29, v7
	v_sub_nc_u32_e32 v7, 30, v7
	s_delay_alu instid0(VALU_DEP_2) | instskip(NEXT) | instid1(VALU_DEP_2)
	v_lshlrev_b32_e32 v3, v8, v3
	v_cndmask_b32_e32 v7, v9, v7, vcc_lo
	s_delay_alu instid0(VALU_DEP_2) | instskip(NEXT) | instid1(VALU_DEP_1)
	v_and_b32_e32 v3, 3, v3
	v_cndmask_b32_e32 v3, v6, v3, vcc_lo
	s_delay_alu instid0(VALU_DEP_3) | instskip(NEXT) | instid1(VALU_DEP_2)
	v_lshl_add_u32 v6, v7, 23, 0x37800000
	v_lshlrev_b32_e32 v3, 21, v3
	s_delay_alu instid0(VALU_DEP_1) | instskip(NEXT) | instid1(VALU_DEP_1)
	v_or3_b32 v1, v1, v6, v3
	v_cvt_i32_f32_e32 v6, v1
.LBB134_1822:
	s_or_b32 exec_lo, exec_lo, s24
	s_mov_b32 s24, 0
	s_branch .LBB134_1828
.LBB134_1823:
	s_mov_b32 s24, -1
                                        ; implicit-def: $vgpr6
	s_branch .LBB134_1834
.LBB134_1824:
	s_and_not1_saveexec_b32 s25, s25
	s_cbranch_execz .LBB134_1810
.LBB134_1825:
	v_cmp_ne_u16_e32 vcc_lo, 0, v1
	s_and_not1_b32 s26, s26, exec_lo
	s_and_b32 s27, vcc_lo, exec_lo
	s_delay_alu instid0(SALU_CYCLE_1)
	s_or_b32 s26, s26, s27
	s_or_b32 exec_lo, exec_lo, s25
	v_mov_b32_e32 v6, 0
	s_and_saveexec_b32 s25, s26
	s_cbranch_execnz .LBB134_1811
	s_branch .LBB134_1812
.LBB134_1826:
	s_mov_b32 s24, -1
                                        ; implicit-def: $vgpr6
	s_branch .LBB134_1831
.LBB134_1827:
	s_mov_b32 s24, -1
                                        ; implicit-def: $vgpr6
.LBB134_1828:
	s_delay_alu instid0(SALU_CYCLE_1)
	s_and_b32 vcc_lo, exec_lo, s24
	s_cbranch_vccz .LBB134_1830
; %bb.1829:
	s_wait_loadcnt 0x0
	global_load_u8 v1, v[4:5], off
	s_wait_loadcnt 0x0
	v_lshlrev_b32_e32 v1, 24, v1
	s_delay_alu instid0(VALU_DEP_1) | instskip(NEXT) | instid1(VALU_DEP_1)
	v_and_b32_e32 v3, 0x7f000000, v1
	v_clz_i32_u32_e32 v6, v3
	v_cmp_ne_u32_e32 vcc_lo, 0, v3
	v_add_nc_u32_e32 v8, 0x1000000, v3
	s_delay_alu instid0(VALU_DEP_3) | instskip(NEXT) | instid1(VALU_DEP_1)
	v_min_u32_e32 v6, 32, v6
	v_sub_nc_u32_e64 v6, v6, 4 clamp
	s_delay_alu instid0(VALU_DEP_1) | instskip(NEXT) | instid1(VALU_DEP_1)
	v_dual_lshlrev_b32 v7, v6, v3 :: v_dual_lshlrev_b32 v6, 23, v6
	v_lshrrev_b32_e32 v7, 4, v7
	s_delay_alu instid0(VALU_DEP_1) | instskip(NEXT) | instid1(VALU_DEP_1)
	v_dual_sub_nc_u32 v6, v7, v6 :: v_dual_ashrrev_i32 v7, 8, v8
	v_add_nc_u32_e32 v6, 0x3c000000, v6
	s_delay_alu instid0(VALU_DEP_1) | instskip(NEXT) | instid1(VALU_DEP_1)
	v_and_or_b32 v6, 0x7f800000, v7, v6
	v_cndmask_b32_e32 v3, 0, v6, vcc_lo
	s_delay_alu instid0(VALU_DEP_1) | instskip(NEXT) | instid1(VALU_DEP_1)
	v_and_or_b32 v1, 0x80000000, v1, v3
	v_cvt_i32_f32_e32 v6, v1
.LBB134_1830:
	s_mov_b32 s24, 0
.LBB134_1831:
	s_delay_alu instid0(SALU_CYCLE_1)
	s_and_not1_b32 vcc_lo, exec_lo, s24
	s_cbranch_vccnz .LBB134_1833
; %bb.1832:
	s_wait_loadcnt 0x0
	global_load_u8 v1, v[4:5], off
	s_wait_loadcnt 0x0
	v_lshlrev_b32_e32 v3, 25, v1
	v_lshlrev_b16 v1, 8, v1
	s_delay_alu instid0(VALU_DEP_1) | instskip(SKIP_1) | instid1(VALU_DEP_2)
	v_and_or_b32 v7, 0x7f00, v1, 0.5
	v_bfe_i32 v1, v1, 0, 16
	v_add_f32_e32 v7, -0.5, v7
	v_lshrrev_b32_e32 v6, 4, v3
	v_cmp_gt_u32_e32 vcc_lo, 0x8000000, v3
	s_delay_alu instid0(VALU_DEP_2) | instskip(NEXT) | instid1(VALU_DEP_1)
	v_or_b32_e32 v6, 0x70000000, v6
	v_mul_f32_e32 v6, 0x7800000, v6
	s_delay_alu instid0(VALU_DEP_1) | instskip(NEXT) | instid1(VALU_DEP_1)
	v_cndmask_b32_e32 v3, v6, v7, vcc_lo
	v_and_or_b32 v1, 0x80000000, v1, v3
	s_delay_alu instid0(VALU_DEP_1)
	v_cvt_i32_f32_e32 v6, v1
.LBB134_1833:
	s_mov_b32 s24, 0
	s_mov_b32 s25, -1
.LBB134_1834:
	s_and_not1_b32 vcc_lo, exec_lo, s24
	s_mov_b32 s24, 0
	s_cbranch_vccnz .LBB134_1845
; %bb.1835:
	s_cmp_gt_i32 s22, 14
	s_cbranch_scc0 .LBB134_1838
; %bb.1836:
	s_cmp_eq_u32 s22, 15
	s_cbranch_scc0 .LBB134_1841
; %bb.1837:
	s_wait_loadcnt 0x0
	global_load_u16 v1, v[4:5], off
	s_mov_b32 s23, 0
	s_mov_b32 s25, -1
	s_wait_loadcnt 0x0
	v_lshlrev_b32_e32 v1, 16, v1
	s_delay_alu instid0(VALU_DEP_1)
	v_cvt_i32_f32_e32 v6, v1
	s_branch .LBB134_1843
.LBB134_1838:
	s_mov_b32 s24, -1
	s_branch .LBB134_1842
.LBB134_1839:
	s_and_not1_saveexec_b32 s24, s24
	s_cbranch_execz .LBB134_1820
.LBB134_1840:
	v_cmp_ne_u16_e32 vcc_lo, 0, v1
	s_and_not1_b32 s25, s25, exec_lo
	s_and_b32 s26, vcc_lo, exec_lo
	s_delay_alu instid0(SALU_CYCLE_1)
	s_or_b32 s25, s25, s26
	s_or_b32 exec_lo, exec_lo, s24
	v_mov_b32_e32 v6, 0
	s_and_saveexec_b32 s24, s25
	s_cbranch_execnz .LBB134_1821
	s_branch .LBB134_1822
.LBB134_1841:
	s_mov_b32 s23, -1
.LBB134_1842:
                                        ; implicit-def: $vgpr6
.LBB134_1843:
	s_and_b32 vcc_lo, exec_lo, s24
	s_mov_b32 s24, 0
	s_cbranch_vccz .LBB134_1845
; %bb.1844:
	s_cmp_lg_u32 s22, 11
	s_mov_b32 s24, -1
	s_cselect_b32 s22, -1, 0
	s_and_not1_b32 s23, s23, exec_lo
	s_and_b32 s22, s22, exec_lo
	s_delay_alu instid0(SALU_CYCLE_1)
	s_or_b32 s23, s23, s22
.LBB134_1845:
	s_mov_b32 s22, 0
.LBB134_1846:
	s_and_not1_b32 s21, s21, exec_lo
	s_and_b32 s26, s23, exec_lo
	s_and_b32 s25, s25, exec_lo
	s_and_b32 s22, s22, exec_lo
	s_and_b32 s23, s24, exec_lo
	s_or_b32 s21, s21, s26
	s_wait_xcnt 0x0
	s_or_b32 exec_lo, exec_lo, s0
	s_and_saveexec_b32 s0, s21
	s_cbranch_execz .LBB134_1779
.LBB134_1847:
	s_or_b32 s20, s20, exec_lo
	s_and_not1_b32 s23, s23, exec_lo
	s_trap 2
	s_or_b32 exec_lo, exec_lo, s0
	s_and_saveexec_b32 s0, s23
	s_delay_alu instid0(SALU_CYCLE_1)
	s_xor_b32 s0, exec_lo, s0
	s_cbranch_execnz .LBB134_1780
.LBB134_1848:
	s_or_b32 exec_lo, exec_lo, s0
	s_and_saveexec_b32 s0, s22
	s_cbranch_execz .LBB134_1894
.LBB134_1849:
	s_sext_i32_i16 s21, s1
	s_delay_alu instid0(SALU_CYCLE_1)
	s_cmp_lt_i32 s21, 5
	s_cbranch_scc1 .LBB134_1854
; %bb.1850:
	s_cmp_lt_i32 s21, 8
	s_cbranch_scc1 .LBB134_1855
; %bb.1851:
	;; [unrolled: 3-line block ×3, first 2 shown]
	s_cmp_gt_i32 s21, 9
	s_cbranch_scc0 .LBB134_1857
; %bb.1853:
	s_wait_loadcnt 0x0
	global_load_b64 v[6:7], v[4:5], off
	s_mov_b32 s21, 0
	s_wait_loadcnt 0x0
	v_cvt_i32_f64_e32 v6, v[6:7]
	s_branch .LBB134_1858
.LBB134_1854:
                                        ; implicit-def: $vgpr6
	s_branch .LBB134_1875
.LBB134_1855:
                                        ; implicit-def: $vgpr6
	s_branch .LBB134_1864
.LBB134_1856:
	s_mov_b32 s21, -1
                                        ; implicit-def: $vgpr6
	s_branch .LBB134_1861
.LBB134_1857:
	s_mov_b32 s21, -1
                                        ; implicit-def: $vgpr6
.LBB134_1858:
	s_delay_alu instid0(SALU_CYCLE_1)
	s_and_not1_b32 vcc_lo, exec_lo, s21
	s_cbranch_vccnz .LBB134_1860
; %bb.1859:
	s_wait_loadcnt 0x0
	global_load_b32 v1, v[4:5], off
	s_wait_loadcnt 0x0
	v_cvt_i32_f32_e32 v6, v1
.LBB134_1860:
	s_mov_b32 s21, 0
.LBB134_1861:
	s_delay_alu instid0(SALU_CYCLE_1)
	s_and_not1_b32 vcc_lo, exec_lo, s21
	s_cbranch_vccnz .LBB134_1863
; %bb.1862:
	s_wait_loadcnt 0x0
	global_load_b32 v1, v[4:5], off
	s_wait_loadcnt 0x0
	v_cvt_i16_f16_e32 v6, v1
.LBB134_1863:
	s_cbranch_execnz .LBB134_1874
.LBB134_1864:
	s_sext_i32_i16 s21, s1
	s_delay_alu instid0(SALU_CYCLE_1)
	s_cmp_lt_i32 s21, 6
	s_cbranch_scc1 .LBB134_1867
; %bb.1865:
	s_cmp_gt_i32 s21, 6
	s_cbranch_scc0 .LBB134_1868
; %bb.1866:
	s_wait_loadcnt 0x0
	global_load_b64 v[6:7], v[4:5], off
	s_mov_b32 s21, 0
	s_wait_loadcnt 0x0
	v_cvt_i32_f64_e32 v6, v[6:7]
	s_branch .LBB134_1869
.LBB134_1867:
	s_mov_b32 s21, -1
                                        ; implicit-def: $vgpr6
	s_branch .LBB134_1872
.LBB134_1868:
	s_mov_b32 s21, -1
                                        ; implicit-def: $vgpr6
.LBB134_1869:
	s_delay_alu instid0(SALU_CYCLE_1)
	s_and_not1_b32 vcc_lo, exec_lo, s21
	s_cbranch_vccnz .LBB134_1871
; %bb.1870:
	s_wait_loadcnt 0x0
	global_load_b32 v1, v[4:5], off
	s_wait_loadcnt 0x0
	v_cvt_i32_f32_e32 v6, v1
.LBB134_1871:
	s_mov_b32 s21, 0
.LBB134_1872:
	s_delay_alu instid0(SALU_CYCLE_1)
	s_and_not1_b32 vcc_lo, exec_lo, s21
	s_cbranch_vccnz .LBB134_1874
; %bb.1873:
	s_wait_loadcnt 0x0
	global_load_u16 v1, v[4:5], off
	s_wait_loadcnt 0x0
	v_cvt_i16_f16_e32 v6, v1
.LBB134_1874:
	s_cbranch_execnz .LBB134_1893
.LBB134_1875:
	s_sext_i32_i16 s21, s1
	s_delay_alu instid0(SALU_CYCLE_1)
	s_cmp_lt_i32 s21, 2
	s_cbranch_scc1 .LBB134_1879
; %bb.1876:
	s_cmp_lt_i32 s21, 3
	s_cbranch_scc1 .LBB134_1880
; %bb.1877:
	s_cmp_gt_i32 s21, 3
	s_cbranch_scc0 .LBB134_1881
; %bb.1878:
	s_wait_loadcnt 0x0
	global_load_b64 v[6:7], v[4:5], off
	s_mov_b32 s21, 0
	s_branch .LBB134_1882
.LBB134_1879:
                                        ; implicit-def: $vgpr6
	s_branch .LBB134_1888
.LBB134_1880:
	s_mov_b32 s21, -1
                                        ; implicit-def: $vgpr6
	s_branch .LBB134_1885
.LBB134_1881:
	s_mov_b32 s21, -1
                                        ; implicit-def: $vgpr6
.LBB134_1882:
	s_delay_alu instid0(SALU_CYCLE_1)
	s_and_not1_b32 vcc_lo, exec_lo, s21
	s_cbranch_vccnz .LBB134_1884
; %bb.1883:
	s_wait_loadcnt 0x0
	global_load_b32 v6, v[4:5], off
.LBB134_1884:
	s_mov_b32 s21, 0
.LBB134_1885:
	s_delay_alu instid0(SALU_CYCLE_1)
	s_and_not1_b32 vcc_lo, exec_lo, s21
	s_cbranch_vccnz .LBB134_1887
; %bb.1886:
	s_wait_loadcnt 0x0
	global_load_u16 v6, v[4:5], off
.LBB134_1887:
	s_cbranch_execnz .LBB134_1893
.LBB134_1888:
	s_sext_i32_i16 s21, s1
	s_delay_alu instid0(SALU_CYCLE_1)
	s_cmp_gt_i32 s21, 0
	s_mov_b32 s21, 0
	s_cbranch_scc0 .LBB134_1890
; %bb.1889:
	s_wait_loadcnt 0x0
	global_load_i8 v6, v[4:5], off
	s_branch .LBB134_1891
.LBB134_1890:
	s_mov_b32 s21, -1
                                        ; implicit-def: $vgpr6
.LBB134_1891:
	s_delay_alu instid0(SALU_CYCLE_1)
	s_and_not1_b32 vcc_lo, exec_lo, s21
	s_cbranch_vccnz .LBB134_1893
; %bb.1892:
	s_wait_loadcnt 0x0
	global_load_u8 v6, v[4:5], off
.LBB134_1893:
	s_or_b32 s25, s25, exec_lo
.LBB134_1894:
	s_wait_xcnt 0x0
	s_or_b32 exec_lo, exec_lo, s0
	s_mov_b32 s0, 0
	s_mov_b32 s23, 0
                                        ; implicit-def: $sgpr21
                                        ; implicit-def: $vgpr4_vgpr5
                                        ; implicit-def: $vgpr3
	s_and_saveexec_b32 s22, s25
	s_cbranch_execz .LBB134_1902
; %bb.1895:
	v_mul_lo_u32 v4, v26, s12
	s_wait_loadcnt 0x0
	v_max_i16 v0, v0, v2
	s_and_b32 s21, s2, 0xff
	s_delay_alu instid0(SALU_CYCLE_1) | instskip(NEXT) | instid1(VALU_DEP_1)
	s_cmp_lt_i32 s21, 11
	v_min_i16 v3, v0, v6
	s_delay_alu instid0(VALU_DEP_3) | instskip(NEXT) | instid1(VALU_DEP_1)
	v_ashrrev_i32_e32 v5, 31, v4
	v_add_nc_u64_e32 v[4:5], s[4:5], v[4:5]
	s_cbranch_scc1 .LBB134_1905
; %bb.1896:
	s_and_b32 s23, 0xffff, s21
	s_mov_b32 s24, -1
	s_cmp_gt_i32 s23, 25
	s_mov_b32 s0, s19
	s_cbranch_scc0 .LBB134_1933
; %bb.1897:
	s_cmp_gt_i32 s23, 28
	s_mov_b32 s0, s19
	s_cbranch_scc0 .LBB134_1917
; %bb.1898:
	;; [unrolled: 4-line block ×4, first 2 shown]
	s_cmp_eq_u32 s23, 46
	s_mov_b32 s0, -1
	s_cbranch_scc0 .LBB134_1906
; %bb.1901:
	v_bfe_i32 v0, v3, 0, 16
	s_mov_b32 s0, 0
	s_mov_b32 s24, 0
	s_delay_alu instid0(VALU_DEP_1) | instskip(NEXT) | instid1(VALU_DEP_1)
	v_cvt_f32_i32_e32 v0, v0
	v_bfe_u32 v1, v0, 16, 1
	s_delay_alu instid0(VALU_DEP_1) | instskip(NEXT) | instid1(VALU_DEP_1)
	v_add3_u32 v0, v0, v1, 0x7fff
	v_lshrrev_b32_e32 v0, 16, v0
	global_store_b32 v[4:5], v0, off
	s_branch .LBB134_1907
.LBB134_1902:
	s_or_b32 exec_lo, exec_lo, s22
	s_and_saveexec_b32 s22, s19
	s_cbranch_execnz .LBB134_1975
.LBB134_1903:
	s_or_b32 exec_lo, exec_lo, s22
	s_and_saveexec_b32 s19, s0
	s_delay_alu instid0(SALU_CYCLE_1)
	s_xor_b32 s0, exec_lo, s19
	s_cbranch_execz .LBB134_1976
.LBB134_1904:
	s_wait_loadcnt 0x0
	v_cmp_ne_u16_e32 vcc_lo, 0, v3
	v_cndmask_b32_e64 v0, 0, 1, vcc_lo
	global_store_b8 v[4:5], v0, off
	s_wait_xcnt 0x0
	s_or_b32 exec_lo, exec_lo, s0
	s_and_saveexec_b32 s0, s23
	s_delay_alu instid0(SALU_CYCLE_1)
	s_xor_b32 s0, exec_lo, s0
	s_cbranch_execz .LBB134_2014
	s_branch .LBB134_1977
.LBB134_1905:
	s_mov_b32 s25, 0
	s_mov_b32 s24, -1
	s_mov_b32 s0, s19
	s_branch .LBB134_1974
.LBB134_1906:
	s_mov_b32 s24, 0
.LBB134_1907:
	s_delay_alu instid0(SALU_CYCLE_1)
	s_and_b32 vcc_lo, exec_lo, s24
	s_cbranch_vccz .LBB134_1912
; %bb.1908:
	s_cmp_eq_u32 s23, 44
	s_mov_b32 s0, -1
	s_cbranch_scc0 .LBB134_1912
; %bb.1909:
	s_wait_xcnt 0x0
	v_bfe_i32 v0, v3, 0, 16
	v_mov_b32_e32 v1, 0xff
	s_mov_b32 s24, exec_lo
	s_delay_alu instid0(VALU_DEP_2) | instskip(NEXT) | instid1(VALU_DEP_1)
	v_cvt_f32_i32_e32 v0, v0
	v_bfe_u32 v2, v0, 23, 8
	s_delay_alu instid0(VALU_DEP_1)
	v_cmpx_ne_u32_e32 0xff, v2
	s_cbranch_execz .LBB134_1911
; %bb.1910:
	v_and_b32_e32 v1, 0x400000, v0
	v_and_or_b32 v2, 0x3fffff, v0, v2
	v_lshrrev_b32_e32 v0, 23, v0
	s_delay_alu instid0(VALU_DEP_3) | instskip(NEXT) | instid1(VALU_DEP_3)
	v_cmp_ne_u32_e32 vcc_lo, 0, v1
	v_cmp_ne_u32_e64 s0, 0, v2
	s_and_b32 s0, vcc_lo, s0
	s_delay_alu instid0(SALU_CYCLE_1) | instskip(NEXT) | instid1(VALU_DEP_1)
	v_cndmask_b32_e64 v1, 0, 1, s0
	v_add_nc_u32_e32 v1, v0, v1
.LBB134_1911:
	s_or_b32 exec_lo, exec_lo, s24
	s_mov_b32 s0, 0
	global_store_b8 v[4:5], v1, off
.LBB134_1912:
	s_mov_b32 s24, 0
.LBB134_1913:
	s_delay_alu instid0(SALU_CYCLE_1)
	s_and_b32 vcc_lo, exec_lo, s24
	s_cbranch_vccz .LBB134_1916
; %bb.1914:
	s_cmp_eq_u32 s23, 29
	s_mov_b32 s0, -1
	s_cbranch_scc0 .LBB134_1916
; %bb.1915:
	s_wait_xcnt 0x0
	v_bfe_i32 v0, v3, 0, 16
	s_mov_b32 s0, 0
	s_mov_b32 s24, 0
	s_delay_alu instid0(VALU_DEP_1)
	v_ashrrev_i32_e32 v1, 31, v0
	global_store_b64 v[4:5], v[0:1], off
	s_branch .LBB134_1917
.LBB134_1916:
	s_mov_b32 s24, 0
.LBB134_1917:
	s_delay_alu instid0(SALU_CYCLE_1)
	s_and_b32 vcc_lo, exec_lo, s24
	s_cbranch_vccz .LBB134_1932
; %bb.1918:
	s_cmp_lt_i32 s23, 27
	s_mov_b32 s24, -1
	s_cbranch_scc1 .LBB134_1924
; %bb.1919:
	s_cmp_gt_i32 s23, 27
	s_cbranch_scc0 .LBB134_1921
; %bb.1920:
	s_wait_xcnt 0x0
	v_bfe_i32 v0, v3, 0, 16
	s_mov_b32 s24, 0
	global_store_b32 v[4:5], v0, off
.LBB134_1921:
	s_and_not1_b32 vcc_lo, exec_lo, s24
	s_cbranch_vccnz .LBB134_1923
; %bb.1922:
	global_store_b16 v[4:5], v3, off
.LBB134_1923:
	s_mov_b32 s24, 0
.LBB134_1924:
	s_delay_alu instid0(SALU_CYCLE_1)
	s_and_not1_b32 vcc_lo, exec_lo, s24
	s_cbranch_vccnz .LBB134_1932
; %bb.1925:
	s_wait_xcnt 0x0
	v_bfe_i32 v0, v3, 0, 16
	v_mov_b32_e32 v2, 0x80
	s_mov_b32 s24, exec_lo
	s_delay_alu instid0(VALU_DEP_2) | instskip(NEXT) | instid1(VALU_DEP_1)
	v_cvt_f32_i32_e32 v0, v0
	v_and_b32_e32 v1, 0x7fffffff, v0
	s_delay_alu instid0(VALU_DEP_1)
	v_cmpx_gt_u32_e32 0x43800000, v1
	s_cbranch_execz .LBB134_1931
; %bb.1926:
	v_cmp_lt_u32_e32 vcc_lo, 0x3bffffff, v1
	s_mov_b32 s25, 0
                                        ; implicit-def: $vgpr1
	s_and_saveexec_b32 s26, vcc_lo
	s_delay_alu instid0(SALU_CYCLE_1)
	s_xor_b32 s26, exec_lo, s26
	s_cbranch_execz .LBB134_2029
; %bb.1927:
	v_bfe_u32 v1, v0, 20, 1
	s_mov_b32 s25, exec_lo
	s_delay_alu instid0(VALU_DEP_1) | instskip(NEXT) | instid1(VALU_DEP_1)
	v_add3_u32 v1, v0, v1, 0x487ffff
	v_lshrrev_b32_e32 v1, 20, v1
	s_and_not1_saveexec_b32 s26, s26
	s_cbranch_execnz .LBB134_2030
.LBB134_1928:
	s_or_b32 exec_lo, exec_lo, s26
	v_mov_b32_e32 v2, 0
	s_and_saveexec_b32 s26, s25
.LBB134_1929:
	v_lshrrev_b32_e32 v0, 24, v0
	s_delay_alu instid0(VALU_DEP_1)
	v_and_or_b32 v2, 0x80, v0, v1
.LBB134_1930:
	s_or_b32 exec_lo, exec_lo, s26
.LBB134_1931:
	s_delay_alu instid0(SALU_CYCLE_1)
	s_or_b32 exec_lo, exec_lo, s24
	global_store_b8 v[4:5], v2, off
.LBB134_1932:
	s_mov_b32 s24, 0
.LBB134_1933:
	s_delay_alu instid0(SALU_CYCLE_1)
	s_and_b32 vcc_lo, exec_lo, s24
	s_mov_b32 s24, 0
	s_cbranch_vccz .LBB134_1973
; %bb.1934:
	s_cmp_gt_i32 s23, 22
	s_mov_b32 s25, -1
	s_cbranch_scc0 .LBB134_1966
; %bb.1935:
	s_cmp_lt_i32 s23, 24
	s_cbranch_scc1 .LBB134_1955
; %bb.1936:
	s_cmp_gt_i32 s23, 24
	s_cbranch_scc0 .LBB134_1944
; %bb.1937:
	s_wait_xcnt 0x0
	v_bfe_i32 v0, v3, 0, 16
	v_mov_b32_e32 v2, 0x80
	s_mov_b32 s25, exec_lo
	s_delay_alu instid0(VALU_DEP_2) | instskip(NEXT) | instid1(VALU_DEP_1)
	v_cvt_f32_i32_e32 v0, v0
	v_and_b32_e32 v1, 0x7fffffff, v0
	s_delay_alu instid0(VALU_DEP_1)
	v_cmpx_gt_u32_e32 0x47800000, v1
	s_cbranch_execz .LBB134_1943
; %bb.1938:
	v_cmp_lt_u32_e32 vcc_lo, 0x37ffffff, v1
	s_mov_b32 s26, 0
                                        ; implicit-def: $vgpr1
	s_and_saveexec_b32 s27, vcc_lo
	s_delay_alu instid0(SALU_CYCLE_1)
	s_xor_b32 s27, exec_lo, s27
	s_cbranch_execz .LBB134_2150
; %bb.1939:
	v_bfe_u32 v1, v0, 21, 1
	s_mov_b32 s26, exec_lo
	s_delay_alu instid0(VALU_DEP_1) | instskip(NEXT) | instid1(VALU_DEP_1)
	v_add3_u32 v1, v0, v1, 0x88fffff
	v_lshrrev_b32_e32 v1, 21, v1
	s_and_not1_saveexec_b32 s27, s27
	s_cbranch_execnz .LBB134_2151
.LBB134_1940:
	s_or_b32 exec_lo, exec_lo, s27
	v_mov_b32_e32 v2, 0
	s_and_saveexec_b32 s27, s26
.LBB134_1941:
	v_lshrrev_b32_e32 v0, 24, v0
	s_delay_alu instid0(VALU_DEP_1)
	v_and_or_b32 v2, 0x80, v0, v1
.LBB134_1942:
	s_or_b32 exec_lo, exec_lo, s27
.LBB134_1943:
	s_delay_alu instid0(SALU_CYCLE_1)
	s_or_b32 exec_lo, exec_lo, s25
	s_mov_b32 s25, 0
	global_store_b8 v[4:5], v2, off
.LBB134_1944:
	s_and_b32 vcc_lo, exec_lo, s25
	s_cbranch_vccz .LBB134_1954
; %bb.1945:
	s_wait_xcnt 0x0
	v_bfe_i32 v0, v3, 0, 16
	s_mov_b32 s25, exec_lo
                                        ; implicit-def: $vgpr1
	s_delay_alu instid0(VALU_DEP_1) | instskip(NEXT) | instid1(VALU_DEP_1)
	v_cvt_f32_i32_e32 v0, v0
	v_and_b32_e32 v2, 0x7fffffff, v0
	s_delay_alu instid0(VALU_DEP_1)
	v_cmpx_gt_u32_e32 0x43f00000, v2
	s_xor_b32 s25, exec_lo, s25
	s_cbranch_execz .LBB134_1951
; %bb.1946:
	s_mov_b32 s26, exec_lo
                                        ; implicit-def: $vgpr1
	v_cmpx_lt_u32_e32 0x3c7fffff, v2
	s_xor_b32 s26, exec_lo, s26
; %bb.1947:
	v_bfe_u32 v1, v0, 20, 1
	s_delay_alu instid0(VALU_DEP_1) | instskip(NEXT) | instid1(VALU_DEP_1)
	v_add3_u32 v1, v0, v1, 0x407ffff
	v_and_b32_e32 v2, 0xff00000, v1
	v_lshrrev_b32_e32 v1, 20, v1
	s_delay_alu instid0(VALU_DEP_2) | instskip(NEXT) | instid1(VALU_DEP_2)
	v_cmp_ne_u32_e32 vcc_lo, 0x7f00000, v2
	v_cndmask_b32_e32 v1, 0x7e, v1, vcc_lo
; %bb.1948:
	s_and_not1_saveexec_b32 s26, s26
; %bb.1949:
	v_add_f32_e64 v1, 0x46800000, |v0|
; %bb.1950:
	s_or_b32 exec_lo, exec_lo, s26
                                        ; implicit-def: $vgpr2
.LBB134_1951:
	s_and_not1_saveexec_b32 s25, s25
; %bb.1952:
	v_mov_b32_e32 v1, 0x7f
	v_cmp_lt_u32_e32 vcc_lo, 0x7f800000, v2
	s_delay_alu instid0(VALU_DEP_2)
	v_cndmask_b32_e32 v1, 0x7e, v1, vcc_lo
; %bb.1953:
	s_or_b32 exec_lo, exec_lo, s25
	v_lshrrev_b32_e32 v0, 24, v0
	s_delay_alu instid0(VALU_DEP_1)
	v_and_or_b32 v0, 0x80, v0, v1
	global_store_b8 v[4:5], v0, off
.LBB134_1954:
	s_mov_b32 s25, 0
.LBB134_1955:
	s_delay_alu instid0(SALU_CYCLE_1)
	s_and_not1_b32 vcc_lo, exec_lo, s25
	s_cbranch_vccnz .LBB134_1965
; %bb.1956:
	s_wait_xcnt 0x0
	v_bfe_i32 v0, v3, 0, 16
	s_mov_b32 s25, exec_lo
                                        ; implicit-def: $vgpr1
	s_delay_alu instid0(VALU_DEP_1) | instskip(NEXT) | instid1(VALU_DEP_1)
	v_cvt_f32_i32_e32 v0, v0
	v_and_b32_e32 v2, 0x7fffffff, v0
	s_delay_alu instid0(VALU_DEP_1)
	v_cmpx_gt_u32_e32 0x47800000, v2
	s_xor_b32 s25, exec_lo, s25
	s_cbranch_execz .LBB134_1962
; %bb.1957:
	s_mov_b32 s26, exec_lo
                                        ; implicit-def: $vgpr1
	v_cmpx_lt_u32_e32 0x387fffff, v2
	s_xor_b32 s26, exec_lo, s26
; %bb.1958:
	v_bfe_u32 v1, v0, 21, 1
	s_delay_alu instid0(VALU_DEP_1) | instskip(NEXT) | instid1(VALU_DEP_1)
	v_add3_u32 v1, v0, v1, 0x80fffff
	v_lshrrev_b32_e32 v1, 21, v1
; %bb.1959:
	s_and_not1_saveexec_b32 s26, s26
; %bb.1960:
	v_add_f32_e64 v1, 0x43000000, |v0|
; %bb.1961:
	s_or_b32 exec_lo, exec_lo, s26
                                        ; implicit-def: $vgpr2
.LBB134_1962:
	s_and_not1_saveexec_b32 s25, s25
; %bb.1963:
	v_mov_b32_e32 v1, 0x7f
	v_cmp_lt_u32_e32 vcc_lo, 0x7f800000, v2
	s_delay_alu instid0(VALU_DEP_2)
	v_cndmask_b32_e32 v1, 0x7c, v1, vcc_lo
; %bb.1964:
	s_or_b32 exec_lo, exec_lo, s25
	v_lshrrev_b32_e32 v0, 24, v0
	s_delay_alu instid0(VALU_DEP_1)
	v_and_or_b32 v0, 0x80, v0, v1
	global_store_b8 v[4:5], v0, off
.LBB134_1965:
	s_mov_b32 s25, 0
.LBB134_1966:
	s_delay_alu instid0(SALU_CYCLE_1)
	s_and_not1_b32 vcc_lo, exec_lo, s25
	s_mov_b32 s25, 0
	s_cbranch_vccnz .LBB134_1974
; %bb.1967:
	s_cmp_gt_i32 s23, 14
	s_mov_b32 s25, -1
	s_cbranch_scc0 .LBB134_1971
; %bb.1968:
	s_cmp_eq_u32 s23, 15
	s_mov_b32 s0, -1
	s_cbranch_scc0 .LBB134_1970
; %bb.1969:
	s_wait_xcnt 0x0
	v_bfe_i32 v0, v3, 0, 16
	s_mov_b32 s0, 0
	s_delay_alu instid0(VALU_DEP_1) | instskip(NEXT) | instid1(VALU_DEP_1)
	v_cvt_f32_i32_e32 v0, v0
	v_bfe_u32 v1, v0, 16, 1
	s_delay_alu instid0(VALU_DEP_1)
	v_add3_u32 v0, v0, v1, 0x7fff
	global_store_d16_hi_b16 v[4:5], v0, off
.LBB134_1970:
	s_mov_b32 s25, 0
.LBB134_1971:
	s_delay_alu instid0(SALU_CYCLE_1)
	s_and_b32 vcc_lo, exec_lo, s25
	s_mov_b32 s25, 0
	s_cbranch_vccz .LBB134_1974
; %bb.1972:
	s_cmp_lg_u32 s23, 11
	s_mov_b32 s25, -1
	s_cselect_b32 s23, -1, 0
	s_and_not1_b32 s0, s0, exec_lo
	s_and_b32 s23, s23, exec_lo
	s_delay_alu instid0(SALU_CYCLE_1)
	s_or_b32 s0, s0, s23
	s_branch .LBB134_1974
.LBB134_1973:
	s_mov_b32 s25, 0
.LBB134_1974:
	s_and_b32 s23, s24, exec_lo
	s_and_not1_b32 s19, s19, exec_lo
	s_and_b32 s24, s0, exec_lo
	s_and_b32 s0, s25, exec_lo
	s_or_b32 s19, s19, s24
	s_wait_xcnt 0x0
	s_or_b32 exec_lo, exec_lo, s22
	s_and_saveexec_b32 s22, s19
	s_cbranch_execz .LBB134_1903
.LBB134_1975:
	s_or_b32 s20, s20, exec_lo
	s_and_not1_b32 s0, s0, exec_lo
	s_trap 2
	s_or_b32 exec_lo, exec_lo, s22
	s_and_saveexec_b32 s19, s0
	s_delay_alu instid0(SALU_CYCLE_1)
	s_xor_b32 s0, exec_lo, s19
	s_cbranch_execnz .LBB134_1904
.LBB134_1976:
	s_or_b32 exec_lo, exec_lo, s0
	s_and_saveexec_b32 s0, s23
	s_delay_alu instid0(SALU_CYCLE_1)
	s_xor_b32 s0, exec_lo, s0
	s_cbranch_execz .LBB134_2014
.LBB134_1977:
	s_sext_i32_i16 s22, s21
	s_mov_b32 s19, -1
	s_cmp_lt_i32 s22, 5
	s_cbranch_scc1 .LBB134_1998
; %bb.1978:
	s_cmp_lt_i32 s22, 8
	s_cbranch_scc1 .LBB134_1988
; %bb.1979:
	;; [unrolled: 3-line block ×3, first 2 shown]
	s_cmp_gt_i32 s22, 9
	s_cbranch_scc0 .LBB134_1982
; %bb.1981:
	s_wait_loadcnt 0x0
	v_bfe_i32 v0, v3, 0, 16
	v_mov_b32_e32 v8, 0
	s_mov_b32 s19, 0
	s_delay_alu instid0(VALU_DEP_2) | instskip(NEXT) | instid1(VALU_DEP_2)
	v_cvt_f64_i32_e32 v[6:7], v0
	v_mov_b32_e32 v9, v8
	global_store_b128 v[4:5], v[6:9], off
.LBB134_1982:
	s_and_not1_b32 vcc_lo, exec_lo, s19
	s_cbranch_vccnz .LBB134_1984
; %bb.1983:
	s_wait_loadcnt 0x0
	v_bfe_i32 v0, v3, 0, 16
	v_mov_b32_e32 v1, 0
	s_delay_alu instid0(VALU_DEP_2)
	v_cvt_f32_i32_e32 v0, v0
	global_store_b64 v[4:5], v[0:1], off
.LBB134_1984:
	s_mov_b32 s19, 0
.LBB134_1985:
	s_delay_alu instid0(SALU_CYCLE_1)
	s_and_not1_b32 vcc_lo, exec_lo, s19
	s_cbranch_vccnz .LBB134_1987
; %bb.1986:
	s_wait_loadcnt 0x0
	v_cvt_f16_i16_e32 v0, v3
	s_delay_alu instid0(VALU_DEP_1)
	v_and_b32_e32 v0, 0xffff, v0
	global_store_b32 v[4:5], v0, off
.LBB134_1987:
	s_mov_b32 s19, 0
.LBB134_1988:
	s_delay_alu instid0(SALU_CYCLE_1)
	s_and_not1_b32 vcc_lo, exec_lo, s19
	s_cbranch_vccnz .LBB134_1997
; %bb.1989:
	s_sext_i32_i16 s22, s21
	s_mov_b32 s19, -1
	s_cmp_lt_i32 s22, 6
	s_cbranch_scc1 .LBB134_1995
; %bb.1990:
	s_cmp_gt_i32 s22, 6
	s_cbranch_scc0 .LBB134_1992
; %bb.1991:
	s_wait_loadcnt 0x0
	v_bfe_i32 v0, v3, 0, 16
	s_mov_b32 s19, 0
	s_delay_alu instid0(VALU_DEP_1)
	v_cvt_f64_i32_e32 v[0:1], v0
	global_store_b64 v[4:5], v[0:1], off
.LBB134_1992:
	s_and_not1_b32 vcc_lo, exec_lo, s19
	s_cbranch_vccnz .LBB134_1994
; %bb.1993:
	s_wait_loadcnt 0x0
	v_bfe_i32 v0, v3, 0, 16
	s_delay_alu instid0(VALU_DEP_1)
	v_cvt_f32_i32_e32 v0, v0
	global_store_b32 v[4:5], v0, off
.LBB134_1994:
	s_mov_b32 s19, 0
.LBB134_1995:
	s_delay_alu instid0(SALU_CYCLE_1)
	s_and_not1_b32 vcc_lo, exec_lo, s19
	s_cbranch_vccnz .LBB134_1997
; %bb.1996:
	s_wait_loadcnt 0x0
	v_cvt_f16_i16_e32 v0, v3
	global_store_b16 v[4:5], v0, off
.LBB134_1997:
	s_mov_b32 s19, 0
.LBB134_1998:
	s_delay_alu instid0(SALU_CYCLE_1)
	s_and_not1_b32 vcc_lo, exec_lo, s19
	s_cbranch_vccnz .LBB134_2014
; %bb.1999:
	s_sext_i32_i16 s22, s21
	s_mov_b32 s19, -1
	s_cmp_lt_i32 s22, 2
	s_cbranch_scc1 .LBB134_2009
; %bb.2000:
	s_cmp_lt_i32 s22, 3
	s_cbranch_scc1 .LBB134_2006
; %bb.2001:
	s_wait_loadcnt 0x0
	v_bfe_i32 v0, v3, 0, 16
	s_cmp_gt_i32 s22, 3
	s_cbranch_scc0 .LBB134_2003
; %bb.2002:
	s_delay_alu instid0(VALU_DEP_1)
	v_ashrrev_i32_e32 v1, 31, v0
	s_mov_b32 s19, 0
	global_store_b64 v[4:5], v[0:1], off
.LBB134_2003:
	s_and_not1_b32 vcc_lo, exec_lo, s19
	s_cbranch_vccnz .LBB134_2005
; %bb.2004:
	global_store_b32 v[4:5], v0, off
.LBB134_2005:
	s_mov_b32 s19, 0
.LBB134_2006:
	s_delay_alu instid0(SALU_CYCLE_1)
	s_and_not1_b32 vcc_lo, exec_lo, s19
	s_cbranch_vccnz .LBB134_2008
; %bb.2007:
	s_wait_loadcnt 0x0
	global_store_b16 v[4:5], v3, off
.LBB134_2008:
	s_mov_b32 s19, 0
.LBB134_2009:
	s_delay_alu instid0(SALU_CYCLE_1)
	s_and_not1_b32 vcc_lo, exec_lo, s19
	s_cbranch_vccnz .LBB134_2014
; %bb.2010:
	s_sext_i32_i16 s19, s21
	s_delay_alu instid0(SALU_CYCLE_1)
	s_cmp_gt_i32 s19, 0
	s_mov_b32 s19, -1
	s_cbranch_scc0 .LBB134_2012
; %bb.2011:
	s_mov_b32 s19, 0
	s_wait_loadcnt 0x0
	global_store_b8 v[4:5], v3, off
.LBB134_2012:
	s_and_not1_b32 vcc_lo, exec_lo, s19
	s_cbranch_vccnz .LBB134_2014
; %bb.2013:
	s_wait_loadcnt 0x0
	global_store_b8 v[4:5], v3, off
.LBB134_2014:
	s_wait_xcnt 0x0
	s_or_b32 exec_lo, exec_lo, s0
	s_delay_alu instid0(SALU_CYCLE_1)
	s_and_b32 s19, s20, exec_lo
                                        ; implicit-def: $vgpr26
.LBB134_2015:
	s_or_saveexec_b32 s18, s18
	s_mov_b32 s0, 0
                                        ; implicit-def: $sgpr20
                                        ; implicit-def: $vgpr0_vgpr1
                                        ; implicit-def: $vgpr4
	s_xor_b32 exec_lo, exec_lo, s18
	s_cbranch_execz .LBB134_3970
; %bb.2016:
	v_mul_lo_u32 v4, s13, v26
	s_and_b32 s17, s17, 0xff
	s_delay_alu instid0(SALU_CYCLE_1) | instskip(NEXT) | instid1(VALU_DEP_1)
	s_cmp_lt_i32 s17, 11
	v_ashrrev_i32_e32 v5, 31, v4
	s_wait_loadcnt 0x0
	s_delay_alu instid0(VALU_DEP_1)
	v_add_nc_u64_e32 v[2:3], s[6:7], v[4:5]
	s_cbranch_scc1 .LBB134_2023
; %bb.2017:
	s_and_b32 s0, 0xffff, s17
	s_mov_b32 s20, 0
	s_cmp_gt_i32 s0, 25
	s_cbranch_scc0 .LBB134_2025
; %bb.2018:
	s_cmp_gt_i32 s0, 28
	s_cbranch_scc0 .LBB134_2026
; %bb.2019:
	;; [unrolled: 3-line block ×4, first 2 shown]
	s_cmp_eq_u32 s0, 46
	s_mov_b32 s22, 0
	s_cbranch_scc0 .LBB134_2031
; %bb.2022:
	global_load_b32 v0, v[2:3], off
	s_mov_b32 s21, -1
	s_wait_loadcnt 0x0
	v_lshlrev_b32_e32 v0, 16, v0
	s_delay_alu instid0(VALU_DEP_1)
	v_cvt_i32_f32_e32 v0, v0
	s_branch .LBB134_2033
.LBB134_2023:
	s_mov_b32 s21, 0
	s_mov_b32 s16, s19
                                        ; implicit-def: $vgpr0
	s_cbranch_execnz .LBB134_2091
.LBB134_2024:
	s_and_not1_b32 vcc_lo, exec_lo, s21
	s_cbranch_vccz .LBB134_2136
	s_branch .LBB134_3968
.LBB134_2025:
	s_mov_b32 s21, 0
                                        ; implicit-def: $vgpr0
	s_cbranch_execnz .LBB134_2058
	s_branch .LBB134_2087
.LBB134_2026:
	s_mov_b32 s21, 0
                                        ; implicit-def: $vgpr0
	s_cbranch_execz .LBB134_2057
	s_branch .LBB134_2042
.LBB134_2027:
	s_mov_b32 s21, 0
                                        ; implicit-def: $vgpr0
	s_cbranch_execnz .LBB134_2038
	s_branch .LBB134_2041
.LBB134_2028:
	s_mov_b32 s22, -1
	s_branch .LBB134_2032
.LBB134_2029:
	s_and_not1_saveexec_b32 s26, s26
	s_cbranch_execz .LBB134_1928
.LBB134_2030:
	v_add_f32_e64 v1, 0x46000000, |v0|
	s_and_not1_b32 s25, s25, exec_lo
	s_delay_alu instid0(VALU_DEP_1) | instskip(NEXT) | instid1(VALU_DEP_1)
	v_and_b32_e32 v1, 0xff, v1
	v_cmp_ne_u32_e32 vcc_lo, 0, v1
	s_and_b32 s27, vcc_lo, exec_lo
	s_delay_alu instid0(SALU_CYCLE_1)
	s_or_b32 s25, s25, s27
	s_or_b32 exec_lo, exec_lo, s26
	v_mov_b32_e32 v2, 0
	s_and_saveexec_b32 s26, s25
	s_cbranch_execnz .LBB134_1929
	s_branch .LBB134_1930
.LBB134_2031:
	s_mov_b32 s16, -1
.LBB134_2032:
	s_mov_b32 s21, 0
                                        ; implicit-def: $vgpr0
.LBB134_2033:
	s_and_b32 vcc_lo, exec_lo, s22
	s_cbranch_vccz .LBB134_2036
; %bb.2034:
	s_cmp_eq_u32 s0, 44
	s_cbranch_scc0 .LBB134_2037
; %bb.2035:
	global_load_u8 v0, v[2:3], off
	s_mov_b32 s16, 0
	s_mov_b32 s21, -1
	s_wait_loadcnt 0x0
	v_lshlrev_b32_e32 v1, 23, v0
	v_cmp_ne_u32_e32 vcc_lo, 0, v0
	s_delay_alu instid0(VALU_DEP_2) | instskip(NEXT) | instid1(VALU_DEP_1)
	v_cvt_i32_f32_e32 v1, v1
	v_cndmask_b32_e32 v0, 0, v1, vcc_lo
.LBB134_2036:
	s_branch .LBB134_2041
.LBB134_2037:
	s_mov_b32 s16, -1
                                        ; implicit-def: $vgpr0
	s_branch .LBB134_2041
.LBB134_2038:
	s_cmp_eq_u32 s0, 29
	s_cbranch_scc0 .LBB134_2040
; %bb.2039:
	global_load_b64 v[0:1], v[2:3], off
	s_mov_b32 s16, 0
	s_mov_b32 s21, -1
	s_branch .LBB134_2041
.LBB134_2040:
	s_mov_b32 s16, -1
                                        ; implicit-def: $vgpr0
.LBB134_2041:
	s_branch .LBB134_2057
.LBB134_2042:
	s_cmp_lt_i32 s0, 27
	s_cbranch_scc1 .LBB134_2045
; %bb.2043:
	s_cmp_gt_i32 s0, 27
	s_cbranch_scc0 .LBB134_2046
; %bb.2044:
	s_wait_loadcnt 0x0
	global_load_b32 v0, v[2:3], off
	s_mov_b32 s21, 0
	s_branch .LBB134_2047
.LBB134_2045:
	s_mov_b32 s21, -1
                                        ; implicit-def: $vgpr0
	s_branch .LBB134_2050
.LBB134_2046:
	s_mov_b32 s21, -1
                                        ; implicit-def: $vgpr0
.LBB134_2047:
	s_delay_alu instid0(SALU_CYCLE_1)
	s_and_not1_b32 vcc_lo, exec_lo, s21
	s_cbranch_vccnz .LBB134_2049
; %bb.2048:
	s_wait_loadcnt 0x0
	global_load_u16 v0, v[2:3], off
.LBB134_2049:
	s_mov_b32 s21, 0
.LBB134_2050:
	s_delay_alu instid0(SALU_CYCLE_1)
	s_and_not1_b32 vcc_lo, exec_lo, s21
	s_cbranch_vccnz .LBB134_2056
; %bb.2051:
	s_wait_loadcnt 0x0
	global_load_u8 v1, v[2:3], off
	s_mov_b32 s22, 0
	s_mov_b32 s21, exec_lo
	s_wait_loadcnt 0x0
	v_cmpx_lt_i16_e32 0x7f, v1
	s_xor_b32 s21, exec_lo, s21
	s_cbranch_execz .LBB134_2067
; %bb.2052:
	v_cmp_ne_u16_e32 vcc_lo, 0x80, v1
	s_and_b32 s22, vcc_lo, exec_lo
	s_and_not1_saveexec_b32 s21, s21
	s_cbranch_execnz .LBB134_2068
.LBB134_2053:
	s_or_b32 exec_lo, exec_lo, s21
	v_mov_b32_e32 v0, 0
	s_and_saveexec_b32 s21, s22
	s_cbranch_execz .LBB134_2055
.LBB134_2054:
	v_and_b32_e32 v0, 0xffff, v1
	s_delay_alu instid0(VALU_DEP_1) | instskip(SKIP_1) | instid1(VALU_DEP_2)
	v_and_b32_e32 v5, 7, v0
	v_bfe_u32 v8, v0, 3, 4
	v_clz_i32_u32_e32 v6, v5
	s_delay_alu instid0(VALU_DEP_2) | instskip(NEXT) | instid1(VALU_DEP_2)
	v_cmp_eq_u32_e32 vcc_lo, 0, v8
	v_min_u32_e32 v6, 32, v6
	s_delay_alu instid0(VALU_DEP_1) | instskip(NEXT) | instid1(VALU_DEP_1)
	v_subrev_nc_u32_e32 v7, 28, v6
	v_dual_lshlrev_b32 v0, v7, v0 :: v_dual_sub_nc_u32 v6, 29, v6
	s_delay_alu instid0(VALU_DEP_1) | instskip(NEXT) | instid1(VALU_DEP_1)
	v_dual_lshlrev_b32 v1, 24, v1 :: v_dual_bitop2_b32 v0, 7, v0 bitop3:0x40
	v_dual_cndmask_b32 v6, v8, v6, vcc_lo :: v_dual_cndmask_b32 v0, v5, v0, vcc_lo
	s_delay_alu instid0(VALU_DEP_2) | instskip(NEXT) | instid1(VALU_DEP_2)
	v_and_b32_e32 v1, 0x80000000, v1
	v_lshl_add_u32 v5, v6, 23, 0x3b800000
	s_delay_alu instid0(VALU_DEP_3) | instskip(NEXT) | instid1(VALU_DEP_1)
	v_lshlrev_b32_e32 v0, 20, v0
	v_or3_b32 v0, v1, v5, v0
	s_delay_alu instid0(VALU_DEP_1)
	v_cvt_i32_f32_e32 v0, v0
.LBB134_2055:
	s_or_b32 exec_lo, exec_lo, s21
.LBB134_2056:
	s_mov_b32 s21, -1
.LBB134_2057:
	s_branch .LBB134_2087
.LBB134_2058:
	s_cmp_gt_i32 s0, 22
	s_cbranch_scc0 .LBB134_2066
; %bb.2059:
	s_cmp_lt_i32 s0, 24
	s_cbranch_scc1 .LBB134_2069
; %bb.2060:
	s_cmp_gt_i32 s0, 24
	s_cbranch_scc0 .LBB134_2070
; %bb.2061:
	s_wait_loadcnt 0x0
	global_load_u8 v1, v[2:3], off
	s_mov_b32 s21, 0
	s_mov_b32 s20, exec_lo
	s_wait_loadcnt 0x0
	v_cmpx_lt_i16_e32 0x7f, v1
	s_xor_b32 s20, exec_lo, s20
	s_cbranch_execz .LBB134_2081
; %bb.2062:
	v_cmp_ne_u16_e32 vcc_lo, 0x80, v1
	s_and_b32 s21, vcc_lo, exec_lo
	s_and_not1_saveexec_b32 s20, s20
	s_cbranch_execnz .LBB134_2082
.LBB134_2063:
	s_or_b32 exec_lo, exec_lo, s20
	v_mov_b32_e32 v0, 0
	s_and_saveexec_b32 s20, s21
	s_cbranch_execz .LBB134_2065
.LBB134_2064:
	v_and_b32_e32 v0, 0xffff, v1
	s_delay_alu instid0(VALU_DEP_1) | instskip(SKIP_1) | instid1(VALU_DEP_2)
	v_and_b32_e32 v5, 3, v0
	v_bfe_u32 v8, v0, 2, 5
	v_clz_i32_u32_e32 v6, v5
	s_delay_alu instid0(VALU_DEP_2) | instskip(NEXT) | instid1(VALU_DEP_2)
	v_cmp_eq_u32_e32 vcc_lo, 0, v8
	v_min_u32_e32 v6, 32, v6
	s_delay_alu instid0(VALU_DEP_1) | instskip(NEXT) | instid1(VALU_DEP_1)
	v_subrev_nc_u32_e32 v7, 29, v6
	v_dual_lshlrev_b32 v0, v7, v0 :: v_dual_sub_nc_u32 v6, 30, v6
	s_delay_alu instid0(VALU_DEP_1) | instskip(NEXT) | instid1(VALU_DEP_1)
	v_dual_lshlrev_b32 v1, 24, v1 :: v_dual_bitop2_b32 v0, 3, v0 bitop3:0x40
	v_dual_cndmask_b32 v6, v8, v6, vcc_lo :: v_dual_cndmask_b32 v0, v5, v0, vcc_lo
	s_delay_alu instid0(VALU_DEP_2) | instskip(NEXT) | instid1(VALU_DEP_2)
	v_and_b32_e32 v1, 0x80000000, v1
	v_lshl_add_u32 v5, v6, 23, 0x37800000
	s_delay_alu instid0(VALU_DEP_3) | instskip(NEXT) | instid1(VALU_DEP_1)
	v_lshlrev_b32_e32 v0, 21, v0
	v_or3_b32 v0, v1, v5, v0
	s_delay_alu instid0(VALU_DEP_1)
	v_cvt_i32_f32_e32 v0, v0
.LBB134_2065:
	s_or_b32 exec_lo, exec_lo, s20
	s_mov_b32 s20, 0
	s_branch .LBB134_2071
.LBB134_2066:
                                        ; implicit-def: $vgpr0
	s_mov_b32 s20, 0
	s_branch .LBB134_2077
.LBB134_2067:
	s_and_not1_saveexec_b32 s21, s21
	s_cbranch_execz .LBB134_2053
.LBB134_2068:
	v_cmp_ne_u16_e32 vcc_lo, 0, v1
	s_and_not1_b32 s22, s22, exec_lo
	s_and_b32 s23, vcc_lo, exec_lo
	s_delay_alu instid0(SALU_CYCLE_1)
	s_or_b32 s22, s22, s23
	s_or_b32 exec_lo, exec_lo, s21
	v_mov_b32_e32 v0, 0
	s_and_saveexec_b32 s21, s22
	s_cbranch_execnz .LBB134_2054
	s_branch .LBB134_2055
.LBB134_2069:
	s_mov_b32 s20, -1
                                        ; implicit-def: $vgpr0
	s_branch .LBB134_2074
.LBB134_2070:
	s_mov_b32 s20, -1
                                        ; implicit-def: $vgpr0
.LBB134_2071:
	s_delay_alu instid0(SALU_CYCLE_1)
	s_and_b32 vcc_lo, exec_lo, s20
	s_cbranch_vccz .LBB134_2073
; %bb.2072:
	s_wait_loadcnt 0x0
	global_load_u8 v0, v[2:3], off
	s_wait_loadcnt 0x0
	v_lshlrev_b32_e32 v0, 24, v0
	s_delay_alu instid0(VALU_DEP_1) | instskip(NEXT) | instid1(VALU_DEP_1)
	v_and_b32_e32 v1, 0x7f000000, v0
	v_clz_i32_u32_e32 v5, v1
	v_add_nc_u32_e32 v7, 0x1000000, v1
	v_cmp_ne_u32_e32 vcc_lo, 0, v1
	s_delay_alu instid0(VALU_DEP_3) | instskip(NEXT) | instid1(VALU_DEP_1)
	v_min_u32_e32 v5, 32, v5
	v_sub_nc_u32_e64 v5, v5, 4 clamp
	s_delay_alu instid0(VALU_DEP_1) | instskip(NEXT) | instid1(VALU_DEP_1)
	v_lshlrev_b32_e32 v6, v5, v1
	v_dual_lshlrev_b32 v5, 23, v5 :: v_dual_lshrrev_b32 v6, 4, v6
	s_delay_alu instid0(VALU_DEP_1) | instskip(NEXT) | instid1(VALU_DEP_1)
	v_dual_sub_nc_u32 v5, v6, v5 :: v_dual_ashrrev_i32 v6, 8, v7
	v_add_nc_u32_e32 v5, 0x3c000000, v5
	s_delay_alu instid0(VALU_DEP_1) | instskip(NEXT) | instid1(VALU_DEP_1)
	v_and_or_b32 v5, 0x7f800000, v6, v5
	v_cndmask_b32_e32 v1, 0, v5, vcc_lo
	s_delay_alu instid0(VALU_DEP_1) | instskip(NEXT) | instid1(VALU_DEP_1)
	v_and_or_b32 v0, 0x80000000, v0, v1
	v_cvt_i32_f32_e32 v0, v0
.LBB134_2073:
	s_mov_b32 s20, 0
.LBB134_2074:
	s_delay_alu instid0(SALU_CYCLE_1)
	s_and_not1_b32 vcc_lo, exec_lo, s20
	s_cbranch_vccnz .LBB134_2076
; %bb.2075:
	s_wait_loadcnt 0x0
	global_load_u8 v0, v[2:3], off
	s_wait_loadcnt 0x0
	v_lshlrev_b32_e32 v1, 25, v0
	v_lshlrev_b16 v0, 8, v0
	s_delay_alu instid0(VALU_DEP_1) | instskip(SKIP_1) | instid1(VALU_DEP_2)
	v_and_or_b32 v6, 0x7f00, v0, 0.5
	v_bfe_i32 v0, v0, 0, 16
	v_dual_add_f32 v6, -0.5, v6 :: v_dual_lshrrev_b32 v5, 4, v1
	v_cmp_gt_u32_e32 vcc_lo, 0x8000000, v1
	s_delay_alu instid0(VALU_DEP_2) | instskip(NEXT) | instid1(VALU_DEP_1)
	v_or_b32_e32 v5, 0x70000000, v5
	v_mul_f32_e32 v5, 0x7800000, v5
	s_delay_alu instid0(VALU_DEP_1) | instskip(NEXT) | instid1(VALU_DEP_1)
	v_cndmask_b32_e32 v1, v5, v6, vcc_lo
	v_and_or_b32 v0, 0x80000000, v0, v1
	s_delay_alu instid0(VALU_DEP_1)
	v_cvt_i32_f32_e32 v0, v0
.LBB134_2076:
	s_mov_b32 s21, -1
	s_mov_b32 s20, 0
	s_cbranch_execnz .LBB134_2087
.LBB134_2077:
	s_cmp_gt_i32 s0, 14
	s_cbranch_scc0 .LBB134_2080
; %bb.2078:
	s_cmp_eq_u32 s0, 15
	s_cbranch_scc0 .LBB134_2083
; %bb.2079:
	s_wait_loadcnt 0x0
	global_load_u16 v0, v[2:3], off
	s_mov_b32 s16, 0
	s_mov_b32 s21, -1
	s_wait_loadcnt 0x0
	v_lshlrev_b32_e32 v0, 16, v0
	s_delay_alu instid0(VALU_DEP_1)
	v_cvt_i32_f32_e32 v0, v0
	s_branch .LBB134_2085
.LBB134_2080:
	s_mov_b32 s20, -1
	s_branch .LBB134_2084
.LBB134_2081:
	s_and_not1_saveexec_b32 s20, s20
	s_cbranch_execz .LBB134_2063
.LBB134_2082:
	v_cmp_ne_u16_e32 vcc_lo, 0, v1
	s_and_not1_b32 s21, s21, exec_lo
	s_and_b32 s22, vcc_lo, exec_lo
	s_delay_alu instid0(SALU_CYCLE_1)
	s_or_b32 s21, s21, s22
	s_or_b32 exec_lo, exec_lo, s20
	v_mov_b32_e32 v0, 0
	s_and_saveexec_b32 s20, s21
	s_cbranch_execnz .LBB134_2064
	s_branch .LBB134_2065
.LBB134_2083:
	s_mov_b32 s16, -1
.LBB134_2084:
                                        ; implicit-def: $vgpr0
.LBB134_2085:
	s_and_b32 vcc_lo, exec_lo, s20
	s_mov_b32 s20, 0
	s_cbranch_vccz .LBB134_2087
; %bb.2086:
	s_cmp_lg_u32 s0, 11
	s_mov_b32 s20, -1
	s_cselect_b32 s16, -1, 0
.LBB134_2087:
	s_delay_alu instid0(SALU_CYCLE_1)
	s_and_b32 vcc_lo, exec_lo, s16
	s_mov_b32 s16, s19
	s_cbranch_vccnz .LBB134_2148
; %bb.2088:
	s_and_not1_b32 vcc_lo, exec_lo, s20
	s_cbranch_vccnz .LBB134_2090
.LBB134_2089:
	s_wait_loadcnt 0x0
	global_load_u8 v0, v[2:3], off
	s_mov_b32 s21, -1
	s_wait_loadcnt 0x0
	v_cmp_ne_u16_e32 vcc_lo, 0, v0
	v_cndmask_b32_e64 v0, 0, 1, vcc_lo
.LBB134_2090:
	s_branch .LBB134_2024
.LBB134_2091:
	s_and_b32 s0, 0xffff, s17
	s_delay_alu instid0(SALU_CYCLE_1)
	s_cmp_lt_i32 s0, 5
	s_cbranch_scc1 .LBB134_2096
; %bb.2092:
	s_cmp_lt_i32 s0, 8
	s_cbranch_scc1 .LBB134_2097
; %bb.2093:
	s_cmp_lt_i32 s0, 9
	s_cbranch_scc1 .LBB134_2098
; %bb.2094:
	s_cmp_gt_i32 s0, 9
	s_cbranch_scc0 .LBB134_2099
; %bb.2095:
	s_wait_loadcnt 0x0
	global_load_b64 v[0:1], v[2:3], off
	s_mov_b32 s20, 0
	s_wait_loadcnt 0x0
	v_cvt_i32_f64_e32 v0, v[0:1]
	s_branch .LBB134_2100
.LBB134_2096:
                                        ; implicit-def: $vgpr0
	s_branch .LBB134_2117
.LBB134_2097:
                                        ; implicit-def: $vgpr0
	s_branch .LBB134_2106
.LBB134_2098:
	s_mov_b32 s20, -1
                                        ; implicit-def: $vgpr0
	s_branch .LBB134_2103
.LBB134_2099:
	s_mov_b32 s20, -1
                                        ; implicit-def: $vgpr0
.LBB134_2100:
	s_delay_alu instid0(SALU_CYCLE_1)
	s_and_not1_b32 vcc_lo, exec_lo, s20
	s_cbranch_vccnz .LBB134_2102
; %bb.2101:
	s_wait_loadcnt 0x0
	global_load_b32 v0, v[2:3], off
	s_wait_loadcnt 0x0
	v_cvt_i32_f32_e32 v0, v0
.LBB134_2102:
	s_mov_b32 s20, 0
.LBB134_2103:
	s_delay_alu instid0(SALU_CYCLE_1)
	s_and_not1_b32 vcc_lo, exec_lo, s20
	s_cbranch_vccnz .LBB134_2105
; %bb.2104:
	s_wait_loadcnt 0x0
	global_load_b32 v0, v[2:3], off
	s_wait_loadcnt 0x0
	v_cvt_i16_f16_e32 v0, v0
.LBB134_2105:
	s_cbranch_execnz .LBB134_2116
.LBB134_2106:
	s_cmp_lt_i32 s0, 6
	s_cbranch_scc1 .LBB134_2109
; %bb.2107:
	s_cmp_gt_i32 s0, 6
	s_cbranch_scc0 .LBB134_2110
; %bb.2108:
	s_wait_loadcnt 0x0
	global_load_b64 v[0:1], v[2:3], off
	s_mov_b32 s20, 0
	s_wait_loadcnt 0x0
	v_cvt_i32_f64_e32 v0, v[0:1]
	s_branch .LBB134_2111
.LBB134_2109:
	s_mov_b32 s20, -1
                                        ; implicit-def: $vgpr0
	s_branch .LBB134_2114
.LBB134_2110:
	s_mov_b32 s20, -1
                                        ; implicit-def: $vgpr0
.LBB134_2111:
	s_delay_alu instid0(SALU_CYCLE_1)
	s_and_not1_b32 vcc_lo, exec_lo, s20
	s_cbranch_vccnz .LBB134_2113
; %bb.2112:
	s_wait_loadcnt 0x0
	global_load_b32 v0, v[2:3], off
	s_wait_loadcnt 0x0
	v_cvt_i32_f32_e32 v0, v0
.LBB134_2113:
	s_mov_b32 s20, 0
.LBB134_2114:
	s_delay_alu instid0(SALU_CYCLE_1)
	s_and_not1_b32 vcc_lo, exec_lo, s20
	s_cbranch_vccnz .LBB134_2116
; %bb.2115:
	s_wait_loadcnt 0x0
	global_load_u16 v0, v[2:3], off
	s_wait_loadcnt 0x0
	v_cvt_i16_f16_e32 v0, v0
.LBB134_2116:
	s_cbranch_execnz .LBB134_2135
.LBB134_2117:
	s_cmp_lt_i32 s0, 2
	s_cbranch_scc1 .LBB134_2121
; %bb.2118:
	s_cmp_lt_i32 s0, 3
	s_cbranch_scc1 .LBB134_2122
; %bb.2119:
	s_cmp_gt_i32 s0, 3
	s_cbranch_scc0 .LBB134_2123
; %bb.2120:
	s_wait_loadcnt 0x0
	global_load_b64 v[0:1], v[2:3], off
	s_mov_b32 s20, 0
	s_branch .LBB134_2124
.LBB134_2121:
                                        ; implicit-def: $vgpr0
	s_branch .LBB134_2130
.LBB134_2122:
	s_mov_b32 s20, -1
                                        ; implicit-def: $vgpr0
	s_branch .LBB134_2127
.LBB134_2123:
	s_mov_b32 s20, -1
                                        ; implicit-def: $vgpr0
.LBB134_2124:
	s_delay_alu instid0(SALU_CYCLE_1)
	s_and_not1_b32 vcc_lo, exec_lo, s20
	s_cbranch_vccnz .LBB134_2126
; %bb.2125:
	s_wait_loadcnt 0x0
	global_load_b32 v0, v[2:3], off
.LBB134_2126:
	s_mov_b32 s20, 0
.LBB134_2127:
	s_delay_alu instid0(SALU_CYCLE_1)
	s_and_not1_b32 vcc_lo, exec_lo, s20
	s_cbranch_vccnz .LBB134_2129
; %bb.2128:
	s_wait_loadcnt 0x0
	global_load_u16 v0, v[2:3], off
.LBB134_2129:
	s_cbranch_execnz .LBB134_2135
.LBB134_2130:
	s_cmp_gt_i32 s0, 0
	s_mov_b32 s0, 0
	s_cbranch_scc0 .LBB134_2132
; %bb.2131:
	s_wait_loadcnt 0x0
	global_load_i8 v0, v[2:3], off
	s_branch .LBB134_2133
.LBB134_2132:
	s_mov_b32 s0, -1
                                        ; implicit-def: $vgpr0
.LBB134_2133:
	s_delay_alu instid0(SALU_CYCLE_1)
	s_and_not1_b32 vcc_lo, exec_lo, s0
	s_cbranch_vccnz .LBB134_2135
; %bb.2134:
	s_wait_loadcnt 0x0
	global_load_u8 v0, v[2:3], off
.LBB134_2135:
.LBB134_2136:
	v_mul_lo_u32 v8, s14, v26
	s_and_b32 s3, s3, 0xff
	s_delay_alu instid0(SALU_CYCLE_1) | instskip(NEXT) | instid1(VALU_DEP_1)
	s_cmp_lt_i32 s3, 11
	v_ashrrev_i32_e32 v9, 31, v8
	s_delay_alu instid0(VALU_DEP_1)
	v_add_nc_u64_e32 v[6:7], s[8:9], v[8:9]
	s_cbranch_scc1 .LBB134_2143
; %bb.2137:
	s_and_b32 s0, 0xffff, s3
	s_mov_b32 s21, 0
	s_cmp_gt_i32 s0, 25
	s_cbranch_scc0 .LBB134_2145
; %bb.2138:
	s_cmp_gt_i32 s0, 28
	s_cbranch_scc0 .LBB134_2146
; %bb.2139:
	;; [unrolled: 3-line block ×4, first 2 shown]
	s_cmp_eq_u32 s0, 46
	s_mov_b32 s23, 0
	s_cbranch_scc0 .LBB134_2152
; %bb.2142:
	s_wait_loadcnt 0x0
	global_load_b32 v1, v[6:7], off
	s_mov_b32 s20, 0
	s_mov_b32 s22, -1
	s_wait_loadcnt 0x0
	v_lshlrev_b32_e32 v1, 16, v1
	s_wait_xcnt 0x1
	s_delay_alu instid0(VALU_DEP_1)
	v_cvt_i32_f32_e32 v2, v1
	s_branch .LBB134_2154
.LBB134_2143:
	s_mov_b32 s22, 0
                                        ; implicit-def: $vgpr2
	s_cbranch_execnz .LBB134_2215
.LBB134_2144:
	s_and_not1_b32 vcc_lo, exec_lo, s22
	s_cbranch_vccnz .LBB134_3968
	s_branch .LBB134_2262
.LBB134_2145:
	s_mov_b32 s22, 0
	s_mov_b32 s20, 0
                                        ; implicit-def: $vgpr2
	s_cbranch_execnz .LBB134_2181
	s_branch .LBB134_2211
.LBB134_2146:
	s_mov_b32 s23, -1
	s_mov_b32 s22, 0
	s_mov_b32 s20, 0
                                        ; implicit-def: $vgpr2
	s_branch .LBB134_2164
.LBB134_2147:
	s_mov_b32 s23, -1
	s_mov_b32 s22, 0
	s_mov_b32 s20, 0
                                        ; implicit-def: $vgpr2
	s_branch .LBB134_2159
.LBB134_2148:
	s_or_b32 s16, s19, exec_lo
	s_trap 2
	s_cbranch_execz .LBB134_2089
	s_branch .LBB134_2090
.LBB134_2149:
	s_mov_b32 s23, -1
	s_mov_b32 s22, 0
	s_mov_b32 s20, 0
	s_branch .LBB134_2153
.LBB134_2150:
	s_and_not1_saveexec_b32 s27, s27
	s_cbranch_execz .LBB134_1940
.LBB134_2151:
	v_add_f32_e64 v1, 0x42800000, |v0|
	s_and_not1_b32 s26, s26, exec_lo
	s_delay_alu instid0(VALU_DEP_1) | instskip(NEXT) | instid1(VALU_DEP_1)
	v_and_b32_e32 v1, 0xff, v1
	v_cmp_ne_u32_e32 vcc_lo, 0, v1
	s_and_b32 s28, vcc_lo, exec_lo
	s_delay_alu instid0(SALU_CYCLE_1)
	s_or_b32 s26, s26, s28
	s_or_b32 exec_lo, exec_lo, s27
	v_mov_b32_e32 v2, 0
	s_and_saveexec_b32 s27, s26
	s_cbranch_execnz .LBB134_1941
	s_branch .LBB134_1942
.LBB134_2152:
	s_mov_b32 s20, -1
	s_mov_b32 s22, 0
.LBB134_2153:
                                        ; implicit-def: $vgpr2
.LBB134_2154:
	s_and_b32 vcc_lo, exec_lo, s23
	s_cbranch_vccz .LBB134_2158
; %bb.2155:
	s_cmp_eq_u32 s0, 44
	s_cbranch_scc0 .LBB134_2157
; %bb.2156:
	s_wait_loadcnt 0x0
	global_load_u8 v1, v[6:7], off
	s_mov_b32 s20, 0
	s_mov_b32 s22, -1
	s_wait_loadcnt 0x0
	s_wait_xcnt 0x1
	v_lshlrev_b32_e32 v2, 23, v1
	v_cmp_ne_u32_e32 vcc_lo, 0, v1
	s_delay_alu instid0(VALU_DEP_2) | instskip(NEXT) | instid1(VALU_DEP_1)
	v_cvt_i32_f32_e32 v2, v2
	v_cndmask_b32_e32 v2, 0, v2, vcc_lo
	s_branch .LBB134_2158
.LBB134_2157:
	s_mov_b32 s20, -1
                                        ; implicit-def: $vgpr2
.LBB134_2158:
	s_mov_b32 s23, 0
.LBB134_2159:
	s_delay_alu instid0(SALU_CYCLE_1)
	s_and_b32 vcc_lo, exec_lo, s23
	s_cbranch_vccz .LBB134_2163
; %bb.2160:
	s_cmp_eq_u32 s0, 29
	s_cbranch_scc0 .LBB134_2162
; %bb.2161:
	global_load_b64 v[2:3], v[6:7], off
	s_mov_b32 s20, 0
	s_mov_b32 s22, -1
	s_branch .LBB134_2163
.LBB134_2162:
	s_mov_b32 s20, -1
                                        ; implicit-def: $vgpr2
.LBB134_2163:
	s_mov_b32 s23, 0
.LBB134_2164:
	s_delay_alu instid0(SALU_CYCLE_1)
	s_and_b32 vcc_lo, exec_lo, s23
	s_cbranch_vccz .LBB134_2180
; %bb.2165:
	s_cmp_lt_i32 s0, 27
	s_cbranch_scc1 .LBB134_2168
; %bb.2166:
	s_cmp_gt_i32 s0, 27
	s_cbranch_scc0 .LBB134_2169
; %bb.2167:
	s_wait_loadcnt 0x0
	global_load_b32 v2, v[6:7], off
	s_mov_b32 s22, 0
	s_branch .LBB134_2170
.LBB134_2168:
	s_mov_b32 s22, -1
                                        ; implicit-def: $vgpr2
	s_branch .LBB134_2173
.LBB134_2169:
	s_mov_b32 s22, -1
                                        ; implicit-def: $vgpr2
.LBB134_2170:
	s_delay_alu instid0(SALU_CYCLE_1)
	s_and_not1_b32 vcc_lo, exec_lo, s22
	s_cbranch_vccnz .LBB134_2172
; %bb.2171:
	s_wait_loadcnt 0x0
	global_load_u16 v2, v[6:7], off
.LBB134_2172:
	s_mov_b32 s22, 0
.LBB134_2173:
	s_delay_alu instid0(SALU_CYCLE_1)
	s_and_not1_b32 vcc_lo, exec_lo, s22
	s_cbranch_vccnz .LBB134_2179
; %bb.2174:
	s_wait_loadcnt 0x0
	global_load_u8 v1, v[6:7], off
	s_mov_b32 s23, 0
	s_mov_b32 s22, exec_lo
	s_wait_loadcnt 0x0
	v_cmpx_lt_i16_e32 0x7f, v1
	s_xor_b32 s22, exec_lo, s22
	s_cbranch_execz .LBB134_2190
; %bb.2175:
	v_cmp_ne_u16_e32 vcc_lo, 0x80, v1
	s_and_b32 s23, vcc_lo, exec_lo
	s_and_not1_saveexec_b32 s22, s22
	s_cbranch_execnz .LBB134_2191
.LBB134_2176:
	s_or_b32 exec_lo, exec_lo, s22
	v_mov_b32_e32 v2, 0
	s_and_saveexec_b32 s22, s23
	s_cbranch_execz .LBB134_2178
.LBB134_2177:
	v_and_b32_e32 v2, 0xffff, v1
	s_delay_alu instid0(VALU_DEP_1) | instskip(SKIP_1) | instid1(VALU_DEP_2)
	v_and_b32_e32 v3, 7, v2
	v_bfe_u32 v10, v2, 3, 4
	v_clz_i32_u32_e32 v5, v3
	s_delay_alu instid0(VALU_DEP_2) | instskip(NEXT) | instid1(VALU_DEP_2)
	v_cmp_eq_u32_e32 vcc_lo, 0, v10
	v_min_u32_e32 v5, 32, v5
	s_delay_alu instid0(VALU_DEP_1) | instskip(NEXT) | instid1(VALU_DEP_1)
	v_subrev_nc_u32_e32 v9, 28, v5
	v_dual_lshlrev_b32 v2, v9, v2 :: v_dual_sub_nc_u32 v5, 29, v5
	s_delay_alu instid0(VALU_DEP_1) | instskip(NEXT) | instid1(VALU_DEP_1)
	v_dual_lshlrev_b32 v1, 24, v1 :: v_dual_bitop2_b32 v2, 7, v2 bitop3:0x40
	v_dual_cndmask_b32 v2, v3, v2 :: v_dual_cndmask_b32 v5, v10, v5
	s_delay_alu instid0(VALU_DEP_2) | instskip(NEXT) | instid1(VALU_DEP_2)
	v_and_b32_e32 v1, 0x80000000, v1
	v_lshlrev_b32_e32 v2, 20, v2
	s_delay_alu instid0(VALU_DEP_3) | instskip(NEXT) | instid1(VALU_DEP_1)
	v_lshl_add_u32 v3, v5, 23, 0x3b800000
	v_or3_b32 v1, v1, v3, v2
	s_delay_alu instid0(VALU_DEP_1)
	v_cvt_i32_f32_e32 v2, v1
.LBB134_2178:
	s_or_b32 exec_lo, exec_lo, s22
.LBB134_2179:
	s_mov_b32 s22, -1
.LBB134_2180:
	s_branch .LBB134_2211
.LBB134_2181:
	s_cmp_gt_i32 s0, 22
	s_cbranch_scc0 .LBB134_2189
; %bb.2182:
	s_cmp_lt_i32 s0, 24
	s_cbranch_scc1 .LBB134_2192
; %bb.2183:
	s_cmp_gt_i32 s0, 24
	s_cbranch_scc0 .LBB134_2193
; %bb.2184:
	s_wait_loadcnt 0x0
	global_load_u8 v1, v[6:7], off
	s_mov_b32 s22, 0
	s_mov_b32 s21, exec_lo
	s_wait_loadcnt 0x0
	v_cmpx_lt_i16_e32 0x7f, v1
	s_xor_b32 s21, exec_lo, s21
	s_cbranch_execz .LBB134_2205
; %bb.2185:
	v_cmp_ne_u16_e32 vcc_lo, 0x80, v1
	s_and_b32 s22, vcc_lo, exec_lo
	s_and_not1_saveexec_b32 s21, s21
	s_cbranch_execnz .LBB134_2206
.LBB134_2186:
	s_or_b32 exec_lo, exec_lo, s21
	v_mov_b32_e32 v2, 0
	s_and_saveexec_b32 s21, s22
	s_cbranch_execz .LBB134_2188
.LBB134_2187:
	v_and_b32_e32 v2, 0xffff, v1
	s_delay_alu instid0(VALU_DEP_1) | instskip(SKIP_1) | instid1(VALU_DEP_2)
	v_and_b32_e32 v3, 3, v2
	v_bfe_u32 v10, v2, 2, 5
	v_clz_i32_u32_e32 v5, v3
	s_delay_alu instid0(VALU_DEP_2) | instskip(NEXT) | instid1(VALU_DEP_2)
	v_cmp_eq_u32_e32 vcc_lo, 0, v10
	v_min_u32_e32 v5, 32, v5
	s_delay_alu instid0(VALU_DEP_1) | instskip(NEXT) | instid1(VALU_DEP_1)
	v_subrev_nc_u32_e32 v9, 29, v5
	v_dual_lshlrev_b32 v2, v9, v2 :: v_dual_sub_nc_u32 v5, 30, v5
	s_delay_alu instid0(VALU_DEP_1) | instskip(NEXT) | instid1(VALU_DEP_1)
	v_dual_lshlrev_b32 v1, 24, v1 :: v_dual_bitop2_b32 v2, 3, v2 bitop3:0x40
	v_dual_cndmask_b32 v2, v3, v2 :: v_dual_cndmask_b32 v5, v10, v5
	s_delay_alu instid0(VALU_DEP_2) | instskip(NEXT) | instid1(VALU_DEP_2)
	v_and_b32_e32 v1, 0x80000000, v1
	v_lshlrev_b32_e32 v2, 21, v2
	s_delay_alu instid0(VALU_DEP_3) | instskip(NEXT) | instid1(VALU_DEP_1)
	v_lshl_add_u32 v3, v5, 23, 0x37800000
	v_or3_b32 v1, v1, v3, v2
	s_delay_alu instid0(VALU_DEP_1)
	v_cvt_i32_f32_e32 v2, v1
.LBB134_2188:
	s_or_b32 exec_lo, exec_lo, s21
	s_mov_b32 s21, 0
	s_branch .LBB134_2194
.LBB134_2189:
	s_mov_b32 s21, -1
                                        ; implicit-def: $vgpr2
	s_branch .LBB134_2200
.LBB134_2190:
	s_and_not1_saveexec_b32 s22, s22
	s_cbranch_execz .LBB134_2176
.LBB134_2191:
	v_cmp_ne_u16_e32 vcc_lo, 0, v1
	s_and_not1_b32 s23, s23, exec_lo
	s_and_b32 s24, vcc_lo, exec_lo
	s_delay_alu instid0(SALU_CYCLE_1)
	s_or_b32 s23, s23, s24
	s_or_b32 exec_lo, exec_lo, s22
	v_mov_b32_e32 v2, 0
	s_and_saveexec_b32 s22, s23
	s_cbranch_execnz .LBB134_2177
	s_branch .LBB134_2178
.LBB134_2192:
	s_mov_b32 s21, -1
                                        ; implicit-def: $vgpr2
	s_branch .LBB134_2197
.LBB134_2193:
	s_mov_b32 s21, -1
                                        ; implicit-def: $vgpr2
.LBB134_2194:
	s_delay_alu instid0(SALU_CYCLE_1)
	s_and_b32 vcc_lo, exec_lo, s21
	s_cbranch_vccz .LBB134_2196
; %bb.2195:
	s_wait_loadcnt 0x0
	global_load_u8 v1, v[6:7], off
	s_wait_loadcnt 0x0
	v_lshlrev_b32_e32 v1, 24, v1
	s_wait_xcnt 0x1
	s_delay_alu instid0(VALU_DEP_1) | instskip(NEXT) | instid1(VALU_DEP_1)
	v_and_b32_e32 v2, 0x7f000000, v1
	v_clz_i32_u32_e32 v3, v2
	v_cmp_ne_u32_e32 vcc_lo, 0, v2
	v_add_nc_u32_e32 v9, 0x1000000, v2
	s_delay_alu instid0(VALU_DEP_3) | instskip(NEXT) | instid1(VALU_DEP_1)
	v_min_u32_e32 v3, 32, v3
	v_sub_nc_u32_e64 v3, v3, 4 clamp
	s_delay_alu instid0(VALU_DEP_1) | instskip(NEXT) | instid1(VALU_DEP_1)
	v_dual_lshlrev_b32 v5, v3, v2 :: v_dual_lshlrev_b32 v3, 23, v3
	v_lshrrev_b32_e32 v5, 4, v5
	s_delay_alu instid0(VALU_DEP_1) | instskip(NEXT) | instid1(VALU_DEP_1)
	v_dual_sub_nc_u32 v3, v5, v3 :: v_dual_ashrrev_i32 v5, 8, v9
	v_add_nc_u32_e32 v3, 0x3c000000, v3
	s_delay_alu instid0(VALU_DEP_1) | instskip(NEXT) | instid1(VALU_DEP_1)
	v_and_or_b32 v3, 0x7f800000, v5, v3
	v_cndmask_b32_e32 v2, 0, v3, vcc_lo
	s_delay_alu instid0(VALU_DEP_1) | instskip(NEXT) | instid1(VALU_DEP_1)
	v_and_or_b32 v1, 0x80000000, v1, v2
	v_cvt_i32_f32_e32 v2, v1
.LBB134_2196:
	s_mov_b32 s21, 0
.LBB134_2197:
	s_delay_alu instid0(SALU_CYCLE_1)
	s_and_not1_b32 vcc_lo, exec_lo, s21
	s_cbranch_vccnz .LBB134_2199
; %bb.2198:
	s_wait_loadcnt 0x0
	global_load_u8 v1, v[6:7], off
	s_wait_loadcnt 0x0
	s_wait_xcnt 0x1
	v_lshlrev_b32_e32 v2, 25, v1
	v_lshlrev_b16 v1, 8, v1
	s_delay_alu instid0(VALU_DEP_1) | instskip(NEXT) | instid1(VALU_DEP_3)
	v_and_or_b32 v5, 0x7f00, v1, 0.5
	v_lshrrev_b32_e32 v3, 4, v2
	v_bfe_i32 v1, v1, 0, 16
	s_delay_alu instid0(VALU_DEP_3) | instskip(NEXT) | instid1(VALU_DEP_3)
	v_add_f32_e32 v5, -0.5, v5
	v_or_b32_e32 v3, 0x70000000, v3
	s_delay_alu instid0(VALU_DEP_1) | instskip(SKIP_1) | instid1(VALU_DEP_2)
	v_mul_f32_e32 v3, 0x7800000, v3
	v_cmp_gt_u32_e32 vcc_lo, 0x8000000, v2
	v_cndmask_b32_e32 v2, v3, v5, vcc_lo
	s_delay_alu instid0(VALU_DEP_1) | instskip(NEXT) | instid1(VALU_DEP_1)
	v_and_or_b32 v1, 0x80000000, v1, v2
	v_cvt_i32_f32_e32 v2, v1
.LBB134_2199:
	s_mov_b32 s21, 0
	s_mov_b32 s22, -1
.LBB134_2200:
	s_and_not1_b32 vcc_lo, exec_lo, s21
	s_mov_b32 s21, 0
	s_cbranch_vccnz .LBB134_2211
; %bb.2201:
	s_cmp_gt_i32 s0, 14
	s_cbranch_scc0 .LBB134_2204
; %bb.2202:
	s_cmp_eq_u32 s0, 15
	s_cbranch_scc0 .LBB134_2207
; %bb.2203:
	s_wait_loadcnt 0x0
	global_load_u16 v1, v[6:7], off
	s_mov_b32 s20, 0
	s_mov_b32 s22, -1
	s_wait_loadcnt 0x0
	v_lshlrev_b32_e32 v1, 16, v1
	s_wait_xcnt 0x1
	s_delay_alu instid0(VALU_DEP_1)
	v_cvt_i32_f32_e32 v2, v1
	s_branch .LBB134_2209
.LBB134_2204:
	s_mov_b32 s21, -1
	s_branch .LBB134_2208
.LBB134_2205:
	s_and_not1_saveexec_b32 s21, s21
	s_cbranch_execz .LBB134_2186
.LBB134_2206:
	v_cmp_ne_u16_e32 vcc_lo, 0, v1
	s_and_not1_b32 s22, s22, exec_lo
	s_and_b32 s23, vcc_lo, exec_lo
	s_delay_alu instid0(SALU_CYCLE_1)
	s_or_b32 s22, s22, s23
	s_or_b32 exec_lo, exec_lo, s21
	v_mov_b32_e32 v2, 0
	s_and_saveexec_b32 s21, s22
	s_cbranch_execnz .LBB134_2187
	s_branch .LBB134_2188
.LBB134_2207:
	s_mov_b32 s20, -1
.LBB134_2208:
                                        ; implicit-def: $vgpr2
.LBB134_2209:
	s_and_b32 vcc_lo, exec_lo, s21
	s_mov_b32 s21, 0
	s_cbranch_vccz .LBB134_2211
; %bb.2210:
	s_cmp_lg_u32 s0, 11
	s_mov_b32 s21, -1
	s_cselect_b32 s20, -1, 0
.LBB134_2211:
	s_delay_alu instid0(SALU_CYCLE_1)
	s_and_b32 vcc_lo, exec_lo, s20
	s_cbranch_vccnz .LBB134_2274
; %bb.2212:
	s_and_not1_b32 vcc_lo, exec_lo, s21
	s_cbranch_vccnz .LBB134_2214
.LBB134_2213:
	s_wait_loadcnt 0x0
	global_load_u8 v1, v[6:7], off
	s_mov_b32 s22, -1
	s_wait_loadcnt 0x0
	v_cmp_ne_u16_e32 vcc_lo, 0, v1
	s_wait_xcnt 0x1
	v_cndmask_b32_e64 v2, 0, 1, vcc_lo
.LBB134_2214:
	s_branch .LBB134_2144
.LBB134_2215:
	s_and_b32 s0, 0xffff, s3
	s_delay_alu instid0(SALU_CYCLE_1)
	s_cmp_lt_i32 s0, 5
	s_cbranch_scc1 .LBB134_2220
; %bb.2216:
	s_cmp_lt_i32 s0, 8
	s_cbranch_scc1 .LBB134_2221
; %bb.2217:
	;; [unrolled: 3-line block ×3, first 2 shown]
	s_cmp_gt_i32 s0, 9
	s_cbranch_scc0 .LBB134_2223
; %bb.2219:
	s_wait_loadcnt 0x0
	global_load_b64 v[2:3], v[6:7], off
	s_mov_b32 s20, 0
	s_wait_loadcnt 0x0
	v_cvt_i32_f64_e32 v2, v[2:3]
	s_branch .LBB134_2224
.LBB134_2220:
                                        ; implicit-def: $vgpr2
	s_branch .LBB134_2242
.LBB134_2221:
	s_mov_b32 s20, -1
                                        ; implicit-def: $vgpr2
	s_branch .LBB134_2230
.LBB134_2222:
	s_mov_b32 s20, -1
                                        ; implicit-def: $vgpr2
	s_branch .LBB134_2227
.LBB134_2223:
	s_mov_b32 s20, -1
                                        ; implicit-def: $vgpr2
.LBB134_2224:
	s_delay_alu instid0(SALU_CYCLE_1)
	s_and_not1_b32 vcc_lo, exec_lo, s20
	s_cbranch_vccnz .LBB134_2226
; %bb.2225:
	s_wait_loadcnt 0x0
	global_load_b32 v1, v[6:7], off
	s_wait_loadcnt 0x0
	s_wait_xcnt 0x1
	v_cvt_i32_f32_e32 v2, v1
.LBB134_2226:
	s_mov_b32 s20, 0
.LBB134_2227:
	s_delay_alu instid0(SALU_CYCLE_1)
	s_and_not1_b32 vcc_lo, exec_lo, s20
	s_cbranch_vccnz .LBB134_2229
; %bb.2228:
	s_wait_loadcnt 0x0
	global_load_b32 v1, v[6:7], off
	s_wait_loadcnt 0x0
	s_wait_xcnt 0x1
	v_cvt_i16_f16_e32 v2, v1
.LBB134_2229:
	s_mov_b32 s20, 0
.LBB134_2230:
	s_delay_alu instid0(SALU_CYCLE_1)
	s_and_not1_b32 vcc_lo, exec_lo, s20
	s_cbranch_vccnz .LBB134_2241
; %bb.2231:
	s_cmp_lt_i32 s0, 6
	s_cbranch_scc1 .LBB134_2234
; %bb.2232:
	s_cmp_gt_i32 s0, 6
	s_cbranch_scc0 .LBB134_2235
; %bb.2233:
	s_wait_loadcnt 0x0
	global_load_b64 v[2:3], v[6:7], off
	s_mov_b32 s20, 0
	s_wait_loadcnt 0x0
	v_cvt_i32_f64_e32 v2, v[2:3]
	s_branch .LBB134_2236
.LBB134_2234:
	s_mov_b32 s20, -1
                                        ; implicit-def: $vgpr2
	s_branch .LBB134_2239
.LBB134_2235:
	s_mov_b32 s20, -1
                                        ; implicit-def: $vgpr2
.LBB134_2236:
	s_delay_alu instid0(SALU_CYCLE_1)
	s_and_not1_b32 vcc_lo, exec_lo, s20
	s_cbranch_vccnz .LBB134_2238
; %bb.2237:
	s_wait_loadcnt 0x0
	global_load_b32 v1, v[6:7], off
	s_wait_loadcnt 0x0
	s_wait_xcnt 0x1
	v_cvt_i32_f32_e32 v2, v1
.LBB134_2238:
	s_mov_b32 s20, 0
.LBB134_2239:
	s_delay_alu instid0(SALU_CYCLE_1)
	s_and_not1_b32 vcc_lo, exec_lo, s20
	s_cbranch_vccnz .LBB134_2241
; %bb.2240:
	s_wait_loadcnt 0x0
	global_load_u16 v1, v[6:7], off
	s_wait_loadcnt 0x0
	s_wait_xcnt 0x1
	v_cvt_i16_f16_e32 v2, v1
.LBB134_2241:
	s_cbranch_execnz .LBB134_2261
.LBB134_2242:
	s_cmp_lt_i32 s0, 2
	s_cbranch_scc1 .LBB134_2246
; %bb.2243:
	s_cmp_lt_i32 s0, 3
	s_cbranch_scc1 .LBB134_2247
; %bb.2244:
	s_cmp_gt_i32 s0, 3
	s_cbranch_scc0 .LBB134_2248
; %bb.2245:
	s_wait_loadcnt 0x0
	global_load_b64 v[2:3], v[6:7], off
	s_mov_b32 s20, 0
	s_branch .LBB134_2249
.LBB134_2246:
	s_mov_b32 s20, -1
                                        ; implicit-def: $vgpr2
	s_branch .LBB134_2255
.LBB134_2247:
	s_mov_b32 s20, -1
                                        ; implicit-def: $vgpr2
	s_branch .LBB134_2252
.LBB134_2248:
	s_mov_b32 s20, -1
                                        ; implicit-def: $vgpr2
.LBB134_2249:
	s_delay_alu instid0(SALU_CYCLE_1)
	s_and_not1_b32 vcc_lo, exec_lo, s20
	s_cbranch_vccnz .LBB134_2251
; %bb.2250:
	s_wait_loadcnt 0x0
	global_load_b32 v2, v[6:7], off
.LBB134_2251:
	s_mov_b32 s20, 0
.LBB134_2252:
	s_delay_alu instid0(SALU_CYCLE_1)
	s_and_not1_b32 vcc_lo, exec_lo, s20
	s_cbranch_vccnz .LBB134_2254
; %bb.2253:
	s_wait_loadcnt 0x0
	global_load_u16 v2, v[6:7], off
.LBB134_2254:
	s_mov_b32 s20, 0
.LBB134_2255:
	s_delay_alu instid0(SALU_CYCLE_1)
	s_and_not1_b32 vcc_lo, exec_lo, s20
	s_cbranch_vccnz .LBB134_2261
; %bb.2256:
	s_cmp_gt_i32 s0, 0
	s_mov_b32 s0, 0
	s_cbranch_scc0 .LBB134_2258
; %bb.2257:
	s_wait_loadcnt 0x0
	global_load_i8 v2, v[6:7], off
	s_branch .LBB134_2259
.LBB134_2258:
	s_mov_b32 s0, -1
                                        ; implicit-def: $vgpr2
.LBB134_2259:
	s_delay_alu instid0(SALU_CYCLE_1)
	s_and_not1_b32 vcc_lo, exec_lo, s0
	s_cbranch_vccnz .LBB134_2261
; %bb.2260:
	s_wait_loadcnt 0x0
	global_load_u8 v2, v[6:7], off
.LBB134_2261:
.LBB134_2262:
	v_mul_lo_u32 v10, s15, v26
	s_and_b32 s0, 0xffff, s1
	s_delay_alu instid0(SALU_CYCLE_1) | instskip(NEXT) | instid1(VALU_DEP_1)
	s_cmp_lt_i32 s0, 11
	v_ashrrev_i32_e32 v11, 31, v10
	s_delay_alu instid0(VALU_DEP_1)
	v_add_nc_u64_e32 v[12:13], s[10:11], v[10:11]
	s_cbranch_scc1 .LBB134_2269
; %bb.2263:
	s_cmp_gt_i32 s0, 25
	s_mov_b32 s20, 0
	s_cbranch_scc0 .LBB134_2271
; %bb.2264:
	s_cmp_gt_i32 s0, 28
	s_cbranch_scc0 .LBB134_2272
; %bb.2265:
	s_cmp_gt_i32 s0, 43
	;; [unrolled: 3-line block ×3, first 2 shown]
	s_cbranch_scc0 .LBB134_2275
; %bb.2267:
	s_cmp_eq_u32 s0, 46
	s_mov_b32 s22, 0
	s_cbranch_scc0 .LBB134_2276
; %bb.2268:
	s_wait_loadcnt 0x0
	global_load_b32 v1, v[12:13], off
	s_mov_b32 s1, 0
	s_mov_b32 s21, -1
	s_wait_loadcnt 0x0
	v_lshlrev_b32_e32 v1, 16, v1
	s_wait_xcnt 0x1
	s_delay_alu instid0(VALU_DEP_1)
	v_cvt_i32_f32_e32 v6, v1
	s_branch .LBB134_2278
.LBB134_2269:
	s_mov_b32 s21, 0
                                        ; implicit-def: $vgpr6
	s_cbranch_execnz .LBB134_2340
.LBB134_2270:
	s_and_not1_b32 vcc_lo, exec_lo, s21
	s_cbranch_vccnz .LBB134_3968
	s_branch .LBB134_2388
.LBB134_2271:
	s_mov_b32 s22, -1
	s_mov_b32 s21, 0
	s_mov_b32 s1, 0
                                        ; implicit-def: $vgpr6
	s_branch .LBB134_2305
.LBB134_2272:
	s_mov_b32 s22, -1
	s_mov_b32 s21, 0
	s_mov_b32 s1, 0
                                        ; implicit-def: $vgpr6
	s_branch .LBB134_2288
.LBB134_2273:
	s_mov_b32 s22, -1
	s_mov_b32 s21, 0
	s_mov_b32 s1, 0
                                        ; implicit-def: $vgpr6
	s_branch .LBB134_2283
.LBB134_2274:
	s_or_b32 s16, s16, exec_lo
	s_trap 2
	s_cbranch_execz .LBB134_2213
	s_branch .LBB134_2214
.LBB134_2275:
	s_mov_b32 s22, -1
	s_mov_b32 s21, 0
	s_mov_b32 s1, 0
	s_branch .LBB134_2277
.LBB134_2276:
	s_mov_b32 s1, -1
	s_mov_b32 s21, 0
.LBB134_2277:
                                        ; implicit-def: $vgpr6
.LBB134_2278:
	s_and_b32 vcc_lo, exec_lo, s22
	s_cbranch_vccz .LBB134_2282
; %bb.2279:
	s_cmp_eq_u32 s0, 44
	s_cbranch_scc0 .LBB134_2281
; %bb.2280:
	s_wait_loadcnt 0x0
	global_load_u8 v1, v[12:13], off
	s_mov_b32 s1, 0
	s_mov_b32 s21, -1
	s_wait_loadcnt 0x0
	s_wait_xcnt 0x1
	v_lshlrev_b32_e32 v3, 23, v1
	v_cmp_ne_u32_e32 vcc_lo, 0, v1
	s_delay_alu instid0(VALU_DEP_2) | instskip(NEXT) | instid1(VALU_DEP_1)
	v_cvt_i32_f32_e32 v3, v3
	v_cndmask_b32_e32 v6, 0, v3, vcc_lo
	s_branch .LBB134_2282
.LBB134_2281:
	s_mov_b32 s1, -1
                                        ; implicit-def: $vgpr6
.LBB134_2282:
	s_mov_b32 s22, 0
.LBB134_2283:
	s_delay_alu instid0(SALU_CYCLE_1)
	s_and_b32 vcc_lo, exec_lo, s22
	s_cbranch_vccz .LBB134_2287
; %bb.2284:
	s_cmp_eq_u32 s0, 29
	s_cbranch_scc0 .LBB134_2286
; %bb.2285:
	global_load_b64 v[6:7], v[12:13], off
	s_mov_b32 s1, 0
	s_mov_b32 s21, -1
	s_branch .LBB134_2287
.LBB134_2286:
	s_mov_b32 s1, -1
                                        ; implicit-def: $vgpr6
.LBB134_2287:
	s_mov_b32 s22, 0
.LBB134_2288:
	s_delay_alu instid0(SALU_CYCLE_1)
	s_and_b32 vcc_lo, exec_lo, s22
	s_cbranch_vccz .LBB134_2304
; %bb.2289:
	s_cmp_lt_i32 s0, 27
	s_cbranch_scc1 .LBB134_2292
; %bb.2290:
	s_cmp_gt_i32 s0, 27
	s_cbranch_scc0 .LBB134_2293
; %bb.2291:
	s_wait_loadcnt 0x0
	global_load_b32 v6, v[12:13], off
	s_mov_b32 s21, 0
	s_branch .LBB134_2294
.LBB134_2292:
	s_mov_b32 s21, -1
                                        ; implicit-def: $vgpr6
	s_branch .LBB134_2297
.LBB134_2293:
	s_mov_b32 s21, -1
                                        ; implicit-def: $vgpr6
.LBB134_2294:
	s_delay_alu instid0(SALU_CYCLE_1)
	s_and_not1_b32 vcc_lo, exec_lo, s21
	s_cbranch_vccnz .LBB134_2296
; %bb.2295:
	s_wait_loadcnt 0x0
	global_load_u16 v6, v[12:13], off
.LBB134_2296:
	s_mov_b32 s21, 0
.LBB134_2297:
	s_delay_alu instid0(SALU_CYCLE_1)
	s_and_not1_b32 vcc_lo, exec_lo, s21
	s_cbranch_vccnz .LBB134_2303
; %bb.2298:
	s_wait_loadcnt 0x0
	global_load_u8 v1, v[12:13], off
	s_mov_b32 s22, 0
	s_mov_b32 s21, exec_lo
	s_wait_loadcnt 0x0
	v_cmpx_lt_i16_e32 0x7f, v1
	s_xor_b32 s21, exec_lo, s21
	s_cbranch_execz .LBB134_2315
; %bb.2299:
	v_cmp_ne_u16_e32 vcc_lo, 0x80, v1
	s_and_b32 s22, vcc_lo, exec_lo
	s_and_not1_saveexec_b32 s21, s21
	s_cbranch_execnz .LBB134_2316
.LBB134_2300:
	s_or_b32 exec_lo, exec_lo, s21
	v_mov_b32_e32 v6, 0
	s_and_saveexec_b32 s21, s22
	s_cbranch_execz .LBB134_2302
.LBB134_2301:
	v_and_b32_e32 v3, 0xffff, v1
	s_delay_alu instid0(VALU_DEP_1) | instskip(SKIP_1) | instid1(VALU_DEP_2)
	v_and_b32_e32 v5, 7, v3
	v_bfe_u32 v9, v3, 3, 4
	v_clz_i32_u32_e32 v6, v5
	s_delay_alu instid0(VALU_DEP_2) | instskip(NEXT) | instid1(VALU_DEP_2)
	v_cmp_eq_u32_e32 vcc_lo, 0, v9
	v_min_u32_e32 v6, 32, v6
	s_delay_alu instid0(VALU_DEP_1) | instskip(NEXT) | instid1(VALU_DEP_1)
	v_subrev_nc_u32_e32 v7, 28, v6
	v_dual_lshlrev_b32 v3, v7, v3 :: v_dual_sub_nc_u32 v6, 29, v6
	s_delay_alu instid0(VALU_DEP_1) | instskip(NEXT) | instid1(VALU_DEP_2)
	v_dual_lshlrev_b32 v1, 24, v1 :: v_dual_bitop2_b32 v3, 7, v3 bitop3:0x40
	v_cndmask_b32_e32 v6, v9, v6, vcc_lo
	s_delay_alu instid0(VALU_DEP_2) | instskip(NEXT) | instid1(VALU_DEP_3)
	v_cndmask_b32_e32 v3, v5, v3, vcc_lo
	v_and_b32_e32 v1, 0x80000000, v1
	s_delay_alu instid0(VALU_DEP_3) | instskip(NEXT) | instid1(VALU_DEP_3)
	v_lshl_add_u32 v5, v6, 23, 0x3b800000
	v_lshlrev_b32_e32 v3, 20, v3
	s_delay_alu instid0(VALU_DEP_1) | instskip(NEXT) | instid1(VALU_DEP_1)
	v_or3_b32 v1, v1, v5, v3
	v_cvt_i32_f32_e32 v6, v1
.LBB134_2302:
	s_or_b32 exec_lo, exec_lo, s21
.LBB134_2303:
	s_mov_b32 s21, -1
.LBB134_2304:
	s_mov_b32 s22, 0
.LBB134_2305:
	s_delay_alu instid0(SALU_CYCLE_1)
	s_and_b32 vcc_lo, exec_lo, s22
	s_cbranch_vccz .LBB134_2336
; %bb.2306:
	s_cmp_gt_i32 s0, 22
	s_cbranch_scc0 .LBB134_2314
; %bb.2307:
	s_cmp_lt_i32 s0, 24
	s_cbranch_scc1 .LBB134_2317
; %bb.2308:
	s_cmp_gt_i32 s0, 24
	s_cbranch_scc0 .LBB134_2318
; %bb.2309:
	s_wait_loadcnt 0x0
	global_load_u8 v1, v[12:13], off
	s_mov_b32 s21, 0
	s_mov_b32 s20, exec_lo
	s_wait_loadcnt 0x0
	v_cmpx_lt_i16_e32 0x7f, v1
	s_xor_b32 s20, exec_lo, s20
	s_cbranch_execz .LBB134_2330
; %bb.2310:
	v_cmp_ne_u16_e32 vcc_lo, 0x80, v1
	s_and_b32 s21, vcc_lo, exec_lo
	s_and_not1_saveexec_b32 s20, s20
	s_cbranch_execnz .LBB134_2331
.LBB134_2311:
	s_or_b32 exec_lo, exec_lo, s20
	v_mov_b32_e32 v6, 0
	s_and_saveexec_b32 s20, s21
	s_cbranch_execz .LBB134_2313
.LBB134_2312:
	v_and_b32_e32 v3, 0xffff, v1
	s_delay_alu instid0(VALU_DEP_1) | instskip(SKIP_1) | instid1(VALU_DEP_2)
	v_and_b32_e32 v5, 3, v3
	v_bfe_u32 v9, v3, 2, 5
	v_clz_i32_u32_e32 v6, v5
	s_delay_alu instid0(VALU_DEP_2) | instskip(NEXT) | instid1(VALU_DEP_2)
	v_cmp_eq_u32_e32 vcc_lo, 0, v9
	v_min_u32_e32 v6, 32, v6
	s_delay_alu instid0(VALU_DEP_1) | instskip(NEXT) | instid1(VALU_DEP_1)
	v_subrev_nc_u32_e32 v7, 29, v6
	v_dual_lshlrev_b32 v3, v7, v3 :: v_dual_sub_nc_u32 v6, 30, v6
	s_delay_alu instid0(VALU_DEP_1) | instskip(NEXT) | instid1(VALU_DEP_2)
	v_dual_lshlrev_b32 v1, 24, v1 :: v_dual_bitop2_b32 v3, 3, v3 bitop3:0x40
	v_cndmask_b32_e32 v6, v9, v6, vcc_lo
	s_delay_alu instid0(VALU_DEP_2) | instskip(NEXT) | instid1(VALU_DEP_3)
	v_cndmask_b32_e32 v3, v5, v3, vcc_lo
	v_and_b32_e32 v1, 0x80000000, v1
	s_delay_alu instid0(VALU_DEP_3) | instskip(NEXT) | instid1(VALU_DEP_3)
	v_lshl_add_u32 v5, v6, 23, 0x37800000
	v_lshlrev_b32_e32 v3, 21, v3
	s_delay_alu instid0(VALU_DEP_1) | instskip(NEXT) | instid1(VALU_DEP_1)
	v_or3_b32 v1, v1, v5, v3
	v_cvt_i32_f32_e32 v6, v1
.LBB134_2313:
	s_or_b32 exec_lo, exec_lo, s20
	s_mov_b32 s20, 0
	s_branch .LBB134_2319
.LBB134_2314:
	s_mov_b32 s20, -1
                                        ; implicit-def: $vgpr6
	s_branch .LBB134_2325
.LBB134_2315:
	s_and_not1_saveexec_b32 s21, s21
	s_cbranch_execz .LBB134_2300
.LBB134_2316:
	v_cmp_ne_u16_e32 vcc_lo, 0, v1
	s_and_not1_b32 s22, s22, exec_lo
	s_and_b32 s23, vcc_lo, exec_lo
	s_delay_alu instid0(SALU_CYCLE_1)
	s_or_b32 s22, s22, s23
	s_or_b32 exec_lo, exec_lo, s21
	v_mov_b32_e32 v6, 0
	s_and_saveexec_b32 s21, s22
	s_cbranch_execnz .LBB134_2301
	s_branch .LBB134_2302
.LBB134_2317:
	s_mov_b32 s20, -1
                                        ; implicit-def: $vgpr6
	s_branch .LBB134_2322
.LBB134_2318:
	s_mov_b32 s20, -1
                                        ; implicit-def: $vgpr6
.LBB134_2319:
	s_delay_alu instid0(SALU_CYCLE_1)
	s_and_b32 vcc_lo, exec_lo, s20
	s_cbranch_vccz .LBB134_2321
; %bb.2320:
	s_wait_loadcnt 0x0
	global_load_u8 v1, v[12:13], off
	s_wait_loadcnt 0x0
	v_lshlrev_b32_e32 v1, 24, v1
	s_wait_xcnt 0x1
	s_delay_alu instid0(VALU_DEP_1) | instskip(NEXT) | instid1(VALU_DEP_1)
	v_and_b32_e32 v3, 0x7f000000, v1
	v_clz_i32_u32_e32 v5, v3
	v_add_nc_u32_e32 v7, 0x1000000, v3
	v_cmp_ne_u32_e32 vcc_lo, 0, v3
	s_delay_alu instid0(VALU_DEP_3) | instskip(NEXT) | instid1(VALU_DEP_1)
	v_min_u32_e32 v5, 32, v5
	v_sub_nc_u32_e64 v5, v5, 4 clamp
	s_delay_alu instid0(VALU_DEP_1) | instskip(NEXT) | instid1(VALU_DEP_1)
	v_dual_lshlrev_b32 v6, v5, v3 :: v_dual_lshlrev_b32 v5, 23, v5
	v_lshrrev_b32_e32 v6, 4, v6
	s_delay_alu instid0(VALU_DEP_1) | instskip(NEXT) | instid1(VALU_DEP_1)
	v_dual_sub_nc_u32 v5, v6, v5 :: v_dual_ashrrev_i32 v6, 8, v7
	v_add_nc_u32_e32 v5, 0x3c000000, v5
	s_delay_alu instid0(VALU_DEP_1) | instskip(NEXT) | instid1(VALU_DEP_1)
	v_and_or_b32 v5, 0x7f800000, v6, v5
	v_cndmask_b32_e32 v3, 0, v5, vcc_lo
	s_delay_alu instid0(VALU_DEP_1) | instskip(NEXT) | instid1(VALU_DEP_1)
	v_and_or_b32 v1, 0x80000000, v1, v3
	v_cvt_i32_f32_e32 v6, v1
.LBB134_2321:
	s_mov_b32 s20, 0
.LBB134_2322:
	s_delay_alu instid0(SALU_CYCLE_1)
	s_and_not1_b32 vcc_lo, exec_lo, s20
	s_cbranch_vccnz .LBB134_2324
; %bb.2323:
	s_wait_loadcnt 0x0
	global_load_u8 v1, v[12:13], off
	s_wait_loadcnt 0x0
	s_wait_xcnt 0x1
	v_lshlrev_b32_e32 v3, 25, v1
	v_lshlrev_b16 v1, 8, v1
	s_delay_alu instid0(VALU_DEP_1) | instskip(SKIP_1) | instid1(VALU_DEP_2)
	v_and_or_b32 v6, 0x7f00, v1, 0.5
	v_bfe_i32 v1, v1, 0, 16
	v_dual_add_f32 v6, -0.5, v6 :: v_dual_lshrrev_b32 v5, 4, v3
	v_cmp_gt_u32_e32 vcc_lo, 0x8000000, v3
	s_delay_alu instid0(VALU_DEP_2) | instskip(NEXT) | instid1(VALU_DEP_1)
	v_or_b32_e32 v5, 0x70000000, v5
	v_mul_f32_e32 v5, 0x7800000, v5
	s_delay_alu instid0(VALU_DEP_1) | instskip(NEXT) | instid1(VALU_DEP_1)
	v_cndmask_b32_e32 v3, v5, v6, vcc_lo
	v_and_or_b32 v1, 0x80000000, v1, v3
	s_delay_alu instid0(VALU_DEP_1)
	v_cvt_i32_f32_e32 v6, v1
.LBB134_2324:
	s_mov_b32 s20, 0
	s_mov_b32 s21, -1
.LBB134_2325:
	s_and_not1_b32 vcc_lo, exec_lo, s20
	s_mov_b32 s20, 0
	s_cbranch_vccnz .LBB134_2336
; %bb.2326:
	s_cmp_gt_i32 s0, 14
	s_cbranch_scc0 .LBB134_2329
; %bb.2327:
	s_cmp_eq_u32 s0, 15
	s_cbranch_scc0 .LBB134_2332
; %bb.2328:
	s_wait_loadcnt 0x0
	global_load_u16 v1, v[12:13], off
	s_mov_b32 s1, 0
	s_mov_b32 s21, -1
	s_wait_loadcnt 0x0
	v_lshlrev_b32_e32 v1, 16, v1
	s_wait_xcnt 0x1
	s_delay_alu instid0(VALU_DEP_1)
	v_cvt_i32_f32_e32 v6, v1
	s_branch .LBB134_2334
.LBB134_2329:
	s_mov_b32 s20, -1
	s_branch .LBB134_2333
.LBB134_2330:
	s_and_not1_saveexec_b32 s20, s20
	s_cbranch_execz .LBB134_2311
.LBB134_2331:
	v_cmp_ne_u16_e32 vcc_lo, 0, v1
	s_and_not1_b32 s21, s21, exec_lo
	s_and_b32 s22, vcc_lo, exec_lo
	s_delay_alu instid0(SALU_CYCLE_1)
	s_or_b32 s21, s21, s22
	s_or_b32 exec_lo, exec_lo, s20
	v_mov_b32_e32 v6, 0
	s_and_saveexec_b32 s20, s21
	s_cbranch_execnz .LBB134_2312
	s_branch .LBB134_2313
.LBB134_2332:
	s_mov_b32 s1, -1
.LBB134_2333:
                                        ; implicit-def: $vgpr6
.LBB134_2334:
	s_and_b32 vcc_lo, exec_lo, s20
	s_mov_b32 s20, 0
	s_cbranch_vccz .LBB134_2336
; %bb.2335:
	s_cmp_lg_u32 s0, 11
	s_mov_b32 s20, -1
	s_cselect_b32 s1, -1, 0
.LBB134_2336:
	s_delay_alu instid0(SALU_CYCLE_1)
	s_and_b32 vcc_lo, exec_lo, s1
	s_cbranch_vccnz .LBB134_2399
; %bb.2337:
	s_and_not1_b32 vcc_lo, exec_lo, s20
	s_cbranch_vccnz .LBB134_2339
.LBB134_2338:
	s_wait_loadcnt 0x0
	global_load_u8 v1, v[12:13], off
	s_mov_b32 s21, -1
	s_wait_loadcnt 0x0
	v_cmp_ne_u16_e32 vcc_lo, 0, v1
	s_wait_xcnt 0x1
	v_cndmask_b32_e64 v6, 0, 1, vcc_lo
.LBB134_2339:
	s_branch .LBB134_2270
.LBB134_2340:
	s_cmp_lt_i32 s0, 5
	s_cbranch_scc1 .LBB134_2345
; %bb.2341:
	s_cmp_lt_i32 s0, 8
	s_cbranch_scc1 .LBB134_2346
; %bb.2342:
	;; [unrolled: 3-line block ×3, first 2 shown]
	s_cmp_gt_i32 s0, 9
	s_cbranch_scc0 .LBB134_2348
; %bb.2344:
	s_wait_loadcnt 0x0
	global_load_b64 v[6:7], v[12:13], off
	s_mov_b32 s1, 0
	s_wait_loadcnt 0x0
	v_cvt_i32_f64_e32 v6, v[6:7]
	s_branch .LBB134_2349
.LBB134_2345:
	s_mov_b32 s1, -1
                                        ; implicit-def: $vgpr6
	s_branch .LBB134_2367
.LBB134_2346:
	s_mov_b32 s1, -1
                                        ; implicit-def: $vgpr6
	s_branch .LBB134_2355
.LBB134_2347:
	s_mov_b32 s1, -1
                                        ; implicit-def: $vgpr6
	s_branch .LBB134_2352
.LBB134_2348:
	s_mov_b32 s1, -1
                                        ; implicit-def: $vgpr6
.LBB134_2349:
	s_delay_alu instid0(SALU_CYCLE_1)
	s_and_not1_b32 vcc_lo, exec_lo, s1
	s_cbranch_vccnz .LBB134_2351
; %bb.2350:
	s_wait_loadcnt 0x0
	global_load_b32 v1, v[12:13], off
	s_wait_loadcnt 0x0
	s_wait_xcnt 0x1
	v_cvt_i32_f32_e32 v6, v1
.LBB134_2351:
	s_mov_b32 s1, 0
.LBB134_2352:
	s_delay_alu instid0(SALU_CYCLE_1)
	s_and_not1_b32 vcc_lo, exec_lo, s1
	s_cbranch_vccnz .LBB134_2354
; %bb.2353:
	s_wait_loadcnt 0x0
	global_load_b32 v1, v[12:13], off
	s_wait_loadcnt 0x0
	s_wait_xcnt 0x1
	v_cvt_i16_f16_e32 v6, v1
.LBB134_2354:
	s_mov_b32 s1, 0
.LBB134_2355:
	s_delay_alu instid0(SALU_CYCLE_1)
	s_and_not1_b32 vcc_lo, exec_lo, s1
	s_cbranch_vccnz .LBB134_2366
; %bb.2356:
	s_cmp_lt_i32 s0, 6
	s_cbranch_scc1 .LBB134_2359
; %bb.2357:
	s_cmp_gt_i32 s0, 6
	s_cbranch_scc0 .LBB134_2360
; %bb.2358:
	s_wait_loadcnt 0x0
	global_load_b64 v[6:7], v[12:13], off
	s_mov_b32 s1, 0
	s_wait_loadcnt 0x0
	v_cvt_i32_f64_e32 v6, v[6:7]
	s_branch .LBB134_2361
.LBB134_2359:
	s_mov_b32 s1, -1
                                        ; implicit-def: $vgpr6
	s_branch .LBB134_2364
.LBB134_2360:
	s_mov_b32 s1, -1
                                        ; implicit-def: $vgpr6
.LBB134_2361:
	s_delay_alu instid0(SALU_CYCLE_1)
	s_and_not1_b32 vcc_lo, exec_lo, s1
	s_cbranch_vccnz .LBB134_2363
; %bb.2362:
	s_wait_loadcnt 0x0
	global_load_b32 v1, v[12:13], off
	s_wait_loadcnt 0x0
	s_wait_xcnt 0x1
	v_cvt_i32_f32_e32 v6, v1
.LBB134_2363:
	s_mov_b32 s1, 0
.LBB134_2364:
	s_delay_alu instid0(SALU_CYCLE_1)
	s_and_not1_b32 vcc_lo, exec_lo, s1
	s_cbranch_vccnz .LBB134_2366
; %bb.2365:
	s_wait_loadcnt 0x0
	global_load_u16 v1, v[12:13], off
	s_wait_loadcnt 0x0
	s_wait_xcnt 0x1
	v_cvt_i16_f16_e32 v6, v1
.LBB134_2366:
	s_mov_b32 s1, 0
.LBB134_2367:
	s_delay_alu instid0(SALU_CYCLE_1)
	s_and_not1_b32 vcc_lo, exec_lo, s1
	s_cbranch_vccnz .LBB134_2387
; %bb.2368:
	s_cmp_lt_i32 s0, 2
	s_cbranch_scc1 .LBB134_2372
; %bb.2369:
	s_cmp_lt_i32 s0, 3
	s_cbranch_scc1 .LBB134_2373
; %bb.2370:
	s_cmp_gt_i32 s0, 3
	s_cbranch_scc0 .LBB134_2374
; %bb.2371:
	s_wait_loadcnt 0x0
	global_load_b64 v[6:7], v[12:13], off
	s_mov_b32 s1, 0
	s_branch .LBB134_2375
.LBB134_2372:
	s_mov_b32 s1, -1
                                        ; implicit-def: $vgpr6
	s_branch .LBB134_2381
.LBB134_2373:
	s_mov_b32 s1, -1
                                        ; implicit-def: $vgpr6
	s_branch .LBB134_2378
.LBB134_2374:
	s_mov_b32 s1, -1
                                        ; implicit-def: $vgpr6
.LBB134_2375:
	s_delay_alu instid0(SALU_CYCLE_1)
	s_and_not1_b32 vcc_lo, exec_lo, s1
	s_cbranch_vccnz .LBB134_2377
; %bb.2376:
	s_wait_loadcnt 0x0
	global_load_b32 v6, v[12:13], off
.LBB134_2377:
	s_mov_b32 s1, 0
.LBB134_2378:
	s_delay_alu instid0(SALU_CYCLE_1)
	s_and_not1_b32 vcc_lo, exec_lo, s1
	s_cbranch_vccnz .LBB134_2380
; %bb.2379:
	s_wait_loadcnt 0x0
	global_load_u16 v6, v[12:13], off
.LBB134_2380:
	s_mov_b32 s1, 0
.LBB134_2381:
	s_delay_alu instid0(SALU_CYCLE_1)
	s_and_not1_b32 vcc_lo, exec_lo, s1
	s_cbranch_vccnz .LBB134_2387
; %bb.2382:
	s_cmp_gt_i32 s0, 0
	s_mov_b32 s1, 0
	s_cbranch_scc0 .LBB134_2384
; %bb.2383:
	s_wait_loadcnt 0x0
	global_load_i8 v6, v[12:13], off
	s_branch .LBB134_2385
.LBB134_2384:
	s_mov_b32 s1, -1
                                        ; implicit-def: $vgpr6
.LBB134_2385:
	s_delay_alu instid0(SALU_CYCLE_1)
	s_and_not1_b32 vcc_lo, exec_lo, s1
	s_cbranch_vccnz .LBB134_2387
; %bb.2386:
	s_wait_loadcnt 0x0
	global_load_u8 v6, v[12:13], off
.LBB134_2387:
.LBB134_2388:
	s_lshl_b32 s1, s13, 7
	s_cmp_lt_i32 s17, 11
	v_add_nc_u32_e32 v14, s1, v4
	s_delay_alu instid0(VALU_DEP_1) | instskip(SKIP_1) | instid1(VALU_DEP_1)
	v_ashrrev_i32_e32 v15, 31, v14
	s_wait_xcnt 0x0
	v_add_nc_u64_e32 v[12:13], s[6:7], v[14:15]
	s_cbranch_scc1 .LBB134_2395
; %bb.2389:
	s_and_b32 s13, 0xffff, s17
	s_mov_b32 s21, 0
	s_cmp_gt_i32 s13, 25
	s_cbranch_scc0 .LBB134_2396
; %bb.2390:
	s_cmp_gt_i32 s13, 28
	s_cbranch_scc0 .LBB134_2397
; %bb.2391:
	s_cmp_gt_i32 s13, 43
	s_cbranch_scc0 .LBB134_2398
; %bb.2392:
	s_cmp_gt_i32 s13, 45
	s_cbranch_scc0 .LBB134_2400
; %bb.2393:
	s_cmp_eq_u32 s13, 46
	s_mov_b32 s23, 0
	s_cbranch_scc0 .LBB134_2401
; %bb.2394:
	s_wait_loadcnt 0x0
	global_load_b32 v1, v[12:13], off
	s_mov_b32 s20, 0
	s_mov_b32 s22, -1
	s_wait_loadcnt 0x0
	v_lshlrev_b32_e32 v1, 16, v1
	s_delay_alu instid0(VALU_DEP_1)
	v_cvt_i32_f32_e32 v4, v1
	s_branch .LBB134_2403
.LBB134_2395:
	s_mov_b32 s13, -1
	s_mov_b32 s22, 0
                                        ; implicit-def: $vgpr4
	s_branch .LBB134_2465
.LBB134_2396:
	s_mov_b32 s23, -1
	s_mov_b32 s22, 0
	s_mov_b32 s20, 0
                                        ; implicit-def: $vgpr4
	s_branch .LBB134_2430
.LBB134_2397:
	s_mov_b32 s23, -1
	s_mov_b32 s22, 0
	s_mov_b32 s20, 0
                                        ; implicit-def: $vgpr4
	s_branch .LBB134_2413
.LBB134_2398:
	s_mov_b32 s23, -1
	s_mov_b32 s22, 0
	s_mov_b32 s20, 0
                                        ; implicit-def: $vgpr4
	s_branch .LBB134_2408
.LBB134_2399:
	s_or_b32 s16, s16, exec_lo
	s_trap 2
	s_cbranch_execz .LBB134_2338
	s_branch .LBB134_2339
.LBB134_2400:
	s_mov_b32 s23, -1
	s_mov_b32 s22, 0
	s_mov_b32 s20, 0
	s_branch .LBB134_2402
.LBB134_2401:
	s_mov_b32 s20, -1
	s_mov_b32 s22, 0
.LBB134_2402:
                                        ; implicit-def: $vgpr4
.LBB134_2403:
	s_and_b32 vcc_lo, exec_lo, s23
	s_cbranch_vccz .LBB134_2407
; %bb.2404:
	s_cmp_eq_u32 s13, 44
	s_cbranch_scc0 .LBB134_2406
; %bb.2405:
	s_wait_loadcnt 0x0
	global_load_u8 v1, v[12:13], off
	s_mov_b32 s20, 0
	s_mov_b32 s22, -1
	s_wait_loadcnt 0x0
	v_lshlrev_b32_e32 v3, 23, v1
	v_cmp_ne_u32_e32 vcc_lo, 0, v1
	s_delay_alu instid0(VALU_DEP_2) | instskip(NEXT) | instid1(VALU_DEP_1)
	v_cvt_i32_f32_e32 v3, v3
	v_cndmask_b32_e32 v4, 0, v3, vcc_lo
	s_branch .LBB134_2407
.LBB134_2406:
	s_mov_b32 s20, -1
                                        ; implicit-def: $vgpr4
.LBB134_2407:
	s_mov_b32 s23, 0
.LBB134_2408:
	s_delay_alu instid0(SALU_CYCLE_1)
	s_and_b32 vcc_lo, exec_lo, s23
	s_cbranch_vccz .LBB134_2412
; %bb.2409:
	s_cmp_eq_u32 s13, 29
	s_cbranch_scc0 .LBB134_2411
; %bb.2410:
	global_load_b64 v[4:5], v[12:13], off
	s_mov_b32 s20, 0
	s_mov_b32 s22, -1
	s_branch .LBB134_2412
.LBB134_2411:
	s_mov_b32 s20, -1
                                        ; implicit-def: $vgpr4
.LBB134_2412:
	s_mov_b32 s23, 0
.LBB134_2413:
	s_delay_alu instid0(SALU_CYCLE_1)
	s_and_b32 vcc_lo, exec_lo, s23
	s_cbranch_vccz .LBB134_2429
; %bb.2414:
	s_cmp_lt_i32 s13, 27
	s_cbranch_scc1 .LBB134_2417
; %bb.2415:
	s_cmp_gt_i32 s13, 27
	s_cbranch_scc0 .LBB134_2418
; %bb.2416:
	s_wait_loadcnt 0x0
	global_load_b32 v4, v[12:13], off
	s_mov_b32 s22, 0
	s_branch .LBB134_2419
.LBB134_2417:
	s_mov_b32 s22, -1
                                        ; implicit-def: $vgpr4
	s_branch .LBB134_2422
.LBB134_2418:
	s_mov_b32 s22, -1
                                        ; implicit-def: $vgpr4
.LBB134_2419:
	s_delay_alu instid0(SALU_CYCLE_1)
	s_and_not1_b32 vcc_lo, exec_lo, s22
	s_cbranch_vccnz .LBB134_2421
; %bb.2420:
	s_wait_loadcnt 0x0
	global_load_u16 v4, v[12:13], off
.LBB134_2421:
	s_mov_b32 s22, 0
.LBB134_2422:
	s_delay_alu instid0(SALU_CYCLE_1)
	s_and_not1_b32 vcc_lo, exec_lo, s22
	s_cbranch_vccnz .LBB134_2428
; %bb.2423:
	s_wait_loadcnt 0x0
	global_load_u8 v1, v[12:13], off
	s_mov_b32 s23, 0
	s_mov_b32 s22, exec_lo
	s_wait_loadcnt 0x0
	v_cmpx_lt_i16_e32 0x7f, v1
	s_xor_b32 s22, exec_lo, s22
	s_cbranch_execz .LBB134_2440
; %bb.2424:
	v_cmp_ne_u16_e32 vcc_lo, 0x80, v1
	s_and_b32 s23, vcc_lo, exec_lo
	s_and_not1_saveexec_b32 s22, s22
	s_cbranch_execnz .LBB134_2441
.LBB134_2425:
	s_or_b32 exec_lo, exec_lo, s22
	v_mov_b32_e32 v4, 0
	s_and_saveexec_b32 s22, s23
	s_cbranch_execz .LBB134_2427
.LBB134_2426:
	v_and_b32_e32 v3, 0xffff, v1
	s_delay_alu instid0(VALU_DEP_1) | instskip(SKIP_1) | instid1(VALU_DEP_2)
	v_and_b32_e32 v4, 7, v3
	v_bfe_u32 v9, v3, 3, 4
	v_clz_i32_u32_e32 v5, v4
	s_delay_alu instid0(VALU_DEP_2) | instskip(NEXT) | instid1(VALU_DEP_2)
	v_cmp_eq_u32_e32 vcc_lo, 0, v9
	v_min_u32_e32 v5, 32, v5
	s_delay_alu instid0(VALU_DEP_1) | instskip(NEXT) | instid1(VALU_DEP_1)
	v_subrev_nc_u32_e32 v7, 28, v5
	v_dual_lshlrev_b32 v3, v7, v3 :: v_dual_sub_nc_u32 v5, 29, v5
	s_delay_alu instid0(VALU_DEP_1) | instskip(NEXT) | instid1(VALU_DEP_1)
	v_dual_lshlrev_b32 v1, 24, v1 :: v_dual_bitop2_b32 v3, 7, v3 bitop3:0x40
	v_dual_cndmask_b32 v3, v4, v3, vcc_lo :: v_dual_cndmask_b32 v5, v9, v5, vcc_lo
	s_delay_alu instid0(VALU_DEP_2) | instskip(NEXT) | instid1(VALU_DEP_2)
	v_and_b32_e32 v1, 0x80000000, v1
	v_lshlrev_b32_e32 v3, 20, v3
	s_delay_alu instid0(VALU_DEP_3) | instskip(NEXT) | instid1(VALU_DEP_1)
	v_lshl_add_u32 v4, v5, 23, 0x3b800000
	v_or3_b32 v1, v1, v4, v3
	s_delay_alu instid0(VALU_DEP_1)
	v_cvt_i32_f32_e32 v4, v1
.LBB134_2427:
	s_or_b32 exec_lo, exec_lo, s22
.LBB134_2428:
	s_mov_b32 s22, -1
.LBB134_2429:
	s_mov_b32 s23, 0
.LBB134_2430:
	s_delay_alu instid0(SALU_CYCLE_1)
	s_and_b32 vcc_lo, exec_lo, s23
	s_cbranch_vccz .LBB134_2461
; %bb.2431:
	s_cmp_gt_i32 s13, 22
	s_cbranch_scc0 .LBB134_2439
; %bb.2432:
	s_cmp_lt_i32 s13, 24
	s_cbranch_scc1 .LBB134_2442
; %bb.2433:
	s_cmp_gt_i32 s13, 24
	s_cbranch_scc0 .LBB134_2443
; %bb.2434:
	s_wait_loadcnt 0x0
	global_load_u8 v1, v[12:13], off
	s_mov_b32 s22, 0
	s_mov_b32 s21, exec_lo
	s_wait_loadcnt 0x0
	v_cmpx_lt_i16_e32 0x7f, v1
	s_xor_b32 s21, exec_lo, s21
	s_cbranch_execz .LBB134_2455
; %bb.2435:
	v_cmp_ne_u16_e32 vcc_lo, 0x80, v1
	s_and_b32 s22, vcc_lo, exec_lo
	s_and_not1_saveexec_b32 s21, s21
	s_cbranch_execnz .LBB134_2456
.LBB134_2436:
	s_or_b32 exec_lo, exec_lo, s21
	v_mov_b32_e32 v4, 0
	s_and_saveexec_b32 s21, s22
	s_cbranch_execz .LBB134_2438
.LBB134_2437:
	v_and_b32_e32 v3, 0xffff, v1
	s_delay_alu instid0(VALU_DEP_1) | instskip(SKIP_1) | instid1(VALU_DEP_2)
	v_and_b32_e32 v4, 3, v3
	v_bfe_u32 v9, v3, 2, 5
	v_clz_i32_u32_e32 v5, v4
	s_delay_alu instid0(VALU_DEP_2) | instskip(NEXT) | instid1(VALU_DEP_2)
	v_cmp_eq_u32_e32 vcc_lo, 0, v9
	v_min_u32_e32 v5, 32, v5
	s_delay_alu instid0(VALU_DEP_1) | instskip(NEXT) | instid1(VALU_DEP_1)
	v_subrev_nc_u32_e32 v7, 29, v5
	v_dual_lshlrev_b32 v3, v7, v3 :: v_dual_sub_nc_u32 v5, 30, v5
	s_delay_alu instid0(VALU_DEP_1) | instskip(NEXT) | instid1(VALU_DEP_1)
	v_dual_lshlrev_b32 v1, 24, v1 :: v_dual_bitop2_b32 v3, 3, v3 bitop3:0x40
	v_dual_cndmask_b32 v3, v4, v3, vcc_lo :: v_dual_cndmask_b32 v5, v9, v5, vcc_lo
	s_delay_alu instid0(VALU_DEP_2) | instskip(NEXT) | instid1(VALU_DEP_2)
	v_and_b32_e32 v1, 0x80000000, v1
	v_lshlrev_b32_e32 v3, 21, v3
	s_delay_alu instid0(VALU_DEP_3) | instskip(NEXT) | instid1(VALU_DEP_1)
	v_lshl_add_u32 v4, v5, 23, 0x37800000
	v_or3_b32 v1, v1, v4, v3
	s_delay_alu instid0(VALU_DEP_1)
	v_cvt_i32_f32_e32 v4, v1
.LBB134_2438:
	s_or_b32 exec_lo, exec_lo, s21
	s_mov_b32 s21, 0
	s_branch .LBB134_2444
.LBB134_2439:
	s_mov_b32 s21, -1
                                        ; implicit-def: $vgpr4
	s_branch .LBB134_2450
.LBB134_2440:
	s_and_not1_saveexec_b32 s22, s22
	s_cbranch_execz .LBB134_2425
.LBB134_2441:
	v_cmp_ne_u16_e32 vcc_lo, 0, v1
	s_and_not1_b32 s23, s23, exec_lo
	s_and_b32 s24, vcc_lo, exec_lo
	s_delay_alu instid0(SALU_CYCLE_1)
	s_or_b32 s23, s23, s24
	s_or_b32 exec_lo, exec_lo, s22
	v_mov_b32_e32 v4, 0
	s_and_saveexec_b32 s22, s23
	s_cbranch_execnz .LBB134_2426
	s_branch .LBB134_2427
.LBB134_2442:
	s_mov_b32 s21, -1
                                        ; implicit-def: $vgpr4
	s_branch .LBB134_2447
.LBB134_2443:
	s_mov_b32 s21, -1
                                        ; implicit-def: $vgpr4
.LBB134_2444:
	s_delay_alu instid0(SALU_CYCLE_1)
	s_and_b32 vcc_lo, exec_lo, s21
	s_cbranch_vccz .LBB134_2446
; %bb.2445:
	s_wait_loadcnt 0x0
	global_load_u8 v1, v[12:13], off
	s_wait_loadcnt 0x0
	v_lshlrev_b32_e32 v1, 24, v1
	s_delay_alu instid0(VALU_DEP_1) | instskip(NEXT) | instid1(VALU_DEP_1)
	v_and_b32_e32 v3, 0x7f000000, v1
	v_clz_i32_u32_e32 v4, v3
	v_add_nc_u32_e32 v7, 0x1000000, v3
	v_cmp_ne_u32_e32 vcc_lo, 0, v3
	s_delay_alu instid0(VALU_DEP_3) | instskip(NEXT) | instid1(VALU_DEP_1)
	v_min_u32_e32 v4, 32, v4
	v_sub_nc_u32_e64 v4, v4, 4 clamp
	s_delay_alu instid0(VALU_DEP_1) | instskip(NEXT) | instid1(VALU_DEP_1)
	v_dual_lshlrev_b32 v5, v4, v3 :: v_dual_lshlrev_b32 v4, 23, v4
	v_lshrrev_b32_e32 v5, 4, v5
	s_delay_alu instid0(VALU_DEP_1) | instskip(NEXT) | instid1(VALU_DEP_1)
	v_dual_sub_nc_u32 v4, v5, v4 :: v_dual_ashrrev_i32 v5, 8, v7
	v_add_nc_u32_e32 v4, 0x3c000000, v4
	s_delay_alu instid0(VALU_DEP_1) | instskip(NEXT) | instid1(VALU_DEP_1)
	v_and_or_b32 v4, 0x7f800000, v5, v4
	v_cndmask_b32_e32 v3, 0, v4, vcc_lo
	s_delay_alu instid0(VALU_DEP_1) | instskip(NEXT) | instid1(VALU_DEP_1)
	v_and_or_b32 v1, 0x80000000, v1, v3
	v_cvt_i32_f32_e32 v4, v1
.LBB134_2446:
	s_mov_b32 s21, 0
.LBB134_2447:
	s_delay_alu instid0(SALU_CYCLE_1)
	s_and_not1_b32 vcc_lo, exec_lo, s21
	s_cbranch_vccnz .LBB134_2449
; %bb.2448:
	s_wait_loadcnt 0x0
	global_load_u8 v1, v[12:13], off
	s_wait_loadcnt 0x0
	v_lshlrev_b32_e32 v3, 25, v1
	v_lshlrev_b16 v1, 8, v1
	s_delay_alu instid0(VALU_DEP_1) | instskip(NEXT) | instid1(VALU_DEP_3)
	v_and_or_b32 v5, 0x7f00, v1, 0.5
	v_lshrrev_b32_e32 v4, 4, v3
	v_bfe_i32 v1, v1, 0, 16
	s_delay_alu instid0(VALU_DEP_3) | instskip(NEXT) | instid1(VALU_DEP_3)
	v_add_f32_e32 v5, -0.5, v5
	v_or_b32_e32 v4, 0x70000000, v4
	s_delay_alu instid0(VALU_DEP_1) | instskip(SKIP_1) | instid1(VALU_DEP_2)
	v_mul_f32_e32 v4, 0x7800000, v4
	v_cmp_gt_u32_e32 vcc_lo, 0x8000000, v3
	v_cndmask_b32_e32 v3, v4, v5, vcc_lo
	s_delay_alu instid0(VALU_DEP_1) | instskip(NEXT) | instid1(VALU_DEP_1)
	v_and_or_b32 v1, 0x80000000, v1, v3
	v_cvt_i32_f32_e32 v4, v1
.LBB134_2449:
	s_mov_b32 s21, 0
	s_mov_b32 s22, -1
.LBB134_2450:
	s_and_not1_b32 vcc_lo, exec_lo, s21
	s_mov_b32 s21, 0
	s_cbranch_vccnz .LBB134_2461
; %bb.2451:
	s_cmp_gt_i32 s13, 14
	s_cbranch_scc0 .LBB134_2454
; %bb.2452:
	s_cmp_eq_u32 s13, 15
	s_cbranch_scc0 .LBB134_2457
; %bb.2453:
	s_wait_loadcnt 0x0
	global_load_u16 v1, v[12:13], off
	s_mov_b32 s20, 0
	s_mov_b32 s22, -1
	s_wait_loadcnt 0x0
	v_lshlrev_b32_e32 v1, 16, v1
	s_delay_alu instid0(VALU_DEP_1)
	v_cvt_i32_f32_e32 v4, v1
	s_branch .LBB134_2459
.LBB134_2454:
	s_mov_b32 s21, -1
	s_branch .LBB134_2458
.LBB134_2455:
	s_and_not1_saveexec_b32 s21, s21
	s_cbranch_execz .LBB134_2436
.LBB134_2456:
	v_cmp_ne_u16_e32 vcc_lo, 0, v1
	s_and_not1_b32 s22, s22, exec_lo
	s_and_b32 s23, vcc_lo, exec_lo
	s_delay_alu instid0(SALU_CYCLE_1)
	s_or_b32 s22, s22, s23
	s_or_b32 exec_lo, exec_lo, s21
	v_mov_b32_e32 v4, 0
	s_and_saveexec_b32 s21, s22
	s_cbranch_execnz .LBB134_2437
	s_branch .LBB134_2438
.LBB134_2457:
	s_mov_b32 s20, -1
.LBB134_2458:
                                        ; implicit-def: $vgpr4
.LBB134_2459:
	s_and_b32 vcc_lo, exec_lo, s21
	s_mov_b32 s21, 0
	s_cbranch_vccz .LBB134_2461
; %bb.2460:
	s_cmp_lg_u32 s13, 11
	s_mov_b32 s21, -1
	s_cselect_b32 s20, -1, 0
.LBB134_2461:
	s_delay_alu instid0(SALU_CYCLE_1)
	s_and_b32 vcc_lo, exec_lo, s20
	s_cbranch_vccnz .LBB134_2526
; %bb.2462:
	s_and_not1_b32 vcc_lo, exec_lo, s21
	s_cbranch_vccnz .LBB134_2464
.LBB134_2463:
	s_wait_loadcnt 0x0
	global_load_u8 v1, v[12:13], off
	s_mov_b32 s22, -1
	s_wait_loadcnt 0x0
	v_cmp_ne_u16_e32 vcc_lo, 0, v1
	v_cndmask_b32_e64 v4, 0, 1, vcc_lo
.LBB134_2464:
	s_mov_b32 s13, 0
.LBB134_2465:
	s_delay_alu instid0(SALU_CYCLE_1)
	s_and_b32 vcc_lo, exec_lo, s13
	s_cbranch_vccz .LBB134_2514
; %bb.2466:
	s_and_b32 s13, 0xffff, s17
	s_delay_alu instid0(SALU_CYCLE_1)
	s_cmp_lt_i32 s13, 5
	s_cbranch_scc1 .LBB134_2471
; %bb.2467:
	s_cmp_lt_i32 s13, 8
	s_cbranch_scc1 .LBB134_2472
; %bb.2468:
	;; [unrolled: 3-line block ×3, first 2 shown]
	s_cmp_gt_i32 s13, 9
	s_cbranch_scc0 .LBB134_2474
; %bb.2470:
	s_wait_loadcnt 0x0
	global_load_b64 v[4:5], v[12:13], off
	s_mov_b32 s20, 0
	s_wait_loadcnt 0x0
	v_cvt_i32_f64_e32 v4, v[4:5]
	s_branch .LBB134_2475
.LBB134_2471:
	s_mov_b32 s20, -1
                                        ; implicit-def: $vgpr4
	s_branch .LBB134_2493
.LBB134_2472:
	s_mov_b32 s20, -1
                                        ; implicit-def: $vgpr4
	s_branch .LBB134_2481
.LBB134_2473:
	s_mov_b32 s20, -1
                                        ; implicit-def: $vgpr4
	s_branch .LBB134_2478
.LBB134_2474:
	s_mov_b32 s20, -1
                                        ; implicit-def: $vgpr4
.LBB134_2475:
	s_delay_alu instid0(SALU_CYCLE_1)
	s_and_not1_b32 vcc_lo, exec_lo, s20
	s_cbranch_vccnz .LBB134_2477
; %bb.2476:
	s_wait_loadcnt 0x0
	global_load_b32 v1, v[12:13], off
	s_wait_loadcnt 0x0
	v_cvt_i32_f32_e32 v4, v1
.LBB134_2477:
	s_mov_b32 s20, 0
.LBB134_2478:
	s_delay_alu instid0(SALU_CYCLE_1)
	s_and_not1_b32 vcc_lo, exec_lo, s20
	s_cbranch_vccnz .LBB134_2480
; %bb.2479:
	s_wait_loadcnt 0x0
	global_load_b32 v1, v[12:13], off
	s_wait_loadcnt 0x0
	v_cvt_i16_f16_e32 v4, v1
.LBB134_2480:
	s_mov_b32 s20, 0
.LBB134_2481:
	s_delay_alu instid0(SALU_CYCLE_1)
	s_and_not1_b32 vcc_lo, exec_lo, s20
	s_cbranch_vccnz .LBB134_2492
; %bb.2482:
	s_cmp_lt_i32 s13, 6
	s_cbranch_scc1 .LBB134_2485
; %bb.2483:
	s_cmp_gt_i32 s13, 6
	s_cbranch_scc0 .LBB134_2486
; %bb.2484:
	s_wait_loadcnt 0x0
	global_load_b64 v[4:5], v[12:13], off
	s_mov_b32 s20, 0
	s_wait_loadcnt 0x0
	v_cvt_i32_f64_e32 v4, v[4:5]
	s_branch .LBB134_2487
.LBB134_2485:
	s_mov_b32 s20, -1
                                        ; implicit-def: $vgpr4
	s_branch .LBB134_2490
.LBB134_2486:
	s_mov_b32 s20, -1
                                        ; implicit-def: $vgpr4
.LBB134_2487:
	s_delay_alu instid0(SALU_CYCLE_1)
	s_and_not1_b32 vcc_lo, exec_lo, s20
	s_cbranch_vccnz .LBB134_2489
; %bb.2488:
	s_wait_loadcnt 0x0
	global_load_b32 v1, v[12:13], off
	s_wait_loadcnt 0x0
	v_cvt_i32_f32_e32 v4, v1
.LBB134_2489:
	s_mov_b32 s20, 0
.LBB134_2490:
	s_delay_alu instid0(SALU_CYCLE_1)
	s_and_not1_b32 vcc_lo, exec_lo, s20
	s_cbranch_vccnz .LBB134_2492
; %bb.2491:
	s_wait_loadcnt 0x0
	global_load_u16 v1, v[12:13], off
	s_wait_loadcnt 0x0
	v_cvt_i16_f16_e32 v4, v1
.LBB134_2492:
	s_mov_b32 s20, 0
.LBB134_2493:
	s_delay_alu instid0(SALU_CYCLE_1)
	s_and_not1_b32 vcc_lo, exec_lo, s20
	s_cbranch_vccnz .LBB134_2513
; %bb.2494:
	s_cmp_lt_i32 s13, 2
	s_cbranch_scc1 .LBB134_2498
; %bb.2495:
	s_cmp_lt_i32 s13, 3
	s_cbranch_scc1 .LBB134_2499
; %bb.2496:
	s_cmp_gt_i32 s13, 3
	s_cbranch_scc0 .LBB134_2500
; %bb.2497:
	s_wait_loadcnt 0x0
	global_load_b64 v[4:5], v[12:13], off
	s_mov_b32 s20, 0
	s_branch .LBB134_2501
.LBB134_2498:
	s_mov_b32 s20, -1
                                        ; implicit-def: $vgpr4
	s_branch .LBB134_2507
.LBB134_2499:
	s_mov_b32 s20, -1
                                        ; implicit-def: $vgpr4
	s_branch .LBB134_2504
.LBB134_2500:
	s_mov_b32 s20, -1
                                        ; implicit-def: $vgpr4
.LBB134_2501:
	s_delay_alu instid0(SALU_CYCLE_1)
	s_and_not1_b32 vcc_lo, exec_lo, s20
	s_cbranch_vccnz .LBB134_2503
; %bb.2502:
	s_wait_loadcnt 0x0
	global_load_b32 v4, v[12:13], off
.LBB134_2503:
	s_mov_b32 s20, 0
.LBB134_2504:
	s_delay_alu instid0(SALU_CYCLE_1)
	s_and_not1_b32 vcc_lo, exec_lo, s20
	s_cbranch_vccnz .LBB134_2506
; %bb.2505:
	s_wait_loadcnt 0x0
	global_load_u16 v4, v[12:13], off
.LBB134_2506:
	s_mov_b32 s20, 0
.LBB134_2507:
	s_delay_alu instid0(SALU_CYCLE_1)
	s_and_not1_b32 vcc_lo, exec_lo, s20
	s_cbranch_vccnz .LBB134_2513
; %bb.2508:
	s_cmp_gt_i32 s13, 0
	s_mov_b32 s13, 0
	s_cbranch_scc0 .LBB134_2510
; %bb.2509:
	s_wait_loadcnt 0x0
	global_load_i8 v4, v[12:13], off
	s_branch .LBB134_2511
.LBB134_2510:
	s_mov_b32 s13, -1
                                        ; implicit-def: $vgpr4
.LBB134_2511:
	s_delay_alu instid0(SALU_CYCLE_1)
	s_and_not1_b32 vcc_lo, exec_lo, s13
	s_cbranch_vccnz .LBB134_2513
; %bb.2512:
	s_wait_loadcnt 0x0
	global_load_u8 v4, v[12:13], off
.LBB134_2513:
	s_mov_b32 s22, -1
.LBB134_2514:
	s_delay_alu instid0(SALU_CYCLE_1)
	s_and_not1_b32 vcc_lo, exec_lo, s22
	s_cbranch_vccnz .LBB134_3968
; %bb.2515:
	s_lshl_b32 s13, s14, 7
	s_cmp_lt_i32 s3, 11
	v_add_nc_u32_e32 v16, s13, v8
	s_delay_alu instid0(VALU_DEP_1) | instskip(SKIP_1) | instid1(VALU_DEP_1)
	v_ashrrev_i32_e32 v17, 31, v16
	s_wait_xcnt 0x0
	v_add_nc_u64_e32 v[12:13], s[8:9], v[16:17]
	s_cbranch_scc1 .LBB134_2522
; %bb.2516:
	s_and_b32 s14, 0xffff, s3
	s_mov_b32 s21, 0
	s_cmp_gt_i32 s14, 25
	s_cbranch_scc0 .LBB134_2523
; %bb.2517:
	s_cmp_gt_i32 s14, 28
	s_cbranch_scc0 .LBB134_2524
; %bb.2518:
	;; [unrolled: 3-line block ×4, first 2 shown]
	s_cmp_eq_u32 s14, 46
	s_mov_b32 s23, 0
	s_cbranch_scc0 .LBB134_2528
; %bb.2521:
	s_wait_loadcnt 0x0
	global_load_b32 v1, v[12:13], off
	s_mov_b32 s20, 0
	s_mov_b32 s22, -1
	s_wait_loadcnt 0x0
	v_lshlrev_b32_e32 v1, 16, v1
	s_delay_alu instid0(VALU_DEP_1)
	v_cvt_i32_f32_e32 v8, v1
	s_branch .LBB134_2530
.LBB134_2522:
	s_mov_b32 s14, -1
	s_mov_b32 s22, 0
                                        ; implicit-def: $vgpr8
	s_branch .LBB134_2592
.LBB134_2523:
	s_mov_b32 s23, -1
	s_mov_b32 s22, 0
	s_mov_b32 s20, 0
                                        ; implicit-def: $vgpr8
	s_branch .LBB134_2557
.LBB134_2524:
	s_mov_b32 s23, -1
	s_mov_b32 s22, 0
	s_mov_b32 s20, 0
                                        ; implicit-def: $vgpr8
	s_branch .LBB134_2540
.LBB134_2525:
	s_mov_b32 s23, -1
	s_mov_b32 s22, 0
	s_mov_b32 s20, 0
                                        ; implicit-def: $vgpr8
	s_branch .LBB134_2535
.LBB134_2526:
	s_or_b32 s16, s16, exec_lo
	s_trap 2
	s_cbranch_execz .LBB134_2463
	s_branch .LBB134_2464
.LBB134_2527:
	s_mov_b32 s23, -1
	s_mov_b32 s22, 0
	s_mov_b32 s20, 0
	s_branch .LBB134_2529
.LBB134_2528:
	s_mov_b32 s20, -1
	s_mov_b32 s22, 0
.LBB134_2529:
                                        ; implicit-def: $vgpr8
.LBB134_2530:
	s_and_b32 vcc_lo, exec_lo, s23
	s_cbranch_vccz .LBB134_2534
; %bb.2531:
	s_cmp_eq_u32 s14, 44
	s_cbranch_scc0 .LBB134_2533
; %bb.2532:
	s_wait_loadcnt 0x0
	global_load_u8 v1, v[12:13], off
	s_mov_b32 s20, 0
	s_mov_b32 s22, -1
	s_wait_loadcnt 0x0
	v_lshlrev_b32_e32 v3, 23, v1
	v_cmp_ne_u32_e32 vcc_lo, 0, v1
	s_delay_alu instid0(VALU_DEP_2) | instskip(NEXT) | instid1(VALU_DEP_1)
	v_cvt_i32_f32_e32 v3, v3
	v_cndmask_b32_e32 v8, 0, v3, vcc_lo
	s_branch .LBB134_2534
.LBB134_2533:
	s_mov_b32 s20, -1
                                        ; implicit-def: $vgpr8
.LBB134_2534:
	s_mov_b32 s23, 0
.LBB134_2535:
	s_delay_alu instid0(SALU_CYCLE_1)
	s_and_b32 vcc_lo, exec_lo, s23
	s_cbranch_vccz .LBB134_2539
; %bb.2536:
	s_cmp_eq_u32 s14, 29
	s_cbranch_scc0 .LBB134_2538
; %bb.2537:
	global_load_b64 v[8:9], v[12:13], off
	s_mov_b32 s20, 0
	s_mov_b32 s22, -1
	s_branch .LBB134_2539
.LBB134_2538:
	s_mov_b32 s20, -1
                                        ; implicit-def: $vgpr8
.LBB134_2539:
	s_mov_b32 s23, 0
.LBB134_2540:
	s_delay_alu instid0(SALU_CYCLE_1)
	s_and_b32 vcc_lo, exec_lo, s23
	s_cbranch_vccz .LBB134_2556
; %bb.2541:
	s_cmp_lt_i32 s14, 27
	s_cbranch_scc1 .LBB134_2544
; %bb.2542:
	s_cmp_gt_i32 s14, 27
	s_cbranch_scc0 .LBB134_2545
; %bb.2543:
	s_wait_loadcnt 0x0
	global_load_b32 v8, v[12:13], off
	s_mov_b32 s22, 0
	s_branch .LBB134_2546
.LBB134_2544:
	s_mov_b32 s22, -1
                                        ; implicit-def: $vgpr8
	s_branch .LBB134_2549
.LBB134_2545:
	s_mov_b32 s22, -1
                                        ; implicit-def: $vgpr8
.LBB134_2546:
	s_delay_alu instid0(SALU_CYCLE_1)
	s_and_not1_b32 vcc_lo, exec_lo, s22
	s_cbranch_vccnz .LBB134_2548
; %bb.2547:
	s_wait_loadcnt 0x0
	global_load_u16 v8, v[12:13], off
.LBB134_2548:
	s_mov_b32 s22, 0
.LBB134_2549:
	s_delay_alu instid0(SALU_CYCLE_1)
	s_and_not1_b32 vcc_lo, exec_lo, s22
	s_cbranch_vccnz .LBB134_2555
; %bb.2550:
	s_wait_loadcnt 0x0
	global_load_u8 v1, v[12:13], off
	s_mov_b32 s23, 0
	s_mov_b32 s22, exec_lo
	s_wait_loadcnt 0x0
	v_cmpx_lt_i16_e32 0x7f, v1
	s_xor_b32 s22, exec_lo, s22
	s_cbranch_execz .LBB134_2567
; %bb.2551:
	v_cmp_ne_u16_e32 vcc_lo, 0x80, v1
	s_and_b32 s23, vcc_lo, exec_lo
	s_and_not1_saveexec_b32 s22, s22
	s_cbranch_execnz .LBB134_2568
.LBB134_2552:
	s_or_b32 exec_lo, exec_lo, s22
	v_mov_b32_e32 v8, 0
	s_and_saveexec_b32 s22, s23
	s_cbranch_execz .LBB134_2554
.LBB134_2553:
	v_and_b32_e32 v3, 0xffff, v1
	s_delay_alu instid0(VALU_DEP_1) | instskip(SKIP_1) | instid1(VALU_DEP_2)
	v_dual_lshlrev_b32 v1, 24, v1 :: v_dual_bitop2_b32 v5, 7, v3 bitop3:0x40
	v_bfe_u32 v9, v3, 3, 4
	v_and_b32_e32 v1, 0x80000000, v1
	s_delay_alu instid0(VALU_DEP_3) | instskip(NEXT) | instid1(VALU_DEP_3)
	v_clz_i32_u32_e32 v7, v5
	v_cmp_eq_u32_e32 vcc_lo, 0, v9
	s_delay_alu instid0(VALU_DEP_2) | instskip(NEXT) | instid1(VALU_DEP_1)
	v_min_u32_e32 v7, 32, v7
	v_subrev_nc_u32_e32 v8, 28, v7
	v_sub_nc_u32_e32 v7, 29, v7
	s_delay_alu instid0(VALU_DEP_2) | instskip(NEXT) | instid1(VALU_DEP_2)
	v_lshlrev_b32_e32 v3, v8, v3
	v_cndmask_b32_e32 v7, v9, v7, vcc_lo
	s_delay_alu instid0(VALU_DEP_2) | instskip(NEXT) | instid1(VALU_DEP_1)
	v_and_b32_e32 v3, 7, v3
	v_cndmask_b32_e32 v3, v5, v3, vcc_lo
	s_delay_alu instid0(VALU_DEP_3) | instskip(NEXT) | instid1(VALU_DEP_2)
	v_lshl_add_u32 v5, v7, 23, 0x3b800000
	v_lshlrev_b32_e32 v3, 20, v3
	s_delay_alu instid0(VALU_DEP_1) | instskip(NEXT) | instid1(VALU_DEP_1)
	v_or3_b32 v1, v1, v5, v3
	v_cvt_i32_f32_e32 v8, v1
.LBB134_2554:
	s_or_b32 exec_lo, exec_lo, s22
.LBB134_2555:
	s_mov_b32 s22, -1
.LBB134_2556:
	s_mov_b32 s23, 0
.LBB134_2557:
	s_delay_alu instid0(SALU_CYCLE_1)
	s_and_b32 vcc_lo, exec_lo, s23
	s_cbranch_vccz .LBB134_2588
; %bb.2558:
	s_cmp_gt_i32 s14, 22
	s_cbranch_scc0 .LBB134_2566
; %bb.2559:
	s_cmp_lt_i32 s14, 24
	s_cbranch_scc1 .LBB134_2569
; %bb.2560:
	s_cmp_gt_i32 s14, 24
	s_cbranch_scc0 .LBB134_2570
; %bb.2561:
	s_wait_loadcnt 0x0
	global_load_u8 v1, v[12:13], off
	s_mov_b32 s22, 0
	s_mov_b32 s21, exec_lo
	s_wait_loadcnt 0x0
	v_cmpx_lt_i16_e32 0x7f, v1
	s_xor_b32 s21, exec_lo, s21
	s_cbranch_execz .LBB134_2582
; %bb.2562:
	v_cmp_ne_u16_e32 vcc_lo, 0x80, v1
	s_and_b32 s22, vcc_lo, exec_lo
	s_and_not1_saveexec_b32 s21, s21
	s_cbranch_execnz .LBB134_2583
.LBB134_2563:
	s_or_b32 exec_lo, exec_lo, s21
	v_mov_b32_e32 v8, 0
	s_and_saveexec_b32 s21, s22
	s_cbranch_execz .LBB134_2565
.LBB134_2564:
	v_and_b32_e32 v3, 0xffff, v1
	s_delay_alu instid0(VALU_DEP_1) | instskip(SKIP_1) | instid1(VALU_DEP_2)
	v_dual_lshlrev_b32 v1, 24, v1 :: v_dual_bitop2_b32 v5, 3, v3 bitop3:0x40
	v_bfe_u32 v9, v3, 2, 5
	v_and_b32_e32 v1, 0x80000000, v1
	s_delay_alu instid0(VALU_DEP_3) | instskip(NEXT) | instid1(VALU_DEP_3)
	v_clz_i32_u32_e32 v7, v5
	v_cmp_eq_u32_e32 vcc_lo, 0, v9
	s_delay_alu instid0(VALU_DEP_2) | instskip(NEXT) | instid1(VALU_DEP_1)
	v_min_u32_e32 v7, 32, v7
	v_subrev_nc_u32_e32 v8, 29, v7
	v_sub_nc_u32_e32 v7, 30, v7
	s_delay_alu instid0(VALU_DEP_2) | instskip(NEXT) | instid1(VALU_DEP_2)
	v_lshlrev_b32_e32 v3, v8, v3
	v_cndmask_b32_e32 v7, v9, v7, vcc_lo
	s_delay_alu instid0(VALU_DEP_2) | instskip(NEXT) | instid1(VALU_DEP_1)
	v_and_b32_e32 v3, 3, v3
	v_cndmask_b32_e32 v3, v5, v3, vcc_lo
	s_delay_alu instid0(VALU_DEP_3) | instskip(NEXT) | instid1(VALU_DEP_2)
	v_lshl_add_u32 v5, v7, 23, 0x37800000
	v_lshlrev_b32_e32 v3, 21, v3
	s_delay_alu instid0(VALU_DEP_1) | instskip(NEXT) | instid1(VALU_DEP_1)
	v_or3_b32 v1, v1, v5, v3
	v_cvt_i32_f32_e32 v8, v1
.LBB134_2565:
	s_or_b32 exec_lo, exec_lo, s21
	s_mov_b32 s21, 0
	s_branch .LBB134_2571
.LBB134_2566:
	s_mov_b32 s21, -1
                                        ; implicit-def: $vgpr8
	s_branch .LBB134_2577
.LBB134_2567:
	s_and_not1_saveexec_b32 s22, s22
	s_cbranch_execz .LBB134_2552
.LBB134_2568:
	v_cmp_ne_u16_e32 vcc_lo, 0, v1
	s_and_not1_b32 s23, s23, exec_lo
	s_and_b32 s24, vcc_lo, exec_lo
	s_delay_alu instid0(SALU_CYCLE_1)
	s_or_b32 s23, s23, s24
	s_or_b32 exec_lo, exec_lo, s22
	v_mov_b32_e32 v8, 0
	s_and_saveexec_b32 s22, s23
	s_cbranch_execnz .LBB134_2553
	s_branch .LBB134_2554
.LBB134_2569:
	s_mov_b32 s21, -1
                                        ; implicit-def: $vgpr8
	s_branch .LBB134_2574
.LBB134_2570:
	s_mov_b32 s21, -1
                                        ; implicit-def: $vgpr8
.LBB134_2571:
	s_delay_alu instid0(SALU_CYCLE_1)
	s_and_b32 vcc_lo, exec_lo, s21
	s_cbranch_vccz .LBB134_2573
; %bb.2572:
	s_wait_loadcnt 0x0
	global_load_u8 v1, v[12:13], off
	s_wait_loadcnt 0x0
	v_lshlrev_b32_e32 v1, 24, v1
	s_delay_alu instid0(VALU_DEP_1) | instskip(NEXT) | instid1(VALU_DEP_1)
	v_and_b32_e32 v3, 0x7f000000, v1
	v_clz_i32_u32_e32 v5, v3
	v_cmp_ne_u32_e32 vcc_lo, 0, v3
	v_add_nc_u32_e32 v8, 0x1000000, v3
	s_delay_alu instid0(VALU_DEP_3) | instskip(NEXT) | instid1(VALU_DEP_1)
	v_min_u32_e32 v5, 32, v5
	v_sub_nc_u32_e64 v5, v5, 4 clamp
	s_delay_alu instid0(VALU_DEP_1) | instskip(NEXT) | instid1(VALU_DEP_1)
	v_dual_lshlrev_b32 v7, v5, v3 :: v_dual_lshlrev_b32 v5, 23, v5
	v_lshrrev_b32_e32 v7, 4, v7
	s_delay_alu instid0(VALU_DEP_1) | instskip(NEXT) | instid1(VALU_DEP_1)
	v_dual_sub_nc_u32 v5, v7, v5 :: v_dual_ashrrev_i32 v7, 8, v8
	v_add_nc_u32_e32 v5, 0x3c000000, v5
	s_delay_alu instid0(VALU_DEP_1) | instskip(NEXT) | instid1(VALU_DEP_1)
	v_and_or_b32 v5, 0x7f800000, v7, v5
	v_cndmask_b32_e32 v3, 0, v5, vcc_lo
	s_delay_alu instid0(VALU_DEP_1) | instskip(NEXT) | instid1(VALU_DEP_1)
	v_and_or_b32 v1, 0x80000000, v1, v3
	v_cvt_i32_f32_e32 v8, v1
.LBB134_2573:
	s_mov_b32 s21, 0
.LBB134_2574:
	s_delay_alu instid0(SALU_CYCLE_1)
	s_and_not1_b32 vcc_lo, exec_lo, s21
	s_cbranch_vccnz .LBB134_2576
; %bb.2575:
	s_wait_loadcnt 0x0
	global_load_u8 v1, v[12:13], off
	s_wait_loadcnt 0x0
	v_lshlrev_b32_e32 v3, 25, v1
	v_lshlrev_b16 v1, 8, v1
	s_delay_alu instid0(VALU_DEP_1) | instskip(SKIP_1) | instid1(VALU_DEP_2)
	v_and_or_b32 v7, 0x7f00, v1, 0.5
	v_bfe_i32 v1, v1, 0, 16
	v_add_f32_e32 v7, -0.5, v7
	v_lshrrev_b32_e32 v5, 4, v3
	v_cmp_gt_u32_e32 vcc_lo, 0x8000000, v3
	s_delay_alu instid0(VALU_DEP_2) | instskip(NEXT) | instid1(VALU_DEP_1)
	v_or_b32_e32 v5, 0x70000000, v5
	v_mul_f32_e32 v5, 0x7800000, v5
	s_delay_alu instid0(VALU_DEP_1) | instskip(NEXT) | instid1(VALU_DEP_1)
	v_cndmask_b32_e32 v3, v5, v7, vcc_lo
	v_and_or_b32 v1, 0x80000000, v1, v3
	s_delay_alu instid0(VALU_DEP_1)
	v_cvt_i32_f32_e32 v8, v1
.LBB134_2576:
	s_mov_b32 s21, 0
	s_mov_b32 s22, -1
.LBB134_2577:
	s_and_not1_b32 vcc_lo, exec_lo, s21
	s_mov_b32 s21, 0
	s_cbranch_vccnz .LBB134_2588
; %bb.2578:
	s_cmp_gt_i32 s14, 14
	s_cbranch_scc0 .LBB134_2581
; %bb.2579:
	s_cmp_eq_u32 s14, 15
	s_cbranch_scc0 .LBB134_2584
; %bb.2580:
	s_wait_loadcnt 0x0
	global_load_u16 v1, v[12:13], off
	s_mov_b32 s20, 0
	s_mov_b32 s22, -1
	s_wait_loadcnt 0x0
	v_lshlrev_b32_e32 v1, 16, v1
	s_delay_alu instid0(VALU_DEP_1)
	v_cvt_i32_f32_e32 v8, v1
	s_branch .LBB134_2586
.LBB134_2581:
	s_mov_b32 s21, -1
	s_branch .LBB134_2585
.LBB134_2582:
	s_and_not1_saveexec_b32 s21, s21
	s_cbranch_execz .LBB134_2563
.LBB134_2583:
	v_cmp_ne_u16_e32 vcc_lo, 0, v1
	s_and_not1_b32 s22, s22, exec_lo
	s_and_b32 s23, vcc_lo, exec_lo
	s_delay_alu instid0(SALU_CYCLE_1)
	s_or_b32 s22, s22, s23
	s_or_b32 exec_lo, exec_lo, s21
	v_mov_b32_e32 v8, 0
	s_and_saveexec_b32 s21, s22
	s_cbranch_execnz .LBB134_2564
	s_branch .LBB134_2565
.LBB134_2584:
	s_mov_b32 s20, -1
.LBB134_2585:
                                        ; implicit-def: $vgpr8
.LBB134_2586:
	s_and_b32 vcc_lo, exec_lo, s21
	s_mov_b32 s21, 0
	s_cbranch_vccz .LBB134_2588
; %bb.2587:
	s_cmp_lg_u32 s14, 11
	s_mov_b32 s21, -1
	s_cselect_b32 s20, -1, 0
.LBB134_2588:
	s_delay_alu instid0(SALU_CYCLE_1)
	s_and_b32 vcc_lo, exec_lo, s20
	s_cbranch_vccnz .LBB134_2653
; %bb.2589:
	s_and_not1_b32 vcc_lo, exec_lo, s21
	s_cbranch_vccnz .LBB134_2591
.LBB134_2590:
	s_wait_loadcnt 0x0
	global_load_u8 v1, v[12:13], off
	s_mov_b32 s22, -1
	s_wait_loadcnt 0x0
	v_cmp_ne_u16_e32 vcc_lo, 0, v1
	v_cndmask_b32_e64 v8, 0, 1, vcc_lo
.LBB134_2591:
	s_mov_b32 s14, 0
.LBB134_2592:
	s_delay_alu instid0(SALU_CYCLE_1)
	s_and_b32 vcc_lo, exec_lo, s14
	s_cbranch_vccz .LBB134_2641
; %bb.2593:
	s_and_b32 s14, 0xffff, s3
	s_delay_alu instid0(SALU_CYCLE_1)
	s_cmp_lt_i32 s14, 5
	s_cbranch_scc1 .LBB134_2598
; %bb.2594:
	s_cmp_lt_i32 s14, 8
	s_cbranch_scc1 .LBB134_2599
; %bb.2595:
	;; [unrolled: 3-line block ×3, first 2 shown]
	s_cmp_gt_i32 s14, 9
	s_cbranch_scc0 .LBB134_2601
; %bb.2597:
	s_wait_loadcnt 0x0
	global_load_b64 v[8:9], v[12:13], off
	s_mov_b32 s20, 0
	s_wait_loadcnt 0x0
	v_cvt_i32_f64_e32 v8, v[8:9]
	s_branch .LBB134_2602
.LBB134_2598:
	s_mov_b32 s20, -1
                                        ; implicit-def: $vgpr8
	s_branch .LBB134_2620
.LBB134_2599:
	s_mov_b32 s20, -1
                                        ; implicit-def: $vgpr8
	s_branch .LBB134_2608
.LBB134_2600:
	s_mov_b32 s20, -1
                                        ; implicit-def: $vgpr8
	s_branch .LBB134_2605
.LBB134_2601:
	s_mov_b32 s20, -1
                                        ; implicit-def: $vgpr8
.LBB134_2602:
	s_delay_alu instid0(SALU_CYCLE_1)
	s_and_not1_b32 vcc_lo, exec_lo, s20
	s_cbranch_vccnz .LBB134_2604
; %bb.2603:
	s_wait_loadcnt 0x0
	global_load_b32 v1, v[12:13], off
	s_wait_loadcnt 0x0
	v_cvt_i32_f32_e32 v8, v1
.LBB134_2604:
	s_mov_b32 s20, 0
.LBB134_2605:
	s_delay_alu instid0(SALU_CYCLE_1)
	s_and_not1_b32 vcc_lo, exec_lo, s20
	s_cbranch_vccnz .LBB134_2607
; %bb.2606:
	s_wait_loadcnt 0x0
	global_load_b32 v1, v[12:13], off
	s_wait_loadcnt 0x0
	v_cvt_i16_f16_e32 v8, v1
.LBB134_2607:
	s_mov_b32 s20, 0
.LBB134_2608:
	s_delay_alu instid0(SALU_CYCLE_1)
	s_and_not1_b32 vcc_lo, exec_lo, s20
	s_cbranch_vccnz .LBB134_2619
; %bb.2609:
	s_cmp_lt_i32 s14, 6
	s_cbranch_scc1 .LBB134_2612
; %bb.2610:
	s_cmp_gt_i32 s14, 6
	s_cbranch_scc0 .LBB134_2613
; %bb.2611:
	s_wait_loadcnt 0x0
	global_load_b64 v[8:9], v[12:13], off
	s_mov_b32 s20, 0
	s_wait_loadcnt 0x0
	v_cvt_i32_f64_e32 v8, v[8:9]
	s_branch .LBB134_2614
.LBB134_2612:
	s_mov_b32 s20, -1
                                        ; implicit-def: $vgpr8
	s_branch .LBB134_2617
.LBB134_2613:
	s_mov_b32 s20, -1
                                        ; implicit-def: $vgpr8
.LBB134_2614:
	s_delay_alu instid0(SALU_CYCLE_1)
	s_and_not1_b32 vcc_lo, exec_lo, s20
	s_cbranch_vccnz .LBB134_2616
; %bb.2615:
	s_wait_loadcnt 0x0
	global_load_b32 v1, v[12:13], off
	s_wait_loadcnt 0x0
	v_cvt_i32_f32_e32 v8, v1
.LBB134_2616:
	s_mov_b32 s20, 0
.LBB134_2617:
	s_delay_alu instid0(SALU_CYCLE_1)
	s_and_not1_b32 vcc_lo, exec_lo, s20
	s_cbranch_vccnz .LBB134_2619
; %bb.2618:
	s_wait_loadcnt 0x0
	global_load_u16 v1, v[12:13], off
	s_wait_loadcnt 0x0
	v_cvt_i16_f16_e32 v8, v1
.LBB134_2619:
	s_mov_b32 s20, 0
.LBB134_2620:
	s_delay_alu instid0(SALU_CYCLE_1)
	s_and_not1_b32 vcc_lo, exec_lo, s20
	s_cbranch_vccnz .LBB134_2640
; %bb.2621:
	s_cmp_lt_i32 s14, 2
	s_cbranch_scc1 .LBB134_2625
; %bb.2622:
	s_cmp_lt_i32 s14, 3
	s_cbranch_scc1 .LBB134_2626
; %bb.2623:
	s_cmp_gt_i32 s14, 3
	s_cbranch_scc0 .LBB134_2627
; %bb.2624:
	s_wait_loadcnt 0x0
	global_load_b64 v[8:9], v[12:13], off
	s_mov_b32 s20, 0
	s_branch .LBB134_2628
.LBB134_2625:
	s_mov_b32 s20, -1
                                        ; implicit-def: $vgpr8
	s_branch .LBB134_2634
.LBB134_2626:
	s_mov_b32 s20, -1
                                        ; implicit-def: $vgpr8
	s_branch .LBB134_2631
.LBB134_2627:
	s_mov_b32 s20, -1
                                        ; implicit-def: $vgpr8
.LBB134_2628:
	s_delay_alu instid0(SALU_CYCLE_1)
	s_and_not1_b32 vcc_lo, exec_lo, s20
	s_cbranch_vccnz .LBB134_2630
; %bb.2629:
	s_wait_loadcnt 0x0
	global_load_b32 v8, v[12:13], off
.LBB134_2630:
	s_mov_b32 s20, 0
.LBB134_2631:
	s_delay_alu instid0(SALU_CYCLE_1)
	s_and_not1_b32 vcc_lo, exec_lo, s20
	s_cbranch_vccnz .LBB134_2633
; %bb.2632:
	s_wait_loadcnt 0x0
	global_load_u16 v8, v[12:13], off
.LBB134_2633:
	s_mov_b32 s20, 0
.LBB134_2634:
	s_delay_alu instid0(SALU_CYCLE_1)
	s_and_not1_b32 vcc_lo, exec_lo, s20
	s_cbranch_vccnz .LBB134_2640
; %bb.2635:
	s_cmp_gt_i32 s14, 0
	s_mov_b32 s14, 0
	s_cbranch_scc0 .LBB134_2637
; %bb.2636:
	s_wait_loadcnt 0x0
	global_load_i8 v8, v[12:13], off
	s_branch .LBB134_2638
.LBB134_2637:
	s_mov_b32 s14, -1
                                        ; implicit-def: $vgpr8
.LBB134_2638:
	s_delay_alu instid0(SALU_CYCLE_1)
	s_and_not1_b32 vcc_lo, exec_lo, s14
	s_cbranch_vccnz .LBB134_2640
; %bb.2639:
	s_wait_loadcnt 0x0
	global_load_u8 v8, v[12:13], off
.LBB134_2640:
	s_mov_b32 s22, -1
.LBB134_2641:
	s_delay_alu instid0(SALU_CYCLE_1)
	s_and_not1_b32 vcc_lo, exec_lo, s22
	s_cbranch_vccnz .LBB134_3968
; %bb.2642:
	s_lshl_b32 s14, s15, 7
	s_cmp_lt_i32 s0, 11
	v_add_nc_u32_e32 v18, s14, v10
	s_delay_alu instid0(VALU_DEP_1) | instskip(NEXT) | instid1(VALU_DEP_1)
	v_ashrrev_i32_e32 v19, 31, v18
	v_add_nc_u64_e32 v[10:11], s[10:11], v[18:19]
	s_cbranch_scc1 .LBB134_2649
; %bb.2643:
	s_cmp_gt_i32 s0, 25
	s_mov_b32 s20, 0
	s_cbranch_scc0 .LBB134_2650
; %bb.2644:
	s_cmp_gt_i32 s0, 28
	s_cbranch_scc0 .LBB134_2651
; %bb.2645:
	s_cmp_gt_i32 s0, 43
	;; [unrolled: 3-line block ×3, first 2 shown]
	s_cbranch_scc0 .LBB134_2654
; %bb.2647:
	s_cmp_eq_u32 s0, 46
	s_mov_b32 s22, 0
	s_cbranch_scc0 .LBB134_2657
; %bb.2648:
	s_wait_loadcnt 0x0
	global_load_b32 v1, v[10:11], off
	s_mov_b32 s15, 0
	s_mov_b32 s21, -1
	s_wait_loadcnt 0x0
	v_lshlrev_b32_e32 v1, 16, v1
	s_wait_xcnt 0x1
	s_delay_alu instid0(VALU_DEP_1)
	v_cvt_i32_f32_e32 v12, v1
	s_branch .LBB134_2659
.LBB134_2649:
	s_mov_b32 s15, -1
	s_mov_b32 s21, 0
                                        ; implicit-def: $vgpr12
	s_branch .LBB134_2721
.LBB134_2650:
	s_mov_b32 s22, -1
	s_mov_b32 s21, 0
	s_mov_b32 s15, 0
                                        ; implicit-def: $vgpr12
	s_branch .LBB134_2686
.LBB134_2651:
	s_mov_b32 s22, -1
	s_mov_b32 s21, 0
	s_mov_b32 s15, 0
                                        ; implicit-def: $vgpr12
	s_branch .LBB134_2669
.LBB134_2652:
	s_mov_b32 s22, -1
	s_mov_b32 s21, 0
	s_mov_b32 s15, 0
                                        ; implicit-def: $vgpr12
	s_branch .LBB134_2664
.LBB134_2653:
	s_or_b32 s16, s16, exec_lo
	s_trap 2
	s_cbranch_execz .LBB134_2590
	s_branch .LBB134_2591
.LBB134_2654:
	s_mov_b32 s22, -1
	s_mov_b32 s21, 0
	s_mov_b32 s15, 0
	s_branch .LBB134_2658
.LBB134_2655:
	s_and_not1_saveexec_b32 s39, s39
	s_cbranch_execz .LBB134_1428
.LBB134_2656:
	v_add_f32_e64 v3, 0x46000000, |v2|
	s_and_not1_b32 s38, s38, exec_lo
	s_delay_alu instid0(VALU_DEP_1) | instskip(NEXT) | instid1(VALU_DEP_1)
	v_and_b32_e32 v3, 0xff, v3
	v_cmp_ne_u32_e32 vcc_lo, 0, v3
	s_and_b32 s40, vcc_lo, exec_lo
	s_delay_alu instid0(SALU_CYCLE_1)
	s_or_b32 s38, s38, s40
	s_or_b32 exec_lo, exec_lo, s39
	v_mov_b32_e32 v5, 0
	s_and_saveexec_b32 s39, s38
	s_cbranch_execnz .LBB134_1429
	s_branch .LBB134_1430
.LBB134_2657:
	s_mov_b32 s15, -1
	s_mov_b32 s21, 0
.LBB134_2658:
                                        ; implicit-def: $vgpr12
.LBB134_2659:
	s_and_b32 vcc_lo, exec_lo, s22
	s_cbranch_vccz .LBB134_2663
; %bb.2660:
	s_cmp_eq_u32 s0, 44
	s_cbranch_scc0 .LBB134_2662
; %bb.2661:
	s_wait_loadcnt 0x0
	global_load_u8 v1, v[10:11], off
	s_mov_b32 s15, 0
	s_mov_b32 s21, -1
	s_wait_loadcnt 0x0
	v_lshlrev_b32_e32 v3, 23, v1
	v_cmp_ne_u32_e32 vcc_lo, 0, v1
	s_delay_alu instid0(VALU_DEP_2) | instskip(SKIP_1) | instid1(VALU_DEP_1)
	v_cvt_i32_f32_e32 v3, v3
	s_wait_xcnt 0x1
	v_cndmask_b32_e32 v12, 0, v3, vcc_lo
	s_branch .LBB134_2663
.LBB134_2662:
	s_mov_b32 s15, -1
                                        ; implicit-def: $vgpr12
.LBB134_2663:
	s_mov_b32 s22, 0
.LBB134_2664:
	s_delay_alu instid0(SALU_CYCLE_1)
	s_and_b32 vcc_lo, exec_lo, s22
	s_cbranch_vccz .LBB134_2668
; %bb.2665:
	s_cmp_eq_u32 s0, 29
	s_cbranch_scc0 .LBB134_2667
; %bb.2666:
	global_load_b64 v[12:13], v[10:11], off
	s_mov_b32 s15, 0
	s_mov_b32 s21, -1
	s_branch .LBB134_2668
.LBB134_2667:
	s_mov_b32 s15, -1
                                        ; implicit-def: $vgpr12
.LBB134_2668:
	s_mov_b32 s22, 0
.LBB134_2669:
	s_delay_alu instid0(SALU_CYCLE_1)
	s_and_b32 vcc_lo, exec_lo, s22
	s_cbranch_vccz .LBB134_2685
; %bb.2670:
	s_cmp_lt_i32 s0, 27
	s_cbranch_scc1 .LBB134_2673
; %bb.2671:
	s_cmp_gt_i32 s0, 27
	s_cbranch_scc0 .LBB134_2674
; %bb.2672:
	s_wait_loadcnt 0x0
	global_load_b32 v12, v[10:11], off
	s_mov_b32 s21, 0
	s_branch .LBB134_2675
.LBB134_2673:
	s_mov_b32 s21, -1
                                        ; implicit-def: $vgpr12
	s_branch .LBB134_2678
.LBB134_2674:
	s_mov_b32 s21, -1
                                        ; implicit-def: $vgpr12
.LBB134_2675:
	s_delay_alu instid0(SALU_CYCLE_1)
	s_and_not1_b32 vcc_lo, exec_lo, s21
	s_cbranch_vccnz .LBB134_2677
; %bb.2676:
	s_wait_loadcnt 0x0
	global_load_u16 v12, v[10:11], off
.LBB134_2677:
	s_mov_b32 s21, 0
.LBB134_2678:
	s_delay_alu instid0(SALU_CYCLE_1)
	s_and_not1_b32 vcc_lo, exec_lo, s21
	s_cbranch_vccnz .LBB134_2684
; %bb.2679:
	s_wait_loadcnt 0x0
	global_load_u8 v1, v[10:11], off
	s_mov_b32 s22, 0
	s_mov_b32 s21, exec_lo
	s_wait_loadcnt 0x0
	v_cmpx_lt_i16_e32 0x7f, v1
	s_xor_b32 s21, exec_lo, s21
	s_cbranch_execz .LBB134_2696
; %bb.2680:
	v_cmp_ne_u16_e32 vcc_lo, 0x80, v1
	s_and_b32 s22, vcc_lo, exec_lo
	s_and_not1_saveexec_b32 s21, s21
	s_cbranch_execnz .LBB134_2697
.LBB134_2681:
	s_or_b32 exec_lo, exec_lo, s21
	v_mov_b32_e32 v12, 0
	s_and_saveexec_b32 s21, s22
	s_cbranch_execz .LBB134_2683
.LBB134_2682:
	v_and_b32_e32 v3, 0xffff, v1
	s_delay_alu instid0(VALU_DEP_1) | instskip(SKIP_1) | instid1(VALU_DEP_2)
	v_dual_lshlrev_b32 v1, 24, v1 :: v_dual_bitop2_b32 v5, 7, v3 bitop3:0x40
	v_bfe_u32 v12, v3, 3, 4
	v_and_b32_e32 v1, 0x80000000, v1
	s_delay_alu instid0(VALU_DEP_3) | instskip(NEXT) | instid1(VALU_DEP_3)
	v_clz_i32_u32_e32 v7, v5
	v_cmp_eq_u32_e32 vcc_lo, 0, v12
	s_delay_alu instid0(VALU_DEP_2) | instskip(NEXT) | instid1(VALU_DEP_1)
	v_min_u32_e32 v7, 32, v7
	v_subrev_nc_u32_e32 v9, 28, v7
	v_sub_nc_u32_e32 v7, 29, v7
	s_delay_alu instid0(VALU_DEP_2) | instskip(NEXT) | instid1(VALU_DEP_2)
	v_lshlrev_b32_e32 v3, v9, v3
	v_cndmask_b32_e32 v7, v12, v7, vcc_lo
	s_delay_alu instid0(VALU_DEP_2) | instskip(NEXT) | instid1(VALU_DEP_1)
	v_and_b32_e32 v3, 7, v3
	v_cndmask_b32_e32 v3, v5, v3, vcc_lo
	s_delay_alu instid0(VALU_DEP_3) | instskip(NEXT) | instid1(VALU_DEP_2)
	v_lshl_add_u32 v5, v7, 23, 0x3b800000
	v_lshlrev_b32_e32 v3, 20, v3
	s_delay_alu instid0(VALU_DEP_1) | instskip(NEXT) | instid1(VALU_DEP_1)
	v_or3_b32 v1, v1, v5, v3
	v_cvt_i32_f32_e32 v12, v1
.LBB134_2683:
	s_or_b32 exec_lo, exec_lo, s21
.LBB134_2684:
	s_mov_b32 s21, -1
.LBB134_2685:
	s_mov_b32 s22, 0
.LBB134_2686:
	s_delay_alu instid0(SALU_CYCLE_1)
	s_and_b32 vcc_lo, exec_lo, s22
	s_cbranch_vccz .LBB134_2717
; %bb.2687:
	s_cmp_gt_i32 s0, 22
	s_cbranch_scc0 .LBB134_2695
; %bb.2688:
	s_cmp_lt_i32 s0, 24
	s_cbranch_scc1 .LBB134_2698
; %bb.2689:
	s_cmp_gt_i32 s0, 24
	s_cbranch_scc0 .LBB134_2699
; %bb.2690:
	s_wait_loadcnt 0x0
	global_load_u8 v1, v[10:11], off
	s_mov_b32 s21, 0
	s_mov_b32 s20, exec_lo
	s_wait_loadcnt 0x0
	v_cmpx_lt_i16_e32 0x7f, v1
	s_xor_b32 s20, exec_lo, s20
	s_cbranch_execz .LBB134_2711
; %bb.2691:
	v_cmp_ne_u16_e32 vcc_lo, 0x80, v1
	s_and_b32 s21, vcc_lo, exec_lo
	s_and_not1_saveexec_b32 s20, s20
	s_cbranch_execnz .LBB134_2712
.LBB134_2692:
	s_or_b32 exec_lo, exec_lo, s20
	v_mov_b32_e32 v12, 0
	s_and_saveexec_b32 s20, s21
	s_cbranch_execz .LBB134_2694
.LBB134_2693:
	v_and_b32_e32 v3, 0xffff, v1
	s_delay_alu instid0(VALU_DEP_1) | instskip(SKIP_1) | instid1(VALU_DEP_2)
	v_dual_lshlrev_b32 v1, 24, v1 :: v_dual_bitop2_b32 v5, 3, v3 bitop3:0x40
	v_bfe_u32 v12, v3, 2, 5
	v_and_b32_e32 v1, 0x80000000, v1
	s_delay_alu instid0(VALU_DEP_3) | instskip(NEXT) | instid1(VALU_DEP_3)
	v_clz_i32_u32_e32 v7, v5
	v_cmp_eq_u32_e32 vcc_lo, 0, v12
	s_delay_alu instid0(VALU_DEP_2) | instskip(NEXT) | instid1(VALU_DEP_1)
	v_min_u32_e32 v7, 32, v7
	v_subrev_nc_u32_e32 v9, 29, v7
	v_sub_nc_u32_e32 v7, 30, v7
	s_delay_alu instid0(VALU_DEP_2) | instskip(NEXT) | instid1(VALU_DEP_2)
	v_lshlrev_b32_e32 v3, v9, v3
	v_cndmask_b32_e32 v7, v12, v7, vcc_lo
	s_delay_alu instid0(VALU_DEP_2) | instskip(NEXT) | instid1(VALU_DEP_1)
	v_and_b32_e32 v3, 3, v3
	v_cndmask_b32_e32 v3, v5, v3, vcc_lo
	s_delay_alu instid0(VALU_DEP_3) | instskip(NEXT) | instid1(VALU_DEP_2)
	v_lshl_add_u32 v5, v7, 23, 0x37800000
	v_lshlrev_b32_e32 v3, 21, v3
	s_delay_alu instid0(VALU_DEP_1) | instskip(NEXT) | instid1(VALU_DEP_1)
	v_or3_b32 v1, v1, v5, v3
	v_cvt_i32_f32_e32 v12, v1
.LBB134_2694:
	s_or_b32 exec_lo, exec_lo, s20
	s_mov_b32 s20, 0
	s_branch .LBB134_2700
.LBB134_2695:
	s_mov_b32 s20, -1
                                        ; implicit-def: $vgpr12
	s_branch .LBB134_2706
.LBB134_2696:
	s_and_not1_saveexec_b32 s21, s21
	s_cbranch_execz .LBB134_2681
.LBB134_2697:
	v_cmp_ne_u16_e32 vcc_lo, 0, v1
	s_and_not1_b32 s22, s22, exec_lo
	s_and_b32 s23, vcc_lo, exec_lo
	s_delay_alu instid0(SALU_CYCLE_1)
	s_or_b32 s22, s22, s23
	s_or_b32 exec_lo, exec_lo, s21
	v_mov_b32_e32 v12, 0
	s_and_saveexec_b32 s21, s22
	s_cbranch_execnz .LBB134_2682
	s_branch .LBB134_2683
.LBB134_2698:
	s_mov_b32 s20, -1
                                        ; implicit-def: $vgpr12
	s_branch .LBB134_2703
.LBB134_2699:
	s_mov_b32 s20, -1
                                        ; implicit-def: $vgpr12
.LBB134_2700:
	s_delay_alu instid0(SALU_CYCLE_1)
	s_and_b32 vcc_lo, exec_lo, s20
	s_cbranch_vccz .LBB134_2702
; %bb.2701:
	s_wait_loadcnt 0x0
	global_load_u8 v1, v[10:11], off
	s_wait_loadcnt 0x0
	v_lshlrev_b32_e32 v1, 24, v1
	s_delay_alu instid0(VALU_DEP_1) | instskip(NEXT) | instid1(VALU_DEP_1)
	v_and_b32_e32 v3, 0x7f000000, v1
	v_clz_i32_u32_e32 v5, v3
	v_add_nc_u32_e32 v9, 0x1000000, v3
	v_cmp_ne_u32_e32 vcc_lo, 0, v3
	s_delay_alu instid0(VALU_DEP_3) | instskip(NEXT) | instid1(VALU_DEP_1)
	v_min_u32_e32 v5, 32, v5
	v_sub_nc_u32_e64 v5, v5, 4 clamp
	s_delay_alu instid0(VALU_DEP_1) | instskip(NEXT) | instid1(VALU_DEP_1)
	v_dual_lshlrev_b32 v7, v5, v3 :: v_dual_lshlrev_b32 v5, 23, v5
	v_lshrrev_b32_e32 v7, 4, v7
	s_delay_alu instid0(VALU_DEP_1) | instskip(SKIP_1) | instid1(VALU_DEP_2)
	v_sub_nc_u32_e32 v5, v7, v5
	v_ashrrev_i32_e32 v7, 8, v9
	v_add_nc_u32_e32 v5, 0x3c000000, v5
	s_delay_alu instid0(VALU_DEP_1) | instskip(NEXT) | instid1(VALU_DEP_1)
	v_and_or_b32 v5, 0x7f800000, v7, v5
	v_cndmask_b32_e32 v3, 0, v5, vcc_lo
	s_delay_alu instid0(VALU_DEP_1) | instskip(SKIP_1) | instid1(VALU_DEP_1)
	v_and_or_b32 v1, 0x80000000, v1, v3
	s_wait_xcnt 0x1
	v_cvt_i32_f32_e32 v12, v1
.LBB134_2702:
	s_mov_b32 s20, 0
.LBB134_2703:
	s_delay_alu instid0(SALU_CYCLE_1)
	s_and_not1_b32 vcc_lo, exec_lo, s20
	s_cbranch_vccnz .LBB134_2705
; %bb.2704:
	s_wait_loadcnt 0x0
	global_load_u8 v1, v[10:11], off
	s_wait_loadcnt 0x0
	v_lshlrev_b32_e32 v3, 25, v1
	v_lshlrev_b16 v1, 8, v1
	s_delay_alu instid0(VALU_DEP_1) | instskip(SKIP_1) | instid1(VALU_DEP_2)
	v_and_or_b32 v7, 0x7f00, v1, 0.5
	v_bfe_i32 v1, v1, 0, 16
	v_add_f32_e32 v7, -0.5, v7
	v_lshrrev_b32_e32 v5, 4, v3
	v_cmp_gt_u32_e32 vcc_lo, 0x8000000, v3
	s_delay_alu instid0(VALU_DEP_2) | instskip(NEXT) | instid1(VALU_DEP_1)
	v_or_b32_e32 v5, 0x70000000, v5
	v_mul_f32_e32 v5, 0x7800000, v5
	s_delay_alu instid0(VALU_DEP_1) | instskip(NEXT) | instid1(VALU_DEP_1)
	v_cndmask_b32_e32 v3, v5, v7, vcc_lo
	v_and_or_b32 v1, 0x80000000, v1, v3
	s_wait_xcnt 0x1
	s_delay_alu instid0(VALU_DEP_1)
	v_cvt_i32_f32_e32 v12, v1
.LBB134_2705:
	s_mov_b32 s20, 0
	s_mov_b32 s21, -1
.LBB134_2706:
	s_and_not1_b32 vcc_lo, exec_lo, s20
	s_mov_b32 s20, 0
	s_cbranch_vccnz .LBB134_2717
; %bb.2707:
	s_cmp_gt_i32 s0, 14
	s_cbranch_scc0 .LBB134_2710
; %bb.2708:
	s_cmp_eq_u32 s0, 15
	s_cbranch_scc0 .LBB134_2713
; %bb.2709:
	s_wait_loadcnt 0x0
	global_load_u16 v1, v[10:11], off
	s_mov_b32 s15, 0
	s_mov_b32 s21, -1
	s_wait_loadcnt 0x0
	v_lshlrev_b32_e32 v1, 16, v1
	s_wait_xcnt 0x1
	s_delay_alu instid0(VALU_DEP_1)
	v_cvt_i32_f32_e32 v12, v1
	s_branch .LBB134_2715
.LBB134_2710:
	s_mov_b32 s20, -1
	s_branch .LBB134_2714
.LBB134_2711:
	s_and_not1_saveexec_b32 s20, s20
	s_cbranch_execz .LBB134_2692
.LBB134_2712:
	v_cmp_ne_u16_e32 vcc_lo, 0, v1
	s_and_not1_b32 s21, s21, exec_lo
	s_and_b32 s22, vcc_lo, exec_lo
	s_delay_alu instid0(SALU_CYCLE_1)
	s_or_b32 s21, s21, s22
	s_or_b32 exec_lo, exec_lo, s20
	v_mov_b32_e32 v12, 0
	s_and_saveexec_b32 s20, s21
	s_cbranch_execnz .LBB134_2693
	s_branch .LBB134_2694
.LBB134_2713:
	s_mov_b32 s15, -1
.LBB134_2714:
                                        ; implicit-def: $vgpr12
.LBB134_2715:
	s_and_b32 vcc_lo, exec_lo, s20
	s_mov_b32 s20, 0
	s_cbranch_vccz .LBB134_2717
; %bb.2716:
	s_cmp_lg_u32 s0, 11
	s_mov_b32 s20, -1
	s_cselect_b32 s15, -1, 0
.LBB134_2717:
	s_delay_alu instid0(SALU_CYCLE_1)
	s_and_b32 vcc_lo, exec_lo, s15
	s_cbranch_vccnz .LBB134_2782
; %bb.2718:
	s_and_not1_b32 vcc_lo, exec_lo, s20
	s_cbranch_vccnz .LBB134_2720
.LBB134_2719:
	s_wait_loadcnt 0x0
	global_load_u8 v1, v[10:11], off
	s_mov_b32 s21, -1
	s_wait_loadcnt 0x0
	v_cmp_ne_u16_e32 vcc_lo, 0, v1
	s_wait_xcnt 0x1
	v_cndmask_b32_e64 v12, 0, 1, vcc_lo
.LBB134_2720:
	s_mov_b32 s15, 0
.LBB134_2721:
	s_delay_alu instid0(SALU_CYCLE_1)
	s_and_b32 vcc_lo, exec_lo, s15
	s_cbranch_vccz .LBB134_2770
; %bb.2722:
	s_cmp_lt_i32 s0, 5
	s_cbranch_scc1 .LBB134_2727
; %bb.2723:
	s_cmp_lt_i32 s0, 8
	s_cbranch_scc1 .LBB134_2728
	;; [unrolled: 3-line block ×3, first 2 shown]
; %bb.2725:
	s_cmp_gt_i32 s0, 9
	s_cbranch_scc0 .LBB134_2730
; %bb.2726:
	s_wait_loadcnt 0x0
	global_load_b64 v[12:13], v[10:11], off
	s_mov_b32 s15, 0
	s_wait_loadcnt 0x0
	v_cvt_i32_f64_e32 v12, v[12:13]
	s_branch .LBB134_2731
.LBB134_2727:
	s_mov_b32 s15, -1
                                        ; implicit-def: $vgpr12
	s_branch .LBB134_2749
.LBB134_2728:
	s_mov_b32 s15, -1
                                        ; implicit-def: $vgpr12
	s_branch .LBB134_2737
.LBB134_2729:
	s_mov_b32 s15, -1
                                        ; implicit-def: $vgpr12
	s_branch .LBB134_2734
.LBB134_2730:
	s_mov_b32 s15, -1
                                        ; implicit-def: $vgpr12
.LBB134_2731:
	s_delay_alu instid0(SALU_CYCLE_1)
	s_and_not1_b32 vcc_lo, exec_lo, s15
	s_cbranch_vccnz .LBB134_2733
; %bb.2732:
	s_wait_loadcnt 0x0
	global_load_b32 v1, v[10:11], off
	s_wait_loadcnt 0x0
	s_wait_xcnt 0x1
	v_cvt_i32_f32_e32 v12, v1
.LBB134_2733:
	s_mov_b32 s15, 0
.LBB134_2734:
	s_delay_alu instid0(SALU_CYCLE_1)
	s_and_not1_b32 vcc_lo, exec_lo, s15
	s_cbranch_vccnz .LBB134_2736
; %bb.2735:
	s_wait_loadcnt 0x0
	global_load_b32 v1, v[10:11], off
	s_wait_loadcnt 0x0
	s_wait_xcnt 0x1
	v_cvt_i16_f16_e32 v12, v1
.LBB134_2736:
	s_mov_b32 s15, 0
.LBB134_2737:
	s_delay_alu instid0(SALU_CYCLE_1)
	s_and_not1_b32 vcc_lo, exec_lo, s15
	s_cbranch_vccnz .LBB134_2748
; %bb.2738:
	s_cmp_lt_i32 s0, 6
	s_cbranch_scc1 .LBB134_2741
; %bb.2739:
	s_cmp_gt_i32 s0, 6
	s_cbranch_scc0 .LBB134_2742
; %bb.2740:
	s_wait_loadcnt 0x0
	global_load_b64 v[12:13], v[10:11], off
	s_mov_b32 s15, 0
	s_wait_loadcnt 0x0
	v_cvt_i32_f64_e32 v12, v[12:13]
	s_branch .LBB134_2743
.LBB134_2741:
	s_mov_b32 s15, -1
                                        ; implicit-def: $vgpr12
	s_branch .LBB134_2746
.LBB134_2742:
	s_mov_b32 s15, -1
                                        ; implicit-def: $vgpr12
.LBB134_2743:
	s_delay_alu instid0(SALU_CYCLE_1)
	s_and_not1_b32 vcc_lo, exec_lo, s15
	s_cbranch_vccnz .LBB134_2745
; %bb.2744:
	s_wait_loadcnt 0x0
	global_load_b32 v1, v[10:11], off
	s_wait_loadcnt 0x0
	s_wait_xcnt 0x1
	v_cvt_i32_f32_e32 v12, v1
.LBB134_2745:
	s_mov_b32 s15, 0
.LBB134_2746:
	s_delay_alu instid0(SALU_CYCLE_1)
	s_and_not1_b32 vcc_lo, exec_lo, s15
	s_cbranch_vccnz .LBB134_2748
; %bb.2747:
	s_wait_loadcnt 0x0
	global_load_u16 v1, v[10:11], off
	s_wait_loadcnt 0x0
	s_wait_xcnt 0x1
	v_cvt_i16_f16_e32 v12, v1
.LBB134_2748:
	s_mov_b32 s15, 0
.LBB134_2749:
	s_delay_alu instid0(SALU_CYCLE_1)
	s_and_not1_b32 vcc_lo, exec_lo, s15
	s_cbranch_vccnz .LBB134_2769
; %bb.2750:
	s_cmp_lt_i32 s0, 2
	s_cbranch_scc1 .LBB134_2754
; %bb.2751:
	s_cmp_lt_i32 s0, 3
	s_cbranch_scc1 .LBB134_2755
; %bb.2752:
	s_cmp_gt_i32 s0, 3
	s_cbranch_scc0 .LBB134_2756
; %bb.2753:
	s_wait_loadcnt 0x0
	global_load_b64 v[12:13], v[10:11], off
	s_mov_b32 s15, 0
	s_branch .LBB134_2757
.LBB134_2754:
	s_mov_b32 s15, -1
                                        ; implicit-def: $vgpr12
	s_branch .LBB134_2763
.LBB134_2755:
	s_mov_b32 s15, -1
                                        ; implicit-def: $vgpr12
	s_branch .LBB134_2760
.LBB134_2756:
	s_mov_b32 s15, -1
                                        ; implicit-def: $vgpr12
.LBB134_2757:
	s_delay_alu instid0(SALU_CYCLE_1)
	s_and_not1_b32 vcc_lo, exec_lo, s15
	s_cbranch_vccnz .LBB134_2759
; %bb.2758:
	s_wait_loadcnt 0x0
	global_load_b32 v12, v[10:11], off
.LBB134_2759:
	s_mov_b32 s15, 0
.LBB134_2760:
	s_delay_alu instid0(SALU_CYCLE_1)
	s_and_not1_b32 vcc_lo, exec_lo, s15
	s_cbranch_vccnz .LBB134_2762
; %bb.2761:
	s_wait_loadcnt 0x0
	global_load_u16 v12, v[10:11], off
.LBB134_2762:
	s_mov_b32 s15, 0
.LBB134_2763:
	s_delay_alu instid0(SALU_CYCLE_1)
	s_and_not1_b32 vcc_lo, exec_lo, s15
	s_cbranch_vccnz .LBB134_2769
; %bb.2764:
	s_cmp_gt_i32 s0, 0
	s_mov_b32 s15, 0
	s_cbranch_scc0 .LBB134_2766
; %bb.2765:
	s_wait_loadcnt 0x0
	global_load_i8 v12, v[10:11], off
	s_branch .LBB134_2767
.LBB134_2766:
	s_mov_b32 s15, -1
                                        ; implicit-def: $vgpr12
.LBB134_2767:
	s_delay_alu instid0(SALU_CYCLE_1)
	s_and_not1_b32 vcc_lo, exec_lo, s15
	s_cbranch_vccnz .LBB134_2769
; %bb.2768:
	s_wait_loadcnt 0x0
	global_load_u8 v12, v[10:11], off
.LBB134_2769:
	s_mov_b32 s21, -1
.LBB134_2770:
	s_delay_alu instid0(SALU_CYCLE_1)
	s_and_not1_b32 vcc_lo, exec_lo, s21
	s_cbranch_vccnz .LBB134_3968
; %bb.2771:
	v_add_nc_u32_e32 v20, s1, v14
	s_cmp_lt_i32 s17, 11
	s_delay_alu instid0(VALU_DEP_1) | instskip(NEXT) | instid1(VALU_DEP_1)
	v_ashrrev_i32_e32 v21, 31, v20
	v_add_nc_u64_e32 v[14:15], s[6:7], v[20:21]
	s_cbranch_scc1 .LBB134_2778
; %bb.2772:
	s_and_b32 s15, 0xffff, s17
	s_mov_b32 s21, 0
	s_cmp_gt_i32 s15, 25
	s_cbranch_scc0 .LBB134_2779
; %bb.2773:
	s_cmp_gt_i32 s15, 28
	s_cbranch_scc0 .LBB134_2780
; %bb.2774:
	;; [unrolled: 3-line block ×4, first 2 shown]
	s_cmp_eq_u32 s15, 46
	s_mov_b32 s23, 0
	s_cbranch_scc0 .LBB134_2786
; %bb.2777:
	s_wait_loadcnt 0x0
	global_load_b32 v1, v[14:15], off
	s_mov_b32 s20, 0
	s_mov_b32 s22, -1
	s_wait_loadcnt 0x0
	v_lshlrev_b32_e32 v1, 16, v1
	s_wait_xcnt 0x1
	s_delay_alu instid0(VALU_DEP_1)
	v_cvt_i32_f32_e32 v10, v1
	s_branch .LBB134_2788
.LBB134_2778:
	s_mov_b32 s15, -1
	s_mov_b32 s22, 0
                                        ; implicit-def: $vgpr10
	s_branch .LBB134_2850
.LBB134_2779:
	s_mov_b32 s23, -1
	s_mov_b32 s22, 0
	s_mov_b32 s20, 0
                                        ; implicit-def: $vgpr10
	s_branch .LBB134_2815
.LBB134_2780:
	s_mov_b32 s23, -1
	s_mov_b32 s22, 0
	s_mov_b32 s20, 0
                                        ; implicit-def: $vgpr10
	s_branch .LBB134_2798
.LBB134_2781:
	s_mov_b32 s23, -1
	s_mov_b32 s22, 0
	s_mov_b32 s20, 0
                                        ; implicit-def: $vgpr10
	s_branch .LBB134_2793
.LBB134_2782:
	s_or_b32 s16, s16, exec_lo
	s_trap 2
	s_cbranch_execz .LBB134_2719
	s_branch .LBB134_2720
.LBB134_2783:
	s_mov_b32 s23, -1
	s_mov_b32 s22, 0
	s_mov_b32 s20, 0
	s_branch .LBB134_2787
.LBB134_2784:
	s_and_not1_saveexec_b32 s39, s39
	s_cbranch_execz .LBB134_1441
.LBB134_2785:
	v_add_f32_e64 v3, 0x42800000, |v2|
	s_and_not1_b32 s38, s38, exec_lo
	s_delay_alu instid0(VALU_DEP_1) | instskip(NEXT) | instid1(VALU_DEP_1)
	v_and_b32_e32 v3, 0xff, v3
	v_cmp_ne_u32_e32 vcc_lo, 0, v3
	s_and_b32 s40, vcc_lo, exec_lo
	s_delay_alu instid0(SALU_CYCLE_1)
	s_or_b32 s38, s38, s40
	s_or_b32 exec_lo, exec_lo, s39
	v_mov_b32_e32 v5, 0
	s_and_saveexec_b32 s39, s38
	s_cbranch_execnz .LBB134_1442
	s_branch .LBB134_1443
.LBB134_2786:
	s_mov_b32 s20, -1
	s_mov_b32 s22, 0
.LBB134_2787:
                                        ; implicit-def: $vgpr10
.LBB134_2788:
	s_and_b32 vcc_lo, exec_lo, s23
	s_cbranch_vccz .LBB134_2792
; %bb.2789:
	s_cmp_eq_u32 s15, 44
	s_cbranch_scc0 .LBB134_2791
; %bb.2790:
	s_wait_loadcnt 0x0
	global_load_u8 v1, v[14:15], off
	s_mov_b32 s20, 0
	s_mov_b32 s22, -1
	s_wait_loadcnt 0x0
	v_lshlrev_b32_e32 v3, 23, v1
	v_cmp_ne_u32_e32 vcc_lo, 0, v1
	s_delay_alu instid0(VALU_DEP_2) | instskip(SKIP_1) | instid1(VALU_DEP_1)
	v_cvt_i32_f32_e32 v3, v3
	s_wait_xcnt 0x1
	v_cndmask_b32_e32 v10, 0, v3, vcc_lo
	s_branch .LBB134_2792
.LBB134_2791:
	s_mov_b32 s20, -1
                                        ; implicit-def: $vgpr10
.LBB134_2792:
	s_mov_b32 s23, 0
.LBB134_2793:
	s_delay_alu instid0(SALU_CYCLE_1)
	s_and_b32 vcc_lo, exec_lo, s23
	s_cbranch_vccz .LBB134_2797
; %bb.2794:
	s_cmp_eq_u32 s15, 29
	s_cbranch_scc0 .LBB134_2796
; %bb.2795:
	global_load_b64 v[10:11], v[14:15], off
	s_mov_b32 s20, 0
	s_mov_b32 s22, -1
	s_branch .LBB134_2797
.LBB134_2796:
	s_mov_b32 s20, -1
                                        ; implicit-def: $vgpr10
.LBB134_2797:
	s_mov_b32 s23, 0
.LBB134_2798:
	s_delay_alu instid0(SALU_CYCLE_1)
	s_and_b32 vcc_lo, exec_lo, s23
	s_cbranch_vccz .LBB134_2814
; %bb.2799:
	s_cmp_lt_i32 s15, 27
	s_cbranch_scc1 .LBB134_2802
; %bb.2800:
	s_cmp_gt_i32 s15, 27
	s_cbranch_scc0 .LBB134_2803
; %bb.2801:
	s_wait_loadcnt 0x0
	global_load_b32 v10, v[14:15], off
	s_mov_b32 s22, 0
	s_branch .LBB134_2804
.LBB134_2802:
	s_mov_b32 s22, -1
                                        ; implicit-def: $vgpr10
	s_branch .LBB134_2807
.LBB134_2803:
	s_mov_b32 s22, -1
                                        ; implicit-def: $vgpr10
.LBB134_2804:
	s_delay_alu instid0(SALU_CYCLE_1)
	s_and_not1_b32 vcc_lo, exec_lo, s22
	s_cbranch_vccnz .LBB134_2806
; %bb.2805:
	s_wait_loadcnt 0x0
	global_load_u16 v10, v[14:15], off
.LBB134_2806:
	s_mov_b32 s22, 0
.LBB134_2807:
	s_delay_alu instid0(SALU_CYCLE_1)
	s_and_not1_b32 vcc_lo, exec_lo, s22
	s_cbranch_vccnz .LBB134_2813
; %bb.2808:
	s_wait_loadcnt 0x0
	global_load_u8 v1, v[14:15], off
	s_mov_b32 s23, 0
	s_mov_b32 s22, exec_lo
	s_wait_loadcnt 0x0
	v_cmpx_lt_i16_e32 0x7f, v1
	s_xor_b32 s22, exec_lo, s22
	s_cbranch_execz .LBB134_2825
; %bb.2809:
	v_cmp_ne_u16_e32 vcc_lo, 0x80, v1
	s_and_b32 s23, vcc_lo, exec_lo
	s_and_not1_saveexec_b32 s22, s22
	s_cbranch_execnz .LBB134_2826
.LBB134_2810:
	s_or_b32 exec_lo, exec_lo, s22
	v_mov_b32_e32 v10, 0
	s_and_saveexec_b32 s22, s23
	s_cbranch_execz .LBB134_2812
.LBB134_2811:
	v_and_b32_e32 v3, 0xffff, v1
	s_delay_alu instid0(VALU_DEP_1) | instskip(SKIP_1) | instid1(VALU_DEP_2)
	v_dual_lshlrev_b32 v1, 24, v1 :: v_dual_bitop2_b32 v5, 7, v3 bitop3:0x40
	v_bfe_u32 v10, v3, 3, 4
	v_and_b32_e32 v1, 0x80000000, v1
	s_delay_alu instid0(VALU_DEP_3) | instskip(NEXT) | instid1(VALU_DEP_3)
	v_clz_i32_u32_e32 v7, v5
	v_cmp_eq_u32_e32 vcc_lo, 0, v10
	s_delay_alu instid0(VALU_DEP_2) | instskip(NEXT) | instid1(VALU_DEP_1)
	v_min_u32_e32 v7, 32, v7
	v_subrev_nc_u32_e32 v9, 28, v7
	v_sub_nc_u32_e32 v7, 29, v7
	s_delay_alu instid0(VALU_DEP_2) | instskip(NEXT) | instid1(VALU_DEP_2)
	v_lshlrev_b32_e32 v3, v9, v3
	v_cndmask_b32_e32 v7, v10, v7, vcc_lo
	s_delay_alu instid0(VALU_DEP_2) | instskip(NEXT) | instid1(VALU_DEP_1)
	v_and_b32_e32 v3, 7, v3
	v_cndmask_b32_e32 v3, v5, v3, vcc_lo
	s_delay_alu instid0(VALU_DEP_3) | instskip(NEXT) | instid1(VALU_DEP_2)
	v_lshl_add_u32 v5, v7, 23, 0x3b800000
	v_lshlrev_b32_e32 v3, 20, v3
	s_delay_alu instid0(VALU_DEP_1) | instskip(NEXT) | instid1(VALU_DEP_1)
	v_or3_b32 v1, v1, v5, v3
	v_cvt_i32_f32_e32 v10, v1
.LBB134_2812:
	s_or_b32 exec_lo, exec_lo, s22
.LBB134_2813:
	s_mov_b32 s22, -1
.LBB134_2814:
	s_mov_b32 s23, 0
.LBB134_2815:
	s_delay_alu instid0(SALU_CYCLE_1)
	s_and_b32 vcc_lo, exec_lo, s23
	s_cbranch_vccz .LBB134_2846
; %bb.2816:
	s_cmp_gt_i32 s15, 22
	s_cbranch_scc0 .LBB134_2824
; %bb.2817:
	s_cmp_lt_i32 s15, 24
	s_cbranch_scc1 .LBB134_2827
; %bb.2818:
	s_cmp_gt_i32 s15, 24
	s_cbranch_scc0 .LBB134_2828
; %bb.2819:
	s_wait_loadcnt 0x0
	global_load_u8 v1, v[14:15], off
	s_mov_b32 s22, 0
	s_mov_b32 s21, exec_lo
	s_wait_loadcnt 0x0
	v_cmpx_lt_i16_e32 0x7f, v1
	s_xor_b32 s21, exec_lo, s21
	s_cbranch_execz .LBB134_2840
; %bb.2820:
	v_cmp_ne_u16_e32 vcc_lo, 0x80, v1
	s_and_b32 s22, vcc_lo, exec_lo
	s_and_not1_saveexec_b32 s21, s21
	s_cbranch_execnz .LBB134_2841
.LBB134_2821:
	s_or_b32 exec_lo, exec_lo, s21
	v_mov_b32_e32 v10, 0
	s_and_saveexec_b32 s21, s22
	s_cbranch_execz .LBB134_2823
.LBB134_2822:
	v_and_b32_e32 v3, 0xffff, v1
	s_delay_alu instid0(VALU_DEP_1) | instskip(SKIP_1) | instid1(VALU_DEP_2)
	v_dual_lshlrev_b32 v1, 24, v1 :: v_dual_bitop2_b32 v5, 3, v3 bitop3:0x40
	v_bfe_u32 v10, v3, 2, 5
	v_and_b32_e32 v1, 0x80000000, v1
	s_delay_alu instid0(VALU_DEP_3) | instskip(NEXT) | instid1(VALU_DEP_3)
	v_clz_i32_u32_e32 v7, v5
	v_cmp_eq_u32_e32 vcc_lo, 0, v10
	s_delay_alu instid0(VALU_DEP_2) | instskip(NEXT) | instid1(VALU_DEP_1)
	v_min_u32_e32 v7, 32, v7
	v_subrev_nc_u32_e32 v9, 29, v7
	v_sub_nc_u32_e32 v7, 30, v7
	s_delay_alu instid0(VALU_DEP_2) | instskip(NEXT) | instid1(VALU_DEP_2)
	v_lshlrev_b32_e32 v3, v9, v3
	v_cndmask_b32_e32 v7, v10, v7, vcc_lo
	s_delay_alu instid0(VALU_DEP_2) | instskip(NEXT) | instid1(VALU_DEP_1)
	v_and_b32_e32 v3, 3, v3
	v_cndmask_b32_e32 v3, v5, v3, vcc_lo
	s_delay_alu instid0(VALU_DEP_3) | instskip(NEXT) | instid1(VALU_DEP_2)
	v_lshl_add_u32 v5, v7, 23, 0x37800000
	v_lshlrev_b32_e32 v3, 21, v3
	s_delay_alu instid0(VALU_DEP_1) | instskip(NEXT) | instid1(VALU_DEP_1)
	v_or3_b32 v1, v1, v5, v3
	v_cvt_i32_f32_e32 v10, v1
.LBB134_2823:
	s_or_b32 exec_lo, exec_lo, s21
	s_mov_b32 s21, 0
	s_branch .LBB134_2829
.LBB134_2824:
	s_mov_b32 s21, -1
                                        ; implicit-def: $vgpr10
	s_branch .LBB134_2835
.LBB134_2825:
	s_and_not1_saveexec_b32 s22, s22
	s_cbranch_execz .LBB134_2810
.LBB134_2826:
	v_cmp_ne_u16_e32 vcc_lo, 0, v1
	s_and_not1_b32 s23, s23, exec_lo
	s_and_b32 s24, vcc_lo, exec_lo
	s_delay_alu instid0(SALU_CYCLE_1)
	s_or_b32 s23, s23, s24
	s_or_b32 exec_lo, exec_lo, s22
	v_mov_b32_e32 v10, 0
	s_and_saveexec_b32 s22, s23
	s_cbranch_execnz .LBB134_2811
	s_branch .LBB134_2812
.LBB134_2827:
	s_mov_b32 s21, -1
                                        ; implicit-def: $vgpr10
	s_branch .LBB134_2832
.LBB134_2828:
	s_mov_b32 s21, -1
                                        ; implicit-def: $vgpr10
.LBB134_2829:
	s_delay_alu instid0(SALU_CYCLE_1)
	s_and_b32 vcc_lo, exec_lo, s21
	s_cbranch_vccz .LBB134_2831
; %bb.2830:
	s_wait_loadcnt 0x0
	global_load_u8 v1, v[14:15], off
	s_wait_loadcnt 0x0
	v_lshlrev_b32_e32 v1, 24, v1
	s_delay_alu instid0(VALU_DEP_1) | instskip(NEXT) | instid1(VALU_DEP_1)
	v_and_b32_e32 v3, 0x7f000000, v1
	v_clz_i32_u32_e32 v5, v3
	v_add_nc_u32_e32 v9, 0x1000000, v3
	v_cmp_ne_u32_e32 vcc_lo, 0, v3
	s_delay_alu instid0(VALU_DEP_3) | instskip(NEXT) | instid1(VALU_DEP_1)
	v_min_u32_e32 v5, 32, v5
	v_sub_nc_u32_e64 v5, v5, 4 clamp
	s_delay_alu instid0(VALU_DEP_1) | instskip(NEXT) | instid1(VALU_DEP_1)
	v_dual_lshlrev_b32 v7, v5, v3 :: v_dual_lshlrev_b32 v5, 23, v5
	v_lshrrev_b32_e32 v7, 4, v7
	s_delay_alu instid0(VALU_DEP_1) | instskip(SKIP_1) | instid1(VALU_DEP_2)
	v_sub_nc_u32_e32 v5, v7, v5
	v_ashrrev_i32_e32 v7, 8, v9
	v_add_nc_u32_e32 v5, 0x3c000000, v5
	s_delay_alu instid0(VALU_DEP_1) | instskip(NEXT) | instid1(VALU_DEP_1)
	v_and_or_b32 v5, 0x7f800000, v7, v5
	v_cndmask_b32_e32 v3, 0, v5, vcc_lo
	s_delay_alu instid0(VALU_DEP_1) | instskip(SKIP_1) | instid1(VALU_DEP_1)
	v_and_or_b32 v1, 0x80000000, v1, v3
	s_wait_xcnt 0x1
	v_cvt_i32_f32_e32 v10, v1
.LBB134_2831:
	s_mov_b32 s21, 0
.LBB134_2832:
	s_delay_alu instid0(SALU_CYCLE_1)
	s_and_not1_b32 vcc_lo, exec_lo, s21
	s_cbranch_vccnz .LBB134_2834
; %bb.2833:
	s_wait_loadcnt 0x0
	global_load_u8 v1, v[14:15], off
	s_wait_loadcnt 0x0
	v_lshlrev_b32_e32 v3, 25, v1
	v_lshlrev_b16 v1, 8, v1
	s_delay_alu instid0(VALU_DEP_1) | instskip(SKIP_1) | instid1(VALU_DEP_2)
	v_and_or_b32 v7, 0x7f00, v1, 0.5
	v_bfe_i32 v1, v1, 0, 16
	v_add_f32_e32 v7, -0.5, v7
	v_lshrrev_b32_e32 v5, 4, v3
	v_cmp_gt_u32_e32 vcc_lo, 0x8000000, v3
	s_delay_alu instid0(VALU_DEP_2) | instskip(NEXT) | instid1(VALU_DEP_1)
	v_or_b32_e32 v5, 0x70000000, v5
	v_mul_f32_e32 v5, 0x7800000, v5
	s_delay_alu instid0(VALU_DEP_1) | instskip(NEXT) | instid1(VALU_DEP_1)
	v_cndmask_b32_e32 v3, v5, v7, vcc_lo
	v_and_or_b32 v1, 0x80000000, v1, v3
	s_wait_xcnt 0x1
	s_delay_alu instid0(VALU_DEP_1)
	v_cvt_i32_f32_e32 v10, v1
.LBB134_2834:
	s_mov_b32 s21, 0
	s_mov_b32 s22, -1
.LBB134_2835:
	s_and_not1_b32 vcc_lo, exec_lo, s21
	s_mov_b32 s21, 0
	s_cbranch_vccnz .LBB134_2846
; %bb.2836:
	s_cmp_gt_i32 s15, 14
	s_cbranch_scc0 .LBB134_2839
; %bb.2837:
	s_cmp_eq_u32 s15, 15
	s_cbranch_scc0 .LBB134_2842
; %bb.2838:
	s_wait_loadcnt 0x0
	global_load_u16 v1, v[14:15], off
	s_mov_b32 s20, 0
	s_mov_b32 s22, -1
	s_wait_loadcnt 0x0
	v_lshlrev_b32_e32 v1, 16, v1
	s_wait_xcnt 0x1
	s_delay_alu instid0(VALU_DEP_1)
	v_cvt_i32_f32_e32 v10, v1
	s_branch .LBB134_2844
.LBB134_2839:
	s_mov_b32 s21, -1
	s_branch .LBB134_2843
.LBB134_2840:
	s_and_not1_saveexec_b32 s21, s21
	s_cbranch_execz .LBB134_2821
.LBB134_2841:
	v_cmp_ne_u16_e32 vcc_lo, 0, v1
	s_and_not1_b32 s22, s22, exec_lo
	s_and_b32 s23, vcc_lo, exec_lo
	s_delay_alu instid0(SALU_CYCLE_1)
	s_or_b32 s22, s22, s23
	s_or_b32 exec_lo, exec_lo, s21
	v_mov_b32_e32 v10, 0
	s_and_saveexec_b32 s21, s22
	s_cbranch_execnz .LBB134_2822
	s_branch .LBB134_2823
.LBB134_2842:
	s_mov_b32 s20, -1
.LBB134_2843:
                                        ; implicit-def: $vgpr10
.LBB134_2844:
	s_and_b32 vcc_lo, exec_lo, s21
	s_mov_b32 s21, 0
	s_cbranch_vccz .LBB134_2846
; %bb.2845:
	s_cmp_lg_u32 s15, 11
	s_mov_b32 s21, -1
	s_cselect_b32 s20, -1, 0
.LBB134_2846:
	s_delay_alu instid0(SALU_CYCLE_1)
	s_and_b32 vcc_lo, exec_lo, s20
	s_cbranch_vccnz .LBB134_2911
; %bb.2847:
	s_and_not1_b32 vcc_lo, exec_lo, s21
	s_cbranch_vccnz .LBB134_2849
.LBB134_2848:
	s_wait_loadcnt 0x0
	global_load_u8 v1, v[14:15], off
	s_mov_b32 s22, -1
	s_wait_loadcnt 0x0
	v_cmp_ne_u16_e32 vcc_lo, 0, v1
	s_wait_xcnt 0x1
	v_cndmask_b32_e64 v10, 0, 1, vcc_lo
.LBB134_2849:
	s_mov_b32 s15, 0
.LBB134_2850:
	s_delay_alu instid0(SALU_CYCLE_1)
	s_and_b32 vcc_lo, exec_lo, s15
	s_cbranch_vccz .LBB134_2899
; %bb.2851:
	s_and_b32 s15, 0xffff, s17
	s_delay_alu instid0(SALU_CYCLE_1)
	s_cmp_lt_i32 s15, 5
	s_cbranch_scc1 .LBB134_2856
; %bb.2852:
	s_cmp_lt_i32 s15, 8
	s_cbranch_scc1 .LBB134_2857
; %bb.2853:
	;; [unrolled: 3-line block ×3, first 2 shown]
	s_cmp_gt_i32 s15, 9
	s_cbranch_scc0 .LBB134_2859
; %bb.2855:
	s_wait_loadcnt 0x0
	global_load_b64 v[10:11], v[14:15], off
	s_mov_b32 s20, 0
	s_wait_loadcnt 0x0
	v_cvt_i32_f64_e32 v10, v[10:11]
	s_branch .LBB134_2860
.LBB134_2856:
	s_mov_b32 s20, -1
                                        ; implicit-def: $vgpr10
	s_branch .LBB134_2878
.LBB134_2857:
	s_mov_b32 s20, -1
                                        ; implicit-def: $vgpr10
	s_branch .LBB134_2866
.LBB134_2858:
	s_mov_b32 s20, -1
                                        ; implicit-def: $vgpr10
	s_branch .LBB134_2863
.LBB134_2859:
	s_mov_b32 s20, -1
                                        ; implicit-def: $vgpr10
.LBB134_2860:
	s_delay_alu instid0(SALU_CYCLE_1)
	s_and_not1_b32 vcc_lo, exec_lo, s20
	s_cbranch_vccnz .LBB134_2862
; %bb.2861:
	s_wait_loadcnt 0x0
	global_load_b32 v1, v[14:15], off
	s_wait_loadcnt 0x0
	s_wait_xcnt 0x1
	v_cvt_i32_f32_e32 v10, v1
.LBB134_2862:
	s_mov_b32 s20, 0
.LBB134_2863:
	s_delay_alu instid0(SALU_CYCLE_1)
	s_and_not1_b32 vcc_lo, exec_lo, s20
	s_cbranch_vccnz .LBB134_2865
; %bb.2864:
	s_wait_loadcnt 0x0
	global_load_b32 v1, v[14:15], off
	s_wait_loadcnt 0x0
	s_wait_xcnt 0x1
	v_cvt_i16_f16_e32 v10, v1
.LBB134_2865:
	s_mov_b32 s20, 0
.LBB134_2866:
	s_delay_alu instid0(SALU_CYCLE_1)
	s_and_not1_b32 vcc_lo, exec_lo, s20
	s_cbranch_vccnz .LBB134_2877
; %bb.2867:
	s_cmp_lt_i32 s15, 6
	s_cbranch_scc1 .LBB134_2870
; %bb.2868:
	s_cmp_gt_i32 s15, 6
	s_cbranch_scc0 .LBB134_2871
; %bb.2869:
	s_wait_loadcnt 0x0
	global_load_b64 v[10:11], v[14:15], off
	s_mov_b32 s20, 0
	s_wait_loadcnt 0x0
	v_cvt_i32_f64_e32 v10, v[10:11]
	s_branch .LBB134_2872
.LBB134_2870:
	s_mov_b32 s20, -1
                                        ; implicit-def: $vgpr10
	s_branch .LBB134_2875
.LBB134_2871:
	s_mov_b32 s20, -1
                                        ; implicit-def: $vgpr10
.LBB134_2872:
	s_delay_alu instid0(SALU_CYCLE_1)
	s_and_not1_b32 vcc_lo, exec_lo, s20
	s_cbranch_vccnz .LBB134_2874
; %bb.2873:
	s_wait_loadcnt 0x0
	global_load_b32 v1, v[14:15], off
	s_wait_loadcnt 0x0
	s_wait_xcnt 0x1
	v_cvt_i32_f32_e32 v10, v1
.LBB134_2874:
	s_mov_b32 s20, 0
.LBB134_2875:
	s_delay_alu instid0(SALU_CYCLE_1)
	s_and_not1_b32 vcc_lo, exec_lo, s20
	s_cbranch_vccnz .LBB134_2877
; %bb.2876:
	s_wait_loadcnt 0x0
	global_load_u16 v1, v[14:15], off
	s_wait_loadcnt 0x0
	s_wait_xcnt 0x1
	v_cvt_i16_f16_e32 v10, v1
.LBB134_2877:
	s_mov_b32 s20, 0
.LBB134_2878:
	s_delay_alu instid0(SALU_CYCLE_1)
	s_and_not1_b32 vcc_lo, exec_lo, s20
	s_cbranch_vccnz .LBB134_2898
; %bb.2879:
	s_cmp_lt_i32 s15, 2
	s_cbranch_scc1 .LBB134_2883
; %bb.2880:
	s_cmp_lt_i32 s15, 3
	s_cbranch_scc1 .LBB134_2884
; %bb.2881:
	s_cmp_gt_i32 s15, 3
	s_cbranch_scc0 .LBB134_2885
; %bb.2882:
	s_wait_loadcnt 0x0
	global_load_b64 v[10:11], v[14:15], off
	s_mov_b32 s20, 0
	s_branch .LBB134_2886
.LBB134_2883:
	s_mov_b32 s20, -1
                                        ; implicit-def: $vgpr10
	s_branch .LBB134_2892
.LBB134_2884:
	s_mov_b32 s20, -1
                                        ; implicit-def: $vgpr10
	s_branch .LBB134_2889
.LBB134_2885:
	s_mov_b32 s20, -1
                                        ; implicit-def: $vgpr10
.LBB134_2886:
	s_delay_alu instid0(SALU_CYCLE_1)
	s_and_not1_b32 vcc_lo, exec_lo, s20
	s_cbranch_vccnz .LBB134_2888
; %bb.2887:
	s_wait_loadcnt 0x0
	global_load_b32 v10, v[14:15], off
.LBB134_2888:
	s_mov_b32 s20, 0
.LBB134_2889:
	s_delay_alu instid0(SALU_CYCLE_1)
	s_and_not1_b32 vcc_lo, exec_lo, s20
	s_cbranch_vccnz .LBB134_2891
; %bb.2890:
	s_wait_loadcnt 0x0
	global_load_u16 v10, v[14:15], off
.LBB134_2891:
	s_mov_b32 s20, 0
.LBB134_2892:
	s_delay_alu instid0(SALU_CYCLE_1)
	s_and_not1_b32 vcc_lo, exec_lo, s20
	s_cbranch_vccnz .LBB134_2898
; %bb.2893:
	s_cmp_gt_i32 s15, 0
	s_mov_b32 s15, 0
	s_cbranch_scc0 .LBB134_2895
; %bb.2894:
	s_wait_loadcnt 0x0
	global_load_i8 v10, v[14:15], off
	s_branch .LBB134_2896
.LBB134_2895:
	s_mov_b32 s15, -1
                                        ; implicit-def: $vgpr10
.LBB134_2896:
	s_delay_alu instid0(SALU_CYCLE_1)
	s_and_not1_b32 vcc_lo, exec_lo, s15
	s_cbranch_vccnz .LBB134_2898
; %bb.2897:
	s_wait_loadcnt 0x0
	global_load_u8 v10, v[14:15], off
.LBB134_2898:
	s_mov_b32 s22, -1
.LBB134_2899:
	s_delay_alu instid0(SALU_CYCLE_1)
	s_and_not1_b32 vcc_lo, exec_lo, s22
	s_cbranch_vccnz .LBB134_3968
; %bb.2900:
	v_add_nc_u32_e32 v22, s13, v16
	s_cmp_lt_i32 s3, 11
	s_delay_alu instid0(VALU_DEP_1) | instskip(NEXT) | instid1(VALU_DEP_1)
	v_ashrrev_i32_e32 v23, 31, v22
	v_add_nc_u64_e32 v[16:17], s[8:9], v[22:23]
	s_cbranch_scc1 .LBB134_2907
; %bb.2901:
	s_and_b32 s15, 0xffff, s3
	s_mov_b32 s21, 0
	s_cmp_gt_i32 s15, 25
	s_cbranch_scc0 .LBB134_2908
; %bb.2902:
	s_cmp_gt_i32 s15, 28
	s_cbranch_scc0 .LBB134_2909
; %bb.2903:
	;; [unrolled: 3-line block ×4, first 2 shown]
	s_cmp_eq_u32 s15, 46
	s_mov_b32 s23, 0
	s_cbranch_scc0 .LBB134_2913
; %bb.2906:
	s_wait_loadcnt 0x0
	global_load_b32 v1, v[16:17], off
	s_mov_b32 s20, 0
	s_mov_b32 s22, -1
	s_wait_loadcnt 0x0
	v_lshlrev_b32_e32 v1, 16, v1
	s_wait_xcnt 0x1
	s_delay_alu instid0(VALU_DEP_1)
	v_cvt_i32_f32_e32 v14, v1
	s_branch .LBB134_2915
.LBB134_2907:
	s_mov_b32 s15, -1
	s_mov_b32 s22, 0
                                        ; implicit-def: $vgpr14
	s_branch .LBB134_2977
.LBB134_2908:
	s_mov_b32 s23, -1
	s_mov_b32 s22, 0
	s_mov_b32 s20, 0
                                        ; implicit-def: $vgpr14
	s_branch .LBB134_2942
.LBB134_2909:
	s_mov_b32 s23, -1
	s_mov_b32 s22, 0
	s_mov_b32 s20, 0
                                        ; implicit-def: $vgpr14
	s_branch .LBB134_2925
.LBB134_2910:
	s_mov_b32 s23, -1
	s_mov_b32 s22, 0
	s_mov_b32 s20, 0
                                        ; implicit-def: $vgpr14
	s_branch .LBB134_2920
.LBB134_2911:
	s_or_b32 s16, s16, exec_lo
	s_trap 2
	s_cbranch_execz .LBB134_2848
	s_branch .LBB134_2849
.LBB134_2912:
	s_mov_b32 s23, -1
	s_mov_b32 s22, 0
	s_mov_b32 s20, 0
	s_branch .LBB134_2914
.LBB134_2913:
	s_mov_b32 s20, -1
	s_mov_b32 s22, 0
.LBB134_2914:
                                        ; implicit-def: $vgpr14
.LBB134_2915:
	s_and_b32 vcc_lo, exec_lo, s23
	s_cbranch_vccz .LBB134_2919
; %bb.2916:
	s_cmp_eq_u32 s15, 44
	s_cbranch_scc0 .LBB134_2918
; %bb.2917:
	s_wait_loadcnt 0x0
	global_load_u8 v1, v[16:17], off
	s_mov_b32 s20, 0
	s_mov_b32 s22, -1
	s_wait_loadcnt 0x0
	v_lshlrev_b32_e32 v3, 23, v1
	v_cmp_ne_u32_e32 vcc_lo, 0, v1
	s_delay_alu instid0(VALU_DEP_2) | instskip(SKIP_1) | instid1(VALU_DEP_1)
	v_cvt_i32_f32_e32 v3, v3
	s_wait_xcnt 0x1
	v_cndmask_b32_e32 v14, 0, v3, vcc_lo
	s_branch .LBB134_2919
.LBB134_2918:
	s_mov_b32 s20, -1
                                        ; implicit-def: $vgpr14
.LBB134_2919:
	s_mov_b32 s23, 0
.LBB134_2920:
	s_delay_alu instid0(SALU_CYCLE_1)
	s_and_b32 vcc_lo, exec_lo, s23
	s_cbranch_vccz .LBB134_2924
; %bb.2921:
	s_cmp_eq_u32 s15, 29
	s_cbranch_scc0 .LBB134_2923
; %bb.2922:
	global_load_b64 v[14:15], v[16:17], off
	s_mov_b32 s20, 0
	s_mov_b32 s22, -1
	s_branch .LBB134_2924
.LBB134_2923:
	s_mov_b32 s20, -1
                                        ; implicit-def: $vgpr14
.LBB134_2924:
	s_mov_b32 s23, 0
.LBB134_2925:
	s_delay_alu instid0(SALU_CYCLE_1)
	s_and_b32 vcc_lo, exec_lo, s23
	s_cbranch_vccz .LBB134_2941
; %bb.2926:
	s_cmp_lt_i32 s15, 27
	s_cbranch_scc1 .LBB134_2929
; %bb.2927:
	s_cmp_gt_i32 s15, 27
	s_cbranch_scc0 .LBB134_2930
; %bb.2928:
	s_wait_loadcnt 0x0
	global_load_b32 v14, v[16:17], off
	s_mov_b32 s22, 0
	s_branch .LBB134_2931
.LBB134_2929:
	s_mov_b32 s22, -1
                                        ; implicit-def: $vgpr14
	s_branch .LBB134_2934
.LBB134_2930:
	s_mov_b32 s22, -1
                                        ; implicit-def: $vgpr14
.LBB134_2931:
	s_delay_alu instid0(SALU_CYCLE_1)
	s_and_not1_b32 vcc_lo, exec_lo, s22
	s_cbranch_vccnz .LBB134_2933
; %bb.2932:
	s_wait_loadcnt 0x0
	global_load_u16 v14, v[16:17], off
.LBB134_2933:
	s_mov_b32 s22, 0
.LBB134_2934:
	s_delay_alu instid0(SALU_CYCLE_1)
	s_and_not1_b32 vcc_lo, exec_lo, s22
	s_cbranch_vccnz .LBB134_2940
; %bb.2935:
	s_wait_loadcnt 0x0
	global_load_u8 v1, v[16:17], off
	s_mov_b32 s23, 0
	s_mov_b32 s22, exec_lo
	s_wait_loadcnt 0x0
	v_cmpx_lt_i16_e32 0x7f, v1
	s_xor_b32 s22, exec_lo, s22
	s_cbranch_execz .LBB134_2952
; %bb.2936:
	v_cmp_ne_u16_e32 vcc_lo, 0x80, v1
	s_and_b32 s23, vcc_lo, exec_lo
	s_and_not1_saveexec_b32 s22, s22
	s_cbranch_execnz .LBB134_2953
.LBB134_2937:
	s_or_b32 exec_lo, exec_lo, s22
	v_mov_b32_e32 v14, 0
	s_and_saveexec_b32 s22, s23
	s_cbranch_execz .LBB134_2939
.LBB134_2938:
	v_and_b32_e32 v3, 0xffff, v1
	s_delay_alu instid0(VALU_DEP_1) | instskip(SKIP_1) | instid1(VALU_DEP_2)
	v_dual_lshlrev_b32 v1, 24, v1 :: v_dual_bitop2_b32 v5, 7, v3 bitop3:0x40
	v_bfe_u32 v11, v3, 3, 4
	v_and_b32_e32 v1, 0x80000000, v1
	s_delay_alu instid0(VALU_DEP_3) | instskip(NEXT) | instid1(VALU_DEP_3)
	v_clz_i32_u32_e32 v7, v5
	v_cmp_eq_u32_e32 vcc_lo, 0, v11
	s_delay_alu instid0(VALU_DEP_2) | instskip(NEXT) | instid1(VALU_DEP_1)
	v_min_u32_e32 v7, 32, v7
	v_subrev_nc_u32_e32 v9, 28, v7
	v_sub_nc_u32_e32 v7, 29, v7
	s_delay_alu instid0(VALU_DEP_2) | instskip(NEXT) | instid1(VALU_DEP_2)
	v_lshlrev_b32_e32 v3, v9, v3
	v_cndmask_b32_e32 v7, v11, v7, vcc_lo
	s_delay_alu instid0(VALU_DEP_2) | instskip(NEXT) | instid1(VALU_DEP_1)
	v_and_b32_e32 v3, 7, v3
	v_cndmask_b32_e32 v3, v5, v3, vcc_lo
	s_delay_alu instid0(VALU_DEP_3) | instskip(NEXT) | instid1(VALU_DEP_2)
	v_lshl_add_u32 v5, v7, 23, 0x3b800000
	v_lshlrev_b32_e32 v3, 20, v3
	s_delay_alu instid0(VALU_DEP_1) | instskip(NEXT) | instid1(VALU_DEP_1)
	v_or3_b32 v1, v1, v5, v3
	v_cvt_i32_f32_e32 v14, v1
.LBB134_2939:
	s_or_b32 exec_lo, exec_lo, s22
.LBB134_2940:
	s_mov_b32 s22, -1
.LBB134_2941:
	s_mov_b32 s23, 0
.LBB134_2942:
	s_delay_alu instid0(SALU_CYCLE_1)
	s_and_b32 vcc_lo, exec_lo, s23
	s_cbranch_vccz .LBB134_2973
; %bb.2943:
	s_cmp_gt_i32 s15, 22
	s_cbranch_scc0 .LBB134_2951
; %bb.2944:
	s_cmp_lt_i32 s15, 24
	s_cbranch_scc1 .LBB134_2954
; %bb.2945:
	s_cmp_gt_i32 s15, 24
	s_cbranch_scc0 .LBB134_2955
; %bb.2946:
	s_wait_loadcnt 0x0
	global_load_u8 v1, v[16:17], off
	s_mov_b32 s22, 0
	s_mov_b32 s21, exec_lo
	s_wait_loadcnt 0x0
	v_cmpx_lt_i16_e32 0x7f, v1
	s_xor_b32 s21, exec_lo, s21
	s_cbranch_execz .LBB134_2967
; %bb.2947:
	v_cmp_ne_u16_e32 vcc_lo, 0x80, v1
	s_and_b32 s22, vcc_lo, exec_lo
	s_and_not1_saveexec_b32 s21, s21
	s_cbranch_execnz .LBB134_2968
.LBB134_2948:
	s_or_b32 exec_lo, exec_lo, s21
	v_mov_b32_e32 v14, 0
	s_and_saveexec_b32 s21, s22
	s_cbranch_execz .LBB134_2950
.LBB134_2949:
	v_and_b32_e32 v3, 0xffff, v1
	s_delay_alu instid0(VALU_DEP_1) | instskip(SKIP_1) | instid1(VALU_DEP_2)
	v_dual_lshlrev_b32 v1, 24, v1 :: v_dual_bitop2_b32 v5, 3, v3 bitop3:0x40
	v_bfe_u32 v11, v3, 2, 5
	v_and_b32_e32 v1, 0x80000000, v1
	s_delay_alu instid0(VALU_DEP_3) | instskip(NEXT) | instid1(VALU_DEP_3)
	v_clz_i32_u32_e32 v7, v5
	v_cmp_eq_u32_e32 vcc_lo, 0, v11
	s_delay_alu instid0(VALU_DEP_2) | instskip(NEXT) | instid1(VALU_DEP_1)
	v_min_u32_e32 v7, 32, v7
	v_subrev_nc_u32_e32 v9, 29, v7
	v_sub_nc_u32_e32 v7, 30, v7
	s_delay_alu instid0(VALU_DEP_2) | instskip(NEXT) | instid1(VALU_DEP_2)
	v_lshlrev_b32_e32 v3, v9, v3
	v_cndmask_b32_e32 v7, v11, v7, vcc_lo
	s_delay_alu instid0(VALU_DEP_2) | instskip(NEXT) | instid1(VALU_DEP_1)
	v_and_b32_e32 v3, 3, v3
	v_cndmask_b32_e32 v3, v5, v3, vcc_lo
	s_delay_alu instid0(VALU_DEP_3) | instskip(NEXT) | instid1(VALU_DEP_2)
	v_lshl_add_u32 v5, v7, 23, 0x37800000
	v_lshlrev_b32_e32 v3, 21, v3
	s_delay_alu instid0(VALU_DEP_1) | instskip(NEXT) | instid1(VALU_DEP_1)
	v_or3_b32 v1, v1, v5, v3
	v_cvt_i32_f32_e32 v14, v1
.LBB134_2950:
	s_or_b32 exec_lo, exec_lo, s21
	s_mov_b32 s21, 0
	s_branch .LBB134_2956
.LBB134_2951:
	s_mov_b32 s21, -1
                                        ; implicit-def: $vgpr14
	s_branch .LBB134_2962
.LBB134_2952:
	s_and_not1_saveexec_b32 s22, s22
	s_cbranch_execz .LBB134_2937
.LBB134_2953:
	v_cmp_ne_u16_e32 vcc_lo, 0, v1
	s_and_not1_b32 s23, s23, exec_lo
	s_and_b32 s24, vcc_lo, exec_lo
	s_delay_alu instid0(SALU_CYCLE_1)
	s_or_b32 s23, s23, s24
	s_or_b32 exec_lo, exec_lo, s22
	v_mov_b32_e32 v14, 0
	s_and_saveexec_b32 s22, s23
	s_cbranch_execnz .LBB134_2938
	s_branch .LBB134_2939
.LBB134_2954:
	s_mov_b32 s21, -1
                                        ; implicit-def: $vgpr14
	s_branch .LBB134_2959
.LBB134_2955:
	s_mov_b32 s21, -1
                                        ; implicit-def: $vgpr14
.LBB134_2956:
	s_delay_alu instid0(SALU_CYCLE_1)
	s_and_b32 vcc_lo, exec_lo, s21
	s_cbranch_vccz .LBB134_2958
; %bb.2957:
	s_wait_loadcnt 0x0
	global_load_u8 v1, v[16:17], off
	s_wait_loadcnt 0x0
	v_lshlrev_b32_e32 v1, 24, v1
	s_delay_alu instid0(VALU_DEP_1) | instskip(NEXT) | instid1(VALU_DEP_1)
	v_and_b32_e32 v3, 0x7f000000, v1
	v_clz_i32_u32_e32 v5, v3
	v_add_nc_u32_e32 v9, 0x1000000, v3
	v_cmp_ne_u32_e32 vcc_lo, 0, v3
	s_delay_alu instid0(VALU_DEP_3) | instskip(NEXT) | instid1(VALU_DEP_1)
	v_min_u32_e32 v5, 32, v5
	v_sub_nc_u32_e64 v5, v5, 4 clamp
	s_delay_alu instid0(VALU_DEP_1) | instskip(NEXT) | instid1(VALU_DEP_1)
	v_dual_lshlrev_b32 v7, v5, v3 :: v_dual_lshlrev_b32 v5, 23, v5
	v_lshrrev_b32_e32 v7, 4, v7
	s_delay_alu instid0(VALU_DEP_1) | instskip(SKIP_1) | instid1(VALU_DEP_2)
	v_sub_nc_u32_e32 v5, v7, v5
	v_ashrrev_i32_e32 v7, 8, v9
	v_add_nc_u32_e32 v5, 0x3c000000, v5
	s_delay_alu instid0(VALU_DEP_1) | instskip(NEXT) | instid1(VALU_DEP_1)
	v_and_or_b32 v5, 0x7f800000, v7, v5
	v_cndmask_b32_e32 v3, 0, v5, vcc_lo
	s_delay_alu instid0(VALU_DEP_1) | instskip(SKIP_1) | instid1(VALU_DEP_1)
	v_and_or_b32 v1, 0x80000000, v1, v3
	s_wait_xcnt 0x1
	v_cvt_i32_f32_e32 v14, v1
.LBB134_2958:
	s_mov_b32 s21, 0
.LBB134_2959:
	s_delay_alu instid0(SALU_CYCLE_1)
	s_and_not1_b32 vcc_lo, exec_lo, s21
	s_cbranch_vccnz .LBB134_2961
; %bb.2960:
	s_wait_loadcnt 0x0
	global_load_u8 v1, v[16:17], off
	s_wait_loadcnt 0x0
	v_lshlrev_b32_e32 v3, 25, v1
	v_lshlrev_b16 v1, 8, v1
	s_delay_alu instid0(VALU_DEP_1) | instskip(SKIP_1) | instid1(VALU_DEP_2)
	v_and_or_b32 v7, 0x7f00, v1, 0.5
	v_bfe_i32 v1, v1, 0, 16
	v_add_f32_e32 v7, -0.5, v7
	v_lshrrev_b32_e32 v5, 4, v3
	v_cmp_gt_u32_e32 vcc_lo, 0x8000000, v3
	s_delay_alu instid0(VALU_DEP_2) | instskip(NEXT) | instid1(VALU_DEP_1)
	v_or_b32_e32 v5, 0x70000000, v5
	v_mul_f32_e32 v5, 0x7800000, v5
	s_delay_alu instid0(VALU_DEP_1) | instskip(NEXT) | instid1(VALU_DEP_1)
	v_cndmask_b32_e32 v3, v5, v7, vcc_lo
	v_and_or_b32 v1, 0x80000000, v1, v3
	s_wait_xcnt 0x1
	s_delay_alu instid0(VALU_DEP_1)
	v_cvt_i32_f32_e32 v14, v1
.LBB134_2961:
	s_mov_b32 s21, 0
	s_mov_b32 s22, -1
.LBB134_2962:
	s_and_not1_b32 vcc_lo, exec_lo, s21
	s_mov_b32 s21, 0
	s_cbranch_vccnz .LBB134_2973
; %bb.2963:
	s_cmp_gt_i32 s15, 14
	s_cbranch_scc0 .LBB134_2966
; %bb.2964:
	s_cmp_eq_u32 s15, 15
	s_cbranch_scc0 .LBB134_2969
; %bb.2965:
	s_wait_loadcnt 0x0
	global_load_u16 v1, v[16:17], off
	s_mov_b32 s20, 0
	s_mov_b32 s22, -1
	s_wait_loadcnt 0x0
	v_lshlrev_b32_e32 v1, 16, v1
	s_wait_xcnt 0x1
	s_delay_alu instid0(VALU_DEP_1)
	v_cvt_i32_f32_e32 v14, v1
	s_branch .LBB134_2971
.LBB134_2966:
	s_mov_b32 s21, -1
	s_branch .LBB134_2970
.LBB134_2967:
	s_and_not1_saveexec_b32 s21, s21
	s_cbranch_execz .LBB134_2948
.LBB134_2968:
	v_cmp_ne_u16_e32 vcc_lo, 0, v1
	s_and_not1_b32 s22, s22, exec_lo
	s_and_b32 s23, vcc_lo, exec_lo
	s_delay_alu instid0(SALU_CYCLE_1)
	s_or_b32 s22, s22, s23
	s_or_b32 exec_lo, exec_lo, s21
	v_mov_b32_e32 v14, 0
	s_and_saveexec_b32 s21, s22
	s_cbranch_execnz .LBB134_2949
	s_branch .LBB134_2950
.LBB134_2969:
	s_mov_b32 s20, -1
.LBB134_2970:
                                        ; implicit-def: $vgpr14
.LBB134_2971:
	s_and_b32 vcc_lo, exec_lo, s21
	s_mov_b32 s21, 0
	s_cbranch_vccz .LBB134_2973
; %bb.2972:
	s_cmp_lg_u32 s15, 11
	s_mov_b32 s21, -1
	s_cselect_b32 s20, -1, 0
.LBB134_2973:
	s_delay_alu instid0(SALU_CYCLE_1)
	s_and_b32 vcc_lo, exec_lo, s20
	s_cbranch_vccnz .LBB134_3038
; %bb.2974:
	s_and_not1_b32 vcc_lo, exec_lo, s21
	s_cbranch_vccnz .LBB134_2976
.LBB134_2975:
	s_wait_loadcnt 0x0
	global_load_u8 v1, v[16:17], off
	s_mov_b32 s22, -1
	s_wait_loadcnt 0x0
	v_cmp_ne_u16_e32 vcc_lo, 0, v1
	s_wait_xcnt 0x1
	v_cndmask_b32_e64 v14, 0, 1, vcc_lo
.LBB134_2976:
	s_mov_b32 s15, 0
.LBB134_2977:
	s_delay_alu instid0(SALU_CYCLE_1)
	s_and_b32 vcc_lo, exec_lo, s15
	s_cbranch_vccz .LBB134_3026
; %bb.2978:
	s_and_b32 s15, 0xffff, s3
	s_delay_alu instid0(SALU_CYCLE_1)
	s_cmp_lt_i32 s15, 5
	s_cbranch_scc1 .LBB134_2983
; %bb.2979:
	s_cmp_lt_i32 s15, 8
	s_cbranch_scc1 .LBB134_2984
; %bb.2980:
	;; [unrolled: 3-line block ×3, first 2 shown]
	s_cmp_gt_i32 s15, 9
	s_cbranch_scc0 .LBB134_2986
; %bb.2982:
	s_wait_loadcnt 0x0
	global_load_b64 v[14:15], v[16:17], off
	s_mov_b32 s20, 0
	s_wait_loadcnt 0x0
	v_cvt_i32_f64_e32 v14, v[14:15]
	s_branch .LBB134_2987
.LBB134_2983:
	s_mov_b32 s20, -1
                                        ; implicit-def: $vgpr14
	s_branch .LBB134_3005
.LBB134_2984:
	s_mov_b32 s20, -1
                                        ; implicit-def: $vgpr14
	s_branch .LBB134_2993
.LBB134_2985:
	s_mov_b32 s20, -1
                                        ; implicit-def: $vgpr14
	s_branch .LBB134_2990
.LBB134_2986:
	s_mov_b32 s20, -1
                                        ; implicit-def: $vgpr14
.LBB134_2987:
	s_delay_alu instid0(SALU_CYCLE_1)
	s_and_not1_b32 vcc_lo, exec_lo, s20
	s_cbranch_vccnz .LBB134_2989
; %bb.2988:
	s_wait_loadcnt 0x0
	global_load_b32 v1, v[16:17], off
	s_wait_loadcnt 0x0
	s_wait_xcnt 0x1
	v_cvt_i32_f32_e32 v14, v1
.LBB134_2989:
	s_mov_b32 s20, 0
.LBB134_2990:
	s_delay_alu instid0(SALU_CYCLE_1)
	s_and_not1_b32 vcc_lo, exec_lo, s20
	s_cbranch_vccnz .LBB134_2992
; %bb.2991:
	s_wait_loadcnt 0x0
	global_load_b32 v1, v[16:17], off
	s_wait_loadcnt 0x0
	s_wait_xcnt 0x1
	v_cvt_i16_f16_e32 v14, v1
.LBB134_2992:
	s_mov_b32 s20, 0
.LBB134_2993:
	s_delay_alu instid0(SALU_CYCLE_1)
	s_and_not1_b32 vcc_lo, exec_lo, s20
	s_cbranch_vccnz .LBB134_3004
; %bb.2994:
	s_cmp_lt_i32 s15, 6
	s_cbranch_scc1 .LBB134_2997
; %bb.2995:
	s_cmp_gt_i32 s15, 6
	s_cbranch_scc0 .LBB134_2998
; %bb.2996:
	s_wait_loadcnt 0x0
	global_load_b64 v[14:15], v[16:17], off
	s_mov_b32 s20, 0
	s_wait_loadcnt 0x0
	v_cvt_i32_f64_e32 v14, v[14:15]
	s_branch .LBB134_2999
.LBB134_2997:
	s_mov_b32 s20, -1
                                        ; implicit-def: $vgpr14
	s_branch .LBB134_3002
.LBB134_2998:
	s_mov_b32 s20, -1
                                        ; implicit-def: $vgpr14
.LBB134_2999:
	s_delay_alu instid0(SALU_CYCLE_1)
	s_and_not1_b32 vcc_lo, exec_lo, s20
	s_cbranch_vccnz .LBB134_3001
; %bb.3000:
	s_wait_loadcnt 0x0
	global_load_b32 v1, v[16:17], off
	s_wait_loadcnt 0x0
	s_wait_xcnt 0x1
	v_cvt_i32_f32_e32 v14, v1
.LBB134_3001:
	s_mov_b32 s20, 0
.LBB134_3002:
	s_delay_alu instid0(SALU_CYCLE_1)
	s_and_not1_b32 vcc_lo, exec_lo, s20
	s_cbranch_vccnz .LBB134_3004
; %bb.3003:
	s_wait_loadcnt 0x0
	global_load_u16 v1, v[16:17], off
	s_wait_loadcnt 0x0
	s_wait_xcnt 0x1
	v_cvt_i16_f16_e32 v14, v1
.LBB134_3004:
	s_mov_b32 s20, 0
.LBB134_3005:
	s_delay_alu instid0(SALU_CYCLE_1)
	s_and_not1_b32 vcc_lo, exec_lo, s20
	s_cbranch_vccnz .LBB134_3025
; %bb.3006:
	s_cmp_lt_i32 s15, 2
	s_cbranch_scc1 .LBB134_3010
; %bb.3007:
	s_cmp_lt_i32 s15, 3
	s_cbranch_scc1 .LBB134_3011
; %bb.3008:
	s_cmp_gt_i32 s15, 3
	s_cbranch_scc0 .LBB134_3012
; %bb.3009:
	s_wait_loadcnt 0x0
	global_load_b64 v[14:15], v[16:17], off
	s_mov_b32 s20, 0
	s_branch .LBB134_3013
.LBB134_3010:
	s_mov_b32 s20, -1
                                        ; implicit-def: $vgpr14
	s_branch .LBB134_3019
.LBB134_3011:
	s_mov_b32 s20, -1
                                        ; implicit-def: $vgpr14
	s_branch .LBB134_3016
.LBB134_3012:
	s_mov_b32 s20, -1
                                        ; implicit-def: $vgpr14
.LBB134_3013:
	s_delay_alu instid0(SALU_CYCLE_1)
	s_and_not1_b32 vcc_lo, exec_lo, s20
	s_cbranch_vccnz .LBB134_3015
; %bb.3014:
	s_wait_loadcnt 0x0
	global_load_b32 v14, v[16:17], off
.LBB134_3015:
	s_mov_b32 s20, 0
.LBB134_3016:
	s_delay_alu instid0(SALU_CYCLE_1)
	s_and_not1_b32 vcc_lo, exec_lo, s20
	s_cbranch_vccnz .LBB134_3018
; %bb.3017:
	s_wait_loadcnt 0x0
	global_load_u16 v14, v[16:17], off
.LBB134_3018:
	s_mov_b32 s20, 0
.LBB134_3019:
	s_delay_alu instid0(SALU_CYCLE_1)
	s_and_not1_b32 vcc_lo, exec_lo, s20
	s_cbranch_vccnz .LBB134_3025
; %bb.3020:
	s_cmp_gt_i32 s15, 0
	s_mov_b32 s15, 0
	s_cbranch_scc0 .LBB134_3022
; %bb.3021:
	s_wait_loadcnt 0x0
	global_load_i8 v14, v[16:17], off
	s_branch .LBB134_3023
.LBB134_3022:
	s_mov_b32 s15, -1
                                        ; implicit-def: $vgpr14
.LBB134_3023:
	s_delay_alu instid0(SALU_CYCLE_1)
	s_and_not1_b32 vcc_lo, exec_lo, s15
	s_cbranch_vccnz .LBB134_3025
; %bb.3024:
	s_wait_loadcnt 0x0
	global_load_u8 v14, v[16:17], off
.LBB134_3025:
	s_mov_b32 s22, -1
.LBB134_3026:
	s_delay_alu instid0(SALU_CYCLE_1)
	s_and_not1_b32 vcc_lo, exec_lo, s22
	s_cbranch_vccnz .LBB134_3968
; %bb.3027:
	v_add_nc_u32_e32 v24, s14, v18
	s_cmp_lt_i32 s0, 11
	s_delay_alu instid0(VALU_DEP_1) | instskip(SKIP_1) | instid1(VALU_DEP_1)
	v_ashrrev_i32_e32 v25, 31, v24
	s_wait_xcnt 0x0
	v_add_nc_u64_e32 v[16:17], s[10:11], v[24:25]
	s_cbranch_scc1 .LBB134_3034
; %bb.3028:
	s_cmp_gt_i32 s0, 25
	s_mov_b32 s20, 0
	s_cbranch_scc0 .LBB134_3035
; %bb.3029:
	s_cmp_gt_i32 s0, 28
	s_cbranch_scc0 .LBB134_3036
; %bb.3030:
	s_cmp_gt_i32 s0, 43
	;; [unrolled: 3-line block ×3, first 2 shown]
	s_cbranch_scc0 .LBB134_3039
; %bb.3032:
	s_cmp_eq_u32 s0, 46
	s_mov_b32 s22, 0
	s_cbranch_scc0 .LBB134_3040
; %bb.3033:
	s_wait_loadcnt 0x0
	global_load_b32 v1, v[16:17], off
	s_mov_b32 s15, 0
	s_mov_b32 s21, -1
	s_wait_loadcnt 0x0
	v_lshlrev_b32_e32 v1, 16, v1
	s_delay_alu instid0(VALU_DEP_1)
	v_cvt_i32_f32_e32 v18, v1
	s_branch .LBB134_3042
.LBB134_3034:
	s_mov_b32 s15, -1
	s_mov_b32 s21, 0
                                        ; implicit-def: $vgpr18
	s_branch .LBB134_3104
.LBB134_3035:
	s_mov_b32 s22, -1
	s_mov_b32 s21, 0
	s_mov_b32 s15, 0
                                        ; implicit-def: $vgpr18
	s_branch .LBB134_3069
.LBB134_3036:
	s_mov_b32 s22, -1
	s_mov_b32 s21, 0
	s_mov_b32 s15, 0
                                        ; implicit-def: $vgpr18
	s_branch .LBB134_3052
.LBB134_3037:
	s_mov_b32 s22, -1
	s_mov_b32 s21, 0
	s_mov_b32 s15, 0
                                        ; implicit-def: $vgpr18
	s_branch .LBB134_3047
.LBB134_3038:
	s_or_b32 s16, s16, exec_lo
	s_trap 2
	s_cbranch_execz .LBB134_2975
	s_branch .LBB134_2976
.LBB134_3039:
	s_mov_b32 s22, -1
	s_mov_b32 s21, 0
	s_mov_b32 s15, 0
	s_branch .LBB134_3041
.LBB134_3040:
	s_mov_b32 s15, -1
	s_mov_b32 s21, 0
.LBB134_3041:
                                        ; implicit-def: $vgpr18
.LBB134_3042:
	s_and_b32 vcc_lo, exec_lo, s22
	s_cbranch_vccz .LBB134_3046
; %bb.3043:
	s_cmp_eq_u32 s0, 44
	s_cbranch_scc0 .LBB134_3045
; %bb.3044:
	s_wait_loadcnt 0x0
	global_load_u8 v1, v[16:17], off
	s_mov_b32 s15, 0
	s_mov_b32 s21, -1
	s_wait_loadcnt 0x0
	v_lshlrev_b32_e32 v3, 23, v1
	v_cmp_ne_u32_e32 vcc_lo, 0, v1
	s_delay_alu instid0(VALU_DEP_2) | instskip(NEXT) | instid1(VALU_DEP_1)
	v_cvt_i32_f32_e32 v3, v3
	v_cndmask_b32_e32 v18, 0, v3, vcc_lo
	s_branch .LBB134_3046
.LBB134_3045:
	s_mov_b32 s15, -1
                                        ; implicit-def: $vgpr18
.LBB134_3046:
	s_mov_b32 s22, 0
.LBB134_3047:
	s_delay_alu instid0(SALU_CYCLE_1)
	s_and_b32 vcc_lo, exec_lo, s22
	s_cbranch_vccz .LBB134_3051
; %bb.3048:
	s_cmp_eq_u32 s0, 29
	s_cbranch_scc0 .LBB134_3050
; %bb.3049:
	global_load_b64 v[18:19], v[16:17], off
	s_mov_b32 s15, 0
	s_mov_b32 s21, -1
	s_branch .LBB134_3051
.LBB134_3050:
	s_mov_b32 s15, -1
                                        ; implicit-def: $vgpr18
.LBB134_3051:
	s_mov_b32 s22, 0
.LBB134_3052:
	s_delay_alu instid0(SALU_CYCLE_1)
	s_and_b32 vcc_lo, exec_lo, s22
	s_cbranch_vccz .LBB134_3068
; %bb.3053:
	s_cmp_lt_i32 s0, 27
	s_cbranch_scc1 .LBB134_3056
; %bb.3054:
	s_cmp_gt_i32 s0, 27
	s_cbranch_scc0 .LBB134_3057
; %bb.3055:
	s_wait_loadcnt 0x0
	global_load_b32 v18, v[16:17], off
	s_mov_b32 s21, 0
	s_branch .LBB134_3058
.LBB134_3056:
	s_mov_b32 s21, -1
                                        ; implicit-def: $vgpr18
	s_branch .LBB134_3061
.LBB134_3057:
	s_mov_b32 s21, -1
                                        ; implicit-def: $vgpr18
.LBB134_3058:
	s_delay_alu instid0(SALU_CYCLE_1)
	s_and_not1_b32 vcc_lo, exec_lo, s21
	s_cbranch_vccnz .LBB134_3060
; %bb.3059:
	s_wait_loadcnt 0x0
	global_load_u16 v18, v[16:17], off
.LBB134_3060:
	s_mov_b32 s21, 0
.LBB134_3061:
	s_delay_alu instid0(SALU_CYCLE_1)
	s_and_not1_b32 vcc_lo, exec_lo, s21
	s_cbranch_vccnz .LBB134_3067
; %bb.3062:
	s_wait_loadcnt 0x0
	global_load_u8 v1, v[16:17], off
	s_mov_b32 s22, 0
	s_mov_b32 s21, exec_lo
	s_wait_loadcnt 0x0
	v_cmpx_lt_i16_e32 0x7f, v1
	s_xor_b32 s21, exec_lo, s21
	s_cbranch_execz .LBB134_3079
; %bb.3063:
	v_cmp_ne_u16_e32 vcc_lo, 0x80, v1
	s_and_b32 s22, vcc_lo, exec_lo
	s_and_not1_saveexec_b32 s21, s21
	s_cbranch_execnz .LBB134_3080
.LBB134_3064:
	s_or_b32 exec_lo, exec_lo, s21
	v_mov_b32_e32 v18, 0
	s_and_saveexec_b32 s21, s22
	s_cbranch_execz .LBB134_3066
.LBB134_3065:
	v_and_b32_e32 v3, 0xffff, v1
	s_delay_alu instid0(VALU_DEP_1) | instskip(SKIP_1) | instid1(VALU_DEP_2)
	v_dual_lshlrev_b32 v1, 24, v1 :: v_dual_bitop2_b32 v5, 7, v3 bitop3:0x40
	v_bfe_u32 v11, v3, 3, 4
	v_and_b32_e32 v1, 0x80000000, v1
	s_delay_alu instid0(VALU_DEP_3) | instskip(NEXT) | instid1(VALU_DEP_3)
	v_clz_i32_u32_e32 v7, v5
	v_cmp_eq_u32_e32 vcc_lo, 0, v11
	s_delay_alu instid0(VALU_DEP_2) | instskip(NEXT) | instid1(VALU_DEP_1)
	v_min_u32_e32 v7, 32, v7
	v_subrev_nc_u32_e32 v9, 28, v7
	v_sub_nc_u32_e32 v7, 29, v7
	s_delay_alu instid0(VALU_DEP_2) | instskip(NEXT) | instid1(VALU_DEP_2)
	v_lshlrev_b32_e32 v3, v9, v3
	v_cndmask_b32_e32 v7, v11, v7, vcc_lo
	s_delay_alu instid0(VALU_DEP_2) | instskip(NEXT) | instid1(VALU_DEP_1)
	v_and_b32_e32 v3, 7, v3
	v_cndmask_b32_e32 v3, v5, v3, vcc_lo
	s_delay_alu instid0(VALU_DEP_3) | instskip(NEXT) | instid1(VALU_DEP_2)
	v_lshl_add_u32 v5, v7, 23, 0x3b800000
	v_lshlrev_b32_e32 v3, 20, v3
	s_delay_alu instid0(VALU_DEP_1) | instskip(NEXT) | instid1(VALU_DEP_1)
	v_or3_b32 v1, v1, v5, v3
	v_cvt_i32_f32_e32 v18, v1
.LBB134_3066:
	s_or_b32 exec_lo, exec_lo, s21
.LBB134_3067:
	s_mov_b32 s21, -1
.LBB134_3068:
	s_mov_b32 s22, 0
.LBB134_3069:
	s_delay_alu instid0(SALU_CYCLE_1)
	s_and_b32 vcc_lo, exec_lo, s22
	s_cbranch_vccz .LBB134_3100
; %bb.3070:
	s_cmp_gt_i32 s0, 22
	s_cbranch_scc0 .LBB134_3078
; %bb.3071:
	s_cmp_lt_i32 s0, 24
	s_cbranch_scc1 .LBB134_3081
; %bb.3072:
	s_cmp_gt_i32 s0, 24
	s_cbranch_scc0 .LBB134_3082
; %bb.3073:
	s_wait_loadcnt 0x0
	global_load_u8 v1, v[16:17], off
	s_mov_b32 s21, 0
	s_mov_b32 s20, exec_lo
	s_wait_loadcnt 0x0
	v_cmpx_lt_i16_e32 0x7f, v1
	s_xor_b32 s20, exec_lo, s20
	s_cbranch_execz .LBB134_3094
; %bb.3074:
	v_cmp_ne_u16_e32 vcc_lo, 0x80, v1
	s_and_b32 s21, vcc_lo, exec_lo
	s_and_not1_saveexec_b32 s20, s20
	s_cbranch_execnz .LBB134_3095
.LBB134_3075:
	s_or_b32 exec_lo, exec_lo, s20
	v_mov_b32_e32 v18, 0
	s_and_saveexec_b32 s20, s21
	s_cbranch_execz .LBB134_3077
.LBB134_3076:
	v_and_b32_e32 v3, 0xffff, v1
	s_delay_alu instid0(VALU_DEP_1) | instskip(SKIP_1) | instid1(VALU_DEP_2)
	v_dual_lshlrev_b32 v1, 24, v1 :: v_dual_bitop2_b32 v5, 3, v3 bitop3:0x40
	v_bfe_u32 v11, v3, 2, 5
	v_and_b32_e32 v1, 0x80000000, v1
	s_delay_alu instid0(VALU_DEP_3) | instskip(NEXT) | instid1(VALU_DEP_3)
	v_clz_i32_u32_e32 v7, v5
	v_cmp_eq_u32_e32 vcc_lo, 0, v11
	s_delay_alu instid0(VALU_DEP_2) | instskip(NEXT) | instid1(VALU_DEP_1)
	v_min_u32_e32 v7, 32, v7
	v_subrev_nc_u32_e32 v9, 29, v7
	v_sub_nc_u32_e32 v7, 30, v7
	s_delay_alu instid0(VALU_DEP_2) | instskip(NEXT) | instid1(VALU_DEP_2)
	v_lshlrev_b32_e32 v3, v9, v3
	v_cndmask_b32_e32 v7, v11, v7, vcc_lo
	s_delay_alu instid0(VALU_DEP_2) | instskip(NEXT) | instid1(VALU_DEP_1)
	v_and_b32_e32 v3, 3, v3
	v_cndmask_b32_e32 v3, v5, v3, vcc_lo
	s_delay_alu instid0(VALU_DEP_3) | instskip(NEXT) | instid1(VALU_DEP_2)
	v_lshl_add_u32 v5, v7, 23, 0x37800000
	v_lshlrev_b32_e32 v3, 21, v3
	s_delay_alu instid0(VALU_DEP_1) | instskip(NEXT) | instid1(VALU_DEP_1)
	v_or3_b32 v1, v1, v5, v3
	v_cvt_i32_f32_e32 v18, v1
.LBB134_3077:
	s_or_b32 exec_lo, exec_lo, s20
	s_mov_b32 s20, 0
	s_branch .LBB134_3083
.LBB134_3078:
	s_mov_b32 s20, -1
                                        ; implicit-def: $vgpr18
	s_branch .LBB134_3089
.LBB134_3079:
	s_and_not1_saveexec_b32 s21, s21
	s_cbranch_execz .LBB134_3064
.LBB134_3080:
	v_cmp_ne_u16_e32 vcc_lo, 0, v1
	s_and_not1_b32 s22, s22, exec_lo
	s_and_b32 s23, vcc_lo, exec_lo
	s_delay_alu instid0(SALU_CYCLE_1)
	s_or_b32 s22, s22, s23
	s_or_b32 exec_lo, exec_lo, s21
	v_mov_b32_e32 v18, 0
	s_and_saveexec_b32 s21, s22
	s_cbranch_execnz .LBB134_3065
	s_branch .LBB134_3066
.LBB134_3081:
	s_mov_b32 s20, -1
                                        ; implicit-def: $vgpr18
	s_branch .LBB134_3086
.LBB134_3082:
	s_mov_b32 s20, -1
                                        ; implicit-def: $vgpr18
.LBB134_3083:
	s_delay_alu instid0(SALU_CYCLE_1)
	s_and_b32 vcc_lo, exec_lo, s20
	s_cbranch_vccz .LBB134_3085
; %bb.3084:
	s_wait_loadcnt 0x0
	global_load_u8 v1, v[16:17], off
	s_wait_loadcnt 0x0
	v_lshlrev_b32_e32 v1, 24, v1
	s_delay_alu instid0(VALU_DEP_1) | instskip(NEXT) | instid1(VALU_DEP_1)
	v_and_b32_e32 v3, 0x7f000000, v1
	v_clz_i32_u32_e32 v5, v3
	v_add_nc_u32_e32 v9, 0x1000000, v3
	v_cmp_ne_u32_e32 vcc_lo, 0, v3
	s_delay_alu instid0(VALU_DEP_3) | instskip(NEXT) | instid1(VALU_DEP_1)
	v_min_u32_e32 v5, 32, v5
	v_sub_nc_u32_e64 v5, v5, 4 clamp
	s_delay_alu instid0(VALU_DEP_1) | instskip(NEXT) | instid1(VALU_DEP_1)
	v_dual_lshlrev_b32 v7, v5, v3 :: v_dual_lshlrev_b32 v5, 23, v5
	v_lshrrev_b32_e32 v7, 4, v7
	s_delay_alu instid0(VALU_DEP_1) | instskip(SKIP_1) | instid1(VALU_DEP_2)
	v_sub_nc_u32_e32 v5, v7, v5
	v_ashrrev_i32_e32 v7, 8, v9
	v_add_nc_u32_e32 v5, 0x3c000000, v5
	s_delay_alu instid0(VALU_DEP_1) | instskip(NEXT) | instid1(VALU_DEP_1)
	v_and_or_b32 v5, 0x7f800000, v7, v5
	v_cndmask_b32_e32 v3, 0, v5, vcc_lo
	s_delay_alu instid0(VALU_DEP_1) | instskip(NEXT) | instid1(VALU_DEP_1)
	v_and_or_b32 v1, 0x80000000, v1, v3
	v_cvt_i32_f32_e32 v18, v1
.LBB134_3085:
	s_mov_b32 s20, 0
.LBB134_3086:
	s_delay_alu instid0(SALU_CYCLE_1)
	s_and_not1_b32 vcc_lo, exec_lo, s20
	s_cbranch_vccnz .LBB134_3088
; %bb.3087:
	s_wait_loadcnt 0x0
	global_load_u8 v1, v[16:17], off
	s_wait_loadcnt 0x0
	v_lshlrev_b32_e32 v3, 25, v1
	v_lshlrev_b16 v1, 8, v1
	s_delay_alu instid0(VALU_DEP_1) | instskip(SKIP_1) | instid1(VALU_DEP_2)
	v_and_or_b32 v7, 0x7f00, v1, 0.5
	v_bfe_i32 v1, v1, 0, 16
	v_add_f32_e32 v7, -0.5, v7
	v_lshrrev_b32_e32 v5, 4, v3
	v_cmp_gt_u32_e32 vcc_lo, 0x8000000, v3
	s_delay_alu instid0(VALU_DEP_2) | instskip(NEXT) | instid1(VALU_DEP_1)
	v_or_b32_e32 v5, 0x70000000, v5
	v_mul_f32_e32 v5, 0x7800000, v5
	s_delay_alu instid0(VALU_DEP_1) | instskip(NEXT) | instid1(VALU_DEP_1)
	v_cndmask_b32_e32 v3, v5, v7, vcc_lo
	v_and_or_b32 v1, 0x80000000, v1, v3
	s_delay_alu instid0(VALU_DEP_1)
	v_cvt_i32_f32_e32 v18, v1
.LBB134_3088:
	s_mov_b32 s20, 0
	s_mov_b32 s21, -1
.LBB134_3089:
	s_and_not1_b32 vcc_lo, exec_lo, s20
	s_mov_b32 s20, 0
	s_cbranch_vccnz .LBB134_3100
; %bb.3090:
	s_cmp_gt_i32 s0, 14
	s_cbranch_scc0 .LBB134_3093
; %bb.3091:
	s_cmp_eq_u32 s0, 15
	s_cbranch_scc0 .LBB134_3096
; %bb.3092:
	s_wait_loadcnt 0x0
	global_load_u16 v1, v[16:17], off
	s_mov_b32 s15, 0
	s_mov_b32 s21, -1
	s_wait_loadcnt 0x0
	v_lshlrev_b32_e32 v1, 16, v1
	s_delay_alu instid0(VALU_DEP_1)
	v_cvt_i32_f32_e32 v18, v1
	s_branch .LBB134_3098
.LBB134_3093:
	s_mov_b32 s20, -1
	s_branch .LBB134_3097
.LBB134_3094:
	s_and_not1_saveexec_b32 s20, s20
	s_cbranch_execz .LBB134_3075
.LBB134_3095:
	v_cmp_ne_u16_e32 vcc_lo, 0, v1
	s_and_not1_b32 s21, s21, exec_lo
	s_and_b32 s22, vcc_lo, exec_lo
	s_delay_alu instid0(SALU_CYCLE_1)
	s_or_b32 s21, s21, s22
	s_or_b32 exec_lo, exec_lo, s20
	v_mov_b32_e32 v18, 0
	s_and_saveexec_b32 s20, s21
	s_cbranch_execnz .LBB134_3076
	s_branch .LBB134_3077
.LBB134_3096:
	s_mov_b32 s15, -1
.LBB134_3097:
                                        ; implicit-def: $vgpr18
.LBB134_3098:
	s_and_b32 vcc_lo, exec_lo, s20
	s_mov_b32 s20, 0
	s_cbranch_vccz .LBB134_3100
; %bb.3099:
	s_cmp_lg_u32 s0, 11
	s_mov_b32 s20, -1
	s_cselect_b32 s15, -1, 0
.LBB134_3100:
	s_delay_alu instid0(SALU_CYCLE_1)
	s_and_b32 vcc_lo, exec_lo, s15
	s_cbranch_vccnz .LBB134_3165
; %bb.3101:
	s_and_not1_b32 vcc_lo, exec_lo, s20
	s_cbranch_vccnz .LBB134_3103
.LBB134_3102:
	s_wait_loadcnt 0x0
	global_load_u8 v1, v[16:17], off
	s_mov_b32 s21, -1
	s_wait_loadcnt 0x0
	v_cmp_ne_u16_e32 vcc_lo, 0, v1
	v_cndmask_b32_e64 v18, 0, 1, vcc_lo
.LBB134_3103:
	s_mov_b32 s15, 0
.LBB134_3104:
	s_delay_alu instid0(SALU_CYCLE_1)
	s_and_b32 vcc_lo, exec_lo, s15
	s_cbranch_vccz .LBB134_3153
; %bb.3105:
	s_cmp_lt_i32 s0, 5
	s_cbranch_scc1 .LBB134_3110
; %bb.3106:
	s_cmp_lt_i32 s0, 8
	s_cbranch_scc1 .LBB134_3111
	;; [unrolled: 3-line block ×3, first 2 shown]
; %bb.3108:
	s_cmp_gt_i32 s0, 9
	s_cbranch_scc0 .LBB134_3113
; %bb.3109:
	s_wait_loadcnt 0x0
	global_load_b64 v[18:19], v[16:17], off
	s_mov_b32 s15, 0
	s_wait_loadcnt 0x0
	v_cvt_i32_f64_e32 v18, v[18:19]
	s_branch .LBB134_3114
.LBB134_3110:
	s_mov_b32 s15, -1
                                        ; implicit-def: $vgpr18
	s_branch .LBB134_3132
.LBB134_3111:
	s_mov_b32 s15, -1
                                        ; implicit-def: $vgpr18
	s_branch .LBB134_3120
.LBB134_3112:
	s_mov_b32 s15, -1
                                        ; implicit-def: $vgpr18
	s_branch .LBB134_3117
.LBB134_3113:
	s_mov_b32 s15, -1
                                        ; implicit-def: $vgpr18
.LBB134_3114:
	s_delay_alu instid0(SALU_CYCLE_1)
	s_and_not1_b32 vcc_lo, exec_lo, s15
	s_cbranch_vccnz .LBB134_3116
; %bb.3115:
	s_wait_loadcnt 0x0
	global_load_b32 v1, v[16:17], off
	s_wait_loadcnt 0x0
	v_cvt_i32_f32_e32 v18, v1
.LBB134_3116:
	s_mov_b32 s15, 0
.LBB134_3117:
	s_delay_alu instid0(SALU_CYCLE_1)
	s_and_not1_b32 vcc_lo, exec_lo, s15
	s_cbranch_vccnz .LBB134_3119
; %bb.3118:
	s_wait_loadcnt 0x0
	global_load_b32 v1, v[16:17], off
	s_wait_loadcnt 0x0
	v_cvt_i16_f16_e32 v18, v1
.LBB134_3119:
	s_mov_b32 s15, 0
.LBB134_3120:
	s_delay_alu instid0(SALU_CYCLE_1)
	s_and_not1_b32 vcc_lo, exec_lo, s15
	s_cbranch_vccnz .LBB134_3131
; %bb.3121:
	s_cmp_lt_i32 s0, 6
	s_cbranch_scc1 .LBB134_3124
; %bb.3122:
	s_cmp_gt_i32 s0, 6
	s_cbranch_scc0 .LBB134_3125
; %bb.3123:
	s_wait_loadcnt 0x0
	global_load_b64 v[18:19], v[16:17], off
	s_mov_b32 s15, 0
	s_wait_loadcnt 0x0
	v_cvt_i32_f64_e32 v18, v[18:19]
	s_branch .LBB134_3126
.LBB134_3124:
	s_mov_b32 s15, -1
                                        ; implicit-def: $vgpr18
	s_branch .LBB134_3129
.LBB134_3125:
	s_mov_b32 s15, -1
                                        ; implicit-def: $vgpr18
.LBB134_3126:
	s_delay_alu instid0(SALU_CYCLE_1)
	s_and_not1_b32 vcc_lo, exec_lo, s15
	s_cbranch_vccnz .LBB134_3128
; %bb.3127:
	s_wait_loadcnt 0x0
	global_load_b32 v1, v[16:17], off
	s_wait_loadcnt 0x0
	v_cvt_i32_f32_e32 v18, v1
.LBB134_3128:
	s_mov_b32 s15, 0
.LBB134_3129:
	s_delay_alu instid0(SALU_CYCLE_1)
	s_and_not1_b32 vcc_lo, exec_lo, s15
	s_cbranch_vccnz .LBB134_3131
; %bb.3130:
	s_wait_loadcnt 0x0
	global_load_u16 v1, v[16:17], off
	s_wait_loadcnt 0x0
	v_cvt_i16_f16_e32 v18, v1
.LBB134_3131:
	s_mov_b32 s15, 0
.LBB134_3132:
	s_delay_alu instid0(SALU_CYCLE_1)
	s_and_not1_b32 vcc_lo, exec_lo, s15
	s_cbranch_vccnz .LBB134_3152
; %bb.3133:
	s_cmp_lt_i32 s0, 2
	s_cbranch_scc1 .LBB134_3137
; %bb.3134:
	s_cmp_lt_i32 s0, 3
	s_cbranch_scc1 .LBB134_3138
; %bb.3135:
	s_cmp_gt_i32 s0, 3
	s_cbranch_scc0 .LBB134_3139
; %bb.3136:
	s_wait_loadcnt 0x0
	global_load_b64 v[18:19], v[16:17], off
	s_mov_b32 s15, 0
	s_branch .LBB134_3140
.LBB134_3137:
	s_mov_b32 s15, -1
                                        ; implicit-def: $vgpr18
	s_branch .LBB134_3146
.LBB134_3138:
	s_mov_b32 s15, -1
                                        ; implicit-def: $vgpr18
	s_branch .LBB134_3143
.LBB134_3139:
	s_mov_b32 s15, -1
                                        ; implicit-def: $vgpr18
.LBB134_3140:
	s_delay_alu instid0(SALU_CYCLE_1)
	s_and_not1_b32 vcc_lo, exec_lo, s15
	s_cbranch_vccnz .LBB134_3142
; %bb.3141:
	s_wait_loadcnt 0x0
	global_load_b32 v18, v[16:17], off
.LBB134_3142:
	s_mov_b32 s15, 0
.LBB134_3143:
	s_delay_alu instid0(SALU_CYCLE_1)
	s_and_not1_b32 vcc_lo, exec_lo, s15
	s_cbranch_vccnz .LBB134_3145
; %bb.3144:
	s_wait_loadcnt 0x0
	global_load_u16 v18, v[16:17], off
.LBB134_3145:
	s_mov_b32 s15, 0
.LBB134_3146:
	s_delay_alu instid0(SALU_CYCLE_1)
	s_and_not1_b32 vcc_lo, exec_lo, s15
	s_cbranch_vccnz .LBB134_3152
; %bb.3147:
	s_cmp_gt_i32 s0, 0
	s_mov_b32 s15, 0
	s_cbranch_scc0 .LBB134_3149
; %bb.3148:
	s_wait_loadcnt 0x0
	global_load_i8 v18, v[16:17], off
	s_branch .LBB134_3150
.LBB134_3149:
	s_mov_b32 s15, -1
                                        ; implicit-def: $vgpr18
.LBB134_3150:
	s_delay_alu instid0(SALU_CYCLE_1)
	s_and_not1_b32 vcc_lo, exec_lo, s15
	s_cbranch_vccnz .LBB134_3152
; %bb.3151:
	s_wait_loadcnt 0x0
	global_load_u8 v18, v[16:17], off
.LBB134_3152:
	s_mov_b32 s21, -1
.LBB134_3153:
	s_delay_alu instid0(SALU_CYCLE_1)
	s_and_not1_b32 vcc_lo, exec_lo, s21
	s_cbranch_vccnz .LBB134_3968
; %bb.3154:
	s_wait_xcnt 0x0
	v_add_nc_u32_e32 v16, s1, v20
	s_cmp_lt_i32 s17, 11
	s_delay_alu instid0(VALU_DEP_1) | instskip(NEXT) | instid1(VALU_DEP_1)
	v_ashrrev_i32_e32 v17, 31, v16
	v_add_nc_u64_e32 v[20:21], s[6:7], v[16:17]
	s_cbranch_scc1 .LBB134_3161
; %bb.3155:
	s_and_b32 s1, 0xffff, s17
	s_mov_b32 s7, 0
	s_cmp_gt_i32 s1, 25
	s_cbranch_scc0 .LBB134_3162
; %bb.3156:
	s_cmp_gt_i32 s1, 28
	s_cbranch_scc0 .LBB134_3163
; %bb.3157:
	;; [unrolled: 3-line block ×4, first 2 shown]
	s_cmp_eq_u32 s1, 46
	s_mov_b32 s20, 0
	s_cbranch_scc0 .LBB134_3167
; %bb.3160:
	s_wait_loadcnt 0x0
	global_load_b32 v1, v[20:21], off
	s_mov_b32 s6, 0
	s_mov_b32 s15, -1
	s_wait_loadcnt 0x0
	v_lshlrev_b32_e32 v1, 16, v1
	s_delay_alu instid0(VALU_DEP_1)
	v_cvt_i32_f32_e32 v16, v1
	s_branch .LBB134_3169
.LBB134_3161:
	s_mov_b32 s1, -1
	s_mov_b32 s15, 0
                                        ; implicit-def: $vgpr16
	s_branch .LBB134_3231
.LBB134_3162:
	s_mov_b32 s20, -1
	s_mov_b32 s15, 0
	s_mov_b32 s6, 0
                                        ; implicit-def: $vgpr16
	s_branch .LBB134_3196
.LBB134_3163:
	s_mov_b32 s20, -1
	s_mov_b32 s15, 0
	s_mov_b32 s6, 0
                                        ; implicit-def: $vgpr16
	s_branch .LBB134_3179
.LBB134_3164:
	s_mov_b32 s20, -1
	s_mov_b32 s15, 0
	s_mov_b32 s6, 0
                                        ; implicit-def: $vgpr16
	s_branch .LBB134_3174
.LBB134_3165:
	s_or_b32 s16, s16, exec_lo
	s_trap 2
	s_cbranch_execz .LBB134_3102
	s_branch .LBB134_3103
.LBB134_3166:
	s_mov_b32 s20, -1
	s_mov_b32 s15, 0
	s_mov_b32 s6, 0
	s_branch .LBB134_3168
.LBB134_3167:
	s_mov_b32 s6, -1
	s_mov_b32 s15, 0
.LBB134_3168:
                                        ; implicit-def: $vgpr16
.LBB134_3169:
	s_and_b32 vcc_lo, exec_lo, s20
	s_cbranch_vccz .LBB134_3173
; %bb.3170:
	s_cmp_eq_u32 s1, 44
	s_cbranch_scc0 .LBB134_3172
; %bb.3171:
	s_wait_loadcnt 0x0
	global_load_u8 v1, v[20:21], off
	s_mov_b32 s6, 0
	s_mov_b32 s15, -1
	s_wait_loadcnt 0x0
	v_lshlrev_b32_e32 v3, 23, v1
	v_cmp_ne_u32_e32 vcc_lo, 0, v1
	s_delay_alu instid0(VALU_DEP_2) | instskip(NEXT) | instid1(VALU_DEP_1)
	v_cvt_i32_f32_e32 v3, v3
	v_cndmask_b32_e32 v16, 0, v3, vcc_lo
	s_branch .LBB134_3173
.LBB134_3172:
	s_mov_b32 s6, -1
                                        ; implicit-def: $vgpr16
.LBB134_3173:
	s_mov_b32 s20, 0
.LBB134_3174:
	s_delay_alu instid0(SALU_CYCLE_1)
	s_and_b32 vcc_lo, exec_lo, s20
	s_cbranch_vccz .LBB134_3178
; %bb.3175:
	s_cmp_eq_u32 s1, 29
	s_cbranch_scc0 .LBB134_3177
; %bb.3176:
	global_load_b64 v[16:17], v[20:21], off
	s_mov_b32 s6, 0
	s_mov_b32 s15, -1
	s_branch .LBB134_3178
.LBB134_3177:
	s_mov_b32 s6, -1
                                        ; implicit-def: $vgpr16
.LBB134_3178:
	s_mov_b32 s20, 0
.LBB134_3179:
	s_delay_alu instid0(SALU_CYCLE_1)
	s_and_b32 vcc_lo, exec_lo, s20
	s_cbranch_vccz .LBB134_3195
; %bb.3180:
	s_cmp_lt_i32 s1, 27
	s_cbranch_scc1 .LBB134_3183
; %bb.3181:
	s_cmp_gt_i32 s1, 27
	s_cbranch_scc0 .LBB134_3184
; %bb.3182:
	s_wait_loadcnt 0x0
	global_load_b32 v16, v[20:21], off
	s_mov_b32 s15, 0
	s_branch .LBB134_3185
.LBB134_3183:
	s_mov_b32 s15, -1
                                        ; implicit-def: $vgpr16
	s_branch .LBB134_3188
.LBB134_3184:
	s_mov_b32 s15, -1
                                        ; implicit-def: $vgpr16
.LBB134_3185:
	s_delay_alu instid0(SALU_CYCLE_1)
	s_and_not1_b32 vcc_lo, exec_lo, s15
	s_cbranch_vccnz .LBB134_3187
; %bb.3186:
	s_wait_loadcnt 0x0
	global_load_u16 v16, v[20:21], off
.LBB134_3187:
	s_mov_b32 s15, 0
.LBB134_3188:
	s_delay_alu instid0(SALU_CYCLE_1)
	s_and_not1_b32 vcc_lo, exec_lo, s15
	s_cbranch_vccnz .LBB134_3194
; %bb.3189:
	s_wait_loadcnt 0x0
	global_load_u8 v1, v[20:21], off
	s_mov_b32 s20, 0
	s_mov_b32 s15, exec_lo
	s_wait_loadcnt 0x0
	v_cmpx_lt_i16_e32 0x7f, v1
	s_xor_b32 s15, exec_lo, s15
	s_cbranch_execz .LBB134_3206
; %bb.3190:
	v_cmp_ne_u16_e32 vcc_lo, 0x80, v1
	s_and_b32 s20, vcc_lo, exec_lo
	s_and_not1_saveexec_b32 s15, s15
	s_cbranch_execnz .LBB134_3207
.LBB134_3191:
	s_or_b32 exec_lo, exec_lo, s15
	v_mov_b32_e32 v16, 0
	s_and_saveexec_b32 s15, s20
	s_cbranch_execz .LBB134_3193
.LBB134_3192:
	v_and_b32_e32 v3, 0xffff, v1
	s_delay_alu instid0(VALU_DEP_1) | instskip(SKIP_1) | instid1(VALU_DEP_2)
	v_dual_lshlrev_b32 v1, 24, v1 :: v_dual_bitop2_b32 v5, 7, v3 bitop3:0x40
	v_bfe_u32 v11, v3, 3, 4
	v_and_b32_e32 v1, 0x80000000, v1
	s_delay_alu instid0(VALU_DEP_3) | instskip(NEXT) | instid1(VALU_DEP_3)
	v_clz_i32_u32_e32 v7, v5
	v_cmp_eq_u32_e32 vcc_lo, 0, v11
	s_delay_alu instid0(VALU_DEP_2) | instskip(NEXT) | instid1(VALU_DEP_1)
	v_min_u32_e32 v7, 32, v7
	v_subrev_nc_u32_e32 v9, 28, v7
	v_sub_nc_u32_e32 v7, 29, v7
	s_delay_alu instid0(VALU_DEP_2) | instskip(NEXT) | instid1(VALU_DEP_2)
	v_lshlrev_b32_e32 v3, v9, v3
	v_cndmask_b32_e32 v7, v11, v7, vcc_lo
	s_delay_alu instid0(VALU_DEP_2) | instskip(NEXT) | instid1(VALU_DEP_1)
	v_and_b32_e32 v3, 7, v3
	v_cndmask_b32_e32 v3, v5, v3, vcc_lo
	s_delay_alu instid0(VALU_DEP_3) | instskip(NEXT) | instid1(VALU_DEP_2)
	v_lshl_add_u32 v5, v7, 23, 0x3b800000
	v_lshlrev_b32_e32 v3, 20, v3
	s_delay_alu instid0(VALU_DEP_1) | instskip(NEXT) | instid1(VALU_DEP_1)
	v_or3_b32 v1, v1, v5, v3
	v_cvt_i32_f32_e32 v16, v1
.LBB134_3193:
	s_or_b32 exec_lo, exec_lo, s15
.LBB134_3194:
	s_mov_b32 s15, -1
.LBB134_3195:
	s_mov_b32 s20, 0
.LBB134_3196:
	s_delay_alu instid0(SALU_CYCLE_1)
	s_and_b32 vcc_lo, exec_lo, s20
	s_cbranch_vccz .LBB134_3227
; %bb.3197:
	s_cmp_gt_i32 s1, 22
	s_cbranch_scc0 .LBB134_3205
; %bb.3198:
	s_cmp_lt_i32 s1, 24
	s_cbranch_scc1 .LBB134_3208
; %bb.3199:
	s_cmp_gt_i32 s1, 24
	s_cbranch_scc0 .LBB134_3209
; %bb.3200:
	s_wait_loadcnt 0x0
	global_load_u8 v1, v[20:21], off
	s_mov_b32 s15, 0
	s_mov_b32 s7, exec_lo
	s_wait_loadcnt 0x0
	v_cmpx_lt_i16_e32 0x7f, v1
	s_xor_b32 s7, exec_lo, s7
	s_cbranch_execz .LBB134_3221
; %bb.3201:
	v_cmp_ne_u16_e32 vcc_lo, 0x80, v1
	s_and_b32 s15, vcc_lo, exec_lo
	s_and_not1_saveexec_b32 s7, s7
	s_cbranch_execnz .LBB134_3222
.LBB134_3202:
	s_or_b32 exec_lo, exec_lo, s7
	v_mov_b32_e32 v16, 0
	s_and_saveexec_b32 s7, s15
	s_cbranch_execz .LBB134_3204
.LBB134_3203:
	v_and_b32_e32 v3, 0xffff, v1
	s_delay_alu instid0(VALU_DEP_1) | instskip(SKIP_1) | instid1(VALU_DEP_2)
	v_dual_lshlrev_b32 v1, 24, v1 :: v_dual_bitop2_b32 v5, 3, v3 bitop3:0x40
	v_bfe_u32 v11, v3, 2, 5
	v_and_b32_e32 v1, 0x80000000, v1
	s_delay_alu instid0(VALU_DEP_3) | instskip(NEXT) | instid1(VALU_DEP_3)
	v_clz_i32_u32_e32 v7, v5
	v_cmp_eq_u32_e32 vcc_lo, 0, v11
	s_delay_alu instid0(VALU_DEP_2) | instskip(NEXT) | instid1(VALU_DEP_1)
	v_min_u32_e32 v7, 32, v7
	v_subrev_nc_u32_e32 v9, 29, v7
	v_sub_nc_u32_e32 v7, 30, v7
	s_delay_alu instid0(VALU_DEP_2) | instskip(NEXT) | instid1(VALU_DEP_2)
	v_lshlrev_b32_e32 v3, v9, v3
	v_cndmask_b32_e32 v7, v11, v7, vcc_lo
	s_delay_alu instid0(VALU_DEP_2) | instskip(NEXT) | instid1(VALU_DEP_1)
	v_and_b32_e32 v3, 3, v3
	v_cndmask_b32_e32 v3, v5, v3, vcc_lo
	s_delay_alu instid0(VALU_DEP_3) | instskip(NEXT) | instid1(VALU_DEP_2)
	v_lshl_add_u32 v5, v7, 23, 0x37800000
	v_lshlrev_b32_e32 v3, 21, v3
	s_delay_alu instid0(VALU_DEP_1) | instskip(NEXT) | instid1(VALU_DEP_1)
	v_or3_b32 v1, v1, v5, v3
	v_cvt_i32_f32_e32 v16, v1
.LBB134_3204:
	s_or_b32 exec_lo, exec_lo, s7
	s_mov_b32 s7, 0
	s_branch .LBB134_3210
.LBB134_3205:
	s_mov_b32 s7, -1
                                        ; implicit-def: $vgpr16
	s_branch .LBB134_3216
.LBB134_3206:
	s_and_not1_saveexec_b32 s15, s15
	s_cbranch_execz .LBB134_3191
.LBB134_3207:
	v_cmp_ne_u16_e32 vcc_lo, 0, v1
	s_and_not1_b32 s20, s20, exec_lo
	s_and_b32 s21, vcc_lo, exec_lo
	s_delay_alu instid0(SALU_CYCLE_1)
	s_or_b32 s20, s20, s21
	s_or_b32 exec_lo, exec_lo, s15
	v_mov_b32_e32 v16, 0
	s_and_saveexec_b32 s15, s20
	s_cbranch_execnz .LBB134_3192
	s_branch .LBB134_3193
.LBB134_3208:
	s_mov_b32 s7, -1
                                        ; implicit-def: $vgpr16
	s_branch .LBB134_3213
.LBB134_3209:
	s_mov_b32 s7, -1
                                        ; implicit-def: $vgpr16
.LBB134_3210:
	s_delay_alu instid0(SALU_CYCLE_1)
	s_and_b32 vcc_lo, exec_lo, s7
	s_cbranch_vccz .LBB134_3212
; %bb.3211:
	s_wait_loadcnt 0x0
	global_load_u8 v1, v[20:21], off
	s_wait_loadcnt 0x0
	v_lshlrev_b32_e32 v1, 24, v1
	s_delay_alu instid0(VALU_DEP_1) | instskip(NEXT) | instid1(VALU_DEP_1)
	v_and_b32_e32 v3, 0x7f000000, v1
	v_clz_i32_u32_e32 v5, v3
	v_add_nc_u32_e32 v9, 0x1000000, v3
	v_cmp_ne_u32_e32 vcc_lo, 0, v3
	s_delay_alu instid0(VALU_DEP_3) | instskip(NEXT) | instid1(VALU_DEP_1)
	v_min_u32_e32 v5, 32, v5
	v_sub_nc_u32_e64 v5, v5, 4 clamp
	s_delay_alu instid0(VALU_DEP_1) | instskip(NEXT) | instid1(VALU_DEP_1)
	v_dual_lshlrev_b32 v7, v5, v3 :: v_dual_lshlrev_b32 v5, 23, v5
	v_lshrrev_b32_e32 v7, 4, v7
	s_delay_alu instid0(VALU_DEP_1) | instskip(SKIP_1) | instid1(VALU_DEP_2)
	v_sub_nc_u32_e32 v5, v7, v5
	v_ashrrev_i32_e32 v7, 8, v9
	v_add_nc_u32_e32 v5, 0x3c000000, v5
	s_delay_alu instid0(VALU_DEP_1) | instskip(NEXT) | instid1(VALU_DEP_1)
	v_and_or_b32 v5, 0x7f800000, v7, v5
	v_cndmask_b32_e32 v3, 0, v5, vcc_lo
	s_delay_alu instid0(VALU_DEP_1) | instskip(NEXT) | instid1(VALU_DEP_1)
	v_and_or_b32 v1, 0x80000000, v1, v3
	v_cvt_i32_f32_e32 v16, v1
.LBB134_3212:
	s_mov_b32 s7, 0
.LBB134_3213:
	s_delay_alu instid0(SALU_CYCLE_1)
	s_and_not1_b32 vcc_lo, exec_lo, s7
	s_cbranch_vccnz .LBB134_3215
; %bb.3214:
	s_wait_loadcnt 0x0
	global_load_u8 v1, v[20:21], off
	s_wait_loadcnt 0x0
	v_lshlrev_b32_e32 v3, 25, v1
	v_lshlrev_b16 v1, 8, v1
	s_delay_alu instid0(VALU_DEP_1) | instskip(SKIP_1) | instid1(VALU_DEP_2)
	v_and_or_b32 v7, 0x7f00, v1, 0.5
	v_bfe_i32 v1, v1, 0, 16
	v_add_f32_e32 v7, -0.5, v7
	v_lshrrev_b32_e32 v5, 4, v3
	v_cmp_gt_u32_e32 vcc_lo, 0x8000000, v3
	s_delay_alu instid0(VALU_DEP_2) | instskip(NEXT) | instid1(VALU_DEP_1)
	v_or_b32_e32 v5, 0x70000000, v5
	v_mul_f32_e32 v5, 0x7800000, v5
	s_delay_alu instid0(VALU_DEP_1) | instskip(NEXT) | instid1(VALU_DEP_1)
	v_cndmask_b32_e32 v3, v5, v7, vcc_lo
	v_and_or_b32 v1, 0x80000000, v1, v3
	s_delay_alu instid0(VALU_DEP_1)
	v_cvt_i32_f32_e32 v16, v1
.LBB134_3215:
	s_mov_b32 s7, 0
	s_mov_b32 s15, -1
.LBB134_3216:
	s_and_not1_b32 vcc_lo, exec_lo, s7
	s_mov_b32 s7, 0
	s_cbranch_vccnz .LBB134_3227
; %bb.3217:
	s_cmp_gt_i32 s1, 14
	s_cbranch_scc0 .LBB134_3220
; %bb.3218:
	s_cmp_eq_u32 s1, 15
	s_cbranch_scc0 .LBB134_3223
; %bb.3219:
	s_wait_loadcnt 0x0
	global_load_u16 v1, v[20:21], off
	s_mov_b32 s6, 0
	s_mov_b32 s15, -1
	s_wait_loadcnt 0x0
	v_lshlrev_b32_e32 v1, 16, v1
	s_delay_alu instid0(VALU_DEP_1)
	v_cvt_i32_f32_e32 v16, v1
	s_branch .LBB134_3225
.LBB134_3220:
	s_mov_b32 s7, -1
	s_branch .LBB134_3224
.LBB134_3221:
	s_and_not1_saveexec_b32 s7, s7
	s_cbranch_execz .LBB134_3202
.LBB134_3222:
	v_cmp_ne_u16_e32 vcc_lo, 0, v1
	s_and_not1_b32 s15, s15, exec_lo
	s_and_b32 s20, vcc_lo, exec_lo
	s_delay_alu instid0(SALU_CYCLE_1)
	s_or_b32 s15, s15, s20
	s_or_b32 exec_lo, exec_lo, s7
	v_mov_b32_e32 v16, 0
	s_and_saveexec_b32 s7, s15
	s_cbranch_execnz .LBB134_3203
	s_branch .LBB134_3204
.LBB134_3223:
	s_mov_b32 s6, -1
.LBB134_3224:
                                        ; implicit-def: $vgpr16
.LBB134_3225:
	s_and_b32 vcc_lo, exec_lo, s7
	s_mov_b32 s7, 0
	s_cbranch_vccz .LBB134_3227
; %bb.3226:
	s_cmp_lg_u32 s1, 11
	s_mov_b32 s7, -1
	s_cselect_b32 s6, -1, 0
.LBB134_3227:
	s_delay_alu instid0(SALU_CYCLE_1)
	s_and_b32 vcc_lo, exec_lo, s6
	s_cbranch_vccnz .LBB134_3292
; %bb.3228:
	s_and_not1_b32 vcc_lo, exec_lo, s7
	s_cbranch_vccnz .LBB134_3230
.LBB134_3229:
	s_wait_loadcnt 0x0
	global_load_u8 v1, v[20:21], off
	s_mov_b32 s15, -1
	s_wait_loadcnt 0x0
	v_cmp_ne_u16_e32 vcc_lo, 0, v1
	v_cndmask_b32_e64 v16, 0, 1, vcc_lo
.LBB134_3230:
	s_mov_b32 s1, 0
.LBB134_3231:
	s_delay_alu instid0(SALU_CYCLE_1)
	s_and_b32 vcc_lo, exec_lo, s1
	s_cbranch_vccz .LBB134_3280
; %bb.3232:
	s_and_b32 s1, 0xffff, s17
	s_delay_alu instid0(SALU_CYCLE_1)
	s_cmp_lt_i32 s1, 5
	s_cbranch_scc1 .LBB134_3237
; %bb.3233:
	s_cmp_lt_i32 s1, 8
	s_cbranch_scc1 .LBB134_3238
; %bb.3234:
	;; [unrolled: 3-line block ×3, first 2 shown]
	s_cmp_gt_i32 s1, 9
	s_cbranch_scc0 .LBB134_3240
; %bb.3236:
	s_wait_loadcnt 0x0
	global_load_b64 v[16:17], v[20:21], off
	s_mov_b32 s6, 0
	s_wait_loadcnt 0x0
	v_cvt_i32_f64_e32 v16, v[16:17]
	s_branch .LBB134_3241
.LBB134_3237:
	s_mov_b32 s6, -1
                                        ; implicit-def: $vgpr16
	s_branch .LBB134_3259
.LBB134_3238:
	s_mov_b32 s6, -1
                                        ; implicit-def: $vgpr16
	s_branch .LBB134_3247
.LBB134_3239:
	s_mov_b32 s6, -1
                                        ; implicit-def: $vgpr16
	s_branch .LBB134_3244
.LBB134_3240:
	s_mov_b32 s6, -1
                                        ; implicit-def: $vgpr16
.LBB134_3241:
	s_delay_alu instid0(SALU_CYCLE_1)
	s_and_not1_b32 vcc_lo, exec_lo, s6
	s_cbranch_vccnz .LBB134_3243
; %bb.3242:
	s_wait_loadcnt 0x0
	global_load_b32 v1, v[20:21], off
	s_wait_loadcnt 0x0
	v_cvt_i32_f32_e32 v16, v1
.LBB134_3243:
	s_mov_b32 s6, 0
.LBB134_3244:
	s_delay_alu instid0(SALU_CYCLE_1)
	s_and_not1_b32 vcc_lo, exec_lo, s6
	s_cbranch_vccnz .LBB134_3246
; %bb.3245:
	s_wait_loadcnt 0x0
	global_load_b32 v1, v[20:21], off
	s_wait_loadcnt 0x0
	v_cvt_i16_f16_e32 v16, v1
.LBB134_3246:
	s_mov_b32 s6, 0
.LBB134_3247:
	s_delay_alu instid0(SALU_CYCLE_1)
	s_and_not1_b32 vcc_lo, exec_lo, s6
	s_cbranch_vccnz .LBB134_3258
; %bb.3248:
	s_cmp_lt_i32 s1, 6
	s_cbranch_scc1 .LBB134_3251
; %bb.3249:
	s_cmp_gt_i32 s1, 6
	s_cbranch_scc0 .LBB134_3252
; %bb.3250:
	s_wait_loadcnt 0x0
	global_load_b64 v[16:17], v[20:21], off
	s_mov_b32 s6, 0
	s_wait_loadcnt 0x0
	v_cvt_i32_f64_e32 v16, v[16:17]
	s_branch .LBB134_3253
.LBB134_3251:
	s_mov_b32 s6, -1
                                        ; implicit-def: $vgpr16
	s_branch .LBB134_3256
.LBB134_3252:
	s_mov_b32 s6, -1
                                        ; implicit-def: $vgpr16
.LBB134_3253:
	s_delay_alu instid0(SALU_CYCLE_1)
	s_and_not1_b32 vcc_lo, exec_lo, s6
	s_cbranch_vccnz .LBB134_3255
; %bb.3254:
	s_wait_loadcnt 0x0
	global_load_b32 v1, v[20:21], off
	s_wait_loadcnt 0x0
	v_cvt_i32_f32_e32 v16, v1
.LBB134_3255:
	s_mov_b32 s6, 0
.LBB134_3256:
	s_delay_alu instid0(SALU_CYCLE_1)
	s_and_not1_b32 vcc_lo, exec_lo, s6
	s_cbranch_vccnz .LBB134_3258
; %bb.3257:
	s_wait_loadcnt 0x0
	global_load_u16 v1, v[20:21], off
	s_wait_loadcnt 0x0
	v_cvt_i16_f16_e32 v16, v1
.LBB134_3258:
	s_mov_b32 s6, 0
.LBB134_3259:
	s_delay_alu instid0(SALU_CYCLE_1)
	s_and_not1_b32 vcc_lo, exec_lo, s6
	s_cbranch_vccnz .LBB134_3279
; %bb.3260:
	s_cmp_lt_i32 s1, 2
	s_cbranch_scc1 .LBB134_3264
; %bb.3261:
	s_cmp_lt_i32 s1, 3
	s_cbranch_scc1 .LBB134_3265
; %bb.3262:
	s_cmp_gt_i32 s1, 3
	s_cbranch_scc0 .LBB134_3266
; %bb.3263:
	s_wait_loadcnt 0x0
	global_load_b64 v[16:17], v[20:21], off
	s_mov_b32 s6, 0
	s_branch .LBB134_3267
.LBB134_3264:
	s_mov_b32 s6, -1
                                        ; implicit-def: $vgpr16
	s_branch .LBB134_3273
.LBB134_3265:
	s_mov_b32 s6, -1
                                        ; implicit-def: $vgpr16
	s_branch .LBB134_3270
.LBB134_3266:
	s_mov_b32 s6, -1
                                        ; implicit-def: $vgpr16
.LBB134_3267:
	s_delay_alu instid0(SALU_CYCLE_1)
	s_and_not1_b32 vcc_lo, exec_lo, s6
	s_cbranch_vccnz .LBB134_3269
; %bb.3268:
	s_wait_loadcnt 0x0
	global_load_b32 v16, v[20:21], off
.LBB134_3269:
	s_mov_b32 s6, 0
.LBB134_3270:
	s_delay_alu instid0(SALU_CYCLE_1)
	s_and_not1_b32 vcc_lo, exec_lo, s6
	s_cbranch_vccnz .LBB134_3272
; %bb.3271:
	s_wait_loadcnt 0x0
	global_load_u16 v16, v[20:21], off
.LBB134_3272:
	s_mov_b32 s6, 0
.LBB134_3273:
	s_delay_alu instid0(SALU_CYCLE_1)
	s_and_not1_b32 vcc_lo, exec_lo, s6
	s_cbranch_vccnz .LBB134_3279
; %bb.3274:
	s_cmp_gt_i32 s1, 0
	s_mov_b32 s1, 0
	s_cbranch_scc0 .LBB134_3276
; %bb.3275:
	s_wait_loadcnt 0x0
	global_load_i8 v16, v[20:21], off
	s_branch .LBB134_3277
.LBB134_3276:
	s_mov_b32 s1, -1
                                        ; implicit-def: $vgpr16
.LBB134_3277:
	s_delay_alu instid0(SALU_CYCLE_1)
	s_and_not1_b32 vcc_lo, exec_lo, s1
	s_cbranch_vccnz .LBB134_3279
; %bb.3278:
	s_wait_loadcnt 0x0
	global_load_u8 v16, v[20:21], off
.LBB134_3279:
	s_mov_b32 s15, -1
.LBB134_3280:
	s_delay_alu instid0(SALU_CYCLE_1)
	s_and_not1_b32 vcc_lo, exec_lo, s15
	s_cbranch_vccnz .LBB134_3968
; %bb.3281:
	s_wait_xcnt 0x0
	v_add_nc_u32_e32 v20, s13, v22
	s_cmp_lt_i32 s3, 11
	s_delay_alu instid0(VALU_DEP_1) | instskip(NEXT) | instid1(VALU_DEP_1)
	v_ashrrev_i32_e32 v21, 31, v20
	v_add_nc_u64_e32 v[22:23], s[8:9], v[20:21]
	s_cbranch_scc1 .LBB134_3288
; %bb.3282:
	s_and_b32 s1, 0xffff, s3
	s_mov_b32 s7, 0
	s_cmp_gt_i32 s1, 25
	s_cbranch_scc0 .LBB134_3289
; %bb.3283:
	s_cmp_gt_i32 s1, 28
	s_cbranch_scc0 .LBB134_3290
; %bb.3284:
	;; [unrolled: 3-line block ×4, first 2 shown]
	s_cmp_eq_u32 s1, 46
	s_mov_b32 s9, 0
	s_cbranch_scc0 .LBB134_3294
; %bb.3287:
	s_wait_loadcnt 0x0
	global_load_b32 v1, v[22:23], off
	s_mov_b32 s6, 0
	s_mov_b32 s8, -1
	s_wait_loadcnt 0x0
	v_lshlrev_b32_e32 v1, 16, v1
	s_delay_alu instid0(VALU_DEP_1)
	v_cvt_i32_f32_e32 v20, v1
	s_branch .LBB134_3296
.LBB134_3288:
	s_mov_b32 s1, -1
	s_mov_b32 s8, 0
                                        ; implicit-def: $vgpr20
	s_branch .LBB134_3358
.LBB134_3289:
	s_mov_b32 s9, -1
	s_mov_b32 s8, 0
	s_mov_b32 s6, 0
                                        ; implicit-def: $vgpr20
	s_branch .LBB134_3323
.LBB134_3290:
	s_mov_b32 s9, -1
	s_mov_b32 s8, 0
	s_mov_b32 s6, 0
                                        ; implicit-def: $vgpr20
	s_branch .LBB134_3306
.LBB134_3291:
	s_mov_b32 s9, -1
	s_mov_b32 s8, 0
	s_mov_b32 s6, 0
                                        ; implicit-def: $vgpr20
	s_branch .LBB134_3301
.LBB134_3292:
	s_or_b32 s16, s16, exec_lo
	s_trap 2
	s_cbranch_execz .LBB134_3229
	s_branch .LBB134_3230
.LBB134_3293:
	s_mov_b32 s9, -1
	s_mov_b32 s8, 0
	s_mov_b32 s6, 0
	s_branch .LBB134_3295
.LBB134_3294:
	s_mov_b32 s6, -1
	s_mov_b32 s8, 0
.LBB134_3295:
                                        ; implicit-def: $vgpr20
.LBB134_3296:
	s_and_b32 vcc_lo, exec_lo, s9
	s_cbranch_vccz .LBB134_3300
; %bb.3297:
	s_cmp_eq_u32 s1, 44
	s_cbranch_scc0 .LBB134_3299
; %bb.3298:
	s_wait_loadcnt 0x0
	global_load_u8 v1, v[22:23], off
	s_mov_b32 s6, 0
	s_mov_b32 s8, -1
	s_wait_loadcnt 0x0
	v_lshlrev_b32_e32 v3, 23, v1
	v_cmp_ne_u32_e32 vcc_lo, 0, v1
	s_delay_alu instid0(VALU_DEP_2) | instskip(NEXT) | instid1(VALU_DEP_1)
	v_cvt_i32_f32_e32 v3, v3
	v_cndmask_b32_e32 v20, 0, v3, vcc_lo
	s_branch .LBB134_3300
.LBB134_3299:
	s_mov_b32 s6, -1
                                        ; implicit-def: $vgpr20
.LBB134_3300:
	s_mov_b32 s9, 0
.LBB134_3301:
	s_delay_alu instid0(SALU_CYCLE_1)
	s_and_b32 vcc_lo, exec_lo, s9
	s_cbranch_vccz .LBB134_3305
; %bb.3302:
	s_cmp_eq_u32 s1, 29
	s_cbranch_scc0 .LBB134_3304
; %bb.3303:
	global_load_b64 v[20:21], v[22:23], off
	s_mov_b32 s6, 0
	s_mov_b32 s8, -1
	s_branch .LBB134_3305
.LBB134_3304:
	s_mov_b32 s6, -1
                                        ; implicit-def: $vgpr20
.LBB134_3305:
	s_mov_b32 s9, 0
.LBB134_3306:
	s_delay_alu instid0(SALU_CYCLE_1)
	s_and_b32 vcc_lo, exec_lo, s9
	s_cbranch_vccz .LBB134_3322
; %bb.3307:
	s_cmp_lt_i32 s1, 27
	s_cbranch_scc1 .LBB134_3310
; %bb.3308:
	s_cmp_gt_i32 s1, 27
	s_cbranch_scc0 .LBB134_3311
; %bb.3309:
	s_wait_loadcnt 0x0
	global_load_b32 v20, v[22:23], off
	s_mov_b32 s8, 0
	s_branch .LBB134_3312
.LBB134_3310:
	s_mov_b32 s8, -1
                                        ; implicit-def: $vgpr20
	s_branch .LBB134_3315
.LBB134_3311:
	s_mov_b32 s8, -1
                                        ; implicit-def: $vgpr20
.LBB134_3312:
	s_delay_alu instid0(SALU_CYCLE_1)
	s_and_not1_b32 vcc_lo, exec_lo, s8
	s_cbranch_vccnz .LBB134_3314
; %bb.3313:
	s_wait_loadcnt 0x0
	global_load_u16 v20, v[22:23], off
.LBB134_3314:
	s_mov_b32 s8, 0
.LBB134_3315:
	s_delay_alu instid0(SALU_CYCLE_1)
	s_and_not1_b32 vcc_lo, exec_lo, s8
	s_cbranch_vccnz .LBB134_3321
; %bb.3316:
	s_wait_loadcnt 0x0
	global_load_u8 v1, v[22:23], off
	s_mov_b32 s9, 0
	s_mov_b32 s8, exec_lo
	s_wait_loadcnt 0x0
	v_cmpx_lt_i16_e32 0x7f, v1
	s_xor_b32 s8, exec_lo, s8
	s_cbranch_execz .LBB134_3333
; %bb.3317:
	v_cmp_ne_u16_e32 vcc_lo, 0x80, v1
	s_and_b32 s9, vcc_lo, exec_lo
	s_and_not1_saveexec_b32 s8, s8
	s_cbranch_execnz .LBB134_3334
.LBB134_3318:
	s_or_b32 exec_lo, exec_lo, s8
	v_mov_b32_e32 v20, 0
	s_and_saveexec_b32 s8, s9
	s_cbranch_execz .LBB134_3320
.LBB134_3319:
	v_and_b32_e32 v3, 0xffff, v1
	s_delay_alu instid0(VALU_DEP_1) | instskip(SKIP_1) | instid1(VALU_DEP_2)
	v_dual_lshlrev_b32 v1, 24, v1 :: v_dual_bitop2_b32 v5, 7, v3 bitop3:0x40
	v_bfe_u32 v11, v3, 3, 4
	v_and_b32_e32 v1, 0x80000000, v1
	s_delay_alu instid0(VALU_DEP_3) | instskip(NEXT) | instid1(VALU_DEP_3)
	v_clz_i32_u32_e32 v7, v5
	v_cmp_eq_u32_e32 vcc_lo, 0, v11
	s_delay_alu instid0(VALU_DEP_2) | instskip(NEXT) | instid1(VALU_DEP_1)
	v_min_u32_e32 v7, 32, v7
	v_subrev_nc_u32_e32 v9, 28, v7
	v_sub_nc_u32_e32 v7, 29, v7
	s_delay_alu instid0(VALU_DEP_2) | instskip(NEXT) | instid1(VALU_DEP_2)
	v_lshlrev_b32_e32 v3, v9, v3
	v_cndmask_b32_e32 v7, v11, v7, vcc_lo
	s_delay_alu instid0(VALU_DEP_2) | instskip(NEXT) | instid1(VALU_DEP_1)
	v_and_b32_e32 v3, 7, v3
	v_cndmask_b32_e32 v3, v5, v3, vcc_lo
	s_delay_alu instid0(VALU_DEP_3) | instskip(NEXT) | instid1(VALU_DEP_2)
	v_lshl_add_u32 v5, v7, 23, 0x3b800000
	v_lshlrev_b32_e32 v3, 20, v3
	s_delay_alu instid0(VALU_DEP_1) | instskip(NEXT) | instid1(VALU_DEP_1)
	v_or3_b32 v1, v1, v5, v3
	v_cvt_i32_f32_e32 v20, v1
.LBB134_3320:
	s_or_b32 exec_lo, exec_lo, s8
.LBB134_3321:
	s_mov_b32 s8, -1
.LBB134_3322:
	s_mov_b32 s9, 0
.LBB134_3323:
	s_delay_alu instid0(SALU_CYCLE_1)
	s_and_b32 vcc_lo, exec_lo, s9
	s_cbranch_vccz .LBB134_3354
; %bb.3324:
	s_cmp_gt_i32 s1, 22
	s_cbranch_scc0 .LBB134_3332
; %bb.3325:
	s_cmp_lt_i32 s1, 24
	s_cbranch_scc1 .LBB134_3335
; %bb.3326:
	s_cmp_gt_i32 s1, 24
	s_cbranch_scc0 .LBB134_3336
; %bb.3327:
	s_wait_loadcnt 0x0
	global_load_u8 v1, v[22:23], off
	s_mov_b32 s8, 0
	s_mov_b32 s7, exec_lo
	s_wait_loadcnt 0x0
	v_cmpx_lt_i16_e32 0x7f, v1
	s_xor_b32 s7, exec_lo, s7
	s_cbranch_execz .LBB134_3348
; %bb.3328:
	v_cmp_ne_u16_e32 vcc_lo, 0x80, v1
	s_and_b32 s8, vcc_lo, exec_lo
	s_and_not1_saveexec_b32 s7, s7
	s_cbranch_execnz .LBB134_3349
.LBB134_3329:
	s_or_b32 exec_lo, exec_lo, s7
	v_mov_b32_e32 v20, 0
	s_and_saveexec_b32 s7, s8
	s_cbranch_execz .LBB134_3331
.LBB134_3330:
	v_and_b32_e32 v3, 0xffff, v1
	s_delay_alu instid0(VALU_DEP_1) | instskip(SKIP_1) | instid1(VALU_DEP_2)
	v_dual_lshlrev_b32 v1, 24, v1 :: v_dual_bitop2_b32 v5, 3, v3 bitop3:0x40
	v_bfe_u32 v11, v3, 2, 5
	v_and_b32_e32 v1, 0x80000000, v1
	s_delay_alu instid0(VALU_DEP_3) | instskip(NEXT) | instid1(VALU_DEP_3)
	v_clz_i32_u32_e32 v7, v5
	v_cmp_eq_u32_e32 vcc_lo, 0, v11
	s_delay_alu instid0(VALU_DEP_2) | instskip(NEXT) | instid1(VALU_DEP_1)
	v_min_u32_e32 v7, 32, v7
	v_subrev_nc_u32_e32 v9, 29, v7
	v_sub_nc_u32_e32 v7, 30, v7
	s_delay_alu instid0(VALU_DEP_2) | instskip(NEXT) | instid1(VALU_DEP_2)
	v_lshlrev_b32_e32 v3, v9, v3
	v_cndmask_b32_e32 v7, v11, v7, vcc_lo
	s_delay_alu instid0(VALU_DEP_2) | instskip(NEXT) | instid1(VALU_DEP_1)
	v_and_b32_e32 v3, 3, v3
	v_cndmask_b32_e32 v3, v5, v3, vcc_lo
	s_delay_alu instid0(VALU_DEP_3) | instskip(NEXT) | instid1(VALU_DEP_2)
	v_lshl_add_u32 v5, v7, 23, 0x37800000
	v_lshlrev_b32_e32 v3, 21, v3
	s_delay_alu instid0(VALU_DEP_1) | instskip(NEXT) | instid1(VALU_DEP_1)
	v_or3_b32 v1, v1, v5, v3
	v_cvt_i32_f32_e32 v20, v1
.LBB134_3331:
	s_or_b32 exec_lo, exec_lo, s7
	s_mov_b32 s7, 0
	s_branch .LBB134_3337
.LBB134_3332:
	s_mov_b32 s7, -1
                                        ; implicit-def: $vgpr20
	s_branch .LBB134_3343
.LBB134_3333:
	s_and_not1_saveexec_b32 s8, s8
	s_cbranch_execz .LBB134_3318
.LBB134_3334:
	v_cmp_ne_u16_e32 vcc_lo, 0, v1
	s_and_not1_b32 s9, s9, exec_lo
	s_and_b32 s13, vcc_lo, exec_lo
	s_delay_alu instid0(SALU_CYCLE_1)
	s_or_b32 s9, s9, s13
	s_or_b32 exec_lo, exec_lo, s8
	v_mov_b32_e32 v20, 0
	s_and_saveexec_b32 s8, s9
	s_cbranch_execnz .LBB134_3319
	s_branch .LBB134_3320
.LBB134_3335:
	s_mov_b32 s7, -1
                                        ; implicit-def: $vgpr20
	s_branch .LBB134_3340
.LBB134_3336:
	s_mov_b32 s7, -1
                                        ; implicit-def: $vgpr20
.LBB134_3337:
	s_delay_alu instid0(SALU_CYCLE_1)
	s_and_b32 vcc_lo, exec_lo, s7
	s_cbranch_vccz .LBB134_3339
; %bb.3338:
	s_wait_loadcnt 0x0
	global_load_u8 v1, v[22:23], off
	s_wait_loadcnt 0x0
	v_lshlrev_b32_e32 v1, 24, v1
	s_delay_alu instid0(VALU_DEP_1) | instskip(NEXT) | instid1(VALU_DEP_1)
	v_and_b32_e32 v3, 0x7f000000, v1
	v_clz_i32_u32_e32 v5, v3
	v_add_nc_u32_e32 v9, 0x1000000, v3
	v_cmp_ne_u32_e32 vcc_lo, 0, v3
	s_delay_alu instid0(VALU_DEP_3) | instskip(NEXT) | instid1(VALU_DEP_1)
	v_min_u32_e32 v5, 32, v5
	v_sub_nc_u32_e64 v5, v5, 4 clamp
	s_delay_alu instid0(VALU_DEP_1) | instskip(NEXT) | instid1(VALU_DEP_1)
	v_dual_lshlrev_b32 v7, v5, v3 :: v_dual_lshlrev_b32 v5, 23, v5
	v_lshrrev_b32_e32 v7, 4, v7
	s_delay_alu instid0(VALU_DEP_1) | instskip(SKIP_1) | instid1(VALU_DEP_2)
	v_sub_nc_u32_e32 v5, v7, v5
	v_ashrrev_i32_e32 v7, 8, v9
	v_add_nc_u32_e32 v5, 0x3c000000, v5
	s_delay_alu instid0(VALU_DEP_1) | instskip(NEXT) | instid1(VALU_DEP_1)
	v_and_or_b32 v5, 0x7f800000, v7, v5
	v_cndmask_b32_e32 v3, 0, v5, vcc_lo
	s_delay_alu instid0(VALU_DEP_1) | instskip(NEXT) | instid1(VALU_DEP_1)
	v_and_or_b32 v1, 0x80000000, v1, v3
	v_cvt_i32_f32_e32 v20, v1
.LBB134_3339:
	s_mov_b32 s7, 0
.LBB134_3340:
	s_delay_alu instid0(SALU_CYCLE_1)
	s_and_not1_b32 vcc_lo, exec_lo, s7
	s_cbranch_vccnz .LBB134_3342
; %bb.3341:
	s_wait_loadcnt 0x0
	global_load_u8 v1, v[22:23], off
	s_wait_loadcnt 0x0
	v_lshlrev_b32_e32 v3, 25, v1
	v_lshlrev_b16 v1, 8, v1
	s_delay_alu instid0(VALU_DEP_1) | instskip(SKIP_1) | instid1(VALU_DEP_2)
	v_and_or_b32 v7, 0x7f00, v1, 0.5
	v_bfe_i32 v1, v1, 0, 16
	v_add_f32_e32 v7, -0.5, v7
	v_lshrrev_b32_e32 v5, 4, v3
	v_cmp_gt_u32_e32 vcc_lo, 0x8000000, v3
	s_delay_alu instid0(VALU_DEP_2) | instskip(NEXT) | instid1(VALU_DEP_1)
	v_or_b32_e32 v5, 0x70000000, v5
	v_mul_f32_e32 v5, 0x7800000, v5
	s_delay_alu instid0(VALU_DEP_1) | instskip(NEXT) | instid1(VALU_DEP_1)
	v_cndmask_b32_e32 v3, v5, v7, vcc_lo
	v_and_or_b32 v1, 0x80000000, v1, v3
	s_delay_alu instid0(VALU_DEP_1)
	v_cvt_i32_f32_e32 v20, v1
.LBB134_3342:
	s_mov_b32 s7, 0
	s_mov_b32 s8, -1
.LBB134_3343:
	s_and_not1_b32 vcc_lo, exec_lo, s7
	s_mov_b32 s7, 0
	s_cbranch_vccnz .LBB134_3354
; %bb.3344:
	s_cmp_gt_i32 s1, 14
	s_cbranch_scc0 .LBB134_3347
; %bb.3345:
	s_cmp_eq_u32 s1, 15
	s_cbranch_scc0 .LBB134_3350
; %bb.3346:
	s_wait_loadcnt 0x0
	global_load_u16 v1, v[22:23], off
	s_mov_b32 s6, 0
	s_mov_b32 s8, -1
	s_wait_loadcnt 0x0
	v_lshlrev_b32_e32 v1, 16, v1
	s_delay_alu instid0(VALU_DEP_1)
	v_cvt_i32_f32_e32 v20, v1
	s_branch .LBB134_3352
.LBB134_3347:
	s_mov_b32 s7, -1
	s_branch .LBB134_3351
.LBB134_3348:
	s_and_not1_saveexec_b32 s7, s7
	s_cbranch_execz .LBB134_3329
.LBB134_3349:
	v_cmp_ne_u16_e32 vcc_lo, 0, v1
	s_and_not1_b32 s8, s8, exec_lo
	s_and_b32 s9, vcc_lo, exec_lo
	s_delay_alu instid0(SALU_CYCLE_1)
	s_or_b32 s8, s8, s9
	s_or_b32 exec_lo, exec_lo, s7
	v_mov_b32_e32 v20, 0
	s_and_saveexec_b32 s7, s8
	s_cbranch_execnz .LBB134_3330
	s_branch .LBB134_3331
.LBB134_3350:
	s_mov_b32 s6, -1
.LBB134_3351:
                                        ; implicit-def: $vgpr20
.LBB134_3352:
	s_and_b32 vcc_lo, exec_lo, s7
	s_mov_b32 s7, 0
	s_cbranch_vccz .LBB134_3354
; %bb.3353:
	s_cmp_lg_u32 s1, 11
	s_mov_b32 s7, -1
	s_cselect_b32 s6, -1, 0
.LBB134_3354:
	s_delay_alu instid0(SALU_CYCLE_1)
	s_and_b32 vcc_lo, exec_lo, s6
	s_cbranch_vccnz .LBB134_3419
; %bb.3355:
	s_and_not1_b32 vcc_lo, exec_lo, s7
	s_cbranch_vccnz .LBB134_3357
.LBB134_3356:
	s_wait_loadcnt 0x0
	global_load_u8 v1, v[22:23], off
	s_mov_b32 s8, -1
	s_wait_loadcnt 0x0
	v_cmp_ne_u16_e32 vcc_lo, 0, v1
	v_cndmask_b32_e64 v20, 0, 1, vcc_lo
.LBB134_3357:
	s_mov_b32 s1, 0
.LBB134_3358:
	s_delay_alu instid0(SALU_CYCLE_1)
	s_and_b32 vcc_lo, exec_lo, s1
	s_cbranch_vccz .LBB134_3407
; %bb.3359:
	s_and_b32 s1, 0xffff, s3
	s_delay_alu instid0(SALU_CYCLE_1)
	s_cmp_lt_i32 s1, 5
	s_cbranch_scc1 .LBB134_3364
; %bb.3360:
	s_cmp_lt_i32 s1, 8
	s_cbranch_scc1 .LBB134_3365
; %bb.3361:
	;; [unrolled: 3-line block ×3, first 2 shown]
	s_cmp_gt_i32 s1, 9
	s_cbranch_scc0 .LBB134_3367
; %bb.3363:
	s_wait_loadcnt 0x0
	global_load_b64 v[20:21], v[22:23], off
	s_mov_b32 s3, 0
	s_wait_loadcnt 0x0
	v_cvt_i32_f64_e32 v20, v[20:21]
	s_branch .LBB134_3368
.LBB134_3364:
	s_mov_b32 s3, -1
                                        ; implicit-def: $vgpr20
	s_branch .LBB134_3386
.LBB134_3365:
	s_mov_b32 s3, -1
                                        ; implicit-def: $vgpr20
	s_branch .LBB134_3374
.LBB134_3366:
	s_mov_b32 s3, -1
                                        ; implicit-def: $vgpr20
	s_branch .LBB134_3371
.LBB134_3367:
	s_mov_b32 s3, -1
                                        ; implicit-def: $vgpr20
.LBB134_3368:
	s_delay_alu instid0(SALU_CYCLE_1)
	s_and_not1_b32 vcc_lo, exec_lo, s3
	s_cbranch_vccnz .LBB134_3370
; %bb.3369:
	s_wait_loadcnt 0x0
	global_load_b32 v1, v[22:23], off
	s_wait_loadcnt 0x0
	v_cvt_i32_f32_e32 v20, v1
.LBB134_3370:
	s_mov_b32 s3, 0
.LBB134_3371:
	s_delay_alu instid0(SALU_CYCLE_1)
	s_and_not1_b32 vcc_lo, exec_lo, s3
	s_cbranch_vccnz .LBB134_3373
; %bb.3372:
	s_wait_loadcnt 0x0
	global_load_b32 v1, v[22:23], off
	s_wait_loadcnt 0x0
	v_cvt_i16_f16_e32 v20, v1
.LBB134_3373:
	s_mov_b32 s3, 0
.LBB134_3374:
	s_delay_alu instid0(SALU_CYCLE_1)
	s_and_not1_b32 vcc_lo, exec_lo, s3
	s_cbranch_vccnz .LBB134_3385
; %bb.3375:
	s_cmp_lt_i32 s1, 6
	s_cbranch_scc1 .LBB134_3378
; %bb.3376:
	s_cmp_gt_i32 s1, 6
	s_cbranch_scc0 .LBB134_3379
; %bb.3377:
	s_wait_loadcnt 0x0
	global_load_b64 v[20:21], v[22:23], off
	s_mov_b32 s3, 0
	s_wait_loadcnt 0x0
	v_cvt_i32_f64_e32 v20, v[20:21]
	s_branch .LBB134_3380
.LBB134_3378:
	s_mov_b32 s3, -1
                                        ; implicit-def: $vgpr20
	s_branch .LBB134_3383
.LBB134_3379:
	s_mov_b32 s3, -1
                                        ; implicit-def: $vgpr20
.LBB134_3380:
	s_delay_alu instid0(SALU_CYCLE_1)
	s_and_not1_b32 vcc_lo, exec_lo, s3
	s_cbranch_vccnz .LBB134_3382
; %bb.3381:
	s_wait_loadcnt 0x0
	global_load_b32 v1, v[22:23], off
	s_wait_loadcnt 0x0
	v_cvt_i32_f32_e32 v20, v1
.LBB134_3382:
	s_mov_b32 s3, 0
.LBB134_3383:
	s_delay_alu instid0(SALU_CYCLE_1)
	s_and_not1_b32 vcc_lo, exec_lo, s3
	s_cbranch_vccnz .LBB134_3385
; %bb.3384:
	s_wait_loadcnt 0x0
	global_load_u16 v1, v[22:23], off
	s_wait_loadcnt 0x0
	v_cvt_i16_f16_e32 v20, v1
.LBB134_3385:
	s_mov_b32 s3, 0
.LBB134_3386:
	s_delay_alu instid0(SALU_CYCLE_1)
	s_and_not1_b32 vcc_lo, exec_lo, s3
	s_cbranch_vccnz .LBB134_3406
; %bb.3387:
	s_cmp_lt_i32 s1, 2
	s_cbranch_scc1 .LBB134_3391
; %bb.3388:
	s_cmp_lt_i32 s1, 3
	s_cbranch_scc1 .LBB134_3392
; %bb.3389:
	s_cmp_gt_i32 s1, 3
	s_cbranch_scc0 .LBB134_3393
; %bb.3390:
	s_wait_loadcnt 0x0
	global_load_b64 v[20:21], v[22:23], off
	s_mov_b32 s3, 0
	s_branch .LBB134_3394
.LBB134_3391:
	s_mov_b32 s3, -1
                                        ; implicit-def: $vgpr20
	s_branch .LBB134_3400
.LBB134_3392:
	s_mov_b32 s3, -1
                                        ; implicit-def: $vgpr20
	s_branch .LBB134_3397
.LBB134_3393:
	s_mov_b32 s3, -1
                                        ; implicit-def: $vgpr20
.LBB134_3394:
	s_delay_alu instid0(SALU_CYCLE_1)
	s_and_not1_b32 vcc_lo, exec_lo, s3
	s_cbranch_vccnz .LBB134_3396
; %bb.3395:
	s_wait_loadcnt 0x0
	global_load_b32 v20, v[22:23], off
.LBB134_3396:
	s_mov_b32 s3, 0
.LBB134_3397:
	s_delay_alu instid0(SALU_CYCLE_1)
	s_and_not1_b32 vcc_lo, exec_lo, s3
	s_cbranch_vccnz .LBB134_3399
; %bb.3398:
	s_wait_loadcnt 0x0
	global_load_u16 v20, v[22:23], off
.LBB134_3399:
	s_mov_b32 s3, 0
.LBB134_3400:
	s_delay_alu instid0(SALU_CYCLE_1)
	s_and_not1_b32 vcc_lo, exec_lo, s3
	s_cbranch_vccnz .LBB134_3406
; %bb.3401:
	s_cmp_gt_i32 s1, 0
	s_mov_b32 s1, 0
	s_cbranch_scc0 .LBB134_3403
; %bb.3402:
	s_wait_loadcnt 0x0
	global_load_i8 v20, v[22:23], off
	s_branch .LBB134_3404
.LBB134_3403:
	s_mov_b32 s1, -1
                                        ; implicit-def: $vgpr20
.LBB134_3404:
	s_delay_alu instid0(SALU_CYCLE_1)
	s_and_not1_b32 vcc_lo, exec_lo, s1
	s_cbranch_vccnz .LBB134_3406
; %bb.3405:
	s_wait_loadcnt 0x0
	global_load_u8 v20, v[22:23], off
.LBB134_3406:
	s_mov_b32 s8, -1
.LBB134_3407:
	s_delay_alu instid0(SALU_CYCLE_1)
	s_and_not1_b32 vcc_lo, exec_lo, s8
	s_cbranch_vccnz .LBB134_3968
; %bb.3408:
	s_wait_xcnt 0x0
	v_add_nc_u32_e32 v22, s14, v24
	s_cmp_lt_i32 s0, 11
	s_delay_alu instid0(VALU_DEP_1) | instskip(NEXT) | instid1(VALU_DEP_1)
	v_ashrrev_i32_e32 v23, 31, v22
	v_add_nc_u64_e32 v[24:25], s[10:11], v[22:23]
	s_cbranch_scc1 .LBB134_3415
; %bb.3409:
	s_cmp_gt_i32 s0, 25
	s_mov_b32 s3, 0
	s_cbranch_scc0 .LBB134_3416
; %bb.3410:
	s_cmp_gt_i32 s0, 28
	s_cbranch_scc0 .LBB134_3417
; %bb.3411:
	s_cmp_gt_i32 s0, 43
	;; [unrolled: 3-line block ×3, first 2 shown]
	s_cbranch_scc0 .LBB134_3420
; %bb.3413:
	s_cmp_eq_u32 s0, 46
	s_mov_b32 s7, 0
	s_cbranch_scc0 .LBB134_3421
; %bb.3414:
	s_wait_loadcnt 0x0
	global_load_b32 v1, v[24:25], off
	s_mov_b32 s1, 0
	s_mov_b32 s6, -1
	s_wait_loadcnt 0x0
	v_lshlrev_b32_e32 v1, 16, v1
	s_delay_alu instid0(VALU_DEP_1)
	v_cvt_i32_f32_e32 v22, v1
	s_branch .LBB134_3423
.LBB134_3415:
	s_mov_b32 s1, -1
	s_mov_b32 s6, 0
                                        ; implicit-def: $vgpr22
	s_branch .LBB134_3485
.LBB134_3416:
	s_mov_b32 s7, -1
	s_mov_b32 s6, 0
	s_mov_b32 s1, 0
                                        ; implicit-def: $vgpr22
	s_branch .LBB134_3450
.LBB134_3417:
	s_mov_b32 s7, -1
	s_mov_b32 s6, 0
	s_mov_b32 s1, 0
                                        ; implicit-def: $vgpr22
	s_branch .LBB134_3433
.LBB134_3418:
	s_mov_b32 s7, -1
	s_mov_b32 s6, 0
	s_mov_b32 s1, 0
                                        ; implicit-def: $vgpr22
	s_branch .LBB134_3428
.LBB134_3419:
	s_or_b32 s16, s16, exec_lo
	s_trap 2
	s_cbranch_execz .LBB134_3356
	s_branch .LBB134_3357
.LBB134_3420:
	s_mov_b32 s7, -1
	s_mov_b32 s6, 0
	s_mov_b32 s1, 0
	s_branch .LBB134_3422
.LBB134_3421:
	s_mov_b32 s1, -1
	s_mov_b32 s6, 0
.LBB134_3422:
                                        ; implicit-def: $vgpr22
.LBB134_3423:
	s_and_b32 vcc_lo, exec_lo, s7
	s_cbranch_vccz .LBB134_3427
; %bb.3424:
	s_cmp_eq_u32 s0, 44
	s_cbranch_scc0 .LBB134_3426
; %bb.3425:
	s_wait_loadcnt 0x0
	global_load_u8 v1, v[24:25], off
	s_mov_b32 s1, 0
	s_mov_b32 s6, -1
	s_wait_loadcnt 0x0
	v_lshlrev_b32_e32 v3, 23, v1
	v_cmp_ne_u32_e32 vcc_lo, 0, v1
	s_delay_alu instid0(VALU_DEP_2) | instskip(NEXT) | instid1(VALU_DEP_1)
	v_cvt_i32_f32_e32 v3, v3
	v_cndmask_b32_e32 v22, 0, v3, vcc_lo
	s_branch .LBB134_3427
.LBB134_3426:
	s_mov_b32 s1, -1
                                        ; implicit-def: $vgpr22
.LBB134_3427:
	s_mov_b32 s7, 0
.LBB134_3428:
	s_delay_alu instid0(SALU_CYCLE_1)
	s_and_b32 vcc_lo, exec_lo, s7
	s_cbranch_vccz .LBB134_3432
; %bb.3429:
	s_cmp_eq_u32 s0, 29
	s_cbranch_scc0 .LBB134_3431
; %bb.3430:
	global_load_b64 v[22:23], v[24:25], off
	s_mov_b32 s1, 0
	s_mov_b32 s6, -1
	s_branch .LBB134_3432
.LBB134_3431:
	s_mov_b32 s1, -1
                                        ; implicit-def: $vgpr22
.LBB134_3432:
	s_mov_b32 s7, 0
.LBB134_3433:
	s_delay_alu instid0(SALU_CYCLE_1)
	s_and_b32 vcc_lo, exec_lo, s7
	s_cbranch_vccz .LBB134_3449
; %bb.3434:
	s_cmp_lt_i32 s0, 27
	s_cbranch_scc1 .LBB134_3437
; %bb.3435:
	s_cmp_gt_i32 s0, 27
	s_cbranch_scc0 .LBB134_3438
; %bb.3436:
	s_wait_loadcnt 0x0
	global_load_b32 v22, v[24:25], off
	s_mov_b32 s6, 0
	s_branch .LBB134_3439
.LBB134_3437:
	s_mov_b32 s6, -1
                                        ; implicit-def: $vgpr22
	s_branch .LBB134_3442
.LBB134_3438:
	s_mov_b32 s6, -1
                                        ; implicit-def: $vgpr22
.LBB134_3439:
	s_delay_alu instid0(SALU_CYCLE_1)
	s_and_not1_b32 vcc_lo, exec_lo, s6
	s_cbranch_vccnz .LBB134_3441
; %bb.3440:
	s_wait_loadcnt 0x0
	global_load_u16 v22, v[24:25], off
.LBB134_3441:
	s_mov_b32 s6, 0
.LBB134_3442:
	s_delay_alu instid0(SALU_CYCLE_1)
	s_and_not1_b32 vcc_lo, exec_lo, s6
	s_cbranch_vccnz .LBB134_3448
; %bb.3443:
	s_wait_loadcnt 0x0
	global_load_u8 v1, v[24:25], off
	s_mov_b32 s7, 0
	s_mov_b32 s6, exec_lo
	s_wait_loadcnt 0x0
	v_cmpx_lt_i16_e32 0x7f, v1
	s_xor_b32 s6, exec_lo, s6
	s_cbranch_execz .LBB134_3460
; %bb.3444:
	v_cmp_ne_u16_e32 vcc_lo, 0x80, v1
	s_and_b32 s7, vcc_lo, exec_lo
	s_and_not1_saveexec_b32 s6, s6
	s_cbranch_execnz .LBB134_3461
.LBB134_3445:
	s_or_b32 exec_lo, exec_lo, s6
	v_mov_b32_e32 v22, 0
	s_and_saveexec_b32 s6, s7
	s_cbranch_execz .LBB134_3447
.LBB134_3446:
	v_and_b32_e32 v3, 0xffff, v1
	s_delay_alu instid0(VALU_DEP_1) | instskip(SKIP_1) | instid1(VALU_DEP_2)
	v_dual_lshlrev_b32 v1, 24, v1 :: v_dual_bitop2_b32 v5, 7, v3 bitop3:0x40
	v_bfe_u32 v11, v3, 3, 4
	v_and_b32_e32 v1, 0x80000000, v1
	s_delay_alu instid0(VALU_DEP_3) | instskip(NEXT) | instid1(VALU_DEP_3)
	v_clz_i32_u32_e32 v7, v5
	v_cmp_eq_u32_e32 vcc_lo, 0, v11
	s_delay_alu instid0(VALU_DEP_2) | instskip(NEXT) | instid1(VALU_DEP_1)
	v_min_u32_e32 v7, 32, v7
	v_subrev_nc_u32_e32 v9, 28, v7
	v_sub_nc_u32_e32 v7, 29, v7
	s_delay_alu instid0(VALU_DEP_2) | instskip(NEXT) | instid1(VALU_DEP_2)
	v_lshlrev_b32_e32 v3, v9, v3
	v_cndmask_b32_e32 v7, v11, v7, vcc_lo
	s_delay_alu instid0(VALU_DEP_2) | instskip(NEXT) | instid1(VALU_DEP_1)
	v_and_b32_e32 v3, 7, v3
	v_cndmask_b32_e32 v3, v5, v3, vcc_lo
	s_delay_alu instid0(VALU_DEP_3) | instskip(NEXT) | instid1(VALU_DEP_2)
	v_lshl_add_u32 v5, v7, 23, 0x3b800000
	v_lshlrev_b32_e32 v3, 20, v3
	s_delay_alu instid0(VALU_DEP_1) | instskip(NEXT) | instid1(VALU_DEP_1)
	v_or3_b32 v1, v1, v5, v3
	v_cvt_i32_f32_e32 v22, v1
.LBB134_3447:
	s_or_b32 exec_lo, exec_lo, s6
.LBB134_3448:
	s_mov_b32 s6, -1
.LBB134_3449:
	s_mov_b32 s7, 0
.LBB134_3450:
	s_delay_alu instid0(SALU_CYCLE_1)
	s_and_b32 vcc_lo, exec_lo, s7
	s_cbranch_vccz .LBB134_3481
; %bb.3451:
	s_cmp_gt_i32 s0, 22
	s_cbranch_scc0 .LBB134_3459
; %bb.3452:
	s_cmp_lt_i32 s0, 24
	s_cbranch_scc1 .LBB134_3462
; %bb.3453:
	s_cmp_gt_i32 s0, 24
	s_cbranch_scc0 .LBB134_3463
; %bb.3454:
	s_wait_loadcnt 0x0
	global_load_u8 v1, v[24:25], off
	s_mov_b32 s6, 0
	s_mov_b32 s3, exec_lo
	s_wait_loadcnt 0x0
	v_cmpx_lt_i16_e32 0x7f, v1
	s_xor_b32 s3, exec_lo, s3
	s_cbranch_execz .LBB134_3475
; %bb.3455:
	v_cmp_ne_u16_e32 vcc_lo, 0x80, v1
	s_and_b32 s6, vcc_lo, exec_lo
	s_and_not1_saveexec_b32 s3, s3
	s_cbranch_execnz .LBB134_3476
.LBB134_3456:
	s_or_b32 exec_lo, exec_lo, s3
	v_mov_b32_e32 v22, 0
	s_and_saveexec_b32 s3, s6
	s_cbranch_execz .LBB134_3458
.LBB134_3457:
	v_and_b32_e32 v3, 0xffff, v1
	s_delay_alu instid0(VALU_DEP_1) | instskip(SKIP_1) | instid1(VALU_DEP_2)
	v_dual_lshlrev_b32 v1, 24, v1 :: v_dual_bitop2_b32 v5, 3, v3 bitop3:0x40
	v_bfe_u32 v11, v3, 2, 5
	v_and_b32_e32 v1, 0x80000000, v1
	s_delay_alu instid0(VALU_DEP_3) | instskip(NEXT) | instid1(VALU_DEP_3)
	v_clz_i32_u32_e32 v7, v5
	v_cmp_eq_u32_e32 vcc_lo, 0, v11
	s_delay_alu instid0(VALU_DEP_2) | instskip(NEXT) | instid1(VALU_DEP_1)
	v_min_u32_e32 v7, 32, v7
	v_subrev_nc_u32_e32 v9, 29, v7
	v_sub_nc_u32_e32 v7, 30, v7
	s_delay_alu instid0(VALU_DEP_2) | instskip(NEXT) | instid1(VALU_DEP_2)
	v_lshlrev_b32_e32 v3, v9, v3
	v_cndmask_b32_e32 v7, v11, v7, vcc_lo
	s_delay_alu instid0(VALU_DEP_2) | instskip(NEXT) | instid1(VALU_DEP_1)
	v_and_b32_e32 v3, 3, v3
	v_cndmask_b32_e32 v3, v5, v3, vcc_lo
	s_delay_alu instid0(VALU_DEP_3) | instskip(NEXT) | instid1(VALU_DEP_2)
	v_lshl_add_u32 v5, v7, 23, 0x37800000
	v_lshlrev_b32_e32 v3, 21, v3
	s_delay_alu instid0(VALU_DEP_1) | instskip(NEXT) | instid1(VALU_DEP_1)
	v_or3_b32 v1, v1, v5, v3
	v_cvt_i32_f32_e32 v22, v1
.LBB134_3458:
	s_or_b32 exec_lo, exec_lo, s3
	s_mov_b32 s3, 0
	s_branch .LBB134_3464
.LBB134_3459:
	s_mov_b32 s3, -1
                                        ; implicit-def: $vgpr22
	s_branch .LBB134_3470
.LBB134_3460:
	s_and_not1_saveexec_b32 s6, s6
	s_cbranch_execz .LBB134_3445
.LBB134_3461:
	v_cmp_ne_u16_e32 vcc_lo, 0, v1
	s_and_not1_b32 s7, s7, exec_lo
	s_and_b32 s8, vcc_lo, exec_lo
	s_delay_alu instid0(SALU_CYCLE_1)
	s_or_b32 s7, s7, s8
	s_or_b32 exec_lo, exec_lo, s6
	v_mov_b32_e32 v22, 0
	s_and_saveexec_b32 s6, s7
	s_cbranch_execnz .LBB134_3446
	s_branch .LBB134_3447
.LBB134_3462:
	s_mov_b32 s3, -1
                                        ; implicit-def: $vgpr22
	s_branch .LBB134_3467
.LBB134_3463:
	s_mov_b32 s3, -1
                                        ; implicit-def: $vgpr22
.LBB134_3464:
	s_delay_alu instid0(SALU_CYCLE_1)
	s_and_b32 vcc_lo, exec_lo, s3
	s_cbranch_vccz .LBB134_3466
; %bb.3465:
	s_wait_loadcnt 0x0
	global_load_u8 v1, v[24:25], off
	s_wait_loadcnt 0x0
	v_lshlrev_b32_e32 v1, 24, v1
	s_delay_alu instid0(VALU_DEP_1) | instskip(NEXT) | instid1(VALU_DEP_1)
	v_and_b32_e32 v3, 0x7f000000, v1
	v_clz_i32_u32_e32 v5, v3
	v_add_nc_u32_e32 v9, 0x1000000, v3
	v_cmp_ne_u32_e32 vcc_lo, 0, v3
	s_delay_alu instid0(VALU_DEP_3) | instskip(NEXT) | instid1(VALU_DEP_1)
	v_min_u32_e32 v5, 32, v5
	v_sub_nc_u32_e64 v5, v5, 4 clamp
	s_delay_alu instid0(VALU_DEP_1) | instskip(NEXT) | instid1(VALU_DEP_1)
	v_dual_lshlrev_b32 v7, v5, v3 :: v_dual_lshlrev_b32 v5, 23, v5
	v_lshrrev_b32_e32 v7, 4, v7
	s_delay_alu instid0(VALU_DEP_1) | instskip(SKIP_1) | instid1(VALU_DEP_2)
	v_sub_nc_u32_e32 v5, v7, v5
	v_ashrrev_i32_e32 v7, 8, v9
	v_add_nc_u32_e32 v5, 0x3c000000, v5
	s_delay_alu instid0(VALU_DEP_1) | instskip(NEXT) | instid1(VALU_DEP_1)
	v_and_or_b32 v5, 0x7f800000, v7, v5
	v_cndmask_b32_e32 v3, 0, v5, vcc_lo
	s_delay_alu instid0(VALU_DEP_1) | instskip(NEXT) | instid1(VALU_DEP_1)
	v_and_or_b32 v1, 0x80000000, v1, v3
	v_cvt_i32_f32_e32 v22, v1
.LBB134_3466:
	s_mov_b32 s3, 0
.LBB134_3467:
	s_delay_alu instid0(SALU_CYCLE_1)
	s_and_not1_b32 vcc_lo, exec_lo, s3
	s_cbranch_vccnz .LBB134_3469
; %bb.3468:
	s_wait_loadcnt 0x0
	global_load_u8 v1, v[24:25], off
	s_wait_loadcnt 0x0
	v_lshlrev_b32_e32 v3, 25, v1
	v_lshlrev_b16 v1, 8, v1
	s_delay_alu instid0(VALU_DEP_1) | instskip(SKIP_1) | instid1(VALU_DEP_2)
	v_and_or_b32 v7, 0x7f00, v1, 0.5
	v_bfe_i32 v1, v1, 0, 16
	v_add_f32_e32 v7, -0.5, v7
	v_lshrrev_b32_e32 v5, 4, v3
	v_cmp_gt_u32_e32 vcc_lo, 0x8000000, v3
	s_delay_alu instid0(VALU_DEP_2) | instskip(NEXT) | instid1(VALU_DEP_1)
	v_or_b32_e32 v5, 0x70000000, v5
	v_mul_f32_e32 v5, 0x7800000, v5
	s_delay_alu instid0(VALU_DEP_1) | instskip(NEXT) | instid1(VALU_DEP_1)
	v_cndmask_b32_e32 v3, v5, v7, vcc_lo
	v_and_or_b32 v1, 0x80000000, v1, v3
	s_delay_alu instid0(VALU_DEP_1)
	v_cvt_i32_f32_e32 v22, v1
.LBB134_3469:
	s_mov_b32 s3, 0
	s_mov_b32 s6, -1
.LBB134_3470:
	s_and_not1_b32 vcc_lo, exec_lo, s3
	s_mov_b32 s3, 0
	s_cbranch_vccnz .LBB134_3481
; %bb.3471:
	s_cmp_gt_i32 s0, 14
	s_cbranch_scc0 .LBB134_3474
; %bb.3472:
	s_cmp_eq_u32 s0, 15
	s_cbranch_scc0 .LBB134_3477
; %bb.3473:
	s_wait_loadcnt 0x0
	global_load_u16 v1, v[24:25], off
	s_mov_b32 s1, 0
	s_mov_b32 s6, -1
	s_wait_loadcnt 0x0
	v_lshlrev_b32_e32 v1, 16, v1
	s_delay_alu instid0(VALU_DEP_1)
	v_cvt_i32_f32_e32 v22, v1
	s_branch .LBB134_3479
.LBB134_3474:
	s_mov_b32 s3, -1
	s_branch .LBB134_3478
.LBB134_3475:
	s_and_not1_saveexec_b32 s3, s3
	s_cbranch_execz .LBB134_3456
.LBB134_3476:
	v_cmp_ne_u16_e32 vcc_lo, 0, v1
	s_and_not1_b32 s6, s6, exec_lo
	s_and_b32 s7, vcc_lo, exec_lo
	s_delay_alu instid0(SALU_CYCLE_1)
	s_or_b32 s6, s6, s7
	s_or_b32 exec_lo, exec_lo, s3
	v_mov_b32_e32 v22, 0
	s_and_saveexec_b32 s3, s6
	s_cbranch_execnz .LBB134_3457
	s_branch .LBB134_3458
.LBB134_3477:
	s_mov_b32 s1, -1
.LBB134_3478:
                                        ; implicit-def: $vgpr22
.LBB134_3479:
	s_and_b32 vcc_lo, exec_lo, s3
	s_mov_b32 s3, 0
	s_cbranch_vccz .LBB134_3481
; %bb.3480:
	s_cmp_lg_u32 s0, 11
	s_mov_b32 s3, -1
	s_cselect_b32 s1, -1, 0
.LBB134_3481:
	s_delay_alu instid0(SALU_CYCLE_1)
	s_and_b32 vcc_lo, exec_lo, s1
	s_cbranch_vccnz .LBB134_4014
; %bb.3482:
	s_and_not1_b32 vcc_lo, exec_lo, s3
	s_cbranch_vccnz .LBB134_3484
.LBB134_3483:
	s_wait_loadcnt 0x0
	global_load_u8 v1, v[24:25], off
	s_mov_b32 s6, -1
	s_wait_loadcnt 0x0
	v_cmp_ne_u16_e32 vcc_lo, 0, v1
	v_cndmask_b32_e64 v22, 0, 1, vcc_lo
.LBB134_3484:
	s_mov_b32 s1, 0
.LBB134_3485:
	s_delay_alu instid0(SALU_CYCLE_1)
	s_and_b32 vcc_lo, exec_lo, s1
	s_cbranch_vccz .LBB134_3534
; %bb.3486:
	s_cmp_lt_i32 s0, 5
	s_cbranch_scc1 .LBB134_3491
; %bb.3487:
	s_cmp_lt_i32 s0, 8
	s_cbranch_scc1 .LBB134_3492
; %bb.3488:
	s_cmp_lt_i32 s0, 9
	s_cbranch_scc1 .LBB134_3493
; %bb.3489:
	s_cmp_gt_i32 s0, 9
	s_cbranch_scc0 .LBB134_3494
; %bb.3490:
	s_wait_loadcnt 0x0
	global_load_b64 v[22:23], v[24:25], off
	s_mov_b32 s1, 0
	s_wait_loadcnt 0x0
	v_cvt_i32_f64_e32 v22, v[22:23]
	s_branch .LBB134_3495
.LBB134_3491:
	s_mov_b32 s1, -1
                                        ; implicit-def: $vgpr22
	s_branch .LBB134_3513
.LBB134_3492:
	s_mov_b32 s1, -1
                                        ; implicit-def: $vgpr22
	s_branch .LBB134_3501
.LBB134_3493:
	s_mov_b32 s1, -1
                                        ; implicit-def: $vgpr22
	s_branch .LBB134_3498
.LBB134_3494:
	s_mov_b32 s1, -1
                                        ; implicit-def: $vgpr22
.LBB134_3495:
	s_delay_alu instid0(SALU_CYCLE_1)
	s_and_not1_b32 vcc_lo, exec_lo, s1
	s_cbranch_vccnz .LBB134_3497
; %bb.3496:
	s_wait_loadcnt 0x0
	global_load_b32 v1, v[24:25], off
	s_wait_loadcnt 0x0
	v_cvt_i32_f32_e32 v22, v1
.LBB134_3497:
	s_mov_b32 s1, 0
.LBB134_3498:
	s_delay_alu instid0(SALU_CYCLE_1)
	s_and_not1_b32 vcc_lo, exec_lo, s1
	s_cbranch_vccnz .LBB134_3500
; %bb.3499:
	s_wait_loadcnt 0x0
	global_load_b32 v1, v[24:25], off
	s_wait_loadcnt 0x0
	v_cvt_i16_f16_e32 v22, v1
.LBB134_3500:
	s_mov_b32 s1, 0
.LBB134_3501:
	s_delay_alu instid0(SALU_CYCLE_1)
	s_and_not1_b32 vcc_lo, exec_lo, s1
	s_cbranch_vccnz .LBB134_3512
; %bb.3502:
	s_cmp_lt_i32 s0, 6
	s_cbranch_scc1 .LBB134_3505
; %bb.3503:
	s_cmp_gt_i32 s0, 6
	s_cbranch_scc0 .LBB134_3506
; %bb.3504:
	s_wait_loadcnt 0x0
	global_load_b64 v[22:23], v[24:25], off
	s_mov_b32 s1, 0
	s_wait_loadcnt 0x0
	v_cvt_i32_f64_e32 v22, v[22:23]
	s_branch .LBB134_3507
.LBB134_3505:
	s_mov_b32 s1, -1
                                        ; implicit-def: $vgpr22
	s_branch .LBB134_3510
.LBB134_3506:
	s_mov_b32 s1, -1
                                        ; implicit-def: $vgpr22
.LBB134_3507:
	s_delay_alu instid0(SALU_CYCLE_1)
	s_and_not1_b32 vcc_lo, exec_lo, s1
	s_cbranch_vccnz .LBB134_3509
; %bb.3508:
	s_wait_loadcnt 0x0
	global_load_b32 v1, v[24:25], off
	s_wait_loadcnt 0x0
	v_cvt_i32_f32_e32 v22, v1
.LBB134_3509:
	s_mov_b32 s1, 0
.LBB134_3510:
	s_delay_alu instid0(SALU_CYCLE_1)
	s_and_not1_b32 vcc_lo, exec_lo, s1
	s_cbranch_vccnz .LBB134_3512
; %bb.3511:
	s_wait_loadcnt 0x0
	global_load_u16 v1, v[24:25], off
	s_wait_loadcnt 0x0
	v_cvt_i16_f16_e32 v22, v1
.LBB134_3512:
	s_mov_b32 s1, 0
.LBB134_3513:
	s_delay_alu instid0(SALU_CYCLE_1)
	s_and_not1_b32 vcc_lo, exec_lo, s1
	s_cbranch_vccnz .LBB134_3533
; %bb.3514:
	s_cmp_lt_i32 s0, 2
	s_cbranch_scc1 .LBB134_3518
; %bb.3515:
	s_cmp_lt_i32 s0, 3
	s_cbranch_scc1 .LBB134_3519
; %bb.3516:
	s_cmp_gt_i32 s0, 3
	s_cbranch_scc0 .LBB134_3520
; %bb.3517:
	s_wait_loadcnt 0x0
	global_load_b64 v[22:23], v[24:25], off
	s_mov_b32 s1, 0
	s_branch .LBB134_3521
.LBB134_3518:
	s_mov_b32 s1, -1
                                        ; implicit-def: $vgpr22
	s_branch .LBB134_3527
.LBB134_3519:
	s_mov_b32 s1, -1
                                        ; implicit-def: $vgpr22
	s_branch .LBB134_3524
.LBB134_3520:
	s_mov_b32 s1, -1
                                        ; implicit-def: $vgpr22
.LBB134_3521:
	s_delay_alu instid0(SALU_CYCLE_1)
	s_and_not1_b32 vcc_lo, exec_lo, s1
	s_cbranch_vccnz .LBB134_3523
; %bb.3522:
	s_wait_loadcnt 0x0
	global_load_b32 v22, v[24:25], off
.LBB134_3523:
	s_mov_b32 s1, 0
.LBB134_3524:
	s_delay_alu instid0(SALU_CYCLE_1)
	s_and_not1_b32 vcc_lo, exec_lo, s1
	s_cbranch_vccnz .LBB134_3526
; %bb.3525:
	s_wait_loadcnt 0x0
	global_load_u16 v22, v[24:25], off
.LBB134_3526:
	s_mov_b32 s1, 0
.LBB134_3527:
	s_delay_alu instid0(SALU_CYCLE_1)
	s_and_not1_b32 vcc_lo, exec_lo, s1
	s_cbranch_vccnz .LBB134_3533
; %bb.3528:
	s_cmp_gt_i32 s0, 0
	s_mov_b32 s0, 0
	s_cbranch_scc0 .LBB134_3530
; %bb.3529:
	s_wait_loadcnt 0x0
	global_load_i8 v22, v[24:25], off
	s_branch .LBB134_3531
.LBB134_3530:
	s_mov_b32 s0, -1
                                        ; implicit-def: $vgpr22
.LBB134_3531:
	s_delay_alu instid0(SALU_CYCLE_1)
	s_and_not1_b32 vcc_lo, exec_lo, s0
	s_cbranch_vccnz .LBB134_3533
; %bb.3532:
	s_wait_loadcnt 0x0
	global_load_u8 v22, v[24:25], off
.LBB134_3533:
	s_mov_b32 s6, -1
.LBB134_3534:
	s_delay_alu instid0(SALU_CYCLE_1)
	s_and_not1_b32 vcc_lo, exec_lo, s6
	s_cbranch_vccnz .LBB134_3968
; %bb.3535:
	s_wait_xcnt 0x0
	v_mul_lo_u32 v24, s12, v26
	s_wait_loadcnt 0x0
	v_max_i16 v2, v0, v2
	s_and_b32 s20, s2, 0xff
	s_delay_alu instid0(SALU_CYCLE_1) | instskip(NEXT) | instid1(VALU_DEP_1)
	s_cmp_lt_i32 s20, 11
	v_min_i16 v5, v2, v6
	s_delay_alu instid0(VALU_DEP_3) | instskip(NEXT) | instid1(VALU_DEP_1)
	v_ashrrev_i32_e32 v25, 31, v24
	v_add_nc_u64_e32 v[0:1], s[4:5], v[24:25]
	s_cbranch_scc1 .LBB134_3613
; %bb.3536:
	s_and_b32 s1, 0xffff, s20
	s_mov_b32 s6, -1
	s_mov_b32 s2, 0
	s_cmp_gt_i32 s1, 25
	s_mov_b32 s3, 0
	s_mov_b32 s0, 0
	s_cbranch_scc0 .LBB134_3569
; %bb.3537:
	s_cmp_gt_i32 s1, 28
	s_cbranch_scc0 .LBB134_3552
; %bb.3538:
	s_cmp_gt_i32 s1, 43
	;; [unrolled: 3-line block ×3, first 2 shown]
	s_cbranch_scc0 .LBB134_3542
; %bb.3540:
	s_mov_b32 s0, -1
	s_mov_b32 s6, 0
	s_cmp_eq_u32 s1, 46
	s_cbranch_scc0 .LBB134_3542
; %bb.3541:
	v_bfe_i32 v2, v5, 0, 16
	s_mov_b32 s0, 0
	s_mov_b32 s3, -1
	s_delay_alu instid0(VALU_DEP_1) | instskip(NEXT) | instid1(VALU_DEP_1)
	v_cvt_f32_i32_e32 v2, v2
	v_bfe_u32 v3, v2, 16, 1
	s_delay_alu instid0(VALU_DEP_1) | instskip(NEXT) | instid1(VALU_DEP_1)
	v_add3_u32 v2, v2, v3, 0x7fff
	v_lshrrev_b32_e32 v2, 16, v2
	global_store_b32 v[0:1], v2, off
.LBB134_3542:
	s_and_b32 vcc_lo, exec_lo, s6
	s_cbranch_vccz .LBB134_3547
; %bb.3543:
	s_cmp_eq_u32 s1, 44
	s_mov_b32 s0, -1
	s_cbranch_scc0 .LBB134_3547
; %bb.3544:
	s_wait_xcnt 0x0
	v_bfe_i32 v2, v5, 0, 16
	v_mov_b32_e32 v3, 0xff
	s_mov_b32 s3, exec_lo
	s_delay_alu instid0(VALU_DEP_2) | instskip(NEXT) | instid1(VALU_DEP_1)
	v_cvt_f32_i32_e32 v2, v2
	v_bfe_u32 v6, v2, 23, 8
	s_delay_alu instid0(VALU_DEP_1)
	v_cmpx_ne_u32_e32 0xff, v6
	s_cbranch_execz .LBB134_3546
; %bb.3545:
	v_and_b32_e32 v3, 0x400000, v2
	v_and_or_b32 v6, 0x3fffff, v2, v6
	v_lshrrev_b32_e32 v2, 23, v2
	s_delay_alu instid0(VALU_DEP_3) | instskip(NEXT) | instid1(VALU_DEP_3)
	v_cmp_ne_u32_e32 vcc_lo, 0, v3
	v_cmp_ne_u32_e64 s0, 0, v6
	s_and_b32 s0, vcc_lo, s0
	s_delay_alu instid0(SALU_CYCLE_1) | instskip(NEXT) | instid1(VALU_DEP_1)
	v_cndmask_b32_e64 v3, 0, 1, s0
	v_add_nc_u32_e32 v3, v2, v3
.LBB134_3546:
	s_or_b32 exec_lo, exec_lo, s3
	s_mov_b32 s0, 0
	s_mov_b32 s3, -1
	global_store_b8 v[0:1], v3, off
.LBB134_3547:
	s_mov_b32 s6, 0
.LBB134_3548:
	s_delay_alu instid0(SALU_CYCLE_1)
	s_and_b32 vcc_lo, exec_lo, s6
	s_cbranch_vccz .LBB134_3551
; %bb.3549:
	s_cmp_eq_u32 s1, 29
	s_mov_b32 s0, -1
	s_cbranch_scc0 .LBB134_3551
; %bb.3550:
	s_wait_xcnt 0x0
	v_bfe_i32 v2, v5, 0, 16
	s_mov_b32 s0, 0
	s_mov_b32 s3, -1
	s_delay_alu instid0(VALU_DEP_1)
	v_ashrrev_i32_e32 v3, 31, v2
	global_store_b64 v[0:1], v[2:3], off
.LBB134_3551:
	s_mov_b32 s6, 0
.LBB134_3552:
	s_delay_alu instid0(SALU_CYCLE_1)
	s_and_b32 vcc_lo, exec_lo, s6
	s_cbranch_vccz .LBB134_3568
; %bb.3553:
	s_cmp_lt_i32 s1, 27
	s_mov_b32 s3, -1
	s_cbranch_scc1 .LBB134_3559
; %bb.3554:
	s_cmp_gt_i32 s1, 27
	s_cbranch_scc0 .LBB134_3556
; %bb.3555:
	s_wait_xcnt 0x0
	v_bfe_i32 v2, v5, 0, 16
	s_mov_b32 s3, 0
	global_store_b32 v[0:1], v2, off
.LBB134_3556:
	s_and_not1_b32 vcc_lo, exec_lo, s3
	s_cbranch_vccnz .LBB134_3558
; %bb.3557:
	global_store_b16 v[0:1], v5, off
.LBB134_3558:
	s_mov_b32 s3, 0
.LBB134_3559:
	s_delay_alu instid0(SALU_CYCLE_1)
	s_and_not1_b32 vcc_lo, exec_lo, s3
	s_cbranch_vccnz .LBB134_3567
; %bb.3560:
	s_wait_xcnt 0x0
	v_bfe_i32 v2, v5, 0, 16
	v_mov_b32_e32 v6, 0x80
	s_mov_b32 s3, exec_lo
	s_delay_alu instid0(VALU_DEP_2) | instskip(NEXT) | instid1(VALU_DEP_1)
	v_cvt_f32_i32_e32 v2, v2
	v_and_b32_e32 v3, 0x7fffffff, v2
	s_delay_alu instid0(VALU_DEP_1)
	v_cmpx_gt_u32_e32 0x43800000, v3
	s_cbranch_execz .LBB134_3566
; %bb.3561:
	v_cmp_lt_u32_e32 vcc_lo, 0x3bffffff, v3
	s_mov_b32 s6, 0
                                        ; implicit-def: $vgpr3
	s_and_saveexec_b32 s7, vcc_lo
	s_delay_alu instid0(SALU_CYCLE_1)
	s_xor_b32 s7, exec_lo, s7
	s_cbranch_execz .LBB134_4015
; %bb.3562:
	v_bfe_u32 v3, v2, 20, 1
	s_mov_b32 s6, exec_lo
	s_delay_alu instid0(VALU_DEP_1) | instskip(NEXT) | instid1(VALU_DEP_1)
	v_add3_u32 v3, v2, v3, 0x487ffff
	v_lshrrev_b32_e32 v3, 20, v3
	s_and_not1_saveexec_b32 s7, s7
	s_cbranch_execnz .LBB134_4016
.LBB134_3563:
	s_or_b32 exec_lo, exec_lo, s7
	v_mov_b32_e32 v6, 0
	s_and_saveexec_b32 s7, s6
.LBB134_3564:
	v_lshrrev_b32_e32 v2, 24, v2
	s_delay_alu instid0(VALU_DEP_1)
	v_and_or_b32 v6, 0x80, v2, v3
.LBB134_3565:
	s_or_b32 exec_lo, exec_lo, s7
.LBB134_3566:
	s_delay_alu instid0(SALU_CYCLE_1)
	s_or_b32 exec_lo, exec_lo, s3
	global_store_b8 v[0:1], v6, off
.LBB134_3567:
	s_mov_b32 s3, -1
.LBB134_3568:
	s_mov_b32 s6, 0
.LBB134_3569:
	s_delay_alu instid0(SALU_CYCLE_1)
	s_and_b32 vcc_lo, exec_lo, s6
	s_cbranch_vccz .LBB134_3609
; %bb.3570:
	s_cmp_gt_i32 s1, 22
	s_mov_b32 s2, -1
	s_cbranch_scc0 .LBB134_3602
; %bb.3571:
	s_cmp_lt_i32 s1, 24
	s_cbranch_scc1 .LBB134_3591
; %bb.3572:
	s_cmp_gt_i32 s1, 24
	s_cbranch_scc0 .LBB134_3580
; %bb.3573:
	s_wait_xcnt 0x0
	v_bfe_i32 v2, v5, 0, 16
	v_mov_b32_e32 v6, 0x80
	s_mov_b32 s2, exec_lo
	s_delay_alu instid0(VALU_DEP_2) | instskip(NEXT) | instid1(VALU_DEP_1)
	v_cvt_f32_i32_e32 v2, v2
	v_and_b32_e32 v3, 0x7fffffff, v2
	s_delay_alu instid0(VALU_DEP_1)
	v_cmpx_gt_u32_e32 0x47800000, v3
	s_cbranch_execz .LBB134_3579
; %bb.3574:
	v_cmp_lt_u32_e32 vcc_lo, 0x37ffffff, v3
	s_mov_b32 s3, 0
                                        ; implicit-def: $vgpr3
	s_and_saveexec_b32 s6, vcc_lo
	s_delay_alu instid0(SALU_CYCLE_1)
	s_xor_b32 s6, exec_lo, s6
	s_cbranch_execz .LBB134_4018
; %bb.3575:
	v_bfe_u32 v3, v2, 21, 1
	s_mov_b32 s3, exec_lo
	s_delay_alu instid0(VALU_DEP_1) | instskip(NEXT) | instid1(VALU_DEP_1)
	v_add3_u32 v3, v2, v3, 0x88fffff
	v_lshrrev_b32_e32 v3, 21, v3
	s_and_not1_saveexec_b32 s6, s6
	s_cbranch_execnz .LBB134_4019
.LBB134_3576:
	s_or_b32 exec_lo, exec_lo, s6
	v_mov_b32_e32 v6, 0
	s_and_saveexec_b32 s6, s3
.LBB134_3577:
	v_lshrrev_b32_e32 v2, 24, v2
	s_delay_alu instid0(VALU_DEP_1)
	v_and_or_b32 v6, 0x80, v2, v3
.LBB134_3578:
	s_or_b32 exec_lo, exec_lo, s6
.LBB134_3579:
	s_delay_alu instid0(SALU_CYCLE_1)
	s_or_b32 exec_lo, exec_lo, s2
	s_mov_b32 s2, 0
	global_store_b8 v[0:1], v6, off
.LBB134_3580:
	s_and_b32 vcc_lo, exec_lo, s2
	s_cbranch_vccz .LBB134_3590
; %bb.3581:
	s_wait_xcnt 0x0
	v_bfe_i32 v2, v5, 0, 16
	s_mov_b32 s2, exec_lo
                                        ; implicit-def: $vgpr3
	s_delay_alu instid0(VALU_DEP_1) | instskip(NEXT) | instid1(VALU_DEP_1)
	v_cvt_f32_i32_e32 v2, v2
	v_and_b32_e32 v6, 0x7fffffff, v2
	s_delay_alu instid0(VALU_DEP_1)
	v_cmpx_gt_u32_e32 0x43f00000, v6
	s_xor_b32 s2, exec_lo, s2
	s_cbranch_execz .LBB134_3587
; %bb.3582:
	s_mov_b32 s3, exec_lo
                                        ; implicit-def: $vgpr3
	v_cmpx_lt_u32_e32 0x3c7fffff, v6
	s_xor_b32 s3, exec_lo, s3
; %bb.3583:
	v_bfe_u32 v3, v2, 20, 1
	s_delay_alu instid0(VALU_DEP_1) | instskip(NEXT) | instid1(VALU_DEP_1)
	v_add3_u32 v3, v2, v3, 0x407ffff
	v_and_b32_e32 v6, 0xff00000, v3
	v_lshrrev_b32_e32 v3, 20, v3
	s_delay_alu instid0(VALU_DEP_2) | instskip(NEXT) | instid1(VALU_DEP_2)
	v_cmp_ne_u32_e32 vcc_lo, 0x7f00000, v6
	v_cndmask_b32_e32 v3, 0x7e, v3, vcc_lo
; %bb.3584:
	s_and_not1_saveexec_b32 s3, s3
; %bb.3585:
	v_add_f32_e64 v3, 0x46800000, |v2|
; %bb.3586:
	s_or_b32 exec_lo, exec_lo, s3
                                        ; implicit-def: $vgpr6
.LBB134_3587:
	s_and_not1_saveexec_b32 s2, s2
; %bb.3588:
	v_mov_b32_e32 v3, 0x7f
	v_cmp_lt_u32_e32 vcc_lo, 0x7f800000, v6
	s_delay_alu instid0(VALU_DEP_2)
	v_cndmask_b32_e32 v3, 0x7e, v3, vcc_lo
; %bb.3589:
	s_or_b32 exec_lo, exec_lo, s2
	v_lshrrev_b32_e32 v2, 24, v2
	s_delay_alu instid0(VALU_DEP_1)
	v_and_or_b32 v2, 0x80, v2, v3
	global_store_b8 v[0:1], v2, off
.LBB134_3590:
	s_mov_b32 s2, 0
.LBB134_3591:
	s_delay_alu instid0(SALU_CYCLE_1)
	s_and_not1_b32 vcc_lo, exec_lo, s2
	s_cbranch_vccnz .LBB134_3601
; %bb.3592:
	s_wait_xcnt 0x0
	v_bfe_i32 v2, v5, 0, 16
	s_mov_b32 s2, exec_lo
                                        ; implicit-def: $vgpr3
	s_delay_alu instid0(VALU_DEP_1) | instskip(NEXT) | instid1(VALU_DEP_1)
	v_cvt_f32_i32_e32 v2, v2
	v_and_b32_e32 v6, 0x7fffffff, v2
	s_delay_alu instid0(VALU_DEP_1)
	v_cmpx_gt_u32_e32 0x47800000, v6
	s_xor_b32 s2, exec_lo, s2
	s_cbranch_execz .LBB134_3598
; %bb.3593:
	s_mov_b32 s3, exec_lo
                                        ; implicit-def: $vgpr3
	v_cmpx_lt_u32_e32 0x387fffff, v6
	s_xor_b32 s3, exec_lo, s3
; %bb.3594:
	v_bfe_u32 v3, v2, 21, 1
	s_delay_alu instid0(VALU_DEP_1) | instskip(NEXT) | instid1(VALU_DEP_1)
	v_add3_u32 v3, v2, v3, 0x80fffff
	v_lshrrev_b32_e32 v3, 21, v3
; %bb.3595:
	s_and_not1_saveexec_b32 s3, s3
; %bb.3596:
	v_add_f32_e64 v3, 0x43000000, |v2|
; %bb.3597:
	s_or_b32 exec_lo, exec_lo, s3
                                        ; implicit-def: $vgpr6
.LBB134_3598:
	s_and_not1_saveexec_b32 s2, s2
; %bb.3599:
	v_mov_b32_e32 v3, 0x7f
	v_cmp_lt_u32_e32 vcc_lo, 0x7f800000, v6
	s_delay_alu instid0(VALU_DEP_2)
	v_cndmask_b32_e32 v3, 0x7c, v3, vcc_lo
; %bb.3600:
	s_or_b32 exec_lo, exec_lo, s2
	v_lshrrev_b32_e32 v2, 24, v2
	s_delay_alu instid0(VALU_DEP_1)
	v_and_or_b32 v2, 0x80, v2, v3
	global_store_b8 v[0:1], v2, off
.LBB134_3601:
	s_mov_b32 s2, 0
	s_mov_b32 s3, -1
.LBB134_3602:
	s_and_not1_b32 vcc_lo, exec_lo, s2
	s_mov_b32 s2, 0
	s_cbranch_vccnz .LBB134_3609
; %bb.3603:
	s_cmp_gt_i32 s1, 14
	s_mov_b32 s2, -1
	s_cbranch_scc0 .LBB134_3607
; %bb.3604:
	s_cmp_eq_u32 s1, 15
	s_mov_b32 s0, -1
	s_cbranch_scc0 .LBB134_3606
; %bb.3605:
	s_wait_xcnt 0x0
	v_bfe_i32 v2, v5, 0, 16
	s_mov_b32 s0, 0
	s_mov_b32 s3, -1
	s_delay_alu instid0(VALU_DEP_1) | instskip(NEXT) | instid1(VALU_DEP_1)
	v_cvt_f32_i32_e32 v2, v2
	v_bfe_u32 v3, v2, 16, 1
	s_delay_alu instid0(VALU_DEP_1)
	v_add3_u32 v2, v2, v3, 0x7fff
	global_store_d16_hi_b16 v[0:1], v2, off
.LBB134_3606:
	s_mov_b32 s2, 0
.LBB134_3607:
	s_delay_alu instid0(SALU_CYCLE_1)
	s_and_b32 vcc_lo, exec_lo, s2
	s_mov_b32 s2, 0
	s_cbranch_vccz .LBB134_3609
; %bb.3608:
	s_cmp_lg_u32 s1, 11
	s_mov_b32 s2, -1
	s_cselect_b32 s0, -1, 0
.LBB134_3609:
	s_delay_alu instid0(SALU_CYCLE_1)
	s_and_b32 vcc_lo, exec_lo, s0
	s_cbranch_vccnz .LBB134_4017
; %bb.3610:
	s_and_not1_b32 vcc_lo, exec_lo, s2
	s_cbranch_vccnz .LBB134_3612
.LBB134_3611:
	v_cmp_ne_u16_e32 vcc_lo, 0, v5
	s_mov_b32 s3, -1
	s_wait_xcnt 0x0
	v_cndmask_b32_e64 v2, 0, 1, vcc_lo
	global_store_b8 v[0:1], v2, off
.LBB134_3612:
	s_mov_b32 s0, 0
	s_branch .LBB134_3614
.LBB134_3613:
	s_mov_b32 s0, -1
	s_mov_b32 s3, 0
.LBB134_3614:
	s_and_b32 vcc_lo, exec_lo, s0
	s_cbranch_vccz .LBB134_3653
; %bb.3615:
	s_and_b32 s0, 0xffff, s20
	s_mov_b32 s1, -1
	s_cmp_lt_i32 s0, 5
	s_cbranch_scc1 .LBB134_3636
; %bb.3616:
	s_cmp_lt_i32 s0, 8
	s_cbranch_scc1 .LBB134_3626
; %bb.3617:
	;; [unrolled: 3-line block ×3, first 2 shown]
	s_cmp_gt_i32 s0, 9
	s_cbranch_scc0 .LBB134_3620
; %bb.3619:
	s_wait_xcnt 0x0
	v_bfe_i32 v2, v5, 0, 16
	v_mov_b32_e32 v28, 0
	s_mov_b32 s1, 0
	s_delay_alu instid0(VALU_DEP_2) | instskip(NEXT) | instid1(VALU_DEP_2)
	v_cvt_f64_i32_e32 v[26:27], v2
	v_mov_b32_e32 v29, v28
	global_store_b128 v[0:1], v[26:29], off
.LBB134_3620:
	s_and_not1_b32 vcc_lo, exec_lo, s1
	s_cbranch_vccnz .LBB134_3622
; %bb.3621:
	s_wait_xcnt 0x0
	v_bfe_i32 v2, v5, 0, 16
	v_mov_b32_e32 v3, 0
	s_delay_alu instid0(VALU_DEP_2)
	v_cvt_f32_i32_e32 v2, v2
	global_store_b64 v[0:1], v[2:3], off
.LBB134_3622:
	s_mov_b32 s1, 0
.LBB134_3623:
	s_delay_alu instid0(SALU_CYCLE_1)
	s_and_not1_b32 vcc_lo, exec_lo, s1
	s_cbranch_vccnz .LBB134_3625
; %bb.3624:
	s_wait_xcnt 0x0
	v_cvt_f16_i16_e32 v2, v5
	s_delay_alu instid0(VALU_DEP_1)
	v_and_b32_e32 v2, 0xffff, v2
	global_store_b32 v[0:1], v2, off
.LBB134_3625:
	s_mov_b32 s1, 0
.LBB134_3626:
	s_delay_alu instid0(SALU_CYCLE_1)
	s_and_not1_b32 vcc_lo, exec_lo, s1
	s_cbranch_vccnz .LBB134_3635
; %bb.3627:
	s_cmp_lt_i32 s0, 6
	s_mov_b32 s1, -1
	s_cbranch_scc1 .LBB134_3633
; %bb.3628:
	s_cmp_gt_i32 s0, 6
	s_cbranch_scc0 .LBB134_3630
; %bb.3629:
	s_wait_xcnt 0x0
	v_bfe_i32 v2, v5, 0, 16
	s_mov_b32 s1, 0
	s_delay_alu instid0(VALU_DEP_1)
	v_cvt_f64_i32_e32 v[2:3], v2
	global_store_b64 v[0:1], v[2:3], off
.LBB134_3630:
	s_and_not1_b32 vcc_lo, exec_lo, s1
	s_cbranch_vccnz .LBB134_3632
; %bb.3631:
	s_wait_xcnt 0x0
	v_bfe_i32 v2, v5, 0, 16
	s_delay_alu instid0(VALU_DEP_1)
	v_cvt_f32_i32_e32 v2, v2
	global_store_b32 v[0:1], v2, off
.LBB134_3632:
	s_mov_b32 s1, 0
.LBB134_3633:
	s_delay_alu instid0(SALU_CYCLE_1)
	s_and_not1_b32 vcc_lo, exec_lo, s1
	s_cbranch_vccnz .LBB134_3635
; %bb.3634:
	s_wait_xcnt 0x0
	v_cvt_f16_i16_e32 v2, v5
	global_store_b16 v[0:1], v2, off
.LBB134_3635:
	s_mov_b32 s1, 0
.LBB134_3636:
	s_delay_alu instid0(SALU_CYCLE_1)
	s_and_not1_b32 vcc_lo, exec_lo, s1
	s_cbranch_vccnz .LBB134_3652
; %bb.3637:
	s_cmp_lt_i32 s0, 2
	s_mov_b32 s1, -1
	s_cbranch_scc1 .LBB134_3647
; %bb.3638:
	s_cmp_lt_i32 s0, 3
	s_cbranch_scc1 .LBB134_3644
; %bb.3639:
	s_wait_xcnt 0x0
	v_bfe_i32 v2, v5, 0, 16
	s_cmp_gt_i32 s0, 3
	s_cbranch_scc0 .LBB134_3641
; %bb.3640:
	s_delay_alu instid0(VALU_DEP_1)
	v_ashrrev_i32_e32 v3, 31, v2
	s_mov_b32 s1, 0
	global_store_b64 v[0:1], v[2:3], off
.LBB134_3641:
	s_and_not1_b32 vcc_lo, exec_lo, s1
	s_cbranch_vccnz .LBB134_3643
; %bb.3642:
	global_store_b32 v[0:1], v2, off
.LBB134_3643:
	s_mov_b32 s1, 0
.LBB134_3644:
	s_delay_alu instid0(SALU_CYCLE_1)
	s_and_not1_b32 vcc_lo, exec_lo, s1
	s_cbranch_vccnz .LBB134_3646
; %bb.3645:
	global_store_b16 v[0:1], v5, off
.LBB134_3646:
	s_mov_b32 s1, 0
.LBB134_3647:
	s_delay_alu instid0(SALU_CYCLE_1)
	s_and_not1_b32 vcc_lo, exec_lo, s1
	s_cbranch_vccnz .LBB134_3652
; %bb.3648:
	s_cmp_gt_i32 s0, 0
	s_mov_b32 s0, -1
	s_cbranch_scc0 .LBB134_3650
; %bb.3649:
	s_mov_b32 s0, 0
	global_store_b8 v[0:1], v5, off
.LBB134_3650:
	s_and_not1_b32 vcc_lo, exec_lo, s0
	s_cbranch_vccnz .LBB134_3652
; %bb.3651:
	global_store_b8 v[0:1], v5, off
.LBB134_3652:
	s_mov_b32 s3, -1
.LBB134_3653:
	s_delay_alu instid0(SALU_CYCLE_1)
	s_and_not1_b32 vcc_lo, exec_lo, s3
	s_cbranch_vccnz .LBB134_3968
; %bb.3654:
	s_lshl_b32 s1, s12, 7
	v_max_i16 v4, v4, v8
	s_wait_xcnt 0x0
	v_add_nc_u32_e32 v0, s1, v24
	s_cmp_lt_i32 s20, 11
	s_delay_alu instid0(VALU_DEP_1) | instskip(NEXT) | instid1(VALU_DEP_1)
	v_ashrrev_i32_e32 v1, 31, v0
	v_add_nc_u64_e32 v[2:3], s[4:5], v[0:1]
	v_min_i16 v1, v4, v12
	s_cbranch_scc1 .LBB134_3732
; %bb.3655:
	s_and_b32 s2, 0xffff, s20
	s_mov_b32 s7, -1
	s_mov_b32 s3, 0
	s_cmp_gt_i32 s2, 25
	s_mov_b32 s6, 0
	s_mov_b32 s0, 0
	s_cbranch_scc0 .LBB134_3688
; %bb.3656:
	s_cmp_gt_i32 s2, 28
	s_cbranch_scc0 .LBB134_3671
; %bb.3657:
	s_cmp_gt_i32 s2, 43
	;; [unrolled: 3-line block ×3, first 2 shown]
	s_cbranch_scc0 .LBB134_3661
; %bb.3659:
	s_mov_b32 s0, -1
	s_mov_b32 s7, 0
	s_cmp_eq_u32 s2, 46
	s_cbranch_scc0 .LBB134_3661
; %bb.3660:
	v_bfe_i32 v4, v1, 0, 16
	s_mov_b32 s0, 0
	s_mov_b32 s6, -1
	s_delay_alu instid0(VALU_DEP_1) | instskip(NEXT) | instid1(VALU_DEP_1)
	v_cvt_f32_i32_e32 v4, v4
	v_bfe_u32 v5, v4, 16, 1
	s_delay_alu instid0(VALU_DEP_1) | instskip(NEXT) | instid1(VALU_DEP_1)
	v_add3_u32 v4, v4, v5, 0x7fff
	v_lshrrev_b32_e32 v4, 16, v4
	global_store_b32 v[2:3], v4, off
.LBB134_3661:
	s_and_b32 vcc_lo, exec_lo, s7
	s_cbranch_vccz .LBB134_3666
; %bb.3662:
	s_cmp_eq_u32 s2, 44
	s_mov_b32 s0, -1
	s_cbranch_scc0 .LBB134_3666
; %bb.3663:
	s_wait_xcnt 0x0
	v_bfe_i32 v4, v1, 0, 16
	v_mov_b32_e32 v5, 0xff
	s_mov_b32 s6, exec_lo
	s_delay_alu instid0(VALU_DEP_2) | instskip(NEXT) | instid1(VALU_DEP_1)
	v_cvt_f32_i32_e32 v4, v4
	v_bfe_u32 v6, v4, 23, 8
	s_delay_alu instid0(VALU_DEP_1)
	v_cmpx_ne_u32_e32 0xff, v6
	s_cbranch_execz .LBB134_3665
; %bb.3664:
	v_and_b32_e32 v5, 0x400000, v4
	v_and_or_b32 v6, 0x3fffff, v4, v6
	v_lshrrev_b32_e32 v4, 23, v4
	s_delay_alu instid0(VALU_DEP_3) | instskip(NEXT) | instid1(VALU_DEP_3)
	v_cmp_ne_u32_e32 vcc_lo, 0, v5
	v_cmp_ne_u32_e64 s0, 0, v6
	s_and_b32 s0, vcc_lo, s0
	s_delay_alu instid0(SALU_CYCLE_1) | instskip(NEXT) | instid1(VALU_DEP_1)
	v_cndmask_b32_e64 v5, 0, 1, s0
	v_add_nc_u32_e32 v5, v4, v5
.LBB134_3665:
	s_or_b32 exec_lo, exec_lo, s6
	s_mov_b32 s0, 0
	s_mov_b32 s6, -1
	global_store_b8 v[2:3], v5, off
.LBB134_3666:
	s_mov_b32 s7, 0
.LBB134_3667:
	s_delay_alu instid0(SALU_CYCLE_1)
	s_and_b32 vcc_lo, exec_lo, s7
	s_cbranch_vccz .LBB134_3670
; %bb.3668:
	s_cmp_eq_u32 s2, 29
	s_mov_b32 s0, -1
	s_cbranch_scc0 .LBB134_3670
; %bb.3669:
	s_wait_xcnt 0x0
	v_bfe_i32 v4, v1, 0, 16
	s_mov_b32 s0, 0
	s_mov_b32 s6, -1
	s_delay_alu instid0(VALU_DEP_1)
	v_ashrrev_i32_e32 v5, 31, v4
	global_store_b64 v[2:3], v[4:5], off
.LBB134_3670:
	s_mov_b32 s7, 0
.LBB134_3671:
	s_delay_alu instid0(SALU_CYCLE_1)
	s_and_b32 vcc_lo, exec_lo, s7
	s_cbranch_vccz .LBB134_3687
; %bb.3672:
	s_cmp_lt_i32 s2, 27
	s_mov_b32 s6, -1
	s_cbranch_scc1 .LBB134_3678
; %bb.3673:
	s_cmp_gt_i32 s2, 27
	s_cbranch_scc0 .LBB134_3675
; %bb.3674:
	s_wait_xcnt 0x0
	v_bfe_i32 v4, v1, 0, 16
	s_mov_b32 s6, 0
	global_store_b32 v[2:3], v4, off
.LBB134_3675:
	s_and_not1_b32 vcc_lo, exec_lo, s6
	s_cbranch_vccnz .LBB134_3677
; %bb.3676:
	global_store_b16 v[2:3], v1, off
.LBB134_3677:
	s_mov_b32 s6, 0
.LBB134_3678:
	s_delay_alu instid0(SALU_CYCLE_1)
	s_and_not1_b32 vcc_lo, exec_lo, s6
	s_cbranch_vccnz .LBB134_3686
; %bb.3679:
	s_wait_xcnt 0x0
	v_bfe_i32 v4, v1, 0, 16
	v_mov_b32_e32 v6, 0x80
	s_mov_b32 s6, exec_lo
	s_delay_alu instid0(VALU_DEP_2) | instskip(NEXT) | instid1(VALU_DEP_1)
	v_cvt_f32_i32_e32 v4, v4
	v_and_b32_e32 v5, 0x7fffffff, v4
	s_delay_alu instid0(VALU_DEP_1)
	v_cmpx_gt_u32_e32 0x43800000, v5
	s_cbranch_execz .LBB134_3685
; %bb.3680:
	v_cmp_lt_u32_e32 vcc_lo, 0x3bffffff, v5
	s_mov_b32 s7, 0
                                        ; implicit-def: $vgpr5
	s_and_saveexec_b32 s8, vcc_lo
	s_delay_alu instid0(SALU_CYCLE_1)
	s_xor_b32 s8, exec_lo, s8
	s_cbranch_execz .LBB134_4020
; %bb.3681:
	v_bfe_u32 v5, v4, 20, 1
	s_mov_b32 s7, exec_lo
	s_delay_alu instid0(VALU_DEP_1) | instskip(NEXT) | instid1(VALU_DEP_1)
	v_add3_u32 v5, v4, v5, 0x487ffff
	v_lshrrev_b32_e32 v5, 20, v5
	s_and_not1_saveexec_b32 s8, s8
	s_cbranch_execnz .LBB134_4021
.LBB134_3682:
	s_or_b32 exec_lo, exec_lo, s8
	v_mov_b32_e32 v6, 0
	s_and_saveexec_b32 s8, s7
.LBB134_3683:
	v_lshrrev_b32_e32 v4, 24, v4
	s_delay_alu instid0(VALU_DEP_1)
	v_and_or_b32 v6, 0x80, v4, v5
.LBB134_3684:
	s_or_b32 exec_lo, exec_lo, s8
.LBB134_3685:
	s_delay_alu instid0(SALU_CYCLE_1)
	s_or_b32 exec_lo, exec_lo, s6
	global_store_b8 v[2:3], v6, off
.LBB134_3686:
	s_mov_b32 s6, -1
.LBB134_3687:
	s_mov_b32 s7, 0
.LBB134_3688:
	s_delay_alu instid0(SALU_CYCLE_1)
	s_and_b32 vcc_lo, exec_lo, s7
	s_cbranch_vccz .LBB134_3728
; %bb.3689:
	s_cmp_gt_i32 s2, 22
	s_mov_b32 s3, -1
	s_cbranch_scc0 .LBB134_3721
; %bb.3690:
	s_cmp_lt_i32 s2, 24
	s_cbranch_scc1 .LBB134_3710
; %bb.3691:
	s_cmp_gt_i32 s2, 24
	s_cbranch_scc0 .LBB134_3699
; %bb.3692:
	s_wait_xcnt 0x0
	v_bfe_i32 v4, v1, 0, 16
	v_mov_b32_e32 v6, 0x80
	s_mov_b32 s3, exec_lo
	s_delay_alu instid0(VALU_DEP_2) | instskip(NEXT) | instid1(VALU_DEP_1)
	v_cvt_f32_i32_e32 v4, v4
	v_and_b32_e32 v5, 0x7fffffff, v4
	s_delay_alu instid0(VALU_DEP_1)
	v_cmpx_gt_u32_e32 0x47800000, v5
	s_cbranch_execz .LBB134_3698
; %bb.3693:
	v_cmp_lt_u32_e32 vcc_lo, 0x37ffffff, v5
	s_mov_b32 s6, 0
                                        ; implicit-def: $vgpr5
	s_and_saveexec_b32 s7, vcc_lo
	s_delay_alu instid0(SALU_CYCLE_1)
	s_xor_b32 s7, exec_lo, s7
	s_cbranch_execz .LBB134_4023
; %bb.3694:
	v_bfe_u32 v5, v4, 21, 1
	s_mov_b32 s6, exec_lo
	s_delay_alu instid0(VALU_DEP_1) | instskip(NEXT) | instid1(VALU_DEP_1)
	v_add3_u32 v5, v4, v5, 0x88fffff
	v_lshrrev_b32_e32 v5, 21, v5
	s_and_not1_saveexec_b32 s7, s7
	s_cbranch_execnz .LBB134_4024
.LBB134_3695:
	s_or_b32 exec_lo, exec_lo, s7
	v_mov_b32_e32 v6, 0
	s_and_saveexec_b32 s7, s6
.LBB134_3696:
	v_lshrrev_b32_e32 v4, 24, v4
	s_delay_alu instid0(VALU_DEP_1)
	v_and_or_b32 v6, 0x80, v4, v5
.LBB134_3697:
	s_or_b32 exec_lo, exec_lo, s7
.LBB134_3698:
	s_delay_alu instid0(SALU_CYCLE_1)
	s_or_b32 exec_lo, exec_lo, s3
	s_mov_b32 s3, 0
	global_store_b8 v[2:3], v6, off
.LBB134_3699:
	s_and_b32 vcc_lo, exec_lo, s3
	s_cbranch_vccz .LBB134_3709
; %bb.3700:
	s_wait_xcnt 0x0
	v_bfe_i32 v4, v1, 0, 16
	s_mov_b32 s3, exec_lo
                                        ; implicit-def: $vgpr5
	s_delay_alu instid0(VALU_DEP_1) | instskip(NEXT) | instid1(VALU_DEP_1)
	v_cvt_f32_i32_e32 v4, v4
	v_and_b32_e32 v6, 0x7fffffff, v4
	s_delay_alu instid0(VALU_DEP_1)
	v_cmpx_gt_u32_e32 0x43f00000, v6
	s_xor_b32 s3, exec_lo, s3
	s_cbranch_execz .LBB134_3706
; %bb.3701:
	s_mov_b32 s6, exec_lo
                                        ; implicit-def: $vgpr5
	v_cmpx_lt_u32_e32 0x3c7fffff, v6
	s_xor_b32 s6, exec_lo, s6
; %bb.3702:
	v_bfe_u32 v5, v4, 20, 1
	s_delay_alu instid0(VALU_DEP_1) | instskip(NEXT) | instid1(VALU_DEP_1)
	v_add3_u32 v5, v4, v5, 0x407ffff
	v_and_b32_e32 v6, 0xff00000, v5
	v_lshrrev_b32_e32 v5, 20, v5
	s_delay_alu instid0(VALU_DEP_2) | instskip(NEXT) | instid1(VALU_DEP_2)
	v_cmp_ne_u32_e32 vcc_lo, 0x7f00000, v6
	v_cndmask_b32_e32 v5, 0x7e, v5, vcc_lo
; %bb.3703:
	s_and_not1_saveexec_b32 s6, s6
; %bb.3704:
	v_add_f32_e64 v5, 0x46800000, |v4|
; %bb.3705:
	s_or_b32 exec_lo, exec_lo, s6
                                        ; implicit-def: $vgpr6
.LBB134_3706:
	s_and_not1_saveexec_b32 s3, s3
; %bb.3707:
	v_mov_b32_e32 v5, 0x7f
	v_cmp_lt_u32_e32 vcc_lo, 0x7f800000, v6
	s_delay_alu instid0(VALU_DEP_2)
	v_cndmask_b32_e32 v5, 0x7e, v5, vcc_lo
; %bb.3708:
	s_or_b32 exec_lo, exec_lo, s3
	v_lshrrev_b32_e32 v4, 24, v4
	s_delay_alu instid0(VALU_DEP_1)
	v_and_or_b32 v4, 0x80, v4, v5
	global_store_b8 v[2:3], v4, off
.LBB134_3709:
	s_mov_b32 s3, 0
.LBB134_3710:
	s_delay_alu instid0(SALU_CYCLE_1)
	s_and_not1_b32 vcc_lo, exec_lo, s3
	s_cbranch_vccnz .LBB134_3720
; %bb.3711:
	s_wait_xcnt 0x0
	v_bfe_i32 v4, v1, 0, 16
	s_mov_b32 s3, exec_lo
                                        ; implicit-def: $vgpr5
	s_delay_alu instid0(VALU_DEP_1) | instskip(NEXT) | instid1(VALU_DEP_1)
	v_cvt_f32_i32_e32 v4, v4
	v_and_b32_e32 v6, 0x7fffffff, v4
	s_delay_alu instid0(VALU_DEP_1)
	v_cmpx_gt_u32_e32 0x47800000, v6
	s_xor_b32 s3, exec_lo, s3
	s_cbranch_execz .LBB134_3717
; %bb.3712:
	s_mov_b32 s6, exec_lo
                                        ; implicit-def: $vgpr5
	v_cmpx_lt_u32_e32 0x387fffff, v6
	s_xor_b32 s6, exec_lo, s6
; %bb.3713:
	v_bfe_u32 v5, v4, 21, 1
	s_delay_alu instid0(VALU_DEP_1) | instskip(NEXT) | instid1(VALU_DEP_1)
	v_add3_u32 v5, v4, v5, 0x80fffff
	v_lshrrev_b32_e32 v5, 21, v5
; %bb.3714:
	s_and_not1_saveexec_b32 s6, s6
; %bb.3715:
	v_add_f32_e64 v5, 0x43000000, |v4|
; %bb.3716:
	s_or_b32 exec_lo, exec_lo, s6
                                        ; implicit-def: $vgpr6
.LBB134_3717:
	s_and_not1_saveexec_b32 s3, s3
; %bb.3718:
	v_mov_b32_e32 v5, 0x7f
	v_cmp_lt_u32_e32 vcc_lo, 0x7f800000, v6
	s_delay_alu instid0(VALU_DEP_2)
	v_cndmask_b32_e32 v5, 0x7c, v5, vcc_lo
; %bb.3719:
	s_or_b32 exec_lo, exec_lo, s3
	v_lshrrev_b32_e32 v4, 24, v4
	s_delay_alu instid0(VALU_DEP_1)
	v_and_or_b32 v4, 0x80, v4, v5
	global_store_b8 v[2:3], v4, off
.LBB134_3720:
	s_mov_b32 s3, 0
	s_mov_b32 s6, -1
.LBB134_3721:
	s_and_not1_b32 vcc_lo, exec_lo, s3
	s_mov_b32 s3, 0
	s_cbranch_vccnz .LBB134_3728
; %bb.3722:
	s_cmp_gt_i32 s2, 14
	s_mov_b32 s3, -1
	s_cbranch_scc0 .LBB134_3726
; %bb.3723:
	s_cmp_eq_u32 s2, 15
	s_mov_b32 s0, -1
	s_cbranch_scc0 .LBB134_3725
; %bb.3724:
	s_wait_xcnt 0x0
	v_bfe_i32 v4, v1, 0, 16
	s_mov_b32 s0, 0
	s_mov_b32 s6, -1
	s_delay_alu instid0(VALU_DEP_1) | instskip(NEXT) | instid1(VALU_DEP_1)
	v_cvt_f32_i32_e32 v4, v4
	v_bfe_u32 v5, v4, 16, 1
	s_delay_alu instid0(VALU_DEP_1)
	v_add3_u32 v4, v4, v5, 0x7fff
	global_store_d16_hi_b16 v[2:3], v4, off
.LBB134_3725:
	s_mov_b32 s3, 0
.LBB134_3726:
	s_delay_alu instid0(SALU_CYCLE_1)
	s_and_b32 vcc_lo, exec_lo, s3
	s_mov_b32 s3, 0
	s_cbranch_vccz .LBB134_3728
; %bb.3727:
	s_cmp_lg_u32 s2, 11
	s_mov_b32 s3, -1
	s_cselect_b32 s0, -1, 0
.LBB134_3728:
	s_delay_alu instid0(SALU_CYCLE_1)
	s_and_b32 vcc_lo, exec_lo, s0
	s_cbranch_vccnz .LBB134_4022
; %bb.3729:
	s_and_not1_b32 vcc_lo, exec_lo, s3
	s_cbranch_vccnz .LBB134_3731
.LBB134_3730:
	v_cmp_ne_u16_e32 vcc_lo, 0, v1
	s_mov_b32 s6, -1
	s_wait_xcnt 0x0
	v_cndmask_b32_e64 v4, 0, 1, vcc_lo
	global_store_b8 v[2:3], v4, off
.LBB134_3731:
	s_mov_b32 s0, 0
	s_branch .LBB134_3733
.LBB134_3732:
	s_mov_b32 s0, -1
	s_mov_b32 s6, 0
.LBB134_3733:
	s_and_b32 vcc_lo, exec_lo, s0
	s_cbranch_vccz .LBB134_3772
; %bb.3734:
	s_and_b32 s0, 0xffff, s20
	s_mov_b32 s2, -1
	s_cmp_lt_i32 s0, 5
	s_cbranch_scc1 .LBB134_3755
; %bb.3735:
	s_cmp_lt_i32 s0, 8
	s_cbranch_scc1 .LBB134_3745
; %bb.3736:
	;; [unrolled: 3-line block ×3, first 2 shown]
	s_cmp_gt_i32 s0, 9
	s_cbranch_scc0 .LBB134_3739
; %bb.3738:
	s_wait_xcnt 0x0
	v_bfe_i32 v4, v1, 0, 16
	v_mov_b32_e32 v6, 0
	s_mov_b32 s2, 0
	s_delay_alu instid0(VALU_DEP_2) | instskip(NEXT) | instid1(VALU_DEP_2)
	v_cvt_f64_i32_e32 v[4:5], v4
	v_mov_b32_e32 v7, v6
	global_store_b128 v[2:3], v[4:7], off
.LBB134_3739:
	s_and_not1_b32 vcc_lo, exec_lo, s2
	s_cbranch_vccnz .LBB134_3741
; %bb.3740:
	s_wait_xcnt 0x0
	v_bfe_i32 v4, v1, 0, 16
	v_mov_b32_e32 v5, 0
	s_delay_alu instid0(VALU_DEP_2)
	v_cvt_f32_i32_e32 v4, v4
	global_store_b64 v[2:3], v[4:5], off
.LBB134_3741:
	s_mov_b32 s2, 0
.LBB134_3742:
	s_delay_alu instid0(SALU_CYCLE_1)
	s_and_not1_b32 vcc_lo, exec_lo, s2
	s_cbranch_vccnz .LBB134_3744
; %bb.3743:
	s_wait_xcnt 0x0
	v_cvt_f16_i16_e32 v4, v1
	s_delay_alu instid0(VALU_DEP_1)
	v_and_b32_e32 v4, 0xffff, v4
	global_store_b32 v[2:3], v4, off
.LBB134_3744:
	s_mov_b32 s2, 0
.LBB134_3745:
	s_delay_alu instid0(SALU_CYCLE_1)
	s_and_not1_b32 vcc_lo, exec_lo, s2
	s_cbranch_vccnz .LBB134_3754
; %bb.3746:
	s_cmp_lt_i32 s0, 6
	s_mov_b32 s2, -1
	s_cbranch_scc1 .LBB134_3752
; %bb.3747:
	s_cmp_gt_i32 s0, 6
	s_cbranch_scc0 .LBB134_3749
; %bb.3748:
	s_wait_xcnt 0x0
	v_bfe_i32 v4, v1, 0, 16
	s_mov_b32 s2, 0
	s_delay_alu instid0(VALU_DEP_1)
	v_cvt_f64_i32_e32 v[4:5], v4
	global_store_b64 v[2:3], v[4:5], off
.LBB134_3749:
	s_and_not1_b32 vcc_lo, exec_lo, s2
	s_cbranch_vccnz .LBB134_3751
; %bb.3750:
	s_wait_xcnt 0x0
	v_bfe_i32 v4, v1, 0, 16
	s_delay_alu instid0(VALU_DEP_1)
	v_cvt_f32_i32_e32 v4, v4
	global_store_b32 v[2:3], v4, off
.LBB134_3751:
	s_mov_b32 s2, 0
.LBB134_3752:
	s_delay_alu instid0(SALU_CYCLE_1)
	s_and_not1_b32 vcc_lo, exec_lo, s2
	s_cbranch_vccnz .LBB134_3754
; %bb.3753:
	s_wait_xcnt 0x0
	v_cvt_f16_i16_e32 v4, v1
	global_store_b16 v[2:3], v4, off
.LBB134_3754:
	s_mov_b32 s2, 0
.LBB134_3755:
	s_delay_alu instid0(SALU_CYCLE_1)
	s_and_not1_b32 vcc_lo, exec_lo, s2
	s_cbranch_vccnz .LBB134_3771
; %bb.3756:
	s_cmp_lt_i32 s0, 2
	s_mov_b32 s2, -1
	s_cbranch_scc1 .LBB134_3766
; %bb.3757:
	s_cmp_lt_i32 s0, 3
	s_cbranch_scc1 .LBB134_3763
; %bb.3758:
	s_wait_xcnt 0x0
	v_bfe_i32 v4, v1, 0, 16
	s_cmp_gt_i32 s0, 3
	s_cbranch_scc0 .LBB134_3760
; %bb.3759:
	s_delay_alu instid0(VALU_DEP_1)
	v_ashrrev_i32_e32 v5, 31, v4
	s_mov_b32 s2, 0
	global_store_b64 v[2:3], v[4:5], off
.LBB134_3760:
	s_and_not1_b32 vcc_lo, exec_lo, s2
	s_cbranch_vccnz .LBB134_3762
; %bb.3761:
	global_store_b32 v[2:3], v4, off
.LBB134_3762:
	s_mov_b32 s2, 0
.LBB134_3763:
	s_delay_alu instid0(SALU_CYCLE_1)
	s_and_not1_b32 vcc_lo, exec_lo, s2
	s_cbranch_vccnz .LBB134_3765
; %bb.3764:
	global_store_b16 v[2:3], v1, off
.LBB134_3765:
	s_mov_b32 s2, 0
.LBB134_3766:
	s_delay_alu instid0(SALU_CYCLE_1)
	s_and_not1_b32 vcc_lo, exec_lo, s2
	s_cbranch_vccnz .LBB134_3771
; %bb.3767:
	s_cmp_gt_i32 s0, 0
	s_mov_b32 s0, -1
	s_cbranch_scc0 .LBB134_3769
; %bb.3768:
	s_mov_b32 s0, 0
	global_store_b8 v[2:3], v1, off
.LBB134_3769:
	s_and_not1_b32 vcc_lo, exec_lo, s0
	s_cbranch_vccnz .LBB134_3771
; %bb.3770:
	global_store_b8 v[2:3], v1, off
.LBB134_3771:
	s_mov_b32 s6, -1
.LBB134_3772:
	s_delay_alu instid0(SALU_CYCLE_1)
	s_and_not1_b32 vcc_lo, exec_lo, s6
	s_cbranch_vccnz .LBB134_3968
; %bb.3773:
	v_add_nc_u32_e32 v0, s1, v0
	s_wait_xcnt 0x0
	v_max_i16 v4, v10, v14
	s_cmp_lt_i32 s20, 11
	s_delay_alu instid0(VALU_DEP_2) | instskip(NEXT) | instid1(VALU_DEP_1)
	v_ashrrev_i32_e32 v1, 31, v0
	v_add_nc_u64_e32 v[2:3], s[4:5], v[0:1]
	s_delay_alu instid0(VALU_DEP_3)
	v_min_i16 v1, v4, v18
	s_cbranch_scc1 .LBB134_3851
; %bb.3774:
	s_and_b32 s2, 0xffff, s20
	s_mov_b32 s7, -1
	s_mov_b32 s3, 0
	s_cmp_gt_i32 s2, 25
	s_mov_b32 s6, 0
	s_mov_b32 s0, 0
	s_cbranch_scc0 .LBB134_3807
; %bb.3775:
	s_cmp_gt_i32 s2, 28
	s_cbranch_scc0 .LBB134_3790
; %bb.3776:
	s_cmp_gt_i32 s2, 43
	;; [unrolled: 3-line block ×3, first 2 shown]
	s_cbranch_scc0 .LBB134_3780
; %bb.3778:
	s_mov_b32 s0, -1
	s_mov_b32 s7, 0
	s_cmp_eq_u32 s2, 46
	s_cbranch_scc0 .LBB134_3780
; %bb.3779:
	v_bfe_i32 v4, v1, 0, 16
	s_mov_b32 s0, 0
	s_mov_b32 s6, -1
	s_delay_alu instid0(VALU_DEP_1) | instskip(NEXT) | instid1(VALU_DEP_1)
	v_cvt_f32_i32_e32 v4, v4
	v_bfe_u32 v5, v4, 16, 1
	s_delay_alu instid0(VALU_DEP_1) | instskip(NEXT) | instid1(VALU_DEP_1)
	v_add3_u32 v4, v4, v5, 0x7fff
	v_lshrrev_b32_e32 v4, 16, v4
	global_store_b32 v[2:3], v4, off
.LBB134_3780:
	s_and_b32 vcc_lo, exec_lo, s7
	s_cbranch_vccz .LBB134_3785
; %bb.3781:
	s_cmp_eq_u32 s2, 44
	s_mov_b32 s0, -1
	s_cbranch_scc0 .LBB134_3785
; %bb.3782:
	s_wait_xcnt 0x0
	v_bfe_i32 v4, v1, 0, 16
	v_mov_b32_e32 v5, 0xff
	s_mov_b32 s6, exec_lo
	s_delay_alu instid0(VALU_DEP_2) | instskip(NEXT) | instid1(VALU_DEP_1)
	v_cvt_f32_i32_e32 v4, v4
	v_bfe_u32 v6, v4, 23, 8
	s_delay_alu instid0(VALU_DEP_1)
	v_cmpx_ne_u32_e32 0xff, v6
	s_cbranch_execz .LBB134_3784
; %bb.3783:
	v_and_b32_e32 v5, 0x400000, v4
	v_and_or_b32 v6, 0x3fffff, v4, v6
	v_lshrrev_b32_e32 v4, 23, v4
	s_delay_alu instid0(VALU_DEP_3) | instskip(NEXT) | instid1(VALU_DEP_3)
	v_cmp_ne_u32_e32 vcc_lo, 0, v5
	v_cmp_ne_u32_e64 s0, 0, v6
	s_and_b32 s0, vcc_lo, s0
	s_delay_alu instid0(SALU_CYCLE_1) | instskip(NEXT) | instid1(VALU_DEP_1)
	v_cndmask_b32_e64 v5, 0, 1, s0
	v_add_nc_u32_e32 v5, v4, v5
.LBB134_3784:
	s_or_b32 exec_lo, exec_lo, s6
	s_mov_b32 s0, 0
	s_mov_b32 s6, -1
	global_store_b8 v[2:3], v5, off
.LBB134_3785:
	s_mov_b32 s7, 0
.LBB134_3786:
	s_delay_alu instid0(SALU_CYCLE_1)
	s_and_b32 vcc_lo, exec_lo, s7
	s_cbranch_vccz .LBB134_3789
; %bb.3787:
	s_cmp_eq_u32 s2, 29
	s_mov_b32 s0, -1
	s_cbranch_scc0 .LBB134_3789
; %bb.3788:
	s_wait_xcnt 0x0
	v_bfe_i32 v4, v1, 0, 16
	s_mov_b32 s0, 0
	s_mov_b32 s6, -1
	s_delay_alu instid0(VALU_DEP_1)
	v_ashrrev_i32_e32 v5, 31, v4
	global_store_b64 v[2:3], v[4:5], off
.LBB134_3789:
	s_mov_b32 s7, 0
.LBB134_3790:
	s_delay_alu instid0(SALU_CYCLE_1)
	s_and_b32 vcc_lo, exec_lo, s7
	s_cbranch_vccz .LBB134_3806
; %bb.3791:
	s_cmp_lt_i32 s2, 27
	s_mov_b32 s6, -1
	s_cbranch_scc1 .LBB134_3797
; %bb.3792:
	s_cmp_gt_i32 s2, 27
	s_cbranch_scc0 .LBB134_3794
; %bb.3793:
	s_wait_xcnt 0x0
	v_bfe_i32 v4, v1, 0, 16
	s_mov_b32 s6, 0
	global_store_b32 v[2:3], v4, off
.LBB134_3794:
	s_and_not1_b32 vcc_lo, exec_lo, s6
	s_cbranch_vccnz .LBB134_3796
; %bb.3795:
	global_store_b16 v[2:3], v1, off
.LBB134_3796:
	s_mov_b32 s6, 0
.LBB134_3797:
	s_delay_alu instid0(SALU_CYCLE_1)
	s_and_not1_b32 vcc_lo, exec_lo, s6
	s_cbranch_vccnz .LBB134_3805
; %bb.3798:
	s_wait_xcnt 0x0
	v_bfe_i32 v4, v1, 0, 16
	v_mov_b32_e32 v6, 0x80
	s_mov_b32 s6, exec_lo
	s_delay_alu instid0(VALU_DEP_2) | instskip(NEXT) | instid1(VALU_DEP_1)
	v_cvt_f32_i32_e32 v4, v4
	v_and_b32_e32 v5, 0x7fffffff, v4
	s_delay_alu instid0(VALU_DEP_1)
	v_cmpx_gt_u32_e32 0x43800000, v5
	s_cbranch_execz .LBB134_3804
; %bb.3799:
	v_cmp_lt_u32_e32 vcc_lo, 0x3bffffff, v5
	s_mov_b32 s7, 0
                                        ; implicit-def: $vgpr5
	s_and_saveexec_b32 s8, vcc_lo
	s_delay_alu instid0(SALU_CYCLE_1)
	s_xor_b32 s8, exec_lo, s8
	s_cbranch_execz .LBB134_4025
; %bb.3800:
	v_bfe_u32 v5, v4, 20, 1
	s_mov_b32 s7, exec_lo
	s_delay_alu instid0(VALU_DEP_1) | instskip(NEXT) | instid1(VALU_DEP_1)
	v_add3_u32 v5, v4, v5, 0x487ffff
	v_lshrrev_b32_e32 v5, 20, v5
	s_and_not1_saveexec_b32 s8, s8
	s_cbranch_execnz .LBB134_4026
.LBB134_3801:
	s_or_b32 exec_lo, exec_lo, s8
	v_mov_b32_e32 v6, 0
	s_and_saveexec_b32 s8, s7
.LBB134_3802:
	v_lshrrev_b32_e32 v4, 24, v4
	s_delay_alu instid0(VALU_DEP_1)
	v_and_or_b32 v6, 0x80, v4, v5
.LBB134_3803:
	s_or_b32 exec_lo, exec_lo, s8
.LBB134_3804:
	s_delay_alu instid0(SALU_CYCLE_1)
	s_or_b32 exec_lo, exec_lo, s6
	global_store_b8 v[2:3], v6, off
.LBB134_3805:
	s_mov_b32 s6, -1
.LBB134_3806:
	s_mov_b32 s7, 0
.LBB134_3807:
	s_delay_alu instid0(SALU_CYCLE_1)
	s_and_b32 vcc_lo, exec_lo, s7
	s_cbranch_vccz .LBB134_3847
; %bb.3808:
	s_cmp_gt_i32 s2, 22
	s_mov_b32 s3, -1
	s_cbranch_scc0 .LBB134_3840
; %bb.3809:
	s_cmp_lt_i32 s2, 24
	s_cbranch_scc1 .LBB134_3829
; %bb.3810:
	s_cmp_gt_i32 s2, 24
	s_cbranch_scc0 .LBB134_3818
; %bb.3811:
	s_wait_xcnt 0x0
	v_bfe_i32 v4, v1, 0, 16
	v_mov_b32_e32 v6, 0x80
	s_mov_b32 s3, exec_lo
	s_delay_alu instid0(VALU_DEP_2) | instskip(NEXT) | instid1(VALU_DEP_1)
	v_cvt_f32_i32_e32 v4, v4
	v_and_b32_e32 v5, 0x7fffffff, v4
	s_delay_alu instid0(VALU_DEP_1)
	v_cmpx_gt_u32_e32 0x47800000, v5
	s_cbranch_execz .LBB134_3817
; %bb.3812:
	v_cmp_lt_u32_e32 vcc_lo, 0x37ffffff, v5
	s_mov_b32 s6, 0
                                        ; implicit-def: $vgpr5
	s_and_saveexec_b32 s7, vcc_lo
	s_delay_alu instid0(SALU_CYCLE_1)
	s_xor_b32 s7, exec_lo, s7
	s_cbranch_execz .LBB134_4028
; %bb.3813:
	v_bfe_u32 v5, v4, 21, 1
	s_mov_b32 s6, exec_lo
	s_delay_alu instid0(VALU_DEP_1) | instskip(NEXT) | instid1(VALU_DEP_1)
	v_add3_u32 v5, v4, v5, 0x88fffff
	v_lshrrev_b32_e32 v5, 21, v5
	s_and_not1_saveexec_b32 s7, s7
	s_cbranch_execnz .LBB134_4029
.LBB134_3814:
	s_or_b32 exec_lo, exec_lo, s7
	v_mov_b32_e32 v6, 0
	s_and_saveexec_b32 s7, s6
.LBB134_3815:
	v_lshrrev_b32_e32 v4, 24, v4
	s_delay_alu instid0(VALU_DEP_1)
	v_and_or_b32 v6, 0x80, v4, v5
.LBB134_3816:
	s_or_b32 exec_lo, exec_lo, s7
.LBB134_3817:
	s_delay_alu instid0(SALU_CYCLE_1)
	s_or_b32 exec_lo, exec_lo, s3
	s_mov_b32 s3, 0
	global_store_b8 v[2:3], v6, off
.LBB134_3818:
	s_and_b32 vcc_lo, exec_lo, s3
	s_cbranch_vccz .LBB134_3828
; %bb.3819:
	s_wait_xcnt 0x0
	v_bfe_i32 v4, v1, 0, 16
	s_mov_b32 s3, exec_lo
                                        ; implicit-def: $vgpr5
	s_delay_alu instid0(VALU_DEP_1) | instskip(NEXT) | instid1(VALU_DEP_1)
	v_cvt_f32_i32_e32 v4, v4
	v_and_b32_e32 v6, 0x7fffffff, v4
	s_delay_alu instid0(VALU_DEP_1)
	v_cmpx_gt_u32_e32 0x43f00000, v6
	s_xor_b32 s3, exec_lo, s3
	s_cbranch_execz .LBB134_3825
; %bb.3820:
	s_mov_b32 s6, exec_lo
                                        ; implicit-def: $vgpr5
	v_cmpx_lt_u32_e32 0x3c7fffff, v6
	s_xor_b32 s6, exec_lo, s6
; %bb.3821:
	v_bfe_u32 v5, v4, 20, 1
	s_delay_alu instid0(VALU_DEP_1) | instskip(NEXT) | instid1(VALU_DEP_1)
	v_add3_u32 v5, v4, v5, 0x407ffff
	v_and_b32_e32 v6, 0xff00000, v5
	v_lshrrev_b32_e32 v5, 20, v5
	s_delay_alu instid0(VALU_DEP_2) | instskip(NEXT) | instid1(VALU_DEP_2)
	v_cmp_ne_u32_e32 vcc_lo, 0x7f00000, v6
	v_cndmask_b32_e32 v5, 0x7e, v5, vcc_lo
; %bb.3822:
	s_and_not1_saveexec_b32 s6, s6
; %bb.3823:
	v_add_f32_e64 v5, 0x46800000, |v4|
; %bb.3824:
	s_or_b32 exec_lo, exec_lo, s6
                                        ; implicit-def: $vgpr6
.LBB134_3825:
	s_and_not1_saveexec_b32 s3, s3
; %bb.3826:
	v_mov_b32_e32 v5, 0x7f
	v_cmp_lt_u32_e32 vcc_lo, 0x7f800000, v6
	s_delay_alu instid0(VALU_DEP_2)
	v_cndmask_b32_e32 v5, 0x7e, v5, vcc_lo
; %bb.3827:
	s_or_b32 exec_lo, exec_lo, s3
	v_lshrrev_b32_e32 v4, 24, v4
	s_delay_alu instid0(VALU_DEP_1)
	v_and_or_b32 v4, 0x80, v4, v5
	global_store_b8 v[2:3], v4, off
.LBB134_3828:
	s_mov_b32 s3, 0
.LBB134_3829:
	s_delay_alu instid0(SALU_CYCLE_1)
	s_and_not1_b32 vcc_lo, exec_lo, s3
	s_cbranch_vccnz .LBB134_3839
; %bb.3830:
	s_wait_xcnt 0x0
	v_bfe_i32 v4, v1, 0, 16
	s_mov_b32 s3, exec_lo
                                        ; implicit-def: $vgpr5
	s_delay_alu instid0(VALU_DEP_1) | instskip(NEXT) | instid1(VALU_DEP_1)
	v_cvt_f32_i32_e32 v4, v4
	v_and_b32_e32 v6, 0x7fffffff, v4
	s_delay_alu instid0(VALU_DEP_1)
	v_cmpx_gt_u32_e32 0x47800000, v6
	s_xor_b32 s3, exec_lo, s3
	s_cbranch_execz .LBB134_3836
; %bb.3831:
	s_mov_b32 s6, exec_lo
                                        ; implicit-def: $vgpr5
	v_cmpx_lt_u32_e32 0x387fffff, v6
	s_xor_b32 s6, exec_lo, s6
; %bb.3832:
	v_bfe_u32 v5, v4, 21, 1
	s_delay_alu instid0(VALU_DEP_1) | instskip(NEXT) | instid1(VALU_DEP_1)
	v_add3_u32 v5, v4, v5, 0x80fffff
	v_lshrrev_b32_e32 v5, 21, v5
; %bb.3833:
	s_and_not1_saveexec_b32 s6, s6
; %bb.3834:
	v_add_f32_e64 v5, 0x43000000, |v4|
; %bb.3835:
	s_or_b32 exec_lo, exec_lo, s6
                                        ; implicit-def: $vgpr6
.LBB134_3836:
	s_and_not1_saveexec_b32 s3, s3
; %bb.3837:
	v_mov_b32_e32 v5, 0x7f
	v_cmp_lt_u32_e32 vcc_lo, 0x7f800000, v6
	s_delay_alu instid0(VALU_DEP_2)
	v_cndmask_b32_e32 v5, 0x7c, v5, vcc_lo
; %bb.3838:
	s_or_b32 exec_lo, exec_lo, s3
	v_lshrrev_b32_e32 v4, 24, v4
	s_delay_alu instid0(VALU_DEP_1)
	v_and_or_b32 v4, 0x80, v4, v5
	global_store_b8 v[2:3], v4, off
.LBB134_3839:
	s_mov_b32 s3, 0
	s_mov_b32 s6, -1
.LBB134_3840:
	s_and_not1_b32 vcc_lo, exec_lo, s3
	s_mov_b32 s3, 0
	s_cbranch_vccnz .LBB134_3847
; %bb.3841:
	s_cmp_gt_i32 s2, 14
	s_mov_b32 s3, -1
	s_cbranch_scc0 .LBB134_3845
; %bb.3842:
	s_cmp_eq_u32 s2, 15
	s_mov_b32 s0, -1
	s_cbranch_scc0 .LBB134_3844
; %bb.3843:
	s_wait_xcnt 0x0
	v_bfe_i32 v4, v1, 0, 16
	s_mov_b32 s0, 0
	s_mov_b32 s6, -1
	s_delay_alu instid0(VALU_DEP_1) | instskip(NEXT) | instid1(VALU_DEP_1)
	v_cvt_f32_i32_e32 v4, v4
	v_bfe_u32 v5, v4, 16, 1
	s_delay_alu instid0(VALU_DEP_1)
	v_add3_u32 v4, v4, v5, 0x7fff
	global_store_d16_hi_b16 v[2:3], v4, off
.LBB134_3844:
	s_mov_b32 s3, 0
.LBB134_3845:
	s_delay_alu instid0(SALU_CYCLE_1)
	s_and_b32 vcc_lo, exec_lo, s3
	s_mov_b32 s3, 0
	s_cbranch_vccz .LBB134_3847
; %bb.3846:
	s_cmp_lg_u32 s2, 11
	s_mov_b32 s3, -1
	s_cselect_b32 s0, -1, 0
.LBB134_3847:
	s_delay_alu instid0(SALU_CYCLE_1)
	s_and_b32 vcc_lo, exec_lo, s0
	s_cbranch_vccnz .LBB134_4027
; %bb.3848:
	s_and_not1_b32 vcc_lo, exec_lo, s3
	s_cbranch_vccnz .LBB134_3850
.LBB134_3849:
	v_cmp_ne_u16_e32 vcc_lo, 0, v1
	s_mov_b32 s6, -1
	s_wait_xcnt 0x0
	v_cndmask_b32_e64 v4, 0, 1, vcc_lo
	global_store_b8 v[2:3], v4, off
.LBB134_3850:
	s_mov_b32 s0, 0
	s_branch .LBB134_3852
.LBB134_3851:
	s_mov_b32 s0, -1
	s_mov_b32 s6, 0
.LBB134_3852:
	s_and_b32 vcc_lo, exec_lo, s0
	s_cbranch_vccz .LBB134_3891
; %bb.3853:
	s_and_b32 s0, 0xffff, s20
	s_mov_b32 s2, -1
	s_cmp_lt_i32 s0, 5
	s_cbranch_scc1 .LBB134_3874
; %bb.3854:
	s_cmp_lt_i32 s0, 8
	s_cbranch_scc1 .LBB134_3864
; %bb.3855:
	;; [unrolled: 3-line block ×3, first 2 shown]
	s_cmp_gt_i32 s0, 9
	s_cbranch_scc0 .LBB134_3858
; %bb.3857:
	s_wait_xcnt 0x0
	v_bfe_i32 v4, v1, 0, 16
	v_mov_b32_e32 v6, 0
	s_mov_b32 s2, 0
	s_delay_alu instid0(VALU_DEP_2) | instskip(NEXT) | instid1(VALU_DEP_2)
	v_cvt_f64_i32_e32 v[4:5], v4
	v_mov_b32_e32 v7, v6
	global_store_b128 v[2:3], v[4:7], off
.LBB134_3858:
	s_and_not1_b32 vcc_lo, exec_lo, s2
	s_cbranch_vccnz .LBB134_3860
; %bb.3859:
	s_wait_xcnt 0x0
	v_bfe_i32 v4, v1, 0, 16
	v_mov_b32_e32 v5, 0
	s_delay_alu instid0(VALU_DEP_2)
	v_cvt_f32_i32_e32 v4, v4
	global_store_b64 v[2:3], v[4:5], off
.LBB134_3860:
	s_mov_b32 s2, 0
.LBB134_3861:
	s_delay_alu instid0(SALU_CYCLE_1)
	s_and_not1_b32 vcc_lo, exec_lo, s2
	s_cbranch_vccnz .LBB134_3863
; %bb.3862:
	s_wait_xcnt 0x0
	v_cvt_f16_i16_e32 v4, v1
	s_delay_alu instid0(VALU_DEP_1)
	v_and_b32_e32 v4, 0xffff, v4
	global_store_b32 v[2:3], v4, off
.LBB134_3863:
	s_mov_b32 s2, 0
.LBB134_3864:
	s_delay_alu instid0(SALU_CYCLE_1)
	s_and_not1_b32 vcc_lo, exec_lo, s2
	s_cbranch_vccnz .LBB134_3873
; %bb.3865:
	s_cmp_lt_i32 s0, 6
	s_mov_b32 s2, -1
	s_cbranch_scc1 .LBB134_3871
; %bb.3866:
	s_cmp_gt_i32 s0, 6
	s_cbranch_scc0 .LBB134_3868
; %bb.3867:
	s_wait_xcnt 0x0
	v_bfe_i32 v4, v1, 0, 16
	s_mov_b32 s2, 0
	s_delay_alu instid0(VALU_DEP_1)
	v_cvt_f64_i32_e32 v[4:5], v4
	global_store_b64 v[2:3], v[4:5], off
.LBB134_3868:
	s_and_not1_b32 vcc_lo, exec_lo, s2
	s_cbranch_vccnz .LBB134_3870
; %bb.3869:
	s_wait_xcnt 0x0
	v_bfe_i32 v4, v1, 0, 16
	s_delay_alu instid0(VALU_DEP_1)
	v_cvt_f32_i32_e32 v4, v4
	global_store_b32 v[2:3], v4, off
.LBB134_3870:
	s_mov_b32 s2, 0
.LBB134_3871:
	s_delay_alu instid0(SALU_CYCLE_1)
	s_and_not1_b32 vcc_lo, exec_lo, s2
	s_cbranch_vccnz .LBB134_3873
; %bb.3872:
	s_wait_xcnt 0x0
	v_cvt_f16_i16_e32 v4, v1
	global_store_b16 v[2:3], v4, off
.LBB134_3873:
	s_mov_b32 s2, 0
.LBB134_3874:
	s_delay_alu instid0(SALU_CYCLE_1)
	s_and_not1_b32 vcc_lo, exec_lo, s2
	s_cbranch_vccnz .LBB134_3890
; %bb.3875:
	s_cmp_lt_i32 s0, 2
	s_mov_b32 s2, -1
	s_cbranch_scc1 .LBB134_3885
; %bb.3876:
	s_cmp_lt_i32 s0, 3
	s_cbranch_scc1 .LBB134_3882
; %bb.3877:
	s_wait_xcnt 0x0
	v_bfe_i32 v4, v1, 0, 16
	s_cmp_gt_i32 s0, 3
	s_cbranch_scc0 .LBB134_3879
; %bb.3878:
	s_delay_alu instid0(VALU_DEP_1)
	v_ashrrev_i32_e32 v5, 31, v4
	s_mov_b32 s2, 0
	global_store_b64 v[2:3], v[4:5], off
.LBB134_3879:
	s_and_not1_b32 vcc_lo, exec_lo, s2
	s_cbranch_vccnz .LBB134_3881
; %bb.3880:
	global_store_b32 v[2:3], v4, off
.LBB134_3881:
	s_mov_b32 s2, 0
.LBB134_3882:
	s_delay_alu instid0(SALU_CYCLE_1)
	s_and_not1_b32 vcc_lo, exec_lo, s2
	s_cbranch_vccnz .LBB134_3884
; %bb.3883:
	global_store_b16 v[2:3], v1, off
.LBB134_3884:
	s_mov_b32 s2, 0
.LBB134_3885:
	s_delay_alu instid0(SALU_CYCLE_1)
	s_and_not1_b32 vcc_lo, exec_lo, s2
	s_cbranch_vccnz .LBB134_3890
; %bb.3886:
	s_cmp_gt_i32 s0, 0
	s_mov_b32 s0, -1
	s_cbranch_scc0 .LBB134_3888
; %bb.3887:
	s_mov_b32 s0, 0
	global_store_b8 v[2:3], v1, off
.LBB134_3888:
	s_and_not1_b32 vcc_lo, exec_lo, s0
	s_cbranch_vccnz .LBB134_3890
; %bb.3889:
	global_store_b8 v[2:3], v1, off
.LBB134_3890:
	s_mov_b32 s6, -1
.LBB134_3891:
	s_delay_alu instid0(SALU_CYCLE_1)
	s_and_not1_b32 vcc_lo, exec_lo, s6
	s_cbranch_vccnz .LBB134_3968
; %bb.3892:
	v_add_nc_u32_e32 v0, s1, v0
	s_wait_xcnt 0x0
	v_max_i16 v2, v16, v20
	s_cmp_lt_i32 s20, 11
	s_delay_alu instid0(VALU_DEP_2) | instskip(NEXT) | instid1(VALU_DEP_2)
	v_ashrrev_i32_e32 v1, 31, v0
	v_min_i16 v4, v2, v22
	s_delay_alu instid0(VALU_DEP_2)
	v_add_nc_u64_e32 v[0:1], s[4:5], v[0:1]
	s_cbranch_scc1 .LBB134_4013
; %bb.3893:
	s_and_b32 s2, 0xffff, s20
	s_mov_b32 s3, -1
	s_mov_b32 s1, 0
	s_cmp_gt_i32 s2, 25
	s_mov_b32 s0, 0
	s_cbranch_scc0 .LBB134_3926
; %bb.3894:
	s_cmp_gt_i32 s2, 28
	s_cbranch_scc0 .LBB134_3910
; %bb.3895:
	s_cmp_gt_i32 s2, 43
	;; [unrolled: 3-line block ×3, first 2 shown]
	s_cbranch_scc0 .LBB134_3900
; %bb.3897:
	s_cmp_eq_u32 s2, 46
	s_mov_b32 s0, -1
	s_cbranch_scc0 .LBB134_3899
; %bb.3898:
	v_bfe_i32 v2, v4, 0, 16
	s_mov_b32 s0, 0
	s_delay_alu instid0(VALU_DEP_1) | instskip(NEXT) | instid1(VALU_DEP_1)
	v_cvt_f32_i32_e32 v2, v2
	v_bfe_u32 v3, v2, 16, 1
	s_delay_alu instid0(VALU_DEP_1) | instskip(NEXT) | instid1(VALU_DEP_1)
	v_add3_u32 v2, v2, v3, 0x7fff
	v_lshrrev_b32_e32 v2, 16, v2
	global_store_b32 v[0:1], v2, off
.LBB134_3899:
	s_mov_b32 s3, 0
.LBB134_3900:
	s_delay_alu instid0(SALU_CYCLE_1)
	s_and_b32 vcc_lo, exec_lo, s3
	s_cbranch_vccz .LBB134_3905
; %bb.3901:
	s_cmp_eq_u32 s2, 44
	s_mov_b32 s0, -1
	s_cbranch_scc0 .LBB134_3905
; %bb.3902:
	s_wait_xcnt 0x0
	v_bfe_i32 v2, v4, 0, 16
	v_mov_b32_e32 v3, 0xff
	s_mov_b32 s3, exec_lo
	s_delay_alu instid0(VALU_DEP_2) | instskip(NEXT) | instid1(VALU_DEP_1)
	v_cvt_f32_i32_e32 v2, v2
	v_bfe_u32 v5, v2, 23, 8
	s_delay_alu instid0(VALU_DEP_1)
	v_cmpx_ne_u32_e32 0xff, v5
	s_cbranch_execz .LBB134_3904
; %bb.3903:
	v_and_b32_e32 v3, 0x400000, v2
	v_and_or_b32 v5, 0x3fffff, v2, v5
	v_lshrrev_b32_e32 v2, 23, v2
	s_delay_alu instid0(VALU_DEP_3) | instskip(NEXT) | instid1(VALU_DEP_3)
	v_cmp_ne_u32_e32 vcc_lo, 0, v3
	v_cmp_ne_u32_e64 s0, 0, v5
	s_and_b32 s0, vcc_lo, s0
	s_delay_alu instid0(SALU_CYCLE_1) | instskip(NEXT) | instid1(VALU_DEP_1)
	v_cndmask_b32_e64 v3, 0, 1, s0
	v_add_nc_u32_e32 v3, v2, v3
.LBB134_3904:
	s_or_b32 exec_lo, exec_lo, s3
	s_mov_b32 s0, 0
	global_store_b8 v[0:1], v3, off
.LBB134_3905:
	s_mov_b32 s3, 0
.LBB134_3906:
	s_delay_alu instid0(SALU_CYCLE_1)
	s_and_b32 vcc_lo, exec_lo, s3
	s_cbranch_vccz .LBB134_3909
; %bb.3907:
	s_cmp_eq_u32 s2, 29
	s_mov_b32 s0, -1
	s_cbranch_scc0 .LBB134_3909
; %bb.3908:
	s_wait_xcnt 0x0
	v_bfe_i32 v2, v4, 0, 16
	s_mov_b32 s0, 0
	s_delay_alu instid0(VALU_DEP_1)
	v_ashrrev_i32_e32 v3, 31, v2
	global_store_b64 v[0:1], v[2:3], off
.LBB134_3909:
	s_mov_b32 s3, 0
.LBB134_3910:
	s_delay_alu instid0(SALU_CYCLE_1)
	s_and_b32 vcc_lo, exec_lo, s3
	s_cbranch_vccz .LBB134_3925
; %bb.3911:
	s_cmp_lt_i32 s2, 27
	s_mov_b32 s3, -1
	s_cbranch_scc1 .LBB134_3917
; %bb.3912:
	s_cmp_gt_i32 s2, 27
	s_cbranch_scc0 .LBB134_3914
; %bb.3913:
	s_wait_xcnt 0x0
	v_bfe_i32 v2, v4, 0, 16
	s_mov_b32 s3, 0
	global_store_b32 v[0:1], v2, off
.LBB134_3914:
	s_and_not1_b32 vcc_lo, exec_lo, s3
	s_cbranch_vccnz .LBB134_3916
; %bb.3915:
	global_store_b16 v[0:1], v4, off
.LBB134_3916:
	s_mov_b32 s3, 0
.LBB134_3917:
	s_delay_alu instid0(SALU_CYCLE_1)
	s_and_not1_b32 vcc_lo, exec_lo, s3
	s_cbranch_vccnz .LBB134_3925
; %bb.3918:
	s_wait_xcnt 0x0
	v_bfe_i32 v2, v4, 0, 16
	v_mov_b32_e32 v5, 0x80
	s_mov_b32 s3, exec_lo
	s_delay_alu instid0(VALU_DEP_2) | instskip(NEXT) | instid1(VALU_DEP_1)
	v_cvt_f32_i32_e32 v2, v2
	v_and_b32_e32 v3, 0x7fffffff, v2
	s_delay_alu instid0(VALU_DEP_1)
	v_cmpx_gt_u32_e32 0x43800000, v3
	s_cbranch_execz .LBB134_3924
; %bb.3919:
	v_cmp_lt_u32_e32 vcc_lo, 0x3bffffff, v3
	s_mov_b32 s4, 0
                                        ; implicit-def: $vgpr3
	s_and_saveexec_b32 s5, vcc_lo
	s_delay_alu instid0(SALU_CYCLE_1)
	s_xor_b32 s5, exec_lo, s5
	s_cbranch_execz .LBB134_4030
; %bb.3920:
	v_bfe_u32 v3, v2, 20, 1
	s_mov_b32 s4, exec_lo
	s_delay_alu instid0(VALU_DEP_1) | instskip(NEXT) | instid1(VALU_DEP_1)
	v_add3_u32 v3, v2, v3, 0x487ffff
	v_lshrrev_b32_e32 v3, 20, v3
	s_and_not1_saveexec_b32 s5, s5
	s_cbranch_execnz .LBB134_4031
.LBB134_3921:
	s_or_b32 exec_lo, exec_lo, s5
	v_mov_b32_e32 v5, 0
	s_and_saveexec_b32 s5, s4
.LBB134_3922:
	v_lshrrev_b32_e32 v2, 24, v2
	s_delay_alu instid0(VALU_DEP_1)
	v_and_or_b32 v5, 0x80, v2, v3
.LBB134_3923:
	s_or_b32 exec_lo, exec_lo, s5
.LBB134_3924:
	s_delay_alu instid0(SALU_CYCLE_1)
	s_or_b32 exec_lo, exec_lo, s3
	global_store_b8 v[0:1], v5, off
.LBB134_3925:
	s_mov_b32 s3, 0
.LBB134_3926:
	s_delay_alu instid0(SALU_CYCLE_1)
	s_and_b32 vcc_lo, exec_lo, s3
	s_cbranch_vccz .LBB134_3966
; %bb.3927:
	s_cmp_gt_i32 s2, 22
	s_mov_b32 s1, -1
	s_cbranch_scc0 .LBB134_3959
; %bb.3928:
	s_cmp_lt_i32 s2, 24
	s_cbranch_scc1 .LBB134_3948
; %bb.3929:
	s_cmp_gt_i32 s2, 24
	s_cbranch_scc0 .LBB134_3937
; %bb.3930:
	s_wait_xcnt 0x0
	v_bfe_i32 v2, v4, 0, 16
	v_mov_b32_e32 v5, 0x80
	s_mov_b32 s1, exec_lo
	s_delay_alu instid0(VALU_DEP_2) | instskip(NEXT) | instid1(VALU_DEP_1)
	v_cvt_f32_i32_e32 v2, v2
	v_and_b32_e32 v3, 0x7fffffff, v2
	s_delay_alu instid0(VALU_DEP_1)
	v_cmpx_gt_u32_e32 0x47800000, v3
	s_cbranch_execz .LBB134_3936
; %bb.3931:
	v_cmp_lt_u32_e32 vcc_lo, 0x37ffffff, v3
	s_mov_b32 s3, 0
                                        ; implicit-def: $vgpr3
	s_and_saveexec_b32 s4, vcc_lo
	s_delay_alu instid0(SALU_CYCLE_1)
	s_xor_b32 s4, exec_lo, s4
	s_cbranch_execz .LBB134_4033
; %bb.3932:
	v_bfe_u32 v3, v2, 21, 1
	s_mov_b32 s3, exec_lo
	s_delay_alu instid0(VALU_DEP_1) | instskip(NEXT) | instid1(VALU_DEP_1)
	v_add3_u32 v3, v2, v3, 0x88fffff
	v_lshrrev_b32_e32 v3, 21, v3
	s_and_not1_saveexec_b32 s4, s4
	s_cbranch_execnz .LBB134_4034
.LBB134_3933:
	s_or_b32 exec_lo, exec_lo, s4
	v_mov_b32_e32 v5, 0
	s_and_saveexec_b32 s4, s3
.LBB134_3934:
	v_lshrrev_b32_e32 v2, 24, v2
	s_delay_alu instid0(VALU_DEP_1)
	v_and_or_b32 v5, 0x80, v2, v3
.LBB134_3935:
	s_or_b32 exec_lo, exec_lo, s4
.LBB134_3936:
	s_delay_alu instid0(SALU_CYCLE_1)
	s_or_b32 exec_lo, exec_lo, s1
	s_mov_b32 s1, 0
	global_store_b8 v[0:1], v5, off
.LBB134_3937:
	s_and_b32 vcc_lo, exec_lo, s1
	s_cbranch_vccz .LBB134_3947
; %bb.3938:
	s_wait_xcnt 0x0
	v_bfe_i32 v2, v4, 0, 16
	s_mov_b32 s1, exec_lo
                                        ; implicit-def: $vgpr3
	s_delay_alu instid0(VALU_DEP_1) | instskip(NEXT) | instid1(VALU_DEP_1)
	v_cvt_f32_i32_e32 v2, v2
	v_and_b32_e32 v5, 0x7fffffff, v2
	s_delay_alu instid0(VALU_DEP_1)
	v_cmpx_gt_u32_e32 0x43f00000, v5
	s_xor_b32 s1, exec_lo, s1
	s_cbranch_execz .LBB134_3944
; %bb.3939:
	s_mov_b32 s3, exec_lo
                                        ; implicit-def: $vgpr3
	v_cmpx_lt_u32_e32 0x3c7fffff, v5
	s_xor_b32 s3, exec_lo, s3
; %bb.3940:
	v_bfe_u32 v3, v2, 20, 1
	s_delay_alu instid0(VALU_DEP_1) | instskip(NEXT) | instid1(VALU_DEP_1)
	v_add3_u32 v3, v2, v3, 0x407ffff
	v_and_b32_e32 v5, 0xff00000, v3
	v_lshrrev_b32_e32 v3, 20, v3
	s_delay_alu instid0(VALU_DEP_2) | instskip(NEXT) | instid1(VALU_DEP_2)
	v_cmp_ne_u32_e32 vcc_lo, 0x7f00000, v5
	v_cndmask_b32_e32 v3, 0x7e, v3, vcc_lo
; %bb.3941:
	s_and_not1_saveexec_b32 s3, s3
; %bb.3942:
	v_add_f32_e64 v3, 0x46800000, |v2|
; %bb.3943:
	s_or_b32 exec_lo, exec_lo, s3
                                        ; implicit-def: $vgpr5
.LBB134_3944:
	s_and_not1_saveexec_b32 s1, s1
; %bb.3945:
	v_mov_b32_e32 v3, 0x7f
	v_cmp_lt_u32_e32 vcc_lo, 0x7f800000, v5
	s_delay_alu instid0(VALU_DEP_2)
	v_cndmask_b32_e32 v3, 0x7e, v3, vcc_lo
; %bb.3946:
	s_or_b32 exec_lo, exec_lo, s1
	v_lshrrev_b32_e32 v2, 24, v2
	s_delay_alu instid0(VALU_DEP_1)
	v_and_or_b32 v2, 0x80, v2, v3
	global_store_b8 v[0:1], v2, off
.LBB134_3947:
	s_mov_b32 s1, 0
.LBB134_3948:
	s_delay_alu instid0(SALU_CYCLE_1)
	s_and_not1_b32 vcc_lo, exec_lo, s1
	s_cbranch_vccnz .LBB134_3958
; %bb.3949:
	s_wait_xcnt 0x0
	v_bfe_i32 v2, v4, 0, 16
	s_mov_b32 s1, exec_lo
                                        ; implicit-def: $vgpr3
	s_delay_alu instid0(VALU_DEP_1) | instskip(NEXT) | instid1(VALU_DEP_1)
	v_cvt_f32_i32_e32 v2, v2
	v_and_b32_e32 v5, 0x7fffffff, v2
	s_delay_alu instid0(VALU_DEP_1)
	v_cmpx_gt_u32_e32 0x47800000, v5
	s_xor_b32 s1, exec_lo, s1
	s_cbranch_execz .LBB134_3955
; %bb.3950:
	s_mov_b32 s3, exec_lo
                                        ; implicit-def: $vgpr3
	v_cmpx_lt_u32_e32 0x387fffff, v5
	s_xor_b32 s3, exec_lo, s3
; %bb.3951:
	v_bfe_u32 v3, v2, 21, 1
	s_delay_alu instid0(VALU_DEP_1) | instskip(NEXT) | instid1(VALU_DEP_1)
	v_add3_u32 v3, v2, v3, 0x80fffff
	v_lshrrev_b32_e32 v3, 21, v3
; %bb.3952:
	s_and_not1_saveexec_b32 s3, s3
; %bb.3953:
	v_add_f32_e64 v3, 0x43000000, |v2|
; %bb.3954:
	s_or_b32 exec_lo, exec_lo, s3
                                        ; implicit-def: $vgpr5
.LBB134_3955:
	s_and_not1_saveexec_b32 s1, s1
; %bb.3956:
	v_mov_b32_e32 v3, 0x7f
	v_cmp_lt_u32_e32 vcc_lo, 0x7f800000, v5
	s_delay_alu instid0(VALU_DEP_2)
	v_cndmask_b32_e32 v3, 0x7c, v3, vcc_lo
; %bb.3957:
	s_or_b32 exec_lo, exec_lo, s1
	v_lshrrev_b32_e32 v2, 24, v2
	s_delay_alu instid0(VALU_DEP_1)
	v_and_or_b32 v2, 0x80, v2, v3
	global_store_b8 v[0:1], v2, off
.LBB134_3958:
	s_mov_b32 s1, 0
.LBB134_3959:
	s_delay_alu instid0(SALU_CYCLE_1)
	s_and_not1_b32 vcc_lo, exec_lo, s1
	s_mov_b32 s1, 0
	s_cbranch_vccnz .LBB134_3966
; %bb.3960:
	s_cmp_gt_i32 s2, 14
	s_mov_b32 s1, -1
	s_cbranch_scc0 .LBB134_3964
; %bb.3961:
	s_cmp_eq_u32 s2, 15
	s_mov_b32 s0, -1
	s_cbranch_scc0 .LBB134_3963
; %bb.3962:
	s_wait_xcnt 0x0
	v_bfe_i32 v2, v4, 0, 16
	s_mov_b32 s0, 0
	s_delay_alu instid0(VALU_DEP_1) | instskip(NEXT) | instid1(VALU_DEP_1)
	v_cvt_f32_i32_e32 v2, v2
	v_bfe_u32 v3, v2, 16, 1
	s_delay_alu instid0(VALU_DEP_1)
	v_add3_u32 v2, v2, v3, 0x7fff
	global_store_d16_hi_b16 v[0:1], v2, off
.LBB134_3963:
	s_mov_b32 s1, 0
.LBB134_3964:
	s_delay_alu instid0(SALU_CYCLE_1)
	s_and_b32 vcc_lo, exec_lo, s1
	s_mov_b32 s1, 0
	s_cbranch_vccz .LBB134_3966
; %bb.3965:
	s_cmp_lg_u32 s2, 11
	s_mov_b32 s1, -1
	s_cselect_b32 s0, -1, 0
.LBB134_3966:
	s_delay_alu instid0(SALU_CYCLE_1)
	s_and_b32 vcc_lo, exec_lo, s0
	s_cbranch_vccnz .LBB134_4032
.LBB134_3967:
	s_mov_b32 s0, 0
	s_branch .LBB134_3969
.LBB134_3968:
	s_mov_b32 s0, 0
	s_mov_b32 s1, 0
                                        ; implicit-def: $sgpr20
                                        ; implicit-def: $vgpr0_vgpr1
                                        ; implicit-def: $vgpr4
.LBB134_3969:
	s_and_not1_b32 s2, s19, exec_lo
	s_and_b32 s3, s16, exec_lo
	s_and_b32 s0, s0, exec_lo
	;; [unrolled: 1-line block ×3, first 2 shown]
	s_or_b32 s19, s2, s3
.LBB134_3970:
	s_wait_xcnt 0x0
	s_or_b32 exec_lo, exec_lo, s18
	s_and_saveexec_b32 s1, s19
	s_cbranch_execz .LBB134_3973
; %bb.3971:
	; divergent unreachable
	s_or_b32 exec_lo, exec_lo, s1
	s_and_saveexec_b32 s1, s16
	s_delay_alu instid0(SALU_CYCLE_1)
	s_xor_b32 s1, exec_lo, s1
	s_cbranch_execnz .LBB134_3974
.LBB134_3972:
	s_or_b32 exec_lo, exec_lo, s1
	s_and_saveexec_b32 s1, s0
	s_cbranch_execnz .LBB134_3975
	s_branch .LBB134_4012
.LBB134_3973:
	s_or_b32 exec_lo, exec_lo, s1
	s_and_saveexec_b32 s1, s16
	s_delay_alu instid0(SALU_CYCLE_1)
	s_xor_b32 s1, exec_lo, s1
	s_cbranch_execz .LBB134_3972
.LBB134_3974:
	s_wait_loadcnt 0x0
	s_delay_alu instid0(VALU_DEP_1)
	v_cmp_ne_u16_e32 vcc_lo, 0, v4
	v_cndmask_b32_e64 v2, 0, 1, vcc_lo
	global_store_b8 v[0:1], v2, off
	s_wait_xcnt 0x0
	s_or_b32 exec_lo, exec_lo, s1
	s_and_saveexec_b32 s1, s0
	s_cbranch_execz .LBB134_4012
.LBB134_3975:
	s_sext_i32_i16 s1, s20
	s_mov_b32 s0, -1
	s_cmp_lt_i32 s1, 5
	s_cbranch_scc1 .LBB134_3996
; %bb.3976:
	s_cmp_lt_i32 s1, 8
	s_cbranch_scc1 .LBB134_3986
; %bb.3977:
	s_cmp_lt_i32 s1, 9
	s_cbranch_scc1 .LBB134_3983
; %bb.3978:
	s_wait_loadcnt 0x0
	v_bfe_i32 v2, v4, 0, 16
	s_cmp_gt_i32 s1, 9
	s_cbranch_scc0 .LBB134_3980
; %bb.3979:
	s_delay_alu instid0(VALU_DEP_1) | instskip(SKIP_2) | instid1(VALU_DEP_1)
	v_cvt_f64_i32_e32 v[6:7], v2
	v_mov_b32_e32 v8, 0
	s_mov_b32 s0, 0
	v_mov_b32_e32 v9, v8
	global_store_b128 v[0:1], v[6:9], off
.LBB134_3980:
	s_and_not1_b32 vcc_lo, exec_lo, s0
	s_cbranch_vccnz .LBB134_3982
; %bb.3981:
	v_cvt_f32_i32_e32 v2, v2
	v_mov_b32_e32 v3, 0
	global_store_b64 v[0:1], v[2:3], off
.LBB134_3982:
	s_mov_b32 s0, 0
.LBB134_3983:
	s_delay_alu instid0(SALU_CYCLE_1)
	s_and_not1_b32 vcc_lo, exec_lo, s0
	s_cbranch_vccnz .LBB134_3985
; %bb.3984:
	s_wait_loadcnt 0x0
	v_cvt_f16_i16_e32 v2, v4
	s_delay_alu instid0(VALU_DEP_1)
	v_and_b32_e32 v2, 0xffff, v2
	global_store_b32 v[0:1], v2, off
.LBB134_3985:
	s_mov_b32 s0, 0
.LBB134_3986:
	s_delay_alu instid0(SALU_CYCLE_1)
	s_and_not1_b32 vcc_lo, exec_lo, s0
	s_cbranch_vccnz .LBB134_3995
; %bb.3987:
	s_sext_i32_i16 s1, s20
	s_mov_b32 s0, -1
	s_cmp_lt_i32 s1, 6
	s_cbranch_scc1 .LBB134_3993
; %bb.3988:
	s_wait_loadcnt 0x0
	v_bfe_i32 v2, v4, 0, 16
	s_cmp_gt_i32 s1, 6
	s_cbranch_scc0 .LBB134_3990
; %bb.3989:
	s_delay_alu instid0(VALU_DEP_1)
	v_cvt_f64_i32_e32 v[6:7], v2
	s_mov_b32 s0, 0
	global_store_b64 v[0:1], v[6:7], off
.LBB134_3990:
	s_and_not1_b32 vcc_lo, exec_lo, s0
	s_cbranch_vccnz .LBB134_3992
; %bb.3991:
	v_cvt_f32_i32_e32 v2, v2
	global_store_b32 v[0:1], v2, off
.LBB134_3992:
	s_mov_b32 s0, 0
.LBB134_3993:
	s_delay_alu instid0(SALU_CYCLE_1)
	s_and_not1_b32 vcc_lo, exec_lo, s0
	s_cbranch_vccnz .LBB134_3995
; %bb.3994:
	s_wait_loadcnt 0x0
	v_cvt_f16_i16_e32 v2, v4
	global_store_b16 v[0:1], v2, off
.LBB134_3995:
	s_mov_b32 s0, 0
.LBB134_3996:
	s_delay_alu instid0(SALU_CYCLE_1)
	s_and_not1_b32 vcc_lo, exec_lo, s0
	s_cbranch_vccnz .LBB134_4012
; %bb.3997:
	s_sext_i32_i16 s1, s20
	s_mov_b32 s0, -1
	s_cmp_lt_i32 s1, 2
	s_cbranch_scc1 .LBB134_4007
; %bb.3998:
	s_cmp_lt_i32 s1, 3
	s_cbranch_scc1 .LBB134_4004
; %bb.3999:
	s_wait_loadcnt 0x0
	v_bfe_i32 v2, v4, 0, 16
	s_cmp_gt_i32 s1, 3
	s_cbranch_scc0 .LBB134_4001
; %bb.4000:
	s_delay_alu instid0(VALU_DEP_1)
	v_ashrrev_i32_e32 v3, 31, v2
	s_mov_b32 s0, 0
	global_store_b64 v[0:1], v[2:3], off
.LBB134_4001:
	s_and_not1_b32 vcc_lo, exec_lo, s0
	s_cbranch_vccnz .LBB134_4003
; %bb.4002:
	global_store_b32 v[0:1], v2, off
.LBB134_4003:
	s_mov_b32 s0, 0
.LBB134_4004:
	s_delay_alu instid0(SALU_CYCLE_1)
	s_and_not1_b32 vcc_lo, exec_lo, s0
	s_cbranch_vccnz .LBB134_4006
; %bb.4005:
	s_wait_loadcnt 0x0
	global_store_b16 v[0:1], v4, off
.LBB134_4006:
	s_mov_b32 s0, 0
.LBB134_4007:
	s_delay_alu instid0(SALU_CYCLE_1)
	s_and_not1_b32 vcc_lo, exec_lo, s0
	s_cbranch_vccnz .LBB134_4012
; %bb.4008:
	s_sext_i32_i16 s0, s20
	s_delay_alu instid0(SALU_CYCLE_1)
	s_cmp_gt_i32 s0, 0
	s_mov_b32 s0, -1
	s_cbranch_scc0 .LBB134_4010
; %bb.4009:
	s_mov_b32 s0, 0
	s_wait_loadcnt 0x0
	global_store_b8 v[0:1], v4, off
.LBB134_4010:
	s_and_not1_b32 vcc_lo, exec_lo, s0
	s_cbranch_vccnz .LBB134_4012
; %bb.4011:
	s_wait_loadcnt 0x0
	global_store_b8 v[0:1], v4, off
	s_endpgm
.LBB134_4012:
	s_endpgm
.LBB134_4013:
	s_mov_b32 s1, 0
	s_mov_b32 s0, -1
	s_branch .LBB134_3969
.LBB134_4014:
	s_or_b32 s16, s16, exec_lo
	s_trap 2
	s_cbranch_execz .LBB134_3483
	s_branch .LBB134_3484
.LBB134_4015:
	s_and_not1_saveexec_b32 s7, s7
	s_cbranch_execz .LBB134_3563
.LBB134_4016:
	v_add_f32_e64 v3, 0x46000000, |v2|
	s_and_not1_b32 s6, s6, exec_lo
	s_delay_alu instid0(VALU_DEP_1) | instskip(NEXT) | instid1(VALU_DEP_1)
	v_and_b32_e32 v3, 0xff, v3
	v_cmp_ne_u32_e32 vcc_lo, 0, v3
	s_and_b32 s8, vcc_lo, exec_lo
	s_delay_alu instid0(SALU_CYCLE_1)
	s_or_b32 s6, s6, s8
	s_or_b32 exec_lo, exec_lo, s7
	v_mov_b32_e32 v6, 0
	s_and_saveexec_b32 s7, s6
	s_cbranch_execnz .LBB134_3564
	s_branch .LBB134_3565
.LBB134_4017:
	s_or_b32 s16, s16, exec_lo
	s_trap 2
	s_cbranch_execz .LBB134_3611
	s_branch .LBB134_3612
.LBB134_4018:
	s_and_not1_saveexec_b32 s6, s6
	s_cbranch_execz .LBB134_3576
.LBB134_4019:
	v_add_f32_e64 v3, 0x42800000, |v2|
	s_and_not1_b32 s3, s3, exec_lo
	s_delay_alu instid0(VALU_DEP_1) | instskip(NEXT) | instid1(VALU_DEP_1)
	v_and_b32_e32 v3, 0xff, v3
	v_cmp_ne_u32_e32 vcc_lo, 0, v3
	s_and_b32 s7, vcc_lo, exec_lo
	s_delay_alu instid0(SALU_CYCLE_1)
	s_or_b32 s3, s3, s7
	s_or_b32 exec_lo, exec_lo, s6
	v_mov_b32_e32 v6, 0
	s_and_saveexec_b32 s6, s3
	s_cbranch_execnz .LBB134_3577
	s_branch .LBB134_3578
.LBB134_4020:
	s_and_not1_saveexec_b32 s8, s8
	s_cbranch_execz .LBB134_3682
.LBB134_4021:
	v_add_f32_e64 v5, 0x46000000, |v4|
	s_and_not1_b32 s7, s7, exec_lo
	s_delay_alu instid0(VALU_DEP_1) | instskip(NEXT) | instid1(VALU_DEP_1)
	v_and_b32_e32 v5, 0xff, v5
	v_cmp_ne_u32_e32 vcc_lo, 0, v5
	s_and_b32 s9, vcc_lo, exec_lo
	s_delay_alu instid0(SALU_CYCLE_1)
	s_or_b32 s7, s7, s9
	s_or_b32 exec_lo, exec_lo, s8
	v_mov_b32_e32 v6, 0
	s_and_saveexec_b32 s8, s7
	s_cbranch_execnz .LBB134_3683
	s_branch .LBB134_3684
.LBB134_4022:
	s_or_b32 s16, s16, exec_lo
	s_trap 2
	s_cbranch_execz .LBB134_3730
	s_branch .LBB134_3731
.LBB134_4023:
	s_and_not1_saveexec_b32 s7, s7
	s_cbranch_execz .LBB134_3695
.LBB134_4024:
	v_add_f32_e64 v5, 0x42800000, |v4|
	s_and_not1_b32 s6, s6, exec_lo
	s_delay_alu instid0(VALU_DEP_1) | instskip(NEXT) | instid1(VALU_DEP_1)
	v_and_b32_e32 v5, 0xff, v5
	v_cmp_ne_u32_e32 vcc_lo, 0, v5
	s_and_b32 s8, vcc_lo, exec_lo
	s_delay_alu instid0(SALU_CYCLE_1)
	s_or_b32 s6, s6, s8
	s_or_b32 exec_lo, exec_lo, s7
	v_mov_b32_e32 v6, 0
	s_and_saveexec_b32 s7, s6
	s_cbranch_execnz .LBB134_3696
	s_branch .LBB134_3697
.LBB134_4025:
	s_and_not1_saveexec_b32 s8, s8
	s_cbranch_execz .LBB134_3801
.LBB134_4026:
	v_add_f32_e64 v5, 0x46000000, |v4|
	s_and_not1_b32 s7, s7, exec_lo
	s_delay_alu instid0(VALU_DEP_1) | instskip(NEXT) | instid1(VALU_DEP_1)
	v_and_b32_e32 v5, 0xff, v5
	v_cmp_ne_u32_e32 vcc_lo, 0, v5
	s_and_b32 s9, vcc_lo, exec_lo
	s_delay_alu instid0(SALU_CYCLE_1)
	s_or_b32 s7, s7, s9
	s_or_b32 exec_lo, exec_lo, s8
	v_mov_b32_e32 v6, 0
	s_and_saveexec_b32 s8, s7
	s_cbranch_execnz .LBB134_3802
	s_branch .LBB134_3803
.LBB134_4027:
	s_or_b32 s16, s16, exec_lo
	s_trap 2
	s_cbranch_execz .LBB134_3849
	s_branch .LBB134_3850
.LBB134_4028:
	s_and_not1_saveexec_b32 s7, s7
	s_cbranch_execz .LBB134_3814
.LBB134_4029:
	v_add_f32_e64 v5, 0x42800000, |v4|
	s_and_not1_b32 s6, s6, exec_lo
	s_delay_alu instid0(VALU_DEP_1) | instskip(NEXT) | instid1(VALU_DEP_1)
	v_and_b32_e32 v5, 0xff, v5
	v_cmp_ne_u32_e32 vcc_lo, 0, v5
	s_and_b32 s8, vcc_lo, exec_lo
	s_delay_alu instid0(SALU_CYCLE_1)
	s_or_b32 s6, s6, s8
	s_or_b32 exec_lo, exec_lo, s7
	v_mov_b32_e32 v6, 0
	s_and_saveexec_b32 s7, s6
	s_cbranch_execnz .LBB134_3815
	s_branch .LBB134_3816
.LBB134_4030:
	s_and_not1_saveexec_b32 s5, s5
	s_cbranch_execz .LBB134_3921
.LBB134_4031:
	v_add_f32_e64 v3, 0x46000000, |v2|
	s_and_not1_b32 s4, s4, exec_lo
	s_delay_alu instid0(VALU_DEP_1) | instskip(NEXT) | instid1(VALU_DEP_1)
	v_and_b32_e32 v3, 0xff, v3
	v_cmp_ne_u32_e32 vcc_lo, 0, v3
	s_and_b32 s6, vcc_lo, exec_lo
	s_delay_alu instid0(SALU_CYCLE_1)
	s_or_b32 s4, s4, s6
	s_or_b32 exec_lo, exec_lo, s5
	v_mov_b32_e32 v5, 0
	s_and_saveexec_b32 s5, s4
	s_cbranch_execnz .LBB134_3922
	s_branch .LBB134_3923
.LBB134_4032:
	s_mov_b32 s1, 0
	s_or_b32 s16, s16, exec_lo
	s_trap 2
	s_branch .LBB134_3967
.LBB134_4033:
	s_and_not1_saveexec_b32 s4, s4
	s_cbranch_execz .LBB134_3933
.LBB134_4034:
	v_add_f32_e64 v3, 0x42800000, |v2|
	s_and_not1_b32 s3, s3, exec_lo
	s_delay_alu instid0(VALU_DEP_1) | instskip(NEXT) | instid1(VALU_DEP_1)
	v_and_b32_e32 v3, 0xff, v3
	v_cmp_ne_u32_e32 vcc_lo, 0, v3
	s_and_b32 s5, vcc_lo, exec_lo
	s_delay_alu instid0(SALU_CYCLE_1)
	s_or_b32 s3, s3, s5
	s_or_b32 exec_lo, exec_lo, s4
	v_mov_b32_e32 v5, 0
	s_and_saveexec_b32 s4, s3
	s_cbranch_execnz .LBB134_3934
	s_branch .LBB134_3935
	.section	.rodata,"a",@progbits
	.p2align	6, 0x0
	.amdhsa_kernel _ZN2at6native32elementwise_kernel_manual_unrollILi128ELi4EZNS0_15gpu_kernel_implIZZZNS0_12_GLOBAL__N_117clamp_kernel_implERNS_18TensorIteratorBaseEENKUlvE_clEvENKUlvE3_clEvEUlsssE_EEvS5_RKT_EUlibE_EEviT1_
		.amdhsa_group_segment_fixed_size 0
		.amdhsa_private_segment_fixed_size 0
		.amdhsa_kernarg_size 64
		.amdhsa_user_sgpr_count 2
		.amdhsa_user_sgpr_dispatch_ptr 0
		.amdhsa_user_sgpr_queue_ptr 0
		.amdhsa_user_sgpr_kernarg_segment_ptr 1
		.amdhsa_user_sgpr_dispatch_id 0
		.amdhsa_user_sgpr_kernarg_preload_length 0
		.amdhsa_user_sgpr_kernarg_preload_offset 0
		.amdhsa_user_sgpr_private_segment_size 0
		.amdhsa_wavefront_size32 1
		.amdhsa_uses_dynamic_stack 0
		.amdhsa_enable_private_segment 0
		.amdhsa_system_sgpr_workgroup_id_x 1
		.amdhsa_system_sgpr_workgroup_id_y 0
		.amdhsa_system_sgpr_workgroup_id_z 0
		.amdhsa_system_sgpr_workgroup_info 0
		.amdhsa_system_vgpr_workitem_id 0
		.amdhsa_next_free_vgpr 30
		.amdhsa_next_free_sgpr 42
		.amdhsa_named_barrier_count 0
		.amdhsa_reserve_vcc 1
		.amdhsa_float_round_mode_32 0
		.amdhsa_float_round_mode_16_64 0
		.amdhsa_float_denorm_mode_32 3
		.amdhsa_float_denorm_mode_16_64 3
		.amdhsa_fp16_overflow 0
		.amdhsa_memory_ordered 1
		.amdhsa_forward_progress 1
		.amdhsa_inst_pref_size 255
		.amdhsa_round_robin_scheduling 0
		.amdhsa_exception_fp_ieee_invalid_op 0
		.amdhsa_exception_fp_denorm_src 0
		.amdhsa_exception_fp_ieee_div_zero 0
		.amdhsa_exception_fp_ieee_overflow 0
		.amdhsa_exception_fp_ieee_underflow 0
		.amdhsa_exception_fp_ieee_inexact 0
		.amdhsa_exception_int_div_zero 0
	.end_amdhsa_kernel
	.section	.text._ZN2at6native32elementwise_kernel_manual_unrollILi128ELi4EZNS0_15gpu_kernel_implIZZZNS0_12_GLOBAL__N_117clamp_kernel_implERNS_18TensorIteratorBaseEENKUlvE_clEvENKUlvE3_clEvEUlsssE_EEvS5_RKT_EUlibE_EEviT1_,"axG",@progbits,_ZN2at6native32elementwise_kernel_manual_unrollILi128ELi4EZNS0_15gpu_kernel_implIZZZNS0_12_GLOBAL__N_117clamp_kernel_implERNS_18TensorIteratorBaseEENKUlvE_clEvENKUlvE3_clEvEUlsssE_EEvS5_RKT_EUlibE_EEviT1_,comdat
.Lfunc_end134:
	.size	_ZN2at6native32elementwise_kernel_manual_unrollILi128ELi4EZNS0_15gpu_kernel_implIZZZNS0_12_GLOBAL__N_117clamp_kernel_implERNS_18TensorIteratorBaseEENKUlvE_clEvENKUlvE3_clEvEUlsssE_EEvS5_RKT_EUlibE_EEviT1_, .Lfunc_end134-_ZN2at6native32elementwise_kernel_manual_unrollILi128ELi4EZNS0_15gpu_kernel_implIZZZNS0_12_GLOBAL__N_117clamp_kernel_implERNS_18TensorIteratorBaseEENKUlvE_clEvENKUlvE3_clEvEUlsssE_EEvS5_RKT_EUlibE_EEviT1_
                                        ; -- End function
	.set _ZN2at6native32elementwise_kernel_manual_unrollILi128ELi4EZNS0_15gpu_kernel_implIZZZNS0_12_GLOBAL__N_117clamp_kernel_implERNS_18TensorIteratorBaseEENKUlvE_clEvENKUlvE3_clEvEUlsssE_EEvS5_RKT_EUlibE_EEviT1_.num_vgpr, 30
	.set _ZN2at6native32elementwise_kernel_manual_unrollILi128ELi4EZNS0_15gpu_kernel_implIZZZNS0_12_GLOBAL__N_117clamp_kernel_implERNS_18TensorIteratorBaseEENKUlvE_clEvENKUlvE3_clEvEUlsssE_EEvS5_RKT_EUlibE_EEviT1_.num_agpr, 0
	.set _ZN2at6native32elementwise_kernel_manual_unrollILi128ELi4EZNS0_15gpu_kernel_implIZZZNS0_12_GLOBAL__N_117clamp_kernel_implERNS_18TensorIteratorBaseEENKUlvE_clEvENKUlvE3_clEvEUlsssE_EEvS5_RKT_EUlibE_EEviT1_.numbered_sgpr, 42
	.set _ZN2at6native32elementwise_kernel_manual_unrollILi128ELi4EZNS0_15gpu_kernel_implIZZZNS0_12_GLOBAL__N_117clamp_kernel_implERNS_18TensorIteratorBaseEENKUlvE_clEvENKUlvE3_clEvEUlsssE_EEvS5_RKT_EUlibE_EEviT1_.num_named_barrier, 0
	.set _ZN2at6native32elementwise_kernel_manual_unrollILi128ELi4EZNS0_15gpu_kernel_implIZZZNS0_12_GLOBAL__N_117clamp_kernel_implERNS_18TensorIteratorBaseEENKUlvE_clEvENKUlvE3_clEvEUlsssE_EEvS5_RKT_EUlibE_EEviT1_.private_seg_size, 0
	.set _ZN2at6native32elementwise_kernel_manual_unrollILi128ELi4EZNS0_15gpu_kernel_implIZZZNS0_12_GLOBAL__N_117clamp_kernel_implERNS_18TensorIteratorBaseEENKUlvE_clEvENKUlvE3_clEvEUlsssE_EEvS5_RKT_EUlibE_EEviT1_.uses_vcc, 1
	.set _ZN2at6native32elementwise_kernel_manual_unrollILi128ELi4EZNS0_15gpu_kernel_implIZZZNS0_12_GLOBAL__N_117clamp_kernel_implERNS_18TensorIteratorBaseEENKUlvE_clEvENKUlvE3_clEvEUlsssE_EEvS5_RKT_EUlibE_EEviT1_.uses_flat_scratch, 0
	.set _ZN2at6native32elementwise_kernel_manual_unrollILi128ELi4EZNS0_15gpu_kernel_implIZZZNS0_12_GLOBAL__N_117clamp_kernel_implERNS_18TensorIteratorBaseEENKUlvE_clEvENKUlvE3_clEvEUlsssE_EEvS5_RKT_EUlibE_EEviT1_.has_dyn_sized_stack, 0
	.set _ZN2at6native32elementwise_kernel_manual_unrollILi128ELi4EZNS0_15gpu_kernel_implIZZZNS0_12_GLOBAL__N_117clamp_kernel_implERNS_18TensorIteratorBaseEENKUlvE_clEvENKUlvE3_clEvEUlsssE_EEvS5_RKT_EUlibE_EEviT1_.has_recursion, 0
	.set _ZN2at6native32elementwise_kernel_manual_unrollILi128ELi4EZNS0_15gpu_kernel_implIZZZNS0_12_GLOBAL__N_117clamp_kernel_implERNS_18TensorIteratorBaseEENKUlvE_clEvENKUlvE3_clEvEUlsssE_EEvS5_RKT_EUlibE_EEviT1_.has_indirect_call, 0
	.section	.AMDGPU.csdata,"",@progbits
; Kernel info:
; codeLenInByte = 69960
; TotalNumSgprs: 44
; NumVgprs: 30
; ScratchSize: 0
; MemoryBound: 1
; FloatMode: 240
; IeeeMode: 1
; LDSByteSize: 0 bytes/workgroup (compile time only)
; SGPRBlocks: 0
; VGPRBlocks: 1
; NumSGPRsForWavesPerEU: 44
; NumVGPRsForWavesPerEU: 30
; NamedBarCnt: 0
; Occupancy: 16
; WaveLimiterHint : 0
; COMPUTE_PGM_RSRC2:SCRATCH_EN: 0
; COMPUTE_PGM_RSRC2:USER_SGPR: 2
; COMPUTE_PGM_RSRC2:TRAP_HANDLER: 0
; COMPUTE_PGM_RSRC2:TGID_X_EN: 1
; COMPUTE_PGM_RSRC2:TGID_Y_EN: 0
; COMPUTE_PGM_RSRC2:TGID_Z_EN: 0
; COMPUTE_PGM_RSRC2:TIDIG_COMP_CNT: 0
	.section	.text._ZN2at6native32elementwise_kernel_manual_unrollILi128ELi4EZNS0_15gpu_kernel_implIZZZNS0_12_GLOBAL__N_117clamp_kernel_implERNS_18TensorIteratorBaseEENKUlvE_clEvENKUlvE3_clEvEUlsssE_EEvS5_RKT_EUlibE0_EEviT1_,"axG",@progbits,_ZN2at6native32elementwise_kernel_manual_unrollILi128ELi4EZNS0_15gpu_kernel_implIZZZNS0_12_GLOBAL__N_117clamp_kernel_implERNS_18TensorIteratorBaseEENKUlvE_clEvENKUlvE3_clEvEUlsssE_EEvS5_RKT_EUlibE0_EEviT1_,comdat
	.globl	_ZN2at6native32elementwise_kernel_manual_unrollILi128ELi4EZNS0_15gpu_kernel_implIZZZNS0_12_GLOBAL__N_117clamp_kernel_implERNS_18TensorIteratorBaseEENKUlvE_clEvENKUlvE3_clEvEUlsssE_EEvS5_RKT_EUlibE0_EEviT1_ ; -- Begin function _ZN2at6native32elementwise_kernel_manual_unrollILi128ELi4EZNS0_15gpu_kernel_implIZZZNS0_12_GLOBAL__N_117clamp_kernel_implERNS_18TensorIteratorBaseEENKUlvE_clEvENKUlvE3_clEvEUlsssE_EEvS5_RKT_EUlibE0_EEviT1_
	.p2align	8
	.type	_ZN2at6native32elementwise_kernel_manual_unrollILi128ELi4EZNS0_15gpu_kernel_implIZZZNS0_12_GLOBAL__N_117clamp_kernel_implERNS_18TensorIteratorBaseEENKUlvE_clEvENKUlvE3_clEvEUlsssE_EEvS5_RKT_EUlibE0_EEviT1_,@function
_ZN2at6native32elementwise_kernel_manual_unrollILi128ELi4EZNS0_15gpu_kernel_implIZZZNS0_12_GLOBAL__N_117clamp_kernel_implERNS_18TensorIteratorBaseEENKUlvE_clEvENKUlvE3_clEvEUlsssE_EEvS5_RKT_EUlibE0_EEviT1_: ; @_ZN2at6native32elementwise_kernel_manual_unrollILi128ELi4EZNS0_15gpu_kernel_implIZZZNS0_12_GLOBAL__N_117clamp_kernel_implERNS_18TensorIteratorBaseEENKUlvE_clEvENKUlvE3_clEvEUlsssE_EEvS5_RKT_EUlibE0_EEviT1_
; %bb.0:
	s_clause 0x1
	s_load_b32 s33, s[0:1], 0x8
	s_load_b32 s44, s[0:1], 0x0
	s_bfe_u32 s2, ttmp6, 0x4000c
	s_and_b32 s3, ttmp6, 15
	s_add_co_i32 s2, s2, 1
	s_getreg_b32 s4, hwreg(HW_REG_IB_STS2, 6, 4)
	s_mul_i32 s2, ttmp9, s2
	s_mov_b32 s35, 0
	s_add_co_i32 s3, s3, s2
	s_cmp_eq_u32 s4, 0
	s_mov_b32 s29, -1
	s_cselect_b32 s2, ttmp9, s3
	s_mov_b32 s10, 0
	v_lshl_or_b32 v0, s2, 9, v0
	s_add_nc_u64 s[2:3], s[0:1], 8
	s_wait_xcnt 0x0
	s_mov_b32 s0, exec_lo
	s_delay_alu instid0(VALU_DEP_1) | instskip(SKIP_2) | instid1(SALU_CYCLE_1)
	v_or_b32_e32 v1, 0x180, v0
	s_wait_kmcnt 0x0
	s_add_co_i32 s34, s33, -1
	s_cmp_gt_u32 s34, 1
	s_cselect_b32 s36, -1, 0
	v_cmpx_le_i32_e64 s44, v1
	s_xor_b32 s37, exec_lo, s0
	s_cbranch_execz .LBB135_2061
; %bb.1:
	v_mov_b32_e32 v1, 0
	s_clause 0x3
	s_load_b128 s[20:23], s[2:3], 0x4
	s_load_b64 s[0:1], s[2:3], 0x14
	s_load_b256 s[12:19], s[2:3], 0xc4
	s_load_b256 s[4:11], s[2:3], 0x1c8
	s_cmp_lg_u32 s33, 0
	s_mov_b32 s25, 0
	s_cselect_b32 s45, -1, 0
	global_load_b32 v1, v1, s[2:3] offset:489
	s_min_u32 s43, s34, 15
	s_cmp_gt_u32 s33, 1
	s_mov_b32 s27, s25
	s_mov_b32 s48, s25
	;; [unrolled: 1-line block ×4, first 2 shown]
	s_cselect_b32 s41, -1, 0
	s_mov_b32 s42, s25
	s_mov_b32 s49, exec_lo
	s_wait_kmcnt 0x0
	s_mov_b32 s24, s21
	s_mov_b32 s26, s0
	s_wait_loadcnt 0x0
	v_readfirstlane_b32 s38, v1
	s_lshr_b32 s39, s38, 16
	s_lshr_b32 s40, s38, 8
	;; [unrolled: 1-line block ×3, first 2 shown]
	v_cmpx_gt_i32_e64 s44, v0
	s_cbranch_execz .LBB135_511
; %bb.2:
	s_and_not1_b32 vcc_lo, exec_lo, s36
	s_cbranch_vccnz .LBB135_8
; %bb.3:
	s_and_not1_b32 vcc_lo, exec_lo, s45
	s_cbranch_vccnz .LBB135_9
; %bb.4:
	v_dual_mov_b32 v8, 0 :: v_dual_mov_b32 v1, v0
	v_dual_mov_b32 v6, 0 :: v_dual_mov_b32 v2, 0
	v_mov_b32_e32 v4, 0
	s_add_co_i32 s0, s43, 1
	s_mov_b64 s[28:29], 0xffffffffffffffe0
	s_and_b32 s0, s0, 30
	s_add_nc_u64 s[28:29], s[2:3], s[28:29]
	s_mov_b64 s[30:31], s[2:3]
.LBB135_5:                              ; =>This Inner Loop Header: Depth=1
	s_clause 0x1
	s_load_b128 s[60:63], s[30:31], 0x4
	s_load_b64 s[46:47], s[30:31], 0x14
	s_load_b256 s[52:59], s[28:29], 0xe4
	s_add_co_i32 s0, s0, -2
	s_wait_xcnt 0x0
	s_add_nc_u64 s[30:31], s[30:31], 24
	s_cmp_lg_u32 s0, 0
	s_add_nc_u64 s[28:29], s[28:29], 32
	s_wait_kmcnt 0x0
	v_mul_hi_u32 v3, s61, v1
	s_delay_alu instid0(VALU_DEP_1) | instskip(NEXT) | instid1(VALU_DEP_1)
	v_add_nc_u32_e32 v3, v1, v3
	v_lshrrev_b32_e32 v3, s62, v3
	s_delay_alu instid0(VALU_DEP_1) | instskip(SKIP_1) | instid1(VALU_DEP_1)
	v_mul_hi_u32 v5, s46, v3
	v_mul_lo_u32 v7, v3, s60
	v_dual_add_nc_u32 v5, v3, v5 :: v_dual_sub_nc_u32 v7, v1, v7
	s_delay_alu instid0(VALU_DEP_1) | instskip(NEXT) | instid1(VALU_DEP_2)
	v_lshrrev_b32_e32 v1, s47, v5
	v_mad_u32 v4, v7, s53, v4
	v_mad_u32 v2, v7, s52, v2
	;; [unrolled: 1-line block ×4, first 2 shown]
	v_mul_lo_u32 v5, v1, s63
	s_delay_alu instid0(VALU_DEP_1) | instskip(NEXT) | instid1(VALU_DEP_1)
	v_sub_nc_u32_e32 v3, v3, v5
	v_mad_u32 v4, v3, s57, v4
	v_mad_u32 v2, v3, s56, v2
	;; [unrolled: 1-line block ×4, first 2 shown]
	s_cbranch_scc1 .LBB135_5
; %bb.6:
	s_bitcmp1_b32 s43, 0
	s_cselect_b32 s0, -1, 0
	s_delay_alu instid0(SALU_CYCLE_1)
	s_and_b32 vcc_lo, exec_lo, s0
	s_cbranch_vccnz .LBB135_10
; %bb.7:
	s_load_b96 s[56:58], s[30:31], 0x4
	s_load_b128 s[52:55], s[28:29], 0xe4
	s_wait_kmcnt 0x0
	v_mul_hi_u32 v3, s57, v1
	s_delay_alu instid0(VALU_DEP_1) | instskip(NEXT) | instid1(VALU_DEP_1)
	v_add_nc_u32_e32 v3, v1, v3
	v_lshrrev_b32_e32 v3, s58, v3
	s_delay_alu instid0(VALU_DEP_1) | instskip(NEXT) | instid1(VALU_DEP_1)
	v_mul_lo_u32 v3, v3, s56
	v_sub_nc_u32_e32 v1, v1, v3
	s_delay_alu instid0(VALU_DEP_1)
	v_mad_u32 v2, v1, s52, v2
	v_mad_u32 v4, v1, s53, v4
	;; [unrolled: 1-line block ×4, first 2 shown]
	s_cbranch_execz .LBB135_11
	s_branch .LBB135_13
.LBB135_8:
                                        ; implicit-def: $vgpr4
                                        ; implicit-def: $vgpr2
                                        ; implicit-def: $vgpr6
                                        ; implicit-def: $vgpr8
	s_branch .LBB135_11
.LBB135_9:
	v_dual_mov_b32 v4, 0 :: v_dual_mov_b32 v2, 0
	v_dual_mov_b32 v6, 0 :: v_dual_mov_b32 v8, 0
.LBB135_10:
	s_cbranch_execnz .LBB135_13
.LBB135_11:
	v_mov_b32_e32 v1, 0
	s_and_not1_b32 vcc_lo, exec_lo, s41
	s_delay_alu instid0(VALU_DEP_1) | instskip(NEXT) | instid1(VALU_DEP_1)
	v_mul_u64_e32 v[2:3], s[24:25], v[0:1]
	v_add_nc_u32_e32 v2, v0, v3
	s_delay_alu instid0(VALU_DEP_1) | instskip(NEXT) | instid1(VALU_DEP_1)
	v_lshrrev_b32_e32 v10, s22, v2
	v_mul_lo_u32 v2, v10, s20
	s_delay_alu instid0(VALU_DEP_1) | instskip(NEXT) | instid1(VALU_DEP_1)
	v_sub_nc_u32_e32 v3, v0, v2
	v_mul_lo_u32 v4, v3, s13
	v_mul_lo_u32 v2, v3, s12
	v_mul_lo_u32 v6, v3, s15
	v_mul_lo_u32 v8, v3, s14
	s_cbranch_vccnz .LBB135_13
; %bb.12:
	v_mov_b32_e32 v11, v1
	s_delay_alu instid0(VALU_DEP_1) | instskip(NEXT) | instid1(VALU_DEP_1)
	v_mul_u64_e32 v[12:13], s[26:27], v[10:11]
	v_add_nc_u32_e32 v1, v10, v13
	s_delay_alu instid0(VALU_DEP_1) | instskip(NEXT) | instid1(VALU_DEP_1)
	v_lshrrev_b32_e32 v1, s1, v1
	v_mul_lo_u32 v1, v1, s23
	s_delay_alu instid0(VALU_DEP_1) | instskip(NEXT) | instid1(VALU_DEP_1)
	v_sub_nc_u32_e32 v1, v10, v1
	v_mad_u32 v2, v1, s16, v2
	v_mad_u32 v4, v1, s17, v4
	v_mad_u32 v8, v1, s18, v8
	v_mad_u32 v6, v1, s19, v6
.LBB135_13:
	v_mov_b32_e32 v5, 0
	s_and_b32 s0, s40, 0xff
	s_delay_alu instid0(SALU_CYCLE_1) | instskip(NEXT) | instid1(VALU_DEP_1)
	s_cmp_lt_i32 s0, 11
	v_add_nc_u64_e32 v[10:11], s[6:7], v[4:5]
	s_cbranch_scc1 .LBB135_20
; %bb.14:
	s_and_b32 s29, 0xffff, s0
	s_delay_alu instid0(SALU_CYCLE_1)
	s_cmp_gt_i32 s29, 25
	s_cbranch_scc0 .LBB135_29
; %bb.15:
	s_cmp_gt_i32 s29, 28
	s_cbranch_scc0 .LBB135_39
; %bb.16:
	;; [unrolled: 3-line block ×4, first 2 shown]
	s_cmp_eq_u32 s29, 46
	s_mov_b32 s31, 0
	s_cbranch_scc0 .LBB135_48
; %bb.19:
	global_load_b32 v1, v[10:11], off
	s_mov_b32 s30, -1
	s_mov_b32 s28, 0
	s_wait_loadcnt 0x0
	v_lshlrev_b32_e32 v1, 16, v1
	s_delay_alu instid0(VALU_DEP_1)
	v_cvt_i32_f32_e32 v4, v1
	s_branch .LBB135_50
.LBB135_20:
	s_mov_b32 s28, 0
	s_mov_b32 s30, 0
                                        ; implicit-def: $vgpr4
	s_cbranch_execnz .LBB135_112
.LBB135_21:
	s_and_not1_b32 vcc_lo, exec_lo, s30
	s_cbranch_vccnz .LBB135_159
.LBB135_22:
	v_mov_b32_e32 v9, 0
	s_and_b32 s0, s39, 0xff
	s_delay_alu instid0(SALU_CYCLE_1) | instskip(SKIP_1) | instid1(VALU_DEP_1)
	s_cmp_lt_i32 s0, 11
	s_wait_xcnt 0x0
	v_add_nc_u64_e32 v[10:11], s[8:9], v[8:9]
	s_cbranch_scc1 .LBB135_30
; %bb.23:
	s_and_b32 s30, 0xffff, s0
	s_delay_alu instid0(SALU_CYCLE_1)
	s_cmp_gt_i32 s30, 25
	s_cbranch_scc0 .LBB135_40
; %bb.24:
	s_cmp_gt_i32 s30, 28
	s_cbranch_scc0 .LBB135_43
; %bb.25:
	;; [unrolled: 3-line block ×4, first 2 shown]
	s_cmp_eq_u32 s30, 46
	s_mov_b32 s42, 0
	s_cbranch_scc0 .LBB135_160
; %bb.28:
	global_load_b32 v1, v[10:11], off
	s_mov_b32 s31, -1
	s_mov_b32 s29, 0
	s_wait_loadcnt 0x0
	v_lshlrev_b32_e32 v1, 16, v1
	s_delay_alu instid0(VALU_DEP_1)
	v_cvt_i32_f32_e32 v8, v1
	s_branch .LBB135_162
.LBB135_29:
	s_mov_b32 s28, 0
	s_mov_b32 s30, 0
                                        ; implicit-def: $vgpr4
	s_cbranch_execnz .LBB135_79
	s_branch .LBB135_111
.LBB135_30:
	s_mov_b32 s29, 0
	s_mov_b32 s31, 0
                                        ; implicit-def: $vgpr8
	s_cbranch_execnz .LBB135_224
.LBB135_31:
	s_and_not1_b32 vcc_lo, exec_lo, s31
	s_cbranch_vccnz .LBB135_272
.LBB135_32:
	v_mov_b32_e32 v7, 0
	s_and_b32 s0, 0xffff, s21
	s_delay_alu instid0(SALU_CYCLE_1) | instskip(NEXT) | instid1(VALU_DEP_1)
	s_cmp_lt_i32 s0, 11
	v_add_nc_u64_e32 v[6:7], s[10:11], v[6:7]
	s_cbranch_scc1 .LBB135_41
; %bb.33:
	s_cmp_gt_i32 s0, 25
	s_cbranch_scc0 .LBB135_44
; %bb.34:
	s_cmp_gt_i32 s0, 28
	s_cbranch_scc0 .LBB135_47
; %bb.35:
	s_cmp_gt_i32 s0, 43
	s_cbranch_scc0 .LBB135_54
; %bb.36:
	s_cmp_gt_i32 s0, 45
	s_cbranch_scc0 .LBB135_165
; %bb.37:
	s_cmp_eq_u32 s0, 46
	s_mov_b32 s42, 0
	s_cbranch_scc0 .LBB135_273
; %bb.38:
	global_load_b32 v1, v[6:7], off
	s_mov_b32 s31, -1
	s_mov_b32 s30, 0
	s_wait_loadcnt 0x0
	v_lshlrev_b32_e32 v1, 16, v1
	s_delay_alu instid0(VALU_DEP_1)
	v_cvt_i32_f32_e32 v10, v1
	s_branch .LBB135_275
.LBB135_39:
	s_mov_b32 s31, -1
	s_mov_b32 s28, 0
	s_mov_b32 s30, 0
                                        ; implicit-def: $vgpr4
	s_branch .LBB135_62
.LBB135_40:
	s_mov_b32 s42, -1
	s_mov_b32 s29, 0
	s_mov_b32 s31, 0
                                        ; implicit-def: $vgpr8
	s_branch .LBB135_190
.LBB135_41:
	s_mov_b32 s42, -1
	s_mov_b32 s30, 0
	s_mov_b32 s31, 0
                                        ; implicit-def: $vgpr10
	s_branch .LBB135_336
.LBB135_42:
	s_mov_b32 s31, -1
	s_mov_b32 s28, 0
	s_mov_b32 s30, 0
                                        ; implicit-def: $vgpr4
	s_branch .LBB135_57
.LBB135_43:
	s_mov_b32 s42, -1
	s_mov_b32 s29, 0
	s_mov_b32 s31, 0
                                        ; implicit-def: $vgpr8
	s_branch .LBB135_173
.LBB135_44:
	s_mov_b32 s42, -1
	s_mov_b32 s30, 0
	s_mov_b32 s31, 0
                                        ; implicit-def: $vgpr10
	s_branch .LBB135_302
.LBB135_45:
	s_mov_b32 s31, -1
	s_mov_b32 s28, 0
	s_branch .LBB135_49
.LBB135_46:
	s_mov_b32 s42, -1
	s_mov_b32 s29, 0
	s_mov_b32 s31, 0
                                        ; implicit-def: $vgpr8
	s_branch .LBB135_168
.LBB135_47:
	s_mov_b32 s42, -1
	s_mov_b32 s30, 0
	s_mov_b32 s31, 0
                                        ; implicit-def: $vgpr10
	s_branch .LBB135_285
.LBB135_48:
	s_mov_b32 s28, -1
.LBB135_49:
	s_mov_b32 s30, 0
                                        ; implicit-def: $vgpr4
.LBB135_50:
	s_and_b32 vcc_lo, exec_lo, s31
	s_cbranch_vccz .LBB135_56
; %bb.51:
	s_cmp_eq_u32 s29, 44
	s_cbranch_scc0 .LBB135_55
; %bb.52:
	global_load_u8 v1, v[10:11], off
	s_mov_b32 s28, 0
	s_mov_b32 s30, -1
	s_wait_loadcnt 0x0
	v_lshlrev_b32_e32 v3, 23, v1
	v_cmp_ne_u32_e32 vcc_lo, 0, v1
	s_delay_alu instid0(VALU_DEP_2) | instskip(NEXT) | instid1(VALU_DEP_1)
	v_cvt_i32_f32_e32 v3, v3
	v_cndmask_b32_e32 v4, 0, v3, vcc_lo
	s_branch .LBB135_56
.LBB135_53:
	s_mov_b32 s42, -1
	s_mov_b32 s29, 0
	s_branch .LBB135_161
.LBB135_54:
	s_mov_b32 s42, -1
	s_mov_b32 s30, 0
	s_mov_b32 s31, 0
                                        ; implicit-def: $vgpr10
	s_branch .LBB135_280
.LBB135_55:
	s_mov_b32 s28, -1
                                        ; implicit-def: $vgpr4
.LBB135_56:
	s_mov_b32 s31, 0
.LBB135_57:
	s_delay_alu instid0(SALU_CYCLE_1)
	s_and_b32 vcc_lo, exec_lo, s31
	s_cbranch_vccz .LBB135_61
; %bb.58:
	s_cmp_eq_u32 s29, 29
	s_cbranch_scc0 .LBB135_60
; %bb.59:
	global_load_b64 v[4:5], v[10:11], off
	s_mov_b32 s30, -1
	s_mov_b32 s28, 0
	s_branch .LBB135_61
.LBB135_60:
	s_mov_b32 s28, -1
                                        ; implicit-def: $vgpr4
.LBB135_61:
	s_mov_b32 s31, 0
.LBB135_62:
	s_delay_alu instid0(SALU_CYCLE_1)
	s_and_b32 vcc_lo, exec_lo, s31
	s_cbranch_vccz .LBB135_78
; %bb.63:
	s_cmp_lt_i32 s29, 27
	s_cbranch_scc1 .LBB135_66
; %bb.64:
	s_cmp_gt_i32 s29, 27
	s_cbranch_scc0 .LBB135_67
; %bb.65:
	s_wait_loadcnt 0x0
	global_load_b32 v4, v[10:11], off
	s_mov_b32 s30, 0
	s_branch .LBB135_68
.LBB135_66:
	s_mov_b32 s30, -1
                                        ; implicit-def: $vgpr4
	s_branch .LBB135_71
.LBB135_67:
	s_mov_b32 s30, -1
                                        ; implicit-def: $vgpr4
.LBB135_68:
	s_delay_alu instid0(SALU_CYCLE_1)
	s_and_not1_b32 vcc_lo, exec_lo, s30
	s_cbranch_vccnz .LBB135_70
; %bb.69:
	s_wait_loadcnt 0x0
	global_load_u16 v4, v[10:11], off
.LBB135_70:
	s_mov_b32 s30, 0
.LBB135_71:
	s_delay_alu instid0(SALU_CYCLE_1)
	s_and_not1_b32 vcc_lo, exec_lo, s30
	s_cbranch_vccnz .LBB135_77
; %bb.72:
	global_load_u8 v1, v[10:11], off
	s_mov_b32 s31, 0
	s_mov_b32 s30, exec_lo
	s_wait_loadcnt 0x0
	v_cmpx_lt_i16_e32 0x7f, v1
	s_xor_b32 s30, exec_lo, s30
	s_cbranch_execz .LBB135_88
; %bb.73:
	v_cmp_ne_u16_e32 vcc_lo, 0x80, v1
	s_and_b32 s31, vcc_lo, exec_lo
	s_and_not1_saveexec_b32 s30, s30
	s_cbranch_execnz .LBB135_89
.LBB135_74:
	s_or_b32 exec_lo, exec_lo, s30
	v_mov_b32_e32 v4, 0
	s_and_saveexec_b32 s30, s31
	s_cbranch_execz .LBB135_76
.LBB135_75:
	v_and_b32_e32 v3, 0xffff, v1
	s_delay_alu instid0(VALU_DEP_1) | instskip(SKIP_1) | instid1(VALU_DEP_2)
	v_and_b32_e32 v4, 7, v3
	v_bfe_u32 v9, v3, 3, 4
	v_clz_i32_u32_e32 v5, v4
	s_delay_alu instid0(VALU_DEP_2) | instskip(NEXT) | instid1(VALU_DEP_2)
	v_cmp_eq_u32_e32 vcc_lo, 0, v9
	v_min_u32_e32 v5, 32, v5
	s_delay_alu instid0(VALU_DEP_1) | instskip(NEXT) | instid1(VALU_DEP_1)
	v_subrev_nc_u32_e32 v7, 28, v5
	v_dual_lshlrev_b32 v3, v7, v3 :: v_dual_sub_nc_u32 v5, 29, v5
	s_delay_alu instid0(VALU_DEP_1) | instskip(NEXT) | instid1(VALU_DEP_1)
	v_dual_lshlrev_b32 v1, 24, v1 :: v_dual_bitop2_b32 v3, 7, v3 bitop3:0x40
	v_dual_cndmask_b32 v3, v4, v3, vcc_lo :: v_dual_cndmask_b32 v5, v9, v5, vcc_lo
	s_delay_alu instid0(VALU_DEP_2) | instskip(NEXT) | instid1(VALU_DEP_2)
	v_and_b32_e32 v1, 0x80000000, v1
	v_lshlrev_b32_e32 v3, 20, v3
	s_delay_alu instid0(VALU_DEP_3) | instskip(NEXT) | instid1(VALU_DEP_1)
	v_lshl_add_u32 v4, v5, 23, 0x3b800000
	v_or3_b32 v1, v1, v4, v3
	s_delay_alu instid0(VALU_DEP_1)
	v_cvt_i32_f32_e32 v4, v1
.LBB135_76:
	s_or_b32 exec_lo, exec_lo, s30
.LBB135_77:
	s_mov_b32 s30, -1
.LBB135_78:
	s_branch .LBB135_111
.LBB135_79:
	s_cmp_gt_i32 s29, 22
	s_cbranch_scc0 .LBB135_87
; %bb.80:
	s_cmp_lt_i32 s29, 24
	s_cbranch_scc1 .LBB135_90
; %bb.81:
	s_cmp_gt_i32 s29, 24
	s_cbranch_scc0 .LBB135_91
; %bb.82:
	global_load_u8 v1, v[10:11], off
	s_mov_b32 s31, 0
	s_mov_b32 s30, exec_lo
	s_wait_loadcnt 0x0
	v_cmpx_lt_i16_e32 0x7f, v1
	s_xor_b32 s30, exec_lo, s30
	s_cbranch_execz .LBB135_103
; %bb.83:
	v_cmp_ne_u16_e32 vcc_lo, 0x80, v1
	s_and_b32 s31, vcc_lo, exec_lo
	s_and_not1_saveexec_b32 s30, s30
	s_cbranch_execnz .LBB135_104
.LBB135_84:
	s_or_b32 exec_lo, exec_lo, s30
	v_mov_b32_e32 v4, 0
	s_and_saveexec_b32 s30, s31
	s_cbranch_execz .LBB135_86
.LBB135_85:
	v_and_b32_e32 v3, 0xffff, v1
	s_delay_alu instid0(VALU_DEP_1) | instskip(SKIP_1) | instid1(VALU_DEP_2)
	v_and_b32_e32 v4, 3, v3
	v_bfe_u32 v9, v3, 2, 5
	v_clz_i32_u32_e32 v5, v4
	s_delay_alu instid0(VALU_DEP_2) | instskip(NEXT) | instid1(VALU_DEP_2)
	v_cmp_eq_u32_e32 vcc_lo, 0, v9
	v_min_u32_e32 v5, 32, v5
	s_delay_alu instid0(VALU_DEP_1) | instskip(NEXT) | instid1(VALU_DEP_1)
	v_subrev_nc_u32_e32 v7, 29, v5
	v_dual_lshlrev_b32 v3, v7, v3 :: v_dual_sub_nc_u32 v5, 30, v5
	s_delay_alu instid0(VALU_DEP_1) | instskip(NEXT) | instid1(VALU_DEP_1)
	v_dual_lshlrev_b32 v1, 24, v1 :: v_dual_bitop2_b32 v3, 3, v3 bitop3:0x40
	v_dual_cndmask_b32 v3, v4, v3, vcc_lo :: v_dual_cndmask_b32 v5, v9, v5, vcc_lo
	s_delay_alu instid0(VALU_DEP_2) | instskip(NEXT) | instid1(VALU_DEP_2)
	v_and_b32_e32 v1, 0x80000000, v1
	v_lshlrev_b32_e32 v3, 21, v3
	s_delay_alu instid0(VALU_DEP_3) | instskip(NEXT) | instid1(VALU_DEP_1)
	v_lshl_add_u32 v4, v5, 23, 0x37800000
	v_or3_b32 v1, v1, v4, v3
	s_delay_alu instid0(VALU_DEP_1)
	v_cvt_i32_f32_e32 v4, v1
.LBB135_86:
	s_or_b32 exec_lo, exec_lo, s30
	s_mov_b32 s30, 0
	s_branch .LBB135_92
.LBB135_87:
	s_mov_b32 s31, -1
                                        ; implicit-def: $vgpr4
	s_branch .LBB135_98
.LBB135_88:
	s_and_not1_saveexec_b32 s30, s30
	s_cbranch_execz .LBB135_74
.LBB135_89:
	v_cmp_ne_u16_e32 vcc_lo, 0, v1
	s_and_not1_b32 s31, s31, exec_lo
	s_and_b32 s42, vcc_lo, exec_lo
	s_delay_alu instid0(SALU_CYCLE_1)
	s_or_b32 s31, s31, s42
	s_or_b32 exec_lo, exec_lo, s30
	v_mov_b32_e32 v4, 0
	s_and_saveexec_b32 s30, s31
	s_cbranch_execnz .LBB135_75
	s_branch .LBB135_76
.LBB135_90:
	s_mov_b32 s30, -1
                                        ; implicit-def: $vgpr4
	s_branch .LBB135_95
.LBB135_91:
	s_mov_b32 s30, -1
                                        ; implicit-def: $vgpr4
.LBB135_92:
	s_delay_alu instid0(SALU_CYCLE_1)
	s_and_b32 vcc_lo, exec_lo, s30
	s_cbranch_vccz .LBB135_94
; %bb.93:
	global_load_u8 v1, v[10:11], off
	s_wait_loadcnt 0x0
	v_lshlrev_b32_e32 v1, 24, v1
	s_delay_alu instid0(VALU_DEP_1) | instskip(NEXT) | instid1(VALU_DEP_1)
	v_and_b32_e32 v3, 0x7f000000, v1
	v_clz_i32_u32_e32 v4, v3
	v_add_nc_u32_e32 v7, 0x1000000, v3
	v_cmp_ne_u32_e32 vcc_lo, 0, v3
	s_delay_alu instid0(VALU_DEP_3) | instskip(NEXT) | instid1(VALU_DEP_1)
	v_min_u32_e32 v4, 32, v4
	v_sub_nc_u32_e64 v4, v4, 4 clamp
	s_delay_alu instid0(VALU_DEP_1) | instskip(NEXT) | instid1(VALU_DEP_1)
	v_dual_lshlrev_b32 v5, v4, v3 :: v_dual_lshlrev_b32 v4, 23, v4
	v_lshrrev_b32_e32 v5, 4, v5
	s_delay_alu instid0(VALU_DEP_1) | instskip(NEXT) | instid1(VALU_DEP_1)
	v_dual_sub_nc_u32 v4, v5, v4 :: v_dual_ashrrev_i32 v5, 8, v7
	v_add_nc_u32_e32 v4, 0x3c000000, v4
	s_delay_alu instid0(VALU_DEP_1) | instskip(NEXT) | instid1(VALU_DEP_1)
	v_and_or_b32 v4, 0x7f800000, v5, v4
	v_cndmask_b32_e32 v3, 0, v4, vcc_lo
	s_delay_alu instid0(VALU_DEP_1) | instskip(NEXT) | instid1(VALU_DEP_1)
	v_and_or_b32 v1, 0x80000000, v1, v3
	v_cvt_i32_f32_e32 v4, v1
.LBB135_94:
	s_mov_b32 s30, 0
.LBB135_95:
	s_delay_alu instid0(SALU_CYCLE_1)
	s_and_not1_b32 vcc_lo, exec_lo, s30
	s_cbranch_vccnz .LBB135_97
; %bb.96:
	global_load_u8 v1, v[10:11], off
	s_wait_loadcnt 0x0
	v_lshlrev_b32_e32 v3, 25, v1
	v_lshlrev_b16 v1, 8, v1
	s_delay_alu instid0(VALU_DEP_1) | instskip(NEXT) | instid1(VALU_DEP_3)
	v_and_or_b32 v5, 0x7f00, v1, 0.5
	v_lshrrev_b32_e32 v4, 4, v3
	v_bfe_i32 v1, v1, 0, 16
	s_delay_alu instid0(VALU_DEP_3) | instskip(NEXT) | instid1(VALU_DEP_3)
	v_add_f32_e32 v5, -0.5, v5
	v_or_b32_e32 v4, 0x70000000, v4
	s_delay_alu instid0(VALU_DEP_1) | instskip(SKIP_1) | instid1(VALU_DEP_2)
	v_mul_f32_e32 v4, 0x7800000, v4
	v_cmp_gt_u32_e32 vcc_lo, 0x8000000, v3
	v_cndmask_b32_e32 v3, v4, v5, vcc_lo
	s_delay_alu instid0(VALU_DEP_1) | instskip(NEXT) | instid1(VALU_DEP_1)
	v_and_or_b32 v1, 0x80000000, v1, v3
	v_cvt_i32_f32_e32 v4, v1
.LBB135_97:
	s_mov_b32 s31, 0
	s_mov_b32 s30, -1
.LBB135_98:
	s_and_not1_b32 vcc_lo, exec_lo, s31
	s_cbranch_vccnz .LBB135_111
; %bb.99:
	s_cmp_gt_i32 s29, 14
	s_cbranch_scc0 .LBB135_102
; %bb.100:
	s_cmp_eq_u32 s29, 15
	s_cbranch_scc0 .LBB135_105
; %bb.101:
	global_load_u16 v1, v[10:11], off
	s_mov_b32 s30, -1
	s_mov_b32 s28, 0
	s_wait_loadcnt 0x0
	v_lshlrev_b32_e32 v1, 16, v1
	s_delay_alu instid0(VALU_DEP_1)
	v_cvt_i32_f32_e32 v4, v1
	s_branch .LBB135_106
.LBB135_102:
	s_mov_b32 s31, -1
                                        ; implicit-def: $vgpr4
	s_branch .LBB135_107
.LBB135_103:
	s_and_not1_saveexec_b32 s30, s30
	s_cbranch_execz .LBB135_84
.LBB135_104:
	v_cmp_ne_u16_e32 vcc_lo, 0, v1
	s_and_not1_b32 s31, s31, exec_lo
	s_and_b32 s42, vcc_lo, exec_lo
	s_delay_alu instid0(SALU_CYCLE_1)
	s_or_b32 s31, s31, s42
	s_or_b32 exec_lo, exec_lo, s30
	v_mov_b32_e32 v4, 0
	s_and_saveexec_b32 s30, s31
	s_cbranch_execnz .LBB135_85
	s_branch .LBB135_86
.LBB135_105:
	s_mov_b32 s28, -1
                                        ; implicit-def: $vgpr4
.LBB135_106:
	s_mov_b32 s31, 0
.LBB135_107:
	s_delay_alu instid0(SALU_CYCLE_1)
	s_and_b32 vcc_lo, exec_lo, s31
	s_cbranch_vccz .LBB135_111
; %bb.108:
	s_cmp_eq_u32 s29, 11
	s_cbranch_scc0 .LBB135_110
; %bb.109:
	global_load_u8 v1, v[10:11], off
	s_mov_b32 s28, 0
	s_mov_b32 s30, -1
	s_wait_loadcnt 0x0
	v_cmp_ne_u16_e32 vcc_lo, 0, v1
	v_cndmask_b32_e64 v4, 0, 1, vcc_lo
	s_branch .LBB135_111
.LBB135_110:
	s_mov_b32 s28, -1
                                        ; implicit-def: $vgpr4
.LBB135_111:
	s_branch .LBB135_21
.LBB135_112:
	s_and_b32 s0, 0xffff, s0
	s_delay_alu instid0(SALU_CYCLE_1)
	s_cmp_lt_i32 s0, 5
	s_cbranch_scc1 .LBB135_117
; %bb.113:
	s_cmp_lt_i32 s0, 8
	s_cbranch_scc1 .LBB135_118
; %bb.114:
	;; [unrolled: 3-line block ×3, first 2 shown]
	s_cmp_gt_i32 s0, 9
	s_cbranch_scc0 .LBB135_120
; %bb.116:
	s_wait_loadcnt 0x0
	global_load_b64 v[4:5], v[10:11], off
	s_mov_b32 s29, 0
	s_wait_loadcnt 0x0
	v_cvt_i32_f64_e32 v4, v[4:5]
	s_branch .LBB135_121
.LBB135_117:
                                        ; implicit-def: $vgpr4
	s_branch .LBB135_139
.LBB135_118:
	s_mov_b32 s29, -1
                                        ; implicit-def: $vgpr4
	s_branch .LBB135_127
.LBB135_119:
	s_mov_b32 s29, -1
                                        ; implicit-def: $vgpr4
	s_branch .LBB135_124
.LBB135_120:
	s_mov_b32 s29, -1
                                        ; implicit-def: $vgpr4
.LBB135_121:
	s_delay_alu instid0(SALU_CYCLE_1)
	s_and_not1_b32 vcc_lo, exec_lo, s29
	s_cbranch_vccnz .LBB135_123
; %bb.122:
	global_load_b32 v1, v[10:11], off
	s_wait_loadcnt 0x0
	v_cvt_i32_f32_e32 v4, v1
.LBB135_123:
	s_mov_b32 s29, 0
.LBB135_124:
	s_delay_alu instid0(SALU_CYCLE_1)
	s_and_not1_b32 vcc_lo, exec_lo, s29
	s_cbranch_vccnz .LBB135_126
; %bb.125:
	global_load_b32 v1, v[10:11], off
	s_wait_loadcnt 0x0
	v_cvt_i16_f16_e32 v4, v1
.LBB135_126:
	s_mov_b32 s29, 0
.LBB135_127:
	s_delay_alu instid0(SALU_CYCLE_1)
	s_and_not1_b32 vcc_lo, exec_lo, s29
	s_cbranch_vccnz .LBB135_138
; %bb.128:
	s_cmp_lt_i32 s0, 6
	s_cbranch_scc1 .LBB135_131
; %bb.129:
	s_cmp_gt_i32 s0, 6
	s_cbranch_scc0 .LBB135_132
; %bb.130:
	s_wait_loadcnt 0x0
	global_load_b64 v[4:5], v[10:11], off
	s_mov_b32 s29, 0
	s_wait_loadcnt 0x0
	v_cvt_i32_f64_e32 v4, v[4:5]
	s_branch .LBB135_133
.LBB135_131:
	s_mov_b32 s29, -1
                                        ; implicit-def: $vgpr4
	s_branch .LBB135_136
.LBB135_132:
	s_mov_b32 s29, -1
                                        ; implicit-def: $vgpr4
.LBB135_133:
	s_delay_alu instid0(SALU_CYCLE_1)
	s_and_not1_b32 vcc_lo, exec_lo, s29
	s_cbranch_vccnz .LBB135_135
; %bb.134:
	global_load_b32 v1, v[10:11], off
	s_wait_loadcnt 0x0
	v_cvt_i32_f32_e32 v4, v1
.LBB135_135:
	s_mov_b32 s29, 0
.LBB135_136:
	s_delay_alu instid0(SALU_CYCLE_1)
	s_and_not1_b32 vcc_lo, exec_lo, s29
	s_cbranch_vccnz .LBB135_138
; %bb.137:
	global_load_u16 v1, v[10:11], off
	s_wait_loadcnt 0x0
	v_cvt_i16_f16_e32 v4, v1
.LBB135_138:
	s_cbranch_execnz .LBB135_158
.LBB135_139:
	s_cmp_lt_i32 s0, 2
	s_cbranch_scc1 .LBB135_143
; %bb.140:
	s_cmp_lt_i32 s0, 3
	s_cbranch_scc1 .LBB135_144
; %bb.141:
	s_cmp_gt_i32 s0, 3
	s_cbranch_scc0 .LBB135_145
; %bb.142:
	s_wait_loadcnt 0x0
	global_load_b64 v[4:5], v[10:11], off
	s_mov_b32 s29, 0
	s_branch .LBB135_146
.LBB135_143:
	s_mov_b32 s29, -1
                                        ; implicit-def: $vgpr4
	s_branch .LBB135_152
.LBB135_144:
	s_mov_b32 s29, -1
                                        ; implicit-def: $vgpr4
	s_branch .LBB135_149
.LBB135_145:
	s_mov_b32 s29, -1
                                        ; implicit-def: $vgpr4
.LBB135_146:
	s_delay_alu instid0(SALU_CYCLE_1)
	s_and_not1_b32 vcc_lo, exec_lo, s29
	s_cbranch_vccnz .LBB135_148
; %bb.147:
	s_wait_loadcnt 0x0
	global_load_b32 v4, v[10:11], off
.LBB135_148:
	s_mov_b32 s29, 0
.LBB135_149:
	s_delay_alu instid0(SALU_CYCLE_1)
	s_and_not1_b32 vcc_lo, exec_lo, s29
	s_cbranch_vccnz .LBB135_151
; %bb.150:
	s_wait_loadcnt 0x0
	global_load_u16 v4, v[10:11], off
.LBB135_151:
	s_mov_b32 s29, 0
.LBB135_152:
	s_delay_alu instid0(SALU_CYCLE_1)
	s_and_not1_b32 vcc_lo, exec_lo, s29
	s_cbranch_vccnz .LBB135_158
; %bb.153:
	s_cmp_gt_i32 s0, 0
	s_mov_b32 s0, 0
	s_cbranch_scc0 .LBB135_155
; %bb.154:
	s_wait_loadcnt 0x0
	global_load_i8 v4, v[10:11], off
	s_branch .LBB135_156
.LBB135_155:
	s_mov_b32 s0, -1
                                        ; implicit-def: $vgpr4
.LBB135_156:
	s_delay_alu instid0(SALU_CYCLE_1)
	s_and_not1_b32 vcc_lo, exec_lo, s0
	s_cbranch_vccnz .LBB135_158
; %bb.157:
	s_wait_loadcnt 0x0
	global_load_u8 v4, v[10:11], off
.LBB135_158:
	s_branch .LBB135_22
.LBB135_159:
	s_mov_b32 s0, 0
	s_mov_b32 s30, 0
	;; [unrolled: 1-line block ×3, first 2 shown]
	s_branch .LBB135_509
.LBB135_160:
	s_mov_b32 s29, -1
.LBB135_161:
	s_mov_b32 s31, 0
                                        ; implicit-def: $vgpr8
.LBB135_162:
	s_and_b32 vcc_lo, exec_lo, s42
	s_cbranch_vccz .LBB135_167
; %bb.163:
	s_cmp_eq_u32 s30, 44
	s_cbranch_scc0 .LBB135_166
; %bb.164:
	global_load_u8 v1, v[10:11], off
	s_mov_b32 s29, 0
	s_mov_b32 s31, -1
	s_wait_loadcnt 0x0
	v_lshlrev_b32_e32 v3, 23, v1
	v_cmp_ne_u32_e32 vcc_lo, 0, v1
	s_delay_alu instid0(VALU_DEP_2) | instskip(NEXT) | instid1(VALU_DEP_1)
	v_cvt_i32_f32_e32 v3, v3
	v_cndmask_b32_e32 v8, 0, v3, vcc_lo
	s_branch .LBB135_167
.LBB135_165:
	s_mov_b32 s42, -1
	s_mov_b32 s30, 0
	s_branch .LBB135_274
.LBB135_166:
	s_mov_b32 s29, -1
                                        ; implicit-def: $vgpr8
.LBB135_167:
	s_mov_b32 s42, 0
.LBB135_168:
	s_delay_alu instid0(SALU_CYCLE_1)
	s_and_b32 vcc_lo, exec_lo, s42
	s_cbranch_vccz .LBB135_172
; %bb.169:
	s_cmp_eq_u32 s30, 29
	s_cbranch_scc0 .LBB135_171
; %bb.170:
	global_load_b64 v[8:9], v[10:11], off
	s_mov_b32 s31, -1
	s_mov_b32 s29, 0
	s_branch .LBB135_172
.LBB135_171:
	s_mov_b32 s29, -1
                                        ; implicit-def: $vgpr8
.LBB135_172:
	s_mov_b32 s42, 0
.LBB135_173:
	s_delay_alu instid0(SALU_CYCLE_1)
	s_and_b32 vcc_lo, exec_lo, s42
	s_cbranch_vccz .LBB135_189
; %bb.174:
	s_cmp_lt_i32 s30, 27
	s_cbranch_scc1 .LBB135_177
; %bb.175:
	s_cmp_gt_i32 s30, 27
	s_cbranch_scc0 .LBB135_178
; %bb.176:
	s_wait_loadcnt 0x0
	global_load_b32 v8, v[10:11], off
	s_mov_b32 s31, 0
	s_branch .LBB135_179
.LBB135_177:
	s_mov_b32 s31, -1
                                        ; implicit-def: $vgpr8
	s_branch .LBB135_182
.LBB135_178:
	s_mov_b32 s31, -1
                                        ; implicit-def: $vgpr8
.LBB135_179:
	s_delay_alu instid0(SALU_CYCLE_1)
	s_and_not1_b32 vcc_lo, exec_lo, s31
	s_cbranch_vccnz .LBB135_181
; %bb.180:
	s_wait_loadcnt 0x0
	global_load_u16 v8, v[10:11], off
.LBB135_181:
	s_mov_b32 s31, 0
.LBB135_182:
	s_delay_alu instid0(SALU_CYCLE_1)
	s_and_not1_b32 vcc_lo, exec_lo, s31
	s_cbranch_vccnz .LBB135_188
; %bb.183:
	global_load_u8 v1, v[10:11], off
	s_mov_b32 s42, 0
	s_mov_b32 s31, exec_lo
	s_wait_loadcnt 0x0
	v_cmpx_lt_i16_e32 0x7f, v1
	s_xor_b32 s31, exec_lo, s31
	s_cbranch_execz .LBB135_200
; %bb.184:
	v_cmp_ne_u16_e32 vcc_lo, 0x80, v1
	s_and_b32 s42, vcc_lo, exec_lo
	s_and_not1_saveexec_b32 s31, s31
	s_cbranch_execnz .LBB135_201
.LBB135_185:
	s_or_b32 exec_lo, exec_lo, s31
	v_mov_b32_e32 v8, 0
	s_and_saveexec_b32 s31, s42
	s_cbranch_execz .LBB135_187
.LBB135_186:
	v_and_b32_e32 v3, 0xffff, v1
	s_delay_alu instid0(VALU_DEP_1) | instskip(SKIP_1) | instid1(VALU_DEP_2)
	v_dual_lshlrev_b32 v1, 24, v1 :: v_dual_bitop2_b32 v5, 7, v3 bitop3:0x40
	v_bfe_u32 v9, v3, 3, 4
	v_and_b32_e32 v1, 0x80000000, v1
	s_delay_alu instid0(VALU_DEP_3) | instskip(NEXT) | instid1(VALU_DEP_3)
	v_clz_i32_u32_e32 v7, v5
	v_cmp_eq_u32_e32 vcc_lo, 0, v9
	s_delay_alu instid0(VALU_DEP_2) | instskip(NEXT) | instid1(VALU_DEP_1)
	v_min_u32_e32 v7, 32, v7
	v_subrev_nc_u32_e32 v8, 28, v7
	v_sub_nc_u32_e32 v7, 29, v7
	s_delay_alu instid0(VALU_DEP_2) | instskip(NEXT) | instid1(VALU_DEP_2)
	v_lshlrev_b32_e32 v3, v8, v3
	v_cndmask_b32_e32 v7, v9, v7, vcc_lo
	s_delay_alu instid0(VALU_DEP_2) | instskip(NEXT) | instid1(VALU_DEP_1)
	v_and_b32_e32 v3, 7, v3
	v_cndmask_b32_e32 v3, v5, v3, vcc_lo
	s_delay_alu instid0(VALU_DEP_3) | instskip(NEXT) | instid1(VALU_DEP_2)
	v_lshl_add_u32 v5, v7, 23, 0x3b800000
	v_lshlrev_b32_e32 v3, 20, v3
	s_delay_alu instid0(VALU_DEP_1) | instskip(NEXT) | instid1(VALU_DEP_1)
	v_or3_b32 v1, v1, v5, v3
	v_cvt_i32_f32_e32 v8, v1
.LBB135_187:
	s_or_b32 exec_lo, exec_lo, s31
.LBB135_188:
	s_mov_b32 s31, -1
.LBB135_189:
	s_mov_b32 s42, 0
.LBB135_190:
	s_delay_alu instid0(SALU_CYCLE_1)
	s_and_b32 vcc_lo, exec_lo, s42
	s_cbranch_vccz .LBB135_223
; %bb.191:
	s_cmp_gt_i32 s30, 22
	s_cbranch_scc0 .LBB135_199
; %bb.192:
	s_cmp_lt_i32 s30, 24
	s_cbranch_scc1 .LBB135_202
; %bb.193:
	s_cmp_gt_i32 s30, 24
	s_cbranch_scc0 .LBB135_203
; %bb.194:
	global_load_u8 v1, v[10:11], off
	s_mov_b32 s42, 0
	s_mov_b32 s31, exec_lo
	s_wait_loadcnt 0x0
	v_cmpx_lt_i16_e32 0x7f, v1
	s_xor_b32 s31, exec_lo, s31
	s_cbranch_execz .LBB135_215
; %bb.195:
	v_cmp_ne_u16_e32 vcc_lo, 0x80, v1
	s_and_b32 s42, vcc_lo, exec_lo
	s_and_not1_saveexec_b32 s31, s31
	s_cbranch_execnz .LBB135_216
.LBB135_196:
	s_or_b32 exec_lo, exec_lo, s31
	v_mov_b32_e32 v8, 0
	s_and_saveexec_b32 s31, s42
	s_cbranch_execz .LBB135_198
.LBB135_197:
	v_and_b32_e32 v3, 0xffff, v1
	s_delay_alu instid0(VALU_DEP_1) | instskip(SKIP_1) | instid1(VALU_DEP_2)
	v_dual_lshlrev_b32 v1, 24, v1 :: v_dual_bitop2_b32 v5, 3, v3 bitop3:0x40
	v_bfe_u32 v9, v3, 2, 5
	v_and_b32_e32 v1, 0x80000000, v1
	s_delay_alu instid0(VALU_DEP_3) | instskip(NEXT) | instid1(VALU_DEP_3)
	v_clz_i32_u32_e32 v7, v5
	v_cmp_eq_u32_e32 vcc_lo, 0, v9
	s_delay_alu instid0(VALU_DEP_2) | instskip(NEXT) | instid1(VALU_DEP_1)
	v_min_u32_e32 v7, 32, v7
	v_subrev_nc_u32_e32 v8, 29, v7
	v_sub_nc_u32_e32 v7, 30, v7
	s_delay_alu instid0(VALU_DEP_2) | instskip(NEXT) | instid1(VALU_DEP_2)
	v_lshlrev_b32_e32 v3, v8, v3
	v_cndmask_b32_e32 v7, v9, v7, vcc_lo
	s_delay_alu instid0(VALU_DEP_2) | instskip(NEXT) | instid1(VALU_DEP_1)
	v_and_b32_e32 v3, 3, v3
	v_cndmask_b32_e32 v3, v5, v3, vcc_lo
	s_delay_alu instid0(VALU_DEP_3) | instskip(NEXT) | instid1(VALU_DEP_2)
	v_lshl_add_u32 v5, v7, 23, 0x37800000
	v_lshlrev_b32_e32 v3, 21, v3
	s_delay_alu instid0(VALU_DEP_1) | instskip(NEXT) | instid1(VALU_DEP_1)
	v_or3_b32 v1, v1, v5, v3
	v_cvt_i32_f32_e32 v8, v1
.LBB135_198:
	s_or_b32 exec_lo, exec_lo, s31
	s_mov_b32 s31, 0
	s_branch .LBB135_204
.LBB135_199:
	s_mov_b32 s42, -1
                                        ; implicit-def: $vgpr8
	s_branch .LBB135_210
.LBB135_200:
	s_and_not1_saveexec_b32 s31, s31
	s_cbranch_execz .LBB135_185
.LBB135_201:
	v_cmp_ne_u16_e32 vcc_lo, 0, v1
	s_and_not1_b32 s42, s42, exec_lo
	s_and_b32 s46, vcc_lo, exec_lo
	s_delay_alu instid0(SALU_CYCLE_1)
	s_or_b32 s42, s42, s46
	s_or_b32 exec_lo, exec_lo, s31
	v_mov_b32_e32 v8, 0
	s_and_saveexec_b32 s31, s42
	s_cbranch_execnz .LBB135_186
	s_branch .LBB135_187
.LBB135_202:
	s_mov_b32 s31, -1
                                        ; implicit-def: $vgpr8
	s_branch .LBB135_207
.LBB135_203:
	s_mov_b32 s31, -1
                                        ; implicit-def: $vgpr8
.LBB135_204:
	s_delay_alu instid0(SALU_CYCLE_1)
	s_and_b32 vcc_lo, exec_lo, s31
	s_cbranch_vccz .LBB135_206
; %bb.205:
	global_load_u8 v1, v[10:11], off
	s_wait_loadcnt 0x0
	v_lshlrev_b32_e32 v1, 24, v1
	s_delay_alu instid0(VALU_DEP_1) | instskip(NEXT) | instid1(VALU_DEP_1)
	v_and_b32_e32 v3, 0x7f000000, v1
	v_clz_i32_u32_e32 v5, v3
	v_cmp_ne_u32_e32 vcc_lo, 0, v3
	v_add_nc_u32_e32 v8, 0x1000000, v3
	s_delay_alu instid0(VALU_DEP_3) | instskip(NEXT) | instid1(VALU_DEP_1)
	v_min_u32_e32 v5, 32, v5
	v_sub_nc_u32_e64 v5, v5, 4 clamp
	s_delay_alu instid0(VALU_DEP_1) | instskip(NEXT) | instid1(VALU_DEP_1)
	v_dual_lshlrev_b32 v7, v5, v3 :: v_dual_lshlrev_b32 v5, 23, v5
	v_lshrrev_b32_e32 v7, 4, v7
	s_delay_alu instid0(VALU_DEP_1) | instskip(NEXT) | instid1(VALU_DEP_1)
	v_dual_sub_nc_u32 v5, v7, v5 :: v_dual_ashrrev_i32 v7, 8, v8
	v_add_nc_u32_e32 v5, 0x3c000000, v5
	s_delay_alu instid0(VALU_DEP_1) | instskip(NEXT) | instid1(VALU_DEP_1)
	v_and_or_b32 v5, 0x7f800000, v7, v5
	v_cndmask_b32_e32 v3, 0, v5, vcc_lo
	s_delay_alu instid0(VALU_DEP_1) | instskip(NEXT) | instid1(VALU_DEP_1)
	v_and_or_b32 v1, 0x80000000, v1, v3
	v_cvt_i32_f32_e32 v8, v1
.LBB135_206:
	s_mov_b32 s31, 0
.LBB135_207:
	s_delay_alu instid0(SALU_CYCLE_1)
	s_and_not1_b32 vcc_lo, exec_lo, s31
	s_cbranch_vccnz .LBB135_209
; %bb.208:
	global_load_u8 v1, v[10:11], off
	s_wait_loadcnt 0x0
	v_lshlrev_b32_e32 v3, 25, v1
	v_lshlrev_b16 v1, 8, v1
	s_delay_alu instid0(VALU_DEP_1) | instskip(SKIP_1) | instid1(VALU_DEP_2)
	v_and_or_b32 v7, 0x7f00, v1, 0.5
	v_bfe_i32 v1, v1, 0, 16
	v_add_f32_e32 v7, -0.5, v7
	v_lshrrev_b32_e32 v5, 4, v3
	v_cmp_gt_u32_e32 vcc_lo, 0x8000000, v3
	s_delay_alu instid0(VALU_DEP_2) | instskip(NEXT) | instid1(VALU_DEP_1)
	v_or_b32_e32 v5, 0x70000000, v5
	v_mul_f32_e32 v5, 0x7800000, v5
	s_delay_alu instid0(VALU_DEP_1) | instskip(NEXT) | instid1(VALU_DEP_1)
	v_cndmask_b32_e32 v3, v5, v7, vcc_lo
	v_and_or_b32 v1, 0x80000000, v1, v3
	s_delay_alu instid0(VALU_DEP_1)
	v_cvt_i32_f32_e32 v8, v1
.LBB135_209:
	s_mov_b32 s42, 0
	s_mov_b32 s31, -1
.LBB135_210:
	s_and_not1_b32 vcc_lo, exec_lo, s42
	s_cbranch_vccnz .LBB135_223
; %bb.211:
	s_cmp_gt_i32 s30, 14
	s_cbranch_scc0 .LBB135_214
; %bb.212:
	s_cmp_eq_u32 s30, 15
	s_cbranch_scc0 .LBB135_217
; %bb.213:
	global_load_u16 v1, v[10:11], off
	s_mov_b32 s31, -1
	s_mov_b32 s29, 0
	s_wait_loadcnt 0x0
	v_lshlrev_b32_e32 v1, 16, v1
	s_delay_alu instid0(VALU_DEP_1)
	v_cvt_i32_f32_e32 v8, v1
	s_branch .LBB135_218
.LBB135_214:
	s_mov_b32 s42, -1
                                        ; implicit-def: $vgpr8
	s_branch .LBB135_219
.LBB135_215:
	s_and_not1_saveexec_b32 s31, s31
	s_cbranch_execz .LBB135_196
.LBB135_216:
	v_cmp_ne_u16_e32 vcc_lo, 0, v1
	s_and_not1_b32 s42, s42, exec_lo
	s_and_b32 s46, vcc_lo, exec_lo
	s_delay_alu instid0(SALU_CYCLE_1)
	s_or_b32 s42, s42, s46
	s_or_b32 exec_lo, exec_lo, s31
	v_mov_b32_e32 v8, 0
	s_and_saveexec_b32 s31, s42
	s_cbranch_execnz .LBB135_197
	s_branch .LBB135_198
.LBB135_217:
	s_mov_b32 s29, -1
                                        ; implicit-def: $vgpr8
.LBB135_218:
	s_mov_b32 s42, 0
.LBB135_219:
	s_delay_alu instid0(SALU_CYCLE_1)
	s_and_b32 vcc_lo, exec_lo, s42
	s_cbranch_vccz .LBB135_223
; %bb.220:
	s_cmp_eq_u32 s30, 11
	s_cbranch_scc0 .LBB135_222
; %bb.221:
	global_load_u8 v1, v[10:11], off
	s_mov_b32 s29, 0
	s_mov_b32 s31, -1
	s_wait_loadcnt 0x0
	v_cmp_ne_u16_e32 vcc_lo, 0, v1
	v_cndmask_b32_e64 v8, 0, 1, vcc_lo
	s_branch .LBB135_223
.LBB135_222:
	s_mov_b32 s29, -1
                                        ; implicit-def: $vgpr8
.LBB135_223:
	s_branch .LBB135_31
.LBB135_224:
	s_and_b32 s0, 0xffff, s0
	s_delay_alu instid0(SALU_CYCLE_1)
	s_cmp_lt_i32 s0, 5
	s_cbranch_scc1 .LBB135_229
; %bb.225:
	s_cmp_lt_i32 s0, 8
	s_cbranch_scc1 .LBB135_230
; %bb.226:
	;; [unrolled: 3-line block ×3, first 2 shown]
	s_cmp_gt_i32 s0, 9
	s_cbranch_scc0 .LBB135_232
; %bb.228:
	s_wait_loadcnt 0x0
	global_load_b64 v[8:9], v[10:11], off
	s_mov_b32 s30, 0
	s_wait_loadcnt 0x0
	v_cvt_i32_f64_e32 v8, v[8:9]
	s_branch .LBB135_233
.LBB135_229:
	s_mov_b32 s30, -1
                                        ; implicit-def: $vgpr8
	s_branch .LBB135_251
.LBB135_230:
	s_mov_b32 s30, -1
                                        ; implicit-def: $vgpr8
	s_branch .LBB135_239
.LBB135_231:
	s_mov_b32 s30, -1
                                        ; implicit-def: $vgpr8
	s_branch .LBB135_236
.LBB135_232:
	s_mov_b32 s30, -1
                                        ; implicit-def: $vgpr8
.LBB135_233:
	s_delay_alu instid0(SALU_CYCLE_1)
	s_and_not1_b32 vcc_lo, exec_lo, s30
	s_cbranch_vccnz .LBB135_235
; %bb.234:
	global_load_b32 v1, v[10:11], off
	s_wait_loadcnt 0x0
	v_cvt_i32_f32_e32 v8, v1
.LBB135_235:
	s_mov_b32 s30, 0
.LBB135_236:
	s_delay_alu instid0(SALU_CYCLE_1)
	s_and_not1_b32 vcc_lo, exec_lo, s30
	s_cbranch_vccnz .LBB135_238
; %bb.237:
	global_load_b32 v1, v[10:11], off
	s_wait_loadcnt 0x0
	v_cvt_i16_f16_e32 v8, v1
.LBB135_238:
	s_mov_b32 s30, 0
.LBB135_239:
	s_delay_alu instid0(SALU_CYCLE_1)
	s_and_not1_b32 vcc_lo, exec_lo, s30
	s_cbranch_vccnz .LBB135_250
; %bb.240:
	s_cmp_lt_i32 s0, 6
	s_cbranch_scc1 .LBB135_243
; %bb.241:
	s_cmp_gt_i32 s0, 6
	s_cbranch_scc0 .LBB135_244
; %bb.242:
	s_wait_loadcnt 0x0
	global_load_b64 v[8:9], v[10:11], off
	s_mov_b32 s30, 0
	s_wait_loadcnt 0x0
	v_cvt_i32_f64_e32 v8, v[8:9]
	s_branch .LBB135_245
.LBB135_243:
	s_mov_b32 s30, -1
                                        ; implicit-def: $vgpr8
	s_branch .LBB135_248
.LBB135_244:
	s_mov_b32 s30, -1
                                        ; implicit-def: $vgpr8
.LBB135_245:
	s_delay_alu instid0(SALU_CYCLE_1)
	s_and_not1_b32 vcc_lo, exec_lo, s30
	s_cbranch_vccnz .LBB135_247
; %bb.246:
	global_load_b32 v1, v[10:11], off
	s_wait_loadcnt 0x0
	v_cvt_i32_f32_e32 v8, v1
.LBB135_247:
	s_mov_b32 s30, 0
.LBB135_248:
	s_delay_alu instid0(SALU_CYCLE_1)
	s_and_not1_b32 vcc_lo, exec_lo, s30
	s_cbranch_vccnz .LBB135_250
; %bb.249:
	global_load_u16 v1, v[10:11], off
	s_wait_loadcnt 0x0
	v_cvt_i16_f16_e32 v8, v1
.LBB135_250:
	s_mov_b32 s30, 0
.LBB135_251:
	s_delay_alu instid0(SALU_CYCLE_1)
	s_and_not1_b32 vcc_lo, exec_lo, s30
	s_cbranch_vccnz .LBB135_271
; %bb.252:
	s_cmp_lt_i32 s0, 2
	s_cbranch_scc1 .LBB135_256
; %bb.253:
	s_cmp_lt_i32 s0, 3
	s_cbranch_scc1 .LBB135_257
; %bb.254:
	s_cmp_gt_i32 s0, 3
	s_cbranch_scc0 .LBB135_258
; %bb.255:
	s_wait_loadcnt 0x0
	global_load_b64 v[8:9], v[10:11], off
	s_mov_b32 s30, 0
	s_branch .LBB135_259
.LBB135_256:
	s_mov_b32 s30, -1
                                        ; implicit-def: $vgpr8
	s_branch .LBB135_265
.LBB135_257:
	s_mov_b32 s30, -1
                                        ; implicit-def: $vgpr8
	s_branch .LBB135_262
.LBB135_258:
	s_mov_b32 s30, -1
                                        ; implicit-def: $vgpr8
.LBB135_259:
	s_delay_alu instid0(SALU_CYCLE_1)
	s_and_not1_b32 vcc_lo, exec_lo, s30
	s_cbranch_vccnz .LBB135_261
; %bb.260:
	s_wait_loadcnt 0x0
	global_load_b32 v8, v[10:11], off
.LBB135_261:
	s_mov_b32 s30, 0
.LBB135_262:
	s_delay_alu instid0(SALU_CYCLE_1)
	s_and_not1_b32 vcc_lo, exec_lo, s30
	s_cbranch_vccnz .LBB135_264
; %bb.263:
	s_wait_loadcnt 0x0
	global_load_u16 v8, v[10:11], off
.LBB135_264:
	s_mov_b32 s30, 0
.LBB135_265:
	s_delay_alu instid0(SALU_CYCLE_1)
	s_and_not1_b32 vcc_lo, exec_lo, s30
	s_cbranch_vccnz .LBB135_271
; %bb.266:
	s_cmp_gt_i32 s0, 0
	s_mov_b32 s0, 0
	s_cbranch_scc0 .LBB135_268
; %bb.267:
	s_wait_loadcnt 0x0
	global_load_i8 v8, v[10:11], off
	s_branch .LBB135_269
.LBB135_268:
	s_mov_b32 s0, -1
                                        ; implicit-def: $vgpr8
.LBB135_269:
	s_delay_alu instid0(SALU_CYCLE_1)
	s_and_not1_b32 vcc_lo, exec_lo, s0
	s_cbranch_vccnz .LBB135_271
; %bb.270:
	s_wait_loadcnt 0x0
	global_load_u8 v8, v[10:11], off
.LBB135_271:
	s_branch .LBB135_32
.LBB135_272:
	s_mov_b32 s0, 0
	s_mov_b32 s30, 0
	s_branch .LBB135_509
.LBB135_273:
	s_mov_b32 s30, -1
.LBB135_274:
	s_mov_b32 s31, 0
                                        ; implicit-def: $vgpr10
.LBB135_275:
	s_and_b32 vcc_lo, exec_lo, s42
	s_cbranch_vccz .LBB135_279
; %bb.276:
	s_cmp_eq_u32 s0, 44
	s_cbranch_scc0 .LBB135_278
; %bb.277:
	global_load_u8 v1, v[6:7], off
	s_mov_b32 s30, 0
	s_mov_b32 s31, -1
	s_wait_loadcnt 0x0
	v_lshlrev_b32_e32 v3, 23, v1
	v_cmp_ne_u32_e32 vcc_lo, 0, v1
	s_delay_alu instid0(VALU_DEP_2) | instskip(NEXT) | instid1(VALU_DEP_1)
	v_cvt_i32_f32_e32 v3, v3
	v_cndmask_b32_e32 v10, 0, v3, vcc_lo
	s_branch .LBB135_279
.LBB135_278:
	s_mov_b32 s30, -1
                                        ; implicit-def: $vgpr10
.LBB135_279:
	s_mov_b32 s42, 0
.LBB135_280:
	s_delay_alu instid0(SALU_CYCLE_1)
	s_and_b32 vcc_lo, exec_lo, s42
	s_cbranch_vccz .LBB135_284
; %bb.281:
	s_cmp_eq_u32 s0, 29
	s_cbranch_scc0 .LBB135_283
; %bb.282:
	global_load_b64 v[10:11], v[6:7], off
	s_mov_b32 s31, -1
	s_mov_b32 s30, 0
	s_branch .LBB135_284
.LBB135_283:
	s_mov_b32 s30, -1
                                        ; implicit-def: $vgpr10
.LBB135_284:
	s_mov_b32 s42, 0
.LBB135_285:
	s_delay_alu instid0(SALU_CYCLE_1)
	s_and_b32 vcc_lo, exec_lo, s42
	s_cbranch_vccz .LBB135_301
; %bb.286:
	s_cmp_lt_i32 s0, 27
	s_cbranch_scc1 .LBB135_289
; %bb.287:
	s_cmp_gt_i32 s0, 27
	s_cbranch_scc0 .LBB135_290
; %bb.288:
	s_wait_loadcnt 0x0
	global_load_b32 v10, v[6:7], off
	s_mov_b32 s31, 0
	s_branch .LBB135_291
.LBB135_289:
	s_mov_b32 s31, -1
                                        ; implicit-def: $vgpr10
	s_branch .LBB135_294
.LBB135_290:
	s_mov_b32 s31, -1
                                        ; implicit-def: $vgpr10
.LBB135_291:
	s_delay_alu instid0(SALU_CYCLE_1)
	s_and_not1_b32 vcc_lo, exec_lo, s31
	s_cbranch_vccnz .LBB135_293
; %bb.292:
	s_wait_loadcnt 0x0
	global_load_u16 v10, v[6:7], off
.LBB135_293:
	s_mov_b32 s31, 0
.LBB135_294:
	s_delay_alu instid0(SALU_CYCLE_1)
	s_and_not1_b32 vcc_lo, exec_lo, s31
	s_cbranch_vccnz .LBB135_300
; %bb.295:
	global_load_u8 v1, v[6:7], off
	s_mov_b32 s42, 0
	s_mov_b32 s31, exec_lo
	s_wait_loadcnt 0x0
	v_cmpx_lt_i16_e32 0x7f, v1
	s_xor_b32 s31, exec_lo, s31
	s_cbranch_execz .LBB135_312
; %bb.296:
	v_cmp_ne_u16_e32 vcc_lo, 0x80, v1
	s_and_b32 s42, vcc_lo, exec_lo
	s_and_not1_saveexec_b32 s31, s31
	s_cbranch_execnz .LBB135_313
.LBB135_297:
	s_or_b32 exec_lo, exec_lo, s31
	v_mov_b32_e32 v10, 0
	s_and_saveexec_b32 s31, s42
	s_cbranch_execz .LBB135_299
.LBB135_298:
	v_and_b32_e32 v3, 0xffff, v1
	s_delay_alu instid0(VALU_DEP_1) | instskip(SKIP_1) | instid1(VALU_DEP_2)
	v_and_b32_e32 v5, 7, v3
	v_bfe_u32 v11, v3, 3, 4
	v_clz_i32_u32_e32 v9, v5
	s_delay_alu instid0(VALU_DEP_2) | instskip(NEXT) | instid1(VALU_DEP_2)
	v_cmp_eq_u32_e32 vcc_lo, 0, v11
	v_min_u32_e32 v9, 32, v9
	s_delay_alu instid0(VALU_DEP_1) | instskip(NEXT) | instid1(VALU_DEP_1)
	v_subrev_nc_u32_e32 v10, 28, v9
	v_dual_lshlrev_b32 v3, v10, v3 :: v_dual_sub_nc_u32 v9, 29, v9
	s_delay_alu instid0(VALU_DEP_1) | instskip(NEXT) | instid1(VALU_DEP_1)
	v_dual_lshlrev_b32 v1, 24, v1 :: v_dual_bitop2_b32 v3, 7, v3 bitop3:0x40
	v_dual_cndmask_b32 v3, v5, v3, vcc_lo :: v_dual_cndmask_b32 v9, v11, v9, vcc_lo
	s_delay_alu instid0(VALU_DEP_2) | instskip(NEXT) | instid1(VALU_DEP_2)
	v_and_b32_e32 v1, 0x80000000, v1
	v_lshlrev_b32_e32 v3, 20, v3
	s_delay_alu instid0(VALU_DEP_3) | instskip(NEXT) | instid1(VALU_DEP_1)
	v_lshl_add_u32 v5, v9, 23, 0x3b800000
	v_or3_b32 v1, v1, v5, v3
	s_delay_alu instid0(VALU_DEP_1)
	v_cvt_i32_f32_e32 v10, v1
.LBB135_299:
	s_or_b32 exec_lo, exec_lo, s31
.LBB135_300:
	s_mov_b32 s31, -1
.LBB135_301:
	s_mov_b32 s42, 0
.LBB135_302:
	s_delay_alu instid0(SALU_CYCLE_1)
	s_and_b32 vcc_lo, exec_lo, s42
	s_cbranch_vccz .LBB135_335
; %bb.303:
	s_cmp_gt_i32 s0, 22
	s_cbranch_scc0 .LBB135_311
; %bb.304:
	s_cmp_lt_i32 s0, 24
	s_cbranch_scc1 .LBB135_314
; %bb.305:
	s_cmp_gt_i32 s0, 24
	s_cbranch_scc0 .LBB135_315
; %bb.306:
	global_load_u8 v1, v[6:7], off
	s_mov_b32 s42, 0
	s_mov_b32 s31, exec_lo
	s_wait_loadcnt 0x0
	v_cmpx_lt_i16_e32 0x7f, v1
	s_xor_b32 s31, exec_lo, s31
	s_cbranch_execz .LBB135_327
; %bb.307:
	v_cmp_ne_u16_e32 vcc_lo, 0x80, v1
	s_and_b32 s42, vcc_lo, exec_lo
	s_and_not1_saveexec_b32 s31, s31
	s_cbranch_execnz .LBB135_328
.LBB135_308:
	s_or_b32 exec_lo, exec_lo, s31
	v_mov_b32_e32 v10, 0
	s_and_saveexec_b32 s31, s42
	s_cbranch_execz .LBB135_310
.LBB135_309:
	v_and_b32_e32 v3, 0xffff, v1
	s_delay_alu instid0(VALU_DEP_1) | instskip(SKIP_1) | instid1(VALU_DEP_2)
	v_and_b32_e32 v5, 3, v3
	v_bfe_u32 v11, v3, 2, 5
	v_clz_i32_u32_e32 v9, v5
	s_delay_alu instid0(VALU_DEP_2) | instskip(NEXT) | instid1(VALU_DEP_2)
	v_cmp_eq_u32_e32 vcc_lo, 0, v11
	v_min_u32_e32 v9, 32, v9
	s_delay_alu instid0(VALU_DEP_1) | instskip(NEXT) | instid1(VALU_DEP_1)
	v_subrev_nc_u32_e32 v10, 29, v9
	v_dual_lshlrev_b32 v3, v10, v3 :: v_dual_sub_nc_u32 v9, 30, v9
	s_delay_alu instid0(VALU_DEP_1) | instskip(NEXT) | instid1(VALU_DEP_1)
	v_dual_lshlrev_b32 v1, 24, v1 :: v_dual_bitop2_b32 v3, 3, v3 bitop3:0x40
	v_dual_cndmask_b32 v3, v5, v3, vcc_lo :: v_dual_cndmask_b32 v9, v11, v9, vcc_lo
	s_delay_alu instid0(VALU_DEP_2) | instskip(NEXT) | instid1(VALU_DEP_2)
	v_and_b32_e32 v1, 0x80000000, v1
	v_lshlrev_b32_e32 v3, 21, v3
	s_delay_alu instid0(VALU_DEP_3) | instskip(NEXT) | instid1(VALU_DEP_1)
	v_lshl_add_u32 v5, v9, 23, 0x37800000
	v_or3_b32 v1, v1, v5, v3
	s_delay_alu instid0(VALU_DEP_1)
	v_cvt_i32_f32_e32 v10, v1
.LBB135_310:
	s_or_b32 exec_lo, exec_lo, s31
	s_mov_b32 s31, 0
	s_branch .LBB135_316
.LBB135_311:
	s_mov_b32 s42, -1
                                        ; implicit-def: $vgpr10
	s_branch .LBB135_322
.LBB135_312:
	s_and_not1_saveexec_b32 s31, s31
	s_cbranch_execz .LBB135_297
.LBB135_313:
	v_cmp_ne_u16_e32 vcc_lo, 0, v1
	s_and_not1_b32 s42, s42, exec_lo
	s_and_b32 s46, vcc_lo, exec_lo
	s_delay_alu instid0(SALU_CYCLE_1)
	s_or_b32 s42, s42, s46
	s_or_b32 exec_lo, exec_lo, s31
	v_mov_b32_e32 v10, 0
	s_and_saveexec_b32 s31, s42
	s_cbranch_execnz .LBB135_298
	s_branch .LBB135_299
.LBB135_314:
	s_mov_b32 s31, -1
                                        ; implicit-def: $vgpr10
	s_branch .LBB135_319
.LBB135_315:
	s_mov_b32 s31, -1
                                        ; implicit-def: $vgpr10
.LBB135_316:
	s_delay_alu instid0(SALU_CYCLE_1)
	s_and_b32 vcc_lo, exec_lo, s31
	s_cbranch_vccz .LBB135_318
; %bb.317:
	global_load_u8 v1, v[6:7], off
	s_wait_loadcnt 0x0
	v_lshlrev_b32_e32 v1, 24, v1
	s_delay_alu instid0(VALU_DEP_1) | instskip(NEXT) | instid1(VALU_DEP_1)
	v_and_b32_e32 v3, 0x7f000000, v1
	v_clz_i32_u32_e32 v5, v3
	v_cmp_ne_u32_e32 vcc_lo, 0, v3
	v_add_nc_u32_e32 v10, 0x1000000, v3
	s_delay_alu instid0(VALU_DEP_3) | instskip(NEXT) | instid1(VALU_DEP_1)
	v_min_u32_e32 v5, 32, v5
	v_sub_nc_u32_e64 v5, v5, 4 clamp
	s_delay_alu instid0(VALU_DEP_1) | instskip(NEXT) | instid1(VALU_DEP_1)
	v_dual_lshlrev_b32 v9, v5, v3 :: v_dual_lshlrev_b32 v5, 23, v5
	v_lshrrev_b32_e32 v9, 4, v9
	s_delay_alu instid0(VALU_DEP_1) | instskip(NEXT) | instid1(VALU_DEP_1)
	v_dual_sub_nc_u32 v5, v9, v5 :: v_dual_ashrrev_i32 v9, 8, v10
	v_add_nc_u32_e32 v5, 0x3c000000, v5
	s_delay_alu instid0(VALU_DEP_1) | instskip(NEXT) | instid1(VALU_DEP_1)
	v_and_or_b32 v5, 0x7f800000, v9, v5
	v_cndmask_b32_e32 v3, 0, v5, vcc_lo
	s_delay_alu instid0(VALU_DEP_1) | instskip(NEXT) | instid1(VALU_DEP_1)
	v_and_or_b32 v1, 0x80000000, v1, v3
	v_cvt_i32_f32_e32 v10, v1
.LBB135_318:
	s_mov_b32 s31, 0
.LBB135_319:
	s_delay_alu instid0(SALU_CYCLE_1)
	s_and_not1_b32 vcc_lo, exec_lo, s31
	s_cbranch_vccnz .LBB135_321
; %bb.320:
	global_load_u8 v1, v[6:7], off
	s_wait_loadcnt 0x0
	v_lshlrev_b32_e32 v3, 25, v1
	v_lshlrev_b16 v1, 8, v1
	s_delay_alu instid0(VALU_DEP_2) | instskip(NEXT) | instid1(VALU_DEP_2)
	v_cmp_gt_u32_e32 vcc_lo, 0x8000000, v3
	v_and_or_b32 v9, 0x7f00, v1, 0.5
	v_lshrrev_b32_e32 v5, 4, v3
	v_bfe_i32 v1, v1, 0, 16
	s_delay_alu instid0(VALU_DEP_3) | instskip(NEXT) | instid1(VALU_DEP_3)
	v_add_f32_e32 v9, -0.5, v9
	v_or_b32_e32 v5, 0x70000000, v5
	s_delay_alu instid0(VALU_DEP_1) | instskip(NEXT) | instid1(VALU_DEP_1)
	v_mul_f32_e32 v5, 0x7800000, v5
	v_cndmask_b32_e32 v3, v5, v9, vcc_lo
	s_delay_alu instid0(VALU_DEP_1) | instskip(NEXT) | instid1(VALU_DEP_1)
	v_and_or_b32 v1, 0x80000000, v1, v3
	v_cvt_i32_f32_e32 v10, v1
.LBB135_321:
	s_mov_b32 s42, 0
	s_mov_b32 s31, -1
.LBB135_322:
	s_and_not1_b32 vcc_lo, exec_lo, s42
	s_cbranch_vccnz .LBB135_335
; %bb.323:
	s_cmp_gt_i32 s0, 14
	s_cbranch_scc0 .LBB135_326
; %bb.324:
	s_cmp_eq_u32 s0, 15
	s_cbranch_scc0 .LBB135_329
; %bb.325:
	global_load_u16 v1, v[6:7], off
	s_mov_b32 s31, -1
	s_mov_b32 s30, 0
	s_wait_loadcnt 0x0
	v_lshlrev_b32_e32 v1, 16, v1
	s_delay_alu instid0(VALU_DEP_1)
	v_cvt_i32_f32_e32 v10, v1
	s_branch .LBB135_330
.LBB135_326:
	s_mov_b32 s42, -1
                                        ; implicit-def: $vgpr10
	s_branch .LBB135_331
.LBB135_327:
	s_and_not1_saveexec_b32 s31, s31
	s_cbranch_execz .LBB135_308
.LBB135_328:
	v_cmp_ne_u16_e32 vcc_lo, 0, v1
	s_and_not1_b32 s42, s42, exec_lo
	s_and_b32 s46, vcc_lo, exec_lo
	s_delay_alu instid0(SALU_CYCLE_1)
	s_or_b32 s42, s42, s46
	s_or_b32 exec_lo, exec_lo, s31
	v_mov_b32_e32 v10, 0
	s_and_saveexec_b32 s31, s42
	s_cbranch_execnz .LBB135_309
	s_branch .LBB135_310
.LBB135_329:
	s_mov_b32 s30, -1
                                        ; implicit-def: $vgpr10
.LBB135_330:
	s_mov_b32 s42, 0
.LBB135_331:
	s_delay_alu instid0(SALU_CYCLE_1)
	s_and_b32 vcc_lo, exec_lo, s42
	s_cbranch_vccz .LBB135_335
; %bb.332:
	s_cmp_eq_u32 s0, 11
	s_cbranch_scc0 .LBB135_334
; %bb.333:
	global_load_u8 v1, v[6:7], off
	s_mov_b32 s30, 0
	s_mov_b32 s31, -1
	s_wait_loadcnt 0x0
	v_cmp_ne_u16_e32 vcc_lo, 0, v1
	v_cndmask_b32_e64 v10, 0, 1, vcc_lo
	s_branch .LBB135_335
.LBB135_334:
	s_mov_b32 s30, -1
                                        ; implicit-def: $vgpr10
.LBB135_335:
	s_mov_b32 s42, 0
.LBB135_336:
	s_delay_alu instid0(SALU_CYCLE_1)
	s_and_b32 vcc_lo, exec_lo, s42
	s_cbranch_vccz .LBB135_385
; %bb.337:
	s_cmp_lt_i32 s0, 5
	s_cbranch_scc1 .LBB135_342
; %bb.338:
	s_cmp_lt_i32 s0, 8
	s_cbranch_scc1 .LBB135_343
	;; [unrolled: 3-line block ×3, first 2 shown]
; %bb.340:
	s_cmp_gt_i32 s0, 9
	s_cbranch_scc0 .LBB135_345
; %bb.341:
	s_wait_loadcnt 0x0
	global_load_b64 v[10:11], v[6:7], off
	s_mov_b32 s31, 0
	s_wait_loadcnt 0x0
	v_cvt_i32_f64_e32 v10, v[10:11]
	s_branch .LBB135_346
.LBB135_342:
	s_mov_b32 s31, -1
                                        ; implicit-def: $vgpr10
	s_branch .LBB135_364
.LBB135_343:
	s_mov_b32 s31, -1
                                        ; implicit-def: $vgpr10
	s_branch .LBB135_352
.LBB135_344:
	s_mov_b32 s31, -1
                                        ; implicit-def: $vgpr10
	s_branch .LBB135_349
.LBB135_345:
	s_mov_b32 s31, -1
                                        ; implicit-def: $vgpr10
.LBB135_346:
	s_delay_alu instid0(SALU_CYCLE_1)
	s_and_not1_b32 vcc_lo, exec_lo, s31
	s_cbranch_vccnz .LBB135_348
; %bb.347:
	global_load_b32 v1, v[6:7], off
	s_wait_loadcnt 0x0
	v_cvt_i32_f32_e32 v10, v1
.LBB135_348:
	s_mov_b32 s31, 0
.LBB135_349:
	s_delay_alu instid0(SALU_CYCLE_1)
	s_and_not1_b32 vcc_lo, exec_lo, s31
	s_cbranch_vccnz .LBB135_351
; %bb.350:
	global_load_b32 v1, v[6:7], off
	s_wait_loadcnt 0x0
	v_cvt_i16_f16_e32 v10, v1
.LBB135_351:
	s_mov_b32 s31, 0
.LBB135_352:
	s_delay_alu instid0(SALU_CYCLE_1)
	s_and_not1_b32 vcc_lo, exec_lo, s31
	s_cbranch_vccnz .LBB135_363
; %bb.353:
	s_cmp_lt_i32 s0, 6
	s_cbranch_scc1 .LBB135_356
; %bb.354:
	s_cmp_gt_i32 s0, 6
	s_cbranch_scc0 .LBB135_357
; %bb.355:
	s_wait_loadcnt 0x0
	global_load_b64 v[10:11], v[6:7], off
	s_mov_b32 s31, 0
	s_wait_loadcnt 0x0
	v_cvt_i32_f64_e32 v10, v[10:11]
	s_branch .LBB135_358
.LBB135_356:
	s_mov_b32 s31, -1
                                        ; implicit-def: $vgpr10
	s_branch .LBB135_361
.LBB135_357:
	s_mov_b32 s31, -1
                                        ; implicit-def: $vgpr10
.LBB135_358:
	s_delay_alu instid0(SALU_CYCLE_1)
	s_and_not1_b32 vcc_lo, exec_lo, s31
	s_cbranch_vccnz .LBB135_360
; %bb.359:
	global_load_b32 v1, v[6:7], off
	s_wait_loadcnt 0x0
	v_cvt_i32_f32_e32 v10, v1
.LBB135_360:
	s_mov_b32 s31, 0
.LBB135_361:
	s_delay_alu instid0(SALU_CYCLE_1)
	s_and_not1_b32 vcc_lo, exec_lo, s31
	s_cbranch_vccnz .LBB135_363
; %bb.362:
	global_load_u16 v1, v[6:7], off
	s_wait_loadcnt 0x0
	v_cvt_i16_f16_e32 v10, v1
.LBB135_363:
	s_mov_b32 s31, 0
.LBB135_364:
	s_delay_alu instid0(SALU_CYCLE_1)
	s_and_not1_b32 vcc_lo, exec_lo, s31
	s_cbranch_vccnz .LBB135_384
; %bb.365:
	s_cmp_lt_i32 s0, 2
	s_cbranch_scc1 .LBB135_369
; %bb.366:
	s_cmp_lt_i32 s0, 3
	s_cbranch_scc1 .LBB135_370
; %bb.367:
	s_cmp_gt_i32 s0, 3
	s_cbranch_scc0 .LBB135_371
; %bb.368:
	s_wait_loadcnt 0x0
	global_load_b64 v[10:11], v[6:7], off
	s_mov_b32 s31, 0
	s_branch .LBB135_372
.LBB135_369:
	s_mov_b32 s31, -1
                                        ; implicit-def: $vgpr10
	s_branch .LBB135_378
.LBB135_370:
	s_mov_b32 s31, -1
                                        ; implicit-def: $vgpr10
	s_branch .LBB135_375
.LBB135_371:
	s_mov_b32 s31, -1
                                        ; implicit-def: $vgpr10
.LBB135_372:
	s_delay_alu instid0(SALU_CYCLE_1)
	s_and_not1_b32 vcc_lo, exec_lo, s31
	s_cbranch_vccnz .LBB135_374
; %bb.373:
	s_wait_loadcnt 0x0
	global_load_b32 v10, v[6:7], off
.LBB135_374:
	s_mov_b32 s31, 0
.LBB135_375:
	s_delay_alu instid0(SALU_CYCLE_1)
	s_and_not1_b32 vcc_lo, exec_lo, s31
	s_cbranch_vccnz .LBB135_377
; %bb.376:
	s_wait_loadcnt 0x0
	global_load_u16 v10, v[6:7], off
.LBB135_377:
	s_mov_b32 s31, 0
.LBB135_378:
	s_delay_alu instid0(SALU_CYCLE_1)
	s_and_not1_b32 vcc_lo, exec_lo, s31
	s_cbranch_vccnz .LBB135_384
; %bb.379:
	s_cmp_gt_i32 s0, 0
	s_mov_b32 s0, 0
	s_cbranch_scc0 .LBB135_381
; %bb.380:
	s_wait_loadcnt 0x0
	global_load_i8 v10, v[6:7], off
	s_branch .LBB135_382
.LBB135_381:
	s_mov_b32 s0, -1
                                        ; implicit-def: $vgpr10
.LBB135_382:
	s_delay_alu instid0(SALU_CYCLE_1)
	s_and_not1_b32 vcc_lo, exec_lo, s0
	s_cbranch_vccnz .LBB135_384
; %bb.383:
	s_wait_loadcnt 0x0
	global_load_u8 v10, v[6:7], off
.LBB135_384:
	s_mov_b32 s31, -1
.LBB135_385:
	s_delay_alu instid0(SALU_CYCLE_1)
	s_and_not1_b32 vcc_lo, exec_lo, s31
	s_cbranch_vccnz .LBB135_393
; %bb.386:
	v_mov_b32_e32 v3, 0
	s_wait_loadcnt 0x0
	s_delay_alu instid0(VALU_DEP_4) | instskip(SKIP_1) | instid1(SALU_CYCLE_1)
	v_max_i16 v1, v4, v8
	s_and_b32 s31, s38, 0xff
	s_cmp_lt_i32 s31, 11
	v_add_nc_u64_e32 v[2:3], s[4:5], v[2:3]
	s_delay_alu instid0(VALU_DEP_2)
	v_min_i16 v1, v1, v10
	s_cbranch_scc1 .LBB135_394
; %bb.387:
	s_and_b32 s42, 0xffff, s31
	s_delay_alu instid0(SALU_CYCLE_1)
	s_cmp_gt_i32 s42, 25
	s_cbranch_scc0 .LBB135_395
; %bb.388:
	s_cmp_gt_i32 s42, 28
	s_cbranch_scc0 .LBB135_396
; %bb.389:
	;; [unrolled: 3-line block ×4, first 2 shown]
	s_mov_b32 s47, 0
	s_mov_b32 s0, -1
	s_cmp_eq_u32 s42, 46
	s_mov_b32 s46, 0
	s_cbranch_scc0 .LBB135_399
; %bb.392:
	v_bfe_i32 v4, v1, 0, 16
	s_mov_b32 s46, -1
	s_mov_b32 s0, 0
	s_delay_alu instid0(VALU_DEP_1) | instskip(NEXT) | instid1(VALU_DEP_1)
	v_cvt_f32_i32_e32 v4, v4
	v_bfe_u32 v5, v4, 16, 1
	s_delay_alu instid0(VALU_DEP_1) | instskip(NEXT) | instid1(VALU_DEP_1)
	v_add3_u32 v4, v4, v5, 0x7fff
	v_lshrrev_b32_e32 v4, 16, v4
	global_store_b32 v[2:3], v4, off
	s_branch .LBB135_399
.LBB135_393:
	s_mov_b32 s0, 0
	s_branch .LBB135_509
.LBB135_394:
	s_mov_b32 s42, -1
	s_mov_b32 s0, 0
	s_mov_b32 s46, 0
	s_branch .LBB135_468
.LBB135_395:
	s_mov_b32 s47, -1
	s_mov_b32 s0, 0
	s_mov_b32 s46, 0
	s_branch .LBB135_426
.LBB135_396:
	s_mov_b32 s47, -1
	s_mov_b32 s0, 0
	s_mov_b32 s46, 0
	s_branch .LBB135_409
.LBB135_397:
	s_mov_b32 s47, -1
	s_mov_b32 s0, 0
	s_mov_b32 s46, 0
	s_branch .LBB135_405
.LBB135_398:
	s_mov_b32 s47, -1
	s_mov_b32 s0, 0
	s_mov_b32 s46, 0
.LBB135_399:
	s_and_b32 vcc_lo, exec_lo, s47
	s_cbranch_vccz .LBB135_404
; %bb.400:
	s_cmp_eq_u32 s42, 44
	s_mov_b32 s0, -1
	s_cbranch_scc0 .LBB135_404
; %bb.401:
	s_wait_xcnt 0x0
	v_bfe_i32 v4, v1, 0, 16
	v_mov_b32_e32 v5, 0xff
	s_mov_b32 s46, exec_lo
	s_delay_alu instid0(VALU_DEP_2) | instskip(NEXT) | instid1(VALU_DEP_1)
	v_cvt_f32_i32_e32 v4, v4
	v_bfe_u32 v6, v4, 23, 8
	s_delay_alu instid0(VALU_DEP_1)
	v_cmpx_ne_u32_e32 0xff, v6
	s_cbranch_execz .LBB135_403
; %bb.402:
	v_and_b32_e32 v5, 0x400000, v4
	v_and_or_b32 v6, 0x3fffff, v4, v6
	v_lshrrev_b32_e32 v4, 23, v4
	s_delay_alu instid0(VALU_DEP_3) | instskip(NEXT) | instid1(VALU_DEP_3)
	v_cmp_ne_u32_e32 vcc_lo, 0, v5
	v_cmp_ne_u32_e64 s0, 0, v6
	s_and_b32 s0, vcc_lo, s0
	s_delay_alu instid0(SALU_CYCLE_1) | instskip(NEXT) | instid1(VALU_DEP_1)
	v_cndmask_b32_e64 v5, 0, 1, s0
	v_add_nc_u32_e32 v5, v4, v5
.LBB135_403:
	s_or_b32 exec_lo, exec_lo, s46
	s_mov_b32 s46, -1
	s_mov_b32 s0, 0
	global_store_b8 v[2:3], v5, off
.LBB135_404:
	s_mov_b32 s47, 0
.LBB135_405:
	s_delay_alu instid0(SALU_CYCLE_1)
	s_and_b32 vcc_lo, exec_lo, s47
	s_cbranch_vccz .LBB135_408
; %bb.406:
	s_cmp_eq_u32 s42, 29
	s_mov_b32 s0, -1
	s_cbranch_scc0 .LBB135_408
; %bb.407:
	s_wait_xcnt 0x0
	v_bfe_i32 v4, v1, 0, 16
	s_mov_b32 s0, 0
	s_mov_b32 s46, -1
	s_mov_b32 s47, 0
	s_delay_alu instid0(VALU_DEP_1)
	v_ashrrev_i32_e32 v5, 31, v4
	global_store_b64 v[2:3], v[4:5], off
	s_branch .LBB135_409
.LBB135_408:
	s_mov_b32 s47, 0
.LBB135_409:
	s_delay_alu instid0(SALU_CYCLE_1)
	s_and_b32 vcc_lo, exec_lo, s47
	s_cbranch_vccz .LBB135_425
; %bb.410:
	s_cmp_lt_i32 s42, 27
	s_mov_b32 s46, -1
	s_cbranch_scc1 .LBB135_416
; %bb.411:
	s_cmp_gt_i32 s42, 27
	s_cbranch_scc0 .LBB135_413
; %bb.412:
	s_wait_xcnt 0x0
	v_bfe_i32 v4, v1, 0, 16
	s_mov_b32 s46, 0
	global_store_b32 v[2:3], v4, off
.LBB135_413:
	s_and_not1_b32 vcc_lo, exec_lo, s46
	s_cbranch_vccnz .LBB135_415
; %bb.414:
	global_store_b16 v[2:3], v1, off
.LBB135_415:
	s_mov_b32 s46, 0
.LBB135_416:
	s_delay_alu instid0(SALU_CYCLE_1)
	s_and_not1_b32 vcc_lo, exec_lo, s46
	s_cbranch_vccnz .LBB135_424
; %bb.417:
	s_wait_xcnt 0x0
	v_bfe_i32 v4, v1, 0, 16
	v_mov_b32_e32 v6, 0x80
	s_mov_b32 s46, exec_lo
	s_delay_alu instid0(VALU_DEP_2) | instskip(NEXT) | instid1(VALU_DEP_1)
	v_cvt_f32_i32_e32 v4, v4
	v_and_b32_e32 v5, 0x7fffffff, v4
	s_delay_alu instid0(VALU_DEP_1)
	v_cmpx_gt_u32_e32 0x43800000, v5
	s_cbranch_execz .LBB135_423
; %bb.418:
	v_cmp_lt_u32_e32 vcc_lo, 0x3bffffff, v5
	s_mov_b32 s47, 0
                                        ; implicit-def: $vgpr5
	s_and_saveexec_b32 s48, vcc_lo
	s_delay_alu instid0(SALU_CYCLE_1)
	s_xor_b32 s48, exec_lo, s48
	s_cbranch_execz .LBB135_664
; %bb.419:
	v_bfe_u32 v5, v4, 20, 1
	s_mov_b32 s47, exec_lo
	s_delay_alu instid0(VALU_DEP_1) | instskip(NEXT) | instid1(VALU_DEP_1)
	v_add3_u32 v5, v4, v5, 0x487ffff
	v_lshrrev_b32_e32 v5, 20, v5
	s_and_not1_saveexec_b32 s48, s48
	s_cbranch_execnz .LBB135_665
.LBB135_420:
	s_or_b32 exec_lo, exec_lo, s48
	v_mov_b32_e32 v6, 0
	s_and_saveexec_b32 s48, s47
.LBB135_421:
	v_lshrrev_b32_e32 v4, 24, v4
	s_delay_alu instid0(VALU_DEP_1)
	v_and_or_b32 v6, 0x80, v4, v5
.LBB135_422:
	s_or_b32 exec_lo, exec_lo, s48
.LBB135_423:
	s_delay_alu instid0(SALU_CYCLE_1)
	s_or_b32 exec_lo, exec_lo, s46
	global_store_b8 v[2:3], v6, off
.LBB135_424:
	s_mov_b32 s46, -1
.LBB135_425:
	s_mov_b32 s47, 0
.LBB135_426:
	s_delay_alu instid0(SALU_CYCLE_1)
	s_and_b32 vcc_lo, exec_lo, s47
	s_cbranch_vccz .LBB135_467
; %bb.427:
	s_cmp_gt_i32 s42, 22
	s_mov_b32 s47, -1
	s_cbranch_scc0 .LBB135_459
; %bb.428:
	s_cmp_lt_i32 s42, 24
	s_mov_b32 s46, -1
	s_cbranch_scc1 .LBB135_448
; %bb.429:
	s_cmp_gt_i32 s42, 24
	s_cbranch_scc0 .LBB135_437
; %bb.430:
	s_wait_xcnt 0x0
	v_bfe_i32 v4, v1, 0, 16
	v_mov_b32_e32 v6, 0x80
	s_mov_b32 s46, exec_lo
	s_delay_alu instid0(VALU_DEP_2) | instskip(NEXT) | instid1(VALU_DEP_1)
	v_cvt_f32_i32_e32 v4, v4
	v_and_b32_e32 v5, 0x7fffffff, v4
	s_delay_alu instid0(VALU_DEP_1)
	v_cmpx_gt_u32_e32 0x47800000, v5
	s_cbranch_execz .LBB135_436
; %bb.431:
	v_cmp_lt_u32_e32 vcc_lo, 0x37ffffff, v5
	s_mov_b32 s47, 0
                                        ; implicit-def: $vgpr5
	s_and_saveexec_b32 s48, vcc_lo
	s_delay_alu instid0(SALU_CYCLE_1)
	s_xor_b32 s48, exec_lo, s48
	s_cbranch_execz .LBB135_792
; %bb.432:
	v_bfe_u32 v5, v4, 21, 1
	s_mov_b32 s47, exec_lo
	s_delay_alu instid0(VALU_DEP_1) | instskip(NEXT) | instid1(VALU_DEP_1)
	v_add3_u32 v5, v4, v5, 0x88fffff
	v_lshrrev_b32_e32 v5, 21, v5
	s_and_not1_saveexec_b32 s48, s48
	s_cbranch_execnz .LBB135_793
.LBB135_433:
	s_or_b32 exec_lo, exec_lo, s48
	v_mov_b32_e32 v6, 0
	s_and_saveexec_b32 s48, s47
.LBB135_434:
	v_lshrrev_b32_e32 v4, 24, v4
	s_delay_alu instid0(VALU_DEP_1)
	v_and_or_b32 v6, 0x80, v4, v5
.LBB135_435:
	s_or_b32 exec_lo, exec_lo, s48
.LBB135_436:
	s_delay_alu instid0(SALU_CYCLE_1)
	s_or_b32 exec_lo, exec_lo, s46
	s_mov_b32 s46, 0
	global_store_b8 v[2:3], v6, off
.LBB135_437:
	s_and_b32 vcc_lo, exec_lo, s46
	s_cbranch_vccz .LBB135_447
; %bb.438:
	s_wait_xcnt 0x0
	v_bfe_i32 v4, v1, 0, 16
	s_mov_b32 s46, exec_lo
                                        ; implicit-def: $vgpr5
	s_delay_alu instid0(VALU_DEP_1) | instskip(NEXT) | instid1(VALU_DEP_1)
	v_cvt_f32_i32_e32 v4, v4
	v_and_b32_e32 v6, 0x7fffffff, v4
	s_delay_alu instid0(VALU_DEP_1)
	v_cmpx_gt_u32_e32 0x43f00000, v6
	s_xor_b32 s46, exec_lo, s46
	s_cbranch_execz .LBB135_444
; %bb.439:
	s_mov_b32 s47, exec_lo
                                        ; implicit-def: $vgpr5
	v_cmpx_lt_u32_e32 0x3c7fffff, v6
	s_xor_b32 s47, exec_lo, s47
; %bb.440:
	v_bfe_u32 v5, v4, 20, 1
	s_delay_alu instid0(VALU_DEP_1) | instskip(NEXT) | instid1(VALU_DEP_1)
	v_add3_u32 v5, v4, v5, 0x407ffff
	v_and_b32_e32 v6, 0xff00000, v5
	v_lshrrev_b32_e32 v5, 20, v5
	s_delay_alu instid0(VALU_DEP_2) | instskip(NEXT) | instid1(VALU_DEP_2)
	v_cmp_ne_u32_e32 vcc_lo, 0x7f00000, v6
	v_cndmask_b32_e32 v5, 0x7e, v5, vcc_lo
; %bb.441:
	s_and_not1_saveexec_b32 s47, s47
; %bb.442:
	v_add_f32_e64 v5, 0x46800000, |v4|
; %bb.443:
	s_or_b32 exec_lo, exec_lo, s47
                                        ; implicit-def: $vgpr6
.LBB135_444:
	s_and_not1_saveexec_b32 s46, s46
; %bb.445:
	v_mov_b32_e32 v5, 0x7f
	v_cmp_lt_u32_e32 vcc_lo, 0x7f800000, v6
	s_delay_alu instid0(VALU_DEP_2)
	v_cndmask_b32_e32 v5, 0x7e, v5, vcc_lo
; %bb.446:
	s_or_b32 exec_lo, exec_lo, s46
	v_lshrrev_b32_e32 v4, 24, v4
	s_delay_alu instid0(VALU_DEP_1)
	v_and_or_b32 v4, 0x80, v4, v5
	global_store_b8 v[2:3], v4, off
.LBB135_447:
	s_mov_b32 s46, 0
.LBB135_448:
	s_delay_alu instid0(SALU_CYCLE_1)
	s_and_not1_b32 vcc_lo, exec_lo, s46
	s_cbranch_vccnz .LBB135_458
; %bb.449:
	s_wait_xcnt 0x0
	v_bfe_i32 v4, v1, 0, 16
	s_mov_b32 s46, exec_lo
                                        ; implicit-def: $vgpr5
	s_delay_alu instid0(VALU_DEP_1) | instskip(NEXT) | instid1(VALU_DEP_1)
	v_cvt_f32_i32_e32 v4, v4
	v_and_b32_e32 v6, 0x7fffffff, v4
	s_delay_alu instid0(VALU_DEP_1)
	v_cmpx_gt_u32_e32 0x47800000, v6
	s_xor_b32 s46, exec_lo, s46
	s_cbranch_execz .LBB135_455
; %bb.450:
	s_mov_b32 s47, exec_lo
                                        ; implicit-def: $vgpr5
	v_cmpx_lt_u32_e32 0x387fffff, v6
	s_xor_b32 s47, exec_lo, s47
; %bb.451:
	v_bfe_u32 v5, v4, 21, 1
	s_delay_alu instid0(VALU_DEP_1) | instskip(NEXT) | instid1(VALU_DEP_1)
	v_add3_u32 v5, v4, v5, 0x80fffff
	v_lshrrev_b32_e32 v5, 21, v5
; %bb.452:
	s_and_not1_saveexec_b32 s47, s47
; %bb.453:
	v_add_f32_e64 v5, 0x43000000, |v4|
; %bb.454:
	s_or_b32 exec_lo, exec_lo, s47
                                        ; implicit-def: $vgpr6
.LBB135_455:
	s_and_not1_saveexec_b32 s46, s46
; %bb.456:
	v_mov_b32_e32 v5, 0x7f
	v_cmp_lt_u32_e32 vcc_lo, 0x7f800000, v6
	s_delay_alu instid0(VALU_DEP_2)
	v_cndmask_b32_e32 v5, 0x7c, v5, vcc_lo
; %bb.457:
	s_or_b32 exec_lo, exec_lo, s46
	v_lshrrev_b32_e32 v4, 24, v4
	s_delay_alu instid0(VALU_DEP_1)
	v_and_or_b32 v4, 0x80, v4, v5
	global_store_b8 v[2:3], v4, off
.LBB135_458:
	s_mov_b32 s47, 0
	s_mov_b32 s46, -1
.LBB135_459:
	s_and_not1_b32 vcc_lo, exec_lo, s47
	s_cbranch_vccnz .LBB135_467
; %bb.460:
	s_cmp_gt_i32 s42, 14
	s_mov_b32 s47, -1
	s_cbranch_scc0 .LBB135_464
; %bb.461:
	s_cmp_eq_u32 s42, 15
	s_mov_b32 s0, -1
	s_cbranch_scc0 .LBB135_463
; %bb.462:
	s_wait_xcnt 0x0
	v_bfe_i32 v4, v1, 0, 16
	s_mov_b32 s46, -1
	s_mov_b32 s0, 0
	s_delay_alu instid0(VALU_DEP_1) | instskip(NEXT) | instid1(VALU_DEP_1)
	v_cvt_f32_i32_e32 v4, v4
	v_bfe_u32 v5, v4, 16, 1
	s_delay_alu instid0(VALU_DEP_1)
	v_add3_u32 v4, v4, v5, 0x7fff
	global_store_d16_hi_b16 v[2:3], v4, off
.LBB135_463:
	s_mov_b32 s47, 0
.LBB135_464:
	s_delay_alu instid0(SALU_CYCLE_1)
	s_and_b32 vcc_lo, exec_lo, s47
	s_cbranch_vccz .LBB135_467
; %bb.465:
	s_cmp_eq_u32 s42, 11
	s_mov_b32 s0, -1
	s_cbranch_scc0 .LBB135_467
; %bb.466:
	v_cmp_ne_u16_e32 vcc_lo, 0, v1
	s_mov_b32 s0, 0
	s_mov_b32 s46, -1
	s_wait_xcnt 0x0
	v_cndmask_b32_e64 v4, 0, 1, vcc_lo
	global_store_b8 v[2:3], v4, off
.LBB135_467:
	s_mov_b32 s42, 0
.LBB135_468:
	s_delay_alu instid0(SALU_CYCLE_1)
	s_and_b32 vcc_lo, exec_lo, s42
	s_cbranch_vccz .LBB135_507
; %bb.469:
	s_and_b32 s31, 0xffff, s31
	s_mov_b32 s42, -1
	s_cmp_lt_i32 s31, 5
	s_cbranch_scc1 .LBB135_490
; %bb.470:
	s_cmp_lt_i32 s31, 8
	s_cbranch_scc1 .LBB135_480
; %bb.471:
	;; [unrolled: 3-line block ×3, first 2 shown]
	s_cmp_gt_i32 s31, 9
	s_cbranch_scc0 .LBB135_474
; %bb.473:
	s_wait_xcnt 0x0
	v_bfe_i32 v4, v1, 0, 16
	v_mov_b32_e32 v6, 0
	s_mov_b32 s42, 0
	s_delay_alu instid0(VALU_DEP_2) | instskip(NEXT) | instid1(VALU_DEP_2)
	v_cvt_f64_i32_e32 v[4:5], v4
	v_mov_b32_e32 v7, v6
	global_store_b128 v[2:3], v[4:7], off
.LBB135_474:
	s_and_not1_b32 vcc_lo, exec_lo, s42
	s_cbranch_vccnz .LBB135_476
; %bb.475:
	s_wait_xcnt 0x0
	v_bfe_i32 v4, v1, 0, 16
	v_mov_b32_e32 v5, 0
	s_delay_alu instid0(VALU_DEP_2)
	v_cvt_f32_i32_e32 v4, v4
	global_store_b64 v[2:3], v[4:5], off
.LBB135_476:
	s_mov_b32 s42, 0
.LBB135_477:
	s_delay_alu instid0(SALU_CYCLE_1)
	s_and_not1_b32 vcc_lo, exec_lo, s42
	s_cbranch_vccnz .LBB135_479
; %bb.478:
	s_wait_xcnt 0x0
	v_cvt_f16_i16_e32 v4, v1
	s_delay_alu instid0(VALU_DEP_1)
	v_and_b32_e32 v4, 0xffff, v4
	global_store_b32 v[2:3], v4, off
.LBB135_479:
	s_mov_b32 s42, 0
.LBB135_480:
	s_delay_alu instid0(SALU_CYCLE_1)
	s_and_not1_b32 vcc_lo, exec_lo, s42
	s_cbranch_vccnz .LBB135_489
; %bb.481:
	s_cmp_lt_i32 s31, 6
	s_mov_b32 s42, -1
	s_cbranch_scc1 .LBB135_487
; %bb.482:
	s_cmp_gt_i32 s31, 6
	s_cbranch_scc0 .LBB135_484
; %bb.483:
	s_wait_xcnt 0x0
	v_bfe_i32 v4, v1, 0, 16
	s_mov_b32 s42, 0
	s_delay_alu instid0(VALU_DEP_1)
	v_cvt_f64_i32_e32 v[4:5], v4
	global_store_b64 v[2:3], v[4:5], off
.LBB135_484:
	s_and_not1_b32 vcc_lo, exec_lo, s42
	s_cbranch_vccnz .LBB135_486
; %bb.485:
	s_wait_xcnt 0x0
	v_bfe_i32 v4, v1, 0, 16
	s_delay_alu instid0(VALU_DEP_1)
	v_cvt_f32_i32_e32 v4, v4
	global_store_b32 v[2:3], v4, off
.LBB135_486:
	s_mov_b32 s42, 0
.LBB135_487:
	s_delay_alu instid0(SALU_CYCLE_1)
	s_and_not1_b32 vcc_lo, exec_lo, s42
	s_cbranch_vccnz .LBB135_489
; %bb.488:
	s_wait_xcnt 0x0
	v_cvt_f16_i16_e32 v4, v1
	global_store_b16 v[2:3], v4, off
.LBB135_489:
	s_mov_b32 s42, 0
.LBB135_490:
	s_delay_alu instid0(SALU_CYCLE_1)
	s_and_not1_b32 vcc_lo, exec_lo, s42
	s_cbranch_vccnz .LBB135_506
; %bb.491:
	s_cmp_lt_i32 s31, 2
	s_mov_b32 s42, -1
	s_cbranch_scc1 .LBB135_501
; %bb.492:
	s_cmp_lt_i32 s31, 3
	s_cbranch_scc1 .LBB135_498
; %bb.493:
	s_wait_xcnt 0x0
	v_bfe_i32 v4, v1, 0, 16
	s_cmp_gt_i32 s31, 3
	s_cbranch_scc0 .LBB135_495
; %bb.494:
	s_delay_alu instid0(VALU_DEP_1)
	v_ashrrev_i32_e32 v5, 31, v4
	s_mov_b32 s42, 0
	global_store_b64 v[2:3], v[4:5], off
.LBB135_495:
	s_and_not1_b32 vcc_lo, exec_lo, s42
	s_cbranch_vccnz .LBB135_497
; %bb.496:
	global_store_b32 v[2:3], v4, off
.LBB135_497:
	s_mov_b32 s42, 0
.LBB135_498:
	s_delay_alu instid0(SALU_CYCLE_1)
	s_and_not1_b32 vcc_lo, exec_lo, s42
	s_cbranch_vccnz .LBB135_500
; %bb.499:
	global_store_b16 v[2:3], v1, off
.LBB135_500:
	s_mov_b32 s42, 0
.LBB135_501:
	s_delay_alu instid0(SALU_CYCLE_1)
	s_and_not1_b32 vcc_lo, exec_lo, s42
	s_cbranch_vccnz .LBB135_506
; %bb.502:
	s_cmp_gt_i32 s31, 0
	s_mov_b32 s31, -1
	s_cbranch_scc0 .LBB135_504
; %bb.503:
	s_mov_b32 s31, 0
	global_store_b8 v[2:3], v1, off
.LBB135_504:
	s_and_not1_b32 vcc_lo, exec_lo, s31
	s_cbranch_vccnz .LBB135_506
; %bb.505:
	global_store_b8 v[2:3], v1, off
.LBB135_506:
	s_mov_b32 s46, -1
.LBB135_507:
	s_delay_alu instid0(SALU_CYCLE_1)
	s_and_not1_b32 vcc_lo, exec_lo, s46
	s_cbranch_vccnz .LBB135_509
; %bb.508:
	v_add_nc_u32_e32 v0, 0x80, v0
	s_mov_b32 s31, -1
	s_branch .LBB135_510
.LBB135_509:
	s_mov_b32 s31, 0
                                        ; implicit-def: $vgpr0
.LBB135_510:
	s_and_b32 s42, s0, exec_lo
	s_and_b32 s46, s30, exec_lo
	;; [unrolled: 1-line block ×4, first 2 shown]
	s_or_not1_b32 s29, s31, exec_lo
.LBB135_511:
	s_wait_xcnt 0x0
	s_or_b32 exec_lo, exec_lo, s49
	s_mov_b32 s30, 0
	s_mov_b32 s28, 0
                                        ; implicit-def: $sgpr0
                                        ; implicit-def: $vgpr10_vgpr11
                                        ; implicit-def: $vgpr2
                                        ; implicit-def: $vgpr6
                                        ; implicit-def: $vgpr8
                                        ; implicit-def: $vgpr4
	s_and_saveexec_b32 s49, s29
	s_cbranch_execz .LBB135_519
; %bb.512:
	s_mov_b32 s31, -1
	s_mov_b32 s50, s48
	s_mov_b32 s53, s47
	;; [unrolled: 1-line block ×4, first 2 shown]
	s_mov_b32 s54, exec_lo
	v_cmpx_gt_i32_e64 s44, v0
	s_cbranch_execz .LBB135_1033
; %bb.513:
	s_and_not1_b32 vcc_lo, exec_lo, s36
	s_cbranch_vccnz .LBB135_522
; %bb.514:
	s_and_not1_b32 vcc_lo, exec_lo, s45
	s_cbranch_vccnz .LBB135_523
; %bb.515:
	s_wait_loadcnt 0x0
	v_dual_mov_b32 v8, 0 :: v_dual_mov_b32 v1, v0
	v_dual_mov_b32 v6, 0 :: v_dual_mov_b32 v2, 0
	v_mov_b32_e32 v4, 0
	s_add_co_i32 s0, s43, 1
	s_mov_b64 s[28:29], 0xffffffffffffffe0
	s_and_b32 s0, s0, 30
	s_add_nc_u64 s[28:29], s[2:3], s[28:29]
	s_mov_b64 s[30:31], s[2:3]
.LBB135_516:                            ; =>This Inner Loop Header: Depth=1
	s_clause 0x1
	s_load_b128 s[64:67], s[30:31], 0x4
	s_load_b64 s[50:51], s[30:31], 0x14
	s_load_b256 s[56:63], s[28:29], 0xe4
	s_add_co_i32 s0, s0, -2
	s_wait_xcnt 0x0
	s_add_nc_u64 s[30:31], s[30:31], 24
	s_cmp_eq_u32 s0, 0
	s_add_nc_u64 s[28:29], s[28:29], 32
	s_wait_kmcnt 0x0
	v_mul_hi_u32 v3, s65, v1
	s_delay_alu instid0(VALU_DEP_1) | instskip(NEXT) | instid1(VALU_DEP_1)
	v_add_nc_u32_e32 v3, v1, v3
	v_lshrrev_b32_e32 v3, s66, v3
	s_delay_alu instid0(VALU_DEP_1) | instskip(SKIP_1) | instid1(VALU_DEP_1)
	v_mul_hi_u32 v5, s50, v3
	v_mul_lo_u32 v7, v3, s64
	v_dual_add_nc_u32 v5, v3, v5 :: v_dual_sub_nc_u32 v7, v1, v7
	s_delay_alu instid0(VALU_DEP_1) | instskip(NEXT) | instid1(VALU_DEP_2)
	v_lshrrev_b32_e32 v1, s51, v5
	v_mad_u32 v4, v7, s57, v4
	v_mad_u32 v2, v7, s56, v2
	;; [unrolled: 1-line block ×4, first 2 shown]
	v_mul_lo_u32 v5, v1, s67
	s_delay_alu instid0(VALU_DEP_1) | instskip(NEXT) | instid1(VALU_DEP_1)
	v_sub_nc_u32_e32 v3, v3, v5
	v_mad_u32 v4, v3, s61, v4
	v_mad_u32 v2, v3, s60, v2
	;; [unrolled: 1-line block ×4, first 2 shown]
	s_cbranch_scc0 .LBB135_516
; %bb.517:
	s_bitcmp1_b32 s43, 0
	s_cselect_b32 s0, -1, 0
	s_delay_alu instid0(SALU_CYCLE_1)
	s_and_b32 vcc_lo, exec_lo, s0
	s_cbranch_vccnz .LBB135_524
; %bb.518:
	s_load_b96 s[60:62], s[30:31], 0x4
	s_load_b128 s[56:59], s[28:29], 0xe4
	s_wait_kmcnt 0x0
	v_mul_hi_u32 v3, s61, v1
	s_delay_alu instid0(VALU_DEP_1) | instskip(NEXT) | instid1(VALU_DEP_1)
	v_add_nc_u32_e32 v3, v1, v3
	v_lshrrev_b32_e32 v3, s62, v3
	s_delay_alu instid0(VALU_DEP_1) | instskip(NEXT) | instid1(VALU_DEP_1)
	v_mul_lo_u32 v3, v3, s60
	v_sub_nc_u32_e32 v1, v1, v3
	s_delay_alu instid0(VALU_DEP_1)
	v_mad_u32 v2, v1, s56, v2
	v_mad_u32 v4, v1, s57, v4
	;; [unrolled: 1-line block ×4, first 2 shown]
	s_branch .LBB135_524
.LBB135_519:
	s_or_b32 exec_lo, exec_lo, s49
	s_mov_b32 s1, 0
	s_and_saveexec_b32 s6, s48
	s_cbranch_execnz .LBB135_1645
.LBB135_520:
	s_or_b32 exec_lo, exec_lo, s6
	s_and_saveexec_b32 s6, s25
	s_delay_alu instid0(SALU_CYCLE_1)
	s_xor_b32 s6, exec_lo, s6
	s_cbranch_execz .LBB135_1646
.LBB135_521:
	s_wait_loadcnt 0x0
	global_load_u8 v0, v[10:11], off
	s_or_b32 s28, s28, exec_lo
	s_wait_loadcnt 0x0
	v_cmp_ne_u16_e32 vcc_lo, 0, v0
	v_cndmask_b32_e64 v4, 0, 1, vcc_lo
	s_wait_xcnt 0x0
	s_or_b32 exec_lo, exec_lo, s6
	s_and_saveexec_b32 s6, s30
	s_cbranch_execz .LBB135_1692
	s_branch .LBB135_1647
.LBB135_522:
                                        ; implicit-def: $vgpr4
                                        ; implicit-def: $vgpr2
                                        ; implicit-def: $vgpr6
                                        ; implicit-def: $vgpr8
	s_branch .LBB135_525
.LBB135_523:
	s_wait_loadcnt 0x0
	v_dual_mov_b32 v4, 0 :: v_dual_mov_b32 v2, 0
	v_dual_mov_b32 v6, 0 :: v_dual_mov_b32 v8, 0
.LBB135_524:
	s_cbranch_execnz .LBB135_527
.LBB135_525:
	v_mov_b32_e32 v1, 0
	s_and_not1_b32 vcc_lo, exec_lo, s41
	s_delay_alu instid0(VALU_DEP_1) | instskip(NEXT) | instid1(VALU_DEP_1)
	v_mul_u64_e32 v[2:3], s[24:25], v[0:1]
	v_add_nc_u32_e32 v2, v0, v3
	s_wait_loadcnt 0x0
	s_delay_alu instid0(VALU_DEP_1) | instskip(NEXT) | instid1(VALU_DEP_1)
	v_lshrrev_b32_e32 v10, s22, v2
	v_mul_lo_u32 v2, v10, s20
	s_delay_alu instid0(VALU_DEP_1) | instskip(NEXT) | instid1(VALU_DEP_1)
	v_sub_nc_u32_e32 v3, v0, v2
	v_mul_lo_u32 v4, v3, s13
	v_mul_lo_u32 v2, v3, s12
	;; [unrolled: 1-line block ×4, first 2 shown]
	s_cbranch_vccnz .LBB135_527
; %bb.526:
	v_mov_b32_e32 v11, v1
	s_delay_alu instid0(VALU_DEP_1) | instskip(NEXT) | instid1(VALU_DEP_1)
	v_mul_u64_e32 v[12:13], s[26:27], v[10:11]
	v_add_nc_u32_e32 v1, v10, v13
	s_delay_alu instid0(VALU_DEP_1) | instskip(NEXT) | instid1(VALU_DEP_1)
	v_lshrrev_b32_e32 v1, s1, v1
	v_mul_lo_u32 v1, v1, s23
	s_delay_alu instid0(VALU_DEP_1) | instskip(NEXT) | instid1(VALU_DEP_1)
	v_sub_nc_u32_e32 v1, v10, v1
	v_mad_u32 v2, v1, s16, v2
	v_mad_u32 v4, v1, s17, v4
	;; [unrolled: 1-line block ×4, first 2 shown]
.LBB135_527:
	s_wait_loadcnt 0x0
	v_mov_b32_e32 v5, 0
	s_and_b32 s0, s40, 0xff
	s_delay_alu instid0(SALU_CYCLE_1) | instskip(NEXT) | instid1(VALU_DEP_1)
	s_cmp_lt_i32 s0, 11
	v_add_nc_u64_e32 v[10:11], s[6:7], v[4:5]
	s_cbranch_scc1 .LBB135_534
; %bb.528:
	s_and_b32 s29, 0xffff, s0
	s_delay_alu instid0(SALU_CYCLE_1)
	s_cmp_gt_i32 s29, 25
	s_cbranch_scc0 .LBB135_543
; %bb.529:
	s_cmp_gt_i32 s29, 28
	s_cbranch_scc0 .LBB135_545
; %bb.530:
	;; [unrolled: 3-line block ×4, first 2 shown]
	s_cmp_eq_u32 s29, 46
	s_mov_b32 s31, 0
	s_cbranch_scc0 .LBB135_551
; %bb.533:
	global_load_b32 v1, v[10:11], off
	s_mov_b32 s30, -1
	s_mov_b32 s28, 0
	s_wait_loadcnt 0x0
	v_lshlrev_b32_e32 v1, 16, v1
	s_delay_alu instid0(VALU_DEP_1)
	v_cvt_i32_f32_e32 v4, v1
	s_branch .LBB135_553
.LBB135_534:
	s_mov_b32 s30, 0
	s_mov_b32 s28, s48
                                        ; implicit-def: $vgpr4
	s_cbranch_execnz .LBB135_615
.LBB135_535:
	s_and_not1_b32 vcc_lo, exec_lo, s30
	s_cbranch_vccnz .LBB135_663
.LBB135_536:
	v_mov_b32_e32 v9, 0
	s_and_b32 s0, s39, 0xff
	s_delay_alu instid0(SALU_CYCLE_1) | instskip(SKIP_1) | instid1(VALU_DEP_1)
	s_cmp_lt_i32 s0, 11
	s_wait_xcnt 0x0
	v_add_nc_u64_e32 v[10:11], s[8:9], v[8:9]
	s_cbranch_scc1 .LBB135_544
; %bb.537:
	s_and_b32 s30, 0xffff, s0
	s_delay_alu instid0(SALU_CYCLE_1)
	s_cmp_gt_i32 s30, 25
	s_cbranch_scc0 .LBB135_546
; %bb.538:
	s_cmp_gt_i32 s30, 28
	s_cbranch_scc0 .LBB135_548
; %bb.539:
	;; [unrolled: 3-line block ×4, first 2 shown]
	s_cmp_eq_u32 s30, 46
	s_mov_b32 s50, 0
	s_cbranch_scc0 .LBB135_666
; %bb.542:
	global_load_b32 v1, v[10:11], off
	s_mov_b32 s31, -1
	s_mov_b32 s29, 0
	s_wait_loadcnt 0x0
	v_lshlrev_b32_e32 v1, 16, v1
	s_delay_alu instid0(VALU_DEP_1)
	v_cvt_i32_f32_e32 v8, v1
	s_branch .LBB135_668
.LBB135_543:
	s_mov_b32 s31, -1
	s_mov_b32 s30, 0
	s_mov_b32 s28, s48
                                        ; implicit-def: $vgpr4
	s_branch .LBB135_581
.LBB135_544:
	s_mov_b32 s30, -1
	s_mov_b32 s31, 0
	s_mov_b32 s29, s47
                                        ; implicit-def: $vgpr8
	s_branch .LBB135_729
.LBB135_545:
	s_mov_b32 s31, -1
	s_mov_b32 s30, 0
	s_mov_b32 s28, s48
                                        ; implicit-def: $vgpr4
	s_branch .LBB135_564
.LBB135_546:
	s_mov_b32 s50, -1
	s_mov_b32 s31, 0
	s_mov_b32 s29, s47
                                        ; implicit-def: $vgpr8
	s_branch .LBB135_695
.LBB135_547:
	s_mov_b32 s31, -1
	s_mov_b32 s30, 0
	s_mov_b32 s28, s48
                                        ; implicit-def: $vgpr4
	s_branch .LBB135_559
.LBB135_548:
	s_mov_b32 s50, -1
	s_mov_b32 s31, 0
	s_mov_b32 s29, s47
                                        ; implicit-def: $vgpr8
	s_branch .LBB135_678
.LBB135_549:
	s_mov_b32 s31, -1
	s_mov_b32 s30, 0
	s_mov_b32 s28, s48
	s_branch .LBB135_552
.LBB135_550:
	s_mov_b32 s50, -1
	s_mov_b32 s31, 0
	s_mov_b32 s29, s47
                                        ; implicit-def: $vgpr8
	s_branch .LBB135_673
.LBB135_551:
	s_mov_b32 s28, -1
	s_mov_b32 s30, 0
.LBB135_552:
                                        ; implicit-def: $vgpr4
.LBB135_553:
	s_and_b32 vcc_lo, exec_lo, s31
	s_cbranch_vccz .LBB135_558
; %bb.554:
	s_cmp_eq_u32 s29, 44
	s_cbranch_scc0 .LBB135_557
; %bb.555:
	global_load_u8 v1, v[10:11], off
	s_mov_b32 s28, 0
	s_mov_b32 s30, -1
	s_wait_loadcnt 0x0
	v_lshlrev_b32_e32 v3, 23, v1
	v_cmp_ne_u32_e32 vcc_lo, 0, v1
	s_delay_alu instid0(VALU_DEP_2) | instskip(NEXT) | instid1(VALU_DEP_1)
	v_cvt_i32_f32_e32 v3, v3
	v_cndmask_b32_e32 v4, 0, v3, vcc_lo
	s_branch .LBB135_558
.LBB135_556:
	s_mov_b32 s50, -1
	s_mov_b32 s31, 0
	s_mov_b32 s29, s47
	s_branch .LBB135_667
.LBB135_557:
	s_mov_b32 s28, -1
                                        ; implicit-def: $vgpr4
.LBB135_558:
	s_mov_b32 s31, 0
.LBB135_559:
	s_delay_alu instid0(SALU_CYCLE_1)
	s_and_b32 vcc_lo, exec_lo, s31
	s_cbranch_vccz .LBB135_563
; %bb.560:
	s_cmp_eq_u32 s29, 29
	s_cbranch_scc0 .LBB135_562
; %bb.561:
	global_load_b64 v[4:5], v[10:11], off
	s_mov_b32 s30, -1
	s_mov_b32 s28, 0
	s_branch .LBB135_563
.LBB135_562:
	s_mov_b32 s28, -1
                                        ; implicit-def: $vgpr4
.LBB135_563:
	s_mov_b32 s31, 0
.LBB135_564:
	s_delay_alu instid0(SALU_CYCLE_1)
	s_and_b32 vcc_lo, exec_lo, s31
	s_cbranch_vccz .LBB135_580
; %bb.565:
	s_cmp_lt_i32 s29, 27
	s_cbranch_scc1 .LBB135_568
; %bb.566:
	s_cmp_gt_i32 s29, 27
	s_cbranch_scc0 .LBB135_569
; %bb.567:
	s_wait_loadcnt 0x0
	global_load_b32 v4, v[10:11], off
	s_mov_b32 s30, 0
	s_branch .LBB135_570
.LBB135_568:
	s_mov_b32 s30, -1
                                        ; implicit-def: $vgpr4
	s_branch .LBB135_573
.LBB135_569:
	s_mov_b32 s30, -1
                                        ; implicit-def: $vgpr4
.LBB135_570:
	s_delay_alu instid0(SALU_CYCLE_1)
	s_and_not1_b32 vcc_lo, exec_lo, s30
	s_cbranch_vccnz .LBB135_572
; %bb.571:
	s_wait_loadcnt 0x0
	global_load_u16 v4, v[10:11], off
.LBB135_572:
	s_mov_b32 s30, 0
.LBB135_573:
	s_delay_alu instid0(SALU_CYCLE_1)
	s_and_not1_b32 vcc_lo, exec_lo, s30
	s_cbranch_vccnz .LBB135_579
; %bb.574:
	global_load_u8 v1, v[10:11], off
	s_mov_b32 s31, 0
	s_mov_b32 s30, exec_lo
	s_wait_loadcnt 0x0
	v_cmpx_lt_i16_e32 0x7f, v1
	s_xor_b32 s30, exec_lo, s30
	s_cbranch_execz .LBB135_591
; %bb.575:
	v_cmp_ne_u16_e32 vcc_lo, 0x80, v1
	s_and_b32 s31, vcc_lo, exec_lo
	s_and_not1_saveexec_b32 s30, s30
	s_cbranch_execnz .LBB135_592
.LBB135_576:
	s_or_b32 exec_lo, exec_lo, s30
	v_mov_b32_e32 v4, 0
	s_and_saveexec_b32 s30, s31
	s_cbranch_execz .LBB135_578
.LBB135_577:
	v_and_b32_e32 v3, 0xffff, v1
	s_delay_alu instid0(VALU_DEP_1) | instskip(SKIP_1) | instid1(VALU_DEP_2)
	v_and_b32_e32 v4, 7, v3
	v_bfe_u32 v9, v3, 3, 4
	v_clz_i32_u32_e32 v5, v4
	s_delay_alu instid0(VALU_DEP_2) | instskip(NEXT) | instid1(VALU_DEP_2)
	v_cmp_eq_u32_e32 vcc_lo, 0, v9
	v_min_u32_e32 v5, 32, v5
	s_delay_alu instid0(VALU_DEP_1) | instskip(NEXT) | instid1(VALU_DEP_1)
	v_subrev_nc_u32_e32 v7, 28, v5
	v_dual_lshlrev_b32 v3, v7, v3 :: v_dual_sub_nc_u32 v5, 29, v5
	s_delay_alu instid0(VALU_DEP_1) | instskip(NEXT) | instid1(VALU_DEP_1)
	v_dual_lshlrev_b32 v1, 24, v1 :: v_dual_bitop2_b32 v3, 7, v3 bitop3:0x40
	v_dual_cndmask_b32 v3, v4, v3, vcc_lo :: v_dual_cndmask_b32 v5, v9, v5, vcc_lo
	s_delay_alu instid0(VALU_DEP_2) | instskip(NEXT) | instid1(VALU_DEP_2)
	v_and_b32_e32 v1, 0x80000000, v1
	v_lshlrev_b32_e32 v3, 20, v3
	s_delay_alu instid0(VALU_DEP_3) | instskip(NEXT) | instid1(VALU_DEP_1)
	v_lshl_add_u32 v4, v5, 23, 0x3b800000
	v_or3_b32 v1, v1, v4, v3
	s_delay_alu instid0(VALU_DEP_1)
	v_cvt_i32_f32_e32 v4, v1
.LBB135_578:
	s_or_b32 exec_lo, exec_lo, s30
.LBB135_579:
	s_mov_b32 s30, -1
.LBB135_580:
	s_mov_b32 s31, 0
.LBB135_581:
	s_delay_alu instid0(SALU_CYCLE_1)
	s_and_b32 vcc_lo, exec_lo, s31
	s_cbranch_vccz .LBB135_614
; %bb.582:
	s_cmp_gt_i32 s29, 22
	s_cbranch_scc0 .LBB135_590
; %bb.583:
	s_cmp_lt_i32 s29, 24
	s_cbranch_scc1 .LBB135_593
; %bb.584:
	s_cmp_gt_i32 s29, 24
	s_cbranch_scc0 .LBB135_594
; %bb.585:
	global_load_u8 v1, v[10:11], off
	s_mov_b32 s31, 0
	s_mov_b32 s30, exec_lo
	s_wait_loadcnt 0x0
	v_cmpx_lt_i16_e32 0x7f, v1
	s_xor_b32 s30, exec_lo, s30
	s_cbranch_execz .LBB135_606
; %bb.586:
	v_cmp_ne_u16_e32 vcc_lo, 0x80, v1
	s_and_b32 s31, vcc_lo, exec_lo
	s_and_not1_saveexec_b32 s30, s30
	s_cbranch_execnz .LBB135_607
.LBB135_587:
	s_or_b32 exec_lo, exec_lo, s30
	v_mov_b32_e32 v4, 0
	s_and_saveexec_b32 s30, s31
	s_cbranch_execz .LBB135_589
.LBB135_588:
	v_and_b32_e32 v3, 0xffff, v1
	s_delay_alu instid0(VALU_DEP_1) | instskip(SKIP_1) | instid1(VALU_DEP_2)
	v_and_b32_e32 v4, 3, v3
	v_bfe_u32 v9, v3, 2, 5
	v_clz_i32_u32_e32 v5, v4
	s_delay_alu instid0(VALU_DEP_2) | instskip(NEXT) | instid1(VALU_DEP_2)
	v_cmp_eq_u32_e32 vcc_lo, 0, v9
	v_min_u32_e32 v5, 32, v5
	s_delay_alu instid0(VALU_DEP_1) | instskip(NEXT) | instid1(VALU_DEP_1)
	v_subrev_nc_u32_e32 v7, 29, v5
	v_dual_lshlrev_b32 v3, v7, v3 :: v_dual_sub_nc_u32 v5, 30, v5
	s_delay_alu instid0(VALU_DEP_1) | instskip(NEXT) | instid1(VALU_DEP_1)
	v_dual_lshlrev_b32 v1, 24, v1 :: v_dual_bitop2_b32 v3, 3, v3 bitop3:0x40
	v_dual_cndmask_b32 v3, v4, v3, vcc_lo :: v_dual_cndmask_b32 v5, v9, v5, vcc_lo
	s_delay_alu instid0(VALU_DEP_2) | instskip(NEXT) | instid1(VALU_DEP_2)
	v_and_b32_e32 v1, 0x80000000, v1
	v_lshlrev_b32_e32 v3, 21, v3
	s_delay_alu instid0(VALU_DEP_3) | instskip(NEXT) | instid1(VALU_DEP_1)
	v_lshl_add_u32 v4, v5, 23, 0x37800000
	v_or3_b32 v1, v1, v4, v3
	s_delay_alu instid0(VALU_DEP_1)
	v_cvt_i32_f32_e32 v4, v1
.LBB135_589:
	s_or_b32 exec_lo, exec_lo, s30
	s_mov_b32 s30, 0
	s_branch .LBB135_595
.LBB135_590:
	s_mov_b32 s31, -1
                                        ; implicit-def: $vgpr4
	s_branch .LBB135_601
.LBB135_591:
	s_and_not1_saveexec_b32 s30, s30
	s_cbranch_execz .LBB135_576
.LBB135_592:
	v_cmp_ne_u16_e32 vcc_lo, 0, v1
	s_and_not1_b32 s31, s31, exec_lo
	s_and_b32 s50, vcc_lo, exec_lo
	s_delay_alu instid0(SALU_CYCLE_1)
	s_or_b32 s31, s31, s50
	s_or_b32 exec_lo, exec_lo, s30
	v_mov_b32_e32 v4, 0
	s_and_saveexec_b32 s30, s31
	s_cbranch_execnz .LBB135_577
	s_branch .LBB135_578
.LBB135_593:
	s_mov_b32 s30, -1
                                        ; implicit-def: $vgpr4
	s_branch .LBB135_598
.LBB135_594:
	s_mov_b32 s30, -1
                                        ; implicit-def: $vgpr4
.LBB135_595:
	s_delay_alu instid0(SALU_CYCLE_1)
	s_and_b32 vcc_lo, exec_lo, s30
	s_cbranch_vccz .LBB135_597
; %bb.596:
	global_load_u8 v1, v[10:11], off
	s_wait_loadcnt 0x0
	v_lshlrev_b32_e32 v1, 24, v1
	s_delay_alu instid0(VALU_DEP_1) | instskip(NEXT) | instid1(VALU_DEP_1)
	v_and_b32_e32 v3, 0x7f000000, v1
	v_clz_i32_u32_e32 v4, v3
	v_add_nc_u32_e32 v7, 0x1000000, v3
	v_cmp_ne_u32_e32 vcc_lo, 0, v3
	s_delay_alu instid0(VALU_DEP_3) | instskip(NEXT) | instid1(VALU_DEP_1)
	v_min_u32_e32 v4, 32, v4
	v_sub_nc_u32_e64 v4, v4, 4 clamp
	s_delay_alu instid0(VALU_DEP_1) | instskip(NEXT) | instid1(VALU_DEP_1)
	v_dual_lshlrev_b32 v5, v4, v3 :: v_dual_lshlrev_b32 v4, 23, v4
	v_lshrrev_b32_e32 v5, 4, v5
	s_delay_alu instid0(VALU_DEP_1) | instskip(NEXT) | instid1(VALU_DEP_1)
	v_dual_sub_nc_u32 v4, v5, v4 :: v_dual_ashrrev_i32 v5, 8, v7
	v_add_nc_u32_e32 v4, 0x3c000000, v4
	s_delay_alu instid0(VALU_DEP_1) | instskip(NEXT) | instid1(VALU_DEP_1)
	v_and_or_b32 v4, 0x7f800000, v5, v4
	v_cndmask_b32_e32 v3, 0, v4, vcc_lo
	s_delay_alu instid0(VALU_DEP_1) | instskip(NEXT) | instid1(VALU_DEP_1)
	v_and_or_b32 v1, 0x80000000, v1, v3
	v_cvt_i32_f32_e32 v4, v1
.LBB135_597:
	s_mov_b32 s30, 0
.LBB135_598:
	s_delay_alu instid0(SALU_CYCLE_1)
	s_and_not1_b32 vcc_lo, exec_lo, s30
	s_cbranch_vccnz .LBB135_600
; %bb.599:
	global_load_u8 v1, v[10:11], off
	s_wait_loadcnt 0x0
	v_lshlrev_b32_e32 v3, 25, v1
	v_lshlrev_b16 v1, 8, v1
	s_delay_alu instid0(VALU_DEP_1) | instskip(NEXT) | instid1(VALU_DEP_3)
	v_and_or_b32 v5, 0x7f00, v1, 0.5
	v_lshrrev_b32_e32 v4, 4, v3
	v_bfe_i32 v1, v1, 0, 16
	s_delay_alu instid0(VALU_DEP_3) | instskip(NEXT) | instid1(VALU_DEP_3)
	v_add_f32_e32 v5, -0.5, v5
	v_or_b32_e32 v4, 0x70000000, v4
	s_delay_alu instid0(VALU_DEP_1) | instskip(SKIP_1) | instid1(VALU_DEP_2)
	v_mul_f32_e32 v4, 0x7800000, v4
	v_cmp_gt_u32_e32 vcc_lo, 0x8000000, v3
	v_cndmask_b32_e32 v3, v4, v5, vcc_lo
	s_delay_alu instid0(VALU_DEP_1) | instskip(NEXT) | instid1(VALU_DEP_1)
	v_and_or_b32 v1, 0x80000000, v1, v3
	v_cvt_i32_f32_e32 v4, v1
.LBB135_600:
	s_mov_b32 s31, 0
	s_mov_b32 s30, -1
.LBB135_601:
	s_and_not1_b32 vcc_lo, exec_lo, s31
	s_cbranch_vccnz .LBB135_614
; %bb.602:
	s_cmp_gt_i32 s29, 14
	s_cbranch_scc0 .LBB135_605
; %bb.603:
	s_cmp_eq_u32 s29, 15
	s_cbranch_scc0 .LBB135_608
; %bb.604:
	global_load_u16 v1, v[10:11], off
	s_mov_b32 s30, -1
	s_mov_b32 s28, 0
	s_wait_loadcnt 0x0
	v_lshlrev_b32_e32 v1, 16, v1
	s_delay_alu instid0(VALU_DEP_1)
	v_cvt_i32_f32_e32 v4, v1
	s_branch .LBB135_609
.LBB135_605:
	s_mov_b32 s31, -1
                                        ; implicit-def: $vgpr4
	s_branch .LBB135_610
.LBB135_606:
	s_and_not1_saveexec_b32 s30, s30
	s_cbranch_execz .LBB135_587
.LBB135_607:
	v_cmp_ne_u16_e32 vcc_lo, 0, v1
	s_and_not1_b32 s31, s31, exec_lo
	s_and_b32 s50, vcc_lo, exec_lo
	s_delay_alu instid0(SALU_CYCLE_1)
	s_or_b32 s31, s31, s50
	s_or_b32 exec_lo, exec_lo, s30
	v_mov_b32_e32 v4, 0
	s_and_saveexec_b32 s30, s31
	s_cbranch_execnz .LBB135_588
	s_branch .LBB135_589
.LBB135_608:
	s_mov_b32 s28, -1
                                        ; implicit-def: $vgpr4
.LBB135_609:
	s_mov_b32 s31, 0
.LBB135_610:
	s_delay_alu instid0(SALU_CYCLE_1)
	s_and_b32 vcc_lo, exec_lo, s31
	s_cbranch_vccz .LBB135_614
; %bb.611:
	s_cmp_eq_u32 s29, 11
	s_cbranch_scc0 .LBB135_613
; %bb.612:
	global_load_u8 v1, v[10:11], off
	s_mov_b32 s28, 0
	s_mov_b32 s30, -1
	s_wait_loadcnt 0x0
	v_cmp_ne_u16_e32 vcc_lo, 0, v1
	v_cndmask_b32_e64 v4, 0, 1, vcc_lo
	s_branch .LBB135_614
.LBB135_613:
	s_mov_b32 s28, -1
                                        ; implicit-def: $vgpr4
.LBB135_614:
	s_branch .LBB135_535
.LBB135_615:
	s_and_b32 s0, 0xffff, s0
	s_delay_alu instid0(SALU_CYCLE_1)
	s_cmp_lt_i32 s0, 5
	s_cbranch_scc1 .LBB135_620
; %bb.616:
	s_cmp_lt_i32 s0, 8
	s_cbranch_scc1 .LBB135_621
; %bb.617:
	;; [unrolled: 3-line block ×3, first 2 shown]
	s_cmp_gt_i32 s0, 9
	s_cbranch_scc0 .LBB135_623
; %bb.619:
	s_wait_loadcnt 0x0
	global_load_b64 v[4:5], v[10:11], off
	s_mov_b32 s29, 0
	s_wait_loadcnt 0x0
	v_cvt_i32_f64_e32 v4, v[4:5]
	s_branch .LBB135_624
.LBB135_620:
	s_mov_b32 s29, -1
                                        ; implicit-def: $vgpr4
	s_branch .LBB135_642
.LBB135_621:
	s_mov_b32 s29, -1
                                        ; implicit-def: $vgpr4
	s_branch .LBB135_630
.LBB135_622:
	s_mov_b32 s29, -1
                                        ; implicit-def: $vgpr4
	s_branch .LBB135_627
.LBB135_623:
	s_mov_b32 s29, -1
                                        ; implicit-def: $vgpr4
.LBB135_624:
	s_delay_alu instid0(SALU_CYCLE_1)
	s_and_not1_b32 vcc_lo, exec_lo, s29
	s_cbranch_vccnz .LBB135_626
; %bb.625:
	global_load_b32 v1, v[10:11], off
	s_wait_loadcnt 0x0
	v_cvt_i32_f32_e32 v4, v1
.LBB135_626:
	s_mov_b32 s29, 0
.LBB135_627:
	s_delay_alu instid0(SALU_CYCLE_1)
	s_and_not1_b32 vcc_lo, exec_lo, s29
	s_cbranch_vccnz .LBB135_629
; %bb.628:
	global_load_b32 v1, v[10:11], off
	s_wait_loadcnt 0x0
	v_cvt_i16_f16_e32 v4, v1
.LBB135_629:
	s_mov_b32 s29, 0
.LBB135_630:
	s_delay_alu instid0(SALU_CYCLE_1)
	s_and_not1_b32 vcc_lo, exec_lo, s29
	s_cbranch_vccnz .LBB135_641
; %bb.631:
	s_cmp_lt_i32 s0, 6
	s_cbranch_scc1 .LBB135_634
; %bb.632:
	s_cmp_gt_i32 s0, 6
	s_cbranch_scc0 .LBB135_635
; %bb.633:
	s_wait_loadcnt 0x0
	global_load_b64 v[4:5], v[10:11], off
	s_mov_b32 s29, 0
	s_wait_loadcnt 0x0
	v_cvt_i32_f64_e32 v4, v[4:5]
	s_branch .LBB135_636
.LBB135_634:
	s_mov_b32 s29, -1
                                        ; implicit-def: $vgpr4
	s_branch .LBB135_639
.LBB135_635:
	s_mov_b32 s29, -1
                                        ; implicit-def: $vgpr4
.LBB135_636:
	s_delay_alu instid0(SALU_CYCLE_1)
	s_and_not1_b32 vcc_lo, exec_lo, s29
	s_cbranch_vccnz .LBB135_638
; %bb.637:
	global_load_b32 v1, v[10:11], off
	s_wait_loadcnt 0x0
	v_cvt_i32_f32_e32 v4, v1
.LBB135_638:
	s_mov_b32 s29, 0
.LBB135_639:
	s_delay_alu instid0(SALU_CYCLE_1)
	s_and_not1_b32 vcc_lo, exec_lo, s29
	s_cbranch_vccnz .LBB135_641
; %bb.640:
	global_load_u16 v1, v[10:11], off
	s_wait_loadcnt 0x0
	v_cvt_i16_f16_e32 v4, v1
.LBB135_641:
	s_mov_b32 s29, 0
.LBB135_642:
	s_delay_alu instid0(SALU_CYCLE_1)
	s_and_not1_b32 vcc_lo, exec_lo, s29
	s_cbranch_vccnz .LBB135_662
; %bb.643:
	s_cmp_lt_i32 s0, 2
	s_cbranch_scc1 .LBB135_647
; %bb.644:
	s_cmp_lt_i32 s0, 3
	s_cbranch_scc1 .LBB135_648
; %bb.645:
	s_cmp_gt_i32 s0, 3
	s_cbranch_scc0 .LBB135_649
; %bb.646:
	s_wait_loadcnt 0x0
	global_load_b64 v[4:5], v[10:11], off
	s_mov_b32 s29, 0
	s_branch .LBB135_650
.LBB135_647:
	s_mov_b32 s29, -1
                                        ; implicit-def: $vgpr4
	s_branch .LBB135_656
.LBB135_648:
	s_mov_b32 s29, -1
                                        ; implicit-def: $vgpr4
	s_branch .LBB135_653
.LBB135_649:
	s_mov_b32 s29, -1
                                        ; implicit-def: $vgpr4
.LBB135_650:
	s_delay_alu instid0(SALU_CYCLE_1)
	s_and_not1_b32 vcc_lo, exec_lo, s29
	s_cbranch_vccnz .LBB135_652
; %bb.651:
	s_wait_loadcnt 0x0
	global_load_b32 v4, v[10:11], off
.LBB135_652:
	s_mov_b32 s29, 0
.LBB135_653:
	s_delay_alu instid0(SALU_CYCLE_1)
	s_and_not1_b32 vcc_lo, exec_lo, s29
	s_cbranch_vccnz .LBB135_655
; %bb.654:
	s_wait_loadcnt 0x0
	global_load_u16 v4, v[10:11], off
.LBB135_655:
	s_mov_b32 s29, 0
.LBB135_656:
	s_delay_alu instid0(SALU_CYCLE_1)
	s_and_not1_b32 vcc_lo, exec_lo, s29
	s_cbranch_vccnz .LBB135_662
; %bb.657:
	s_cmp_gt_i32 s0, 0
	s_mov_b32 s0, 0
	s_cbranch_scc0 .LBB135_659
; %bb.658:
	s_wait_loadcnt 0x0
	global_load_i8 v4, v[10:11], off
	s_branch .LBB135_660
.LBB135_659:
	s_mov_b32 s0, -1
                                        ; implicit-def: $vgpr4
.LBB135_660:
	s_delay_alu instid0(SALU_CYCLE_1)
	s_and_not1_b32 vcc_lo, exec_lo, s0
	s_cbranch_vccnz .LBB135_662
; %bb.661:
	s_wait_loadcnt 0x0
	global_load_u8 v4, v[10:11], off
.LBB135_662:
	s_branch .LBB135_536
.LBB135_663:
	s_mov_b32 s31, 0
	s_mov_b32 s0, s42
	;; [unrolled: 1-line block ×4, first 2 shown]
	s_branch .LBB135_1031
.LBB135_664:
	s_and_not1_saveexec_b32 s48, s48
	s_cbranch_execz .LBB135_420
.LBB135_665:
	v_add_f32_e64 v5, 0x46000000, |v4|
	s_and_not1_b32 s47, s47, exec_lo
	s_delay_alu instid0(VALU_DEP_1) | instskip(NEXT) | instid1(VALU_DEP_1)
	v_and_b32_e32 v5, 0xff, v5
	v_cmp_ne_u32_e32 vcc_lo, 0, v5
	s_and_b32 s50, vcc_lo, exec_lo
	s_delay_alu instid0(SALU_CYCLE_1)
	s_or_b32 s47, s47, s50
	s_or_b32 exec_lo, exec_lo, s48
	v_mov_b32_e32 v6, 0
	s_and_saveexec_b32 s48, s47
	s_cbranch_execnz .LBB135_421
	s_branch .LBB135_422
.LBB135_666:
	s_mov_b32 s29, -1
	s_mov_b32 s31, 0
.LBB135_667:
                                        ; implicit-def: $vgpr8
.LBB135_668:
	s_and_b32 vcc_lo, exec_lo, s50
	s_cbranch_vccz .LBB135_672
; %bb.669:
	s_cmp_eq_u32 s30, 44
	s_cbranch_scc0 .LBB135_671
; %bb.670:
	global_load_u8 v1, v[10:11], off
	s_mov_b32 s29, 0
	s_mov_b32 s31, -1
	s_wait_loadcnt 0x0
	v_lshlrev_b32_e32 v3, 23, v1
	v_cmp_ne_u32_e32 vcc_lo, 0, v1
	s_delay_alu instid0(VALU_DEP_2) | instskip(NEXT) | instid1(VALU_DEP_1)
	v_cvt_i32_f32_e32 v3, v3
	v_cndmask_b32_e32 v8, 0, v3, vcc_lo
	s_branch .LBB135_672
.LBB135_671:
	s_mov_b32 s29, -1
                                        ; implicit-def: $vgpr8
.LBB135_672:
	s_mov_b32 s50, 0
.LBB135_673:
	s_delay_alu instid0(SALU_CYCLE_1)
	s_and_b32 vcc_lo, exec_lo, s50
	s_cbranch_vccz .LBB135_677
; %bb.674:
	s_cmp_eq_u32 s30, 29
	s_cbranch_scc0 .LBB135_676
; %bb.675:
	global_load_b64 v[8:9], v[10:11], off
	s_mov_b32 s31, -1
	s_mov_b32 s29, 0
	s_branch .LBB135_677
.LBB135_676:
	s_mov_b32 s29, -1
                                        ; implicit-def: $vgpr8
.LBB135_677:
	s_mov_b32 s50, 0
.LBB135_678:
	s_delay_alu instid0(SALU_CYCLE_1)
	s_and_b32 vcc_lo, exec_lo, s50
	s_cbranch_vccz .LBB135_694
; %bb.679:
	s_cmp_lt_i32 s30, 27
	s_cbranch_scc1 .LBB135_682
; %bb.680:
	s_cmp_gt_i32 s30, 27
	s_cbranch_scc0 .LBB135_683
; %bb.681:
	s_wait_loadcnt 0x0
	global_load_b32 v8, v[10:11], off
	s_mov_b32 s31, 0
	s_branch .LBB135_684
.LBB135_682:
	s_mov_b32 s31, -1
                                        ; implicit-def: $vgpr8
	s_branch .LBB135_687
.LBB135_683:
	s_mov_b32 s31, -1
                                        ; implicit-def: $vgpr8
.LBB135_684:
	s_delay_alu instid0(SALU_CYCLE_1)
	s_and_not1_b32 vcc_lo, exec_lo, s31
	s_cbranch_vccnz .LBB135_686
; %bb.685:
	s_wait_loadcnt 0x0
	global_load_u16 v8, v[10:11], off
.LBB135_686:
	s_mov_b32 s31, 0
.LBB135_687:
	s_delay_alu instid0(SALU_CYCLE_1)
	s_and_not1_b32 vcc_lo, exec_lo, s31
	s_cbranch_vccnz .LBB135_693
; %bb.688:
	global_load_u8 v1, v[10:11], off
	s_mov_b32 s50, 0
	s_mov_b32 s31, exec_lo
	s_wait_loadcnt 0x0
	v_cmpx_lt_i16_e32 0x7f, v1
	s_xor_b32 s31, exec_lo, s31
	s_cbranch_execz .LBB135_705
; %bb.689:
	v_cmp_ne_u16_e32 vcc_lo, 0x80, v1
	s_and_b32 s50, vcc_lo, exec_lo
	s_and_not1_saveexec_b32 s31, s31
	s_cbranch_execnz .LBB135_706
.LBB135_690:
	s_or_b32 exec_lo, exec_lo, s31
	v_mov_b32_e32 v8, 0
	s_and_saveexec_b32 s31, s50
	s_cbranch_execz .LBB135_692
.LBB135_691:
	v_and_b32_e32 v3, 0xffff, v1
	s_delay_alu instid0(VALU_DEP_1) | instskip(SKIP_1) | instid1(VALU_DEP_2)
	v_dual_lshlrev_b32 v1, 24, v1 :: v_dual_bitop2_b32 v5, 7, v3 bitop3:0x40
	v_bfe_u32 v9, v3, 3, 4
	v_and_b32_e32 v1, 0x80000000, v1
	s_delay_alu instid0(VALU_DEP_3) | instskip(NEXT) | instid1(VALU_DEP_3)
	v_clz_i32_u32_e32 v7, v5
	v_cmp_eq_u32_e32 vcc_lo, 0, v9
	s_delay_alu instid0(VALU_DEP_2) | instskip(NEXT) | instid1(VALU_DEP_1)
	v_min_u32_e32 v7, 32, v7
	v_subrev_nc_u32_e32 v8, 28, v7
	v_sub_nc_u32_e32 v7, 29, v7
	s_delay_alu instid0(VALU_DEP_2) | instskip(NEXT) | instid1(VALU_DEP_2)
	v_lshlrev_b32_e32 v3, v8, v3
	v_cndmask_b32_e32 v7, v9, v7, vcc_lo
	s_delay_alu instid0(VALU_DEP_2) | instskip(NEXT) | instid1(VALU_DEP_1)
	v_and_b32_e32 v3, 7, v3
	v_cndmask_b32_e32 v3, v5, v3, vcc_lo
	s_delay_alu instid0(VALU_DEP_3) | instskip(NEXT) | instid1(VALU_DEP_2)
	v_lshl_add_u32 v5, v7, 23, 0x3b800000
	v_lshlrev_b32_e32 v3, 20, v3
	s_delay_alu instid0(VALU_DEP_1) | instskip(NEXT) | instid1(VALU_DEP_1)
	v_or3_b32 v1, v1, v5, v3
	v_cvt_i32_f32_e32 v8, v1
.LBB135_692:
	s_or_b32 exec_lo, exec_lo, s31
.LBB135_693:
	s_mov_b32 s31, -1
.LBB135_694:
	s_mov_b32 s50, 0
.LBB135_695:
	s_delay_alu instid0(SALU_CYCLE_1)
	s_and_b32 vcc_lo, exec_lo, s50
	s_cbranch_vccz .LBB135_728
; %bb.696:
	s_cmp_gt_i32 s30, 22
	s_cbranch_scc0 .LBB135_704
; %bb.697:
	s_cmp_lt_i32 s30, 24
	s_cbranch_scc1 .LBB135_707
; %bb.698:
	s_cmp_gt_i32 s30, 24
	s_cbranch_scc0 .LBB135_708
; %bb.699:
	global_load_u8 v1, v[10:11], off
	s_mov_b32 s50, 0
	s_mov_b32 s31, exec_lo
	s_wait_loadcnt 0x0
	v_cmpx_lt_i16_e32 0x7f, v1
	s_xor_b32 s31, exec_lo, s31
	s_cbranch_execz .LBB135_720
; %bb.700:
	v_cmp_ne_u16_e32 vcc_lo, 0x80, v1
	s_and_b32 s50, vcc_lo, exec_lo
	s_and_not1_saveexec_b32 s31, s31
	s_cbranch_execnz .LBB135_721
.LBB135_701:
	s_or_b32 exec_lo, exec_lo, s31
	v_mov_b32_e32 v8, 0
	s_and_saveexec_b32 s31, s50
	s_cbranch_execz .LBB135_703
.LBB135_702:
	v_and_b32_e32 v3, 0xffff, v1
	s_delay_alu instid0(VALU_DEP_1) | instskip(SKIP_1) | instid1(VALU_DEP_2)
	v_dual_lshlrev_b32 v1, 24, v1 :: v_dual_bitop2_b32 v5, 3, v3 bitop3:0x40
	v_bfe_u32 v9, v3, 2, 5
	v_and_b32_e32 v1, 0x80000000, v1
	s_delay_alu instid0(VALU_DEP_3) | instskip(NEXT) | instid1(VALU_DEP_3)
	v_clz_i32_u32_e32 v7, v5
	v_cmp_eq_u32_e32 vcc_lo, 0, v9
	s_delay_alu instid0(VALU_DEP_2) | instskip(NEXT) | instid1(VALU_DEP_1)
	v_min_u32_e32 v7, 32, v7
	v_subrev_nc_u32_e32 v8, 29, v7
	v_sub_nc_u32_e32 v7, 30, v7
	s_delay_alu instid0(VALU_DEP_2) | instskip(NEXT) | instid1(VALU_DEP_2)
	v_lshlrev_b32_e32 v3, v8, v3
	v_cndmask_b32_e32 v7, v9, v7, vcc_lo
	s_delay_alu instid0(VALU_DEP_2) | instskip(NEXT) | instid1(VALU_DEP_1)
	v_and_b32_e32 v3, 3, v3
	v_cndmask_b32_e32 v3, v5, v3, vcc_lo
	s_delay_alu instid0(VALU_DEP_3) | instskip(NEXT) | instid1(VALU_DEP_2)
	v_lshl_add_u32 v5, v7, 23, 0x37800000
	v_lshlrev_b32_e32 v3, 21, v3
	s_delay_alu instid0(VALU_DEP_1) | instskip(NEXT) | instid1(VALU_DEP_1)
	v_or3_b32 v1, v1, v5, v3
	v_cvt_i32_f32_e32 v8, v1
.LBB135_703:
	s_or_b32 exec_lo, exec_lo, s31
	s_mov_b32 s31, 0
	s_branch .LBB135_709
.LBB135_704:
	s_mov_b32 s50, -1
                                        ; implicit-def: $vgpr8
	s_branch .LBB135_715
.LBB135_705:
	s_and_not1_saveexec_b32 s31, s31
	s_cbranch_execz .LBB135_690
.LBB135_706:
	v_cmp_ne_u16_e32 vcc_lo, 0, v1
	s_and_not1_b32 s50, s50, exec_lo
	s_and_b32 s51, vcc_lo, exec_lo
	s_delay_alu instid0(SALU_CYCLE_1)
	s_or_b32 s50, s50, s51
	s_or_b32 exec_lo, exec_lo, s31
	v_mov_b32_e32 v8, 0
	s_and_saveexec_b32 s31, s50
	s_cbranch_execnz .LBB135_691
	s_branch .LBB135_692
.LBB135_707:
	s_mov_b32 s31, -1
                                        ; implicit-def: $vgpr8
	s_branch .LBB135_712
.LBB135_708:
	s_mov_b32 s31, -1
                                        ; implicit-def: $vgpr8
.LBB135_709:
	s_delay_alu instid0(SALU_CYCLE_1)
	s_and_b32 vcc_lo, exec_lo, s31
	s_cbranch_vccz .LBB135_711
; %bb.710:
	global_load_u8 v1, v[10:11], off
	s_wait_loadcnt 0x0
	v_lshlrev_b32_e32 v1, 24, v1
	s_delay_alu instid0(VALU_DEP_1) | instskip(NEXT) | instid1(VALU_DEP_1)
	v_and_b32_e32 v3, 0x7f000000, v1
	v_clz_i32_u32_e32 v5, v3
	v_cmp_ne_u32_e32 vcc_lo, 0, v3
	v_add_nc_u32_e32 v8, 0x1000000, v3
	s_delay_alu instid0(VALU_DEP_3) | instskip(NEXT) | instid1(VALU_DEP_1)
	v_min_u32_e32 v5, 32, v5
	v_sub_nc_u32_e64 v5, v5, 4 clamp
	s_delay_alu instid0(VALU_DEP_1) | instskip(NEXT) | instid1(VALU_DEP_1)
	v_dual_lshlrev_b32 v7, v5, v3 :: v_dual_lshlrev_b32 v5, 23, v5
	v_lshrrev_b32_e32 v7, 4, v7
	s_delay_alu instid0(VALU_DEP_1) | instskip(NEXT) | instid1(VALU_DEP_1)
	v_dual_sub_nc_u32 v5, v7, v5 :: v_dual_ashrrev_i32 v7, 8, v8
	v_add_nc_u32_e32 v5, 0x3c000000, v5
	s_delay_alu instid0(VALU_DEP_1) | instskip(NEXT) | instid1(VALU_DEP_1)
	v_and_or_b32 v5, 0x7f800000, v7, v5
	v_cndmask_b32_e32 v3, 0, v5, vcc_lo
	s_delay_alu instid0(VALU_DEP_1) | instskip(NEXT) | instid1(VALU_DEP_1)
	v_and_or_b32 v1, 0x80000000, v1, v3
	v_cvt_i32_f32_e32 v8, v1
.LBB135_711:
	s_mov_b32 s31, 0
.LBB135_712:
	s_delay_alu instid0(SALU_CYCLE_1)
	s_and_not1_b32 vcc_lo, exec_lo, s31
	s_cbranch_vccnz .LBB135_714
; %bb.713:
	global_load_u8 v1, v[10:11], off
	s_wait_loadcnt 0x0
	v_lshlrev_b32_e32 v3, 25, v1
	v_lshlrev_b16 v1, 8, v1
	s_delay_alu instid0(VALU_DEP_1) | instskip(SKIP_1) | instid1(VALU_DEP_2)
	v_and_or_b32 v7, 0x7f00, v1, 0.5
	v_bfe_i32 v1, v1, 0, 16
	v_add_f32_e32 v7, -0.5, v7
	v_lshrrev_b32_e32 v5, 4, v3
	v_cmp_gt_u32_e32 vcc_lo, 0x8000000, v3
	s_delay_alu instid0(VALU_DEP_2) | instskip(NEXT) | instid1(VALU_DEP_1)
	v_or_b32_e32 v5, 0x70000000, v5
	v_mul_f32_e32 v5, 0x7800000, v5
	s_delay_alu instid0(VALU_DEP_1) | instskip(NEXT) | instid1(VALU_DEP_1)
	v_cndmask_b32_e32 v3, v5, v7, vcc_lo
	v_and_or_b32 v1, 0x80000000, v1, v3
	s_delay_alu instid0(VALU_DEP_1)
	v_cvt_i32_f32_e32 v8, v1
.LBB135_714:
	s_mov_b32 s50, 0
	s_mov_b32 s31, -1
.LBB135_715:
	s_and_not1_b32 vcc_lo, exec_lo, s50
	s_cbranch_vccnz .LBB135_728
; %bb.716:
	s_cmp_gt_i32 s30, 14
	s_cbranch_scc0 .LBB135_719
; %bb.717:
	s_cmp_eq_u32 s30, 15
	s_cbranch_scc0 .LBB135_722
; %bb.718:
	global_load_u16 v1, v[10:11], off
	s_mov_b32 s31, -1
	s_mov_b32 s29, 0
	s_wait_loadcnt 0x0
	v_lshlrev_b32_e32 v1, 16, v1
	s_delay_alu instid0(VALU_DEP_1)
	v_cvt_i32_f32_e32 v8, v1
	s_branch .LBB135_723
.LBB135_719:
	s_mov_b32 s50, -1
                                        ; implicit-def: $vgpr8
	s_branch .LBB135_724
.LBB135_720:
	s_and_not1_saveexec_b32 s31, s31
	s_cbranch_execz .LBB135_701
.LBB135_721:
	v_cmp_ne_u16_e32 vcc_lo, 0, v1
	s_and_not1_b32 s50, s50, exec_lo
	s_and_b32 s51, vcc_lo, exec_lo
	s_delay_alu instid0(SALU_CYCLE_1)
	s_or_b32 s50, s50, s51
	s_or_b32 exec_lo, exec_lo, s31
	v_mov_b32_e32 v8, 0
	s_and_saveexec_b32 s31, s50
	s_cbranch_execnz .LBB135_702
	s_branch .LBB135_703
.LBB135_722:
	s_mov_b32 s29, -1
                                        ; implicit-def: $vgpr8
.LBB135_723:
	s_mov_b32 s50, 0
.LBB135_724:
	s_delay_alu instid0(SALU_CYCLE_1)
	s_and_b32 vcc_lo, exec_lo, s50
	s_cbranch_vccz .LBB135_728
; %bb.725:
	s_cmp_eq_u32 s30, 11
	s_cbranch_scc0 .LBB135_727
; %bb.726:
	global_load_u8 v1, v[10:11], off
	s_mov_b32 s29, 0
	s_mov_b32 s31, -1
	s_wait_loadcnt 0x0
	v_cmp_ne_u16_e32 vcc_lo, 0, v1
	v_cndmask_b32_e64 v8, 0, 1, vcc_lo
	s_branch .LBB135_728
.LBB135_727:
	s_mov_b32 s29, -1
                                        ; implicit-def: $vgpr8
.LBB135_728:
	s_mov_b32 s30, 0
.LBB135_729:
	s_delay_alu instid0(SALU_CYCLE_1)
	s_and_b32 vcc_lo, exec_lo, s30
	s_cbranch_vccz .LBB135_778
; %bb.730:
	s_and_b32 s0, 0xffff, s0
	s_delay_alu instid0(SALU_CYCLE_1)
	s_cmp_lt_i32 s0, 5
	s_cbranch_scc1 .LBB135_735
; %bb.731:
	s_cmp_lt_i32 s0, 8
	s_cbranch_scc1 .LBB135_736
; %bb.732:
	;; [unrolled: 3-line block ×3, first 2 shown]
	s_cmp_gt_i32 s0, 9
	s_cbranch_scc0 .LBB135_738
; %bb.734:
	s_wait_loadcnt 0x0
	global_load_b64 v[8:9], v[10:11], off
	s_mov_b32 s30, 0
	s_wait_loadcnt 0x0
	v_cvt_i32_f64_e32 v8, v[8:9]
	s_branch .LBB135_739
.LBB135_735:
	s_mov_b32 s30, -1
                                        ; implicit-def: $vgpr8
	s_branch .LBB135_757
.LBB135_736:
	s_mov_b32 s30, -1
                                        ; implicit-def: $vgpr8
	s_branch .LBB135_745
.LBB135_737:
	s_mov_b32 s30, -1
                                        ; implicit-def: $vgpr8
	s_branch .LBB135_742
.LBB135_738:
	s_mov_b32 s30, -1
                                        ; implicit-def: $vgpr8
.LBB135_739:
	s_delay_alu instid0(SALU_CYCLE_1)
	s_and_not1_b32 vcc_lo, exec_lo, s30
	s_cbranch_vccnz .LBB135_741
; %bb.740:
	global_load_b32 v1, v[10:11], off
	s_wait_loadcnt 0x0
	v_cvt_i32_f32_e32 v8, v1
.LBB135_741:
	s_mov_b32 s30, 0
.LBB135_742:
	s_delay_alu instid0(SALU_CYCLE_1)
	s_and_not1_b32 vcc_lo, exec_lo, s30
	s_cbranch_vccnz .LBB135_744
; %bb.743:
	global_load_b32 v1, v[10:11], off
	s_wait_loadcnt 0x0
	v_cvt_i16_f16_e32 v8, v1
.LBB135_744:
	s_mov_b32 s30, 0
.LBB135_745:
	s_delay_alu instid0(SALU_CYCLE_1)
	s_and_not1_b32 vcc_lo, exec_lo, s30
	s_cbranch_vccnz .LBB135_756
; %bb.746:
	s_cmp_lt_i32 s0, 6
	s_cbranch_scc1 .LBB135_749
; %bb.747:
	s_cmp_gt_i32 s0, 6
	s_cbranch_scc0 .LBB135_750
; %bb.748:
	s_wait_loadcnt 0x0
	global_load_b64 v[8:9], v[10:11], off
	s_mov_b32 s30, 0
	s_wait_loadcnt 0x0
	v_cvt_i32_f64_e32 v8, v[8:9]
	s_branch .LBB135_751
.LBB135_749:
	s_mov_b32 s30, -1
                                        ; implicit-def: $vgpr8
	s_branch .LBB135_754
.LBB135_750:
	s_mov_b32 s30, -1
                                        ; implicit-def: $vgpr8
.LBB135_751:
	s_delay_alu instid0(SALU_CYCLE_1)
	s_and_not1_b32 vcc_lo, exec_lo, s30
	s_cbranch_vccnz .LBB135_753
; %bb.752:
	global_load_b32 v1, v[10:11], off
	s_wait_loadcnt 0x0
	v_cvt_i32_f32_e32 v8, v1
.LBB135_753:
	s_mov_b32 s30, 0
.LBB135_754:
	s_delay_alu instid0(SALU_CYCLE_1)
	s_and_not1_b32 vcc_lo, exec_lo, s30
	s_cbranch_vccnz .LBB135_756
; %bb.755:
	global_load_u16 v1, v[10:11], off
	s_wait_loadcnt 0x0
	v_cvt_i16_f16_e32 v8, v1
.LBB135_756:
	s_mov_b32 s30, 0
.LBB135_757:
	s_delay_alu instid0(SALU_CYCLE_1)
	s_and_not1_b32 vcc_lo, exec_lo, s30
	s_cbranch_vccnz .LBB135_777
; %bb.758:
	s_cmp_lt_i32 s0, 2
	s_cbranch_scc1 .LBB135_762
; %bb.759:
	s_cmp_lt_i32 s0, 3
	s_cbranch_scc1 .LBB135_763
; %bb.760:
	s_cmp_gt_i32 s0, 3
	s_cbranch_scc0 .LBB135_764
; %bb.761:
	s_wait_loadcnt 0x0
	global_load_b64 v[8:9], v[10:11], off
	s_mov_b32 s30, 0
	s_branch .LBB135_765
.LBB135_762:
	s_mov_b32 s30, -1
                                        ; implicit-def: $vgpr8
	s_branch .LBB135_771
.LBB135_763:
	s_mov_b32 s30, -1
                                        ; implicit-def: $vgpr8
	s_branch .LBB135_768
.LBB135_764:
	s_mov_b32 s30, -1
                                        ; implicit-def: $vgpr8
.LBB135_765:
	s_delay_alu instid0(SALU_CYCLE_1)
	s_and_not1_b32 vcc_lo, exec_lo, s30
	s_cbranch_vccnz .LBB135_767
; %bb.766:
	s_wait_loadcnt 0x0
	global_load_b32 v8, v[10:11], off
.LBB135_767:
	s_mov_b32 s30, 0
.LBB135_768:
	s_delay_alu instid0(SALU_CYCLE_1)
	s_and_not1_b32 vcc_lo, exec_lo, s30
	s_cbranch_vccnz .LBB135_770
; %bb.769:
	s_wait_loadcnt 0x0
	global_load_u16 v8, v[10:11], off
.LBB135_770:
	s_mov_b32 s30, 0
.LBB135_771:
	s_delay_alu instid0(SALU_CYCLE_1)
	s_and_not1_b32 vcc_lo, exec_lo, s30
	s_cbranch_vccnz .LBB135_777
; %bb.772:
	s_cmp_gt_i32 s0, 0
	s_mov_b32 s0, 0
	s_cbranch_scc0 .LBB135_774
; %bb.773:
	s_wait_loadcnt 0x0
	global_load_i8 v8, v[10:11], off
	s_branch .LBB135_775
.LBB135_774:
	s_mov_b32 s0, -1
                                        ; implicit-def: $vgpr8
.LBB135_775:
	s_delay_alu instid0(SALU_CYCLE_1)
	s_and_not1_b32 vcc_lo, exec_lo, s0
	s_cbranch_vccnz .LBB135_777
; %bb.776:
	s_wait_loadcnt 0x0
	global_load_u8 v8, v[10:11], off
.LBB135_777:
	s_mov_b32 s31, -1
.LBB135_778:
	s_delay_alu instid0(SALU_CYCLE_1)
	s_and_not1_b32 vcc_lo, exec_lo, s31
	s_cbranch_vccnz .LBB135_786
; %bb.779:
	v_mov_b32_e32 v7, 0
	s_and_b32 s0, 0xffff, s21
	s_delay_alu instid0(SALU_CYCLE_1) | instskip(NEXT) | instid1(VALU_DEP_1)
	s_cmp_lt_i32 s0, 11
	v_add_nc_u64_e32 v[6:7], s[10:11], v[6:7]
	s_cbranch_scc1 .LBB135_787
; %bb.780:
	s_cmp_gt_i32 s0, 25
	s_cbranch_scc0 .LBB135_788
; %bb.781:
	s_cmp_gt_i32 s0, 28
	s_cbranch_scc0 .LBB135_789
	;; [unrolled: 3-line block ×4, first 2 shown]
; %bb.784:
	s_cmp_eq_u32 s0, 46
	s_mov_b32 s50, 0
	s_cbranch_scc0 .LBB135_794
; %bb.785:
	global_load_b32 v1, v[6:7], off
	s_mov_b32 s31, -1
	s_mov_b32 s30, 0
	s_wait_loadcnt 0x0
	v_lshlrev_b32_e32 v1, 16, v1
	s_wait_xcnt 0x1
	s_delay_alu instid0(VALU_DEP_1)
	v_cvt_i32_f32_e32 v10, v1
	s_branch .LBB135_796
.LBB135_786:
	s_mov_b32 s31, 0
	s_mov_b32 s0, s42
	;; [unrolled: 1-line block ×3, first 2 shown]
	s_branch .LBB135_1031
.LBB135_787:
	s_mov_b32 s50, -1
	s_mov_b32 s31, 0
	s_mov_b32 s30, s46
                                        ; implicit-def: $vgpr10
	s_branch .LBB135_857
.LBB135_788:
	s_mov_b32 s50, -1
	s_mov_b32 s31, 0
	s_mov_b32 s30, s46
                                        ; implicit-def: $vgpr10
	s_branch .LBB135_823
.LBB135_789:
	s_mov_b32 s50, -1
	s_mov_b32 s31, 0
	s_mov_b32 s30, s46
                                        ; implicit-def: $vgpr10
	s_branch .LBB135_806
.LBB135_790:
	s_mov_b32 s50, -1
	s_mov_b32 s31, 0
	s_mov_b32 s30, s46
                                        ; implicit-def: $vgpr10
	s_branch .LBB135_801
.LBB135_791:
	s_mov_b32 s50, -1
	s_mov_b32 s31, 0
	s_mov_b32 s30, s46
	s_branch .LBB135_795
.LBB135_792:
	s_and_not1_saveexec_b32 s48, s48
	s_cbranch_execz .LBB135_433
.LBB135_793:
	v_add_f32_e64 v5, 0x42800000, |v4|
	s_and_not1_b32 s47, s47, exec_lo
	s_delay_alu instid0(VALU_DEP_1) | instskip(NEXT) | instid1(VALU_DEP_1)
	v_and_b32_e32 v5, 0xff, v5
	v_cmp_ne_u32_e32 vcc_lo, 0, v5
	s_and_b32 s50, vcc_lo, exec_lo
	s_delay_alu instid0(SALU_CYCLE_1)
	s_or_b32 s47, s47, s50
	s_or_b32 exec_lo, exec_lo, s48
	v_mov_b32_e32 v6, 0
	s_and_saveexec_b32 s48, s47
	s_cbranch_execnz .LBB135_434
	s_branch .LBB135_435
.LBB135_794:
	s_mov_b32 s30, -1
	s_mov_b32 s31, 0
.LBB135_795:
                                        ; implicit-def: $vgpr10
.LBB135_796:
	s_and_b32 vcc_lo, exec_lo, s50
	s_cbranch_vccz .LBB135_800
; %bb.797:
	s_cmp_eq_u32 s0, 44
	s_cbranch_scc0 .LBB135_799
; %bb.798:
	global_load_u8 v1, v[6:7], off
	s_mov_b32 s30, 0
	s_mov_b32 s31, -1
	s_wait_loadcnt 0x0
	v_lshlrev_b32_e32 v3, 23, v1
	v_cmp_ne_u32_e32 vcc_lo, 0, v1
	s_delay_alu instid0(VALU_DEP_2) | instskip(SKIP_1) | instid1(VALU_DEP_1)
	v_cvt_i32_f32_e32 v3, v3
	s_wait_xcnt 0x1
	v_cndmask_b32_e32 v10, 0, v3, vcc_lo
	s_branch .LBB135_800
.LBB135_799:
	s_mov_b32 s30, -1
                                        ; implicit-def: $vgpr10
.LBB135_800:
	s_mov_b32 s50, 0
.LBB135_801:
	s_delay_alu instid0(SALU_CYCLE_1)
	s_and_b32 vcc_lo, exec_lo, s50
	s_cbranch_vccz .LBB135_805
; %bb.802:
	s_cmp_eq_u32 s0, 29
	s_cbranch_scc0 .LBB135_804
; %bb.803:
	global_load_b64 v[10:11], v[6:7], off
	s_mov_b32 s31, -1
	s_mov_b32 s30, 0
	s_branch .LBB135_805
.LBB135_804:
	s_mov_b32 s30, -1
                                        ; implicit-def: $vgpr10
.LBB135_805:
	s_mov_b32 s50, 0
.LBB135_806:
	s_delay_alu instid0(SALU_CYCLE_1)
	s_and_b32 vcc_lo, exec_lo, s50
	s_cbranch_vccz .LBB135_822
; %bb.807:
	s_cmp_lt_i32 s0, 27
	s_cbranch_scc1 .LBB135_810
; %bb.808:
	s_cmp_gt_i32 s0, 27
	s_cbranch_scc0 .LBB135_811
; %bb.809:
	s_wait_loadcnt 0x0
	global_load_b32 v10, v[6:7], off
	s_mov_b32 s31, 0
	s_branch .LBB135_812
.LBB135_810:
	s_mov_b32 s31, -1
                                        ; implicit-def: $vgpr10
	s_branch .LBB135_815
.LBB135_811:
	s_mov_b32 s31, -1
                                        ; implicit-def: $vgpr10
.LBB135_812:
	s_delay_alu instid0(SALU_CYCLE_1)
	s_and_not1_b32 vcc_lo, exec_lo, s31
	s_cbranch_vccnz .LBB135_814
; %bb.813:
	s_wait_loadcnt 0x0
	global_load_u16 v10, v[6:7], off
.LBB135_814:
	s_mov_b32 s31, 0
.LBB135_815:
	s_delay_alu instid0(SALU_CYCLE_1)
	s_and_not1_b32 vcc_lo, exec_lo, s31
	s_cbranch_vccnz .LBB135_821
; %bb.816:
	global_load_u8 v1, v[6:7], off
	s_mov_b32 s50, 0
	s_mov_b32 s31, exec_lo
	s_wait_loadcnt 0x0
	v_cmpx_lt_i16_e32 0x7f, v1
	s_xor_b32 s31, exec_lo, s31
	s_cbranch_execz .LBB135_833
; %bb.817:
	v_cmp_ne_u16_e32 vcc_lo, 0x80, v1
	s_and_b32 s50, vcc_lo, exec_lo
	s_and_not1_saveexec_b32 s31, s31
	s_cbranch_execnz .LBB135_834
.LBB135_818:
	s_or_b32 exec_lo, exec_lo, s31
	v_mov_b32_e32 v10, 0
	s_and_saveexec_b32 s31, s50
	s_cbranch_execz .LBB135_820
.LBB135_819:
	v_and_b32_e32 v3, 0xffff, v1
	s_delay_alu instid0(VALU_DEP_1) | instskip(SKIP_1) | instid1(VALU_DEP_2)
	v_and_b32_e32 v5, 7, v3
	v_bfe_u32 v11, v3, 3, 4
	v_clz_i32_u32_e32 v9, v5
	s_delay_alu instid0(VALU_DEP_2) | instskip(NEXT) | instid1(VALU_DEP_2)
	v_cmp_eq_u32_e32 vcc_lo, 0, v11
	v_min_u32_e32 v9, 32, v9
	s_delay_alu instid0(VALU_DEP_1) | instskip(NEXT) | instid1(VALU_DEP_1)
	v_subrev_nc_u32_e32 v10, 28, v9
	v_dual_lshlrev_b32 v3, v10, v3 :: v_dual_sub_nc_u32 v9, 29, v9
	s_delay_alu instid0(VALU_DEP_1) | instskip(NEXT) | instid1(VALU_DEP_1)
	v_dual_lshlrev_b32 v1, 24, v1 :: v_dual_bitop2_b32 v3, 7, v3 bitop3:0x40
	v_dual_cndmask_b32 v3, v5, v3, vcc_lo :: v_dual_cndmask_b32 v9, v11, v9, vcc_lo
	s_delay_alu instid0(VALU_DEP_2) | instskip(NEXT) | instid1(VALU_DEP_2)
	v_and_b32_e32 v1, 0x80000000, v1
	v_lshlrev_b32_e32 v3, 20, v3
	s_delay_alu instid0(VALU_DEP_3) | instskip(NEXT) | instid1(VALU_DEP_1)
	v_lshl_add_u32 v5, v9, 23, 0x3b800000
	v_or3_b32 v1, v1, v5, v3
	s_delay_alu instid0(VALU_DEP_1)
	v_cvt_i32_f32_e32 v10, v1
.LBB135_820:
	s_or_b32 exec_lo, exec_lo, s31
.LBB135_821:
	s_mov_b32 s31, -1
.LBB135_822:
	s_mov_b32 s50, 0
.LBB135_823:
	s_delay_alu instid0(SALU_CYCLE_1)
	s_and_b32 vcc_lo, exec_lo, s50
	s_cbranch_vccz .LBB135_856
; %bb.824:
	s_cmp_gt_i32 s0, 22
	s_cbranch_scc0 .LBB135_832
; %bb.825:
	s_cmp_lt_i32 s0, 24
	s_cbranch_scc1 .LBB135_835
; %bb.826:
	s_cmp_gt_i32 s0, 24
	s_cbranch_scc0 .LBB135_836
; %bb.827:
	global_load_u8 v1, v[6:7], off
	s_mov_b32 s50, 0
	s_mov_b32 s31, exec_lo
	s_wait_loadcnt 0x0
	v_cmpx_lt_i16_e32 0x7f, v1
	s_xor_b32 s31, exec_lo, s31
	s_cbranch_execz .LBB135_848
; %bb.828:
	v_cmp_ne_u16_e32 vcc_lo, 0x80, v1
	s_and_b32 s50, vcc_lo, exec_lo
	s_and_not1_saveexec_b32 s31, s31
	s_cbranch_execnz .LBB135_849
.LBB135_829:
	s_or_b32 exec_lo, exec_lo, s31
	v_mov_b32_e32 v10, 0
	s_and_saveexec_b32 s31, s50
	s_cbranch_execz .LBB135_831
.LBB135_830:
	v_and_b32_e32 v3, 0xffff, v1
	s_delay_alu instid0(VALU_DEP_1) | instskip(SKIP_1) | instid1(VALU_DEP_2)
	v_and_b32_e32 v5, 3, v3
	v_bfe_u32 v11, v3, 2, 5
	v_clz_i32_u32_e32 v9, v5
	s_delay_alu instid0(VALU_DEP_2) | instskip(NEXT) | instid1(VALU_DEP_2)
	v_cmp_eq_u32_e32 vcc_lo, 0, v11
	v_min_u32_e32 v9, 32, v9
	s_delay_alu instid0(VALU_DEP_1) | instskip(NEXT) | instid1(VALU_DEP_1)
	v_subrev_nc_u32_e32 v10, 29, v9
	v_dual_lshlrev_b32 v3, v10, v3 :: v_dual_sub_nc_u32 v9, 30, v9
	s_delay_alu instid0(VALU_DEP_1) | instskip(NEXT) | instid1(VALU_DEP_1)
	v_dual_lshlrev_b32 v1, 24, v1 :: v_dual_bitop2_b32 v3, 3, v3 bitop3:0x40
	v_dual_cndmask_b32 v3, v5, v3, vcc_lo :: v_dual_cndmask_b32 v9, v11, v9, vcc_lo
	s_delay_alu instid0(VALU_DEP_2) | instskip(NEXT) | instid1(VALU_DEP_2)
	v_and_b32_e32 v1, 0x80000000, v1
	v_lshlrev_b32_e32 v3, 21, v3
	s_delay_alu instid0(VALU_DEP_3) | instskip(NEXT) | instid1(VALU_DEP_1)
	v_lshl_add_u32 v5, v9, 23, 0x37800000
	v_or3_b32 v1, v1, v5, v3
	s_delay_alu instid0(VALU_DEP_1)
	v_cvt_i32_f32_e32 v10, v1
.LBB135_831:
	s_or_b32 exec_lo, exec_lo, s31
	s_mov_b32 s31, 0
	s_branch .LBB135_837
.LBB135_832:
	s_mov_b32 s50, -1
                                        ; implicit-def: $vgpr10
	s_branch .LBB135_843
.LBB135_833:
	s_and_not1_saveexec_b32 s31, s31
	s_cbranch_execz .LBB135_818
.LBB135_834:
	v_cmp_ne_u16_e32 vcc_lo, 0, v1
	s_and_not1_b32 s50, s50, exec_lo
	s_and_b32 s51, vcc_lo, exec_lo
	s_delay_alu instid0(SALU_CYCLE_1)
	s_or_b32 s50, s50, s51
	s_or_b32 exec_lo, exec_lo, s31
	v_mov_b32_e32 v10, 0
	s_and_saveexec_b32 s31, s50
	s_cbranch_execnz .LBB135_819
	s_branch .LBB135_820
.LBB135_835:
	s_mov_b32 s31, -1
                                        ; implicit-def: $vgpr10
	s_branch .LBB135_840
.LBB135_836:
	s_mov_b32 s31, -1
                                        ; implicit-def: $vgpr10
.LBB135_837:
	s_delay_alu instid0(SALU_CYCLE_1)
	s_and_b32 vcc_lo, exec_lo, s31
	s_cbranch_vccz .LBB135_839
; %bb.838:
	global_load_u8 v1, v[6:7], off
	s_wait_loadcnt 0x0
	v_lshlrev_b32_e32 v1, 24, v1
	s_delay_alu instid0(VALU_DEP_1) | instskip(NEXT) | instid1(VALU_DEP_1)
	v_and_b32_e32 v3, 0x7f000000, v1
	v_clz_i32_u32_e32 v5, v3
	v_cmp_ne_u32_e32 vcc_lo, 0, v3
	s_wait_xcnt 0x1
	v_add_nc_u32_e32 v10, 0x1000000, v3
	s_delay_alu instid0(VALU_DEP_3) | instskip(NEXT) | instid1(VALU_DEP_1)
	v_min_u32_e32 v5, 32, v5
	v_sub_nc_u32_e64 v5, v5, 4 clamp
	s_delay_alu instid0(VALU_DEP_1) | instskip(NEXT) | instid1(VALU_DEP_1)
	v_dual_lshlrev_b32 v9, v5, v3 :: v_dual_lshlrev_b32 v5, 23, v5
	v_lshrrev_b32_e32 v9, 4, v9
	s_delay_alu instid0(VALU_DEP_1) | instskip(NEXT) | instid1(VALU_DEP_1)
	v_dual_sub_nc_u32 v5, v9, v5 :: v_dual_ashrrev_i32 v9, 8, v10
	v_add_nc_u32_e32 v5, 0x3c000000, v5
	s_delay_alu instid0(VALU_DEP_1) | instskip(NEXT) | instid1(VALU_DEP_1)
	v_and_or_b32 v5, 0x7f800000, v9, v5
	v_cndmask_b32_e32 v3, 0, v5, vcc_lo
	s_delay_alu instid0(VALU_DEP_1) | instskip(NEXT) | instid1(VALU_DEP_1)
	v_and_or_b32 v1, 0x80000000, v1, v3
	v_cvt_i32_f32_e32 v10, v1
.LBB135_839:
	s_mov_b32 s31, 0
.LBB135_840:
	s_delay_alu instid0(SALU_CYCLE_1)
	s_and_not1_b32 vcc_lo, exec_lo, s31
	s_cbranch_vccnz .LBB135_842
; %bb.841:
	global_load_u8 v1, v[6:7], off
	s_wait_loadcnt 0x0
	v_lshlrev_b32_e32 v3, 25, v1
	v_lshlrev_b16 v1, 8, v1
	s_delay_alu instid0(VALU_DEP_2) | instskip(NEXT) | instid1(VALU_DEP_2)
	v_cmp_gt_u32_e32 vcc_lo, 0x8000000, v3
	v_and_or_b32 v9, 0x7f00, v1, 0.5
	v_lshrrev_b32_e32 v5, 4, v3
	v_bfe_i32 v1, v1, 0, 16
	s_delay_alu instid0(VALU_DEP_3) | instskip(NEXT) | instid1(VALU_DEP_3)
	v_add_f32_e32 v9, -0.5, v9
	v_or_b32_e32 v5, 0x70000000, v5
	s_delay_alu instid0(VALU_DEP_1) | instskip(NEXT) | instid1(VALU_DEP_1)
	v_mul_f32_e32 v5, 0x7800000, v5
	v_cndmask_b32_e32 v3, v5, v9, vcc_lo
	s_delay_alu instid0(VALU_DEP_1) | instskip(SKIP_1) | instid1(VALU_DEP_1)
	v_and_or_b32 v1, 0x80000000, v1, v3
	s_wait_xcnt 0x1
	v_cvt_i32_f32_e32 v10, v1
.LBB135_842:
	s_mov_b32 s50, 0
	s_mov_b32 s31, -1
.LBB135_843:
	s_and_not1_b32 vcc_lo, exec_lo, s50
	s_cbranch_vccnz .LBB135_856
; %bb.844:
	s_cmp_gt_i32 s0, 14
	s_cbranch_scc0 .LBB135_847
; %bb.845:
	s_cmp_eq_u32 s0, 15
	s_cbranch_scc0 .LBB135_850
; %bb.846:
	global_load_u16 v1, v[6:7], off
	s_mov_b32 s31, -1
	s_mov_b32 s30, 0
	s_wait_loadcnt 0x0
	v_lshlrev_b32_e32 v1, 16, v1
	s_wait_xcnt 0x1
	s_delay_alu instid0(VALU_DEP_1)
	v_cvt_i32_f32_e32 v10, v1
	s_branch .LBB135_851
.LBB135_847:
	s_mov_b32 s50, -1
                                        ; implicit-def: $vgpr10
	s_branch .LBB135_852
.LBB135_848:
	s_and_not1_saveexec_b32 s31, s31
	s_cbranch_execz .LBB135_829
.LBB135_849:
	v_cmp_ne_u16_e32 vcc_lo, 0, v1
	s_and_not1_b32 s50, s50, exec_lo
	s_and_b32 s51, vcc_lo, exec_lo
	s_delay_alu instid0(SALU_CYCLE_1)
	s_or_b32 s50, s50, s51
	s_or_b32 exec_lo, exec_lo, s31
	v_mov_b32_e32 v10, 0
	s_and_saveexec_b32 s31, s50
	s_cbranch_execnz .LBB135_830
	s_branch .LBB135_831
.LBB135_850:
	s_mov_b32 s30, -1
                                        ; implicit-def: $vgpr10
.LBB135_851:
	s_mov_b32 s50, 0
.LBB135_852:
	s_delay_alu instid0(SALU_CYCLE_1)
	s_and_b32 vcc_lo, exec_lo, s50
	s_cbranch_vccz .LBB135_856
; %bb.853:
	s_cmp_eq_u32 s0, 11
	s_cbranch_scc0 .LBB135_855
; %bb.854:
	global_load_u8 v1, v[6:7], off
	s_mov_b32 s30, 0
	s_mov_b32 s31, -1
	s_wait_loadcnt 0x0
	v_cmp_ne_u16_e32 vcc_lo, 0, v1
	s_wait_xcnt 0x1
	v_cndmask_b32_e64 v10, 0, 1, vcc_lo
	s_branch .LBB135_856
.LBB135_855:
	s_mov_b32 s30, -1
                                        ; implicit-def: $vgpr10
.LBB135_856:
	s_mov_b32 s50, 0
.LBB135_857:
	s_delay_alu instid0(SALU_CYCLE_1)
	s_and_b32 vcc_lo, exec_lo, s50
	s_cbranch_vccz .LBB135_906
; %bb.858:
	s_cmp_lt_i32 s0, 5
	s_cbranch_scc1 .LBB135_863
; %bb.859:
	s_cmp_lt_i32 s0, 8
	s_cbranch_scc1 .LBB135_864
	;; [unrolled: 3-line block ×3, first 2 shown]
; %bb.861:
	s_cmp_gt_i32 s0, 9
	s_cbranch_scc0 .LBB135_866
; %bb.862:
	s_wait_loadcnt 0x0
	global_load_b64 v[10:11], v[6:7], off
	s_mov_b32 s31, 0
	s_wait_loadcnt 0x0
	v_cvt_i32_f64_e32 v10, v[10:11]
	s_branch .LBB135_867
.LBB135_863:
	s_mov_b32 s31, -1
                                        ; implicit-def: $vgpr10
	s_branch .LBB135_885
.LBB135_864:
	s_mov_b32 s31, -1
                                        ; implicit-def: $vgpr10
	s_branch .LBB135_873
.LBB135_865:
	s_mov_b32 s31, -1
                                        ; implicit-def: $vgpr10
	s_branch .LBB135_870
.LBB135_866:
	s_mov_b32 s31, -1
                                        ; implicit-def: $vgpr10
.LBB135_867:
	s_delay_alu instid0(SALU_CYCLE_1)
	s_and_not1_b32 vcc_lo, exec_lo, s31
	s_cbranch_vccnz .LBB135_869
; %bb.868:
	global_load_b32 v1, v[6:7], off
	s_wait_loadcnt 0x0
	s_wait_xcnt 0x1
	v_cvt_i32_f32_e32 v10, v1
.LBB135_869:
	s_mov_b32 s31, 0
.LBB135_870:
	s_delay_alu instid0(SALU_CYCLE_1)
	s_and_not1_b32 vcc_lo, exec_lo, s31
	s_cbranch_vccnz .LBB135_872
; %bb.871:
	global_load_b32 v1, v[6:7], off
	s_wait_loadcnt 0x0
	s_wait_xcnt 0x1
	v_cvt_i16_f16_e32 v10, v1
.LBB135_872:
	s_mov_b32 s31, 0
.LBB135_873:
	s_delay_alu instid0(SALU_CYCLE_1)
	s_and_not1_b32 vcc_lo, exec_lo, s31
	s_cbranch_vccnz .LBB135_884
; %bb.874:
	s_cmp_lt_i32 s0, 6
	s_cbranch_scc1 .LBB135_877
; %bb.875:
	s_cmp_gt_i32 s0, 6
	s_cbranch_scc0 .LBB135_878
; %bb.876:
	s_wait_loadcnt 0x0
	global_load_b64 v[10:11], v[6:7], off
	s_mov_b32 s31, 0
	s_wait_loadcnt 0x0
	v_cvt_i32_f64_e32 v10, v[10:11]
	s_branch .LBB135_879
.LBB135_877:
	s_mov_b32 s31, -1
                                        ; implicit-def: $vgpr10
	s_branch .LBB135_882
.LBB135_878:
	s_mov_b32 s31, -1
                                        ; implicit-def: $vgpr10
.LBB135_879:
	s_delay_alu instid0(SALU_CYCLE_1)
	s_and_not1_b32 vcc_lo, exec_lo, s31
	s_cbranch_vccnz .LBB135_881
; %bb.880:
	global_load_b32 v1, v[6:7], off
	s_wait_loadcnt 0x0
	s_wait_xcnt 0x1
	v_cvt_i32_f32_e32 v10, v1
.LBB135_881:
	s_mov_b32 s31, 0
.LBB135_882:
	s_delay_alu instid0(SALU_CYCLE_1)
	s_and_not1_b32 vcc_lo, exec_lo, s31
	s_cbranch_vccnz .LBB135_884
; %bb.883:
	global_load_u16 v1, v[6:7], off
	s_wait_loadcnt 0x0
	s_wait_xcnt 0x1
	v_cvt_i16_f16_e32 v10, v1
.LBB135_884:
	s_mov_b32 s31, 0
.LBB135_885:
	s_delay_alu instid0(SALU_CYCLE_1)
	s_and_not1_b32 vcc_lo, exec_lo, s31
	s_cbranch_vccnz .LBB135_905
; %bb.886:
	s_cmp_lt_i32 s0, 2
	s_cbranch_scc1 .LBB135_890
; %bb.887:
	s_cmp_lt_i32 s0, 3
	s_cbranch_scc1 .LBB135_891
; %bb.888:
	s_cmp_gt_i32 s0, 3
	s_cbranch_scc0 .LBB135_892
; %bb.889:
	s_wait_loadcnt 0x0
	global_load_b64 v[10:11], v[6:7], off
	s_mov_b32 s31, 0
	s_branch .LBB135_893
.LBB135_890:
	s_mov_b32 s31, -1
                                        ; implicit-def: $vgpr10
	s_branch .LBB135_899
.LBB135_891:
	s_mov_b32 s31, -1
                                        ; implicit-def: $vgpr10
	s_branch .LBB135_896
.LBB135_892:
	s_mov_b32 s31, -1
                                        ; implicit-def: $vgpr10
.LBB135_893:
	s_delay_alu instid0(SALU_CYCLE_1)
	s_and_not1_b32 vcc_lo, exec_lo, s31
	s_cbranch_vccnz .LBB135_895
; %bb.894:
	s_wait_loadcnt 0x0
	global_load_b32 v10, v[6:7], off
.LBB135_895:
	s_mov_b32 s31, 0
.LBB135_896:
	s_delay_alu instid0(SALU_CYCLE_1)
	s_and_not1_b32 vcc_lo, exec_lo, s31
	s_cbranch_vccnz .LBB135_898
; %bb.897:
	s_wait_loadcnt 0x0
	global_load_u16 v10, v[6:7], off
.LBB135_898:
	s_mov_b32 s31, 0
.LBB135_899:
	s_delay_alu instid0(SALU_CYCLE_1)
	s_and_not1_b32 vcc_lo, exec_lo, s31
	s_cbranch_vccnz .LBB135_905
; %bb.900:
	s_cmp_gt_i32 s0, 0
	s_mov_b32 s0, 0
	s_cbranch_scc0 .LBB135_902
; %bb.901:
	s_wait_loadcnt 0x0
	global_load_i8 v10, v[6:7], off
	s_branch .LBB135_903
.LBB135_902:
	s_mov_b32 s0, -1
                                        ; implicit-def: $vgpr10
.LBB135_903:
	s_delay_alu instid0(SALU_CYCLE_1)
	s_and_not1_b32 vcc_lo, exec_lo, s0
	s_cbranch_vccnz .LBB135_905
; %bb.904:
	s_wait_loadcnt 0x0
	global_load_u8 v10, v[6:7], off
.LBB135_905:
	s_mov_b32 s31, -1
.LBB135_906:
	s_delay_alu instid0(SALU_CYCLE_1)
	s_and_not1_b32 vcc_lo, exec_lo, s31
	s_cbranch_vccnz .LBB135_914
; %bb.907:
	v_mov_b32_e32 v3, 0
	s_wait_loadcnt 0x0
	s_delay_alu instid0(VALU_DEP_4) | instskip(SKIP_1) | instid1(SALU_CYCLE_1)
	v_max_i16 v1, v4, v8
	s_and_b32 s31, s38, 0xff
	s_cmp_lt_i32 s31, 11
	v_add_nc_u64_e32 v[2:3], s[4:5], v[2:3]
	s_delay_alu instid0(VALU_DEP_2)
	v_min_i16 v1, v1, v10
	s_cbranch_scc1 .LBB135_915
; %bb.908:
	s_and_b32 s50, 0xffff, s31
	s_delay_alu instid0(SALU_CYCLE_1)
	s_cmp_gt_i32 s50, 25
	s_cbranch_scc0 .LBB135_916
; %bb.909:
	s_cmp_gt_i32 s50, 28
	s_cbranch_scc0 .LBB135_917
; %bb.910:
	;; [unrolled: 3-line block ×4, first 2 shown]
	s_mov_b32 s52, 0
	s_mov_b32 s0, -1
	s_cmp_eq_u32 s50, 46
	s_mov_b32 s51, 0
	s_cbranch_scc0 .LBB135_920
; %bb.913:
	v_bfe_i32 v4, v1, 0, 16
	s_mov_b32 s51, -1
	s_mov_b32 s0, 0
	s_delay_alu instid0(VALU_DEP_1) | instskip(NEXT) | instid1(VALU_DEP_1)
	v_cvt_f32_i32_e32 v4, v4
	v_bfe_u32 v5, v4, 16, 1
	s_delay_alu instid0(VALU_DEP_1) | instskip(NEXT) | instid1(VALU_DEP_1)
	v_add3_u32 v4, v4, v5, 0x7fff
	v_lshrrev_b32_e32 v4, 16, v4
	global_store_b32 v[2:3], v4, off
	s_branch .LBB135_920
.LBB135_914:
	s_mov_b32 s31, 0
	s_mov_b32 s0, s42
	s_branch .LBB135_1031
.LBB135_915:
	s_mov_b32 s50, -1
	s_mov_b32 s51, 0
	s_mov_b32 s0, s42
	s_branch .LBB135_989
.LBB135_916:
	s_mov_b32 s52, -1
	s_mov_b32 s51, 0
	s_mov_b32 s0, s42
	s_branch .LBB135_947
.LBB135_917:
	s_mov_b32 s52, -1
	s_mov_b32 s51, 0
	s_mov_b32 s0, s42
	s_branch .LBB135_930
.LBB135_918:
	s_mov_b32 s52, -1
	s_mov_b32 s51, 0
	s_mov_b32 s0, s42
	s_branch .LBB135_926
.LBB135_919:
	s_mov_b32 s52, -1
	s_mov_b32 s51, 0
	s_mov_b32 s0, s42
.LBB135_920:
	s_and_b32 vcc_lo, exec_lo, s52
	s_cbranch_vccz .LBB135_925
; %bb.921:
	s_cmp_eq_u32 s50, 44
	s_mov_b32 s0, -1
	s_cbranch_scc0 .LBB135_925
; %bb.922:
	s_wait_xcnt 0x0
	v_bfe_i32 v4, v1, 0, 16
	v_mov_b32_e32 v5, 0xff
	s_mov_b32 s51, exec_lo
	s_delay_alu instid0(VALU_DEP_2) | instskip(NEXT) | instid1(VALU_DEP_1)
	v_cvt_f32_i32_e32 v4, v4
	v_bfe_u32 v6, v4, 23, 8
	s_delay_alu instid0(VALU_DEP_1)
	v_cmpx_ne_u32_e32 0xff, v6
	s_cbranch_execz .LBB135_924
; %bb.923:
	v_and_b32_e32 v5, 0x400000, v4
	v_and_or_b32 v6, 0x3fffff, v4, v6
	v_lshrrev_b32_e32 v4, 23, v4
	s_delay_alu instid0(VALU_DEP_3) | instskip(NEXT) | instid1(VALU_DEP_3)
	v_cmp_ne_u32_e32 vcc_lo, 0, v5
	v_cmp_ne_u32_e64 s0, 0, v6
	s_and_b32 s0, vcc_lo, s0
	s_delay_alu instid0(SALU_CYCLE_1) | instskip(NEXT) | instid1(VALU_DEP_1)
	v_cndmask_b32_e64 v5, 0, 1, s0
	v_add_nc_u32_e32 v5, v4, v5
.LBB135_924:
	s_or_b32 exec_lo, exec_lo, s51
	s_mov_b32 s51, -1
	s_mov_b32 s0, 0
	global_store_b8 v[2:3], v5, off
.LBB135_925:
	s_mov_b32 s52, 0
.LBB135_926:
	s_delay_alu instid0(SALU_CYCLE_1)
	s_and_b32 vcc_lo, exec_lo, s52
	s_cbranch_vccz .LBB135_929
; %bb.927:
	s_cmp_eq_u32 s50, 29
	s_mov_b32 s0, -1
	s_cbranch_scc0 .LBB135_929
; %bb.928:
	s_wait_xcnt 0x0
	v_bfe_i32 v4, v1, 0, 16
	s_mov_b32 s0, 0
	s_mov_b32 s51, -1
	s_mov_b32 s52, 0
	s_delay_alu instid0(VALU_DEP_1)
	v_ashrrev_i32_e32 v5, 31, v4
	global_store_b64 v[2:3], v[4:5], off
	s_branch .LBB135_930
.LBB135_929:
	s_mov_b32 s52, 0
.LBB135_930:
	s_delay_alu instid0(SALU_CYCLE_1)
	s_and_b32 vcc_lo, exec_lo, s52
	s_cbranch_vccz .LBB135_946
; %bb.931:
	s_cmp_lt_i32 s50, 27
	s_mov_b32 s51, -1
	s_cbranch_scc1 .LBB135_937
; %bb.932:
	s_cmp_gt_i32 s50, 27
	s_cbranch_scc0 .LBB135_934
; %bb.933:
	s_wait_xcnt 0x0
	v_bfe_i32 v4, v1, 0, 16
	s_mov_b32 s51, 0
	global_store_b32 v[2:3], v4, off
.LBB135_934:
	s_and_not1_b32 vcc_lo, exec_lo, s51
	s_cbranch_vccnz .LBB135_936
; %bb.935:
	global_store_b16 v[2:3], v1, off
.LBB135_936:
	s_mov_b32 s51, 0
.LBB135_937:
	s_delay_alu instid0(SALU_CYCLE_1)
	s_and_not1_b32 vcc_lo, exec_lo, s51
	s_cbranch_vccnz .LBB135_945
; %bb.938:
	s_wait_xcnt 0x0
	v_bfe_i32 v4, v1, 0, 16
	v_mov_b32_e32 v6, 0x80
	s_mov_b32 s51, exec_lo
	s_delay_alu instid0(VALU_DEP_2) | instskip(NEXT) | instid1(VALU_DEP_1)
	v_cvt_f32_i32_e32 v4, v4
	v_and_b32_e32 v5, 0x7fffffff, v4
	s_delay_alu instid0(VALU_DEP_1)
	v_cmpx_gt_u32_e32 0x43800000, v5
	s_cbranch_execz .LBB135_944
; %bb.939:
	v_cmp_lt_u32_e32 vcc_lo, 0x3bffffff, v5
	s_mov_b32 s52, 0
                                        ; implicit-def: $vgpr5
	s_and_saveexec_b32 s53, vcc_lo
	s_delay_alu instid0(SALU_CYCLE_1)
	s_xor_b32 s53, exec_lo, s53
	s_cbranch_execz .LBB135_1185
; %bb.940:
	v_bfe_u32 v5, v4, 20, 1
	s_mov_b32 s52, exec_lo
	s_delay_alu instid0(VALU_DEP_1) | instskip(NEXT) | instid1(VALU_DEP_1)
	v_add3_u32 v5, v4, v5, 0x487ffff
	v_lshrrev_b32_e32 v5, 20, v5
	s_and_not1_saveexec_b32 s53, s53
	s_cbranch_execnz .LBB135_1186
.LBB135_941:
	s_or_b32 exec_lo, exec_lo, s53
	v_mov_b32_e32 v6, 0
	s_and_saveexec_b32 s53, s52
.LBB135_942:
	v_lshrrev_b32_e32 v4, 24, v4
	s_delay_alu instid0(VALU_DEP_1)
	v_and_or_b32 v6, 0x80, v4, v5
.LBB135_943:
	s_or_b32 exec_lo, exec_lo, s53
.LBB135_944:
	s_delay_alu instid0(SALU_CYCLE_1)
	s_or_b32 exec_lo, exec_lo, s51
	global_store_b8 v[2:3], v6, off
.LBB135_945:
	s_mov_b32 s51, -1
.LBB135_946:
	s_mov_b32 s52, 0
.LBB135_947:
	s_delay_alu instid0(SALU_CYCLE_1)
	s_and_b32 vcc_lo, exec_lo, s52
	s_cbranch_vccz .LBB135_988
; %bb.948:
	s_cmp_gt_i32 s50, 22
	s_mov_b32 s52, -1
	s_cbranch_scc0 .LBB135_980
; %bb.949:
	s_cmp_lt_i32 s50, 24
	s_mov_b32 s51, -1
	s_cbranch_scc1 .LBB135_969
; %bb.950:
	s_cmp_gt_i32 s50, 24
	s_cbranch_scc0 .LBB135_958
; %bb.951:
	s_wait_xcnt 0x0
	v_bfe_i32 v4, v1, 0, 16
	v_mov_b32_e32 v6, 0x80
	s_mov_b32 s51, exec_lo
	s_delay_alu instid0(VALU_DEP_2) | instskip(NEXT) | instid1(VALU_DEP_1)
	v_cvt_f32_i32_e32 v4, v4
	v_and_b32_e32 v5, 0x7fffffff, v4
	s_delay_alu instid0(VALU_DEP_1)
	v_cmpx_gt_u32_e32 0x47800000, v5
	s_cbranch_execz .LBB135_957
; %bb.952:
	v_cmp_lt_u32_e32 vcc_lo, 0x37ffffff, v5
	s_mov_b32 s52, 0
                                        ; implicit-def: $vgpr5
	s_and_saveexec_b32 s53, vcc_lo
	s_delay_alu instid0(SALU_CYCLE_1)
	s_xor_b32 s53, exec_lo, s53
	s_cbranch_execz .LBB135_1313
; %bb.953:
	v_bfe_u32 v5, v4, 21, 1
	s_mov_b32 s52, exec_lo
	s_delay_alu instid0(VALU_DEP_1) | instskip(NEXT) | instid1(VALU_DEP_1)
	v_add3_u32 v5, v4, v5, 0x88fffff
	v_lshrrev_b32_e32 v5, 21, v5
	s_and_not1_saveexec_b32 s53, s53
	s_cbranch_execnz .LBB135_1314
.LBB135_954:
	s_or_b32 exec_lo, exec_lo, s53
	v_mov_b32_e32 v6, 0
	s_and_saveexec_b32 s53, s52
.LBB135_955:
	v_lshrrev_b32_e32 v4, 24, v4
	s_delay_alu instid0(VALU_DEP_1)
	v_and_or_b32 v6, 0x80, v4, v5
.LBB135_956:
	s_or_b32 exec_lo, exec_lo, s53
.LBB135_957:
	s_delay_alu instid0(SALU_CYCLE_1)
	s_or_b32 exec_lo, exec_lo, s51
	s_mov_b32 s51, 0
	global_store_b8 v[2:3], v6, off
.LBB135_958:
	s_and_b32 vcc_lo, exec_lo, s51
	s_cbranch_vccz .LBB135_968
; %bb.959:
	s_wait_xcnt 0x0
	v_bfe_i32 v4, v1, 0, 16
	s_mov_b32 s51, exec_lo
                                        ; implicit-def: $vgpr5
	s_delay_alu instid0(VALU_DEP_1) | instskip(NEXT) | instid1(VALU_DEP_1)
	v_cvt_f32_i32_e32 v4, v4
	v_and_b32_e32 v6, 0x7fffffff, v4
	s_delay_alu instid0(VALU_DEP_1)
	v_cmpx_gt_u32_e32 0x43f00000, v6
	s_xor_b32 s51, exec_lo, s51
	s_cbranch_execz .LBB135_965
; %bb.960:
	s_mov_b32 s52, exec_lo
                                        ; implicit-def: $vgpr5
	v_cmpx_lt_u32_e32 0x3c7fffff, v6
	s_xor_b32 s52, exec_lo, s52
; %bb.961:
	v_bfe_u32 v5, v4, 20, 1
	s_delay_alu instid0(VALU_DEP_1) | instskip(NEXT) | instid1(VALU_DEP_1)
	v_add3_u32 v5, v4, v5, 0x407ffff
	v_and_b32_e32 v6, 0xff00000, v5
	v_lshrrev_b32_e32 v5, 20, v5
	s_delay_alu instid0(VALU_DEP_2) | instskip(NEXT) | instid1(VALU_DEP_2)
	v_cmp_ne_u32_e32 vcc_lo, 0x7f00000, v6
	v_cndmask_b32_e32 v5, 0x7e, v5, vcc_lo
; %bb.962:
	s_and_not1_saveexec_b32 s52, s52
; %bb.963:
	v_add_f32_e64 v5, 0x46800000, |v4|
; %bb.964:
	s_or_b32 exec_lo, exec_lo, s52
                                        ; implicit-def: $vgpr6
.LBB135_965:
	s_and_not1_saveexec_b32 s51, s51
; %bb.966:
	v_mov_b32_e32 v5, 0x7f
	v_cmp_lt_u32_e32 vcc_lo, 0x7f800000, v6
	s_delay_alu instid0(VALU_DEP_2)
	v_cndmask_b32_e32 v5, 0x7e, v5, vcc_lo
; %bb.967:
	s_or_b32 exec_lo, exec_lo, s51
	v_lshrrev_b32_e32 v4, 24, v4
	s_delay_alu instid0(VALU_DEP_1)
	v_and_or_b32 v4, 0x80, v4, v5
	global_store_b8 v[2:3], v4, off
.LBB135_968:
	s_mov_b32 s51, 0
.LBB135_969:
	s_delay_alu instid0(SALU_CYCLE_1)
	s_and_not1_b32 vcc_lo, exec_lo, s51
	s_cbranch_vccnz .LBB135_979
; %bb.970:
	s_wait_xcnt 0x0
	v_bfe_i32 v4, v1, 0, 16
	s_mov_b32 s51, exec_lo
                                        ; implicit-def: $vgpr5
	s_delay_alu instid0(VALU_DEP_1) | instskip(NEXT) | instid1(VALU_DEP_1)
	v_cvt_f32_i32_e32 v4, v4
	v_and_b32_e32 v6, 0x7fffffff, v4
	s_delay_alu instid0(VALU_DEP_1)
	v_cmpx_gt_u32_e32 0x47800000, v6
	s_xor_b32 s51, exec_lo, s51
	s_cbranch_execz .LBB135_976
; %bb.971:
	s_mov_b32 s52, exec_lo
                                        ; implicit-def: $vgpr5
	v_cmpx_lt_u32_e32 0x387fffff, v6
	s_xor_b32 s52, exec_lo, s52
; %bb.972:
	v_bfe_u32 v5, v4, 21, 1
	s_delay_alu instid0(VALU_DEP_1) | instskip(NEXT) | instid1(VALU_DEP_1)
	v_add3_u32 v5, v4, v5, 0x80fffff
	v_lshrrev_b32_e32 v5, 21, v5
; %bb.973:
	s_and_not1_saveexec_b32 s52, s52
; %bb.974:
	v_add_f32_e64 v5, 0x43000000, |v4|
; %bb.975:
	s_or_b32 exec_lo, exec_lo, s52
                                        ; implicit-def: $vgpr6
.LBB135_976:
	s_and_not1_saveexec_b32 s51, s51
; %bb.977:
	v_mov_b32_e32 v5, 0x7f
	v_cmp_lt_u32_e32 vcc_lo, 0x7f800000, v6
	s_delay_alu instid0(VALU_DEP_2)
	v_cndmask_b32_e32 v5, 0x7c, v5, vcc_lo
; %bb.978:
	s_or_b32 exec_lo, exec_lo, s51
	v_lshrrev_b32_e32 v4, 24, v4
	s_delay_alu instid0(VALU_DEP_1)
	v_and_or_b32 v4, 0x80, v4, v5
	global_store_b8 v[2:3], v4, off
.LBB135_979:
	s_mov_b32 s52, 0
	s_mov_b32 s51, -1
.LBB135_980:
	s_and_not1_b32 vcc_lo, exec_lo, s52
	s_cbranch_vccnz .LBB135_988
; %bb.981:
	s_cmp_gt_i32 s50, 14
	s_mov_b32 s52, -1
	s_cbranch_scc0 .LBB135_985
; %bb.982:
	s_cmp_eq_u32 s50, 15
	s_mov_b32 s0, -1
	s_cbranch_scc0 .LBB135_984
; %bb.983:
	s_wait_xcnt 0x0
	v_bfe_i32 v4, v1, 0, 16
	s_mov_b32 s51, -1
	s_mov_b32 s0, 0
	s_delay_alu instid0(VALU_DEP_1) | instskip(NEXT) | instid1(VALU_DEP_1)
	v_cvt_f32_i32_e32 v4, v4
	v_bfe_u32 v5, v4, 16, 1
	s_delay_alu instid0(VALU_DEP_1)
	v_add3_u32 v4, v4, v5, 0x7fff
	global_store_d16_hi_b16 v[2:3], v4, off
.LBB135_984:
	s_mov_b32 s52, 0
.LBB135_985:
	s_delay_alu instid0(SALU_CYCLE_1)
	s_and_b32 vcc_lo, exec_lo, s52
	s_cbranch_vccz .LBB135_988
; %bb.986:
	s_cmp_eq_u32 s50, 11
	s_mov_b32 s0, -1
	s_cbranch_scc0 .LBB135_988
; %bb.987:
	v_cmp_ne_u16_e32 vcc_lo, 0, v1
	s_mov_b32 s0, 0
	s_mov_b32 s51, -1
	s_wait_xcnt 0x0
	v_cndmask_b32_e64 v4, 0, 1, vcc_lo
	global_store_b8 v[2:3], v4, off
.LBB135_988:
	s_mov_b32 s50, 0
.LBB135_989:
	s_delay_alu instid0(SALU_CYCLE_1)
	s_and_b32 vcc_lo, exec_lo, s50
	s_cbranch_vccz .LBB135_1028
; %bb.990:
	s_and_b32 s31, 0xffff, s31
	s_mov_b32 s50, -1
	s_cmp_lt_i32 s31, 5
	s_cbranch_scc1 .LBB135_1011
; %bb.991:
	s_cmp_lt_i32 s31, 8
	s_cbranch_scc1 .LBB135_1001
; %bb.992:
	;; [unrolled: 3-line block ×3, first 2 shown]
	s_cmp_gt_i32 s31, 9
	s_cbranch_scc0 .LBB135_995
; %bb.994:
	s_wait_xcnt 0x0
	v_bfe_i32 v4, v1, 0, 16
	v_mov_b32_e32 v6, 0
	s_mov_b32 s50, 0
	s_delay_alu instid0(VALU_DEP_2) | instskip(NEXT) | instid1(VALU_DEP_2)
	v_cvt_f64_i32_e32 v[4:5], v4
	v_mov_b32_e32 v7, v6
	global_store_b128 v[2:3], v[4:7], off
.LBB135_995:
	s_and_not1_b32 vcc_lo, exec_lo, s50
	s_cbranch_vccnz .LBB135_997
; %bb.996:
	s_wait_xcnt 0x0
	v_bfe_i32 v4, v1, 0, 16
	v_mov_b32_e32 v5, 0
	s_delay_alu instid0(VALU_DEP_2)
	v_cvt_f32_i32_e32 v4, v4
	global_store_b64 v[2:3], v[4:5], off
.LBB135_997:
	s_mov_b32 s50, 0
.LBB135_998:
	s_delay_alu instid0(SALU_CYCLE_1)
	s_and_not1_b32 vcc_lo, exec_lo, s50
	s_cbranch_vccnz .LBB135_1000
; %bb.999:
	s_wait_xcnt 0x0
	v_cvt_f16_i16_e32 v4, v1
	s_delay_alu instid0(VALU_DEP_1)
	v_and_b32_e32 v4, 0xffff, v4
	global_store_b32 v[2:3], v4, off
.LBB135_1000:
	s_mov_b32 s50, 0
.LBB135_1001:
	s_delay_alu instid0(SALU_CYCLE_1)
	s_and_not1_b32 vcc_lo, exec_lo, s50
	s_cbranch_vccnz .LBB135_1010
; %bb.1002:
	s_cmp_lt_i32 s31, 6
	s_mov_b32 s50, -1
	s_cbranch_scc1 .LBB135_1008
; %bb.1003:
	s_cmp_gt_i32 s31, 6
	s_cbranch_scc0 .LBB135_1005
; %bb.1004:
	s_wait_xcnt 0x0
	v_bfe_i32 v4, v1, 0, 16
	s_mov_b32 s50, 0
	s_delay_alu instid0(VALU_DEP_1)
	v_cvt_f64_i32_e32 v[4:5], v4
	global_store_b64 v[2:3], v[4:5], off
.LBB135_1005:
	s_and_not1_b32 vcc_lo, exec_lo, s50
	s_cbranch_vccnz .LBB135_1007
; %bb.1006:
	s_wait_xcnt 0x0
	v_bfe_i32 v4, v1, 0, 16
	s_delay_alu instid0(VALU_DEP_1)
	v_cvt_f32_i32_e32 v4, v4
	global_store_b32 v[2:3], v4, off
.LBB135_1007:
	s_mov_b32 s50, 0
.LBB135_1008:
	s_delay_alu instid0(SALU_CYCLE_1)
	s_and_not1_b32 vcc_lo, exec_lo, s50
	s_cbranch_vccnz .LBB135_1010
; %bb.1009:
	s_wait_xcnt 0x0
	v_cvt_f16_i16_e32 v4, v1
	global_store_b16 v[2:3], v4, off
.LBB135_1010:
	s_mov_b32 s50, 0
.LBB135_1011:
	s_delay_alu instid0(SALU_CYCLE_1)
	s_and_not1_b32 vcc_lo, exec_lo, s50
	s_cbranch_vccnz .LBB135_1027
; %bb.1012:
	s_cmp_lt_i32 s31, 2
	s_mov_b32 s50, -1
	s_cbranch_scc1 .LBB135_1022
; %bb.1013:
	s_cmp_lt_i32 s31, 3
	s_cbranch_scc1 .LBB135_1019
; %bb.1014:
	s_cmp_gt_i32 s31, 3
	s_cbranch_scc0 .LBB135_1016
; %bb.1015:
	s_wait_xcnt 0x0
	v_bfe_i32 v4, v1, 0, 16
	s_mov_b32 s50, 0
	s_delay_alu instid0(VALU_DEP_1)
	v_ashrrev_i32_e32 v5, 31, v4
	global_store_b64 v[2:3], v[4:5], off
.LBB135_1016:
	s_and_not1_b32 vcc_lo, exec_lo, s50
	s_cbranch_vccnz .LBB135_1018
; %bb.1017:
	s_wait_xcnt 0x0
	v_bfe_i32 v4, v1, 0, 16
	global_store_b32 v[2:3], v4, off
.LBB135_1018:
	s_mov_b32 s50, 0
.LBB135_1019:
	s_delay_alu instid0(SALU_CYCLE_1)
	s_and_not1_b32 vcc_lo, exec_lo, s50
	s_cbranch_vccnz .LBB135_1021
; %bb.1020:
	global_store_b16 v[2:3], v1, off
.LBB135_1021:
	s_mov_b32 s50, 0
.LBB135_1022:
	s_delay_alu instid0(SALU_CYCLE_1)
	s_and_not1_b32 vcc_lo, exec_lo, s50
	s_cbranch_vccnz .LBB135_1027
; %bb.1023:
	s_cmp_gt_i32 s31, 0
	s_mov_b32 s31, -1
	s_cbranch_scc0 .LBB135_1025
; %bb.1024:
	s_mov_b32 s31, 0
	global_store_b8 v[2:3], v1, off
.LBB135_1025:
	s_and_not1_b32 vcc_lo, exec_lo, s31
	s_cbranch_vccnz .LBB135_1027
; %bb.1026:
	global_store_b8 v[2:3], v1, off
.LBB135_1027:
	s_mov_b32 s51, -1
.LBB135_1028:
	s_delay_alu instid0(SALU_CYCLE_1)
	s_and_not1_b32 vcc_lo, exec_lo, s51
	s_cbranch_vccnz .LBB135_1030
; %bb.1029:
	v_add_nc_u32_e32 v0, 0x80, v0
	s_mov_b32 s31, -1
	s_branch .LBB135_1032
.LBB135_1030:
	s_mov_b32 s31, 0
.LBB135_1031:
                                        ; implicit-def: $vgpr0
.LBB135_1032:
	s_and_not1_b32 s50, s42, exec_lo
	s_and_b32 s0, s0, exec_lo
	s_and_not1_b32 s52, s46, exec_lo
	s_and_b32 s30, s30, exec_lo
	s_or_b32 s51, s50, s0
	s_or_b32 s52, s52, s30
	s_and_not1_b32 s0, s47, exec_lo
	s_and_b32 s29, s29, exec_lo
	s_and_not1_b32 s30, s48, exec_lo
	s_and_b32 s28, s28, exec_lo
	s_or_b32 s53, s0, s29
	s_or_b32 s50, s30, s28
	s_or_not1_b32 s31, s31, exec_lo
.LBB135_1033:
	s_wait_xcnt 0x0
	s_or_b32 exec_lo, exec_lo, s54
	s_mov_b32 s29, 0
	s_mov_b32 s30, 0
	;; [unrolled: 1-line block ×3, first 2 shown]
                                        ; implicit-def: $sgpr0
                                        ; implicit-def: $vgpr10_vgpr11
                                        ; implicit-def: $vgpr2
                                        ; implicit-def: $vgpr6
                                        ; implicit-def: $vgpr8
                                        ; implicit-def: $vgpr4
	s_and_saveexec_b32 s54, s31
	s_cbranch_execz .LBB135_1644
; %bb.1034:
	s_mov_b32 s31, -1
	s_mov_b32 s56, s50
	s_mov_b32 s58, s53
	;; [unrolled: 1-line block ×4, first 2 shown]
	s_mov_b32 s55, exec_lo
	v_cmpx_gt_i32_e64 s44, v0
	s_cbranch_execz .LBB135_1554
; %bb.1035:
	s_and_not1_b32 vcc_lo, exec_lo, s36
	s_cbranch_vccnz .LBB135_1041
; %bb.1036:
	s_and_not1_b32 vcc_lo, exec_lo, s45
	s_cbranch_vccnz .LBB135_1042
; %bb.1037:
	s_wait_loadcnt 0x0
	v_dual_mov_b32 v8, 0 :: v_dual_mov_b32 v1, v0
	v_dual_mov_b32 v6, 0 :: v_dual_mov_b32 v2, 0
	v_mov_b32_e32 v4, 0
	s_add_co_i32 s0, s43, 1
	s_mov_b64 s[28:29], 0xffffffffffffffe0
	s_and_b32 s0, s0, 30
	s_add_nc_u64 s[28:29], s[2:3], s[28:29]
	s_mov_b64 s[30:31], s[2:3]
.LBB135_1038:                           ; =>This Inner Loop Header: Depth=1
	s_clause 0x1
	s_load_b128 s[64:67], s[30:31], 0x4
	s_load_b64 s[68:69], s[30:31], 0x14
	s_load_b256 s[56:63], s[28:29], 0xe4
	s_add_co_i32 s0, s0, -2
	s_wait_xcnt 0x0
	s_add_nc_u64 s[30:31], s[30:31], 24
	s_cmp_eq_u32 s0, 0
	s_add_nc_u64 s[28:29], s[28:29], 32
	s_wait_kmcnt 0x0
	v_mul_hi_u32 v3, s65, v1
	s_delay_alu instid0(VALU_DEP_1) | instskip(NEXT) | instid1(VALU_DEP_1)
	v_add_nc_u32_e32 v3, v1, v3
	v_lshrrev_b32_e32 v3, s66, v3
	s_delay_alu instid0(VALU_DEP_1) | instskip(SKIP_1) | instid1(VALU_DEP_1)
	v_mul_hi_u32 v5, s68, v3
	v_mul_lo_u32 v7, v3, s64
	v_dual_add_nc_u32 v5, v3, v5 :: v_dual_sub_nc_u32 v7, v1, v7
	s_delay_alu instid0(VALU_DEP_1) | instskip(NEXT) | instid1(VALU_DEP_2)
	v_lshrrev_b32_e32 v1, s69, v5
	v_mad_u32 v4, v7, s57, v4
	v_mad_u32 v2, v7, s56, v2
	;; [unrolled: 1-line block ×4, first 2 shown]
	v_mul_lo_u32 v5, v1, s67
	s_delay_alu instid0(VALU_DEP_1) | instskip(NEXT) | instid1(VALU_DEP_1)
	v_sub_nc_u32_e32 v3, v3, v5
	v_mad_u32 v4, v3, s61, v4
	v_mad_u32 v2, v3, s60, v2
	;; [unrolled: 1-line block ×4, first 2 shown]
	s_cbranch_scc0 .LBB135_1038
; %bb.1039:
	s_bitcmp1_b32 s43, 0
	s_cselect_b32 s0, -1, 0
	s_delay_alu instid0(SALU_CYCLE_1)
	s_and_b32 vcc_lo, exec_lo, s0
	s_cbranch_vccnz .LBB135_1043
; %bb.1040:
	s_load_b96 s[60:62], s[30:31], 0x4
	s_load_b128 s[56:59], s[28:29], 0xe4
	s_wait_kmcnt 0x0
	v_mul_hi_u32 v3, s61, v1
	s_delay_alu instid0(VALU_DEP_1) | instskip(NEXT) | instid1(VALU_DEP_1)
	v_add_nc_u32_e32 v3, v1, v3
	v_lshrrev_b32_e32 v3, s62, v3
	s_delay_alu instid0(VALU_DEP_1) | instskip(NEXT) | instid1(VALU_DEP_1)
	v_mul_lo_u32 v3, v3, s60
	v_sub_nc_u32_e32 v1, v1, v3
	s_delay_alu instid0(VALU_DEP_1)
	v_mad_u32 v2, v1, s56, v2
	v_mad_u32 v4, v1, s57, v4
	;; [unrolled: 1-line block ×4, first 2 shown]
	s_branch .LBB135_1043
.LBB135_1041:
	s_mov_b32 s0, -1
                                        ; implicit-def: $vgpr4
                                        ; implicit-def: $vgpr2
                                        ; implicit-def: $vgpr6
                                        ; implicit-def: $vgpr8
	s_branch .LBB135_1044
.LBB135_1042:
	s_wait_loadcnt 0x0
	v_dual_mov_b32 v4, 0 :: v_dual_mov_b32 v2, 0
	v_dual_mov_b32 v6, 0 :: v_dual_mov_b32 v8, 0
.LBB135_1043:
	s_mov_b32 s0, 0
.LBB135_1044:
	s_delay_alu instid0(SALU_CYCLE_1)
	s_and_not1_b32 vcc_lo, exec_lo, s0
	s_cbranch_vccnz .LBB135_1047
; %bb.1045:
	v_mov_b32_e32 v1, 0
	s_and_not1_b32 vcc_lo, exec_lo, s41
	s_delay_alu instid0(VALU_DEP_1) | instskip(NEXT) | instid1(VALU_DEP_1)
	v_mul_u64_e32 v[2:3], s[24:25], v[0:1]
	v_add_nc_u32_e32 v2, v0, v3
	s_wait_loadcnt 0x0
	s_delay_alu instid0(VALU_DEP_1) | instskip(NEXT) | instid1(VALU_DEP_1)
	v_lshrrev_b32_e32 v10, s22, v2
	v_mul_lo_u32 v2, v10, s20
	s_delay_alu instid0(VALU_DEP_1) | instskip(NEXT) | instid1(VALU_DEP_1)
	v_sub_nc_u32_e32 v3, v0, v2
	v_mul_lo_u32 v4, v3, s13
	v_mul_lo_u32 v2, v3, s12
	;; [unrolled: 1-line block ×4, first 2 shown]
	s_cbranch_vccnz .LBB135_1047
; %bb.1046:
	v_mov_b32_e32 v11, v1
	s_delay_alu instid0(VALU_DEP_1) | instskip(NEXT) | instid1(VALU_DEP_1)
	v_mul_u64_e32 v[12:13], s[26:27], v[10:11]
	v_add_nc_u32_e32 v1, v10, v13
	s_delay_alu instid0(VALU_DEP_1) | instskip(NEXT) | instid1(VALU_DEP_1)
	v_lshrrev_b32_e32 v1, s1, v1
	v_mul_lo_u32 v1, v1, s23
	s_delay_alu instid0(VALU_DEP_1) | instskip(NEXT) | instid1(VALU_DEP_1)
	v_sub_nc_u32_e32 v1, v10, v1
	v_mad_u32 v2, v1, s16, v2
	v_mad_u32 v4, v1, s17, v4
	;; [unrolled: 1-line block ×4, first 2 shown]
.LBB135_1047:
	s_wait_loadcnt 0x0
	v_mov_b32_e32 v5, 0
	s_and_b32 s0, s40, 0xff
	s_delay_alu instid0(SALU_CYCLE_1) | instskip(NEXT) | instid1(VALU_DEP_1)
	s_cmp_lt_i32 s0, 11
	v_add_nc_u64_e32 v[10:11], s[6:7], v[4:5]
	s_cbranch_scc1 .LBB135_1054
; %bb.1048:
	s_and_b32 s29, 0xffff, s0
	s_delay_alu instid0(SALU_CYCLE_1)
	s_cmp_gt_i32 s29, 25
	s_cbranch_scc0 .LBB135_1055
; %bb.1049:
	s_cmp_gt_i32 s29, 28
	s_cbranch_scc0 .LBB135_1056
; %bb.1050:
	;; [unrolled: 3-line block ×4, first 2 shown]
	s_cmp_eq_u32 s29, 46
	s_mov_b32 s31, 0
	s_cbranch_scc0 .LBB135_1059
; %bb.1053:
	global_load_b32 v1, v[10:11], off
	s_mov_b32 s30, -1
	s_mov_b32 s28, 0
	s_wait_loadcnt 0x0
	v_lshlrev_b32_e32 v1, 16, v1
	s_delay_alu instid0(VALU_DEP_1)
	v_cvt_i32_f32_e32 v4, v1
	s_branch .LBB135_1061
.LBB135_1054:
	s_mov_b32 s29, -1
	s_mov_b32 s30, 0
	s_mov_b32 s28, s50
                                        ; implicit-def: $vgpr4
	s_branch .LBB135_1122
.LBB135_1055:
	s_mov_b32 s31, -1
	s_mov_b32 s30, 0
	s_mov_b32 s28, s50
                                        ; implicit-def: $vgpr4
	s_branch .LBB135_1088
.LBB135_1056:
	s_mov_b32 s31, -1
	s_mov_b32 s30, 0
	s_mov_b32 s28, s50
                                        ; implicit-def: $vgpr4
	s_branch .LBB135_1071
.LBB135_1057:
	s_mov_b32 s31, -1
	s_mov_b32 s30, 0
	s_mov_b32 s28, s50
                                        ; implicit-def: $vgpr4
	s_branch .LBB135_1066
.LBB135_1058:
	s_mov_b32 s31, -1
	s_mov_b32 s30, 0
	s_mov_b32 s28, s50
	s_branch .LBB135_1060
.LBB135_1059:
	s_mov_b32 s28, -1
	s_mov_b32 s30, 0
.LBB135_1060:
                                        ; implicit-def: $vgpr4
.LBB135_1061:
	s_and_b32 vcc_lo, exec_lo, s31
	s_cbranch_vccz .LBB135_1065
; %bb.1062:
	s_cmp_eq_u32 s29, 44
	s_cbranch_scc0 .LBB135_1064
; %bb.1063:
	global_load_u8 v1, v[10:11], off
	s_mov_b32 s28, 0
	s_mov_b32 s30, -1
	s_wait_loadcnt 0x0
	v_lshlrev_b32_e32 v3, 23, v1
	v_cmp_ne_u32_e32 vcc_lo, 0, v1
	s_delay_alu instid0(VALU_DEP_2) | instskip(NEXT) | instid1(VALU_DEP_1)
	v_cvt_i32_f32_e32 v3, v3
	v_cndmask_b32_e32 v4, 0, v3, vcc_lo
	s_branch .LBB135_1065
.LBB135_1064:
	s_mov_b32 s28, -1
                                        ; implicit-def: $vgpr4
.LBB135_1065:
	s_mov_b32 s31, 0
.LBB135_1066:
	s_delay_alu instid0(SALU_CYCLE_1)
	s_and_b32 vcc_lo, exec_lo, s31
	s_cbranch_vccz .LBB135_1070
; %bb.1067:
	s_cmp_eq_u32 s29, 29
	s_cbranch_scc0 .LBB135_1069
; %bb.1068:
	global_load_b64 v[4:5], v[10:11], off
	s_mov_b32 s30, -1
	s_mov_b32 s28, 0
	s_branch .LBB135_1070
.LBB135_1069:
	s_mov_b32 s28, -1
                                        ; implicit-def: $vgpr4
.LBB135_1070:
	s_mov_b32 s31, 0
.LBB135_1071:
	s_delay_alu instid0(SALU_CYCLE_1)
	s_and_b32 vcc_lo, exec_lo, s31
	s_cbranch_vccz .LBB135_1087
; %bb.1072:
	s_cmp_lt_i32 s29, 27
	s_cbranch_scc1 .LBB135_1075
; %bb.1073:
	s_cmp_gt_i32 s29, 27
	s_cbranch_scc0 .LBB135_1076
; %bb.1074:
	s_wait_loadcnt 0x0
	global_load_b32 v4, v[10:11], off
	s_mov_b32 s30, 0
	s_branch .LBB135_1077
.LBB135_1075:
	s_mov_b32 s30, -1
                                        ; implicit-def: $vgpr4
	s_branch .LBB135_1080
.LBB135_1076:
	s_mov_b32 s30, -1
                                        ; implicit-def: $vgpr4
.LBB135_1077:
	s_delay_alu instid0(SALU_CYCLE_1)
	s_and_not1_b32 vcc_lo, exec_lo, s30
	s_cbranch_vccnz .LBB135_1079
; %bb.1078:
	s_wait_loadcnt 0x0
	global_load_u16 v4, v[10:11], off
.LBB135_1079:
	s_mov_b32 s30, 0
.LBB135_1080:
	s_delay_alu instid0(SALU_CYCLE_1)
	s_and_not1_b32 vcc_lo, exec_lo, s30
	s_cbranch_vccnz .LBB135_1086
; %bb.1081:
	global_load_u8 v1, v[10:11], off
	s_mov_b32 s31, 0
	s_mov_b32 s30, exec_lo
	s_wait_loadcnt 0x0
	v_cmpx_lt_i16_e32 0x7f, v1
	s_xor_b32 s30, exec_lo, s30
	s_cbranch_execz .LBB135_1098
; %bb.1082:
	v_cmp_ne_u16_e32 vcc_lo, 0x80, v1
	s_and_b32 s31, vcc_lo, exec_lo
	s_and_not1_saveexec_b32 s30, s30
	s_cbranch_execnz .LBB135_1099
.LBB135_1083:
	s_or_b32 exec_lo, exec_lo, s30
	v_mov_b32_e32 v4, 0
	s_and_saveexec_b32 s30, s31
	s_cbranch_execz .LBB135_1085
.LBB135_1084:
	v_and_b32_e32 v3, 0xffff, v1
	s_delay_alu instid0(VALU_DEP_1) | instskip(SKIP_1) | instid1(VALU_DEP_2)
	v_and_b32_e32 v4, 7, v3
	v_bfe_u32 v9, v3, 3, 4
	v_clz_i32_u32_e32 v5, v4
	s_delay_alu instid0(VALU_DEP_2) | instskip(NEXT) | instid1(VALU_DEP_2)
	v_cmp_eq_u32_e32 vcc_lo, 0, v9
	v_min_u32_e32 v5, 32, v5
	s_delay_alu instid0(VALU_DEP_1) | instskip(NEXT) | instid1(VALU_DEP_1)
	v_subrev_nc_u32_e32 v7, 28, v5
	v_dual_lshlrev_b32 v3, v7, v3 :: v_dual_sub_nc_u32 v5, 29, v5
	s_delay_alu instid0(VALU_DEP_1) | instskip(NEXT) | instid1(VALU_DEP_1)
	v_dual_lshlrev_b32 v1, 24, v1 :: v_dual_bitop2_b32 v3, 7, v3 bitop3:0x40
	v_dual_cndmask_b32 v3, v4, v3, vcc_lo :: v_dual_cndmask_b32 v5, v9, v5, vcc_lo
	s_delay_alu instid0(VALU_DEP_2) | instskip(NEXT) | instid1(VALU_DEP_2)
	v_and_b32_e32 v1, 0x80000000, v1
	v_lshlrev_b32_e32 v3, 20, v3
	s_delay_alu instid0(VALU_DEP_3) | instskip(NEXT) | instid1(VALU_DEP_1)
	v_lshl_add_u32 v4, v5, 23, 0x3b800000
	v_or3_b32 v1, v1, v4, v3
	s_delay_alu instid0(VALU_DEP_1)
	v_cvt_i32_f32_e32 v4, v1
.LBB135_1085:
	s_or_b32 exec_lo, exec_lo, s30
.LBB135_1086:
	s_mov_b32 s30, -1
.LBB135_1087:
	s_mov_b32 s31, 0
.LBB135_1088:
	s_delay_alu instid0(SALU_CYCLE_1)
	s_and_b32 vcc_lo, exec_lo, s31
	s_cbranch_vccz .LBB135_1121
; %bb.1089:
	s_cmp_gt_i32 s29, 22
	s_cbranch_scc0 .LBB135_1097
; %bb.1090:
	s_cmp_lt_i32 s29, 24
	s_cbranch_scc1 .LBB135_1100
; %bb.1091:
	s_cmp_gt_i32 s29, 24
	s_cbranch_scc0 .LBB135_1101
; %bb.1092:
	global_load_u8 v1, v[10:11], off
	s_mov_b32 s31, 0
	s_mov_b32 s30, exec_lo
	s_wait_loadcnt 0x0
	v_cmpx_lt_i16_e32 0x7f, v1
	s_xor_b32 s30, exec_lo, s30
	s_cbranch_execz .LBB135_1113
; %bb.1093:
	v_cmp_ne_u16_e32 vcc_lo, 0x80, v1
	s_and_b32 s31, vcc_lo, exec_lo
	s_and_not1_saveexec_b32 s30, s30
	s_cbranch_execnz .LBB135_1114
.LBB135_1094:
	s_or_b32 exec_lo, exec_lo, s30
	v_mov_b32_e32 v4, 0
	s_and_saveexec_b32 s30, s31
	s_cbranch_execz .LBB135_1096
.LBB135_1095:
	v_and_b32_e32 v3, 0xffff, v1
	s_delay_alu instid0(VALU_DEP_1) | instskip(SKIP_1) | instid1(VALU_DEP_2)
	v_and_b32_e32 v4, 3, v3
	v_bfe_u32 v9, v3, 2, 5
	v_clz_i32_u32_e32 v5, v4
	s_delay_alu instid0(VALU_DEP_2) | instskip(NEXT) | instid1(VALU_DEP_2)
	v_cmp_eq_u32_e32 vcc_lo, 0, v9
	v_min_u32_e32 v5, 32, v5
	s_delay_alu instid0(VALU_DEP_1) | instskip(NEXT) | instid1(VALU_DEP_1)
	v_subrev_nc_u32_e32 v7, 29, v5
	v_dual_lshlrev_b32 v3, v7, v3 :: v_dual_sub_nc_u32 v5, 30, v5
	s_delay_alu instid0(VALU_DEP_1) | instskip(NEXT) | instid1(VALU_DEP_1)
	v_dual_lshlrev_b32 v1, 24, v1 :: v_dual_bitop2_b32 v3, 3, v3 bitop3:0x40
	v_dual_cndmask_b32 v3, v4, v3, vcc_lo :: v_dual_cndmask_b32 v5, v9, v5, vcc_lo
	s_delay_alu instid0(VALU_DEP_2) | instskip(NEXT) | instid1(VALU_DEP_2)
	v_and_b32_e32 v1, 0x80000000, v1
	v_lshlrev_b32_e32 v3, 21, v3
	s_delay_alu instid0(VALU_DEP_3) | instskip(NEXT) | instid1(VALU_DEP_1)
	v_lshl_add_u32 v4, v5, 23, 0x37800000
	v_or3_b32 v1, v1, v4, v3
	s_delay_alu instid0(VALU_DEP_1)
	v_cvt_i32_f32_e32 v4, v1
.LBB135_1096:
	s_or_b32 exec_lo, exec_lo, s30
	s_mov_b32 s30, 0
	s_branch .LBB135_1102
.LBB135_1097:
	s_mov_b32 s31, -1
                                        ; implicit-def: $vgpr4
	s_branch .LBB135_1108
.LBB135_1098:
	s_and_not1_saveexec_b32 s30, s30
	s_cbranch_execz .LBB135_1083
.LBB135_1099:
	v_cmp_ne_u16_e32 vcc_lo, 0, v1
	s_and_not1_b32 s31, s31, exec_lo
	s_and_b32 s56, vcc_lo, exec_lo
	s_delay_alu instid0(SALU_CYCLE_1)
	s_or_b32 s31, s31, s56
	s_or_b32 exec_lo, exec_lo, s30
	v_mov_b32_e32 v4, 0
	s_and_saveexec_b32 s30, s31
	s_cbranch_execnz .LBB135_1084
	s_branch .LBB135_1085
.LBB135_1100:
	s_mov_b32 s30, -1
                                        ; implicit-def: $vgpr4
	s_branch .LBB135_1105
.LBB135_1101:
	s_mov_b32 s30, -1
                                        ; implicit-def: $vgpr4
.LBB135_1102:
	s_delay_alu instid0(SALU_CYCLE_1)
	s_and_b32 vcc_lo, exec_lo, s30
	s_cbranch_vccz .LBB135_1104
; %bb.1103:
	global_load_u8 v1, v[10:11], off
	s_wait_loadcnt 0x0
	v_lshlrev_b32_e32 v1, 24, v1
	s_delay_alu instid0(VALU_DEP_1) | instskip(NEXT) | instid1(VALU_DEP_1)
	v_and_b32_e32 v3, 0x7f000000, v1
	v_clz_i32_u32_e32 v4, v3
	v_add_nc_u32_e32 v7, 0x1000000, v3
	v_cmp_ne_u32_e32 vcc_lo, 0, v3
	s_delay_alu instid0(VALU_DEP_3) | instskip(NEXT) | instid1(VALU_DEP_1)
	v_min_u32_e32 v4, 32, v4
	v_sub_nc_u32_e64 v4, v4, 4 clamp
	s_delay_alu instid0(VALU_DEP_1) | instskip(NEXT) | instid1(VALU_DEP_1)
	v_dual_lshlrev_b32 v5, v4, v3 :: v_dual_lshlrev_b32 v4, 23, v4
	v_lshrrev_b32_e32 v5, 4, v5
	s_delay_alu instid0(VALU_DEP_1) | instskip(NEXT) | instid1(VALU_DEP_1)
	v_dual_sub_nc_u32 v4, v5, v4 :: v_dual_ashrrev_i32 v5, 8, v7
	v_add_nc_u32_e32 v4, 0x3c000000, v4
	s_delay_alu instid0(VALU_DEP_1) | instskip(NEXT) | instid1(VALU_DEP_1)
	v_and_or_b32 v4, 0x7f800000, v5, v4
	v_cndmask_b32_e32 v3, 0, v4, vcc_lo
	s_delay_alu instid0(VALU_DEP_1) | instskip(NEXT) | instid1(VALU_DEP_1)
	v_and_or_b32 v1, 0x80000000, v1, v3
	v_cvt_i32_f32_e32 v4, v1
.LBB135_1104:
	s_mov_b32 s30, 0
.LBB135_1105:
	s_delay_alu instid0(SALU_CYCLE_1)
	s_and_not1_b32 vcc_lo, exec_lo, s30
	s_cbranch_vccnz .LBB135_1107
; %bb.1106:
	global_load_u8 v1, v[10:11], off
	s_wait_loadcnt 0x0
	v_lshlrev_b32_e32 v3, 25, v1
	v_lshlrev_b16 v1, 8, v1
	s_delay_alu instid0(VALU_DEP_1) | instskip(NEXT) | instid1(VALU_DEP_3)
	v_and_or_b32 v5, 0x7f00, v1, 0.5
	v_lshrrev_b32_e32 v4, 4, v3
	v_bfe_i32 v1, v1, 0, 16
	s_delay_alu instid0(VALU_DEP_3) | instskip(NEXT) | instid1(VALU_DEP_3)
	v_add_f32_e32 v5, -0.5, v5
	v_or_b32_e32 v4, 0x70000000, v4
	s_delay_alu instid0(VALU_DEP_1) | instskip(SKIP_1) | instid1(VALU_DEP_2)
	v_mul_f32_e32 v4, 0x7800000, v4
	v_cmp_gt_u32_e32 vcc_lo, 0x8000000, v3
	v_cndmask_b32_e32 v3, v4, v5, vcc_lo
	s_delay_alu instid0(VALU_DEP_1) | instskip(NEXT) | instid1(VALU_DEP_1)
	v_and_or_b32 v1, 0x80000000, v1, v3
	v_cvt_i32_f32_e32 v4, v1
.LBB135_1107:
	s_mov_b32 s31, 0
	s_mov_b32 s30, -1
.LBB135_1108:
	s_and_not1_b32 vcc_lo, exec_lo, s31
	s_cbranch_vccnz .LBB135_1121
; %bb.1109:
	s_cmp_gt_i32 s29, 14
	s_cbranch_scc0 .LBB135_1112
; %bb.1110:
	s_cmp_eq_u32 s29, 15
	s_cbranch_scc0 .LBB135_1115
; %bb.1111:
	global_load_u16 v1, v[10:11], off
	s_mov_b32 s30, -1
	s_mov_b32 s28, 0
	s_wait_loadcnt 0x0
	v_lshlrev_b32_e32 v1, 16, v1
	s_delay_alu instid0(VALU_DEP_1)
	v_cvt_i32_f32_e32 v4, v1
	s_branch .LBB135_1116
.LBB135_1112:
	s_mov_b32 s31, -1
                                        ; implicit-def: $vgpr4
	s_branch .LBB135_1117
.LBB135_1113:
	s_and_not1_saveexec_b32 s30, s30
	s_cbranch_execz .LBB135_1094
.LBB135_1114:
	v_cmp_ne_u16_e32 vcc_lo, 0, v1
	s_and_not1_b32 s31, s31, exec_lo
	s_and_b32 s56, vcc_lo, exec_lo
	s_delay_alu instid0(SALU_CYCLE_1)
	s_or_b32 s31, s31, s56
	s_or_b32 exec_lo, exec_lo, s30
	v_mov_b32_e32 v4, 0
	s_and_saveexec_b32 s30, s31
	s_cbranch_execnz .LBB135_1095
	s_branch .LBB135_1096
.LBB135_1115:
	s_mov_b32 s28, -1
                                        ; implicit-def: $vgpr4
.LBB135_1116:
	s_mov_b32 s31, 0
.LBB135_1117:
	s_delay_alu instid0(SALU_CYCLE_1)
	s_and_b32 vcc_lo, exec_lo, s31
	s_cbranch_vccz .LBB135_1121
; %bb.1118:
	s_cmp_eq_u32 s29, 11
	s_cbranch_scc0 .LBB135_1120
; %bb.1119:
	global_load_u8 v1, v[10:11], off
	s_mov_b32 s28, 0
	s_mov_b32 s30, -1
	s_wait_loadcnt 0x0
	v_cmp_ne_u16_e32 vcc_lo, 0, v1
	v_cndmask_b32_e64 v4, 0, 1, vcc_lo
	s_branch .LBB135_1121
.LBB135_1120:
	s_mov_b32 s28, -1
                                        ; implicit-def: $vgpr4
.LBB135_1121:
	s_mov_b32 s29, 0
.LBB135_1122:
	s_delay_alu instid0(SALU_CYCLE_1)
	s_and_b32 vcc_lo, exec_lo, s29
	s_cbranch_vccz .LBB135_1171
; %bb.1123:
	s_and_b32 s0, 0xffff, s0
	s_delay_alu instid0(SALU_CYCLE_1)
	s_cmp_lt_i32 s0, 5
	s_cbranch_scc1 .LBB135_1128
; %bb.1124:
	s_cmp_lt_i32 s0, 8
	s_cbranch_scc1 .LBB135_1129
; %bb.1125:
	;; [unrolled: 3-line block ×3, first 2 shown]
	s_cmp_gt_i32 s0, 9
	s_cbranch_scc0 .LBB135_1131
; %bb.1127:
	s_wait_loadcnt 0x0
	global_load_b64 v[4:5], v[10:11], off
	s_mov_b32 s29, 0
	s_wait_loadcnt 0x0
	v_cvt_i32_f64_e32 v4, v[4:5]
	s_branch .LBB135_1132
.LBB135_1128:
	s_mov_b32 s29, -1
                                        ; implicit-def: $vgpr4
	s_branch .LBB135_1150
.LBB135_1129:
	s_mov_b32 s29, -1
                                        ; implicit-def: $vgpr4
	s_branch .LBB135_1138
.LBB135_1130:
	s_mov_b32 s29, -1
                                        ; implicit-def: $vgpr4
	s_branch .LBB135_1135
.LBB135_1131:
	s_mov_b32 s29, -1
                                        ; implicit-def: $vgpr4
.LBB135_1132:
	s_delay_alu instid0(SALU_CYCLE_1)
	s_and_not1_b32 vcc_lo, exec_lo, s29
	s_cbranch_vccnz .LBB135_1134
; %bb.1133:
	global_load_b32 v1, v[10:11], off
	s_wait_loadcnt 0x0
	v_cvt_i32_f32_e32 v4, v1
.LBB135_1134:
	s_mov_b32 s29, 0
.LBB135_1135:
	s_delay_alu instid0(SALU_CYCLE_1)
	s_and_not1_b32 vcc_lo, exec_lo, s29
	s_cbranch_vccnz .LBB135_1137
; %bb.1136:
	global_load_b32 v1, v[10:11], off
	s_wait_loadcnt 0x0
	v_cvt_i16_f16_e32 v4, v1
.LBB135_1137:
	s_mov_b32 s29, 0
.LBB135_1138:
	s_delay_alu instid0(SALU_CYCLE_1)
	s_and_not1_b32 vcc_lo, exec_lo, s29
	s_cbranch_vccnz .LBB135_1149
; %bb.1139:
	s_cmp_lt_i32 s0, 6
	s_cbranch_scc1 .LBB135_1142
; %bb.1140:
	s_cmp_gt_i32 s0, 6
	s_cbranch_scc0 .LBB135_1143
; %bb.1141:
	s_wait_loadcnt 0x0
	global_load_b64 v[4:5], v[10:11], off
	s_mov_b32 s29, 0
	s_wait_loadcnt 0x0
	v_cvt_i32_f64_e32 v4, v[4:5]
	s_branch .LBB135_1144
.LBB135_1142:
	s_mov_b32 s29, -1
                                        ; implicit-def: $vgpr4
	s_branch .LBB135_1147
.LBB135_1143:
	s_mov_b32 s29, -1
                                        ; implicit-def: $vgpr4
.LBB135_1144:
	s_delay_alu instid0(SALU_CYCLE_1)
	s_and_not1_b32 vcc_lo, exec_lo, s29
	s_cbranch_vccnz .LBB135_1146
; %bb.1145:
	global_load_b32 v1, v[10:11], off
	s_wait_loadcnt 0x0
	v_cvt_i32_f32_e32 v4, v1
.LBB135_1146:
	s_mov_b32 s29, 0
.LBB135_1147:
	s_delay_alu instid0(SALU_CYCLE_1)
	s_and_not1_b32 vcc_lo, exec_lo, s29
	s_cbranch_vccnz .LBB135_1149
; %bb.1148:
	global_load_u16 v1, v[10:11], off
	s_wait_loadcnt 0x0
	v_cvt_i16_f16_e32 v4, v1
.LBB135_1149:
	s_mov_b32 s29, 0
.LBB135_1150:
	s_delay_alu instid0(SALU_CYCLE_1)
	s_and_not1_b32 vcc_lo, exec_lo, s29
	s_cbranch_vccnz .LBB135_1170
; %bb.1151:
	s_cmp_lt_i32 s0, 2
	s_cbranch_scc1 .LBB135_1155
; %bb.1152:
	s_cmp_lt_i32 s0, 3
	s_cbranch_scc1 .LBB135_1156
; %bb.1153:
	s_cmp_gt_i32 s0, 3
	s_cbranch_scc0 .LBB135_1157
; %bb.1154:
	s_wait_loadcnt 0x0
	global_load_b64 v[4:5], v[10:11], off
	s_mov_b32 s29, 0
	s_branch .LBB135_1158
.LBB135_1155:
	s_mov_b32 s29, -1
                                        ; implicit-def: $vgpr4
	s_branch .LBB135_1164
.LBB135_1156:
	s_mov_b32 s29, -1
                                        ; implicit-def: $vgpr4
	s_branch .LBB135_1161
.LBB135_1157:
	s_mov_b32 s29, -1
                                        ; implicit-def: $vgpr4
.LBB135_1158:
	s_delay_alu instid0(SALU_CYCLE_1)
	s_and_not1_b32 vcc_lo, exec_lo, s29
	s_cbranch_vccnz .LBB135_1160
; %bb.1159:
	s_wait_loadcnt 0x0
	global_load_b32 v4, v[10:11], off
.LBB135_1160:
	s_mov_b32 s29, 0
.LBB135_1161:
	s_delay_alu instid0(SALU_CYCLE_1)
	s_and_not1_b32 vcc_lo, exec_lo, s29
	s_cbranch_vccnz .LBB135_1163
; %bb.1162:
	s_wait_loadcnt 0x0
	global_load_u16 v4, v[10:11], off
.LBB135_1163:
	s_mov_b32 s29, 0
.LBB135_1164:
	s_delay_alu instid0(SALU_CYCLE_1)
	s_and_not1_b32 vcc_lo, exec_lo, s29
	s_cbranch_vccnz .LBB135_1170
; %bb.1165:
	s_cmp_gt_i32 s0, 0
	s_mov_b32 s0, 0
	s_cbranch_scc0 .LBB135_1167
; %bb.1166:
	s_wait_loadcnt 0x0
	global_load_i8 v4, v[10:11], off
	s_branch .LBB135_1168
.LBB135_1167:
	s_mov_b32 s0, -1
                                        ; implicit-def: $vgpr4
.LBB135_1168:
	s_delay_alu instid0(SALU_CYCLE_1)
	s_and_not1_b32 vcc_lo, exec_lo, s0
	s_cbranch_vccnz .LBB135_1170
; %bb.1169:
	s_wait_loadcnt 0x0
	global_load_u8 v4, v[10:11], off
.LBB135_1170:
	s_mov_b32 s30, -1
.LBB135_1171:
	s_delay_alu instid0(SALU_CYCLE_1)
	s_and_not1_b32 vcc_lo, exec_lo, s30
	s_cbranch_vccnz .LBB135_1179
; %bb.1172:
	v_mov_b32_e32 v9, 0
	s_and_b32 s0, s39, 0xff
	s_delay_alu instid0(SALU_CYCLE_1) | instskip(SKIP_1) | instid1(VALU_DEP_1)
	s_cmp_lt_i32 s0, 11
	s_wait_xcnt 0x0
	v_add_nc_u64_e32 v[10:11], s[8:9], v[8:9]
	s_cbranch_scc1 .LBB135_1180
; %bb.1173:
	s_and_b32 s30, 0xffff, s0
	s_delay_alu instid0(SALU_CYCLE_1)
	s_cmp_gt_i32 s30, 25
	s_cbranch_scc0 .LBB135_1181
; %bb.1174:
	s_cmp_gt_i32 s30, 28
	s_cbranch_scc0 .LBB135_1182
; %bb.1175:
	;; [unrolled: 3-line block ×4, first 2 shown]
	s_cmp_eq_u32 s30, 46
	s_mov_b32 s56, 0
	s_cbranch_scc0 .LBB135_1187
; %bb.1178:
	global_load_b32 v1, v[10:11], off
	s_mov_b32 s31, -1
	s_mov_b32 s29, 0
	s_wait_loadcnt 0x0
	v_lshlrev_b32_e32 v1, 16, v1
	s_delay_alu instid0(VALU_DEP_1)
	v_cvt_i32_f32_e32 v8, v1
	s_branch .LBB135_1189
.LBB135_1179:
	s_mov_b32 s31, 0
	s_mov_b32 s0, s51
	;; [unrolled: 1-line block ×4, first 2 shown]
	s_branch .LBB135_1552
.LBB135_1180:
	s_mov_b32 s30, -1
	s_mov_b32 s31, 0
	s_mov_b32 s29, s53
                                        ; implicit-def: $vgpr8
	s_branch .LBB135_1250
.LBB135_1181:
	s_mov_b32 s56, -1
	s_mov_b32 s31, 0
	s_mov_b32 s29, s53
                                        ; implicit-def: $vgpr8
	s_branch .LBB135_1216
.LBB135_1182:
	s_mov_b32 s56, -1
	s_mov_b32 s31, 0
	s_mov_b32 s29, s53
                                        ; implicit-def: $vgpr8
	s_branch .LBB135_1199
.LBB135_1183:
	s_mov_b32 s56, -1
	s_mov_b32 s31, 0
	s_mov_b32 s29, s53
                                        ; implicit-def: $vgpr8
	s_branch .LBB135_1194
.LBB135_1184:
	s_mov_b32 s56, -1
	s_mov_b32 s31, 0
	s_mov_b32 s29, s53
	s_branch .LBB135_1188
.LBB135_1185:
	s_and_not1_saveexec_b32 s53, s53
	s_cbranch_execz .LBB135_941
.LBB135_1186:
	v_add_f32_e64 v5, 0x46000000, |v4|
	s_and_not1_b32 s52, s52, exec_lo
	s_delay_alu instid0(VALU_DEP_1) | instskip(NEXT) | instid1(VALU_DEP_1)
	v_and_b32_e32 v5, 0xff, v5
	v_cmp_ne_u32_e32 vcc_lo, 0, v5
	s_and_b32 s55, vcc_lo, exec_lo
	s_delay_alu instid0(SALU_CYCLE_1)
	s_or_b32 s52, s52, s55
	s_or_b32 exec_lo, exec_lo, s53
	v_mov_b32_e32 v6, 0
	s_and_saveexec_b32 s53, s52
	s_cbranch_execnz .LBB135_942
	s_branch .LBB135_943
.LBB135_1187:
	s_mov_b32 s29, -1
	s_mov_b32 s31, 0
.LBB135_1188:
                                        ; implicit-def: $vgpr8
.LBB135_1189:
	s_and_b32 vcc_lo, exec_lo, s56
	s_cbranch_vccz .LBB135_1193
; %bb.1190:
	s_cmp_eq_u32 s30, 44
	s_cbranch_scc0 .LBB135_1192
; %bb.1191:
	global_load_u8 v1, v[10:11], off
	s_mov_b32 s29, 0
	s_mov_b32 s31, -1
	s_wait_loadcnt 0x0
	v_lshlrev_b32_e32 v3, 23, v1
	v_cmp_ne_u32_e32 vcc_lo, 0, v1
	s_delay_alu instid0(VALU_DEP_2) | instskip(NEXT) | instid1(VALU_DEP_1)
	v_cvt_i32_f32_e32 v3, v3
	v_cndmask_b32_e32 v8, 0, v3, vcc_lo
	s_branch .LBB135_1193
.LBB135_1192:
	s_mov_b32 s29, -1
                                        ; implicit-def: $vgpr8
.LBB135_1193:
	s_mov_b32 s56, 0
.LBB135_1194:
	s_delay_alu instid0(SALU_CYCLE_1)
	s_and_b32 vcc_lo, exec_lo, s56
	s_cbranch_vccz .LBB135_1198
; %bb.1195:
	s_cmp_eq_u32 s30, 29
	s_cbranch_scc0 .LBB135_1197
; %bb.1196:
	global_load_b64 v[8:9], v[10:11], off
	s_mov_b32 s31, -1
	s_mov_b32 s29, 0
	s_branch .LBB135_1198
.LBB135_1197:
	s_mov_b32 s29, -1
                                        ; implicit-def: $vgpr8
.LBB135_1198:
	s_mov_b32 s56, 0
.LBB135_1199:
	s_delay_alu instid0(SALU_CYCLE_1)
	s_and_b32 vcc_lo, exec_lo, s56
	s_cbranch_vccz .LBB135_1215
; %bb.1200:
	s_cmp_lt_i32 s30, 27
	s_cbranch_scc1 .LBB135_1203
; %bb.1201:
	s_cmp_gt_i32 s30, 27
	s_cbranch_scc0 .LBB135_1204
; %bb.1202:
	s_wait_loadcnt 0x0
	global_load_b32 v8, v[10:11], off
	s_mov_b32 s31, 0
	s_branch .LBB135_1205
.LBB135_1203:
	s_mov_b32 s31, -1
                                        ; implicit-def: $vgpr8
	s_branch .LBB135_1208
.LBB135_1204:
	s_mov_b32 s31, -1
                                        ; implicit-def: $vgpr8
.LBB135_1205:
	s_delay_alu instid0(SALU_CYCLE_1)
	s_and_not1_b32 vcc_lo, exec_lo, s31
	s_cbranch_vccnz .LBB135_1207
; %bb.1206:
	s_wait_loadcnt 0x0
	global_load_u16 v8, v[10:11], off
.LBB135_1207:
	s_mov_b32 s31, 0
.LBB135_1208:
	s_delay_alu instid0(SALU_CYCLE_1)
	s_and_not1_b32 vcc_lo, exec_lo, s31
	s_cbranch_vccnz .LBB135_1214
; %bb.1209:
	global_load_u8 v1, v[10:11], off
	s_mov_b32 s56, 0
	s_mov_b32 s31, exec_lo
	s_wait_loadcnt 0x0
	v_cmpx_lt_i16_e32 0x7f, v1
	s_xor_b32 s31, exec_lo, s31
	s_cbranch_execz .LBB135_1226
; %bb.1210:
	v_cmp_ne_u16_e32 vcc_lo, 0x80, v1
	s_and_b32 s56, vcc_lo, exec_lo
	s_and_not1_saveexec_b32 s31, s31
	s_cbranch_execnz .LBB135_1227
.LBB135_1211:
	s_or_b32 exec_lo, exec_lo, s31
	v_mov_b32_e32 v8, 0
	s_and_saveexec_b32 s31, s56
	s_cbranch_execz .LBB135_1213
.LBB135_1212:
	v_and_b32_e32 v3, 0xffff, v1
	s_delay_alu instid0(VALU_DEP_1) | instskip(SKIP_1) | instid1(VALU_DEP_2)
	v_dual_lshlrev_b32 v1, 24, v1 :: v_dual_bitop2_b32 v5, 7, v3 bitop3:0x40
	v_bfe_u32 v9, v3, 3, 4
	v_and_b32_e32 v1, 0x80000000, v1
	s_delay_alu instid0(VALU_DEP_3) | instskip(NEXT) | instid1(VALU_DEP_3)
	v_clz_i32_u32_e32 v7, v5
	v_cmp_eq_u32_e32 vcc_lo, 0, v9
	s_delay_alu instid0(VALU_DEP_2) | instskip(NEXT) | instid1(VALU_DEP_1)
	v_min_u32_e32 v7, 32, v7
	v_subrev_nc_u32_e32 v8, 28, v7
	v_sub_nc_u32_e32 v7, 29, v7
	s_delay_alu instid0(VALU_DEP_2) | instskip(NEXT) | instid1(VALU_DEP_2)
	v_lshlrev_b32_e32 v3, v8, v3
	v_cndmask_b32_e32 v7, v9, v7, vcc_lo
	s_delay_alu instid0(VALU_DEP_2) | instskip(NEXT) | instid1(VALU_DEP_1)
	v_and_b32_e32 v3, 7, v3
	v_cndmask_b32_e32 v3, v5, v3, vcc_lo
	s_delay_alu instid0(VALU_DEP_3) | instskip(NEXT) | instid1(VALU_DEP_2)
	v_lshl_add_u32 v5, v7, 23, 0x3b800000
	v_lshlrev_b32_e32 v3, 20, v3
	s_delay_alu instid0(VALU_DEP_1) | instskip(NEXT) | instid1(VALU_DEP_1)
	v_or3_b32 v1, v1, v5, v3
	v_cvt_i32_f32_e32 v8, v1
.LBB135_1213:
	s_or_b32 exec_lo, exec_lo, s31
.LBB135_1214:
	s_mov_b32 s31, -1
.LBB135_1215:
	s_mov_b32 s56, 0
.LBB135_1216:
	s_delay_alu instid0(SALU_CYCLE_1)
	s_and_b32 vcc_lo, exec_lo, s56
	s_cbranch_vccz .LBB135_1249
; %bb.1217:
	s_cmp_gt_i32 s30, 22
	s_cbranch_scc0 .LBB135_1225
; %bb.1218:
	s_cmp_lt_i32 s30, 24
	s_cbranch_scc1 .LBB135_1228
; %bb.1219:
	s_cmp_gt_i32 s30, 24
	s_cbranch_scc0 .LBB135_1229
; %bb.1220:
	global_load_u8 v1, v[10:11], off
	s_mov_b32 s56, 0
	s_mov_b32 s31, exec_lo
	s_wait_loadcnt 0x0
	v_cmpx_lt_i16_e32 0x7f, v1
	s_xor_b32 s31, exec_lo, s31
	s_cbranch_execz .LBB135_1241
; %bb.1221:
	v_cmp_ne_u16_e32 vcc_lo, 0x80, v1
	s_and_b32 s56, vcc_lo, exec_lo
	s_and_not1_saveexec_b32 s31, s31
	s_cbranch_execnz .LBB135_1242
.LBB135_1222:
	s_or_b32 exec_lo, exec_lo, s31
	v_mov_b32_e32 v8, 0
	s_and_saveexec_b32 s31, s56
	s_cbranch_execz .LBB135_1224
.LBB135_1223:
	v_and_b32_e32 v3, 0xffff, v1
	s_delay_alu instid0(VALU_DEP_1) | instskip(SKIP_1) | instid1(VALU_DEP_2)
	v_dual_lshlrev_b32 v1, 24, v1 :: v_dual_bitop2_b32 v5, 3, v3 bitop3:0x40
	v_bfe_u32 v9, v3, 2, 5
	v_and_b32_e32 v1, 0x80000000, v1
	s_delay_alu instid0(VALU_DEP_3) | instskip(NEXT) | instid1(VALU_DEP_3)
	v_clz_i32_u32_e32 v7, v5
	v_cmp_eq_u32_e32 vcc_lo, 0, v9
	s_delay_alu instid0(VALU_DEP_2) | instskip(NEXT) | instid1(VALU_DEP_1)
	v_min_u32_e32 v7, 32, v7
	v_subrev_nc_u32_e32 v8, 29, v7
	v_sub_nc_u32_e32 v7, 30, v7
	s_delay_alu instid0(VALU_DEP_2) | instskip(NEXT) | instid1(VALU_DEP_2)
	v_lshlrev_b32_e32 v3, v8, v3
	v_cndmask_b32_e32 v7, v9, v7, vcc_lo
	s_delay_alu instid0(VALU_DEP_2) | instskip(NEXT) | instid1(VALU_DEP_1)
	v_and_b32_e32 v3, 3, v3
	v_cndmask_b32_e32 v3, v5, v3, vcc_lo
	s_delay_alu instid0(VALU_DEP_3) | instskip(NEXT) | instid1(VALU_DEP_2)
	v_lshl_add_u32 v5, v7, 23, 0x37800000
	v_lshlrev_b32_e32 v3, 21, v3
	s_delay_alu instid0(VALU_DEP_1) | instskip(NEXT) | instid1(VALU_DEP_1)
	v_or3_b32 v1, v1, v5, v3
	v_cvt_i32_f32_e32 v8, v1
.LBB135_1224:
	s_or_b32 exec_lo, exec_lo, s31
	s_mov_b32 s31, 0
	s_branch .LBB135_1230
.LBB135_1225:
	s_mov_b32 s56, -1
                                        ; implicit-def: $vgpr8
	s_branch .LBB135_1236
.LBB135_1226:
	s_and_not1_saveexec_b32 s31, s31
	s_cbranch_execz .LBB135_1211
.LBB135_1227:
	v_cmp_ne_u16_e32 vcc_lo, 0, v1
	s_and_not1_b32 s56, s56, exec_lo
	s_and_b32 s57, vcc_lo, exec_lo
	s_delay_alu instid0(SALU_CYCLE_1)
	s_or_b32 s56, s56, s57
	s_or_b32 exec_lo, exec_lo, s31
	v_mov_b32_e32 v8, 0
	s_and_saveexec_b32 s31, s56
	s_cbranch_execnz .LBB135_1212
	s_branch .LBB135_1213
.LBB135_1228:
	s_mov_b32 s31, -1
                                        ; implicit-def: $vgpr8
	s_branch .LBB135_1233
.LBB135_1229:
	s_mov_b32 s31, -1
                                        ; implicit-def: $vgpr8
.LBB135_1230:
	s_delay_alu instid0(SALU_CYCLE_1)
	s_and_b32 vcc_lo, exec_lo, s31
	s_cbranch_vccz .LBB135_1232
; %bb.1231:
	global_load_u8 v1, v[10:11], off
	s_wait_loadcnt 0x0
	v_lshlrev_b32_e32 v1, 24, v1
	s_delay_alu instid0(VALU_DEP_1) | instskip(NEXT) | instid1(VALU_DEP_1)
	v_and_b32_e32 v3, 0x7f000000, v1
	v_clz_i32_u32_e32 v5, v3
	v_cmp_ne_u32_e32 vcc_lo, 0, v3
	v_add_nc_u32_e32 v8, 0x1000000, v3
	s_delay_alu instid0(VALU_DEP_3) | instskip(NEXT) | instid1(VALU_DEP_1)
	v_min_u32_e32 v5, 32, v5
	v_sub_nc_u32_e64 v5, v5, 4 clamp
	s_delay_alu instid0(VALU_DEP_1) | instskip(NEXT) | instid1(VALU_DEP_1)
	v_dual_lshlrev_b32 v7, v5, v3 :: v_dual_lshlrev_b32 v5, 23, v5
	v_lshrrev_b32_e32 v7, 4, v7
	s_delay_alu instid0(VALU_DEP_1) | instskip(NEXT) | instid1(VALU_DEP_1)
	v_dual_sub_nc_u32 v5, v7, v5 :: v_dual_ashrrev_i32 v7, 8, v8
	v_add_nc_u32_e32 v5, 0x3c000000, v5
	s_delay_alu instid0(VALU_DEP_1) | instskip(NEXT) | instid1(VALU_DEP_1)
	v_and_or_b32 v5, 0x7f800000, v7, v5
	v_cndmask_b32_e32 v3, 0, v5, vcc_lo
	s_delay_alu instid0(VALU_DEP_1) | instskip(NEXT) | instid1(VALU_DEP_1)
	v_and_or_b32 v1, 0x80000000, v1, v3
	v_cvt_i32_f32_e32 v8, v1
.LBB135_1232:
	s_mov_b32 s31, 0
.LBB135_1233:
	s_delay_alu instid0(SALU_CYCLE_1)
	s_and_not1_b32 vcc_lo, exec_lo, s31
	s_cbranch_vccnz .LBB135_1235
; %bb.1234:
	global_load_u8 v1, v[10:11], off
	s_wait_loadcnt 0x0
	v_lshlrev_b32_e32 v3, 25, v1
	v_lshlrev_b16 v1, 8, v1
	s_delay_alu instid0(VALU_DEP_1) | instskip(SKIP_1) | instid1(VALU_DEP_2)
	v_and_or_b32 v7, 0x7f00, v1, 0.5
	v_bfe_i32 v1, v1, 0, 16
	v_add_f32_e32 v7, -0.5, v7
	v_lshrrev_b32_e32 v5, 4, v3
	v_cmp_gt_u32_e32 vcc_lo, 0x8000000, v3
	s_delay_alu instid0(VALU_DEP_2) | instskip(NEXT) | instid1(VALU_DEP_1)
	v_or_b32_e32 v5, 0x70000000, v5
	v_mul_f32_e32 v5, 0x7800000, v5
	s_delay_alu instid0(VALU_DEP_1) | instskip(NEXT) | instid1(VALU_DEP_1)
	v_cndmask_b32_e32 v3, v5, v7, vcc_lo
	v_and_or_b32 v1, 0x80000000, v1, v3
	s_delay_alu instid0(VALU_DEP_1)
	v_cvt_i32_f32_e32 v8, v1
.LBB135_1235:
	s_mov_b32 s56, 0
	s_mov_b32 s31, -1
.LBB135_1236:
	s_and_not1_b32 vcc_lo, exec_lo, s56
	s_cbranch_vccnz .LBB135_1249
; %bb.1237:
	s_cmp_gt_i32 s30, 14
	s_cbranch_scc0 .LBB135_1240
; %bb.1238:
	s_cmp_eq_u32 s30, 15
	s_cbranch_scc0 .LBB135_1243
; %bb.1239:
	global_load_u16 v1, v[10:11], off
	s_mov_b32 s31, -1
	s_mov_b32 s29, 0
	s_wait_loadcnt 0x0
	v_lshlrev_b32_e32 v1, 16, v1
	s_delay_alu instid0(VALU_DEP_1)
	v_cvt_i32_f32_e32 v8, v1
	s_branch .LBB135_1244
.LBB135_1240:
	s_mov_b32 s56, -1
                                        ; implicit-def: $vgpr8
	s_branch .LBB135_1245
.LBB135_1241:
	s_and_not1_saveexec_b32 s31, s31
	s_cbranch_execz .LBB135_1222
.LBB135_1242:
	v_cmp_ne_u16_e32 vcc_lo, 0, v1
	s_and_not1_b32 s56, s56, exec_lo
	s_and_b32 s57, vcc_lo, exec_lo
	s_delay_alu instid0(SALU_CYCLE_1)
	s_or_b32 s56, s56, s57
	s_or_b32 exec_lo, exec_lo, s31
	v_mov_b32_e32 v8, 0
	s_and_saveexec_b32 s31, s56
	s_cbranch_execnz .LBB135_1223
	s_branch .LBB135_1224
.LBB135_1243:
	s_mov_b32 s29, -1
                                        ; implicit-def: $vgpr8
.LBB135_1244:
	s_mov_b32 s56, 0
.LBB135_1245:
	s_delay_alu instid0(SALU_CYCLE_1)
	s_and_b32 vcc_lo, exec_lo, s56
	s_cbranch_vccz .LBB135_1249
; %bb.1246:
	s_cmp_eq_u32 s30, 11
	s_cbranch_scc0 .LBB135_1248
; %bb.1247:
	global_load_u8 v1, v[10:11], off
	s_mov_b32 s29, 0
	s_mov_b32 s31, -1
	s_wait_loadcnt 0x0
	v_cmp_ne_u16_e32 vcc_lo, 0, v1
	v_cndmask_b32_e64 v8, 0, 1, vcc_lo
	s_branch .LBB135_1249
.LBB135_1248:
	s_mov_b32 s29, -1
                                        ; implicit-def: $vgpr8
.LBB135_1249:
	s_mov_b32 s30, 0
.LBB135_1250:
	s_delay_alu instid0(SALU_CYCLE_1)
	s_and_b32 vcc_lo, exec_lo, s30
	s_cbranch_vccz .LBB135_1299
; %bb.1251:
	s_and_b32 s0, 0xffff, s0
	s_delay_alu instid0(SALU_CYCLE_1)
	s_cmp_lt_i32 s0, 5
	s_cbranch_scc1 .LBB135_1256
; %bb.1252:
	s_cmp_lt_i32 s0, 8
	s_cbranch_scc1 .LBB135_1257
; %bb.1253:
	;; [unrolled: 3-line block ×3, first 2 shown]
	s_cmp_gt_i32 s0, 9
	s_cbranch_scc0 .LBB135_1259
; %bb.1255:
	s_wait_loadcnt 0x0
	global_load_b64 v[8:9], v[10:11], off
	s_mov_b32 s30, 0
	s_wait_loadcnt 0x0
	v_cvt_i32_f64_e32 v8, v[8:9]
	s_branch .LBB135_1260
.LBB135_1256:
	s_mov_b32 s30, -1
                                        ; implicit-def: $vgpr8
	s_branch .LBB135_1278
.LBB135_1257:
	s_mov_b32 s30, -1
                                        ; implicit-def: $vgpr8
	s_branch .LBB135_1266
.LBB135_1258:
	s_mov_b32 s30, -1
                                        ; implicit-def: $vgpr8
	s_branch .LBB135_1263
.LBB135_1259:
	s_mov_b32 s30, -1
                                        ; implicit-def: $vgpr8
.LBB135_1260:
	s_delay_alu instid0(SALU_CYCLE_1)
	s_and_not1_b32 vcc_lo, exec_lo, s30
	s_cbranch_vccnz .LBB135_1262
; %bb.1261:
	global_load_b32 v1, v[10:11], off
	s_wait_loadcnt 0x0
	v_cvt_i32_f32_e32 v8, v1
.LBB135_1262:
	s_mov_b32 s30, 0
.LBB135_1263:
	s_delay_alu instid0(SALU_CYCLE_1)
	s_and_not1_b32 vcc_lo, exec_lo, s30
	s_cbranch_vccnz .LBB135_1265
; %bb.1264:
	global_load_b32 v1, v[10:11], off
	s_wait_loadcnt 0x0
	v_cvt_i16_f16_e32 v8, v1
.LBB135_1265:
	s_mov_b32 s30, 0
.LBB135_1266:
	s_delay_alu instid0(SALU_CYCLE_1)
	s_and_not1_b32 vcc_lo, exec_lo, s30
	s_cbranch_vccnz .LBB135_1277
; %bb.1267:
	s_cmp_lt_i32 s0, 6
	s_cbranch_scc1 .LBB135_1270
; %bb.1268:
	s_cmp_gt_i32 s0, 6
	s_cbranch_scc0 .LBB135_1271
; %bb.1269:
	s_wait_loadcnt 0x0
	global_load_b64 v[8:9], v[10:11], off
	s_mov_b32 s30, 0
	s_wait_loadcnt 0x0
	v_cvt_i32_f64_e32 v8, v[8:9]
	s_branch .LBB135_1272
.LBB135_1270:
	s_mov_b32 s30, -1
                                        ; implicit-def: $vgpr8
	s_branch .LBB135_1275
.LBB135_1271:
	s_mov_b32 s30, -1
                                        ; implicit-def: $vgpr8
.LBB135_1272:
	s_delay_alu instid0(SALU_CYCLE_1)
	s_and_not1_b32 vcc_lo, exec_lo, s30
	s_cbranch_vccnz .LBB135_1274
; %bb.1273:
	global_load_b32 v1, v[10:11], off
	s_wait_loadcnt 0x0
	v_cvt_i32_f32_e32 v8, v1
.LBB135_1274:
	s_mov_b32 s30, 0
.LBB135_1275:
	s_delay_alu instid0(SALU_CYCLE_1)
	s_and_not1_b32 vcc_lo, exec_lo, s30
	s_cbranch_vccnz .LBB135_1277
; %bb.1276:
	global_load_u16 v1, v[10:11], off
	s_wait_loadcnt 0x0
	v_cvt_i16_f16_e32 v8, v1
.LBB135_1277:
	s_mov_b32 s30, 0
.LBB135_1278:
	s_delay_alu instid0(SALU_CYCLE_1)
	s_and_not1_b32 vcc_lo, exec_lo, s30
	s_cbranch_vccnz .LBB135_1298
; %bb.1279:
	s_cmp_lt_i32 s0, 2
	s_cbranch_scc1 .LBB135_1283
; %bb.1280:
	s_cmp_lt_i32 s0, 3
	s_cbranch_scc1 .LBB135_1284
; %bb.1281:
	s_cmp_gt_i32 s0, 3
	s_cbranch_scc0 .LBB135_1285
; %bb.1282:
	s_wait_loadcnt 0x0
	global_load_b64 v[8:9], v[10:11], off
	s_mov_b32 s30, 0
	s_branch .LBB135_1286
.LBB135_1283:
	s_mov_b32 s30, -1
                                        ; implicit-def: $vgpr8
	s_branch .LBB135_1292
.LBB135_1284:
	s_mov_b32 s30, -1
                                        ; implicit-def: $vgpr8
	s_branch .LBB135_1289
.LBB135_1285:
	s_mov_b32 s30, -1
                                        ; implicit-def: $vgpr8
.LBB135_1286:
	s_delay_alu instid0(SALU_CYCLE_1)
	s_and_not1_b32 vcc_lo, exec_lo, s30
	s_cbranch_vccnz .LBB135_1288
; %bb.1287:
	s_wait_loadcnt 0x0
	global_load_b32 v8, v[10:11], off
.LBB135_1288:
	s_mov_b32 s30, 0
.LBB135_1289:
	s_delay_alu instid0(SALU_CYCLE_1)
	s_and_not1_b32 vcc_lo, exec_lo, s30
	s_cbranch_vccnz .LBB135_1291
; %bb.1290:
	s_wait_loadcnt 0x0
	global_load_u16 v8, v[10:11], off
.LBB135_1291:
	s_mov_b32 s30, 0
.LBB135_1292:
	s_delay_alu instid0(SALU_CYCLE_1)
	s_and_not1_b32 vcc_lo, exec_lo, s30
	s_cbranch_vccnz .LBB135_1298
; %bb.1293:
	s_cmp_gt_i32 s0, 0
	s_mov_b32 s0, 0
	s_cbranch_scc0 .LBB135_1295
; %bb.1294:
	s_wait_loadcnt 0x0
	global_load_i8 v8, v[10:11], off
	s_branch .LBB135_1296
.LBB135_1295:
	s_mov_b32 s0, -1
                                        ; implicit-def: $vgpr8
.LBB135_1296:
	s_delay_alu instid0(SALU_CYCLE_1)
	s_and_not1_b32 vcc_lo, exec_lo, s0
	s_cbranch_vccnz .LBB135_1298
; %bb.1297:
	s_wait_loadcnt 0x0
	global_load_u8 v8, v[10:11], off
.LBB135_1298:
	s_mov_b32 s31, -1
.LBB135_1299:
	s_delay_alu instid0(SALU_CYCLE_1)
	s_and_not1_b32 vcc_lo, exec_lo, s31
	s_cbranch_vccnz .LBB135_1307
; %bb.1300:
	v_mov_b32_e32 v7, 0
	s_and_b32 s0, 0xffff, s21
	s_delay_alu instid0(SALU_CYCLE_1) | instskip(NEXT) | instid1(VALU_DEP_1)
	s_cmp_lt_i32 s0, 11
	v_add_nc_u64_e32 v[6:7], s[10:11], v[6:7]
	s_cbranch_scc1 .LBB135_1308
; %bb.1301:
	s_cmp_gt_i32 s0, 25
	s_cbranch_scc0 .LBB135_1309
; %bb.1302:
	s_cmp_gt_i32 s0, 28
	s_cbranch_scc0 .LBB135_1310
	;; [unrolled: 3-line block ×4, first 2 shown]
; %bb.1305:
	s_cmp_eq_u32 s0, 46
	s_mov_b32 s56, 0
	s_cbranch_scc0 .LBB135_1315
; %bb.1306:
	global_load_b32 v1, v[6:7], off
	s_mov_b32 s31, -1
	s_mov_b32 s30, 0
	s_wait_loadcnt 0x0
	v_lshlrev_b32_e32 v1, 16, v1
	s_wait_xcnt 0x1
	s_delay_alu instid0(VALU_DEP_1)
	v_cvt_i32_f32_e32 v10, v1
	s_branch .LBB135_1317
.LBB135_1307:
	s_mov_b32 s31, 0
	s_mov_b32 s0, s51
	;; [unrolled: 1-line block ×3, first 2 shown]
	s_branch .LBB135_1552
.LBB135_1308:
	s_mov_b32 s56, -1
	s_mov_b32 s31, 0
	s_mov_b32 s30, s52
                                        ; implicit-def: $vgpr10
	s_branch .LBB135_1378
.LBB135_1309:
	s_mov_b32 s56, -1
	s_mov_b32 s31, 0
	s_mov_b32 s30, s52
                                        ; implicit-def: $vgpr10
	s_branch .LBB135_1344
.LBB135_1310:
	s_mov_b32 s56, -1
	s_mov_b32 s31, 0
	s_mov_b32 s30, s52
                                        ; implicit-def: $vgpr10
	s_branch .LBB135_1327
.LBB135_1311:
	s_mov_b32 s56, -1
	s_mov_b32 s31, 0
	s_mov_b32 s30, s52
                                        ; implicit-def: $vgpr10
	s_branch .LBB135_1322
.LBB135_1312:
	s_mov_b32 s56, -1
	s_mov_b32 s31, 0
	s_mov_b32 s30, s52
	s_branch .LBB135_1316
.LBB135_1313:
	s_and_not1_saveexec_b32 s53, s53
	s_cbranch_execz .LBB135_954
.LBB135_1314:
	v_add_f32_e64 v5, 0x42800000, |v4|
	s_and_not1_b32 s52, s52, exec_lo
	s_delay_alu instid0(VALU_DEP_1) | instskip(NEXT) | instid1(VALU_DEP_1)
	v_and_b32_e32 v5, 0xff, v5
	v_cmp_ne_u32_e32 vcc_lo, 0, v5
	s_and_b32 s55, vcc_lo, exec_lo
	s_delay_alu instid0(SALU_CYCLE_1)
	s_or_b32 s52, s52, s55
	s_or_b32 exec_lo, exec_lo, s53
	v_mov_b32_e32 v6, 0
	s_and_saveexec_b32 s53, s52
	s_cbranch_execnz .LBB135_955
	s_branch .LBB135_956
.LBB135_1315:
	s_mov_b32 s30, -1
	s_mov_b32 s31, 0
.LBB135_1316:
                                        ; implicit-def: $vgpr10
.LBB135_1317:
	s_and_b32 vcc_lo, exec_lo, s56
	s_cbranch_vccz .LBB135_1321
; %bb.1318:
	s_cmp_eq_u32 s0, 44
	s_cbranch_scc0 .LBB135_1320
; %bb.1319:
	global_load_u8 v1, v[6:7], off
	s_mov_b32 s30, 0
	s_mov_b32 s31, -1
	s_wait_loadcnt 0x0
	v_lshlrev_b32_e32 v3, 23, v1
	v_cmp_ne_u32_e32 vcc_lo, 0, v1
	s_delay_alu instid0(VALU_DEP_2) | instskip(SKIP_1) | instid1(VALU_DEP_1)
	v_cvt_i32_f32_e32 v3, v3
	s_wait_xcnt 0x1
	v_cndmask_b32_e32 v10, 0, v3, vcc_lo
	s_branch .LBB135_1321
.LBB135_1320:
	s_mov_b32 s30, -1
                                        ; implicit-def: $vgpr10
.LBB135_1321:
	s_mov_b32 s56, 0
.LBB135_1322:
	s_delay_alu instid0(SALU_CYCLE_1)
	s_and_b32 vcc_lo, exec_lo, s56
	s_cbranch_vccz .LBB135_1326
; %bb.1323:
	s_cmp_eq_u32 s0, 29
	s_cbranch_scc0 .LBB135_1325
; %bb.1324:
	global_load_b64 v[10:11], v[6:7], off
	s_mov_b32 s31, -1
	s_mov_b32 s30, 0
	s_branch .LBB135_1326
.LBB135_1325:
	s_mov_b32 s30, -1
                                        ; implicit-def: $vgpr10
.LBB135_1326:
	s_mov_b32 s56, 0
.LBB135_1327:
	s_delay_alu instid0(SALU_CYCLE_1)
	s_and_b32 vcc_lo, exec_lo, s56
	s_cbranch_vccz .LBB135_1343
; %bb.1328:
	s_cmp_lt_i32 s0, 27
	s_cbranch_scc1 .LBB135_1331
; %bb.1329:
	s_cmp_gt_i32 s0, 27
	s_cbranch_scc0 .LBB135_1332
; %bb.1330:
	s_wait_loadcnt 0x0
	global_load_b32 v10, v[6:7], off
	s_mov_b32 s31, 0
	s_branch .LBB135_1333
.LBB135_1331:
	s_mov_b32 s31, -1
                                        ; implicit-def: $vgpr10
	s_branch .LBB135_1336
.LBB135_1332:
	s_mov_b32 s31, -1
                                        ; implicit-def: $vgpr10
.LBB135_1333:
	s_delay_alu instid0(SALU_CYCLE_1)
	s_and_not1_b32 vcc_lo, exec_lo, s31
	s_cbranch_vccnz .LBB135_1335
; %bb.1334:
	s_wait_loadcnt 0x0
	global_load_u16 v10, v[6:7], off
.LBB135_1335:
	s_mov_b32 s31, 0
.LBB135_1336:
	s_delay_alu instid0(SALU_CYCLE_1)
	s_and_not1_b32 vcc_lo, exec_lo, s31
	s_cbranch_vccnz .LBB135_1342
; %bb.1337:
	global_load_u8 v1, v[6:7], off
	s_mov_b32 s56, 0
	s_mov_b32 s31, exec_lo
	s_wait_loadcnt 0x0
	v_cmpx_lt_i16_e32 0x7f, v1
	s_xor_b32 s31, exec_lo, s31
	s_cbranch_execz .LBB135_1354
; %bb.1338:
	v_cmp_ne_u16_e32 vcc_lo, 0x80, v1
	s_and_b32 s56, vcc_lo, exec_lo
	s_and_not1_saveexec_b32 s31, s31
	s_cbranch_execnz .LBB135_1355
.LBB135_1339:
	s_or_b32 exec_lo, exec_lo, s31
	v_mov_b32_e32 v10, 0
	s_and_saveexec_b32 s31, s56
	s_cbranch_execz .LBB135_1341
.LBB135_1340:
	v_and_b32_e32 v3, 0xffff, v1
	s_delay_alu instid0(VALU_DEP_1) | instskip(SKIP_1) | instid1(VALU_DEP_2)
	v_and_b32_e32 v5, 7, v3
	v_bfe_u32 v11, v3, 3, 4
	v_clz_i32_u32_e32 v9, v5
	s_delay_alu instid0(VALU_DEP_2) | instskip(NEXT) | instid1(VALU_DEP_2)
	v_cmp_eq_u32_e32 vcc_lo, 0, v11
	v_min_u32_e32 v9, 32, v9
	s_delay_alu instid0(VALU_DEP_1) | instskip(NEXT) | instid1(VALU_DEP_1)
	v_subrev_nc_u32_e32 v10, 28, v9
	v_dual_lshlrev_b32 v3, v10, v3 :: v_dual_sub_nc_u32 v9, 29, v9
	s_delay_alu instid0(VALU_DEP_1) | instskip(NEXT) | instid1(VALU_DEP_1)
	v_dual_lshlrev_b32 v1, 24, v1 :: v_dual_bitop2_b32 v3, 7, v3 bitop3:0x40
	v_dual_cndmask_b32 v3, v5, v3, vcc_lo :: v_dual_cndmask_b32 v9, v11, v9, vcc_lo
	s_delay_alu instid0(VALU_DEP_2) | instskip(NEXT) | instid1(VALU_DEP_2)
	v_and_b32_e32 v1, 0x80000000, v1
	v_lshlrev_b32_e32 v3, 20, v3
	s_delay_alu instid0(VALU_DEP_3) | instskip(NEXT) | instid1(VALU_DEP_1)
	v_lshl_add_u32 v5, v9, 23, 0x3b800000
	v_or3_b32 v1, v1, v5, v3
	s_delay_alu instid0(VALU_DEP_1)
	v_cvt_i32_f32_e32 v10, v1
.LBB135_1341:
	s_or_b32 exec_lo, exec_lo, s31
.LBB135_1342:
	s_mov_b32 s31, -1
.LBB135_1343:
	s_mov_b32 s56, 0
.LBB135_1344:
	s_delay_alu instid0(SALU_CYCLE_1)
	s_and_b32 vcc_lo, exec_lo, s56
	s_cbranch_vccz .LBB135_1377
; %bb.1345:
	s_cmp_gt_i32 s0, 22
	s_cbranch_scc0 .LBB135_1353
; %bb.1346:
	s_cmp_lt_i32 s0, 24
	s_cbranch_scc1 .LBB135_1356
; %bb.1347:
	s_cmp_gt_i32 s0, 24
	s_cbranch_scc0 .LBB135_1357
; %bb.1348:
	global_load_u8 v1, v[6:7], off
	s_mov_b32 s56, 0
	s_mov_b32 s31, exec_lo
	s_wait_loadcnt 0x0
	v_cmpx_lt_i16_e32 0x7f, v1
	s_xor_b32 s31, exec_lo, s31
	s_cbranch_execz .LBB135_1369
; %bb.1349:
	v_cmp_ne_u16_e32 vcc_lo, 0x80, v1
	s_and_b32 s56, vcc_lo, exec_lo
	s_and_not1_saveexec_b32 s31, s31
	s_cbranch_execnz .LBB135_1370
.LBB135_1350:
	s_or_b32 exec_lo, exec_lo, s31
	v_mov_b32_e32 v10, 0
	s_and_saveexec_b32 s31, s56
	s_cbranch_execz .LBB135_1352
.LBB135_1351:
	v_and_b32_e32 v3, 0xffff, v1
	s_delay_alu instid0(VALU_DEP_1) | instskip(SKIP_1) | instid1(VALU_DEP_2)
	v_and_b32_e32 v5, 3, v3
	v_bfe_u32 v11, v3, 2, 5
	v_clz_i32_u32_e32 v9, v5
	s_delay_alu instid0(VALU_DEP_2) | instskip(NEXT) | instid1(VALU_DEP_2)
	v_cmp_eq_u32_e32 vcc_lo, 0, v11
	v_min_u32_e32 v9, 32, v9
	s_delay_alu instid0(VALU_DEP_1) | instskip(NEXT) | instid1(VALU_DEP_1)
	v_subrev_nc_u32_e32 v10, 29, v9
	v_dual_lshlrev_b32 v3, v10, v3 :: v_dual_sub_nc_u32 v9, 30, v9
	s_delay_alu instid0(VALU_DEP_1) | instskip(NEXT) | instid1(VALU_DEP_1)
	v_dual_lshlrev_b32 v1, 24, v1 :: v_dual_bitop2_b32 v3, 3, v3 bitop3:0x40
	v_dual_cndmask_b32 v3, v5, v3, vcc_lo :: v_dual_cndmask_b32 v9, v11, v9, vcc_lo
	s_delay_alu instid0(VALU_DEP_2) | instskip(NEXT) | instid1(VALU_DEP_2)
	v_and_b32_e32 v1, 0x80000000, v1
	v_lshlrev_b32_e32 v3, 21, v3
	s_delay_alu instid0(VALU_DEP_3) | instskip(NEXT) | instid1(VALU_DEP_1)
	v_lshl_add_u32 v5, v9, 23, 0x37800000
	v_or3_b32 v1, v1, v5, v3
	s_delay_alu instid0(VALU_DEP_1)
	v_cvt_i32_f32_e32 v10, v1
.LBB135_1352:
	s_or_b32 exec_lo, exec_lo, s31
	s_mov_b32 s31, 0
	s_branch .LBB135_1358
.LBB135_1353:
	s_mov_b32 s56, -1
                                        ; implicit-def: $vgpr10
	s_branch .LBB135_1364
.LBB135_1354:
	s_and_not1_saveexec_b32 s31, s31
	s_cbranch_execz .LBB135_1339
.LBB135_1355:
	v_cmp_ne_u16_e32 vcc_lo, 0, v1
	s_and_not1_b32 s56, s56, exec_lo
	s_and_b32 s57, vcc_lo, exec_lo
	s_delay_alu instid0(SALU_CYCLE_1)
	s_or_b32 s56, s56, s57
	s_or_b32 exec_lo, exec_lo, s31
	v_mov_b32_e32 v10, 0
	s_and_saveexec_b32 s31, s56
	s_cbranch_execnz .LBB135_1340
	s_branch .LBB135_1341
.LBB135_1356:
	s_mov_b32 s31, -1
                                        ; implicit-def: $vgpr10
	s_branch .LBB135_1361
.LBB135_1357:
	s_mov_b32 s31, -1
                                        ; implicit-def: $vgpr10
.LBB135_1358:
	s_delay_alu instid0(SALU_CYCLE_1)
	s_and_b32 vcc_lo, exec_lo, s31
	s_cbranch_vccz .LBB135_1360
; %bb.1359:
	global_load_u8 v1, v[6:7], off
	s_wait_loadcnt 0x0
	v_lshlrev_b32_e32 v1, 24, v1
	s_delay_alu instid0(VALU_DEP_1) | instskip(NEXT) | instid1(VALU_DEP_1)
	v_and_b32_e32 v3, 0x7f000000, v1
	v_clz_i32_u32_e32 v5, v3
	v_cmp_ne_u32_e32 vcc_lo, 0, v3
	s_wait_xcnt 0x1
	v_add_nc_u32_e32 v10, 0x1000000, v3
	s_delay_alu instid0(VALU_DEP_3) | instskip(NEXT) | instid1(VALU_DEP_1)
	v_min_u32_e32 v5, 32, v5
	v_sub_nc_u32_e64 v5, v5, 4 clamp
	s_delay_alu instid0(VALU_DEP_1) | instskip(NEXT) | instid1(VALU_DEP_1)
	v_dual_lshlrev_b32 v9, v5, v3 :: v_dual_lshlrev_b32 v5, 23, v5
	v_lshrrev_b32_e32 v9, 4, v9
	s_delay_alu instid0(VALU_DEP_1) | instskip(NEXT) | instid1(VALU_DEP_1)
	v_dual_sub_nc_u32 v5, v9, v5 :: v_dual_ashrrev_i32 v9, 8, v10
	v_add_nc_u32_e32 v5, 0x3c000000, v5
	s_delay_alu instid0(VALU_DEP_1) | instskip(NEXT) | instid1(VALU_DEP_1)
	v_and_or_b32 v5, 0x7f800000, v9, v5
	v_cndmask_b32_e32 v3, 0, v5, vcc_lo
	s_delay_alu instid0(VALU_DEP_1) | instskip(NEXT) | instid1(VALU_DEP_1)
	v_and_or_b32 v1, 0x80000000, v1, v3
	v_cvt_i32_f32_e32 v10, v1
.LBB135_1360:
	s_mov_b32 s31, 0
.LBB135_1361:
	s_delay_alu instid0(SALU_CYCLE_1)
	s_and_not1_b32 vcc_lo, exec_lo, s31
	s_cbranch_vccnz .LBB135_1363
; %bb.1362:
	global_load_u8 v1, v[6:7], off
	s_wait_loadcnt 0x0
	v_lshlrev_b32_e32 v3, 25, v1
	v_lshlrev_b16 v1, 8, v1
	s_delay_alu instid0(VALU_DEP_2) | instskip(NEXT) | instid1(VALU_DEP_2)
	v_cmp_gt_u32_e32 vcc_lo, 0x8000000, v3
	v_and_or_b32 v9, 0x7f00, v1, 0.5
	v_lshrrev_b32_e32 v5, 4, v3
	v_bfe_i32 v1, v1, 0, 16
	s_delay_alu instid0(VALU_DEP_3) | instskip(NEXT) | instid1(VALU_DEP_3)
	v_add_f32_e32 v9, -0.5, v9
	v_or_b32_e32 v5, 0x70000000, v5
	s_delay_alu instid0(VALU_DEP_1) | instskip(NEXT) | instid1(VALU_DEP_1)
	v_mul_f32_e32 v5, 0x7800000, v5
	v_cndmask_b32_e32 v3, v5, v9, vcc_lo
	s_delay_alu instid0(VALU_DEP_1) | instskip(SKIP_1) | instid1(VALU_DEP_1)
	v_and_or_b32 v1, 0x80000000, v1, v3
	s_wait_xcnt 0x1
	v_cvt_i32_f32_e32 v10, v1
.LBB135_1363:
	s_mov_b32 s56, 0
	s_mov_b32 s31, -1
.LBB135_1364:
	s_and_not1_b32 vcc_lo, exec_lo, s56
	s_cbranch_vccnz .LBB135_1377
; %bb.1365:
	s_cmp_gt_i32 s0, 14
	s_cbranch_scc0 .LBB135_1368
; %bb.1366:
	s_cmp_eq_u32 s0, 15
	s_cbranch_scc0 .LBB135_1371
; %bb.1367:
	global_load_u16 v1, v[6:7], off
	s_mov_b32 s31, -1
	s_mov_b32 s30, 0
	s_wait_loadcnt 0x0
	v_lshlrev_b32_e32 v1, 16, v1
	s_wait_xcnt 0x1
	s_delay_alu instid0(VALU_DEP_1)
	v_cvt_i32_f32_e32 v10, v1
	s_branch .LBB135_1372
.LBB135_1368:
	s_mov_b32 s56, -1
                                        ; implicit-def: $vgpr10
	s_branch .LBB135_1373
.LBB135_1369:
	s_and_not1_saveexec_b32 s31, s31
	s_cbranch_execz .LBB135_1350
.LBB135_1370:
	v_cmp_ne_u16_e32 vcc_lo, 0, v1
	s_and_not1_b32 s56, s56, exec_lo
	s_and_b32 s57, vcc_lo, exec_lo
	s_delay_alu instid0(SALU_CYCLE_1)
	s_or_b32 s56, s56, s57
	s_or_b32 exec_lo, exec_lo, s31
	v_mov_b32_e32 v10, 0
	s_and_saveexec_b32 s31, s56
	s_cbranch_execnz .LBB135_1351
	s_branch .LBB135_1352
.LBB135_1371:
	s_mov_b32 s30, -1
                                        ; implicit-def: $vgpr10
.LBB135_1372:
	s_mov_b32 s56, 0
.LBB135_1373:
	s_delay_alu instid0(SALU_CYCLE_1)
	s_and_b32 vcc_lo, exec_lo, s56
	s_cbranch_vccz .LBB135_1377
; %bb.1374:
	s_cmp_eq_u32 s0, 11
	s_cbranch_scc0 .LBB135_1376
; %bb.1375:
	global_load_u8 v1, v[6:7], off
	s_mov_b32 s30, 0
	s_mov_b32 s31, -1
	s_wait_loadcnt 0x0
	v_cmp_ne_u16_e32 vcc_lo, 0, v1
	s_wait_xcnt 0x1
	v_cndmask_b32_e64 v10, 0, 1, vcc_lo
	s_branch .LBB135_1377
.LBB135_1376:
	s_mov_b32 s30, -1
                                        ; implicit-def: $vgpr10
.LBB135_1377:
	s_mov_b32 s56, 0
.LBB135_1378:
	s_delay_alu instid0(SALU_CYCLE_1)
	s_and_b32 vcc_lo, exec_lo, s56
	s_cbranch_vccz .LBB135_1427
; %bb.1379:
	s_cmp_lt_i32 s0, 5
	s_cbranch_scc1 .LBB135_1384
; %bb.1380:
	s_cmp_lt_i32 s0, 8
	s_cbranch_scc1 .LBB135_1385
	;; [unrolled: 3-line block ×3, first 2 shown]
; %bb.1382:
	s_cmp_gt_i32 s0, 9
	s_cbranch_scc0 .LBB135_1387
; %bb.1383:
	s_wait_loadcnt 0x0
	global_load_b64 v[10:11], v[6:7], off
	s_mov_b32 s31, 0
	s_wait_loadcnt 0x0
	v_cvt_i32_f64_e32 v10, v[10:11]
	s_branch .LBB135_1388
.LBB135_1384:
	s_mov_b32 s31, -1
                                        ; implicit-def: $vgpr10
	s_branch .LBB135_1406
.LBB135_1385:
	s_mov_b32 s31, -1
                                        ; implicit-def: $vgpr10
	s_branch .LBB135_1394
.LBB135_1386:
	s_mov_b32 s31, -1
                                        ; implicit-def: $vgpr10
	s_branch .LBB135_1391
.LBB135_1387:
	s_mov_b32 s31, -1
                                        ; implicit-def: $vgpr10
.LBB135_1388:
	s_delay_alu instid0(SALU_CYCLE_1)
	s_and_not1_b32 vcc_lo, exec_lo, s31
	s_cbranch_vccnz .LBB135_1390
; %bb.1389:
	global_load_b32 v1, v[6:7], off
	s_wait_loadcnt 0x0
	s_wait_xcnt 0x1
	v_cvt_i32_f32_e32 v10, v1
.LBB135_1390:
	s_mov_b32 s31, 0
.LBB135_1391:
	s_delay_alu instid0(SALU_CYCLE_1)
	s_and_not1_b32 vcc_lo, exec_lo, s31
	s_cbranch_vccnz .LBB135_1393
; %bb.1392:
	global_load_b32 v1, v[6:7], off
	s_wait_loadcnt 0x0
	s_wait_xcnt 0x1
	v_cvt_i16_f16_e32 v10, v1
.LBB135_1393:
	s_mov_b32 s31, 0
.LBB135_1394:
	s_delay_alu instid0(SALU_CYCLE_1)
	s_and_not1_b32 vcc_lo, exec_lo, s31
	s_cbranch_vccnz .LBB135_1405
; %bb.1395:
	s_cmp_lt_i32 s0, 6
	s_cbranch_scc1 .LBB135_1398
; %bb.1396:
	s_cmp_gt_i32 s0, 6
	s_cbranch_scc0 .LBB135_1399
; %bb.1397:
	s_wait_loadcnt 0x0
	global_load_b64 v[10:11], v[6:7], off
	s_mov_b32 s31, 0
	s_wait_loadcnt 0x0
	v_cvt_i32_f64_e32 v10, v[10:11]
	s_branch .LBB135_1400
.LBB135_1398:
	s_mov_b32 s31, -1
                                        ; implicit-def: $vgpr10
	s_branch .LBB135_1403
.LBB135_1399:
	s_mov_b32 s31, -1
                                        ; implicit-def: $vgpr10
.LBB135_1400:
	s_delay_alu instid0(SALU_CYCLE_1)
	s_and_not1_b32 vcc_lo, exec_lo, s31
	s_cbranch_vccnz .LBB135_1402
; %bb.1401:
	global_load_b32 v1, v[6:7], off
	s_wait_loadcnt 0x0
	s_wait_xcnt 0x1
	v_cvt_i32_f32_e32 v10, v1
.LBB135_1402:
	s_mov_b32 s31, 0
.LBB135_1403:
	s_delay_alu instid0(SALU_CYCLE_1)
	s_and_not1_b32 vcc_lo, exec_lo, s31
	s_cbranch_vccnz .LBB135_1405
; %bb.1404:
	global_load_u16 v1, v[6:7], off
	s_wait_loadcnt 0x0
	s_wait_xcnt 0x1
	v_cvt_i16_f16_e32 v10, v1
.LBB135_1405:
	s_mov_b32 s31, 0
.LBB135_1406:
	s_delay_alu instid0(SALU_CYCLE_1)
	s_and_not1_b32 vcc_lo, exec_lo, s31
	s_cbranch_vccnz .LBB135_1426
; %bb.1407:
	s_cmp_lt_i32 s0, 2
	s_cbranch_scc1 .LBB135_1411
; %bb.1408:
	s_cmp_lt_i32 s0, 3
	s_cbranch_scc1 .LBB135_1412
; %bb.1409:
	s_cmp_gt_i32 s0, 3
	s_cbranch_scc0 .LBB135_1413
; %bb.1410:
	s_wait_loadcnt 0x0
	global_load_b64 v[10:11], v[6:7], off
	s_mov_b32 s31, 0
	s_branch .LBB135_1414
.LBB135_1411:
	s_mov_b32 s31, -1
                                        ; implicit-def: $vgpr10
	s_branch .LBB135_1420
.LBB135_1412:
	s_mov_b32 s31, -1
                                        ; implicit-def: $vgpr10
	s_branch .LBB135_1417
.LBB135_1413:
	s_mov_b32 s31, -1
                                        ; implicit-def: $vgpr10
.LBB135_1414:
	s_delay_alu instid0(SALU_CYCLE_1)
	s_and_not1_b32 vcc_lo, exec_lo, s31
	s_cbranch_vccnz .LBB135_1416
; %bb.1415:
	s_wait_loadcnt 0x0
	global_load_b32 v10, v[6:7], off
.LBB135_1416:
	s_mov_b32 s31, 0
.LBB135_1417:
	s_delay_alu instid0(SALU_CYCLE_1)
	s_and_not1_b32 vcc_lo, exec_lo, s31
	s_cbranch_vccnz .LBB135_1419
; %bb.1418:
	s_wait_loadcnt 0x0
	global_load_u16 v10, v[6:7], off
.LBB135_1419:
	s_mov_b32 s31, 0
.LBB135_1420:
	s_delay_alu instid0(SALU_CYCLE_1)
	s_and_not1_b32 vcc_lo, exec_lo, s31
	s_cbranch_vccnz .LBB135_1426
; %bb.1421:
	s_cmp_gt_i32 s0, 0
	s_mov_b32 s0, 0
	s_cbranch_scc0 .LBB135_1423
; %bb.1422:
	s_wait_loadcnt 0x0
	global_load_i8 v10, v[6:7], off
	s_branch .LBB135_1424
.LBB135_1423:
	s_mov_b32 s0, -1
                                        ; implicit-def: $vgpr10
.LBB135_1424:
	s_delay_alu instid0(SALU_CYCLE_1)
	s_and_not1_b32 vcc_lo, exec_lo, s0
	s_cbranch_vccnz .LBB135_1426
; %bb.1425:
	s_wait_loadcnt 0x0
	global_load_u8 v10, v[6:7], off
.LBB135_1426:
	s_mov_b32 s31, -1
.LBB135_1427:
	s_delay_alu instid0(SALU_CYCLE_1)
	s_and_not1_b32 vcc_lo, exec_lo, s31
	s_cbranch_vccnz .LBB135_1435
; %bb.1428:
	v_mov_b32_e32 v3, 0
	s_wait_loadcnt 0x0
	s_delay_alu instid0(VALU_DEP_4) | instskip(SKIP_1) | instid1(SALU_CYCLE_1)
	v_max_i16 v1, v4, v8
	s_and_b32 s31, s38, 0xff
	s_cmp_lt_i32 s31, 11
	v_add_nc_u64_e32 v[2:3], s[4:5], v[2:3]
	s_delay_alu instid0(VALU_DEP_2)
	v_min_i16 v1, v1, v10
	s_cbranch_scc1 .LBB135_1436
; %bb.1429:
	s_and_b32 s56, 0xffff, s31
	s_delay_alu instid0(SALU_CYCLE_1)
	s_cmp_gt_i32 s56, 25
	s_cbranch_scc0 .LBB135_1437
; %bb.1430:
	s_cmp_gt_i32 s56, 28
	s_cbranch_scc0 .LBB135_1438
; %bb.1431:
	;; [unrolled: 3-line block ×4, first 2 shown]
	s_mov_b32 s58, 0
	s_mov_b32 s0, -1
	s_cmp_eq_u32 s56, 46
	s_mov_b32 s57, 0
	s_cbranch_scc0 .LBB135_1441
; %bb.1434:
	v_bfe_i32 v4, v1, 0, 16
	s_mov_b32 s57, -1
	s_mov_b32 s0, 0
	s_delay_alu instid0(VALU_DEP_1) | instskip(NEXT) | instid1(VALU_DEP_1)
	v_cvt_f32_i32_e32 v4, v4
	v_bfe_u32 v5, v4, 16, 1
	s_delay_alu instid0(VALU_DEP_1) | instskip(NEXT) | instid1(VALU_DEP_1)
	v_add3_u32 v4, v4, v5, 0x7fff
	v_lshrrev_b32_e32 v4, 16, v4
	global_store_b32 v[2:3], v4, off
	s_branch .LBB135_1441
.LBB135_1435:
	s_mov_b32 s31, 0
	s_mov_b32 s0, s51
	s_branch .LBB135_1552
.LBB135_1436:
	s_mov_b32 s56, -1
	s_mov_b32 s57, 0
	s_mov_b32 s0, s51
	s_branch .LBB135_1510
.LBB135_1437:
	s_mov_b32 s58, -1
	s_mov_b32 s57, 0
	s_mov_b32 s0, s51
	s_branch .LBB135_1468
.LBB135_1438:
	s_mov_b32 s58, -1
	s_mov_b32 s57, 0
	s_mov_b32 s0, s51
	s_branch .LBB135_1451
.LBB135_1439:
	s_mov_b32 s58, -1
	s_mov_b32 s57, 0
	s_mov_b32 s0, s51
	s_branch .LBB135_1447
.LBB135_1440:
	s_mov_b32 s58, -1
	s_mov_b32 s57, 0
	s_mov_b32 s0, s51
.LBB135_1441:
	s_and_b32 vcc_lo, exec_lo, s58
	s_cbranch_vccz .LBB135_1446
; %bb.1442:
	s_cmp_eq_u32 s56, 44
	s_mov_b32 s0, -1
	s_cbranch_scc0 .LBB135_1446
; %bb.1443:
	s_wait_xcnt 0x0
	v_bfe_i32 v4, v1, 0, 16
	v_mov_b32_e32 v5, 0xff
	s_mov_b32 s57, exec_lo
	s_delay_alu instid0(VALU_DEP_2) | instskip(NEXT) | instid1(VALU_DEP_1)
	v_cvt_f32_i32_e32 v4, v4
	v_bfe_u32 v6, v4, 23, 8
	s_delay_alu instid0(VALU_DEP_1)
	v_cmpx_ne_u32_e32 0xff, v6
	s_cbranch_execz .LBB135_1445
; %bb.1444:
	v_and_b32_e32 v5, 0x400000, v4
	v_and_or_b32 v6, 0x3fffff, v4, v6
	v_lshrrev_b32_e32 v4, 23, v4
	s_delay_alu instid0(VALU_DEP_3) | instskip(NEXT) | instid1(VALU_DEP_3)
	v_cmp_ne_u32_e32 vcc_lo, 0, v5
	v_cmp_ne_u32_e64 s0, 0, v6
	s_and_b32 s0, vcc_lo, s0
	s_delay_alu instid0(SALU_CYCLE_1) | instskip(NEXT) | instid1(VALU_DEP_1)
	v_cndmask_b32_e64 v5, 0, 1, s0
	v_add_nc_u32_e32 v5, v4, v5
.LBB135_1445:
	s_or_b32 exec_lo, exec_lo, s57
	s_mov_b32 s57, -1
	s_mov_b32 s0, 0
	global_store_b8 v[2:3], v5, off
.LBB135_1446:
	s_mov_b32 s58, 0
.LBB135_1447:
	s_delay_alu instid0(SALU_CYCLE_1)
	s_and_b32 vcc_lo, exec_lo, s58
	s_cbranch_vccz .LBB135_1450
; %bb.1448:
	s_cmp_eq_u32 s56, 29
	s_mov_b32 s0, -1
	s_cbranch_scc0 .LBB135_1450
; %bb.1449:
	s_wait_xcnt 0x0
	v_bfe_i32 v4, v1, 0, 16
	s_mov_b32 s0, 0
	s_mov_b32 s57, -1
	s_mov_b32 s58, 0
	s_delay_alu instid0(VALU_DEP_1)
	v_ashrrev_i32_e32 v5, 31, v4
	global_store_b64 v[2:3], v[4:5], off
	s_branch .LBB135_1451
.LBB135_1450:
	s_mov_b32 s58, 0
.LBB135_1451:
	s_delay_alu instid0(SALU_CYCLE_1)
	s_and_b32 vcc_lo, exec_lo, s58
	s_cbranch_vccz .LBB135_1467
; %bb.1452:
	s_cmp_lt_i32 s56, 27
	s_mov_b32 s57, -1
	s_cbranch_scc1 .LBB135_1458
; %bb.1453:
	s_cmp_gt_i32 s56, 27
	s_cbranch_scc0 .LBB135_1455
; %bb.1454:
	s_wait_xcnt 0x0
	v_bfe_i32 v4, v1, 0, 16
	s_mov_b32 s57, 0
	global_store_b32 v[2:3], v4, off
.LBB135_1455:
	s_and_not1_b32 vcc_lo, exec_lo, s57
	s_cbranch_vccnz .LBB135_1457
; %bb.1456:
	global_store_b16 v[2:3], v1, off
.LBB135_1457:
	s_mov_b32 s57, 0
.LBB135_1458:
	s_delay_alu instid0(SALU_CYCLE_1)
	s_and_not1_b32 vcc_lo, exec_lo, s57
	s_cbranch_vccnz .LBB135_1466
; %bb.1459:
	s_wait_xcnt 0x0
	v_bfe_i32 v4, v1, 0, 16
	v_mov_b32_e32 v6, 0x80
	s_mov_b32 s57, exec_lo
	s_delay_alu instid0(VALU_DEP_2) | instskip(NEXT) | instid1(VALU_DEP_1)
	v_cvt_f32_i32_e32 v4, v4
	v_and_b32_e32 v5, 0x7fffffff, v4
	s_delay_alu instid0(VALU_DEP_1)
	v_cmpx_gt_u32_e32 0x43800000, v5
	s_cbranch_execz .LBB135_1465
; %bb.1460:
	v_cmp_lt_u32_e32 vcc_lo, 0x3bffffff, v5
	s_mov_b32 s58, 0
                                        ; implicit-def: $vgpr5
	s_and_saveexec_b32 s59, vcc_lo
	s_delay_alu instid0(SALU_CYCLE_1)
	s_xor_b32 s59, exec_lo, s59
	s_cbranch_execz .LBB135_2745
; %bb.1461:
	v_bfe_u32 v5, v4, 20, 1
	s_mov_b32 s58, exec_lo
	s_delay_alu instid0(VALU_DEP_1) | instskip(NEXT) | instid1(VALU_DEP_1)
	v_add3_u32 v5, v4, v5, 0x487ffff
	v_lshrrev_b32_e32 v5, 20, v5
	s_and_not1_saveexec_b32 s59, s59
	s_cbranch_execnz .LBB135_2746
.LBB135_1462:
	s_or_b32 exec_lo, exec_lo, s59
	v_mov_b32_e32 v6, 0
	s_and_saveexec_b32 s59, s58
.LBB135_1463:
	v_lshrrev_b32_e32 v4, 24, v4
	s_delay_alu instid0(VALU_DEP_1)
	v_and_or_b32 v6, 0x80, v4, v5
.LBB135_1464:
	s_or_b32 exec_lo, exec_lo, s59
.LBB135_1465:
	s_delay_alu instid0(SALU_CYCLE_1)
	s_or_b32 exec_lo, exec_lo, s57
	global_store_b8 v[2:3], v6, off
.LBB135_1466:
	s_mov_b32 s57, -1
.LBB135_1467:
	s_mov_b32 s58, 0
.LBB135_1468:
	s_delay_alu instid0(SALU_CYCLE_1)
	s_and_b32 vcc_lo, exec_lo, s58
	s_cbranch_vccz .LBB135_1509
; %bb.1469:
	s_cmp_gt_i32 s56, 22
	s_mov_b32 s58, -1
	s_cbranch_scc0 .LBB135_1501
; %bb.1470:
	s_cmp_lt_i32 s56, 24
	s_mov_b32 s57, -1
	s_cbranch_scc1 .LBB135_1490
; %bb.1471:
	s_cmp_gt_i32 s56, 24
	s_cbranch_scc0 .LBB135_1479
; %bb.1472:
	s_wait_xcnt 0x0
	v_bfe_i32 v4, v1, 0, 16
	v_mov_b32_e32 v6, 0x80
	s_mov_b32 s57, exec_lo
	s_delay_alu instid0(VALU_DEP_2) | instskip(NEXT) | instid1(VALU_DEP_1)
	v_cvt_f32_i32_e32 v4, v4
	v_and_b32_e32 v5, 0x7fffffff, v4
	s_delay_alu instid0(VALU_DEP_1)
	v_cmpx_gt_u32_e32 0x47800000, v5
	s_cbranch_execz .LBB135_1478
; %bb.1473:
	v_cmp_lt_u32_e32 vcc_lo, 0x37ffffff, v5
	s_mov_b32 s58, 0
                                        ; implicit-def: $vgpr5
	s_and_saveexec_b32 s59, vcc_lo
	s_delay_alu instid0(SALU_CYCLE_1)
	s_xor_b32 s59, exec_lo, s59
	s_cbranch_execz .LBB135_2874
; %bb.1474:
	v_bfe_u32 v5, v4, 21, 1
	s_mov_b32 s58, exec_lo
	s_delay_alu instid0(VALU_DEP_1) | instskip(NEXT) | instid1(VALU_DEP_1)
	v_add3_u32 v5, v4, v5, 0x88fffff
	v_lshrrev_b32_e32 v5, 21, v5
	s_and_not1_saveexec_b32 s59, s59
	s_cbranch_execnz .LBB135_2875
.LBB135_1475:
	s_or_b32 exec_lo, exec_lo, s59
	v_mov_b32_e32 v6, 0
	s_and_saveexec_b32 s59, s58
.LBB135_1476:
	v_lshrrev_b32_e32 v4, 24, v4
	s_delay_alu instid0(VALU_DEP_1)
	v_and_or_b32 v6, 0x80, v4, v5
.LBB135_1477:
	s_or_b32 exec_lo, exec_lo, s59
.LBB135_1478:
	s_delay_alu instid0(SALU_CYCLE_1)
	s_or_b32 exec_lo, exec_lo, s57
	s_mov_b32 s57, 0
	global_store_b8 v[2:3], v6, off
.LBB135_1479:
	s_and_b32 vcc_lo, exec_lo, s57
	s_cbranch_vccz .LBB135_1489
; %bb.1480:
	s_wait_xcnt 0x0
	v_bfe_i32 v4, v1, 0, 16
	s_mov_b32 s57, exec_lo
                                        ; implicit-def: $vgpr5
	s_delay_alu instid0(VALU_DEP_1) | instskip(NEXT) | instid1(VALU_DEP_1)
	v_cvt_f32_i32_e32 v4, v4
	v_and_b32_e32 v6, 0x7fffffff, v4
	s_delay_alu instid0(VALU_DEP_1)
	v_cmpx_gt_u32_e32 0x43f00000, v6
	s_xor_b32 s57, exec_lo, s57
	s_cbranch_execz .LBB135_1486
; %bb.1481:
	s_mov_b32 s58, exec_lo
                                        ; implicit-def: $vgpr5
	v_cmpx_lt_u32_e32 0x3c7fffff, v6
	s_xor_b32 s58, exec_lo, s58
; %bb.1482:
	v_bfe_u32 v5, v4, 20, 1
	s_delay_alu instid0(VALU_DEP_1) | instskip(NEXT) | instid1(VALU_DEP_1)
	v_add3_u32 v5, v4, v5, 0x407ffff
	v_and_b32_e32 v6, 0xff00000, v5
	v_lshrrev_b32_e32 v5, 20, v5
	s_delay_alu instid0(VALU_DEP_2) | instskip(NEXT) | instid1(VALU_DEP_2)
	v_cmp_ne_u32_e32 vcc_lo, 0x7f00000, v6
	v_cndmask_b32_e32 v5, 0x7e, v5, vcc_lo
; %bb.1483:
	s_and_not1_saveexec_b32 s58, s58
; %bb.1484:
	v_add_f32_e64 v5, 0x46800000, |v4|
; %bb.1485:
	s_or_b32 exec_lo, exec_lo, s58
                                        ; implicit-def: $vgpr6
.LBB135_1486:
	s_and_not1_saveexec_b32 s57, s57
; %bb.1487:
	v_mov_b32_e32 v5, 0x7f
	v_cmp_lt_u32_e32 vcc_lo, 0x7f800000, v6
	s_delay_alu instid0(VALU_DEP_2)
	v_cndmask_b32_e32 v5, 0x7e, v5, vcc_lo
; %bb.1488:
	s_or_b32 exec_lo, exec_lo, s57
	v_lshrrev_b32_e32 v4, 24, v4
	s_delay_alu instid0(VALU_DEP_1)
	v_and_or_b32 v4, 0x80, v4, v5
	global_store_b8 v[2:3], v4, off
.LBB135_1489:
	s_mov_b32 s57, 0
.LBB135_1490:
	s_delay_alu instid0(SALU_CYCLE_1)
	s_and_not1_b32 vcc_lo, exec_lo, s57
	s_cbranch_vccnz .LBB135_1500
; %bb.1491:
	s_wait_xcnt 0x0
	v_bfe_i32 v4, v1, 0, 16
	s_mov_b32 s57, exec_lo
                                        ; implicit-def: $vgpr5
	s_delay_alu instid0(VALU_DEP_1) | instskip(NEXT) | instid1(VALU_DEP_1)
	v_cvt_f32_i32_e32 v4, v4
	v_and_b32_e32 v6, 0x7fffffff, v4
	s_delay_alu instid0(VALU_DEP_1)
	v_cmpx_gt_u32_e32 0x47800000, v6
	s_xor_b32 s57, exec_lo, s57
	s_cbranch_execz .LBB135_1497
; %bb.1492:
	s_mov_b32 s58, exec_lo
                                        ; implicit-def: $vgpr5
	v_cmpx_lt_u32_e32 0x387fffff, v6
	s_xor_b32 s58, exec_lo, s58
; %bb.1493:
	v_bfe_u32 v5, v4, 21, 1
	s_delay_alu instid0(VALU_DEP_1) | instskip(NEXT) | instid1(VALU_DEP_1)
	v_add3_u32 v5, v4, v5, 0x80fffff
	v_lshrrev_b32_e32 v5, 21, v5
; %bb.1494:
	s_and_not1_saveexec_b32 s58, s58
; %bb.1495:
	v_add_f32_e64 v5, 0x43000000, |v4|
; %bb.1496:
	s_or_b32 exec_lo, exec_lo, s58
                                        ; implicit-def: $vgpr6
.LBB135_1497:
	s_and_not1_saveexec_b32 s57, s57
; %bb.1498:
	v_mov_b32_e32 v5, 0x7f
	v_cmp_lt_u32_e32 vcc_lo, 0x7f800000, v6
	s_delay_alu instid0(VALU_DEP_2)
	v_cndmask_b32_e32 v5, 0x7c, v5, vcc_lo
; %bb.1499:
	s_or_b32 exec_lo, exec_lo, s57
	v_lshrrev_b32_e32 v4, 24, v4
	s_delay_alu instid0(VALU_DEP_1)
	v_and_or_b32 v4, 0x80, v4, v5
	global_store_b8 v[2:3], v4, off
.LBB135_1500:
	s_mov_b32 s58, 0
	s_mov_b32 s57, -1
.LBB135_1501:
	s_and_not1_b32 vcc_lo, exec_lo, s58
	s_cbranch_vccnz .LBB135_1509
; %bb.1502:
	s_cmp_gt_i32 s56, 14
	s_mov_b32 s58, -1
	s_cbranch_scc0 .LBB135_1506
; %bb.1503:
	s_cmp_eq_u32 s56, 15
	s_mov_b32 s0, -1
	s_cbranch_scc0 .LBB135_1505
; %bb.1504:
	s_wait_xcnt 0x0
	v_bfe_i32 v4, v1, 0, 16
	s_mov_b32 s57, -1
	s_mov_b32 s0, 0
	s_delay_alu instid0(VALU_DEP_1) | instskip(NEXT) | instid1(VALU_DEP_1)
	v_cvt_f32_i32_e32 v4, v4
	v_bfe_u32 v5, v4, 16, 1
	s_delay_alu instid0(VALU_DEP_1)
	v_add3_u32 v4, v4, v5, 0x7fff
	global_store_d16_hi_b16 v[2:3], v4, off
.LBB135_1505:
	s_mov_b32 s58, 0
.LBB135_1506:
	s_delay_alu instid0(SALU_CYCLE_1)
	s_and_b32 vcc_lo, exec_lo, s58
	s_cbranch_vccz .LBB135_1509
; %bb.1507:
	s_cmp_eq_u32 s56, 11
	s_mov_b32 s0, -1
	s_cbranch_scc0 .LBB135_1509
; %bb.1508:
	v_cmp_ne_u16_e32 vcc_lo, 0, v1
	s_mov_b32 s0, 0
	s_mov_b32 s57, -1
	s_wait_xcnt 0x0
	v_cndmask_b32_e64 v4, 0, 1, vcc_lo
	global_store_b8 v[2:3], v4, off
.LBB135_1509:
	s_mov_b32 s56, 0
.LBB135_1510:
	s_delay_alu instid0(SALU_CYCLE_1)
	s_and_b32 vcc_lo, exec_lo, s56
	s_cbranch_vccz .LBB135_1549
; %bb.1511:
	s_and_b32 s31, 0xffff, s31
	s_mov_b32 s56, -1
	s_cmp_lt_i32 s31, 5
	s_cbranch_scc1 .LBB135_1532
; %bb.1512:
	s_cmp_lt_i32 s31, 8
	s_cbranch_scc1 .LBB135_1522
; %bb.1513:
	s_cmp_lt_i32 s31, 9
	s_cbranch_scc1 .LBB135_1519
; %bb.1514:
	s_cmp_gt_i32 s31, 9
	s_cbranch_scc0 .LBB135_1516
; %bb.1515:
	s_wait_xcnt 0x0
	v_bfe_i32 v4, v1, 0, 16
	v_mov_b32_e32 v6, 0
	s_mov_b32 s56, 0
	s_delay_alu instid0(VALU_DEP_2) | instskip(NEXT) | instid1(VALU_DEP_2)
	v_cvt_f64_i32_e32 v[4:5], v4
	v_mov_b32_e32 v7, v6
	global_store_b128 v[2:3], v[4:7], off
.LBB135_1516:
	s_and_not1_b32 vcc_lo, exec_lo, s56
	s_cbranch_vccnz .LBB135_1518
; %bb.1517:
	s_wait_xcnt 0x0
	v_bfe_i32 v4, v1, 0, 16
	v_mov_b32_e32 v5, 0
	s_delay_alu instid0(VALU_DEP_2)
	v_cvt_f32_i32_e32 v4, v4
	global_store_b64 v[2:3], v[4:5], off
.LBB135_1518:
	s_mov_b32 s56, 0
.LBB135_1519:
	s_delay_alu instid0(SALU_CYCLE_1)
	s_and_not1_b32 vcc_lo, exec_lo, s56
	s_cbranch_vccnz .LBB135_1521
; %bb.1520:
	s_wait_xcnt 0x0
	v_cvt_f16_i16_e32 v4, v1
	s_delay_alu instid0(VALU_DEP_1)
	v_and_b32_e32 v4, 0xffff, v4
	global_store_b32 v[2:3], v4, off
.LBB135_1521:
	s_mov_b32 s56, 0
.LBB135_1522:
	s_delay_alu instid0(SALU_CYCLE_1)
	s_and_not1_b32 vcc_lo, exec_lo, s56
	s_cbranch_vccnz .LBB135_1531
; %bb.1523:
	s_cmp_lt_i32 s31, 6
	s_mov_b32 s56, -1
	s_cbranch_scc1 .LBB135_1529
; %bb.1524:
	s_cmp_gt_i32 s31, 6
	s_cbranch_scc0 .LBB135_1526
; %bb.1525:
	s_wait_xcnt 0x0
	v_bfe_i32 v4, v1, 0, 16
	s_mov_b32 s56, 0
	s_delay_alu instid0(VALU_DEP_1)
	v_cvt_f64_i32_e32 v[4:5], v4
	global_store_b64 v[2:3], v[4:5], off
.LBB135_1526:
	s_and_not1_b32 vcc_lo, exec_lo, s56
	s_cbranch_vccnz .LBB135_1528
; %bb.1527:
	s_wait_xcnt 0x0
	v_bfe_i32 v4, v1, 0, 16
	s_delay_alu instid0(VALU_DEP_1)
	v_cvt_f32_i32_e32 v4, v4
	global_store_b32 v[2:3], v4, off
.LBB135_1528:
	s_mov_b32 s56, 0
.LBB135_1529:
	s_delay_alu instid0(SALU_CYCLE_1)
	s_and_not1_b32 vcc_lo, exec_lo, s56
	s_cbranch_vccnz .LBB135_1531
; %bb.1530:
	s_wait_xcnt 0x0
	v_cvt_f16_i16_e32 v4, v1
	global_store_b16 v[2:3], v4, off
.LBB135_1531:
	s_mov_b32 s56, 0
.LBB135_1532:
	s_delay_alu instid0(SALU_CYCLE_1)
	s_and_not1_b32 vcc_lo, exec_lo, s56
	s_cbranch_vccnz .LBB135_1548
; %bb.1533:
	s_cmp_lt_i32 s31, 2
	s_mov_b32 s56, -1
	s_cbranch_scc1 .LBB135_1543
; %bb.1534:
	s_cmp_lt_i32 s31, 3
	s_cbranch_scc1 .LBB135_1540
; %bb.1535:
	s_cmp_gt_i32 s31, 3
	s_cbranch_scc0 .LBB135_1537
; %bb.1536:
	s_wait_xcnt 0x0
	v_bfe_i32 v4, v1, 0, 16
	s_mov_b32 s56, 0
	s_delay_alu instid0(VALU_DEP_1)
	v_ashrrev_i32_e32 v5, 31, v4
	global_store_b64 v[2:3], v[4:5], off
.LBB135_1537:
	s_and_not1_b32 vcc_lo, exec_lo, s56
	s_cbranch_vccnz .LBB135_1539
; %bb.1538:
	s_wait_xcnt 0x0
	v_bfe_i32 v4, v1, 0, 16
	global_store_b32 v[2:3], v4, off
.LBB135_1539:
	s_mov_b32 s56, 0
.LBB135_1540:
	s_delay_alu instid0(SALU_CYCLE_1)
	s_and_not1_b32 vcc_lo, exec_lo, s56
	s_cbranch_vccnz .LBB135_1542
; %bb.1541:
	global_store_b16 v[2:3], v1, off
.LBB135_1542:
	s_mov_b32 s56, 0
.LBB135_1543:
	s_delay_alu instid0(SALU_CYCLE_1)
	s_and_not1_b32 vcc_lo, exec_lo, s56
	s_cbranch_vccnz .LBB135_1548
; %bb.1544:
	s_cmp_gt_i32 s31, 0
	s_mov_b32 s31, -1
	s_cbranch_scc0 .LBB135_1546
; %bb.1545:
	s_mov_b32 s31, 0
	global_store_b8 v[2:3], v1, off
.LBB135_1546:
	s_and_not1_b32 vcc_lo, exec_lo, s31
	s_cbranch_vccnz .LBB135_1548
; %bb.1547:
	global_store_b8 v[2:3], v1, off
.LBB135_1548:
	s_mov_b32 s57, -1
.LBB135_1549:
	s_delay_alu instid0(SALU_CYCLE_1)
	s_and_not1_b32 vcc_lo, exec_lo, s57
	s_cbranch_vccnz .LBB135_1551
; %bb.1550:
	v_add_nc_u32_e32 v0, 0x80, v0
	s_mov_b32 s31, -1
	s_branch .LBB135_1553
.LBB135_1551:
	s_mov_b32 s31, 0
.LBB135_1552:
                                        ; implicit-def: $vgpr0
.LBB135_1553:
	s_and_not1_b32 s56, s51, exec_lo
	s_and_b32 s0, s0, exec_lo
	s_and_not1_b32 s57, s52, exec_lo
	s_and_b32 s30, s30, exec_lo
	s_or_b32 s59, s56, s0
	s_or_b32 s57, s57, s30
	s_and_not1_b32 s0, s53, exec_lo
	s_and_b32 s29, s29, exec_lo
	s_and_not1_b32 s30, s50, exec_lo
	s_and_b32 s28, s28, exec_lo
	s_or_b32 s58, s0, s29
	s_or_b32 s56, s30, s28
	s_or_not1_b32 s31, s31, exec_lo
.LBB135_1554:
	s_wait_xcnt 0x0
	s_or_b32 exec_lo, exec_lo, s55
	s_mov_b32 s29, 0
	s_mov_b32 s30, 0
	s_mov_b32 s28, 0
                                        ; implicit-def: $sgpr0
                                        ; implicit-def: $vgpr10_vgpr11
                                        ; implicit-def: $vgpr2
                                        ; implicit-def: $vgpr6
                                        ; implicit-def: $vgpr8
                                        ; implicit-def: $vgpr4
	s_and_saveexec_b32 s55, s31
	s_cbranch_execz .LBB135_1643
; %bb.1555:
	v_cmp_gt_i32_e32 vcc_lo, s44, v0
	s_mov_b32 s31, s56
                                        ; implicit-def: $sgpr0
                                        ; implicit-def: $vgpr10_vgpr11
                                        ; implicit-def: $vgpr2
                                        ; implicit-def: $vgpr6
                                        ; implicit-def: $vgpr8
                                        ; implicit-def: $vgpr4
	s_and_saveexec_b32 s44, vcc_lo
	s_cbranch_execz .LBB135_1642
; %bb.1556:
	s_and_not1_b32 vcc_lo, exec_lo, s36
	s_cbranch_vccnz .LBB135_1562
; %bb.1557:
	s_and_not1_b32 vcc_lo, exec_lo, s45
	s_cbranch_vccnz .LBB135_1563
; %bb.1558:
	s_wait_loadcnt 0x0
	v_dual_mov_b32 v8, 0 :: v_dual_mov_b32 v1, v0
	v_dual_mov_b32 v6, 0 :: v_dual_mov_b32 v2, 0
	v_mov_b32_e32 v4, 0
	s_add_co_i32 s0, s43, 1
	s_mov_b64 s[28:29], 0xffffffffffffffe0
	s_and_b32 s0, s0, 30
	s_add_nc_u64 s[28:29], s[2:3], s[28:29]
	s_mov_b64 s[30:31], s[2:3]
.LBB135_1559:                           ; =>This Inner Loop Header: Depth=1
	s_clause 0x1
	s_load_b128 s[68:71], s[30:31], 0x4
	s_load_b64 s[72:73], s[30:31], 0x14
	s_load_b256 s[60:67], s[28:29], 0xe4
	s_add_co_i32 s0, s0, -2
	s_wait_xcnt 0x0
	s_add_nc_u64 s[30:31], s[30:31], 24
	s_cmp_eq_u32 s0, 0
	s_add_nc_u64 s[28:29], s[28:29], 32
	s_wait_kmcnt 0x0
	v_mul_hi_u32 v3, s69, v1
	s_delay_alu instid0(VALU_DEP_1) | instskip(NEXT) | instid1(VALU_DEP_1)
	v_add_nc_u32_e32 v3, v1, v3
	v_lshrrev_b32_e32 v3, s70, v3
	s_delay_alu instid0(VALU_DEP_1) | instskip(SKIP_1) | instid1(VALU_DEP_1)
	v_mul_hi_u32 v5, s72, v3
	v_mul_lo_u32 v7, v3, s68
	v_dual_add_nc_u32 v5, v3, v5 :: v_dual_sub_nc_u32 v7, v1, v7
	s_delay_alu instid0(VALU_DEP_1) | instskip(NEXT) | instid1(VALU_DEP_2)
	v_lshrrev_b32_e32 v1, s73, v5
	v_mad_u32 v4, v7, s61, v4
	v_mad_u32 v2, v7, s60, v2
	;; [unrolled: 1-line block ×4, first 2 shown]
	v_mul_lo_u32 v5, v1, s71
	s_delay_alu instid0(VALU_DEP_1) | instskip(NEXT) | instid1(VALU_DEP_1)
	v_sub_nc_u32_e32 v3, v3, v5
	v_mad_u32 v4, v3, s65, v4
	v_mad_u32 v2, v3, s64, v2
	;; [unrolled: 1-line block ×4, first 2 shown]
	s_cbranch_scc0 .LBB135_1559
; %bb.1560:
	s_bitcmp1_b32 s43, 0
	s_cselect_b32 s0, -1, 0
	s_delay_alu instid0(SALU_CYCLE_1)
	s_and_b32 vcc_lo, exec_lo, s0
	s_cbranch_vccnz .LBB135_1564
; %bb.1561:
	s_load_b96 s[64:66], s[30:31], 0x4
	s_load_b128 s[60:63], s[28:29], 0xe4
	s_wait_kmcnt 0x0
	v_mul_hi_u32 v3, s65, v1
	s_delay_alu instid0(VALU_DEP_1) | instskip(NEXT) | instid1(VALU_DEP_1)
	v_add_nc_u32_e32 v3, v1, v3
	v_lshrrev_b32_e32 v3, s66, v3
	s_delay_alu instid0(VALU_DEP_1) | instskip(NEXT) | instid1(VALU_DEP_1)
	v_mul_lo_u32 v3, v3, s64
	v_sub_nc_u32_e32 v1, v1, v3
	s_delay_alu instid0(VALU_DEP_1)
	v_mad_u32 v2, v1, s60, v2
	v_mad_u32 v4, v1, s61, v4
	;; [unrolled: 1-line block ×4, first 2 shown]
	s_branch .LBB135_1564
.LBB135_1562:
	s_mov_b32 s0, -1
                                        ; implicit-def: $vgpr4
                                        ; implicit-def: $vgpr2
                                        ; implicit-def: $vgpr6
                                        ; implicit-def: $vgpr8
	s_branch .LBB135_1565
.LBB135_1563:
	s_wait_loadcnt 0x0
	v_dual_mov_b32 v4, 0 :: v_dual_mov_b32 v2, 0
	v_dual_mov_b32 v6, 0 :: v_dual_mov_b32 v8, 0
.LBB135_1564:
	s_mov_b32 s0, 0
.LBB135_1565:
	s_delay_alu instid0(SALU_CYCLE_1)
	s_and_not1_b32 vcc_lo, exec_lo, s0
	s_cbranch_vccnz .LBB135_1568
; %bb.1566:
	v_mov_b32_e32 v1, 0
	s_and_not1_b32 vcc_lo, exec_lo, s41
	s_delay_alu instid0(VALU_DEP_1) | instskip(NEXT) | instid1(VALU_DEP_1)
	v_mul_u64_e32 v[2:3], s[24:25], v[0:1]
	v_add_nc_u32_e32 v2, v0, v3
	s_wait_loadcnt 0x0
	s_delay_alu instid0(VALU_DEP_1) | instskip(NEXT) | instid1(VALU_DEP_1)
	v_lshrrev_b32_e32 v10, s22, v2
	v_mul_lo_u32 v2, v10, s20
	s_delay_alu instid0(VALU_DEP_1) | instskip(NEXT) | instid1(VALU_DEP_1)
	v_sub_nc_u32_e32 v0, v0, v2
	v_mul_lo_u32 v4, v0, s13
	v_mul_lo_u32 v2, v0, s12
	;; [unrolled: 1-line block ×4, first 2 shown]
	s_cbranch_vccnz .LBB135_1568
; %bb.1567:
	v_mov_b32_e32 v11, v1
	s_delay_alu instid0(VALU_DEP_1) | instskip(NEXT) | instid1(VALU_DEP_1)
	v_mul_u64_e32 v[0:1], s[26:27], v[10:11]
	v_add_nc_u32_e32 v0, v10, v1
	s_delay_alu instid0(VALU_DEP_1) | instskip(NEXT) | instid1(VALU_DEP_1)
	v_lshrrev_b32_e32 v0, s1, v0
	v_mul_lo_u32 v0, v0, s23
	s_delay_alu instid0(VALU_DEP_1) | instskip(NEXT) | instid1(VALU_DEP_1)
	v_sub_nc_u32_e32 v0, v10, v0
	v_mad_u32 v2, v0, s16, v2
	v_mad_u32 v4, v0, s17, v4
	;; [unrolled: 1-line block ×4, first 2 shown]
.LBB135_1568:
	s_wait_loadcnt 0x0
	v_mov_b32_e32 v5, 0
	s_and_b32 s0, s40, 0xff
	s_delay_alu instid0(SALU_CYCLE_1) | instskip(NEXT) | instid1(VALU_DEP_1)
	s_cmp_lt_i32 s0, 11
	v_add_nc_u64_e32 v[10:11], s[6:7], v[4:5]
	s_cbranch_scc1 .LBB135_1575
; %bb.1569:
	s_and_b32 s1, 0xffff, s0
	s_mov_b32 s7, 0
	s_cmp_gt_i32 s1, 25
	s_cbranch_scc0 .LBB135_1576
; %bb.1570:
	s_cmp_gt_i32 s1, 28
	s_cbranch_scc0 .LBB135_1577
; %bb.1571:
	;; [unrolled: 3-line block ×4, first 2 shown]
	s_cmp_eq_u32 s1, 46
	s_mov_b32 s13, 0
	s_cbranch_scc0 .LBB135_1580
; %bb.1574:
	global_load_b32 v0, v[10:11], off
	s_mov_b32 s6, 0
	s_mov_b32 s12, -1
	s_wait_loadcnt 0x0
	v_lshlrev_b32_e32 v0, 16, v0
	s_delay_alu instid0(VALU_DEP_1)
	v_cvt_i32_f32_e32 v4, v0
	s_branch .LBB135_1582
.LBB135_1575:
	s_mov_b32 s1, -1
	s_mov_b32 s12, 0
	s_mov_b32 s7, 0
	;; [unrolled: 1-line block ×3, first 2 shown]
                                        ; implicit-def: $vgpr4
	s_branch .LBB135_1641
.LBB135_1576:
	s_mov_b32 s13, -1
	s_mov_b32 s12, 0
	s_mov_b32 s6, s56
                                        ; implicit-def: $vgpr4
	s_branch .LBB135_1609
.LBB135_1577:
	s_mov_b32 s13, -1
	s_mov_b32 s12, 0
	s_mov_b32 s6, s56
                                        ; implicit-def: $vgpr4
	s_branch .LBB135_1592
.LBB135_1578:
	s_mov_b32 s13, -1
	s_mov_b32 s12, 0
	s_mov_b32 s6, s56
                                        ; implicit-def: $vgpr4
	s_branch .LBB135_1587
.LBB135_1579:
	s_mov_b32 s13, -1
	s_mov_b32 s12, 0
	s_mov_b32 s6, s56
	s_branch .LBB135_1581
.LBB135_1580:
	s_mov_b32 s6, -1
	s_mov_b32 s12, 0
.LBB135_1581:
                                        ; implicit-def: $vgpr4
.LBB135_1582:
	s_and_b32 vcc_lo, exec_lo, s13
	s_cbranch_vccz .LBB135_1586
; %bb.1583:
	s_cmp_eq_u32 s1, 44
	s_cbranch_scc0 .LBB135_1585
; %bb.1584:
	global_load_u8 v0, v[10:11], off
	s_mov_b32 s6, 0
	s_mov_b32 s12, -1
	s_wait_loadcnt 0x0
	v_lshlrev_b32_e32 v1, 23, v0
	v_cmp_ne_u32_e32 vcc_lo, 0, v0
	s_delay_alu instid0(VALU_DEP_2) | instskip(NEXT) | instid1(VALU_DEP_1)
	v_cvt_i32_f32_e32 v1, v1
	v_cndmask_b32_e32 v4, 0, v1, vcc_lo
	s_branch .LBB135_1586
.LBB135_1585:
	s_mov_b32 s6, -1
                                        ; implicit-def: $vgpr4
.LBB135_1586:
	s_mov_b32 s13, 0
.LBB135_1587:
	s_delay_alu instid0(SALU_CYCLE_1)
	s_and_b32 vcc_lo, exec_lo, s13
	s_cbranch_vccz .LBB135_1591
; %bb.1588:
	s_cmp_eq_u32 s1, 29
	s_cbranch_scc0 .LBB135_1590
; %bb.1589:
	global_load_b64 v[4:5], v[10:11], off
	s_mov_b32 s6, 0
	s_mov_b32 s12, -1
	s_branch .LBB135_1591
.LBB135_1590:
	s_mov_b32 s6, -1
                                        ; implicit-def: $vgpr4
.LBB135_1591:
	s_mov_b32 s13, 0
.LBB135_1592:
	s_delay_alu instid0(SALU_CYCLE_1)
	s_and_b32 vcc_lo, exec_lo, s13
	s_cbranch_vccz .LBB135_1608
; %bb.1593:
	s_cmp_lt_i32 s1, 27
	s_cbranch_scc1 .LBB135_1596
; %bb.1594:
	s_cmp_gt_i32 s1, 27
	s_cbranch_scc0 .LBB135_1597
; %bb.1595:
	s_wait_loadcnt 0x0
	global_load_b32 v4, v[10:11], off
	s_mov_b32 s12, 0
	s_branch .LBB135_1598
.LBB135_1596:
	s_mov_b32 s12, -1
                                        ; implicit-def: $vgpr4
	s_branch .LBB135_1601
.LBB135_1597:
	s_mov_b32 s12, -1
                                        ; implicit-def: $vgpr4
.LBB135_1598:
	s_delay_alu instid0(SALU_CYCLE_1)
	s_and_not1_b32 vcc_lo, exec_lo, s12
	s_cbranch_vccnz .LBB135_1600
; %bb.1599:
	s_wait_loadcnt 0x0
	global_load_u16 v4, v[10:11], off
.LBB135_1600:
	s_mov_b32 s12, 0
.LBB135_1601:
	s_delay_alu instid0(SALU_CYCLE_1)
	s_and_not1_b32 vcc_lo, exec_lo, s12
	s_cbranch_vccnz .LBB135_1607
; %bb.1602:
	global_load_u8 v0, v[10:11], off
	s_mov_b32 s13, 0
	s_mov_b32 s12, exec_lo
	s_wait_loadcnt 0x0
	v_cmpx_lt_i16_e32 0x7f, v0
	s_xor_b32 s12, exec_lo, s12
	s_cbranch_execz .LBB135_1619
; %bb.1603:
	v_cmp_ne_u16_e32 vcc_lo, 0x80, v0
	s_and_b32 s13, vcc_lo, exec_lo
	s_and_not1_saveexec_b32 s12, s12
	s_cbranch_execnz .LBB135_1620
.LBB135_1604:
	s_or_b32 exec_lo, exec_lo, s12
	v_mov_b32_e32 v4, 0
	s_and_saveexec_b32 s12, s13
	s_cbranch_execz .LBB135_1606
.LBB135_1605:
	v_and_b32_e32 v1, 0xffff, v0
	s_delay_alu instid0(VALU_DEP_1) | instskip(SKIP_1) | instid1(VALU_DEP_2)
	v_and_b32_e32 v3, 7, v1
	v_bfe_u32 v7, v1, 3, 4
	v_clz_i32_u32_e32 v4, v3
	s_delay_alu instid0(VALU_DEP_2) | instskip(NEXT) | instid1(VALU_DEP_2)
	v_cmp_eq_u32_e32 vcc_lo, 0, v7
	v_min_u32_e32 v4, 32, v4
	s_delay_alu instid0(VALU_DEP_1) | instskip(NEXT) | instid1(VALU_DEP_1)
	v_subrev_nc_u32_e32 v5, 28, v4
	v_dual_lshlrev_b32 v1, v5, v1 :: v_dual_sub_nc_u32 v4, 29, v4
	s_delay_alu instid0(VALU_DEP_1) | instskip(NEXT) | instid1(VALU_DEP_1)
	v_dual_lshlrev_b32 v0, 24, v0 :: v_dual_bitop2_b32 v1, 7, v1 bitop3:0x40
	v_cndmask_b32_e32 v1, v3, v1, vcc_lo
	s_delay_alu instid0(VALU_DEP_3) | instskip(NEXT) | instid1(VALU_DEP_3)
	v_cndmask_b32_e32 v4, v7, v4, vcc_lo
	v_and_b32_e32 v0, 0x80000000, v0
	s_delay_alu instid0(VALU_DEP_3) | instskip(NEXT) | instid1(VALU_DEP_3)
	v_lshlrev_b32_e32 v1, 20, v1
	v_lshl_add_u32 v3, v4, 23, 0x3b800000
	s_delay_alu instid0(VALU_DEP_1) | instskip(NEXT) | instid1(VALU_DEP_1)
	v_or3_b32 v0, v0, v3, v1
	v_cvt_i32_f32_e32 v4, v0
.LBB135_1606:
	s_or_b32 exec_lo, exec_lo, s12
.LBB135_1607:
	s_mov_b32 s12, -1
.LBB135_1608:
	s_mov_b32 s13, 0
.LBB135_1609:
	s_delay_alu instid0(SALU_CYCLE_1)
	s_and_b32 vcc_lo, exec_lo, s13
	s_cbranch_vccz .LBB135_1640
; %bb.1610:
	s_cmp_gt_i32 s1, 22
	s_cbranch_scc0 .LBB135_1618
; %bb.1611:
	s_cmp_lt_i32 s1, 24
	s_cbranch_scc1 .LBB135_1621
; %bb.1612:
	s_cmp_gt_i32 s1, 24
	s_cbranch_scc0 .LBB135_1622
; %bb.1613:
	global_load_u8 v0, v[10:11], off
	s_mov_b32 s12, 0
	s_mov_b32 s7, exec_lo
	s_wait_loadcnt 0x0
	v_cmpx_lt_i16_e32 0x7f, v0
	s_xor_b32 s7, exec_lo, s7
	s_cbranch_execz .LBB135_1634
; %bb.1614:
	v_cmp_ne_u16_e32 vcc_lo, 0x80, v0
	s_and_b32 s12, vcc_lo, exec_lo
	s_and_not1_saveexec_b32 s7, s7
	s_cbranch_execnz .LBB135_1635
.LBB135_1615:
	s_or_b32 exec_lo, exec_lo, s7
	v_mov_b32_e32 v4, 0
	s_and_saveexec_b32 s7, s12
	s_cbranch_execz .LBB135_1617
.LBB135_1616:
	v_and_b32_e32 v1, 0xffff, v0
	s_delay_alu instid0(VALU_DEP_1) | instskip(SKIP_1) | instid1(VALU_DEP_2)
	v_and_b32_e32 v3, 3, v1
	v_bfe_u32 v7, v1, 2, 5
	v_clz_i32_u32_e32 v4, v3
	s_delay_alu instid0(VALU_DEP_2) | instskip(NEXT) | instid1(VALU_DEP_2)
	v_cmp_eq_u32_e32 vcc_lo, 0, v7
	v_min_u32_e32 v4, 32, v4
	s_delay_alu instid0(VALU_DEP_1) | instskip(NEXT) | instid1(VALU_DEP_1)
	v_subrev_nc_u32_e32 v5, 29, v4
	v_dual_lshlrev_b32 v1, v5, v1 :: v_dual_sub_nc_u32 v4, 30, v4
	s_delay_alu instid0(VALU_DEP_1) | instskip(NEXT) | instid1(VALU_DEP_1)
	v_dual_lshlrev_b32 v0, 24, v0 :: v_dual_bitop2_b32 v1, 3, v1 bitop3:0x40
	v_cndmask_b32_e32 v1, v3, v1, vcc_lo
	s_delay_alu instid0(VALU_DEP_3) | instskip(NEXT) | instid1(VALU_DEP_3)
	v_cndmask_b32_e32 v4, v7, v4, vcc_lo
	v_and_b32_e32 v0, 0x80000000, v0
	s_delay_alu instid0(VALU_DEP_3) | instskip(NEXT) | instid1(VALU_DEP_3)
	v_lshlrev_b32_e32 v1, 21, v1
	v_lshl_add_u32 v3, v4, 23, 0x37800000
	s_delay_alu instid0(VALU_DEP_1) | instskip(NEXT) | instid1(VALU_DEP_1)
	v_or3_b32 v0, v0, v3, v1
	v_cvt_i32_f32_e32 v4, v0
.LBB135_1617:
	s_or_b32 exec_lo, exec_lo, s7
	s_mov_b32 s7, 0
	s_branch .LBB135_1623
.LBB135_1618:
	s_mov_b32 s7, -1
                                        ; implicit-def: $vgpr4
	s_branch .LBB135_1629
.LBB135_1619:
	s_and_not1_saveexec_b32 s12, s12
	s_cbranch_execz .LBB135_1604
.LBB135_1620:
	v_cmp_ne_u16_e32 vcc_lo, 0, v0
	s_and_not1_b32 s13, s13, exec_lo
	s_and_b32 s14, vcc_lo, exec_lo
	s_delay_alu instid0(SALU_CYCLE_1)
	s_or_b32 s13, s13, s14
	s_or_b32 exec_lo, exec_lo, s12
	v_mov_b32_e32 v4, 0
	s_and_saveexec_b32 s12, s13
	s_cbranch_execnz .LBB135_1605
	s_branch .LBB135_1606
.LBB135_1621:
	s_mov_b32 s7, -1
                                        ; implicit-def: $vgpr4
	s_branch .LBB135_1626
.LBB135_1622:
	s_mov_b32 s7, -1
                                        ; implicit-def: $vgpr4
.LBB135_1623:
	s_delay_alu instid0(SALU_CYCLE_1)
	s_and_b32 vcc_lo, exec_lo, s7
	s_cbranch_vccz .LBB135_1625
; %bb.1624:
	global_load_u8 v0, v[10:11], off
	s_wait_loadcnt 0x0
	v_lshlrev_b32_e32 v0, 24, v0
	s_delay_alu instid0(VALU_DEP_1) | instskip(NEXT) | instid1(VALU_DEP_1)
	v_and_b32_e32 v1, 0x7f000000, v0
	v_clz_i32_u32_e32 v3, v1
	v_add_nc_u32_e32 v5, 0x1000000, v1
	v_cmp_ne_u32_e32 vcc_lo, 0, v1
	s_delay_alu instid0(VALU_DEP_3) | instskip(NEXT) | instid1(VALU_DEP_1)
	v_min_u32_e32 v3, 32, v3
	v_sub_nc_u32_e64 v3, v3, 4 clamp
	s_delay_alu instid0(VALU_DEP_1) | instskip(NEXT) | instid1(VALU_DEP_1)
	v_dual_lshlrev_b32 v4, v3, v1 :: v_dual_lshlrev_b32 v3, 23, v3
	v_lshrrev_b32_e32 v4, 4, v4
	s_delay_alu instid0(VALU_DEP_1) | instskip(NEXT) | instid1(VALU_DEP_1)
	v_dual_sub_nc_u32 v3, v4, v3 :: v_dual_ashrrev_i32 v4, 8, v5
	v_add_nc_u32_e32 v3, 0x3c000000, v3
	s_delay_alu instid0(VALU_DEP_1) | instskip(NEXT) | instid1(VALU_DEP_1)
	v_and_or_b32 v3, 0x7f800000, v4, v3
	v_cndmask_b32_e32 v1, 0, v3, vcc_lo
	s_delay_alu instid0(VALU_DEP_1) | instskip(NEXT) | instid1(VALU_DEP_1)
	v_and_or_b32 v0, 0x80000000, v0, v1
	v_cvt_i32_f32_e32 v4, v0
.LBB135_1625:
	s_mov_b32 s7, 0
.LBB135_1626:
	s_delay_alu instid0(SALU_CYCLE_1)
	s_and_not1_b32 vcc_lo, exec_lo, s7
	s_cbranch_vccnz .LBB135_1628
; %bb.1627:
	global_load_u8 v0, v[10:11], off
	s_wait_loadcnt 0x0
	v_lshlrev_b32_e32 v1, 25, v0
	v_lshlrev_b16 v0, 8, v0
	s_delay_alu instid0(VALU_DEP_2) | instskip(NEXT) | instid1(VALU_DEP_2)
	v_cmp_gt_u32_e32 vcc_lo, 0x8000000, v1
	v_and_or_b32 v4, 0x7f00, v0, 0.5
	v_lshrrev_b32_e32 v3, 4, v1
	v_bfe_i32 v0, v0, 0, 16
	s_delay_alu instid0(VALU_DEP_3) | instskip(NEXT) | instid1(VALU_DEP_3)
	v_add_f32_e32 v4, -0.5, v4
	v_or_b32_e32 v3, 0x70000000, v3
	s_delay_alu instid0(VALU_DEP_1) | instskip(NEXT) | instid1(VALU_DEP_1)
	v_mul_f32_e32 v3, 0x7800000, v3
	v_cndmask_b32_e32 v1, v3, v4, vcc_lo
	s_delay_alu instid0(VALU_DEP_1) | instskip(NEXT) | instid1(VALU_DEP_1)
	v_and_or_b32 v0, 0x80000000, v0, v1
	v_cvt_i32_f32_e32 v4, v0
.LBB135_1628:
	s_mov_b32 s7, 0
	s_mov_b32 s12, -1
.LBB135_1629:
	s_and_not1_b32 vcc_lo, exec_lo, s7
	s_mov_b32 s7, 0
	s_cbranch_vccnz .LBB135_1640
; %bb.1630:
	s_cmp_gt_i32 s1, 14
	s_cbranch_scc0 .LBB135_1633
; %bb.1631:
	s_cmp_eq_u32 s1, 15
	s_cbranch_scc0 .LBB135_1636
; %bb.1632:
	global_load_u16 v0, v[10:11], off
	s_mov_b32 s6, 0
	s_mov_b32 s12, -1
	s_wait_loadcnt 0x0
	v_lshlrev_b32_e32 v0, 16, v0
	s_delay_alu instid0(VALU_DEP_1)
	v_cvt_i32_f32_e32 v4, v0
	s_branch .LBB135_1638
.LBB135_1633:
	s_mov_b32 s7, -1
	s_branch .LBB135_1637
.LBB135_1634:
	s_and_not1_saveexec_b32 s7, s7
	s_cbranch_execz .LBB135_1615
.LBB135_1635:
	v_cmp_ne_u16_e32 vcc_lo, 0, v0
	s_and_not1_b32 s12, s12, exec_lo
	s_and_b32 s13, vcc_lo, exec_lo
	s_delay_alu instid0(SALU_CYCLE_1)
	s_or_b32 s12, s12, s13
	s_or_b32 exec_lo, exec_lo, s7
	v_mov_b32_e32 v4, 0
	s_and_saveexec_b32 s7, s12
	s_cbranch_execnz .LBB135_1616
	s_branch .LBB135_1617
.LBB135_1636:
	s_mov_b32 s6, -1
.LBB135_1637:
                                        ; implicit-def: $vgpr4
.LBB135_1638:
	s_and_b32 vcc_lo, exec_lo, s7
	s_mov_b32 s7, 0
	s_cbranch_vccz .LBB135_1640
; %bb.1639:
	s_cmp_lg_u32 s1, 11
	s_mov_b32 s7, -1
	s_cselect_b32 s1, -1, 0
	s_and_not1_b32 s6, s6, exec_lo
	s_and_b32 s1, s1, exec_lo
	s_delay_alu instid0(SALU_CYCLE_1)
	s_or_b32 s6, s6, s1
.LBB135_1640:
	s_mov_b32 s1, 0
.LBB135_1641:
	s_delay_alu instid0(SALU_CYCLE_1)
	s_and_b32 s30, s1, exec_lo
	s_and_not1_b32 s1, s56, exec_lo
	s_and_b32 s6, s6, exec_lo
	s_and_b32 s28, s12, exec_lo
	;; [unrolled: 1-line block ×3, first 2 shown]
	s_or_b32 s31, s1, s6
.LBB135_1642:
	s_wait_xcnt 0x0
	s_or_b32 exec_lo, exec_lo, s44
	s_delay_alu instid0(SALU_CYCLE_1)
	s_and_not1_b32 s1, s56, exec_lo
	s_and_b32 s6, s31, exec_lo
	s_and_b32 s28, s28, exec_lo
	;; [unrolled: 1-line block ×4, first 2 shown]
	s_or_b32 s56, s1, s6
.LBB135_1643:
	s_or_b32 exec_lo, exec_lo, s55
	s_delay_alu instid0(SALU_CYCLE_1)
	s_and_not1_b32 s1, s51, exec_lo
	s_and_b32 s6, s59, exec_lo
	s_and_not1_b32 s7, s53, exec_lo
	s_or_b32 s51, s1, s6
	s_and_not1_b32 s1, s52, exec_lo
	s_and_b32 s6, s57, exec_lo
	s_and_b32 s12, s58, exec_lo
	s_or_b32 s52, s1, s6
	s_and_not1_b32 s1, s50, exec_lo
	s_and_b32 s6, s56, exec_lo
	s_or_b32 s53, s7, s12
	s_and_b32 s28, s28, exec_lo
	s_and_b32 s30, s30, exec_lo
	;; [unrolled: 1-line block ×3, first 2 shown]
	s_or_b32 s50, s1, s6
.LBB135_1644:
	s_or_b32 exec_lo, exec_lo, s54
	s_delay_alu instid0(SALU_CYCLE_1)
	s_and_not1_b32 s1, s42, exec_lo
	s_and_b32 s6, s51, exec_lo
	s_and_not1_b32 s7, s47, exec_lo
	s_or_b32 s42, s1, s6
	s_and_not1_b32 s1, s46, exec_lo
	s_and_b32 s6, s52, exec_lo
	s_and_b32 s12, s53, exec_lo
	s_or_b32 s46, s1, s6
	s_and_not1_b32 s1, s48, exec_lo
	s_and_b32 s6, s50, exec_lo
	s_or_b32 s47, s7, s12
	s_and_b32 s28, s28, exec_lo
	s_and_b32 s30, s30, exec_lo
	;; [unrolled: 1-line block ×3, first 2 shown]
	s_or_b32 s48, s1, s6
	s_or_b32 exec_lo, exec_lo, s49
	s_mov_b32 s1, 0
	s_and_saveexec_b32 s6, s48
	s_cbranch_execz .LBB135_520
.LBB135_1645:
	s_mov_b32 s1, exec_lo
	s_and_not1_b32 s25, s25, exec_lo
	s_trap 2
	s_or_b32 exec_lo, exec_lo, s6
	s_and_saveexec_b32 s6, s25
	s_delay_alu instid0(SALU_CYCLE_1)
	s_xor_b32 s6, exec_lo, s6
	s_cbranch_execnz .LBB135_521
.LBB135_1646:
	s_or_b32 exec_lo, exec_lo, s6
	s_and_saveexec_b32 s6, s30
	s_cbranch_execz .LBB135_1692
.LBB135_1647:
	s_sext_i32_i16 s7, s0
	s_delay_alu instid0(SALU_CYCLE_1)
	s_cmp_lt_i32 s7, 5
	s_cbranch_scc1 .LBB135_1652
; %bb.1648:
	s_cmp_lt_i32 s7, 8
	s_cbranch_scc1 .LBB135_1653
; %bb.1649:
	;; [unrolled: 3-line block ×3, first 2 shown]
	s_cmp_gt_i32 s7, 9
	s_cbranch_scc0 .LBB135_1655
; %bb.1651:
	s_wait_loadcnt 0x0
	global_load_b64 v[0:1], v[10:11], off
	s_mov_b32 s7, 0
	s_wait_loadcnt 0x0
	v_cvt_i32_f64_e32 v4, v[0:1]
	s_branch .LBB135_1656
.LBB135_1652:
                                        ; implicit-def: $vgpr4
	s_branch .LBB135_1673
.LBB135_1653:
                                        ; implicit-def: $vgpr4
	s_branch .LBB135_1662
.LBB135_1654:
	s_mov_b32 s7, -1
                                        ; implicit-def: $vgpr4
	s_branch .LBB135_1659
.LBB135_1655:
	s_mov_b32 s7, -1
                                        ; implicit-def: $vgpr4
.LBB135_1656:
	s_delay_alu instid0(SALU_CYCLE_1)
	s_and_not1_b32 vcc_lo, exec_lo, s7
	s_cbranch_vccnz .LBB135_1658
; %bb.1657:
	s_wait_loadcnt 0x0
	global_load_b32 v0, v[10:11], off
	s_wait_loadcnt 0x0
	v_cvt_i32_f32_e32 v4, v0
.LBB135_1658:
	s_mov_b32 s7, 0
.LBB135_1659:
	s_delay_alu instid0(SALU_CYCLE_1)
	s_and_not1_b32 vcc_lo, exec_lo, s7
	s_cbranch_vccnz .LBB135_1661
; %bb.1660:
	s_wait_loadcnt 0x0
	global_load_b32 v0, v[10:11], off
	s_wait_loadcnt 0x0
	v_cvt_i16_f16_e32 v4, v0
.LBB135_1661:
	s_cbranch_execnz .LBB135_1672
.LBB135_1662:
	s_sext_i32_i16 s7, s0
	s_delay_alu instid0(SALU_CYCLE_1)
	s_cmp_lt_i32 s7, 6
	s_cbranch_scc1 .LBB135_1665
; %bb.1663:
	s_cmp_gt_i32 s7, 6
	s_cbranch_scc0 .LBB135_1666
; %bb.1664:
	s_wait_loadcnt 0x0
	global_load_b64 v[0:1], v[10:11], off
	s_mov_b32 s7, 0
	s_wait_loadcnt 0x0
	v_cvt_i32_f64_e32 v4, v[0:1]
	s_branch .LBB135_1667
.LBB135_1665:
	s_mov_b32 s7, -1
                                        ; implicit-def: $vgpr4
	s_branch .LBB135_1670
.LBB135_1666:
	s_mov_b32 s7, -1
                                        ; implicit-def: $vgpr4
.LBB135_1667:
	s_delay_alu instid0(SALU_CYCLE_1)
	s_and_not1_b32 vcc_lo, exec_lo, s7
	s_cbranch_vccnz .LBB135_1669
; %bb.1668:
	s_wait_loadcnt 0x0
	global_load_b32 v0, v[10:11], off
	s_wait_loadcnt 0x0
	v_cvt_i32_f32_e32 v4, v0
.LBB135_1669:
	s_mov_b32 s7, 0
.LBB135_1670:
	s_delay_alu instid0(SALU_CYCLE_1)
	s_and_not1_b32 vcc_lo, exec_lo, s7
	s_cbranch_vccnz .LBB135_1672
; %bb.1671:
	s_wait_loadcnt 0x0
	global_load_u16 v0, v[10:11], off
	s_wait_loadcnt 0x0
	v_cvt_i16_f16_e32 v4, v0
.LBB135_1672:
	s_cbranch_execnz .LBB135_1691
.LBB135_1673:
	s_sext_i32_i16 s7, s0
	s_delay_alu instid0(SALU_CYCLE_1)
	s_cmp_lt_i32 s7, 2
	s_cbranch_scc1 .LBB135_1677
; %bb.1674:
	s_cmp_lt_i32 s7, 3
	s_cbranch_scc1 .LBB135_1678
; %bb.1675:
	s_cmp_gt_i32 s7, 3
	s_cbranch_scc0 .LBB135_1679
; %bb.1676:
	s_wait_loadcnt 0x0
	global_load_b64 v[4:5], v[10:11], off
	s_mov_b32 s7, 0
	s_branch .LBB135_1680
.LBB135_1677:
                                        ; implicit-def: $vgpr4
	s_branch .LBB135_1686
.LBB135_1678:
	s_mov_b32 s7, -1
                                        ; implicit-def: $vgpr4
	s_branch .LBB135_1683
.LBB135_1679:
	s_mov_b32 s7, -1
                                        ; implicit-def: $vgpr4
.LBB135_1680:
	s_delay_alu instid0(SALU_CYCLE_1)
	s_and_not1_b32 vcc_lo, exec_lo, s7
	s_cbranch_vccnz .LBB135_1682
; %bb.1681:
	s_wait_loadcnt 0x0
	global_load_b32 v4, v[10:11], off
.LBB135_1682:
	s_mov_b32 s7, 0
.LBB135_1683:
	s_delay_alu instid0(SALU_CYCLE_1)
	s_and_not1_b32 vcc_lo, exec_lo, s7
	s_cbranch_vccnz .LBB135_1685
; %bb.1684:
	s_wait_loadcnt 0x0
	global_load_u16 v4, v[10:11], off
.LBB135_1685:
	s_cbranch_execnz .LBB135_1691
.LBB135_1686:
	s_sext_i32_i16 s0, s0
	s_delay_alu instid0(SALU_CYCLE_1)
	s_cmp_gt_i32 s0, 0
	s_mov_b32 s0, 0
	s_cbranch_scc0 .LBB135_1688
; %bb.1687:
	s_wait_loadcnt 0x0
	global_load_i8 v4, v[10:11], off
	s_branch .LBB135_1689
.LBB135_1688:
	s_mov_b32 s0, -1
                                        ; implicit-def: $vgpr4
.LBB135_1689:
	s_delay_alu instid0(SALU_CYCLE_1)
	s_and_not1_b32 vcc_lo, exec_lo, s0
	s_cbranch_vccnz .LBB135_1691
; %bb.1690:
	s_wait_loadcnt 0x0
	global_load_u8 v4, v[10:11], off
.LBB135_1691:
	s_or_b32 s28, s28, exec_lo
.LBB135_1692:
	s_wait_xcnt 0x0
	s_or_b32 exec_lo, exec_lo, s6
	s_mov_b32 s13, 0
	s_mov_b32 s12, 0
	;; [unrolled: 1-line block ×3, first 2 shown]
                                        ; implicit-def: $sgpr0
                                        ; implicit-def: $vgpr10_vgpr11
                                        ; implicit-def: $vgpr0
	s_and_saveexec_b32 s6, s28
	s_cbranch_execz .LBB135_1700
; %bb.1693:
	s_wait_loadcnt 0x0
	v_mov_b32_e32 v9, 0
	s_and_b32 s0, s39, 0xff
	s_delay_alu instid0(SALU_CYCLE_1) | instskip(NEXT) | instid1(VALU_DEP_1)
	s_cmp_lt_i32 s0, 11
	v_add_nc_u64_e32 v[10:11], s[8:9], v[8:9]
	s_cbranch_scc1 .LBB135_1703
; %bb.1694:
	s_and_b32 s7, 0xffff, s0
	s_mov_b32 s9, 0
	s_cmp_gt_i32 s7, 25
	s_cbranch_scc0 .LBB135_1704
; %bb.1695:
	s_cmp_gt_i32 s7, 28
	s_cbranch_scc0 .LBB135_1705
; %bb.1696:
	;; [unrolled: 3-line block ×4, first 2 shown]
	s_cmp_eq_u32 s7, 46
	s_cbranch_scc0 .LBB135_1708
; %bb.1699:
	global_load_b32 v0, v[10:11], off
	s_mov_b32 s8, 0
	s_mov_b32 s12, -1
	s_wait_loadcnt 0x0
	v_lshlrev_b32_e32 v0, 16, v0
	s_delay_alu instid0(VALU_DEP_1)
	v_cvt_i32_f32_e32 v0, v0
	s_branch .LBB135_1710
.LBB135_1700:
	s_or_b32 exec_lo, exec_lo, s6
	s_and_saveexec_b32 s6, s47
	s_cbranch_execnz .LBB135_1769
.LBB135_1701:
	s_or_b32 exec_lo, exec_lo, s6
	s_and_saveexec_b32 s6, s13
	s_delay_alu instid0(SALU_CYCLE_1)
	s_xor_b32 s6, exec_lo, s6
	s_cbranch_execz .LBB135_1770
.LBB135_1702:
	s_wait_loadcnt 0x0
	global_load_u8 v0, v[10:11], off
	s_or_b32 s7, s7, exec_lo
	s_wait_loadcnt 0x0
	v_cmp_ne_u16_e32 vcc_lo, 0, v0
	v_cndmask_b32_e64 v0, 0, 1, vcc_lo
	s_wait_xcnt 0x0
	s_or_b32 exec_lo, exec_lo, s6
	s_and_saveexec_b32 s6, s12
	s_cbranch_execz .LBB135_1816
	s_branch .LBB135_1771
.LBB135_1703:
	s_mov_b32 s13, -1
	s_mov_b32 s9, 0
	s_mov_b32 s8, s47
                                        ; implicit-def: $vgpr0
	s_branch .LBB135_1768
.LBB135_1704:
	s_mov_b32 s8, s47
                                        ; implicit-def: $vgpr0
	s_cbranch_execnz .LBB135_1737
	s_branch .LBB135_1767
.LBB135_1705:
	s_mov_b32 s13, -1
	s_mov_b32 s8, s47
                                        ; implicit-def: $vgpr0
	s_branch .LBB135_1720
.LBB135_1706:
	s_mov_b32 s13, -1
	s_mov_b32 s8, s47
                                        ; implicit-def: $vgpr0
	s_branch .LBB135_1715
.LBB135_1707:
	s_mov_b32 s13, -1
	s_mov_b32 s8, s47
	s_branch .LBB135_1709
.LBB135_1708:
	s_mov_b32 s8, -1
.LBB135_1709:
                                        ; implicit-def: $vgpr0
.LBB135_1710:
	s_and_b32 vcc_lo, exec_lo, s13
	s_cbranch_vccz .LBB135_1714
; %bb.1711:
	s_cmp_eq_u32 s7, 44
	s_cbranch_scc0 .LBB135_1713
; %bb.1712:
	global_load_u8 v0, v[10:11], off
	s_mov_b32 s8, 0
	s_mov_b32 s12, -1
	s_wait_loadcnt 0x0
	v_lshlrev_b32_e32 v1, 23, v0
	v_cmp_ne_u32_e32 vcc_lo, 0, v0
	s_delay_alu instid0(VALU_DEP_2) | instskip(NEXT) | instid1(VALU_DEP_1)
	v_cvt_i32_f32_e32 v1, v1
	v_cndmask_b32_e32 v0, 0, v1, vcc_lo
	s_branch .LBB135_1714
.LBB135_1713:
	s_mov_b32 s8, -1
                                        ; implicit-def: $vgpr0
.LBB135_1714:
	s_mov_b32 s13, 0
.LBB135_1715:
	s_delay_alu instid0(SALU_CYCLE_1)
	s_and_b32 vcc_lo, exec_lo, s13
	s_cbranch_vccz .LBB135_1719
; %bb.1716:
	s_cmp_eq_u32 s7, 29
	s_cbranch_scc0 .LBB135_1718
; %bb.1717:
	global_load_b64 v[0:1], v[10:11], off
	s_mov_b32 s8, 0
	s_mov_b32 s12, -1
	s_branch .LBB135_1719
.LBB135_1718:
	s_mov_b32 s8, -1
                                        ; implicit-def: $vgpr0
.LBB135_1719:
	s_mov_b32 s13, 0
.LBB135_1720:
	s_delay_alu instid0(SALU_CYCLE_1)
	s_and_b32 vcc_lo, exec_lo, s13
	s_cbranch_vccz .LBB135_1736
; %bb.1721:
	s_cmp_lt_i32 s7, 27
	s_cbranch_scc1 .LBB135_1724
; %bb.1722:
	s_cmp_gt_i32 s7, 27
	s_cbranch_scc0 .LBB135_1725
; %bb.1723:
	s_wait_loadcnt 0x0
	global_load_b32 v0, v[10:11], off
	s_mov_b32 s12, 0
	s_branch .LBB135_1726
.LBB135_1724:
	s_mov_b32 s12, -1
                                        ; implicit-def: $vgpr0
	s_branch .LBB135_1729
.LBB135_1725:
	s_mov_b32 s12, -1
                                        ; implicit-def: $vgpr0
.LBB135_1726:
	s_delay_alu instid0(SALU_CYCLE_1)
	s_and_not1_b32 vcc_lo, exec_lo, s12
	s_cbranch_vccnz .LBB135_1728
; %bb.1727:
	s_wait_loadcnt 0x0
	global_load_u16 v0, v[10:11], off
.LBB135_1728:
	s_mov_b32 s12, 0
.LBB135_1729:
	s_delay_alu instid0(SALU_CYCLE_1)
	s_and_not1_b32 vcc_lo, exec_lo, s12
	s_cbranch_vccnz .LBB135_1735
; %bb.1730:
	s_wait_loadcnt 0x0
	global_load_u8 v1, v[10:11], off
	s_mov_b32 s13, 0
	s_mov_b32 s12, exec_lo
	s_wait_loadcnt 0x0
	v_cmpx_lt_i16_e32 0x7f, v1
	s_xor_b32 s12, exec_lo, s12
	s_cbranch_execz .LBB135_1746
; %bb.1731:
	v_cmp_ne_u16_e32 vcc_lo, 0x80, v1
	s_and_b32 s13, vcc_lo, exec_lo
	s_and_not1_saveexec_b32 s12, s12
	s_cbranch_execnz .LBB135_1747
.LBB135_1732:
	s_or_b32 exec_lo, exec_lo, s12
	v_mov_b32_e32 v0, 0
	s_and_saveexec_b32 s12, s13
	s_cbranch_execz .LBB135_1734
.LBB135_1733:
	v_and_b32_e32 v0, 0xffff, v1
	s_delay_alu instid0(VALU_DEP_1) | instskip(SKIP_1) | instid1(VALU_DEP_2)
	v_and_b32_e32 v3, 7, v0
	v_bfe_u32 v8, v0, 3, 4
	v_clz_i32_u32_e32 v5, v3
	s_delay_alu instid0(VALU_DEP_2) | instskip(NEXT) | instid1(VALU_DEP_2)
	v_cmp_eq_u32_e32 vcc_lo, 0, v8
	v_min_u32_e32 v5, 32, v5
	s_delay_alu instid0(VALU_DEP_1) | instskip(NEXT) | instid1(VALU_DEP_1)
	v_subrev_nc_u32_e32 v7, 28, v5
	v_dual_lshlrev_b32 v0, v7, v0 :: v_dual_sub_nc_u32 v5, 29, v5
	s_delay_alu instid0(VALU_DEP_1) | instskip(NEXT) | instid1(VALU_DEP_1)
	v_dual_lshlrev_b32 v1, 24, v1 :: v_dual_bitop2_b32 v0, 7, v0 bitop3:0x40
	v_dual_cndmask_b32 v0, v3, v0 :: v_dual_cndmask_b32 v5, v8, v5
	s_delay_alu instid0(VALU_DEP_2) | instskip(NEXT) | instid1(VALU_DEP_2)
	v_and_b32_e32 v1, 0x80000000, v1
	v_lshlrev_b32_e32 v0, 20, v0
	s_delay_alu instid0(VALU_DEP_3) | instskip(NEXT) | instid1(VALU_DEP_1)
	v_lshl_add_u32 v3, v5, 23, 0x3b800000
	v_or3_b32 v0, v1, v3, v0
	s_delay_alu instid0(VALU_DEP_1)
	v_cvt_i32_f32_e32 v0, v0
.LBB135_1734:
	s_or_b32 exec_lo, exec_lo, s12
.LBB135_1735:
	s_mov_b32 s12, -1
.LBB135_1736:
	s_branch .LBB135_1767
.LBB135_1737:
	s_cmp_gt_i32 s7, 22
	s_cbranch_scc0 .LBB135_1745
; %bb.1738:
	s_cmp_lt_i32 s7, 24
	s_cbranch_scc1 .LBB135_1748
; %bb.1739:
	s_cmp_gt_i32 s7, 24
	s_cbranch_scc0 .LBB135_1749
; %bb.1740:
	s_wait_loadcnt 0x0
	global_load_u8 v1, v[10:11], off
	s_mov_b32 s12, 0
	s_mov_b32 s9, exec_lo
	s_wait_loadcnt 0x0
	v_cmpx_lt_i16_e32 0x7f, v1
	s_xor_b32 s9, exec_lo, s9
	s_cbranch_execz .LBB135_1761
; %bb.1741:
	v_cmp_ne_u16_e32 vcc_lo, 0x80, v1
	s_and_b32 s12, vcc_lo, exec_lo
	s_and_not1_saveexec_b32 s9, s9
	s_cbranch_execnz .LBB135_1762
.LBB135_1742:
	s_or_b32 exec_lo, exec_lo, s9
	v_mov_b32_e32 v0, 0
	s_and_saveexec_b32 s9, s12
	s_cbranch_execz .LBB135_1744
.LBB135_1743:
	v_and_b32_e32 v0, 0xffff, v1
	s_delay_alu instid0(VALU_DEP_1) | instskip(SKIP_1) | instid1(VALU_DEP_2)
	v_and_b32_e32 v3, 3, v0
	v_bfe_u32 v8, v0, 2, 5
	v_clz_i32_u32_e32 v5, v3
	s_delay_alu instid0(VALU_DEP_2) | instskip(NEXT) | instid1(VALU_DEP_2)
	v_cmp_eq_u32_e32 vcc_lo, 0, v8
	v_min_u32_e32 v5, 32, v5
	s_delay_alu instid0(VALU_DEP_1) | instskip(NEXT) | instid1(VALU_DEP_1)
	v_subrev_nc_u32_e32 v7, 29, v5
	v_dual_lshlrev_b32 v0, v7, v0 :: v_dual_sub_nc_u32 v5, 30, v5
	s_delay_alu instid0(VALU_DEP_1) | instskip(NEXT) | instid1(VALU_DEP_1)
	v_dual_lshlrev_b32 v1, 24, v1 :: v_dual_bitop2_b32 v0, 3, v0 bitop3:0x40
	v_dual_cndmask_b32 v0, v3, v0 :: v_dual_cndmask_b32 v5, v8, v5
	s_delay_alu instid0(VALU_DEP_2) | instskip(NEXT) | instid1(VALU_DEP_2)
	v_and_b32_e32 v1, 0x80000000, v1
	v_lshlrev_b32_e32 v0, 21, v0
	s_delay_alu instid0(VALU_DEP_3) | instskip(NEXT) | instid1(VALU_DEP_1)
	v_lshl_add_u32 v3, v5, 23, 0x37800000
	v_or3_b32 v0, v1, v3, v0
	s_delay_alu instid0(VALU_DEP_1)
	v_cvt_i32_f32_e32 v0, v0
.LBB135_1744:
	s_or_b32 exec_lo, exec_lo, s9
	s_mov_b32 s9, 0
	s_branch .LBB135_1750
.LBB135_1745:
	s_mov_b32 s9, -1
                                        ; implicit-def: $vgpr0
	s_branch .LBB135_1756
.LBB135_1746:
	s_and_not1_saveexec_b32 s12, s12
	s_cbranch_execz .LBB135_1732
.LBB135_1747:
	v_cmp_ne_u16_e32 vcc_lo, 0, v1
	s_and_not1_b32 s13, s13, exec_lo
	s_and_b32 s14, vcc_lo, exec_lo
	s_delay_alu instid0(SALU_CYCLE_1)
	s_or_b32 s13, s13, s14
	s_or_b32 exec_lo, exec_lo, s12
	v_mov_b32_e32 v0, 0
	s_and_saveexec_b32 s12, s13
	s_cbranch_execnz .LBB135_1733
	s_branch .LBB135_1734
.LBB135_1748:
	s_mov_b32 s9, -1
                                        ; implicit-def: $vgpr0
	s_branch .LBB135_1753
.LBB135_1749:
	s_mov_b32 s9, -1
                                        ; implicit-def: $vgpr0
.LBB135_1750:
	s_delay_alu instid0(SALU_CYCLE_1)
	s_and_b32 vcc_lo, exec_lo, s9
	s_cbranch_vccz .LBB135_1752
; %bb.1751:
	s_wait_loadcnt 0x0
	global_load_u8 v0, v[10:11], off
	s_wait_loadcnt 0x0
	v_lshlrev_b32_e32 v0, 24, v0
	s_delay_alu instid0(VALU_DEP_1) | instskip(NEXT) | instid1(VALU_DEP_1)
	v_and_b32_e32 v1, 0x7f000000, v0
	v_clz_i32_u32_e32 v3, v1
	v_add_nc_u32_e32 v7, 0x1000000, v1
	v_cmp_ne_u32_e32 vcc_lo, 0, v1
	s_delay_alu instid0(VALU_DEP_3) | instskip(NEXT) | instid1(VALU_DEP_1)
	v_min_u32_e32 v3, 32, v3
	v_sub_nc_u32_e64 v3, v3, 4 clamp
	s_delay_alu instid0(VALU_DEP_1) | instskip(NEXT) | instid1(VALU_DEP_1)
	v_dual_lshlrev_b32 v5, v3, v1 :: v_dual_lshlrev_b32 v3, 23, v3
	v_lshrrev_b32_e32 v5, 4, v5
	s_delay_alu instid0(VALU_DEP_1) | instskip(SKIP_1) | instid1(VALU_DEP_2)
	v_sub_nc_u32_e32 v3, v5, v3
	v_ashrrev_i32_e32 v5, 8, v7
	v_add_nc_u32_e32 v3, 0x3c000000, v3
	s_delay_alu instid0(VALU_DEP_1) | instskip(NEXT) | instid1(VALU_DEP_1)
	v_and_or_b32 v3, 0x7f800000, v5, v3
	v_cndmask_b32_e32 v1, 0, v3, vcc_lo
	s_delay_alu instid0(VALU_DEP_1) | instskip(NEXT) | instid1(VALU_DEP_1)
	v_and_or_b32 v0, 0x80000000, v0, v1
	v_cvt_i32_f32_e32 v0, v0
.LBB135_1752:
	s_mov_b32 s9, 0
.LBB135_1753:
	s_delay_alu instid0(SALU_CYCLE_1)
	s_and_not1_b32 vcc_lo, exec_lo, s9
	s_cbranch_vccnz .LBB135_1755
; %bb.1754:
	s_wait_loadcnt 0x0
	global_load_u8 v0, v[10:11], off
	s_wait_loadcnt 0x0
	v_lshlrev_b32_e32 v1, 25, v0
	v_lshlrev_b16 v0, 8, v0
	s_delay_alu instid0(VALU_DEP_1) | instskip(SKIP_1) | instid1(VALU_DEP_2)
	v_and_or_b32 v5, 0x7f00, v0, 0.5
	v_bfe_i32 v0, v0, 0, 16
	v_add_f32_e32 v5, -0.5, v5
	v_lshrrev_b32_e32 v3, 4, v1
	v_cmp_gt_u32_e32 vcc_lo, 0x8000000, v1
	s_delay_alu instid0(VALU_DEP_2) | instskip(NEXT) | instid1(VALU_DEP_1)
	v_or_b32_e32 v3, 0x70000000, v3
	v_mul_f32_e32 v3, 0x7800000, v3
	s_delay_alu instid0(VALU_DEP_1) | instskip(NEXT) | instid1(VALU_DEP_1)
	v_cndmask_b32_e32 v1, v3, v5, vcc_lo
	v_and_or_b32 v0, 0x80000000, v0, v1
	s_delay_alu instid0(VALU_DEP_1)
	v_cvt_i32_f32_e32 v0, v0
.LBB135_1755:
	s_mov_b32 s9, 0
	s_mov_b32 s12, -1
.LBB135_1756:
	s_and_not1_b32 vcc_lo, exec_lo, s9
	s_mov_b32 s9, 0
	s_cbranch_vccnz .LBB135_1767
; %bb.1757:
	s_cmp_gt_i32 s7, 14
	s_cbranch_scc0 .LBB135_1760
; %bb.1758:
	s_cmp_eq_u32 s7, 15
	s_cbranch_scc0 .LBB135_1763
; %bb.1759:
	s_wait_loadcnt 0x0
	global_load_u16 v0, v[10:11], off
	s_mov_b32 s8, 0
	s_mov_b32 s12, -1
	s_wait_loadcnt 0x0
	v_lshlrev_b32_e32 v0, 16, v0
	s_delay_alu instid0(VALU_DEP_1)
	v_cvt_i32_f32_e32 v0, v0
	s_branch .LBB135_1765
.LBB135_1760:
	s_mov_b32 s9, -1
	s_branch .LBB135_1764
.LBB135_1761:
	s_and_not1_saveexec_b32 s9, s9
	s_cbranch_execz .LBB135_1742
.LBB135_1762:
	v_cmp_ne_u16_e32 vcc_lo, 0, v1
	s_and_not1_b32 s12, s12, exec_lo
	s_and_b32 s13, vcc_lo, exec_lo
	s_delay_alu instid0(SALU_CYCLE_1)
	s_or_b32 s12, s12, s13
	s_or_b32 exec_lo, exec_lo, s9
	v_mov_b32_e32 v0, 0
	s_and_saveexec_b32 s9, s12
	s_cbranch_execnz .LBB135_1743
	s_branch .LBB135_1744
.LBB135_1763:
	s_mov_b32 s8, -1
.LBB135_1764:
                                        ; implicit-def: $vgpr0
.LBB135_1765:
	s_and_b32 vcc_lo, exec_lo, s9
	s_mov_b32 s9, 0
	s_cbranch_vccz .LBB135_1767
; %bb.1766:
	s_cmp_lg_u32 s7, 11
	s_mov_b32 s9, -1
	s_cselect_b32 s7, -1, 0
	s_and_not1_b32 s8, s8, exec_lo
	s_and_b32 s7, s7, exec_lo
	s_delay_alu instid0(SALU_CYCLE_1)
	s_or_b32 s8, s8, s7
.LBB135_1767:
	s_mov_b32 s13, 0
.LBB135_1768:
	s_and_not1_b32 s14, s47, exec_lo
	s_and_b32 s8, s8, exec_lo
	s_and_b32 s7, s12, exec_lo
	;; [unrolled: 1-line block ×4, first 2 shown]
	s_or_b32 s47, s14, s8
	s_wait_xcnt 0x0
	s_or_b32 exec_lo, exec_lo, s6
	s_and_saveexec_b32 s6, s47
	s_cbranch_execz .LBB135_1701
.LBB135_1769:
	s_or_b32 s1, s1, exec_lo
	s_and_not1_b32 s13, s13, exec_lo
	s_trap 2
	s_or_b32 exec_lo, exec_lo, s6
	s_and_saveexec_b32 s6, s13
	s_delay_alu instid0(SALU_CYCLE_1)
	s_xor_b32 s6, exec_lo, s6
	s_cbranch_execnz .LBB135_1702
.LBB135_1770:
	s_or_b32 exec_lo, exec_lo, s6
	s_and_saveexec_b32 s6, s12
	s_cbranch_execz .LBB135_1816
.LBB135_1771:
	s_sext_i32_i16 s8, s0
	s_delay_alu instid0(SALU_CYCLE_1)
	s_cmp_lt_i32 s8, 5
	s_cbranch_scc1 .LBB135_1776
; %bb.1772:
	s_cmp_lt_i32 s8, 8
	s_cbranch_scc1 .LBB135_1777
; %bb.1773:
	;; [unrolled: 3-line block ×3, first 2 shown]
	s_cmp_gt_i32 s8, 9
	s_cbranch_scc0 .LBB135_1779
; %bb.1775:
	s_wait_loadcnt 0x0
	global_load_b64 v[0:1], v[10:11], off
	s_mov_b32 s8, 0
	s_wait_loadcnt 0x0
	v_cvt_i32_f64_e32 v0, v[0:1]
	s_branch .LBB135_1780
.LBB135_1776:
                                        ; implicit-def: $vgpr0
	s_branch .LBB135_1797
.LBB135_1777:
                                        ; implicit-def: $vgpr0
	s_branch .LBB135_1786
.LBB135_1778:
	s_mov_b32 s8, -1
                                        ; implicit-def: $vgpr0
	s_branch .LBB135_1783
.LBB135_1779:
	s_mov_b32 s8, -1
                                        ; implicit-def: $vgpr0
.LBB135_1780:
	s_delay_alu instid0(SALU_CYCLE_1)
	s_and_not1_b32 vcc_lo, exec_lo, s8
	s_cbranch_vccnz .LBB135_1782
; %bb.1781:
	s_wait_loadcnt 0x0
	global_load_b32 v0, v[10:11], off
	s_wait_loadcnt 0x0
	v_cvt_i32_f32_e32 v0, v0
.LBB135_1782:
	s_mov_b32 s8, 0
.LBB135_1783:
	s_delay_alu instid0(SALU_CYCLE_1)
	s_and_not1_b32 vcc_lo, exec_lo, s8
	s_cbranch_vccnz .LBB135_1785
; %bb.1784:
	s_wait_loadcnt 0x0
	global_load_b32 v0, v[10:11], off
	s_wait_loadcnt 0x0
	v_cvt_i16_f16_e32 v0, v0
.LBB135_1785:
	s_cbranch_execnz .LBB135_1796
.LBB135_1786:
	s_sext_i32_i16 s8, s0
	s_delay_alu instid0(SALU_CYCLE_1)
	s_cmp_lt_i32 s8, 6
	s_cbranch_scc1 .LBB135_1789
; %bb.1787:
	s_cmp_gt_i32 s8, 6
	s_cbranch_scc0 .LBB135_1790
; %bb.1788:
	s_wait_loadcnt 0x0
	global_load_b64 v[0:1], v[10:11], off
	s_mov_b32 s8, 0
	s_wait_loadcnt 0x0
	v_cvt_i32_f64_e32 v0, v[0:1]
	s_branch .LBB135_1791
.LBB135_1789:
	s_mov_b32 s8, -1
                                        ; implicit-def: $vgpr0
	s_branch .LBB135_1794
.LBB135_1790:
	s_mov_b32 s8, -1
                                        ; implicit-def: $vgpr0
.LBB135_1791:
	s_delay_alu instid0(SALU_CYCLE_1)
	s_and_not1_b32 vcc_lo, exec_lo, s8
	s_cbranch_vccnz .LBB135_1793
; %bb.1792:
	s_wait_loadcnt 0x0
	global_load_b32 v0, v[10:11], off
	s_wait_loadcnt 0x0
	v_cvt_i32_f32_e32 v0, v0
.LBB135_1793:
	s_mov_b32 s8, 0
.LBB135_1794:
	s_delay_alu instid0(SALU_CYCLE_1)
	s_and_not1_b32 vcc_lo, exec_lo, s8
	s_cbranch_vccnz .LBB135_1796
; %bb.1795:
	s_wait_loadcnt 0x0
	global_load_u16 v0, v[10:11], off
	s_wait_loadcnt 0x0
	v_cvt_i16_f16_e32 v0, v0
.LBB135_1796:
	s_cbranch_execnz .LBB135_1815
.LBB135_1797:
	s_sext_i32_i16 s8, s0
	s_delay_alu instid0(SALU_CYCLE_1)
	s_cmp_lt_i32 s8, 2
	s_cbranch_scc1 .LBB135_1801
; %bb.1798:
	s_cmp_lt_i32 s8, 3
	s_cbranch_scc1 .LBB135_1802
; %bb.1799:
	s_cmp_gt_i32 s8, 3
	s_cbranch_scc0 .LBB135_1803
; %bb.1800:
	s_wait_loadcnt 0x0
	global_load_b64 v[0:1], v[10:11], off
	s_mov_b32 s8, 0
	s_branch .LBB135_1804
.LBB135_1801:
                                        ; implicit-def: $vgpr0
	s_branch .LBB135_1810
.LBB135_1802:
	s_mov_b32 s8, -1
                                        ; implicit-def: $vgpr0
	s_branch .LBB135_1807
.LBB135_1803:
	s_mov_b32 s8, -1
                                        ; implicit-def: $vgpr0
.LBB135_1804:
	s_delay_alu instid0(SALU_CYCLE_1)
	s_and_not1_b32 vcc_lo, exec_lo, s8
	s_cbranch_vccnz .LBB135_1806
; %bb.1805:
	s_wait_loadcnt 0x0
	global_load_b32 v0, v[10:11], off
.LBB135_1806:
	s_mov_b32 s8, 0
.LBB135_1807:
	s_delay_alu instid0(SALU_CYCLE_1)
	s_and_not1_b32 vcc_lo, exec_lo, s8
	s_cbranch_vccnz .LBB135_1809
; %bb.1808:
	s_wait_loadcnt 0x0
	global_load_u16 v0, v[10:11], off
.LBB135_1809:
	s_cbranch_execnz .LBB135_1815
.LBB135_1810:
	s_sext_i32_i16 s0, s0
	s_delay_alu instid0(SALU_CYCLE_1)
	s_cmp_gt_i32 s0, 0
	s_mov_b32 s0, 0
	s_cbranch_scc0 .LBB135_1812
; %bb.1811:
	s_wait_loadcnt 0x0
	global_load_i8 v0, v[10:11], off
	s_branch .LBB135_1813
.LBB135_1812:
	s_mov_b32 s0, -1
                                        ; implicit-def: $vgpr0
.LBB135_1813:
	s_delay_alu instid0(SALU_CYCLE_1)
	s_and_not1_b32 vcc_lo, exec_lo, s0
	s_cbranch_vccnz .LBB135_1815
; %bb.1814:
	s_wait_loadcnt 0x0
	global_load_u8 v0, v[10:11], off
.LBB135_1815:
	s_or_b32 s7, s7, exec_lo
.LBB135_1816:
	s_wait_xcnt 0x0
	s_or_b32 exec_lo, exec_lo, s6
	s_mov_b32 s9, 0
	s_mov_b32 s6, 0
	;; [unrolled: 1-line block ×3, first 2 shown]
                                        ; implicit-def: $vgpr8_vgpr9
                                        ; implicit-def: $vgpr10
	s_and_saveexec_b32 s0, s7
	s_cbranch_execz .LBB135_1824
; %bb.1817:
	v_mov_b32_e32 v7, 0
	s_and_b32 s6, 0xffff, s21
	s_delay_alu instid0(SALU_CYCLE_1) | instskip(SKIP_1) | instid1(VALU_DEP_1)
	s_cmp_lt_i32 s6, 11
	s_wait_loadcnt 0x0
	v_add_nc_u64_e32 v[8:9], s[10:11], v[6:7]
	s_cbranch_scc1 .LBB135_1827
; %bb.1818:
	s_cmp_gt_i32 s6, 25
	s_cbranch_scc0 .LBB135_1828
; %bb.1819:
	s_cmp_gt_i32 s6, 28
	s_cbranch_scc0 .LBB135_1829
	;; [unrolled: 3-line block ×4, first 2 shown]
; %bb.1822:
	s_cmp_eq_u32 s6, 46
	s_mov_b32 s10, 0
	s_cbranch_scc0 .LBB135_1832
; %bb.1823:
	global_load_b32 v1, v[8:9], off
	s_mov_b32 s7, 0
	s_mov_b32 s8, -1
	s_wait_loadcnt 0x0
	v_lshlrev_b32_e32 v1, 16, v1
	s_delay_alu instid0(VALU_DEP_1)
	v_cvt_i32_f32_e32 v10, v1
	s_branch .LBB135_1834
.LBB135_1824:
	s_or_b32 exec_lo, exec_lo, s0
	s_and_saveexec_b32 s0, s46
	s_cbranch_execnz .LBB135_1893
.LBB135_1825:
	s_or_b32 exec_lo, exec_lo, s0
	s_and_saveexec_b32 s0, s9
	s_delay_alu instid0(SALU_CYCLE_1)
	s_xor_b32 s0, exec_lo, s0
	s_cbranch_execz .LBB135_1894
.LBB135_1826:
	s_wait_loadcnt 0x0
	global_load_u8 v1, v[8:9], off
	s_or_b32 s8, s8, exec_lo
	s_wait_loadcnt 0x0
	v_cmp_ne_u16_e32 vcc_lo, 0, v1
	v_cndmask_b32_e64 v10, 0, 1, vcc_lo
	s_wait_xcnt 0x0
	s_or_b32 exec_lo, exec_lo, s0
	s_and_saveexec_b32 s0, s6
	s_cbranch_execz .LBB135_1940
	s_branch .LBB135_1895
.LBB135_1827:
	s_mov_b32 s6, -1
	s_mov_b32 s7, s46
                                        ; implicit-def: $vgpr10
	s_branch .LBB135_1892
.LBB135_1828:
	s_mov_b32 s7, s46
                                        ; implicit-def: $vgpr10
	s_cbranch_execnz .LBB135_1861
	s_branch .LBB135_1891
.LBB135_1829:
	s_mov_b32 s10, -1
	s_mov_b32 s7, s46
                                        ; implicit-def: $vgpr10
	s_branch .LBB135_1844
.LBB135_1830:
	s_mov_b32 s10, -1
	s_mov_b32 s7, s46
                                        ; implicit-def: $vgpr10
	s_branch .LBB135_1839
.LBB135_1831:
	s_mov_b32 s10, -1
	s_mov_b32 s7, s46
	s_branch .LBB135_1833
.LBB135_1832:
	s_mov_b32 s7, -1
.LBB135_1833:
                                        ; implicit-def: $vgpr10
.LBB135_1834:
	s_and_b32 vcc_lo, exec_lo, s10
	s_cbranch_vccz .LBB135_1838
; %bb.1835:
	s_cmp_eq_u32 s6, 44
	s_cbranch_scc0 .LBB135_1837
; %bb.1836:
	global_load_u8 v1, v[8:9], off
	s_mov_b32 s7, 0
	s_mov_b32 s8, -1
	s_wait_loadcnt 0x0
	v_lshlrev_b32_e32 v3, 23, v1
	v_cmp_ne_u32_e32 vcc_lo, 0, v1
	s_delay_alu instid0(VALU_DEP_2) | instskip(NEXT) | instid1(VALU_DEP_1)
	v_cvt_i32_f32_e32 v3, v3
	v_cndmask_b32_e32 v10, 0, v3, vcc_lo
	s_branch .LBB135_1838
.LBB135_1837:
	s_mov_b32 s7, -1
                                        ; implicit-def: $vgpr10
.LBB135_1838:
	s_mov_b32 s10, 0
.LBB135_1839:
	s_delay_alu instid0(SALU_CYCLE_1)
	s_and_b32 vcc_lo, exec_lo, s10
	s_cbranch_vccz .LBB135_1843
; %bb.1840:
	s_cmp_eq_u32 s6, 29
	s_cbranch_scc0 .LBB135_1842
; %bb.1841:
	global_load_b64 v[10:11], v[8:9], off
	s_mov_b32 s7, 0
	s_mov_b32 s8, -1
	s_branch .LBB135_1843
.LBB135_1842:
	s_mov_b32 s7, -1
                                        ; implicit-def: $vgpr10
.LBB135_1843:
	s_mov_b32 s10, 0
.LBB135_1844:
	s_delay_alu instid0(SALU_CYCLE_1)
	s_and_b32 vcc_lo, exec_lo, s10
	s_cbranch_vccz .LBB135_1860
; %bb.1845:
	s_cmp_lt_i32 s6, 27
	s_cbranch_scc1 .LBB135_1848
; %bb.1846:
	s_cmp_gt_i32 s6, 27
	s_cbranch_scc0 .LBB135_1849
; %bb.1847:
	s_wait_loadcnt 0x0
	global_load_b32 v10, v[8:9], off
	s_mov_b32 s8, 0
	s_branch .LBB135_1850
.LBB135_1848:
	s_mov_b32 s8, -1
                                        ; implicit-def: $vgpr10
	s_branch .LBB135_1853
.LBB135_1849:
	s_mov_b32 s8, -1
                                        ; implicit-def: $vgpr10
.LBB135_1850:
	s_delay_alu instid0(SALU_CYCLE_1)
	s_and_not1_b32 vcc_lo, exec_lo, s8
	s_cbranch_vccnz .LBB135_1852
; %bb.1851:
	s_wait_loadcnt 0x0
	global_load_u16 v10, v[8:9], off
.LBB135_1852:
	s_mov_b32 s8, 0
.LBB135_1853:
	s_delay_alu instid0(SALU_CYCLE_1)
	s_and_not1_b32 vcc_lo, exec_lo, s8
	s_cbranch_vccnz .LBB135_1859
; %bb.1854:
	global_load_u8 v1, v[8:9], off
	s_mov_b32 s10, 0
	s_mov_b32 s8, exec_lo
	s_wait_loadcnt 0x0
	v_cmpx_lt_i16_e32 0x7f, v1
	s_xor_b32 s8, exec_lo, s8
	s_cbranch_execz .LBB135_1870
; %bb.1855:
	v_cmp_ne_u16_e32 vcc_lo, 0x80, v1
	s_and_b32 s10, vcc_lo, exec_lo
	s_and_not1_saveexec_b32 s8, s8
	s_cbranch_execnz .LBB135_1871
.LBB135_1856:
	s_or_b32 exec_lo, exec_lo, s8
	v_mov_b32_e32 v10, 0
	s_and_saveexec_b32 s8, s10
	s_cbranch_execz .LBB135_1858
.LBB135_1857:
	v_and_b32_e32 v3, 0xffff, v1
	s_delay_alu instid0(VALU_DEP_1) | instskip(SKIP_1) | instid1(VALU_DEP_2)
	v_and_b32_e32 v5, 7, v3
	v_bfe_u32 v10, v3, 3, 4
	v_clz_i32_u32_e32 v6, v5
	s_delay_alu instid0(VALU_DEP_2) | instskip(NEXT) | instid1(VALU_DEP_2)
	v_cmp_eq_u32_e32 vcc_lo, 0, v10
	v_min_u32_e32 v6, 32, v6
	s_delay_alu instid0(VALU_DEP_1) | instskip(NEXT) | instid1(VALU_DEP_1)
	v_subrev_nc_u32_e32 v7, 28, v6
	v_dual_lshlrev_b32 v3, v7, v3 :: v_dual_sub_nc_u32 v6, 29, v6
	s_delay_alu instid0(VALU_DEP_1) | instskip(NEXT) | instid1(VALU_DEP_1)
	v_dual_lshlrev_b32 v1, 24, v1 :: v_dual_bitop2_b32 v3, 7, v3 bitop3:0x40
	v_dual_cndmask_b32 v6, v10, v6 :: v_dual_cndmask_b32 v3, v5, v3
	s_delay_alu instid0(VALU_DEP_2) | instskip(NEXT) | instid1(VALU_DEP_2)
	v_and_b32_e32 v1, 0x80000000, v1
	v_lshl_add_u32 v5, v6, 23, 0x3b800000
	s_delay_alu instid0(VALU_DEP_3) | instskip(NEXT) | instid1(VALU_DEP_1)
	v_lshlrev_b32_e32 v3, 20, v3
	v_or3_b32 v1, v1, v5, v3
	s_delay_alu instid0(VALU_DEP_1)
	v_cvt_i32_f32_e32 v10, v1
.LBB135_1858:
	s_or_b32 exec_lo, exec_lo, s8
.LBB135_1859:
	s_mov_b32 s8, -1
.LBB135_1860:
	s_branch .LBB135_1891
.LBB135_1861:
	s_cmp_gt_i32 s6, 22
	s_cbranch_scc0 .LBB135_1869
; %bb.1862:
	s_cmp_lt_i32 s6, 24
	s_cbranch_scc1 .LBB135_1872
; %bb.1863:
	s_cmp_gt_i32 s6, 24
	s_cbranch_scc0 .LBB135_1873
; %bb.1864:
	global_load_u8 v1, v[8:9], off
	s_mov_b32 s8, exec_lo
	s_wait_loadcnt 0x0
	v_cmpx_lt_i16_e32 0x7f, v1
	s_xor_b32 s8, exec_lo, s8
	s_cbranch_execz .LBB135_1885
; %bb.1865:
	v_cmp_ne_u16_e32 vcc_lo, 0x80, v1
	s_and_b32 s9, vcc_lo, exec_lo
	s_and_not1_saveexec_b32 s8, s8
	s_cbranch_execnz .LBB135_1886
.LBB135_1866:
	s_or_b32 exec_lo, exec_lo, s8
	v_mov_b32_e32 v10, 0
	s_and_saveexec_b32 s8, s9
	s_cbranch_execz .LBB135_1868
.LBB135_1867:
	v_and_b32_e32 v3, 0xffff, v1
	s_delay_alu instid0(VALU_DEP_1) | instskip(SKIP_1) | instid1(VALU_DEP_2)
	v_and_b32_e32 v5, 3, v3
	v_bfe_u32 v10, v3, 2, 5
	v_clz_i32_u32_e32 v6, v5
	s_delay_alu instid0(VALU_DEP_2) | instskip(NEXT) | instid1(VALU_DEP_2)
	v_cmp_eq_u32_e32 vcc_lo, 0, v10
	v_min_u32_e32 v6, 32, v6
	s_delay_alu instid0(VALU_DEP_1) | instskip(NEXT) | instid1(VALU_DEP_1)
	v_subrev_nc_u32_e32 v7, 29, v6
	v_dual_lshlrev_b32 v3, v7, v3 :: v_dual_sub_nc_u32 v6, 30, v6
	s_delay_alu instid0(VALU_DEP_1) | instskip(NEXT) | instid1(VALU_DEP_1)
	v_dual_lshlrev_b32 v1, 24, v1 :: v_dual_bitop2_b32 v3, 3, v3 bitop3:0x40
	v_dual_cndmask_b32 v6, v10, v6 :: v_dual_cndmask_b32 v3, v5, v3
	s_delay_alu instid0(VALU_DEP_2) | instskip(NEXT) | instid1(VALU_DEP_2)
	v_and_b32_e32 v1, 0x80000000, v1
	v_lshl_add_u32 v5, v6, 23, 0x37800000
	s_delay_alu instid0(VALU_DEP_3) | instskip(NEXT) | instid1(VALU_DEP_1)
	v_lshlrev_b32_e32 v3, 21, v3
	v_or3_b32 v1, v1, v5, v3
	s_delay_alu instid0(VALU_DEP_1)
	v_cvt_i32_f32_e32 v10, v1
.LBB135_1868:
	s_or_b32 exec_lo, exec_lo, s8
	s_mov_b32 s8, 0
	s_branch .LBB135_1874
.LBB135_1869:
	s_mov_b32 s9, -1
                                        ; implicit-def: $vgpr10
	s_branch .LBB135_1880
.LBB135_1870:
	s_and_not1_saveexec_b32 s8, s8
	s_cbranch_execz .LBB135_1856
.LBB135_1871:
	v_cmp_ne_u16_e32 vcc_lo, 0, v1
	s_and_not1_b32 s10, s10, exec_lo
	s_and_b32 s11, vcc_lo, exec_lo
	s_delay_alu instid0(SALU_CYCLE_1)
	s_or_b32 s10, s10, s11
	s_or_b32 exec_lo, exec_lo, s8
	v_mov_b32_e32 v10, 0
	s_and_saveexec_b32 s8, s10
	s_cbranch_execnz .LBB135_1857
	s_branch .LBB135_1858
.LBB135_1872:
	s_mov_b32 s8, -1
                                        ; implicit-def: $vgpr10
	s_branch .LBB135_1877
.LBB135_1873:
	s_mov_b32 s8, -1
                                        ; implicit-def: $vgpr10
.LBB135_1874:
	s_delay_alu instid0(SALU_CYCLE_1)
	s_and_b32 vcc_lo, exec_lo, s8
	s_cbranch_vccz .LBB135_1876
; %bb.1875:
	global_load_u8 v1, v[8:9], off
	s_wait_loadcnt 0x0
	v_lshlrev_b32_e32 v1, 24, v1
	s_delay_alu instid0(VALU_DEP_1) | instskip(NEXT) | instid1(VALU_DEP_1)
	v_and_b32_e32 v3, 0x7f000000, v1
	v_clz_i32_u32_e32 v5, v3
	v_add_nc_u32_e32 v7, 0x1000000, v3
	v_cmp_ne_u32_e32 vcc_lo, 0, v3
	s_delay_alu instid0(VALU_DEP_3) | instskip(NEXT) | instid1(VALU_DEP_1)
	v_min_u32_e32 v5, 32, v5
	v_sub_nc_u32_e64 v5, v5, 4 clamp
	s_delay_alu instid0(VALU_DEP_1) | instskip(NEXT) | instid1(VALU_DEP_1)
	v_dual_lshlrev_b32 v6, v5, v3 :: v_dual_lshlrev_b32 v5, 23, v5
	v_lshrrev_b32_e32 v6, 4, v6
	s_delay_alu instid0(VALU_DEP_1) | instskip(NEXT) | instid1(VALU_DEP_1)
	v_dual_sub_nc_u32 v5, v6, v5 :: v_dual_ashrrev_i32 v6, 8, v7
	v_add_nc_u32_e32 v5, 0x3c000000, v5
	s_delay_alu instid0(VALU_DEP_1) | instskip(NEXT) | instid1(VALU_DEP_1)
	v_and_or_b32 v5, 0x7f800000, v6, v5
	v_cndmask_b32_e32 v3, 0, v5, vcc_lo
	s_delay_alu instid0(VALU_DEP_1) | instskip(NEXT) | instid1(VALU_DEP_1)
	v_and_or_b32 v1, 0x80000000, v1, v3
	v_cvt_i32_f32_e32 v10, v1
.LBB135_1876:
	s_mov_b32 s8, 0
.LBB135_1877:
	s_delay_alu instid0(SALU_CYCLE_1)
	s_and_not1_b32 vcc_lo, exec_lo, s8
	s_cbranch_vccnz .LBB135_1879
; %bb.1878:
	global_load_u8 v1, v[8:9], off
	s_wait_loadcnt 0x0
	v_lshlrev_b32_e32 v3, 25, v1
	v_lshlrev_b16 v1, 8, v1
	s_delay_alu instid0(VALU_DEP_1) | instskip(SKIP_1) | instid1(VALU_DEP_2)
	v_and_or_b32 v6, 0x7f00, v1, 0.5
	v_bfe_i32 v1, v1, 0, 16
	v_dual_add_f32 v6, -0.5, v6 :: v_dual_lshrrev_b32 v5, 4, v3
	v_cmp_gt_u32_e32 vcc_lo, 0x8000000, v3
	s_delay_alu instid0(VALU_DEP_2) | instskip(NEXT) | instid1(VALU_DEP_1)
	v_or_b32_e32 v5, 0x70000000, v5
	v_mul_f32_e32 v5, 0x7800000, v5
	s_delay_alu instid0(VALU_DEP_1) | instskip(NEXT) | instid1(VALU_DEP_1)
	v_cndmask_b32_e32 v3, v5, v6, vcc_lo
	v_and_or_b32 v1, 0x80000000, v1, v3
	s_delay_alu instid0(VALU_DEP_1)
	v_cvt_i32_f32_e32 v10, v1
.LBB135_1879:
	s_mov_b32 s9, 0
	s_mov_b32 s8, -1
.LBB135_1880:
	s_and_not1_b32 vcc_lo, exec_lo, s9
	s_mov_b32 s9, 0
	s_cbranch_vccnz .LBB135_1891
; %bb.1881:
	s_cmp_gt_i32 s6, 14
	s_cbranch_scc0 .LBB135_1884
; %bb.1882:
	s_cmp_eq_u32 s6, 15
	s_cbranch_scc0 .LBB135_1887
; %bb.1883:
	global_load_u16 v1, v[8:9], off
	s_mov_b32 s7, 0
	s_mov_b32 s8, -1
	s_wait_loadcnt 0x0
	v_lshlrev_b32_e32 v1, 16, v1
	s_delay_alu instid0(VALU_DEP_1)
	v_cvt_i32_f32_e32 v10, v1
	s_branch .LBB135_1889
.LBB135_1884:
	s_mov_b32 s9, -1
	s_branch .LBB135_1888
.LBB135_1885:
	s_and_not1_saveexec_b32 s8, s8
	s_cbranch_execz .LBB135_1866
.LBB135_1886:
	v_cmp_ne_u16_e32 vcc_lo, 0, v1
	s_and_not1_b32 s9, s9, exec_lo
	s_and_b32 s10, vcc_lo, exec_lo
	s_delay_alu instid0(SALU_CYCLE_1)
	s_or_b32 s9, s9, s10
	s_or_b32 exec_lo, exec_lo, s8
	v_mov_b32_e32 v10, 0
	s_and_saveexec_b32 s8, s9
	s_cbranch_execnz .LBB135_1867
	s_branch .LBB135_1868
.LBB135_1887:
	s_mov_b32 s7, -1
.LBB135_1888:
                                        ; implicit-def: $vgpr10
.LBB135_1889:
	s_and_b32 vcc_lo, exec_lo, s9
	s_mov_b32 s9, 0
	s_cbranch_vccz .LBB135_1891
; %bb.1890:
	s_cmp_lg_u32 s6, 11
	s_mov_b32 s9, -1
	s_cselect_b32 s6, -1, 0
	s_and_not1_b32 s7, s7, exec_lo
	s_and_b32 s6, s6, exec_lo
	s_delay_alu instid0(SALU_CYCLE_1)
	s_or_b32 s7, s7, s6
.LBB135_1891:
	s_mov_b32 s6, 0
.LBB135_1892:
	s_and_not1_b32 s10, s46, exec_lo
	s_and_b32 s7, s7, exec_lo
	s_and_b32 s8, s8, exec_lo
	;; [unrolled: 1-line block ×4, first 2 shown]
	s_or_b32 s46, s10, s7
	s_wait_xcnt 0x0
	s_or_b32 exec_lo, exec_lo, s0
	s_and_saveexec_b32 s0, s46
	s_cbranch_execz .LBB135_1825
.LBB135_1893:
	s_or_b32 s1, s1, exec_lo
	s_and_not1_b32 s9, s9, exec_lo
	s_trap 2
	s_or_b32 exec_lo, exec_lo, s0
	s_and_saveexec_b32 s0, s9
	s_delay_alu instid0(SALU_CYCLE_1)
	s_xor_b32 s0, exec_lo, s0
	s_cbranch_execnz .LBB135_1826
.LBB135_1894:
	s_or_b32 exec_lo, exec_lo, s0
	s_and_saveexec_b32 s0, s6
	s_cbranch_execz .LBB135_1940
.LBB135_1895:
	s_sext_i32_i16 s6, s21
	s_delay_alu instid0(SALU_CYCLE_1)
	s_cmp_lt_i32 s6, 5
	s_cbranch_scc1 .LBB135_1900
; %bb.1896:
	s_cmp_lt_i32 s6, 8
	s_cbranch_scc1 .LBB135_1901
; %bb.1897:
	s_cmp_lt_i32 s6, 9
	s_cbranch_scc1 .LBB135_1902
; %bb.1898:
	s_cmp_gt_i32 s6, 9
	s_cbranch_scc0 .LBB135_1903
; %bb.1899:
	s_wait_loadcnt 0x0
	global_load_b64 v[6:7], v[8:9], off
	s_mov_b32 s6, 0
	s_wait_loadcnt 0x0
	v_cvt_i32_f64_e32 v10, v[6:7]
	s_branch .LBB135_1904
.LBB135_1900:
                                        ; implicit-def: $vgpr10
	s_branch .LBB135_1921
.LBB135_1901:
                                        ; implicit-def: $vgpr10
	s_branch .LBB135_1910
.LBB135_1902:
	s_mov_b32 s6, -1
                                        ; implicit-def: $vgpr10
	s_branch .LBB135_1907
.LBB135_1903:
	s_mov_b32 s6, -1
                                        ; implicit-def: $vgpr10
.LBB135_1904:
	s_delay_alu instid0(SALU_CYCLE_1)
	s_and_not1_b32 vcc_lo, exec_lo, s6
	s_cbranch_vccnz .LBB135_1906
; %bb.1905:
	s_wait_loadcnt 0x0
	global_load_b32 v1, v[8:9], off
	s_wait_loadcnt 0x0
	v_cvt_i32_f32_e32 v10, v1
.LBB135_1906:
	s_mov_b32 s6, 0
.LBB135_1907:
	s_delay_alu instid0(SALU_CYCLE_1)
	s_and_not1_b32 vcc_lo, exec_lo, s6
	s_cbranch_vccnz .LBB135_1909
; %bb.1908:
	s_wait_loadcnt 0x0
	global_load_b32 v1, v[8:9], off
	s_wait_loadcnt 0x0
	v_cvt_i16_f16_e32 v10, v1
.LBB135_1909:
	s_cbranch_execnz .LBB135_1920
.LBB135_1910:
	s_sext_i32_i16 s6, s21
	s_delay_alu instid0(SALU_CYCLE_1)
	s_cmp_lt_i32 s6, 6
	s_cbranch_scc1 .LBB135_1913
; %bb.1911:
	s_cmp_gt_i32 s6, 6
	s_cbranch_scc0 .LBB135_1914
; %bb.1912:
	s_wait_loadcnt 0x0
	global_load_b64 v[6:7], v[8:9], off
	s_mov_b32 s6, 0
	s_wait_loadcnt 0x0
	v_cvt_i32_f64_e32 v10, v[6:7]
	s_branch .LBB135_1915
.LBB135_1913:
	s_mov_b32 s6, -1
                                        ; implicit-def: $vgpr10
	s_branch .LBB135_1918
.LBB135_1914:
	s_mov_b32 s6, -1
                                        ; implicit-def: $vgpr10
.LBB135_1915:
	s_delay_alu instid0(SALU_CYCLE_1)
	s_and_not1_b32 vcc_lo, exec_lo, s6
	s_cbranch_vccnz .LBB135_1917
; %bb.1916:
	s_wait_loadcnt 0x0
	global_load_b32 v1, v[8:9], off
	s_wait_loadcnt 0x0
	v_cvt_i32_f32_e32 v10, v1
.LBB135_1917:
	s_mov_b32 s6, 0
.LBB135_1918:
	s_delay_alu instid0(SALU_CYCLE_1)
	s_and_not1_b32 vcc_lo, exec_lo, s6
	s_cbranch_vccnz .LBB135_1920
; %bb.1919:
	s_wait_loadcnt 0x0
	global_load_u16 v1, v[8:9], off
	s_wait_loadcnt 0x0
	v_cvt_i16_f16_e32 v10, v1
.LBB135_1920:
	s_cbranch_execnz .LBB135_1939
.LBB135_1921:
	s_sext_i32_i16 s6, s21
	s_delay_alu instid0(SALU_CYCLE_1)
	s_cmp_lt_i32 s6, 2
	s_cbranch_scc1 .LBB135_1925
; %bb.1922:
	s_cmp_lt_i32 s6, 3
	s_cbranch_scc1 .LBB135_1926
; %bb.1923:
	s_cmp_gt_i32 s6, 3
	s_cbranch_scc0 .LBB135_1927
; %bb.1924:
	s_wait_loadcnt 0x0
	global_load_b64 v[10:11], v[8:9], off
	s_mov_b32 s6, 0
	s_branch .LBB135_1928
.LBB135_1925:
                                        ; implicit-def: $vgpr10
	s_branch .LBB135_1934
.LBB135_1926:
	s_mov_b32 s6, -1
                                        ; implicit-def: $vgpr10
	s_branch .LBB135_1931
.LBB135_1927:
	s_mov_b32 s6, -1
                                        ; implicit-def: $vgpr10
.LBB135_1928:
	s_delay_alu instid0(SALU_CYCLE_1)
	s_and_not1_b32 vcc_lo, exec_lo, s6
	s_cbranch_vccnz .LBB135_1930
; %bb.1929:
	s_wait_loadcnt 0x0
	global_load_b32 v10, v[8:9], off
.LBB135_1930:
	s_mov_b32 s6, 0
.LBB135_1931:
	s_delay_alu instid0(SALU_CYCLE_1)
	s_and_not1_b32 vcc_lo, exec_lo, s6
	s_cbranch_vccnz .LBB135_1933
; %bb.1932:
	s_wait_loadcnt 0x0
	global_load_u16 v10, v[8:9], off
.LBB135_1933:
	s_cbranch_execnz .LBB135_1939
.LBB135_1934:
	s_sext_i32_i16 s6, s21
	s_delay_alu instid0(SALU_CYCLE_1)
	s_cmp_gt_i32 s6, 0
	s_mov_b32 s6, 0
	s_cbranch_scc0 .LBB135_1936
; %bb.1935:
	s_wait_loadcnt 0x0
	global_load_i8 v10, v[8:9], off
	s_branch .LBB135_1937
.LBB135_1936:
	s_mov_b32 s6, -1
                                        ; implicit-def: $vgpr10
.LBB135_1937:
	s_delay_alu instid0(SALU_CYCLE_1)
	s_and_not1_b32 vcc_lo, exec_lo, s6
	s_cbranch_vccnz .LBB135_1939
; %bb.1938:
	s_wait_loadcnt 0x0
	global_load_u8 v10, v[8:9], off
.LBB135_1939:
	s_or_b32 s8, s8, exec_lo
.LBB135_1940:
	s_wait_xcnt 0x0
	s_or_b32 exec_lo, exec_lo, s0
	s_mov_b32 s0, 0
	s_mov_b32 s9, 0
                                        ; implicit-def: $sgpr6
                                        ; implicit-def: $vgpr6_vgpr7
                                        ; implicit-def: $vgpr3
	s_and_saveexec_b32 s7, s8
	s_cbranch_execz .LBB135_1948
; %bb.1941:
	v_mov_b32_e32 v3, 0
	s_wait_loadcnt 0x0
	v_max_i16 v0, v4, v0
	s_and_b32 s6, s38, 0xff
	s_delay_alu instid0(SALU_CYCLE_1) | instskip(SKIP_1) | instid1(VALU_DEP_2)
	s_cmp_lt_i32 s6, 11
	v_add_nc_u64_e32 v[6:7], s[4:5], v[2:3]
	v_min_i16 v3, v0, v10
	s_cbranch_scc1 .LBB135_1951
; %bb.1942:
	s_and_b32 s4, 0xffff, s6
	s_mov_b32 s5, -1
	s_cmp_gt_i32 s4, 25
	s_mov_b32 s0, s42
	s_cbranch_scc0 .LBB135_1979
; %bb.1943:
	s_cmp_gt_i32 s4, 28
	s_mov_b32 s0, s42
	s_cbranch_scc0 .LBB135_1963
; %bb.1944:
	s_cmp_gt_i32 s4, 43
	s_mov_b32 s0, s42
	s_cbranch_scc0 .LBB135_1959
; %bb.1945:
	s_cmp_gt_i32 s4, 45
	s_mov_b32 s0, s42
	s_cbranch_scc0 .LBB135_1953
; %bb.1946:
	s_cmp_eq_u32 s4, 46
	s_mov_b32 s0, -1
	s_cbranch_scc0 .LBB135_1952
; %bb.1947:
	v_bfe_i32 v0, v3, 0, 16
	s_mov_b32 s0, 0
	s_mov_b32 s5, 0
	s_delay_alu instid0(VALU_DEP_1) | instskip(NEXT) | instid1(VALU_DEP_1)
	v_cvt_f32_i32_e32 v0, v0
	v_bfe_u32 v1, v0, 16, 1
	s_delay_alu instid0(VALU_DEP_1) | instskip(NEXT) | instid1(VALU_DEP_1)
	v_add3_u32 v0, v0, v1, 0x7fff
	v_lshrrev_b32_e32 v0, 16, v0
	global_store_b32 v[6:7], v0, off
	s_branch .LBB135_1953
.LBB135_1948:
	s_or_b32 exec_lo, exec_lo, s7
	s_and_saveexec_b32 s4, s42
	s_cbranch_execnz .LBB135_2021
.LBB135_1949:
	s_or_b32 exec_lo, exec_lo, s4
	s_and_saveexec_b32 s4, s0
	s_delay_alu instid0(SALU_CYCLE_1)
	s_xor_b32 s0, exec_lo, s4
	s_cbranch_execz .LBB135_2022
.LBB135_1950:
	v_cmp_ne_u16_e32 vcc_lo, 0, v3
	s_wait_loadcnt 0x0
	v_cndmask_b32_e64 v0, 0, 1, vcc_lo
	global_store_b8 v[6:7], v0, off
	s_wait_xcnt 0x0
	s_or_b32 exec_lo, exec_lo, s0
	s_and_saveexec_b32 s0, s9
	s_delay_alu instid0(SALU_CYCLE_1)
	s_xor_b32 s0, exec_lo, s0
	s_cbranch_execz .LBB135_2060
	s_branch .LBB135_2023
.LBB135_1951:
	s_mov_b32 s8, 0
	s_mov_b32 s5, -1
	s_mov_b32 s0, s42
	s_branch .LBB135_2020
.LBB135_1952:
	s_mov_b32 s5, 0
.LBB135_1953:
	s_delay_alu instid0(SALU_CYCLE_1)
	s_and_b32 vcc_lo, exec_lo, s5
	s_cbranch_vccz .LBB135_1958
; %bb.1954:
	s_cmp_eq_u32 s4, 44
	s_mov_b32 s0, -1
	s_cbranch_scc0 .LBB135_1958
; %bb.1955:
	s_wait_xcnt 0x0
	v_bfe_i32 v0, v3, 0, 16
	v_mov_b32_e32 v1, 0xff
	s_mov_b32 s5, exec_lo
	s_delay_alu instid0(VALU_DEP_2) | instskip(NEXT) | instid1(VALU_DEP_1)
	v_cvt_f32_i32_e32 v0, v0
	v_bfe_u32 v2, v0, 23, 8
	s_delay_alu instid0(VALU_DEP_1)
	v_cmpx_ne_u32_e32 0xff, v2
	s_cbranch_execz .LBB135_1957
; %bb.1956:
	v_and_b32_e32 v1, 0x400000, v0
	v_and_or_b32 v2, 0x3fffff, v0, v2
	v_lshrrev_b32_e32 v0, 23, v0
	s_delay_alu instid0(VALU_DEP_3) | instskip(NEXT) | instid1(VALU_DEP_3)
	v_cmp_ne_u32_e32 vcc_lo, 0, v1
	v_cmp_ne_u32_e64 s0, 0, v2
	s_and_b32 s0, vcc_lo, s0
	s_delay_alu instid0(SALU_CYCLE_1) | instskip(NEXT) | instid1(VALU_DEP_1)
	v_cndmask_b32_e64 v1, 0, 1, s0
	v_add_nc_u32_e32 v1, v0, v1
.LBB135_1957:
	s_or_b32 exec_lo, exec_lo, s5
	s_mov_b32 s0, 0
	global_store_b8 v[6:7], v1, off
.LBB135_1958:
	s_mov_b32 s5, 0
.LBB135_1959:
	s_delay_alu instid0(SALU_CYCLE_1)
	s_and_b32 vcc_lo, exec_lo, s5
	s_cbranch_vccz .LBB135_1962
; %bb.1960:
	s_cmp_eq_u32 s4, 29
	s_mov_b32 s0, -1
	s_cbranch_scc0 .LBB135_1962
; %bb.1961:
	s_wait_xcnt 0x0
	v_bfe_i32 v0, v3, 0, 16
	s_mov_b32 s0, 0
	s_mov_b32 s5, 0
	s_delay_alu instid0(VALU_DEP_1)
	v_ashrrev_i32_e32 v1, 31, v0
	global_store_b64 v[6:7], v[0:1], off
	s_branch .LBB135_1963
.LBB135_1962:
	s_mov_b32 s5, 0
.LBB135_1963:
	s_delay_alu instid0(SALU_CYCLE_1)
	s_and_b32 vcc_lo, exec_lo, s5
	s_cbranch_vccz .LBB135_1978
; %bb.1964:
	s_cmp_lt_i32 s4, 27
	s_mov_b32 s5, -1
	s_cbranch_scc1 .LBB135_1970
; %bb.1965:
	s_cmp_gt_i32 s4, 27
	s_cbranch_scc0 .LBB135_1967
; %bb.1966:
	s_wait_xcnt 0x0
	v_bfe_i32 v0, v3, 0, 16
	s_mov_b32 s5, 0
	global_store_b32 v[6:7], v0, off
.LBB135_1967:
	s_and_not1_b32 vcc_lo, exec_lo, s5
	s_cbranch_vccnz .LBB135_1969
; %bb.1968:
	global_store_b16 v[6:7], v3, off
.LBB135_1969:
	s_mov_b32 s5, 0
.LBB135_1970:
	s_delay_alu instid0(SALU_CYCLE_1)
	s_and_not1_b32 vcc_lo, exec_lo, s5
	s_cbranch_vccnz .LBB135_1978
; %bb.1971:
	s_wait_xcnt 0x0
	v_bfe_i32 v0, v3, 0, 16
	v_mov_b32_e32 v2, 0x80
	s_mov_b32 s5, exec_lo
	s_delay_alu instid0(VALU_DEP_2) | instskip(NEXT) | instid1(VALU_DEP_1)
	v_cvt_f32_i32_e32 v0, v0
	v_and_b32_e32 v1, 0x7fffffff, v0
	s_delay_alu instid0(VALU_DEP_1)
	v_cmpx_gt_u32_e32 0x43800000, v1
	s_cbranch_execz .LBB135_1977
; %bb.1972:
	v_cmp_lt_u32_e32 vcc_lo, 0x3bffffff, v1
	s_mov_b32 s8, 0
                                        ; implicit-def: $vgpr1
	s_and_saveexec_b32 s9, vcc_lo
	s_delay_alu instid0(SALU_CYCLE_1)
	s_xor_b32 s9, exec_lo, s9
	s_cbranch_execz .LBB135_2119
; %bb.1973:
	v_bfe_u32 v1, v0, 20, 1
	s_mov_b32 s8, exec_lo
	s_delay_alu instid0(VALU_DEP_1) | instskip(NEXT) | instid1(VALU_DEP_1)
	v_add3_u32 v1, v0, v1, 0x487ffff
	v_lshrrev_b32_e32 v1, 20, v1
	s_and_not1_saveexec_b32 s9, s9
	s_cbranch_execnz .LBB135_2120
.LBB135_1974:
	s_or_b32 exec_lo, exec_lo, s9
	v_mov_b32_e32 v2, 0
	s_and_saveexec_b32 s9, s8
.LBB135_1975:
	v_lshrrev_b32_e32 v0, 24, v0
	s_delay_alu instid0(VALU_DEP_1)
	v_and_or_b32 v2, 0x80, v0, v1
.LBB135_1976:
	s_or_b32 exec_lo, exec_lo, s9
.LBB135_1977:
	s_delay_alu instid0(SALU_CYCLE_1)
	s_or_b32 exec_lo, exec_lo, s5
	global_store_b8 v[6:7], v2, off
.LBB135_1978:
	s_mov_b32 s5, 0
.LBB135_1979:
	s_delay_alu instid0(SALU_CYCLE_1)
	s_and_b32 vcc_lo, exec_lo, s5
	s_mov_b32 s5, 0
	s_cbranch_vccz .LBB135_2019
; %bb.1980:
	s_cmp_gt_i32 s4, 22
	s_mov_b32 s8, -1
	s_cbranch_scc0 .LBB135_2012
; %bb.1981:
	s_cmp_lt_i32 s4, 24
	s_cbranch_scc1 .LBB135_2001
; %bb.1982:
	s_cmp_gt_i32 s4, 24
	s_cbranch_scc0 .LBB135_1990
; %bb.1983:
	s_wait_xcnt 0x0
	v_bfe_i32 v0, v3, 0, 16
	v_mov_b32_e32 v2, 0x80
	s_mov_b32 s8, exec_lo
	s_delay_alu instid0(VALU_DEP_2) | instskip(NEXT) | instid1(VALU_DEP_1)
	v_cvt_f32_i32_e32 v0, v0
	v_and_b32_e32 v1, 0x7fffffff, v0
	s_delay_alu instid0(VALU_DEP_1)
	v_cmpx_gt_u32_e32 0x47800000, v1
	s_cbranch_execz .LBB135_1989
; %bb.1984:
	v_cmp_lt_u32_e32 vcc_lo, 0x37ffffff, v1
	s_mov_b32 s9, 0
                                        ; implicit-def: $vgpr1
	s_and_saveexec_b32 s10, vcc_lo
	s_delay_alu instid0(SALU_CYCLE_1)
	s_xor_b32 s10, exec_lo, s10
	s_cbranch_execz .LBB135_2240
; %bb.1985:
	v_bfe_u32 v1, v0, 21, 1
	s_mov_b32 s9, exec_lo
	s_delay_alu instid0(VALU_DEP_1) | instskip(NEXT) | instid1(VALU_DEP_1)
	v_add3_u32 v1, v0, v1, 0x88fffff
	v_lshrrev_b32_e32 v1, 21, v1
	s_and_not1_saveexec_b32 s10, s10
	s_cbranch_execnz .LBB135_2241
.LBB135_1986:
	s_or_b32 exec_lo, exec_lo, s10
	v_mov_b32_e32 v2, 0
	s_and_saveexec_b32 s10, s9
.LBB135_1987:
	v_lshrrev_b32_e32 v0, 24, v0
	s_delay_alu instid0(VALU_DEP_1)
	v_and_or_b32 v2, 0x80, v0, v1
.LBB135_1988:
	s_or_b32 exec_lo, exec_lo, s10
.LBB135_1989:
	s_delay_alu instid0(SALU_CYCLE_1)
	s_or_b32 exec_lo, exec_lo, s8
	s_mov_b32 s8, 0
	global_store_b8 v[6:7], v2, off
.LBB135_1990:
	s_and_b32 vcc_lo, exec_lo, s8
	s_cbranch_vccz .LBB135_2000
; %bb.1991:
	s_wait_xcnt 0x0
	v_bfe_i32 v0, v3, 0, 16
	s_mov_b32 s8, exec_lo
                                        ; implicit-def: $vgpr1
	s_delay_alu instid0(VALU_DEP_1) | instskip(NEXT) | instid1(VALU_DEP_1)
	v_cvt_f32_i32_e32 v0, v0
	v_and_b32_e32 v2, 0x7fffffff, v0
	s_delay_alu instid0(VALU_DEP_1)
	v_cmpx_gt_u32_e32 0x43f00000, v2
	s_xor_b32 s8, exec_lo, s8
	s_cbranch_execz .LBB135_1997
; %bb.1992:
	s_mov_b32 s9, exec_lo
                                        ; implicit-def: $vgpr1
	v_cmpx_lt_u32_e32 0x3c7fffff, v2
	s_xor_b32 s9, exec_lo, s9
; %bb.1993:
	v_bfe_u32 v1, v0, 20, 1
	s_delay_alu instid0(VALU_DEP_1) | instskip(NEXT) | instid1(VALU_DEP_1)
	v_add3_u32 v1, v0, v1, 0x407ffff
	v_and_b32_e32 v2, 0xff00000, v1
	v_lshrrev_b32_e32 v1, 20, v1
	s_delay_alu instid0(VALU_DEP_2) | instskip(NEXT) | instid1(VALU_DEP_2)
	v_cmp_ne_u32_e32 vcc_lo, 0x7f00000, v2
	v_cndmask_b32_e32 v1, 0x7e, v1, vcc_lo
; %bb.1994:
	s_and_not1_saveexec_b32 s9, s9
; %bb.1995:
	v_add_f32_e64 v1, 0x46800000, |v0|
; %bb.1996:
	s_or_b32 exec_lo, exec_lo, s9
                                        ; implicit-def: $vgpr2
.LBB135_1997:
	s_and_not1_saveexec_b32 s8, s8
; %bb.1998:
	v_mov_b32_e32 v1, 0x7f
	v_cmp_lt_u32_e32 vcc_lo, 0x7f800000, v2
	s_delay_alu instid0(VALU_DEP_2)
	v_cndmask_b32_e32 v1, 0x7e, v1, vcc_lo
; %bb.1999:
	s_or_b32 exec_lo, exec_lo, s8
	v_lshrrev_b32_e32 v0, 24, v0
	s_delay_alu instid0(VALU_DEP_1)
	v_and_or_b32 v0, 0x80, v0, v1
	global_store_b8 v[6:7], v0, off
.LBB135_2000:
	s_mov_b32 s8, 0
.LBB135_2001:
	s_delay_alu instid0(SALU_CYCLE_1)
	s_and_not1_b32 vcc_lo, exec_lo, s8
	s_cbranch_vccnz .LBB135_2011
; %bb.2002:
	s_wait_xcnt 0x0
	v_bfe_i32 v0, v3, 0, 16
	s_mov_b32 s8, exec_lo
                                        ; implicit-def: $vgpr1
	s_delay_alu instid0(VALU_DEP_1) | instskip(NEXT) | instid1(VALU_DEP_1)
	v_cvt_f32_i32_e32 v0, v0
	v_and_b32_e32 v2, 0x7fffffff, v0
	s_delay_alu instid0(VALU_DEP_1)
	v_cmpx_gt_u32_e32 0x47800000, v2
	s_xor_b32 s8, exec_lo, s8
	s_cbranch_execz .LBB135_2008
; %bb.2003:
	s_mov_b32 s9, exec_lo
                                        ; implicit-def: $vgpr1
	v_cmpx_lt_u32_e32 0x387fffff, v2
	s_xor_b32 s9, exec_lo, s9
; %bb.2004:
	v_bfe_u32 v1, v0, 21, 1
	s_delay_alu instid0(VALU_DEP_1) | instskip(NEXT) | instid1(VALU_DEP_1)
	v_add3_u32 v1, v0, v1, 0x80fffff
	v_lshrrev_b32_e32 v1, 21, v1
; %bb.2005:
	s_and_not1_saveexec_b32 s9, s9
; %bb.2006:
	v_add_f32_e64 v1, 0x43000000, |v0|
; %bb.2007:
	s_or_b32 exec_lo, exec_lo, s9
                                        ; implicit-def: $vgpr2
.LBB135_2008:
	s_and_not1_saveexec_b32 s8, s8
; %bb.2009:
	v_mov_b32_e32 v1, 0x7f
	v_cmp_lt_u32_e32 vcc_lo, 0x7f800000, v2
	s_delay_alu instid0(VALU_DEP_2)
	v_cndmask_b32_e32 v1, 0x7c, v1, vcc_lo
; %bb.2010:
	s_or_b32 exec_lo, exec_lo, s8
	v_lshrrev_b32_e32 v0, 24, v0
	s_delay_alu instid0(VALU_DEP_1)
	v_and_or_b32 v0, 0x80, v0, v1
	global_store_b8 v[6:7], v0, off
.LBB135_2011:
	s_mov_b32 s8, 0
.LBB135_2012:
	s_delay_alu instid0(SALU_CYCLE_1)
	s_and_not1_b32 vcc_lo, exec_lo, s8
	s_mov_b32 s8, 0
	s_cbranch_vccnz .LBB135_2020
; %bb.2013:
	s_cmp_gt_i32 s4, 14
	s_mov_b32 s8, -1
	s_cbranch_scc0 .LBB135_2017
; %bb.2014:
	s_cmp_eq_u32 s4, 15
	s_mov_b32 s0, -1
	s_cbranch_scc0 .LBB135_2016
; %bb.2015:
	s_wait_xcnt 0x0
	v_bfe_i32 v0, v3, 0, 16
	s_mov_b32 s0, 0
	s_delay_alu instid0(VALU_DEP_1) | instskip(NEXT) | instid1(VALU_DEP_1)
	v_cvt_f32_i32_e32 v0, v0
	v_bfe_u32 v1, v0, 16, 1
	s_delay_alu instid0(VALU_DEP_1)
	v_add3_u32 v0, v0, v1, 0x7fff
	global_store_d16_hi_b16 v[6:7], v0, off
.LBB135_2016:
	s_mov_b32 s8, 0
.LBB135_2017:
	s_delay_alu instid0(SALU_CYCLE_1)
	s_and_b32 vcc_lo, exec_lo, s8
	s_mov_b32 s8, 0
	s_cbranch_vccz .LBB135_2020
; %bb.2018:
	s_cmp_lg_u32 s4, 11
	s_mov_b32 s8, -1
	s_cselect_b32 s4, -1, 0
	s_and_not1_b32 s0, s0, exec_lo
	s_and_b32 s4, s4, exec_lo
	s_delay_alu instid0(SALU_CYCLE_1)
	s_or_b32 s0, s0, s4
	s_branch .LBB135_2020
.LBB135_2019:
	s_mov_b32 s8, 0
.LBB135_2020:
	s_and_b32 s9, s5, exec_lo
	s_and_not1_b32 s4, s42, exec_lo
	s_and_b32 s5, s0, exec_lo
	s_and_b32 s0, s8, exec_lo
	s_or_b32 s42, s4, s5
	s_wait_xcnt 0x0
	s_or_b32 exec_lo, exec_lo, s7
	s_and_saveexec_b32 s4, s42
	s_cbranch_execz .LBB135_1949
.LBB135_2021:
	s_or_b32 s1, s1, exec_lo
	s_and_not1_b32 s0, s0, exec_lo
	s_trap 2
	s_or_b32 exec_lo, exec_lo, s4
	s_and_saveexec_b32 s4, s0
	s_delay_alu instid0(SALU_CYCLE_1)
	s_xor_b32 s0, exec_lo, s4
	s_cbranch_execnz .LBB135_1950
.LBB135_2022:
	s_or_b32 exec_lo, exec_lo, s0
	s_and_saveexec_b32 s0, s9
	s_delay_alu instid0(SALU_CYCLE_1)
	s_xor_b32 s0, exec_lo, s0
	s_cbranch_execz .LBB135_2060
.LBB135_2023:
	s_sext_i32_i16 s5, s6
	s_mov_b32 s4, -1
	s_cmp_lt_i32 s5, 5
	s_cbranch_scc1 .LBB135_2044
; %bb.2024:
	s_cmp_lt_i32 s5, 8
	s_cbranch_scc1 .LBB135_2034
; %bb.2025:
	;; [unrolled: 3-line block ×3, first 2 shown]
	s_cmp_gt_i32 s5, 9
	s_cbranch_scc0 .LBB135_2028
; %bb.2027:
	s_wait_loadcnt 0x0
	v_bfe_i32 v0, v3, 0, 16
	v_mov_b32_e32 v10, 0
	s_mov_b32 s4, 0
	s_delay_alu instid0(VALU_DEP_2) | instskip(NEXT) | instid1(VALU_DEP_2)
	v_cvt_f64_i32_e32 v[8:9], v0
	v_mov_b32_e32 v11, v10
	global_store_b128 v[6:7], v[8:11], off
.LBB135_2028:
	s_and_not1_b32 vcc_lo, exec_lo, s4
	s_cbranch_vccnz .LBB135_2030
; %bb.2029:
	s_wait_loadcnt 0x0
	v_bfe_i32 v0, v3, 0, 16
	v_mov_b32_e32 v1, 0
	s_delay_alu instid0(VALU_DEP_2)
	v_cvt_f32_i32_e32 v0, v0
	global_store_b64 v[6:7], v[0:1], off
.LBB135_2030:
	s_mov_b32 s4, 0
.LBB135_2031:
	s_delay_alu instid0(SALU_CYCLE_1)
	s_and_not1_b32 vcc_lo, exec_lo, s4
	s_cbranch_vccnz .LBB135_2033
; %bb.2032:
	s_wait_loadcnt 0x0
	v_cvt_f16_i16_e32 v0, v3
	s_delay_alu instid0(VALU_DEP_1)
	v_and_b32_e32 v0, 0xffff, v0
	global_store_b32 v[6:7], v0, off
.LBB135_2033:
	s_mov_b32 s4, 0
.LBB135_2034:
	s_delay_alu instid0(SALU_CYCLE_1)
	s_and_not1_b32 vcc_lo, exec_lo, s4
	s_cbranch_vccnz .LBB135_2043
; %bb.2035:
	s_sext_i32_i16 s5, s6
	s_mov_b32 s4, -1
	s_cmp_lt_i32 s5, 6
	s_cbranch_scc1 .LBB135_2041
; %bb.2036:
	s_cmp_gt_i32 s5, 6
	s_cbranch_scc0 .LBB135_2038
; %bb.2037:
	s_wait_loadcnt 0x0
	v_bfe_i32 v0, v3, 0, 16
	s_mov_b32 s4, 0
	s_delay_alu instid0(VALU_DEP_1)
	v_cvt_f64_i32_e32 v[0:1], v0
	global_store_b64 v[6:7], v[0:1], off
.LBB135_2038:
	s_and_not1_b32 vcc_lo, exec_lo, s4
	s_cbranch_vccnz .LBB135_2040
; %bb.2039:
	s_wait_loadcnt 0x0
	v_bfe_i32 v0, v3, 0, 16
	s_delay_alu instid0(VALU_DEP_1)
	v_cvt_f32_i32_e32 v0, v0
	global_store_b32 v[6:7], v0, off
.LBB135_2040:
	s_mov_b32 s4, 0
.LBB135_2041:
	s_delay_alu instid0(SALU_CYCLE_1)
	s_and_not1_b32 vcc_lo, exec_lo, s4
	s_cbranch_vccnz .LBB135_2043
; %bb.2042:
	s_wait_loadcnt 0x0
	v_cvt_f16_i16_e32 v0, v3
	global_store_b16 v[6:7], v0, off
.LBB135_2043:
	s_mov_b32 s4, 0
.LBB135_2044:
	s_delay_alu instid0(SALU_CYCLE_1)
	s_and_not1_b32 vcc_lo, exec_lo, s4
	s_cbranch_vccnz .LBB135_2060
; %bb.2045:
	s_sext_i32_i16 s5, s6
	s_mov_b32 s4, -1
	s_cmp_lt_i32 s5, 2
	s_cbranch_scc1 .LBB135_2055
; %bb.2046:
	s_cmp_lt_i32 s5, 3
	s_cbranch_scc1 .LBB135_2052
; %bb.2047:
	s_wait_loadcnt 0x0
	v_bfe_i32 v0, v3, 0, 16
	s_cmp_gt_i32 s5, 3
	s_cbranch_scc0 .LBB135_2049
; %bb.2048:
	s_delay_alu instid0(VALU_DEP_1)
	v_ashrrev_i32_e32 v1, 31, v0
	s_mov_b32 s4, 0
	global_store_b64 v[6:7], v[0:1], off
.LBB135_2049:
	s_and_not1_b32 vcc_lo, exec_lo, s4
	s_cbranch_vccnz .LBB135_2051
; %bb.2050:
	global_store_b32 v[6:7], v0, off
.LBB135_2051:
	s_mov_b32 s4, 0
.LBB135_2052:
	s_delay_alu instid0(SALU_CYCLE_1)
	s_and_not1_b32 vcc_lo, exec_lo, s4
	s_cbranch_vccnz .LBB135_2054
; %bb.2053:
	global_store_b16 v[6:7], v3, off
.LBB135_2054:
	s_mov_b32 s4, 0
.LBB135_2055:
	s_delay_alu instid0(SALU_CYCLE_1)
	s_and_not1_b32 vcc_lo, exec_lo, s4
	s_cbranch_vccnz .LBB135_2060
; %bb.2056:
	s_sext_i32_i16 s4, s6
	s_delay_alu instid0(SALU_CYCLE_1)
	s_cmp_gt_i32 s4, 0
	s_mov_b32 s4, -1
	s_cbranch_scc0 .LBB135_2058
; %bb.2057:
	s_mov_b32 s4, 0
	global_store_b8 v[6:7], v3, off
.LBB135_2058:
	s_and_not1_b32 vcc_lo, exec_lo, s4
	s_cbranch_vccnz .LBB135_2060
; %bb.2059:
	global_store_b8 v[6:7], v3, off
.LBB135_2060:
	s_wait_xcnt 0x0
	s_or_b32 exec_lo, exec_lo, s0
	s_delay_alu instid0(SALU_CYCLE_1)
	s_and_b32 s10, s1, exec_lo
                                        ; implicit-def: $vgpr1
                                        ; implicit-def: $vgpr0
.LBB135_2061:
	s_or_saveexec_b32 s11, s37
	s_mov_b32 s0, 0
                                        ; implicit-def: $vgpr2_vgpr3
                                        ; implicit-def: $sgpr1
                                        ; implicit-def: $vgpr4
	s_xor_b32 exec_lo, exec_lo, s11
	s_cbranch_execz .LBB135_4060
; %bb.2062:
	v_cndmask_b32_e64 v3, 0, 1, s36
	s_and_not1_b32 vcc_lo, exec_lo, s36
	s_cbranch_vccnz .LBB135_2068
; %bb.2063:
	s_cmp_lg_u32 s33, 0
	s_mov_b32 s6, 0
	s_cbranch_scc0 .LBB135_2072
; %bb.2064:
	s_min_u32 s7, s34, 15
	s_wait_loadcnt 0x0
	v_dual_mov_b32 v12, 0 :: v_dual_mov_b32 v2, v0
	v_dual_mov_b32 v18, 0 :: v_dual_mov_b32 v6, 0
	v_mov_b32_e32 v8, 0
	s_add_co_i32 s4, s7, 1
	s_mov_b64 s[0:1], 0xffffffffffffffe0
	s_and_b32 s8, s4, 30
	s_add_nc_u64 s[0:1], s[2:3], s[0:1]
	s_mov_b64 s[4:5], s[2:3]
.LBB135_2065:                           ; =>This Inner Loop Header: Depth=1
	s_clause 0x1
	s_load_b128 s[20:23], s[4:5], 0x4
	s_load_b64 s[24:25], s[4:5], 0x14
	s_load_b256 s[12:19], s[0:1], 0xe4
	s_add_co_i32 s8, s8, -2
	s_wait_xcnt 0x0
	s_add_nc_u64 s[4:5], s[4:5], 24
	s_cmp_lg_u32 s8, 0
	s_add_nc_u64 s[0:1], s[0:1], 32
	s_wait_kmcnt 0x0
	v_mul_hi_u32 v4, s21, v2
	s_delay_alu instid0(VALU_DEP_1) | instskip(NEXT) | instid1(VALU_DEP_1)
	v_add_nc_u32_e32 v4, v2, v4
	v_lshrrev_b32_e32 v4, s22, v4
	s_delay_alu instid0(VALU_DEP_1) | instskip(SKIP_1) | instid1(VALU_DEP_1)
	v_mul_hi_u32 v5, s24, v4
	v_mul_lo_u32 v7, v4, s20
	v_dual_add_nc_u32 v5, v4, v5 :: v_dual_sub_nc_u32 v7, v2, v7
	s_delay_alu instid0(VALU_DEP_1) | instskip(NEXT) | instid1(VALU_DEP_2)
	v_lshrrev_b32_e32 v2, s25, v5
	v_mad_u32 v8, v7, s13, v8
	v_mad_u32 v6, v7, s12, v6
	;; [unrolled: 1-line block ×4, first 2 shown]
	v_mul_lo_u32 v5, v2, s23
	s_delay_alu instid0(VALU_DEP_1) | instskip(NEXT) | instid1(VALU_DEP_1)
	v_sub_nc_u32_e32 v4, v4, v5
	v_mad_u32 v8, v4, s17, v8
	v_mad_u32 v6, v4, s16, v6
	;; [unrolled: 1-line block ×4, first 2 shown]
	s_cbranch_scc1 .LBB135_2065
; %bb.2066:
	s_bitcmp1_b32 s7, 0
	s_cselect_b32 s7, -1, 0
	s_delay_alu instid0(SALU_CYCLE_1)
	s_and_b32 vcc_lo, exec_lo, s7
	s_cbranch_vccnz .LBB135_2069
; %bb.2067:
	s_load_b96 s[16:18], s[4:5], 0x4
	s_load_b128 s[12:15], s[0:1], 0xe4
	s_wait_kmcnt 0x0
	v_mul_hi_u32 v4, s17, v2
	s_delay_alu instid0(VALU_DEP_1) | instskip(NEXT) | instid1(VALU_DEP_1)
	v_add_nc_u32_e32 v4, v2, v4
	v_lshrrev_b32_e32 v4, s18, v4
	s_delay_alu instid0(VALU_DEP_1) | instskip(NEXT) | instid1(VALU_DEP_1)
	v_mul_lo_u32 v4, v4, s16
	v_sub_nc_u32_e32 v2, v2, v4
	s_delay_alu instid0(VALU_DEP_1)
	v_mad_u32 v6, v2, s12, v6
	v_mad_u32 v8, v2, s13, v8
	;; [unrolled: 1-line block ×4, first 2 shown]
	s_and_not1_b32 vcc_lo, exec_lo, s6
	s_cbranch_vccz .LBB135_2070
	s_branch .LBB135_2073
.LBB135_2068:
	s_mov_b32 s6, -1
                                        ; implicit-def: $vgpr8
                                        ; implicit-def: $vgpr6
                                        ; implicit-def: $vgpr18
                                        ; implicit-def: $vgpr12
.LBB135_2069:
	s_delay_alu instid0(SALU_CYCLE_1)
	s_and_not1_b32 vcc_lo, exec_lo, s6
	s_cbranch_vccnz .LBB135_2073
.LBB135_2070:
	s_clause 0x1
	s_load_b96 s[12:14], s[2:3], 0x4
	s_load_b128 s[4:7], s[2:3], 0xc4
	s_cmp_lt_u32 s33, 2
	s_wait_loadcnt 0x0
	s_wait_kmcnt 0x0
	v_mul_hi_u32 v2, s13, v0
	s_delay_alu instid0(VALU_DEP_1) | instskip(NEXT) | instid1(VALU_DEP_1)
	v_add_nc_u32_e32 v2, v0, v2
	v_lshrrev_b32_e32 v2, s14, v2
	s_delay_alu instid0(VALU_DEP_1) | instskip(NEXT) | instid1(VALU_DEP_1)
	v_mul_lo_u32 v4, v2, s12
	v_sub_nc_u32_e32 v4, v0, v4
	s_delay_alu instid0(VALU_DEP_1)
	v_mul_lo_u32 v8, v4, s5
	v_mul_lo_u32 v6, v4, s4
	;; [unrolled: 1-line block ×4, first 2 shown]
	s_cbranch_scc1 .LBB135_2073
; %bb.2071:
	s_clause 0x1
	s_load_b96 s[12:14], s[2:3], 0x10
	s_load_b128 s[4:7], s[2:3], 0xd4
	s_wait_kmcnt 0x0
	v_mul_hi_u32 v4, s13, v2
	s_delay_alu instid0(VALU_DEP_1) | instskip(NEXT) | instid1(VALU_DEP_1)
	v_add_nc_u32_e32 v4, v2, v4
	v_lshrrev_b32_e32 v4, s14, v4
	s_delay_alu instid0(VALU_DEP_1) | instskip(NEXT) | instid1(VALU_DEP_1)
	v_mul_lo_u32 v4, v4, s12
	v_sub_nc_u32_e32 v2, v2, v4
	s_delay_alu instid0(VALU_DEP_1)
	v_mad_u32 v6, v2, s4, v6
	v_mad_u32 v8, v2, s5, v8
	;; [unrolled: 1-line block ×4, first 2 shown]
	s_branch .LBB135_2073
.LBB135_2072:
	s_wait_loadcnt 0x0
	v_dual_mov_b32 v8, 0 :: v_dual_mov_b32 v6, 0
	v_dual_mov_b32 v18, 0 :: v_dual_mov_b32 v12, 0
	s_and_not1_b32 vcc_lo, exec_lo, s6
	s_cbranch_vccz .LBB135_2070
.LBB135_2073:
	v_cmp_ne_u32_e32 vcc_lo, 1, v3
	s_wait_loadcnt 0x0
	v_add_nc_u32_e32 v2, 0x80, v0
	s_cbranch_vccnz .LBB135_2079
; %bb.2074:
	s_cmp_lg_u32 s33, 0
	s_mov_b32 s6, 0
	s_cbranch_scc0 .LBB135_2083
; %bb.2075:
	s_min_u32 s7, s34, 15
	v_dual_mov_b32 v22, 0 :: v_dual_mov_b32 v5, v2
	v_dual_mov_b32 v28, 0 :: v_dual_mov_b32 v4, 0
	v_mov_b32_e32 v16, 0
	s_add_co_i32 s4, s7, 1
	s_mov_b64 s[0:1], 0xffffffffffffffe0
	s_and_b32 s8, s4, 30
	s_add_nc_u64 s[0:1], s[2:3], s[0:1]
	s_mov_b64 s[4:5], s[2:3]
.LBB135_2076:                           ; =>This Inner Loop Header: Depth=1
	s_clause 0x1
	s_load_b128 s[20:23], s[4:5], 0x4
	s_load_b64 s[24:25], s[4:5], 0x14
	s_load_b256 s[12:19], s[0:1], 0xe4
	s_add_co_i32 s8, s8, -2
	s_wait_xcnt 0x0
	s_add_nc_u64 s[4:5], s[4:5], 24
	s_cmp_lg_u32 s8, 0
	s_add_nc_u64 s[0:1], s[0:1], 32
	s_wait_kmcnt 0x0
	v_mul_hi_u32 v7, s21, v5
	s_delay_alu instid0(VALU_DEP_1) | instskip(NEXT) | instid1(VALU_DEP_1)
	v_add_nc_u32_e32 v7, v5, v7
	v_lshrrev_b32_e32 v7, s22, v7
	s_delay_alu instid0(VALU_DEP_1) | instskip(SKIP_1) | instid1(VALU_DEP_1)
	v_mul_hi_u32 v9, s24, v7
	v_mul_lo_u32 v10, v7, s20
	v_dual_add_nc_u32 v9, v7, v9 :: v_dual_sub_nc_u32 v10, v5, v10
	s_delay_alu instid0(VALU_DEP_1) | instskip(NEXT) | instid1(VALU_DEP_2)
	v_lshrrev_b32_e32 v5, s25, v9
	v_mad_u32 v11, v10, s13, v16
	v_mad_u32 v4, v10, s12, v4
	;; [unrolled: 1-line block ×4, first 2 shown]
	v_mul_lo_u32 v9, v5, s23
	s_delay_alu instid0(VALU_DEP_1) | instskip(NEXT) | instid1(VALU_DEP_1)
	v_sub_nc_u32_e32 v7, v7, v9
	v_mad_u32 v16, v7, s17, v11
	v_mad_u32 v4, v7, s16, v4
	;; [unrolled: 1-line block ×4, first 2 shown]
	s_cbranch_scc1 .LBB135_2076
; %bb.2077:
	s_bitcmp1_b32 s7, 0
	s_cselect_b32 s7, -1, 0
	s_delay_alu instid0(SALU_CYCLE_1)
	s_and_b32 vcc_lo, exec_lo, s7
	s_cbranch_vccnz .LBB135_2080
; %bb.2078:
	s_load_b96 s[16:18], s[4:5], 0x4
	s_load_b128 s[12:15], s[0:1], 0xe4
	s_wait_kmcnt 0x0
	v_mul_hi_u32 v7, s17, v5
	s_delay_alu instid0(VALU_DEP_1) | instskip(NEXT) | instid1(VALU_DEP_1)
	v_add_nc_u32_e32 v7, v5, v7
	v_lshrrev_b32_e32 v7, s18, v7
	s_delay_alu instid0(VALU_DEP_1) | instskip(NEXT) | instid1(VALU_DEP_1)
	v_mul_lo_u32 v7, v7, s16
	v_sub_nc_u32_e32 v5, v5, v7
	s_delay_alu instid0(VALU_DEP_1)
	v_mad_u32 v4, v5, s12, v4
	v_mad_u32 v16, v5, s13, v16
	;; [unrolled: 1-line block ×4, first 2 shown]
	s_and_not1_b32 vcc_lo, exec_lo, s6
	s_cbranch_vccz .LBB135_2081
	s_branch .LBB135_2084
.LBB135_2079:
	s_mov_b32 s6, -1
                                        ; implicit-def: $vgpr16
                                        ; implicit-def: $vgpr4
                                        ; implicit-def: $vgpr28
                                        ; implicit-def: $vgpr22
.LBB135_2080:
	s_delay_alu instid0(SALU_CYCLE_1)
	s_and_not1_b32 vcc_lo, exec_lo, s6
	s_cbranch_vccnz .LBB135_2084
.LBB135_2081:
	s_clause 0x1
	s_load_b96 s[12:14], s[2:3], 0x4
	s_load_b128 s[4:7], s[2:3], 0xc4
	s_cmp_lt_u32 s33, 2
	s_wait_kmcnt 0x0
	v_mul_hi_u32 v4, s13, v2
	s_delay_alu instid0(VALU_DEP_1) | instskip(NEXT) | instid1(VALU_DEP_1)
	v_add_nc_u32_e32 v4, v2, v4
	v_lshrrev_b32_e32 v5, s14, v4
	s_delay_alu instid0(VALU_DEP_1) | instskip(NEXT) | instid1(VALU_DEP_1)
	v_mul_lo_u32 v4, v5, s12
	v_sub_nc_u32_e32 v2, v2, v4
	s_delay_alu instid0(VALU_DEP_1)
	v_mul_lo_u32 v16, v2, s5
	v_mul_lo_u32 v4, v2, s4
	v_mul_lo_u32 v28, v2, s7
	v_mul_lo_u32 v22, v2, s6
	s_cbranch_scc1 .LBB135_2084
; %bb.2082:
	s_clause 0x1
	s_load_b96 s[12:14], s[2:3], 0x10
	s_load_b128 s[4:7], s[2:3], 0xd4
	s_wait_kmcnt 0x0
	v_mul_hi_u32 v2, s13, v5
	s_delay_alu instid0(VALU_DEP_1) | instskip(NEXT) | instid1(VALU_DEP_1)
	v_add_nc_u32_e32 v2, v5, v2
	v_lshrrev_b32_e32 v2, s14, v2
	s_delay_alu instid0(VALU_DEP_1) | instskip(NEXT) | instid1(VALU_DEP_1)
	v_mul_lo_u32 v2, v2, s12
	v_sub_nc_u32_e32 v2, v5, v2
	s_delay_alu instid0(VALU_DEP_1)
	v_mad_u32 v4, v2, s4, v4
	v_mad_u32 v16, v2, s5, v16
	v_mad_u32 v22, v2, s6, v22
	v_mad_u32 v28, v2, s7, v28
	s_branch .LBB135_2084
.LBB135_2083:
	v_dual_mov_b32 v16, 0 :: v_dual_mov_b32 v4, 0
	v_dual_mov_b32 v28, 0 :: v_dual_mov_b32 v22, 0
	s_and_not1_b32 vcc_lo, exec_lo, s6
	s_cbranch_vccz .LBB135_2081
.LBB135_2084:
	v_cmp_ne_u32_e32 vcc_lo, 1, v3
	v_add_nc_u32_e32 v0, 0x100, v0
	s_cbranch_vccnz .LBB135_2090
; %bb.2085:
	s_cmp_lg_u32 s33, 0
	s_mov_b32 s6, 0
	s_cbranch_scc0 .LBB135_2094
; %bb.2086:
	s_min_u32 s7, s34, 15
	v_dual_mov_b32 v30, 0 :: v_dual_mov_b32 v5, v0
	v_dual_mov_b32 v24, 0 :: v_dual_mov_b32 v2, 0
	v_mov_b32_e32 v26, 0
	s_add_co_i32 s4, s7, 1
	s_mov_b64 s[0:1], 0xffffffffffffffe0
	s_and_b32 s8, s4, 30
	s_add_nc_u64 s[0:1], s[2:3], s[0:1]
	s_mov_b64 s[4:5], s[2:3]
.LBB135_2087:                           ; =>This Inner Loop Header: Depth=1
	s_clause 0x1
	s_load_b128 s[20:23], s[4:5], 0x4
	s_load_b64 s[24:25], s[4:5], 0x14
	s_load_b256 s[12:19], s[0:1], 0xe4
	s_add_co_i32 s8, s8, -2
	s_wait_xcnt 0x0
	s_add_nc_u64 s[4:5], s[4:5], 24
	s_cmp_lg_u32 s8, 0
	s_add_nc_u64 s[0:1], s[0:1], 32
	s_wait_kmcnt 0x0
	v_mul_hi_u32 v7, s21, v5
	s_delay_alu instid0(VALU_DEP_1) | instskip(NEXT) | instid1(VALU_DEP_1)
	v_add_nc_u32_e32 v7, v5, v7
	v_lshrrev_b32_e32 v7, s22, v7
	s_delay_alu instid0(VALU_DEP_1) | instskip(SKIP_1) | instid1(VALU_DEP_1)
	v_mul_hi_u32 v9, s24, v7
	v_mul_lo_u32 v10, v7, s20
	v_dual_add_nc_u32 v9, v7, v9 :: v_dual_sub_nc_u32 v10, v5, v10
	s_delay_alu instid0(VALU_DEP_1) | instskip(NEXT) | instid1(VALU_DEP_2)
	v_lshrrev_b32_e32 v5, s25, v9
	v_mad_u32 v11, v10, s13, v26
	v_mad_u32 v2, v10, s12, v2
	;; [unrolled: 1-line block ×4, first 2 shown]
	v_mul_lo_u32 v9, v5, s23
	s_delay_alu instid0(VALU_DEP_1) | instskip(NEXT) | instid1(VALU_DEP_1)
	v_sub_nc_u32_e32 v7, v7, v9
	v_mad_u32 v26, v7, s17, v11
	v_mad_u32 v2, v7, s16, v2
	;; [unrolled: 1-line block ×4, first 2 shown]
	s_cbranch_scc1 .LBB135_2087
; %bb.2088:
	s_bitcmp1_b32 s7, 0
	s_cselect_b32 s7, -1, 0
	s_delay_alu instid0(SALU_CYCLE_1)
	s_and_b32 vcc_lo, exec_lo, s7
	s_cbranch_vccnz .LBB135_2091
; %bb.2089:
	s_load_b96 s[16:18], s[4:5], 0x4
	s_load_b128 s[12:15], s[0:1], 0xe4
	s_wait_kmcnt 0x0
	v_mul_hi_u32 v7, s17, v5
	s_delay_alu instid0(VALU_DEP_1) | instskip(NEXT) | instid1(VALU_DEP_1)
	v_add_nc_u32_e32 v7, v5, v7
	v_lshrrev_b32_e32 v7, s18, v7
	s_delay_alu instid0(VALU_DEP_1) | instskip(NEXT) | instid1(VALU_DEP_1)
	v_mul_lo_u32 v7, v7, s16
	v_sub_nc_u32_e32 v5, v5, v7
	s_delay_alu instid0(VALU_DEP_1)
	v_mad_u32 v2, v5, s12, v2
	v_mad_u32 v26, v5, s13, v26
	;; [unrolled: 1-line block ×4, first 2 shown]
	s_and_not1_b32 vcc_lo, exec_lo, s6
	s_cbranch_vccz .LBB135_2092
	s_branch .LBB135_2095
.LBB135_2090:
	s_mov_b32 s6, -1
                                        ; implicit-def: $vgpr26
                                        ; implicit-def: $vgpr2
                                        ; implicit-def: $vgpr24
                                        ; implicit-def: $vgpr30
.LBB135_2091:
	s_delay_alu instid0(SALU_CYCLE_1)
	s_and_not1_b32 vcc_lo, exec_lo, s6
	s_cbranch_vccnz .LBB135_2095
.LBB135_2092:
	s_clause 0x1
	s_load_b96 s[12:14], s[2:3], 0x4
	s_load_b128 s[4:7], s[2:3], 0xc4
	s_cmp_lt_u32 s33, 2
	s_wait_kmcnt 0x0
	v_mul_hi_u32 v2, s13, v0
	s_delay_alu instid0(VALU_DEP_1) | instskip(NEXT) | instid1(VALU_DEP_1)
	v_add_nc_u32_e32 v2, v0, v2
	v_lshrrev_b32_e32 v5, s14, v2
	s_delay_alu instid0(VALU_DEP_1) | instskip(NEXT) | instid1(VALU_DEP_1)
	v_mul_lo_u32 v2, v5, s12
	v_sub_nc_u32_e32 v0, v0, v2
	s_delay_alu instid0(VALU_DEP_1)
	v_mul_lo_u32 v26, v0, s5
	v_mul_lo_u32 v2, v0, s4
	;; [unrolled: 1-line block ×4, first 2 shown]
	s_cbranch_scc1 .LBB135_2095
; %bb.2093:
	s_clause 0x1
	s_load_b96 s[12:14], s[2:3], 0x10
	s_load_b128 s[4:7], s[2:3], 0xd4
	s_wait_kmcnt 0x0
	v_mul_hi_u32 v0, s13, v5
	s_delay_alu instid0(VALU_DEP_1) | instskip(NEXT) | instid1(VALU_DEP_1)
	v_add_nc_u32_e32 v0, v5, v0
	v_lshrrev_b32_e32 v0, s14, v0
	s_delay_alu instid0(VALU_DEP_1) | instskip(NEXT) | instid1(VALU_DEP_1)
	v_mul_lo_u32 v0, v0, s12
	v_sub_nc_u32_e32 v0, v5, v0
	s_delay_alu instid0(VALU_DEP_1)
	v_mad_u32 v2, v0, s4, v2
	v_mad_u32 v26, v0, s5, v26
	;; [unrolled: 1-line block ×4, first 2 shown]
	s_branch .LBB135_2095
.LBB135_2094:
	v_dual_mov_b32 v26, 0 :: v_dual_mov_b32 v2, 0
	v_dual_mov_b32 v24, 0 :: v_dual_mov_b32 v30, 0
	s_and_not1_b32 vcc_lo, exec_lo, s6
	s_cbranch_vccz .LBB135_2092
.LBB135_2095:
	v_cmp_ne_u32_e32 vcc_lo, 1, v3
	s_cbranch_vccnz .LBB135_2101
; %bb.2096:
	s_cmp_lg_u32 s33, 0
	s_mov_b32 s6, 0
	s_cbranch_scc0 .LBB135_2105
; %bb.2097:
	s_min_u32 s7, s34, 15
	v_dual_mov_b32 v14, 0 :: v_dual_mov_b32 v3, v1
	v_dual_mov_b32 v10, 0 :: v_dual_mov_b32 v0, 0
	v_mov_b32_e32 v20, 0
	s_add_co_i32 s4, s7, 1
	s_mov_b64 s[0:1], 0xffffffffffffffe0
	s_and_b32 s8, s4, 30
	s_add_nc_u64 s[0:1], s[2:3], s[0:1]
	s_mov_b64 s[4:5], s[2:3]
.LBB135_2098:                           ; =>This Inner Loop Header: Depth=1
	s_clause 0x1
	s_load_b128 s[20:23], s[4:5], 0x4
	s_load_b64 s[24:25], s[4:5], 0x14
	s_load_b256 s[12:19], s[0:1], 0xe4
	s_add_co_i32 s8, s8, -2
	s_wait_xcnt 0x0
	s_add_nc_u64 s[4:5], s[4:5], 24
	s_cmp_lg_u32 s8, 0
	s_add_nc_u64 s[0:1], s[0:1], 32
	s_wait_kmcnt 0x0
	v_mul_hi_u32 v5, s21, v3
	s_delay_alu instid0(VALU_DEP_1) | instskip(NEXT) | instid1(VALU_DEP_1)
	v_add_nc_u32_e32 v5, v3, v5
	v_lshrrev_b32_e32 v5, s22, v5
	s_delay_alu instid0(VALU_DEP_1) | instskip(SKIP_1) | instid1(VALU_DEP_1)
	v_mul_hi_u32 v7, s24, v5
	v_mul_lo_u32 v9, v5, s20
	v_dual_add_nc_u32 v7, v5, v7 :: v_dual_sub_nc_u32 v9, v3, v9
	s_delay_alu instid0(VALU_DEP_1) | instskip(NEXT) | instid1(VALU_DEP_2)
	v_lshrrev_b32_e32 v3, s25, v7
	v_mad_u32 v11, v9, s13, v20
	v_mad_u32 v0, v9, s12, v0
	;; [unrolled: 1-line block ×4, first 2 shown]
	v_mul_lo_u32 v7, v3, s23
	s_delay_alu instid0(VALU_DEP_1) | instskip(NEXT) | instid1(VALU_DEP_1)
	v_sub_nc_u32_e32 v5, v5, v7
	v_mad_u32 v20, v5, s17, v11
	v_mad_u32 v0, v5, s16, v0
	;; [unrolled: 1-line block ×4, first 2 shown]
	s_cbranch_scc1 .LBB135_2098
; %bb.2099:
	s_bitcmp1_b32 s7, 0
	s_cselect_b32 s7, -1, 0
	s_delay_alu instid0(SALU_CYCLE_1)
	s_and_b32 vcc_lo, exec_lo, s7
	s_cbranch_vccnz .LBB135_2102
; %bb.2100:
	s_load_b96 s[16:18], s[4:5], 0x4
	s_load_b128 s[12:15], s[0:1], 0xe4
	s_wait_kmcnt 0x0
	v_mul_hi_u32 v5, s17, v3
	s_delay_alu instid0(VALU_DEP_1) | instskip(NEXT) | instid1(VALU_DEP_1)
	v_add_nc_u32_e32 v5, v3, v5
	v_lshrrev_b32_e32 v5, s18, v5
	s_delay_alu instid0(VALU_DEP_1) | instskip(NEXT) | instid1(VALU_DEP_1)
	v_mul_lo_u32 v5, v5, s16
	v_sub_nc_u32_e32 v3, v3, v5
	s_delay_alu instid0(VALU_DEP_1)
	v_mad_u32 v0, v3, s12, v0
	v_mad_u32 v20, v3, s13, v20
	;; [unrolled: 1-line block ×4, first 2 shown]
	s_and_not1_b32 vcc_lo, exec_lo, s6
	s_cbranch_vccz .LBB135_2103
	s_branch .LBB135_2106
.LBB135_2101:
	s_mov_b32 s6, -1
                                        ; implicit-def: $vgpr20
                                        ; implicit-def: $vgpr0
                                        ; implicit-def: $vgpr10
                                        ; implicit-def: $vgpr14
.LBB135_2102:
	s_delay_alu instid0(SALU_CYCLE_1)
	s_and_not1_b32 vcc_lo, exec_lo, s6
	s_cbranch_vccnz .LBB135_2106
.LBB135_2103:
	s_clause 0x1
	s_load_b96 s[12:14], s[2:3], 0x4
	s_load_b128 s[4:7], s[2:3], 0xc4
	s_cmp_lt_u32 s33, 2
	s_wait_kmcnt 0x0
	v_mul_hi_u32 v0, s13, v1
	s_delay_alu instid0(VALU_DEP_1) | instskip(NEXT) | instid1(VALU_DEP_1)
	v_add_nc_u32_e32 v0, v1, v0
	v_lshrrev_b32_e32 v3, s14, v0
	s_delay_alu instid0(VALU_DEP_1) | instskip(NEXT) | instid1(VALU_DEP_1)
	v_mul_lo_u32 v0, v3, s12
	v_sub_nc_u32_e32 v1, v1, v0
	s_delay_alu instid0(VALU_DEP_1)
	v_mul_lo_u32 v20, v1, s5
	v_mul_lo_u32 v0, v1, s4
	;; [unrolled: 1-line block ×4, first 2 shown]
	s_cbranch_scc1 .LBB135_2106
; %bb.2104:
	s_clause 0x1
	s_load_b96 s[12:14], s[2:3], 0x10
	s_load_b128 s[4:7], s[2:3], 0xd4
	s_wait_kmcnt 0x0
	v_mul_hi_u32 v1, s13, v3
	s_delay_alu instid0(VALU_DEP_1) | instskip(NEXT) | instid1(VALU_DEP_1)
	v_add_nc_u32_e32 v1, v3, v1
	v_lshrrev_b32_e32 v1, s14, v1
	s_delay_alu instid0(VALU_DEP_1) | instskip(NEXT) | instid1(VALU_DEP_1)
	v_mul_lo_u32 v1, v1, s12
	v_sub_nc_u32_e32 v1, v3, v1
	s_delay_alu instid0(VALU_DEP_1)
	v_mad_u32 v0, v1, s4, v0
	v_mad_u32 v20, v1, s5, v20
	;; [unrolled: 1-line block ×4, first 2 shown]
	s_branch .LBB135_2106
.LBB135_2105:
	v_dual_mov_b32 v20, 0 :: v_dual_mov_b32 v0, 0
	v_dual_mov_b32 v10, 0 :: v_dual_mov_b32 v14, 0
	s_and_not1_b32 vcc_lo, exec_lo, s6
	s_cbranch_vccz .LBB135_2103
.LBB135_2106:
	v_mov_b32_e32 v9, 0
	s_load_b128 s[4:7], s[2:3], 0x1c8
	global_load_u8 v1, v9, s[2:3] offset:490
	s_wait_kmcnt 0x0
	v_add_nc_u64_e32 v[32:33], s[6:7], v[8:9]
	s_wait_loadcnt 0x0
	v_and_b32_e32 v3, 0xffff, v1
	v_readfirstlane_b32 s13, v1
	s_delay_alu instid0(VALU_DEP_2)
	v_cmp_gt_i32_e32 vcc_lo, 11, v3
	s_cbranch_vccnz .LBB135_2113
; %bb.2107:
	s_and_b32 s0, 0xffff, s13
	s_mov_b32 s8, 0
	s_cmp_gt_i32 s0, 25
	s_cbranch_scc0 .LBB135_2115
; %bb.2108:
	s_cmp_gt_i32 s0, 28
	s_cbranch_scc0 .LBB135_2116
; %bb.2109:
	;; [unrolled: 3-line block ×4, first 2 shown]
	s_cmp_eq_u32 s0, 46
	s_mov_b32 s12, 0
	s_cbranch_scc0 .LBB135_2121
; %bb.2112:
	global_load_b32 v1, v[32:33], off
	s_mov_b32 s1, 0
	s_mov_b32 s9, -1
	s_wait_loadcnt 0x0
	v_lshlrev_b32_e32 v1, 16, v1
	s_delay_alu instid0(VALU_DEP_1)
	v_cvt_i32_f32_e32 v8, v1
	s_branch .LBB135_2123
.LBB135_2113:
	s_mov_b32 s9, 0
	s_mov_b32 s12, s10
                                        ; implicit-def: $vgpr8
	s_cbranch_execnz .LBB135_2181
.LBB135_2114:
	s_and_not1_b32 vcc_lo, exec_lo, s9
	s_cbranch_vccz .LBB135_2226
	s_branch .LBB135_4058
.LBB135_2115:
	s_mov_b32 s9, 0
	s_mov_b32 s1, 0
                                        ; implicit-def: $vgpr8
	s_cbranch_execnz .LBB135_2148
	s_branch .LBB135_2177
.LBB135_2116:
	s_mov_b32 s9, 0
	s_mov_b32 s1, 0
                                        ; implicit-def: $vgpr8
	s_cbranch_execz .LBB135_2147
	s_branch .LBB135_2132
.LBB135_2117:
	s_mov_b32 s9, 0
	s_mov_b32 s1, 0
                                        ; implicit-def: $vgpr8
	s_cbranch_execnz .LBB135_2128
	s_branch .LBB135_2131
.LBB135_2118:
	s_mov_b32 s12, -1
	s_mov_b32 s9, 0
	s_mov_b32 s1, 0
	s_branch .LBB135_2122
.LBB135_2119:
	s_and_not1_saveexec_b32 s9, s9
	s_cbranch_execz .LBB135_1974
.LBB135_2120:
	v_add_f32_e64 v1, 0x46000000, |v0|
	s_and_not1_b32 s8, s8, exec_lo
	s_delay_alu instid0(VALU_DEP_1) | instskip(NEXT) | instid1(VALU_DEP_1)
	v_and_b32_e32 v1, 0xff, v1
	v_cmp_ne_u32_e32 vcc_lo, 0, v1
	s_and_b32 s10, vcc_lo, exec_lo
	s_delay_alu instid0(SALU_CYCLE_1)
	s_or_b32 s8, s8, s10
	s_or_b32 exec_lo, exec_lo, s9
	v_mov_b32_e32 v2, 0
	s_and_saveexec_b32 s9, s8
	s_cbranch_execnz .LBB135_1975
	s_branch .LBB135_1976
.LBB135_2121:
	s_mov_b32 s1, -1
	s_mov_b32 s9, 0
.LBB135_2122:
                                        ; implicit-def: $vgpr8
.LBB135_2123:
	s_and_b32 vcc_lo, exec_lo, s12
	s_cbranch_vccz .LBB135_2126
; %bb.2124:
	s_cmp_eq_u32 s0, 44
	s_cbranch_scc0 .LBB135_2127
; %bb.2125:
	global_load_u8 v1, v[32:33], off
	s_mov_b32 s1, 0
	s_mov_b32 s9, -1
	s_wait_loadcnt 0x0
	v_lshlrev_b32_e32 v3, 23, v1
	v_cmp_ne_u32_e32 vcc_lo, 0, v1
	s_delay_alu instid0(VALU_DEP_2) | instskip(NEXT) | instid1(VALU_DEP_1)
	v_cvt_i32_f32_e32 v3, v3
	v_cndmask_b32_e32 v8, 0, v3, vcc_lo
.LBB135_2126:
	s_branch .LBB135_2131
.LBB135_2127:
	s_mov_b32 s1, -1
                                        ; implicit-def: $vgpr8
	s_branch .LBB135_2131
.LBB135_2128:
	s_cmp_eq_u32 s0, 29
	s_cbranch_scc0 .LBB135_2130
; %bb.2129:
	global_load_b64 v[8:9], v[32:33], off
	s_mov_b32 s1, 0
	s_mov_b32 s9, -1
	s_branch .LBB135_2131
.LBB135_2130:
	s_mov_b32 s1, -1
                                        ; implicit-def: $vgpr8
.LBB135_2131:
	s_branch .LBB135_2147
.LBB135_2132:
	s_cmp_lt_i32 s0, 27
	s_cbranch_scc1 .LBB135_2135
; %bb.2133:
	s_cmp_gt_i32 s0, 27
	s_cbranch_scc0 .LBB135_2136
; %bb.2134:
	s_wait_loadcnt 0x0
	global_load_b32 v8, v[32:33], off
	s_mov_b32 s9, 0
	s_branch .LBB135_2137
.LBB135_2135:
	s_mov_b32 s9, -1
                                        ; implicit-def: $vgpr8
	s_branch .LBB135_2140
.LBB135_2136:
	s_mov_b32 s9, -1
                                        ; implicit-def: $vgpr8
.LBB135_2137:
	s_delay_alu instid0(SALU_CYCLE_1)
	s_and_not1_b32 vcc_lo, exec_lo, s9
	s_cbranch_vccnz .LBB135_2139
; %bb.2138:
	s_wait_loadcnt 0x0
	global_load_u16 v8, v[32:33], off
.LBB135_2139:
	s_mov_b32 s9, 0
.LBB135_2140:
	s_delay_alu instid0(SALU_CYCLE_1)
	s_and_not1_b32 vcc_lo, exec_lo, s9
	s_cbranch_vccnz .LBB135_2146
; %bb.2141:
	global_load_u8 v1, v[32:33], off
	s_mov_b32 s12, 0
	s_mov_b32 s9, exec_lo
	s_wait_loadcnt 0x0
	v_cmpx_lt_i16_e32 0x7f, v1
	s_xor_b32 s9, exec_lo, s9
	s_cbranch_execz .LBB135_2157
; %bb.2142:
	v_cmp_ne_u16_e32 vcc_lo, 0x80, v1
	s_and_b32 s12, vcc_lo, exec_lo
	s_and_not1_saveexec_b32 s9, s9
	s_cbranch_execnz .LBB135_2158
.LBB135_2143:
	s_or_b32 exec_lo, exec_lo, s9
	v_mov_b32_e32 v8, 0
	s_and_saveexec_b32 s9, s12
	s_cbranch_execz .LBB135_2145
.LBB135_2144:
	v_and_b32_e32 v3, 0xffff, v1
	s_delay_alu instid0(VALU_DEP_1) | instskip(SKIP_1) | instid1(VALU_DEP_2)
	v_dual_lshlrev_b32 v1, 24, v1 :: v_dual_bitop2_b32 v5, 7, v3 bitop3:0x40
	v_bfe_u32 v9, v3, 3, 4
	v_and_b32_e32 v1, 0x80000000, v1
	s_delay_alu instid0(VALU_DEP_3) | instskip(NEXT) | instid1(VALU_DEP_3)
	v_clz_i32_u32_e32 v7, v5
	v_cmp_eq_u32_e32 vcc_lo, 0, v9
	s_delay_alu instid0(VALU_DEP_2) | instskip(NEXT) | instid1(VALU_DEP_1)
	v_min_u32_e32 v7, 32, v7
	v_subrev_nc_u32_e32 v8, 28, v7
	v_sub_nc_u32_e32 v7, 29, v7
	s_delay_alu instid0(VALU_DEP_2) | instskip(NEXT) | instid1(VALU_DEP_2)
	v_lshlrev_b32_e32 v3, v8, v3
	v_cndmask_b32_e32 v7, v9, v7, vcc_lo
	s_delay_alu instid0(VALU_DEP_2) | instskip(NEXT) | instid1(VALU_DEP_1)
	v_and_b32_e32 v3, 7, v3
	v_cndmask_b32_e32 v3, v5, v3, vcc_lo
	s_delay_alu instid0(VALU_DEP_3) | instskip(NEXT) | instid1(VALU_DEP_2)
	v_lshl_add_u32 v5, v7, 23, 0x3b800000
	v_lshlrev_b32_e32 v3, 20, v3
	s_delay_alu instid0(VALU_DEP_1) | instskip(NEXT) | instid1(VALU_DEP_1)
	v_or3_b32 v1, v1, v5, v3
	v_cvt_i32_f32_e32 v8, v1
.LBB135_2145:
	s_or_b32 exec_lo, exec_lo, s9
.LBB135_2146:
	s_mov_b32 s9, -1
.LBB135_2147:
	s_branch .LBB135_2177
.LBB135_2148:
	s_cmp_gt_i32 s0, 22
	s_cbranch_scc0 .LBB135_2156
; %bb.2149:
	s_cmp_lt_i32 s0, 24
	s_cbranch_scc1 .LBB135_2159
; %bb.2150:
	s_cmp_gt_i32 s0, 24
	s_cbranch_scc0 .LBB135_2160
; %bb.2151:
	global_load_u8 v1, v[32:33], off
	s_mov_b32 s9, 0
	s_mov_b32 s8, exec_lo
	s_wait_loadcnt 0x0
	v_cmpx_lt_i16_e32 0x7f, v1
	s_xor_b32 s8, exec_lo, s8
	s_cbranch_execz .LBB135_2171
; %bb.2152:
	v_cmp_ne_u16_e32 vcc_lo, 0x80, v1
	s_and_b32 s9, vcc_lo, exec_lo
	s_and_not1_saveexec_b32 s8, s8
	s_cbranch_execnz .LBB135_2172
.LBB135_2153:
	s_or_b32 exec_lo, exec_lo, s8
	v_mov_b32_e32 v8, 0
	s_and_saveexec_b32 s8, s9
	s_cbranch_execz .LBB135_2155
.LBB135_2154:
	v_and_b32_e32 v3, 0xffff, v1
	s_delay_alu instid0(VALU_DEP_1) | instskip(SKIP_1) | instid1(VALU_DEP_2)
	v_dual_lshlrev_b32 v1, 24, v1 :: v_dual_bitop2_b32 v5, 3, v3 bitop3:0x40
	v_bfe_u32 v9, v3, 2, 5
	v_and_b32_e32 v1, 0x80000000, v1
	s_delay_alu instid0(VALU_DEP_3) | instskip(NEXT) | instid1(VALU_DEP_3)
	v_clz_i32_u32_e32 v7, v5
	v_cmp_eq_u32_e32 vcc_lo, 0, v9
	s_delay_alu instid0(VALU_DEP_2) | instskip(NEXT) | instid1(VALU_DEP_1)
	v_min_u32_e32 v7, 32, v7
	v_subrev_nc_u32_e32 v8, 29, v7
	v_sub_nc_u32_e32 v7, 30, v7
	s_delay_alu instid0(VALU_DEP_2) | instskip(NEXT) | instid1(VALU_DEP_2)
	v_lshlrev_b32_e32 v3, v8, v3
	v_cndmask_b32_e32 v7, v9, v7, vcc_lo
	s_delay_alu instid0(VALU_DEP_2) | instskip(NEXT) | instid1(VALU_DEP_1)
	v_and_b32_e32 v3, 3, v3
	v_cndmask_b32_e32 v3, v5, v3, vcc_lo
	s_delay_alu instid0(VALU_DEP_3) | instskip(NEXT) | instid1(VALU_DEP_2)
	v_lshl_add_u32 v5, v7, 23, 0x37800000
	v_lshlrev_b32_e32 v3, 21, v3
	s_delay_alu instid0(VALU_DEP_1) | instskip(NEXT) | instid1(VALU_DEP_1)
	v_or3_b32 v1, v1, v5, v3
	v_cvt_i32_f32_e32 v8, v1
.LBB135_2155:
	s_or_b32 exec_lo, exec_lo, s8
	s_mov_b32 s8, 0
	s_branch .LBB135_2161
.LBB135_2156:
                                        ; implicit-def: $vgpr8
	s_mov_b32 s8, 0
	s_branch .LBB135_2167
.LBB135_2157:
	s_and_not1_saveexec_b32 s9, s9
	s_cbranch_execz .LBB135_2143
.LBB135_2158:
	v_cmp_ne_u16_e32 vcc_lo, 0, v1
	s_and_not1_b32 s12, s12, exec_lo
	s_and_b32 s14, vcc_lo, exec_lo
	s_delay_alu instid0(SALU_CYCLE_1)
	s_or_b32 s12, s12, s14
	s_or_b32 exec_lo, exec_lo, s9
	v_mov_b32_e32 v8, 0
	s_and_saveexec_b32 s9, s12
	s_cbranch_execnz .LBB135_2144
	s_branch .LBB135_2145
.LBB135_2159:
	s_mov_b32 s8, -1
                                        ; implicit-def: $vgpr8
	s_branch .LBB135_2164
.LBB135_2160:
	s_mov_b32 s8, -1
                                        ; implicit-def: $vgpr8
.LBB135_2161:
	s_delay_alu instid0(SALU_CYCLE_1)
	s_and_b32 vcc_lo, exec_lo, s8
	s_cbranch_vccz .LBB135_2163
; %bb.2162:
	global_load_u8 v1, v[32:33], off
	s_wait_loadcnt 0x0
	v_lshlrev_b32_e32 v1, 24, v1
	s_delay_alu instid0(VALU_DEP_1) | instskip(NEXT) | instid1(VALU_DEP_1)
	v_and_b32_e32 v3, 0x7f000000, v1
	v_clz_i32_u32_e32 v5, v3
	v_cmp_ne_u32_e32 vcc_lo, 0, v3
	v_add_nc_u32_e32 v8, 0x1000000, v3
	s_delay_alu instid0(VALU_DEP_3) | instskip(NEXT) | instid1(VALU_DEP_1)
	v_min_u32_e32 v5, 32, v5
	v_sub_nc_u32_e64 v5, v5, 4 clamp
	s_delay_alu instid0(VALU_DEP_1) | instskip(NEXT) | instid1(VALU_DEP_1)
	v_dual_lshlrev_b32 v7, v5, v3 :: v_dual_lshlrev_b32 v5, 23, v5
	v_lshrrev_b32_e32 v7, 4, v7
	s_delay_alu instid0(VALU_DEP_1) | instskip(NEXT) | instid1(VALU_DEP_1)
	v_dual_sub_nc_u32 v5, v7, v5 :: v_dual_ashrrev_i32 v7, 8, v8
	v_add_nc_u32_e32 v5, 0x3c000000, v5
	s_delay_alu instid0(VALU_DEP_1) | instskip(NEXT) | instid1(VALU_DEP_1)
	v_and_or_b32 v5, 0x7f800000, v7, v5
	v_cndmask_b32_e32 v3, 0, v5, vcc_lo
	s_delay_alu instid0(VALU_DEP_1) | instskip(NEXT) | instid1(VALU_DEP_1)
	v_and_or_b32 v1, 0x80000000, v1, v3
	v_cvt_i32_f32_e32 v8, v1
.LBB135_2163:
	s_mov_b32 s8, 0
.LBB135_2164:
	s_delay_alu instid0(SALU_CYCLE_1)
	s_and_not1_b32 vcc_lo, exec_lo, s8
	s_cbranch_vccnz .LBB135_2166
; %bb.2165:
	global_load_u8 v1, v[32:33], off
	s_wait_loadcnt 0x0
	v_lshlrev_b32_e32 v3, 25, v1
	v_lshlrev_b16 v1, 8, v1
	s_delay_alu instid0(VALU_DEP_1) | instskip(SKIP_1) | instid1(VALU_DEP_2)
	v_and_or_b32 v7, 0x7f00, v1, 0.5
	v_bfe_i32 v1, v1, 0, 16
	v_add_f32_e32 v7, -0.5, v7
	v_lshrrev_b32_e32 v5, 4, v3
	v_cmp_gt_u32_e32 vcc_lo, 0x8000000, v3
	s_delay_alu instid0(VALU_DEP_2) | instskip(NEXT) | instid1(VALU_DEP_1)
	v_or_b32_e32 v5, 0x70000000, v5
	v_mul_f32_e32 v5, 0x7800000, v5
	s_delay_alu instid0(VALU_DEP_1) | instskip(NEXT) | instid1(VALU_DEP_1)
	v_cndmask_b32_e32 v3, v5, v7, vcc_lo
	v_and_or_b32 v1, 0x80000000, v1, v3
	s_delay_alu instid0(VALU_DEP_1)
	v_cvt_i32_f32_e32 v8, v1
.LBB135_2166:
	s_mov_b32 s9, -1
	s_mov_b32 s8, 0
	s_cbranch_execnz .LBB135_2177
.LBB135_2167:
	s_cmp_gt_i32 s0, 14
	s_cbranch_scc0 .LBB135_2170
; %bb.2168:
	s_cmp_eq_u32 s0, 15
	s_cbranch_scc0 .LBB135_2173
; %bb.2169:
	global_load_u16 v1, v[32:33], off
	s_mov_b32 s1, 0
	s_mov_b32 s9, -1
	s_wait_loadcnt 0x0
	v_lshlrev_b32_e32 v1, 16, v1
	s_delay_alu instid0(VALU_DEP_1)
	v_cvt_i32_f32_e32 v8, v1
	s_branch .LBB135_2175
.LBB135_2170:
	s_mov_b32 s8, -1
	s_branch .LBB135_2174
.LBB135_2171:
	s_and_not1_saveexec_b32 s8, s8
	s_cbranch_execz .LBB135_2153
.LBB135_2172:
	v_cmp_ne_u16_e32 vcc_lo, 0, v1
	s_and_not1_b32 s9, s9, exec_lo
	s_and_b32 s12, vcc_lo, exec_lo
	s_delay_alu instid0(SALU_CYCLE_1)
	s_or_b32 s9, s9, s12
	s_or_b32 exec_lo, exec_lo, s8
	v_mov_b32_e32 v8, 0
	s_and_saveexec_b32 s8, s9
	s_cbranch_execnz .LBB135_2154
	s_branch .LBB135_2155
.LBB135_2173:
	s_mov_b32 s1, -1
.LBB135_2174:
                                        ; implicit-def: $vgpr8
.LBB135_2175:
	s_and_b32 vcc_lo, exec_lo, s8
	s_mov_b32 s8, 0
	s_cbranch_vccz .LBB135_2177
; %bb.2176:
	s_cmp_lg_u32 s0, 11
	s_mov_b32 s8, -1
	s_cselect_b32 s1, -1, 0
.LBB135_2177:
	s_delay_alu instid0(SALU_CYCLE_1)
	s_and_b32 vcc_lo, exec_lo, s1
	s_mov_b32 s12, s10
	s_cbranch_vccnz .LBB135_2238
; %bb.2178:
	s_and_not1_b32 vcc_lo, exec_lo, s8
	s_cbranch_vccnz .LBB135_2180
.LBB135_2179:
	global_load_u8 v1, v[32:33], off
	s_mov_b32 s9, -1
	s_wait_loadcnt 0x0
	v_cmp_ne_u16_e32 vcc_lo, 0, v1
	v_cndmask_b32_e64 v8, 0, 1, vcc_lo
.LBB135_2180:
	s_branch .LBB135_2114
.LBB135_2181:
	s_and_b32 s0, 0xffff, s13
	s_delay_alu instid0(SALU_CYCLE_1)
	s_cmp_lt_i32 s0, 5
	s_cbranch_scc1 .LBB135_2186
; %bb.2182:
	s_cmp_lt_i32 s0, 8
	s_cbranch_scc1 .LBB135_2187
; %bb.2183:
	;; [unrolled: 3-line block ×3, first 2 shown]
	s_cmp_gt_i32 s0, 9
	s_cbranch_scc0 .LBB135_2189
; %bb.2185:
	s_wait_loadcnt 0x0
	global_load_b64 v[8:9], v[32:33], off
	s_mov_b32 s1, 0
	s_wait_loadcnt 0x0
	v_cvt_i32_f64_e32 v8, v[8:9]
	s_branch .LBB135_2190
.LBB135_2186:
                                        ; implicit-def: $vgpr8
	s_branch .LBB135_2207
.LBB135_2187:
                                        ; implicit-def: $vgpr8
	s_branch .LBB135_2196
.LBB135_2188:
	s_mov_b32 s1, -1
                                        ; implicit-def: $vgpr8
	s_branch .LBB135_2193
.LBB135_2189:
	s_mov_b32 s1, -1
                                        ; implicit-def: $vgpr8
.LBB135_2190:
	s_delay_alu instid0(SALU_CYCLE_1)
	s_and_not1_b32 vcc_lo, exec_lo, s1
	s_cbranch_vccnz .LBB135_2192
; %bb.2191:
	global_load_b32 v1, v[32:33], off
	s_wait_loadcnt 0x0
	v_cvt_i32_f32_e32 v8, v1
.LBB135_2192:
	s_mov_b32 s1, 0
.LBB135_2193:
	s_delay_alu instid0(SALU_CYCLE_1)
	s_and_not1_b32 vcc_lo, exec_lo, s1
	s_cbranch_vccnz .LBB135_2195
; %bb.2194:
	global_load_b32 v1, v[32:33], off
	s_wait_loadcnt 0x0
	v_cvt_i16_f16_e32 v8, v1
.LBB135_2195:
	s_cbranch_execnz .LBB135_2206
.LBB135_2196:
	s_cmp_lt_i32 s0, 6
	s_cbranch_scc1 .LBB135_2199
; %bb.2197:
	s_cmp_gt_i32 s0, 6
	s_cbranch_scc0 .LBB135_2200
; %bb.2198:
	s_wait_loadcnt 0x0
	global_load_b64 v[8:9], v[32:33], off
	s_mov_b32 s1, 0
	s_wait_loadcnt 0x0
	v_cvt_i32_f64_e32 v8, v[8:9]
	s_branch .LBB135_2201
.LBB135_2199:
	s_mov_b32 s1, -1
                                        ; implicit-def: $vgpr8
	s_branch .LBB135_2204
.LBB135_2200:
	s_mov_b32 s1, -1
                                        ; implicit-def: $vgpr8
.LBB135_2201:
	s_delay_alu instid0(SALU_CYCLE_1)
	s_and_not1_b32 vcc_lo, exec_lo, s1
	s_cbranch_vccnz .LBB135_2203
; %bb.2202:
	global_load_b32 v1, v[32:33], off
	s_wait_loadcnt 0x0
	v_cvt_i32_f32_e32 v8, v1
.LBB135_2203:
	s_mov_b32 s1, 0
.LBB135_2204:
	s_delay_alu instid0(SALU_CYCLE_1)
	s_and_not1_b32 vcc_lo, exec_lo, s1
	s_cbranch_vccnz .LBB135_2206
; %bb.2205:
	global_load_u16 v1, v[32:33], off
	s_wait_loadcnt 0x0
	v_cvt_i16_f16_e32 v8, v1
.LBB135_2206:
	s_cbranch_execnz .LBB135_2225
.LBB135_2207:
	s_cmp_lt_i32 s0, 2
	s_cbranch_scc1 .LBB135_2211
; %bb.2208:
	s_cmp_lt_i32 s0, 3
	s_cbranch_scc1 .LBB135_2212
; %bb.2209:
	s_cmp_gt_i32 s0, 3
	s_cbranch_scc0 .LBB135_2213
; %bb.2210:
	s_wait_loadcnt 0x0
	global_load_b64 v[8:9], v[32:33], off
	s_mov_b32 s1, 0
	s_branch .LBB135_2214
.LBB135_2211:
                                        ; implicit-def: $vgpr8
	s_branch .LBB135_2220
.LBB135_2212:
	s_mov_b32 s1, -1
                                        ; implicit-def: $vgpr8
	s_branch .LBB135_2217
.LBB135_2213:
	s_mov_b32 s1, -1
                                        ; implicit-def: $vgpr8
.LBB135_2214:
	s_delay_alu instid0(SALU_CYCLE_1)
	s_and_not1_b32 vcc_lo, exec_lo, s1
	s_cbranch_vccnz .LBB135_2216
; %bb.2215:
	s_wait_loadcnt 0x0
	global_load_b32 v8, v[32:33], off
.LBB135_2216:
	s_mov_b32 s1, 0
.LBB135_2217:
	s_delay_alu instid0(SALU_CYCLE_1)
	s_and_not1_b32 vcc_lo, exec_lo, s1
	s_cbranch_vccnz .LBB135_2219
; %bb.2218:
	s_wait_loadcnt 0x0
	global_load_u16 v8, v[32:33], off
.LBB135_2219:
	s_cbranch_execnz .LBB135_2225
.LBB135_2220:
	s_cmp_gt_i32 s0, 0
	s_mov_b32 s0, 0
	s_cbranch_scc0 .LBB135_2222
; %bb.2221:
	s_wait_loadcnt 0x0
	global_load_i8 v8, v[32:33], off
	s_branch .LBB135_2223
.LBB135_2222:
	s_mov_b32 s0, -1
                                        ; implicit-def: $vgpr8
.LBB135_2223:
	s_delay_alu instid0(SALU_CYCLE_1)
	s_and_not1_b32 vcc_lo, exec_lo, s0
	s_cbranch_vccnz .LBB135_2225
; %bb.2224:
	s_wait_loadcnt 0x0
	global_load_u8 v8, v[32:33], off
.LBB135_2225:
.LBB135_2226:
	v_mov_b32_e32 v13, 0
	s_load_b64 s[0:1], s[2:3], 0x1d8
	global_load_u8 v1, v13, s[2:3] offset:491
	s_wait_kmcnt 0x0
	v_add_nc_u64_e32 v[32:33], s[0:1], v[12:13]
	s_wait_loadcnt 0x0
	v_and_b32_e32 v3, 0xffff, v1
	v_readfirstlane_b32 s14, v1
	s_delay_alu instid0(VALU_DEP_2)
	v_cmp_gt_i32_e32 vcc_lo, 11, v3
	s_cbranch_vccnz .LBB135_2233
; %bb.2227:
	s_and_b32 s8, 0xffff, s14
	s_mov_b32 s15, 0
	s_cmp_gt_i32 s8, 25
	s_cbranch_scc0 .LBB135_2235
; %bb.2228:
	s_cmp_gt_i32 s8, 28
	s_cbranch_scc0 .LBB135_2236
; %bb.2229:
	;; [unrolled: 3-line block ×4, first 2 shown]
	s_cmp_eq_u32 s8, 46
	s_mov_b32 s17, 0
	s_cbranch_scc0 .LBB135_2242
; %bb.2232:
	global_load_b32 v1, v[32:33], off
	s_mov_b32 s9, 0
	s_mov_b32 s16, -1
	s_wait_loadcnt 0x0
	v_lshlrev_b32_e32 v1, 16, v1
	s_delay_alu instid0(VALU_DEP_1)
	v_cvt_i32_f32_e32 v12, v1
	s_branch .LBB135_2244
.LBB135_2233:
	s_mov_b32 s16, 0
                                        ; implicit-def: $vgpr12
	s_cbranch_execnz .LBB135_2305
.LBB135_2234:
	s_and_not1_b32 vcc_lo, exec_lo, s16
	s_cbranch_vccnz .LBB135_4058
	s_branch .LBB135_2352
.LBB135_2235:
	s_mov_b32 s16, 0
	s_mov_b32 s9, 0
                                        ; implicit-def: $vgpr12
	s_cbranch_execnz .LBB135_2271
	s_branch .LBB135_2301
.LBB135_2236:
	s_mov_b32 s17, -1
	s_mov_b32 s16, 0
	s_mov_b32 s9, 0
                                        ; implicit-def: $vgpr12
	s_branch .LBB135_2254
.LBB135_2237:
	s_mov_b32 s17, -1
	s_mov_b32 s16, 0
	s_mov_b32 s9, 0
                                        ; implicit-def: $vgpr12
	s_branch .LBB135_2249
.LBB135_2238:
	s_or_b32 s12, s10, exec_lo
	s_trap 2
	s_cbranch_execz .LBB135_2179
	s_branch .LBB135_2180
.LBB135_2239:
	s_mov_b32 s17, -1
	s_mov_b32 s16, 0
	s_mov_b32 s9, 0
	s_branch .LBB135_2243
.LBB135_2240:
	s_and_not1_saveexec_b32 s10, s10
	s_cbranch_execz .LBB135_1986
.LBB135_2241:
	v_add_f32_e64 v1, 0x42800000, |v0|
	s_and_not1_b32 s9, s9, exec_lo
	s_delay_alu instid0(VALU_DEP_1) | instskip(NEXT) | instid1(VALU_DEP_1)
	v_and_b32_e32 v1, 0xff, v1
	v_cmp_ne_u32_e32 vcc_lo, 0, v1
	s_and_b32 s11, vcc_lo, exec_lo
	s_delay_alu instid0(SALU_CYCLE_1)
	s_or_b32 s9, s9, s11
	s_or_b32 exec_lo, exec_lo, s10
	v_mov_b32_e32 v2, 0
	s_and_saveexec_b32 s10, s9
	s_cbranch_execnz .LBB135_1987
	s_branch .LBB135_1988
.LBB135_2242:
	s_mov_b32 s9, -1
	s_mov_b32 s16, 0
.LBB135_2243:
                                        ; implicit-def: $vgpr12
.LBB135_2244:
	s_and_b32 vcc_lo, exec_lo, s17
	s_cbranch_vccz .LBB135_2248
; %bb.2245:
	s_cmp_eq_u32 s8, 44
	s_cbranch_scc0 .LBB135_2247
; %bb.2246:
	global_load_u8 v1, v[32:33], off
	s_mov_b32 s9, 0
	s_mov_b32 s16, -1
	s_wait_loadcnt 0x0
	v_lshlrev_b32_e32 v3, 23, v1
	v_cmp_ne_u32_e32 vcc_lo, 0, v1
	s_delay_alu instid0(VALU_DEP_2) | instskip(NEXT) | instid1(VALU_DEP_1)
	v_cvt_i32_f32_e32 v3, v3
	v_cndmask_b32_e32 v12, 0, v3, vcc_lo
	s_branch .LBB135_2248
.LBB135_2247:
	s_mov_b32 s9, -1
                                        ; implicit-def: $vgpr12
.LBB135_2248:
	s_mov_b32 s17, 0
.LBB135_2249:
	s_delay_alu instid0(SALU_CYCLE_1)
	s_and_b32 vcc_lo, exec_lo, s17
	s_cbranch_vccz .LBB135_2253
; %bb.2250:
	s_cmp_eq_u32 s8, 29
	s_cbranch_scc0 .LBB135_2252
; %bb.2251:
	global_load_b64 v[12:13], v[32:33], off
	s_mov_b32 s9, 0
	s_mov_b32 s16, -1
	s_branch .LBB135_2253
.LBB135_2252:
	s_mov_b32 s9, -1
                                        ; implicit-def: $vgpr12
.LBB135_2253:
	s_mov_b32 s17, 0
.LBB135_2254:
	s_delay_alu instid0(SALU_CYCLE_1)
	s_and_b32 vcc_lo, exec_lo, s17
	s_cbranch_vccz .LBB135_2270
; %bb.2255:
	s_cmp_lt_i32 s8, 27
	s_cbranch_scc1 .LBB135_2258
; %bb.2256:
	s_cmp_gt_i32 s8, 27
	s_cbranch_scc0 .LBB135_2259
; %bb.2257:
	s_wait_loadcnt 0x0
	global_load_b32 v12, v[32:33], off
	s_mov_b32 s16, 0
	s_branch .LBB135_2260
.LBB135_2258:
	s_mov_b32 s16, -1
                                        ; implicit-def: $vgpr12
	s_branch .LBB135_2263
.LBB135_2259:
	s_mov_b32 s16, -1
                                        ; implicit-def: $vgpr12
.LBB135_2260:
	s_delay_alu instid0(SALU_CYCLE_1)
	s_and_not1_b32 vcc_lo, exec_lo, s16
	s_cbranch_vccnz .LBB135_2262
; %bb.2261:
	s_wait_loadcnt 0x0
	global_load_u16 v12, v[32:33], off
.LBB135_2262:
	s_mov_b32 s16, 0
.LBB135_2263:
	s_delay_alu instid0(SALU_CYCLE_1)
	s_and_not1_b32 vcc_lo, exec_lo, s16
	s_cbranch_vccnz .LBB135_2269
; %bb.2264:
	global_load_u8 v1, v[32:33], off
	s_mov_b32 s17, 0
	s_mov_b32 s16, exec_lo
	s_wait_loadcnt 0x0
	v_cmpx_lt_i16_e32 0x7f, v1
	s_xor_b32 s16, exec_lo, s16
	s_cbranch_execz .LBB135_2280
; %bb.2265:
	v_cmp_ne_u16_e32 vcc_lo, 0x80, v1
	s_and_b32 s17, vcc_lo, exec_lo
	s_and_not1_saveexec_b32 s16, s16
	s_cbranch_execnz .LBB135_2281
.LBB135_2266:
	s_or_b32 exec_lo, exec_lo, s16
	v_mov_b32_e32 v12, 0
	s_and_saveexec_b32 s16, s17
	s_cbranch_execz .LBB135_2268
.LBB135_2267:
	v_and_b32_e32 v3, 0xffff, v1
	s_delay_alu instid0(VALU_DEP_1) | instskip(SKIP_1) | instid1(VALU_DEP_2)
	v_dual_lshlrev_b32 v1, 24, v1 :: v_dual_bitop2_b32 v5, 7, v3 bitop3:0x40
	v_bfe_u32 v11, v3, 3, 4
	v_and_b32_e32 v1, 0x80000000, v1
	s_delay_alu instid0(VALU_DEP_3) | instskip(NEXT) | instid1(VALU_DEP_3)
	v_clz_i32_u32_e32 v7, v5
	v_cmp_eq_u32_e32 vcc_lo, 0, v11
	s_delay_alu instid0(VALU_DEP_2) | instskip(NEXT) | instid1(VALU_DEP_1)
	v_min_u32_e32 v7, 32, v7
	v_subrev_nc_u32_e32 v9, 28, v7
	v_sub_nc_u32_e32 v7, 29, v7
	s_delay_alu instid0(VALU_DEP_2) | instskip(NEXT) | instid1(VALU_DEP_2)
	v_lshlrev_b32_e32 v3, v9, v3
	v_cndmask_b32_e32 v7, v11, v7, vcc_lo
	s_delay_alu instid0(VALU_DEP_2) | instskip(NEXT) | instid1(VALU_DEP_1)
	v_and_b32_e32 v3, 7, v3
	v_cndmask_b32_e32 v3, v5, v3, vcc_lo
	s_delay_alu instid0(VALU_DEP_3) | instskip(NEXT) | instid1(VALU_DEP_2)
	v_lshl_add_u32 v5, v7, 23, 0x3b800000
	v_lshlrev_b32_e32 v3, 20, v3
	s_delay_alu instid0(VALU_DEP_1) | instskip(NEXT) | instid1(VALU_DEP_1)
	v_or3_b32 v1, v1, v5, v3
	v_cvt_i32_f32_e32 v12, v1
.LBB135_2268:
	s_or_b32 exec_lo, exec_lo, s16
.LBB135_2269:
	s_mov_b32 s16, -1
.LBB135_2270:
	s_branch .LBB135_2301
.LBB135_2271:
	s_cmp_gt_i32 s8, 22
	s_cbranch_scc0 .LBB135_2279
; %bb.2272:
	s_cmp_lt_i32 s8, 24
	s_cbranch_scc1 .LBB135_2282
; %bb.2273:
	s_cmp_gt_i32 s8, 24
	s_cbranch_scc0 .LBB135_2283
; %bb.2274:
	global_load_u8 v1, v[32:33], off
	s_mov_b32 s16, 0
	s_mov_b32 s15, exec_lo
	s_wait_loadcnt 0x0
	v_cmpx_lt_i16_e32 0x7f, v1
	s_xor_b32 s15, exec_lo, s15
	s_cbranch_execz .LBB135_2295
; %bb.2275:
	v_cmp_ne_u16_e32 vcc_lo, 0x80, v1
	s_and_b32 s16, vcc_lo, exec_lo
	s_and_not1_saveexec_b32 s15, s15
	s_cbranch_execnz .LBB135_2296
.LBB135_2276:
	s_or_b32 exec_lo, exec_lo, s15
	v_mov_b32_e32 v12, 0
	s_and_saveexec_b32 s15, s16
	s_cbranch_execz .LBB135_2278
.LBB135_2277:
	v_and_b32_e32 v3, 0xffff, v1
	s_delay_alu instid0(VALU_DEP_1) | instskip(SKIP_1) | instid1(VALU_DEP_2)
	v_dual_lshlrev_b32 v1, 24, v1 :: v_dual_bitop2_b32 v5, 3, v3 bitop3:0x40
	v_bfe_u32 v11, v3, 2, 5
	v_and_b32_e32 v1, 0x80000000, v1
	s_delay_alu instid0(VALU_DEP_3) | instskip(NEXT) | instid1(VALU_DEP_3)
	v_clz_i32_u32_e32 v7, v5
	v_cmp_eq_u32_e32 vcc_lo, 0, v11
	s_delay_alu instid0(VALU_DEP_2) | instskip(NEXT) | instid1(VALU_DEP_1)
	v_min_u32_e32 v7, 32, v7
	v_subrev_nc_u32_e32 v9, 29, v7
	v_sub_nc_u32_e32 v7, 30, v7
	s_delay_alu instid0(VALU_DEP_2) | instskip(NEXT) | instid1(VALU_DEP_2)
	v_lshlrev_b32_e32 v3, v9, v3
	v_cndmask_b32_e32 v7, v11, v7, vcc_lo
	s_delay_alu instid0(VALU_DEP_2) | instskip(NEXT) | instid1(VALU_DEP_1)
	v_and_b32_e32 v3, 3, v3
	v_cndmask_b32_e32 v3, v5, v3, vcc_lo
	s_delay_alu instid0(VALU_DEP_3) | instskip(NEXT) | instid1(VALU_DEP_2)
	v_lshl_add_u32 v5, v7, 23, 0x37800000
	v_lshlrev_b32_e32 v3, 21, v3
	s_delay_alu instid0(VALU_DEP_1) | instskip(NEXT) | instid1(VALU_DEP_1)
	v_or3_b32 v1, v1, v5, v3
	v_cvt_i32_f32_e32 v12, v1
.LBB135_2278:
	s_or_b32 exec_lo, exec_lo, s15
	s_mov_b32 s15, 0
	s_branch .LBB135_2284
.LBB135_2279:
	s_mov_b32 s15, -1
                                        ; implicit-def: $vgpr12
	s_branch .LBB135_2290
.LBB135_2280:
	s_and_not1_saveexec_b32 s16, s16
	s_cbranch_execz .LBB135_2266
.LBB135_2281:
	v_cmp_ne_u16_e32 vcc_lo, 0, v1
	s_and_not1_b32 s17, s17, exec_lo
	s_and_b32 s18, vcc_lo, exec_lo
	s_delay_alu instid0(SALU_CYCLE_1)
	s_or_b32 s17, s17, s18
	s_or_b32 exec_lo, exec_lo, s16
	v_mov_b32_e32 v12, 0
	s_and_saveexec_b32 s16, s17
	s_cbranch_execnz .LBB135_2267
	s_branch .LBB135_2268
.LBB135_2282:
	s_mov_b32 s15, -1
                                        ; implicit-def: $vgpr12
	s_branch .LBB135_2287
.LBB135_2283:
	s_mov_b32 s15, -1
                                        ; implicit-def: $vgpr12
.LBB135_2284:
	s_delay_alu instid0(SALU_CYCLE_1)
	s_and_b32 vcc_lo, exec_lo, s15
	s_cbranch_vccz .LBB135_2286
; %bb.2285:
	global_load_u8 v1, v[32:33], off
	s_wait_loadcnt 0x0
	v_lshlrev_b32_e32 v1, 24, v1
	s_delay_alu instid0(VALU_DEP_1) | instskip(NEXT) | instid1(VALU_DEP_1)
	v_and_b32_e32 v3, 0x7f000000, v1
	v_clz_i32_u32_e32 v5, v3
	v_add_nc_u32_e32 v9, 0x1000000, v3
	v_cmp_ne_u32_e32 vcc_lo, 0, v3
	s_delay_alu instid0(VALU_DEP_3) | instskip(NEXT) | instid1(VALU_DEP_1)
	v_min_u32_e32 v5, 32, v5
	v_sub_nc_u32_e64 v5, v5, 4 clamp
	s_delay_alu instid0(VALU_DEP_1) | instskip(NEXT) | instid1(VALU_DEP_1)
	v_dual_lshlrev_b32 v7, v5, v3 :: v_dual_lshlrev_b32 v5, 23, v5
	v_lshrrev_b32_e32 v7, 4, v7
	s_delay_alu instid0(VALU_DEP_1) | instskip(SKIP_1) | instid1(VALU_DEP_2)
	v_sub_nc_u32_e32 v5, v7, v5
	v_ashrrev_i32_e32 v7, 8, v9
	v_add_nc_u32_e32 v5, 0x3c000000, v5
	s_delay_alu instid0(VALU_DEP_1) | instskip(NEXT) | instid1(VALU_DEP_1)
	v_and_or_b32 v5, 0x7f800000, v7, v5
	v_cndmask_b32_e32 v3, 0, v5, vcc_lo
	s_delay_alu instid0(VALU_DEP_1) | instskip(NEXT) | instid1(VALU_DEP_1)
	v_and_or_b32 v1, 0x80000000, v1, v3
	v_cvt_i32_f32_e32 v12, v1
.LBB135_2286:
	s_mov_b32 s15, 0
.LBB135_2287:
	s_delay_alu instid0(SALU_CYCLE_1)
	s_and_not1_b32 vcc_lo, exec_lo, s15
	s_cbranch_vccnz .LBB135_2289
; %bb.2288:
	global_load_u8 v1, v[32:33], off
	s_wait_loadcnt 0x0
	v_lshlrev_b32_e32 v3, 25, v1
	v_lshlrev_b16 v1, 8, v1
	s_delay_alu instid0(VALU_DEP_1) | instskip(SKIP_1) | instid1(VALU_DEP_2)
	v_and_or_b32 v7, 0x7f00, v1, 0.5
	v_bfe_i32 v1, v1, 0, 16
	v_add_f32_e32 v7, -0.5, v7
	v_lshrrev_b32_e32 v5, 4, v3
	v_cmp_gt_u32_e32 vcc_lo, 0x8000000, v3
	s_delay_alu instid0(VALU_DEP_2) | instskip(NEXT) | instid1(VALU_DEP_1)
	v_or_b32_e32 v5, 0x70000000, v5
	v_mul_f32_e32 v5, 0x7800000, v5
	s_delay_alu instid0(VALU_DEP_1) | instskip(NEXT) | instid1(VALU_DEP_1)
	v_cndmask_b32_e32 v3, v5, v7, vcc_lo
	v_and_or_b32 v1, 0x80000000, v1, v3
	s_delay_alu instid0(VALU_DEP_1)
	v_cvt_i32_f32_e32 v12, v1
.LBB135_2289:
	s_mov_b32 s15, 0
	s_mov_b32 s16, -1
.LBB135_2290:
	s_and_not1_b32 vcc_lo, exec_lo, s15
	s_mov_b32 s15, 0
	s_cbranch_vccnz .LBB135_2301
; %bb.2291:
	s_cmp_gt_i32 s8, 14
	s_cbranch_scc0 .LBB135_2294
; %bb.2292:
	s_cmp_eq_u32 s8, 15
	s_cbranch_scc0 .LBB135_2297
; %bb.2293:
	global_load_u16 v1, v[32:33], off
	s_mov_b32 s9, 0
	s_mov_b32 s16, -1
	s_wait_loadcnt 0x0
	v_lshlrev_b32_e32 v1, 16, v1
	s_delay_alu instid0(VALU_DEP_1)
	v_cvt_i32_f32_e32 v12, v1
	s_branch .LBB135_2299
.LBB135_2294:
	s_mov_b32 s15, -1
	s_branch .LBB135_2298
.LBB135_2295:
	s_and_not1_saveexec_b32 s15, s15
	s_cbranch_execz .LBB135_2276
.LBB135_2296:
	v_cmp_ne_u16_e32 vcc_lo, 0, v1
	s_and_not1_b32 s16, s16, exec_lo
	s_and_b32 s17, vcc_lo, exec_lo
	s_delay_alu instid0(SALU_CYCLE_1)
	s_or_b32 s16, s16, s17
	s_or_b32 exec_lo, exec_lo, s15
	v_mov_b32_e32 v12, 0
	s_and_saveexec_b32 s15, s16
	s_cbranch_execnz .LBB135_2277
	s_branch .LBB135_2278
.LBB135_2297:
	s_mov_b32 s9, -1
.LBB135_2298:
                                        ; implicit-def: $vgpr12
.LBB135_2299:
	s_and_b32 vcc_lo, exec_lo, s15
	s_mov_b32 s15, 0
	s_cbranch_vccz .LBB135_2301
; %bb.2300:
	s_cmp_lg_u32 s8, 11
	s_mov_b32 s15, -1
	s_cselect_b32 s9, -1, 0
.LBB135_2301:
	s_delay_alu instid0(SALU_CYCLE_1)
	s_and_b32 vcc_lo, exec_lo, s9
	s_cbranch_vccnz .LBB135_2364
; %bb.2302:
	s_and_not1_b32 vcc_lo, exec_lo, s15
	s_cbranch_vccnz .LBB135_2304
.LBB135_2303:
	global_load_u8 v1, v[32:33], off
	s_mov_b32 s16, -1
	s_wait_loadcnt 0x0
	v_cmp_ne_u16_e32 vcc_lo, 0, v1
	v_cndmask_b32_e64 v12, 0, 1, vcc_lo
.LBB135_2304:
	s_branch .LBB135_2234
.LBB135_2305:
	s_and_b32 s8, 0xffff, s14
	s_delay_alu instid0(SALU_CYCLE_1)
	s_cmp_lt_i32 s8, 5
	s_cbranch_scc1 .LBB135_2310
; %bb.2306:
	s_cmp_lt_i32 s8, 8
	s_cbranch_scc1 .LBB135_2311
; %bb.2307:
	;; [unrolled: 3-line block ×3, first 2 shown]
	s_cmp_gt_i32 s8, 9
	s_cbranch_scc0 .LBB135_2313
; %bb.2309:
	s_wait_loadcnt 0x0
	global_load_b64 v[12:13], v[32:33], off
	s_mov_b32 s9, 0
	s_wait_loadcnt 0x0
	v_cvt_i32_f64_e32 v12, v[12:13]
	s_branch .LBB135_2314
.LBB135_2310:
                                        ; implicit-def: $vgpr12
	s_branch .LBB135_2332
.LBB135_2311:
	s_mov_b32 s9, -1
                                        ; implicit-def: $vgpr12
	s_branch .LBB135_2320
.LBB135_2312:
	s_mov_b32 s9, -1
                                        ; implicit-def: $vgpr12
	s_branch .LBB135_2317
.LBB135_2313:
	s_mov_b32 s9, -1
                                        ; implicit-def: $vgpr12
.LBB135_2314:
	s_delay_alu instid0(SALU_CYCLE_1)
	s_and_not1_b32 vcc_lo, exec_lo, s9
	s_cbranch_vccnz .LBB135_2316
; %bb.2315:
	global_load_b32 v1, v[32:33], off
	s_wait_loadcnt 0x0
	v_cvt_i32_f32_e32 v12, v1
.LBB135_2316:
	s_mov_b32 s9, 0
.LBB135_2317:
	s_delay_alu instid0(SALU_CYCLE_1)
	s_and_not1_b32 vcc_lo, exec_lo, s9
	s_cbranch_vccnz .LBB135_2319
; %bb.2318:
	global_load_b32 v1, v[32:33], off
	s_wait_loadcnt 0x0
	v_cvt_i16_f16_e32 v12, v1
.LBB135_2319:
	s_mov_b32 s9, 0
.LBB135_2320:
	s_delay_alu instid0(SALU_CYCLE_1)
	s_and_not1_b32 vcc_lo, exec_lo, s9
	s_cbranch_vccnz .LBB135_2331
; %bb.2321:
	s_cmp_lt_i32 s8, 6
	s_cbranch_scc1 .LBB135_2324
; %bb.2322:
	s_cmp_gt_i32 s8, 6
	s_cbranch_scc0 .LBB135_2325
; %bb.2323:
	s_wait_loadcnt 0x0
	global_load_b64 v[12:13], v[32:33], off
	s_mov_b32 s9, 0
	s_wait_loadcnt 0x0
	v_cvt_i32_f64_e32 v12, v[12:13]
	s_branch .LBB135_2326
.LBB135_2324:
	s_mov_b32 s9, -1
                                        ; implicit-def: $vgpr12
	s_branch .LBB135_2329
.LBB135_2325:
	s_mov_b32 s9, -1
                                        ; implicit-def: $vgpr12
.LBB135_2326:
	s_delay_alu instid0(SALU_CYCLE_1)
	s_and_not1_b32 vcc_lo, exec_lo, s9
	s_cbranch_vccnz .LBB135_2328
; %bb.2327:
	global_load_b32 v1, v[32:33], off
	s_wait_loadcnt 0x0
	v_cvt_i32_f32_e32 v12, v1
.LBB135_2328:
	s_mov_b32 s9, 0
.LBB135_2329:
	s_delay_alu instid0(SALU_CYCLE_1)
	s_and_not1_b32 vcc_lo, exec_lo, s9
	s_cbranch_vccnz .LBB135_2331
; %bb.2330:
	global_load_u16 v1, v[32:33], off
	s_wait_loadcnt 0x0
	v_cvt_i16_f16_e32 v12, v1
.LBB135_2331:
	s_cbranch_execnz .LBB135_2351
.LBB135_2332:
	s_cmp_lt_i32 s8, 2
	s_cbranch_scc1 .LBB135_2336
; %bb.2333:
	s_cmp_lt_i32 s8, 3
	s_cbranch_scc1 .LBB135_2337
; %bb.2334:
	s_cmp_gt_i32 s8, 3
	s_cbranch_scc0 .LBB135_2338
; %bb.2335:
	s_wait_loadcnt 0x0
	global_load_b64 v[12:13], v[32:33], off
	s_mov_b32 s9, 0
	s_branch .LBB135_2339
.LBB135_2336:
	s_mov_b32 s9, -1
                                        ; implicit-def: $vgpr12
	s_branch .LBB135_2345
.LBB135_2337:
	s_mov_b32 s9, -1
                                        ; implicit-def: $vgpr12
	s_branch .LBB135_2342
.LBB135_2338:
	s_mov_b32 s9, -1
                                        ; implicit-def: $vgpr12
.LBB135_2339:
	s_delay_alu instid0(SALU_CYCLE_1)
	s_and_not1_b32 vcc_lo, exec_lo, s9
	s_cbranch_vccnz .LBB135_2341
; %bb.2340:
	s_wait_loadcnt 0x0
	global_load_b32 v12, v[32:33], off
.LBB135_2341:
	s_mov_b32 s9, 0
.LBB135_2342:
	s_delay_alu instid0(SALU_CYCLE_1)
	s_and_not1_b32 vcc_lo, exec_lo, s9
	s_cbranch_vccnz .LBB135_2344
; %bb.2343:
	s_wait_loadcnt 0x0
	global_load_u16 v12, v[32:33], off
.LBB135_2344:
	s_mov_b32 s9, 0
.LBB135_2345:
	s_delay_alu instid0(SALU_CYCLE_1)
	s_and_not1_b32 vcc_lo, exec_lo, s9
	s_cbranch_vccnz .LBB135_2351
; %bb.2346:
	s_cmp_gt_i32 s8, 0
	s_mov_b32 s8, 0
	s_cbranch_scc0 .LBB135_2348
; %bb.2347:
	s_wait_loadcnt 0x0
	global_load_i8 v12, v[32:33], off
	s_branch .LBB135_2349
.LBB135_2348:
	s_mov_b32 s8, -1
                                        ; implicit-def: $vgpr12
.LBB135_2349:
	s_delay_alu instid0(SALU_CYCLE_1)
	s_and_not1_b32 vcc_lo, exec_lo, s8
	s_cbranch_vccnz .LBB135_2351
; %bb.2350:
	s_wait_loadcnt 0x0
	global_load_u8 v12, v[32:33], off
.LBB135_2351:
.LBB135_2352:
	s_clause 0x1
	s_load_b64 s[8:9], s[2:3], 0x1e0
	s_load_b32 s15, s[2:3], 0x1ec
	v_mov_b32_e32 v19, 0
	s_wait_kmcnt 0x0
	s_delay_alu instid0(VALU_DEP_1) | instskip(SKIP_1) | instid1(SALU_CYCLE_1)
	v_add_nc_u64_e32 v[32:33], s[8:9], v[18:19]
	s_and_b32 s15, s15, 0xff
	s_cmp_lt_i32 s15, 11
	s_cbranch_scc1 .LBB135_2359
; %bb.2353:
	s_and_b32 s16, 0xffff, s15
	s_mov_b32 s18, 0
	s_cmp_gt_i32 s16, 25
	s_cbranch_scc0 .LBB135_2361
; %bb.2354:
	s_cmp_gt_i32 s16, 28
	s_cbranch_scc0 .LBB135_2362
; %bb.2355:
	s_cmp_gt_i32 s16, 43
	s_cbranch_scc0 .LBB135_2363
; %bb.2356:
	s_cmp_gt_i32 s16, 45
	s_cbranch_scc0 .LBB135_2365
; %bb.2357:
	s_cmp_eq_u32 s16, 46
	s_mov_b32 s20, 0
	s_cbranch_scc0 .LBB135_2366
; %bb.2358:
	global_load_b32 v1, v[32:33], off
	s_mov_b32 s17, 0
	s_mov_b32 s19, -1
	s_wait_loadcnt 0x0
	v_lshlrev_b32_e32 v1, 16, v1
	s_delay_alu instid0(VALU_DEP_1)
	v_cvt_i32_f32_e32 v18, v1
	s_branch .LBB135_2368
.LBB135_2359:
	s_mov_b32 s19, 0
                                        ; implicit-def: $vgpr18
	s_cbranch_execnz .LBB135_2430
.LBB135_2360:
	s_and_not1_b32 vcc_lo, exec_lo, s19
	s_cbranch_vccnz .LBB135_4058
	s_branch .LBB135_2478
.LBB135_2361:
	s_mov_b32 s20, -1
	s_mov_b32 s19, 0
	s_mov_b32 s17, 0
                                        ; implicit-def: $vgpr18
	s_branch .LBB135_2395
.LBB135_2362:
	s_mov_b32 s20, -1
	s_mov_b32 s19, 0
	s_mov_b32 s17, 0
                                        ; implicit-def: $vgpr18
	s_branch .LBB135_2378
.LBB135_2363:
	s_mov_b32 s20, -1
	s_mov_b32 s19, 0
	s_mov_b32 s17, 0
                                        ; implicit-def: $vgpr18
	s_branch .LBB135_2373
.LBB135_2364:
	s_or_b32 s12, s12, exec_lo
	s_trap 2
	s_cbranch_execz .LBB135_2303
	s_branch .LBB135_2304
.LBB135_2365:
	s_mov_b32 s20, -1
	s_mov_b32 s19, 0
	s_mov_b32 s17, 0
	s_branch .LBB135_2367
.LBB135_2366:
	s_mov_b32 s17, -1
	s_mov_b32 s19, 0
.LBB135_2367:
                                        ; implicit-def: $vgpr18
.LBB135_2368:
	s_and_b32 vcc_lo, exec_lo, s20
	s_cbranch_vccz .LBB135_2372
; %bb.2369:
	s_cmp_eq_u32 s16, 44
	s_cbranch_scc0 .LBB135_2371
; %bb.2370:
	global_load_u8 v1, v[32:33], off
	s_mov_b32 s17, 0
	s_mov_b32 s19, -1
	s_wait_loadcnt 0x0
	v_lshlrev_b32_e32 v3, 23, v1
	v_cmp_ne_u32_e32 vcc_lo, 0, v1
	s_delay_alu instid0(VALU_DEP_2) | instskip(NEXT) | instid1(VALU_DEP_1)
	v_cvt_i32_f32_e32 v3, v3
	v_cndmask_b32_e32 v18, 0, v3, vcc_lo
	s_branch .LBB135_2372
.LBB135_2371:
	s_mov_b32 s17, -1
                                        ; implicit-def: $vgpr18
.LBB135_2372:
	s_mov_b32 s20, 0
.LBB135_2373:
	s_delay_alu instid0(SALU_CYCLE_1)
	s_and_b32 vcc_lo, exec_lo, s20
	s_cbranch_vccz .LBB135_2377
; %bb.2374:
	s_cmp_eq_u32 s16, 29
	s_cbranch_scc0 .LBB135_2376
; %bb.2375:
	global_load_b64 v[18:19], v[32:33], off
	s_mov_b32 s17, 0
	s_mov_b32 s19, -1
	s_branch .LBB135_2377
.LBB135_2376:
	s_mov_b32 s17, -1
                                        ; implicit-def: $vgpr18
.LBB135_2377:
	s_mov_b32 s20, 0
.LBB135_2378:
	s_delay_alu instid0(SALU_CYCLE_1)
	s_and_b32 vcc_lo, exec_lo, s20
	s_cbranch_vccz .LBB135_2394
; %bb.2379:
	s_cmp_lt_i32 s16, 27
	s_cbranch_scc1 .LBB135_2382
; %bb.2380:
	s_cmp_gt_i32 s16, 27
	s_cbranch_scc0 .LBB135_2383
; %bb.2381:
	s_wait_loadcnt 0x0
	global_load_b32 v18, v[32:33], off
	s_mov_b32 s19, 0
	s_branch .LBB135_2384
.LBB135_2382:
	s_mov_b32 s19, -1
                                        ; implicit-def: $vgpr18
	s_branch .LBB135_2387
.LBB135_2383:
	s_mov_b32 s19, -1
                                        ; implicit-def: $vgpr18
.LBB135_2384:
	s_delay_alu instid0(SALU_CYCLE_1)
	s_and_not1_b32 vcc_lo, exec_lo, s19
	s_cbranch_vccnz .LBB135_2386
; %bb.2385:
	s_wait_loadcnt 0x0
	global_load_u16 v18, v[32:33], off
.LBB135_2386:
	s_mov_b32 s19, 0
.LBB135_2387:
	s_delay_alu instid0(SALU_CYCLE_1)
	s_and_not1_b32 vcc_lo, exec_lo, s19
	s_cbranch_vccnz .LBB135_2393
; %bb.2388:
	global_load_u8 v1, v[32:33], off
	s_mov_b32 s20, 0
	s_mov_b32 s19, exec_lo
	s_wait_loadcnt 0x0
	v_cmpx_lt_i16_e32 0x7f, v1
	s_xor_b32 s19, exec_lo, s19
	s_cbranch_execz .LBB135_2405
; %bb.2389:
	v_cmp_ne_u16_e32 vcc_lo, 0x80, v1
	s_and_b32 s20, vcc_lo, exec_lo
	s_and_not1_saveexec_b32 s19, s19
	s_cbranch_execnz .LBB135_2406
.LBB135_2390:
	s_or_b32 exec_lo, exec_lo, s19
	v_mov_b32_e32 v18, 0
	s_and_saveexec_b32 s19, s20
	s_cbranch_execz .LBB135_2392
.LBB135_2391:
	v_and_b32_e32 v3, 0xffff, v1
	s_delay_alu instid0(VALU_DEP_1) | instskip(SKIP_1) | instid1(VALU_DEP_2)
	v_dual_lshlrev_b32 v1, 24, v1 :: v_dual_bitop2_b32 v5, 7, v3 bitop3:0x40
	v_bfe_u32 v11, v3, 3, 4
	v_and_b32_e32 v1, 0x80000000, v1
	s_delay_alu instid0(VALU_DEP_3) | instskip(NEXT) | instid1(VALU_DEP_3)
	v_clz_i32_u32_e32 v7, v5
	v_cmp_eq_u32_e32 vcc_lo, 0, v11
	s_delay_alu instid0(VALU_DEP_2) | instskip(NEXT) | instid1(VALU_DEP_1)
	v_min_u32_e32 v7, 32, v7
	v_subrev_nc_u32_e32 v9, 28, v7
	v_sub_nc_u32_e32 v7, 29, v7
	s_delay_alu instid0(VALU_DEP_2) | instskip(NEXT) | instid1(VALU_DEP_2)
	v_lshlrev_b32_e32 v3, v9, v3
	v_cndmask_b32_e32 v7, v11, v7, vcc_lo
	s_delay_alu instid0(VALU_DEP_2) | instskip(NEXT) | instid1(VALU_DEP_1)
	v_and_b32_e32 v3, 7, v3
	v_cndmask_b32_e32 v3, v5, v3, vcc_lo
	s_delay_alu instid0(VALU_DEP_3) | instskip(NEXT) | instid1(VALU_DEP_2)
	v_lshl_add_u32 v5, v7, 23, 0x3b800000
	v_lshlrev_b32_e32 v3, 20, v3
	s_delay_alu instid0(VALU_DEP_1) | instskip(NEXT) | instid1(VALU_DEP_1)
	v_or3_b32 v1, v1, v5, v3
	v_cvt_i32_f32_e32 v18, v1
.LBB135_2392:
	s_or_b32 exec_lo, exec_lo, s19
.LBB135_2393:
	s_mov_b32 s19, -1
.LBB135_2394:
	s_mov_b32 s20, 0
.LBB135_2395:
	s_delay_alu instid0(SALU_CYCLE_1)
	s_and_b32 vcc_lo, exec_lo, s20
	s_cbranch_vccz .LBB135_2426
; %bb.2396:
	s_cmp_gt_i32 s16, 22
	s_cbranch_scc0 .LBB135_2404
; %bb.2397:
	s_cmp_lt_i32 s16, 24
	s_cbranch_scc1 .LBB135_2407
; %bb.2398:
	s_cmp_gt_i32 s16, 24
	s_cbranch_scc0 .LBB135_2408
; %bb.2399:
	global_load_u8 v1, v[32:33], off
	s_mov_b32 s19, 0
	s_mov_b32 s18, exec_lo
	s_wait_loadcnt 0x0
	v_cmpx_lt_i16_e32 0x7f, v1
	s_xor_b32 s18, exec_lo, s18
	s_cbranch_execz .LBB135_2420
; %bb.2400:
	v_cmp_ne_u16_e32 vcc_lo, 0x80, v1
	s_and_b32 s19, vcc_lo, exec_lo
	s_and_not1_saveexec_b32 s18, s18
	s_cbranch_execnz .LBB135_2421
.LBB135_2401:
	s_or_b32 exec_lo, exec_lo, s18
	v_mov_b32_e32 v18, 0
	s_and_saveexec_b32 s18, s19
	s_cbranch_execz .LBB135_2403
.LBB135_2402:
	v_and_b32_e32 v3, 0xffff, v1
	s_delay_alu instid0(VALU_DEP_1) | instskip(SKIP_1) | instid1(VALU_DEP_2)
	v_dual_lshlrev_b32 v1, 24, v1 :: v_dual_bitop2_b32 v5, 3, v3 bitop3:0x40
	v_bfe_u32 v11, v3, 2, 5
	v_and_b32_e32 v1, 0x80000000, v1
	s_delay_alu instid0(VALU_DEP_3) | instskip(NEXT) | instid1(VALU_DEP_3)
	v_clz_i32_u32_e32 v7, v5
	v_cmp_eq_u32_e32 vcc_lo, 0, v11
	s_delay_alu instid0(VALU_DEP_2) | instskip(NEXT) | instid1(VALU_DEP_1)
	v_min_u32_e32 v7, 32, v7
	v_subrev_nc_u32_e32 v9, 29, v7
	v_sub_nc_u32_e32 v7, 30, v7
	s_delay_alu instid0(VALU_DEP_2) | instskip(NEXT) | instid1(VALU_DEP_2)
	v_lshlrev_b32_e32 v3, v9, v3
	v_cndmask_b32_e32 v7, v11, v7, vcc_lo
	s_delay_alu instid0(VALU_DEP_2) | instskip(NEXT) | instid1(VALU_DEP_1)
	v_and_b32_e32 v3, 3, v3
	v_cndmask_b32_e32 v3, v5, v3, vcc_lo
	s_delay_alu instid0(VALU_DEP_3) | instskip(NEXT) | instid1(VALU_DEP_2)
	v_lshl_add_u32 v5, v7, 23, 0x37800000
	v_lshlrev_b32_e32 v3, 21, v3
	s_delay_alu instid0(VALU_DEP_1) | instskip(NEXT) | instid1(VALU_DEP_1)
	v_or3_b32 v1, v1, v5, v3
	v_cvt_i32_f32_e32 v18, v1
.LBB135_2403:
	s_or_b32 exec_lo, exec_lo, s18
	s_mov_b32 s18, 0
	s_branch .LBB135_2409
.LBB135_2404:
	s_mov_b32 s18, -1
                                        ; implicit-def: $vgpr18
	s_branch .LBB135_2415
.LBB135_2405:
	s_and_not1_saveexec_b32 s19, s19
	s_cbranch_execz .LBB135_2390
.LBB135_2406:
	v_cmp_ne_u16_e32 vcc_lo, 0, v1
	s_and_not1_b32 s20, s20, exec_lo
	s_and_b32 s21, vcc_lo, exec_lo
	s_delay_alu instid0(SALU_CYCLE_1)
	s_or_b32 s20, s20, s21
	s_or_b32 exec_lo, exec_lo, s19
	v_mov_b32_e32 v18, 0
	s_and_saveexec_b32 s19, s20
	s_cbranch_execnz .LBB135_2391
	s_branch .LBB135_2392
.LBB135_2407:
	s_mov_b32 s18, -1
                                        ; implicit-def: $vgpr18
	s_branch .LBB135_2412
.LBB135_2408:
	s_mov_b32 s18, -1
                                        ; implicit-def: $vgpr18
.LBB135_2409:
	s_delay_alu instid0(SALU_CYCLE_1)
	s_and_b32 vcc_lo, exec_lo, s18
	s_cbranch_vccz .LBB135_2411
; %bb.2410:
	global_load_u8 v1, v[32:33], off
	s_wait_loadcnt 0x0
	v_lshlrev_b32_e32 v1, 24, v1
	s_delay_alu instid0(VALU_DEP_1) | instskip(NEXT) | instid1(VALU_DEP_1)
	v_and_b32_e32 v3, 0x7f000000, v1
	v_clz_i32_u32_e32 v5, v3
	v_add_nc_u32_e32 v9, 0x1000000, v3
	v_cmp_ne_u32_e32 vcc_lo, 0, v3
	s_delay_alu instid0(VALU_DEP_3) | instskip(NEXT) | instid1(VALU_DEP_1)
	v_min_u32_e32 v5, 32, v5
	v_sub_nc_u32_e64 v5, v5, 4 clamp
	s_delay_alu instid0(VALU_DEP_1) | instskip(NEXT) | instid1(VALU_DEP_1)
	v_dual_lshlrev_b32 v7, v5, v3 :: v_dual_lshlrev_b32 v5, 23, v5
	v_lshrrev_b32_e32 v7, 4, v7
	s_delay_alu instid0(VALU_DEP_1) | instskip(SKIP_1) | instid1(VALU_DEP_2)
	v_sub_nc_u32_e32 v5, v7, v5
	v_ashrrev_i32_e32 v7, 8, v9
	v_add_nc_u32_e32 v5, 0x3c000000, v5
	s_delay_alu instid0(VALU_DEP_1) | instskip(NEXT) | instid1(VALU_DEP_1)
	v_and_or_b32 v5, 0x7f800000, v7, v5
	v_cndmask_b32_e32 v3, 0, v5, vcc_lo
	s_delay_alu instid0(VALU_DEP_1) | instskip(NEXT) | instid1(VALU_DEP_1)
	v_and_or_b32 v1, 0x80000000, v1, v3
	v_cvt_i32_f32_e32 v18, v1
.LBB135_2411:
	s_mov_b32 s18, 0
.LBB135_2412:
	s_delay_alu instid0(SALU_CYCLE_1)
	s_and_not1_b32 vcc_lo, exec_lo, s18
	s_cbranch_vccnz .LBB135_2414
; %bb.2413:
	global_load_u8 v1, v[32:33], off
	s_wait_loadcnt 0x0
	v_lshlrev_b32_e32 v3, 25, v1
	v_lshlrev_b16 v1, 8, v1
	s_delay_alu instid0(VALU_DEP_1) | instskip(SKIP_1) | instid1(VALU_DEP_2)
	v_and_or_b32 v7, 0x7f00, v1, 0.5
	v_bfe_i32 v1, v1, 0, 16
	v_add_f32_e32 v7, -0.5, v7
	v_lshrrev_b32_e32 v5, 4, v3
	v_cmp_gt_u32_e32 vcc_lo, 0x8000000, v3
	s_delay_alu instid0(VALU_DEP_2) | instskip(NEXT) | instid1(VALU_DEP_1)
	v_or_b32_e32 v5, 0x70000000, v5
	v_mul_f32_e32 v5, 0x7800000, v5
	s_delay_alu instid0(VALU_DEP_1) | instskip(NEXT) | instid1(VALU_DEP_1)
	v_cndmask_b32_e32 v3, v5, v7, vcc_lo
	v_and_or_b32 v1, 0x80000000, v1, v3
	s_delay_alu instid0(VALU_DEP_1)
	v_cvt_i32_f32_e32 v18, v1
.LBB135_2414:
	s_mov_b32 s18, 0
	s_mov_b32 s19, -1
.LBB135_2415:
	s_and_not1_b32 vcc_lo, exec_lo, s18
	s_mov_b32 s18, 0
	s_cbranch_vccnz .LBB135_2426
; %bb.2416:
	s_cmp_gt_i32 s16, 14
	s_cbranch_scc0 .LBB135_2419
; %bb.2417:
	s_cmp_eq_u32 s16, 15
	s_cbranch_scc0 .LBB135_2422
; %bb.2418:
	global_load_u16 v1, v[32:33], off
	s_mov_b32 s17, 0
	s_mov_b32 s19, -1
	s_wait_loadcnt 0x0
	v_lshlrev_b32_e32 v1, 16, v1
	s_delay_alu instid0(VALU_DEP_1)
	v_cvt_i32_f32_e32 v18, v1
	s_branch .LBB135_2424
.LBB135_2419:
	s_mov_b32 s18, -1
	s_branch .LBB135_2423
.LBB135_2420:
	s_and_not1_saveexec_b32 s18, s18
	s_cbranch_execz .LBB135_2401
.LBB135_2421:
	v_cmp_ne_u16_e32 vcc_lo, 0, v1
	s_and_not1_b32 s19, s19, exec_lo
	s_and_b32 s20, vcc_lo, exec_lo
	s_delay_alu instid0(SALU_CYCLE_1)
	s_or_b32 s19, s19, s20
	s_or_b32 exec_lo, exec_lo, s18
	v_mov_b32_e32 v18, 0
	s_and_saveexec_b32 s18, s19
	s_cbranch_execnz .LBB135_2402
	s_branch .LBB135_2403
.LBB135_2422:
	s_mov_b32 s17, -1
.LBB135_2423:
                                        ; implicit-def: $vgpr18
.LBB135_2424:
	s_and_b32 vcc_lo, exec_lo, s18
	s_mov_b32 s18, 0
	s_cbranch_vccz .LBB135_2426
; %bb.2425:
	s_cmp_lg_u32 s16, 11
	s_mov_b32 s18, -1
	s_cselect_b32 s17, -1, 0
.LBB135_2426:
	s_delay_alu instid0(SALU_CYCLE_1)
	s_and_b32 vcc_lo, exec_lo, s17
	s_cbranch_vccnz .LBB135_2489
; %bb.2427:
	s_and_not1_b32 vcc_lo, exec_lo, s18
	s_cbranch_vccnz .LBB135_2429
.LBB135_2428:
	global_load_u8 v1, v[32:33], off
	s_mov_b32 s19, -1
	s_wait_loadcnt 0x0
	v_cmp_ne_u16_e32 vcc_lo, 0, v1
	v_cndmask_b32_e64 v18, 0, 1, vcc_lo
.LBB135_2429:
	s_branch .LBB135_2360
.LBB135_2430:
	s_and_b32 s16, 0xffff, s15
	s_delay_alu instid0(SALU_CYCLE_1)
	s_cmp_lt_i32 s16, 5
	s_cbranch_scc1 .LBB135_2435
; %bb.2431:
	s_cmp_lt_i32 s16, 8
	s_cbranch_scc1 .LBB135_2436
; %bb.2432:
	;; [unrolled: 3-line block ×3, first 2 shown]
	s_cmp_gt_i32 s16, 9
	s_cbranch_scc0 .LBB135_2438
; %bb.2434:
	s_wait_loadcnt 0x0
	global_load_b64 v[18:19], v[32:33], off
	s_mov_b32 s17, 0
	s_wait_loadcnt 0x0
	v_cvt_i32_f64_e32 v18, v[18:19]
	s_branch .LBB135_2439
.LBB135_2435:
	s_mov_b32 s17, -1
                                        ; implicit-def: $vgpr18
	s_branch .LBB135_2457
.LBB135_2436:
	s_mov_b32 s17, -1
                                        ; implicit-def: $vgpr18
	s_branch .LBB135_2445
.LBB135_2437:
	s_mov_b32 s17, -1
                                        ; implicit-def: $vgpr18
	s_branch .LBB135_2442
.LBB135_2438:
	s_mov_b32 s17, -1
                                        ; implicit-def: $vgpr18
.LBB135_2439:
	s_delay_alu instid0(SALU_CYCLE_1)
	s_and_not1_b32 vcc_lo, exec_lo, s17
	s_cbranch_vccnz .LBB135_2441
; %bb.2440:
	global_load_b32 v1, v[32:33], off
	s_wait_loadcnt 0x0
	v_cvt_i32_f32_e32 v18, v1
.LBB135_2441:
	s_mov_b32 s17, 0
.LBB135_2442:
	s_delay_alu instid0(SALU_CYCLE_1)
	s_and_not1_b32 vcc_lo, exec_lo, s17
	s_cbranch_vccnz .LBB135_2444
; %bb.2443:
	global_load_b32 v1, v[32:33], off
	s_wait_loadcnt 0x0
	v_cvt_i16_f16_e32 v18, v1
.LBB135_2444:
	s_mov_b32 s17, 0
.LBB135_2445:
	s_delay_alu instid0(SALU_CYCLE_1)
	s_and_not1_b32 vcc_lo, exec_lo, s17
	s_cbranch_vccnz .LBB135_2456
; %bb.2446:
	s_cmp_lt_i32 s16, 6
	s_cbranch_scc1 .LBB135_2449
; %bb.2447:
	s_cmp_gt_i32 s16, 6
	s_cbranch_scc0 .LBB135_2450
; %bb.2448:
	s_wait_loadcnt 0x0
	global_load_b64 v[18:19], v[32:33], off
	s_mov_b32 s17, 0
	s_wait_loadcnt 0x0
	v_cvt_i32_f64_e32 v18, v[18:19]
	s_branch .LBB135_2451
.LBB135_2449:
	s_mov_b32 s17, -1
                                        ; implicit-def: $vgpr18
	s_branch .LBB135_2454
.LBB135_2450:
	s_mov_b32 s17, -1
                                        ; implicit-def: $vgpr18
.LBB135_2451:
	s_delay_alu instid0(SALU_CYCLE_1)
	s_and_not1_b32 vcc_lo, exec_lo, s17
	s_cbranch_vccnz .LBB135_2453
; %bb.2452:
	global_load_b32 v1, v[32:33], off
	s_wait_loadcnt 0x0
	v_cvt_i32_f32_e32 v18, v1
.LBB135_2453:
	s_mov_b32 s17, 0
.LBB135_2454:
	s_delay_alu instid0(SALU_CYCLE_1)
	s_and_not1_b32 vcc_lo, exec_lo, s17
	s_cbranch_vccnz .LBB135_2456
; %bb.2455:
	global_load_u16 v1, v[32:33], off
	s_wait_loadcnt 0x0
	v_cvt_i16_f16_e32 v18, v1
.LBB135_2456:
	s_mov_b32 s17, 0
.LBB135_2457:
	s_delay_alu instid0(SALU_CYCLE_1)
	s_and_not1_b32 vcc_lo, exec_lo, s17
	s_cbranch_vccnz .LBB135_2477
; %bb.2458:
	s_cmp_lt_i32 s16, 2
	s_cbranch_scc1 .LBB135_2462
; %bb.2459:
	s_cmp_lt_i32 s16, 3
	s_cbranch_scc1 .LBB135_2463
; %bb.2460:
	s_cmp_gt_i32 s16, 3
	s_cbranch_scc0 .LBB135_2464
; %bb.2461:
	s_wait_loadcnt 0x0
	global_load_b64 v[18:19], v[32:33], off
	s_mov_b32 s17, 0
	s_branch .LBB135_2465
.LBB135_2462:
	s_mov_b32 s17, -1
                                        ; implicit-def: $vgpr18
	s_branch .LBB135_2471
.LBB135_2463:
	s_mov_b32 s17, -1
                                        ; implicit-def: $vgpr18
	s_branch .LBB135_2468
.LBB135_2464:
	s_mov_b32 s17, -1
                                        ; implicit-def: $vgpr18
.LBB135_2465:
	s_delay_alu instid0(SALU_CYCLE_1)
	s_and_not1_b32 vcc_lo, exec_lo, s17
	s_cbranch_vccnz .LBB135_2467
; %bb.2466:
	s_wait_loadcnt 0x0
	global_load_b32 v18, v[32:33], off
.LBB135_2467:
	s_mov_b32 s17, 0
.LBB135_2468:
	s_delay_alu instid0(SALU_CYCLE_1)
	s_and_not1_b32 vcc_lo, exec_lo, s17
	s_cbranch_vccnz .LBB135_2470
; %bb.2469:
	s_wait_loadcnt 0x0
	global_load_u16 v18, v[32:33], off
.LBB135_2470:
	s_mov_b32 s17, 0
.LBB135_2471:
	s_delay_alu instid0(SALU_CYCLE_1)
	s_and_not1_b32 vcc_lo, exec_lo, s17
	s_cbranch_vccnz .LBB135_2477
; %bb.2472:
	s_cmp_gt_i32 s16, 0
	s_mov_b32 s16, 0
	s_cbranch_scc0 .LBB135_2474
; %bb.2473:
	s_wait_loadcnt 0x0
	global_load_i8 v18, v[32:33], off
	s_branch .LBB135_2475
.LBB135_2474:
	s_mov_b32 s16, -1
                                        ; implicit-def: $vgpr18
.LBB135_2475:
	s_delay_alu instid0(SALU_CYCLE_1)
	s_and_not1_b32 vcc_lo, exec_lo, s16
	s_cbranch_vccnz .LBB135_2477
; %bb.2476:
	s_wait_loadcnt 0x0
	global_load_u8 v18, v[32:33], off
.LBB135_2477:
.LBB135_2478:
	v_mov_b32_e32 v17, 0
	s_and_b32 s13, 0xffff, s13
	s_delay_alu instid0(SALU_CYCLE_1) | instskip(SKIP_1) | instid1(VALU_DEP_1)
	s_cmp_lt_i32 s13, 11
	s_wait_xcnt 0x0
	v_add_nc_u64_e32 v[32:33], s[6:7], v[16:17]
	s_cbranch_scc1 .LBB135_2485
; %bb.2479:
	s_cmp_gt_i32 s13, 25
	s_mov_b32 s17, 0
	s_cbranch_scc0 .LBB135_2486
; %bb.2480:
	s_cmp_gt_i32 s13, 28
	s_cbranch_scc0 .LBB135_2487
; %bb.2481:
	s_cmp_gt_i32 s13, 43
	;; [unrolled: 3-line block ×3, first 2 shown]
	s_cbranch_scc0 .LBB135_2490
; %bb.2483:
	s_cmp_eq_u32 s13, 46
	s_mov_b32 s19, 0
	s_cbranch_scc0 .LBB135_2491
; %bb.2484:
	global_load_b32 v1, v[32:33], off
	s_mov_b32 s16, 0
	s_mov_b32 s18, -1
	s_wait_loadcnt 0x0
	v_lshlrev_b32_e32 v1, 16, v1
	s_delay_alu instid0(VALU_DEP_1)
	v_cvt_i32_f32_e32 v16, v1
	s_branch .LBB135_2493
.LBB135_2485:
	s_mov_b32 s16, -1
	s_mov_b32 s18, 0
                                        ; implicit-def: $vgpr16
	s_branch .LBB135_2555
.LBB135_2486:
	s_mov_b32 s19, -1
	s_mov_b32 s18, 0
	s_mov_b32 s16, 0
                                        ; implicit-def: $vgpr16
	s_branch .LBB135_2520
.LBB135_2487:
	s_mov_b32 s19, -1
	s_mov_b32 s18, 0
	s_mov_b32 s16, 0
                                        ; implicit-def: $vgpr16
	s_branch .LBB135_2503
.LBB135_2488:
	s_mov_b32 s19, -1
	s_mov_b32 s18, 0
	s_mov_b32 s16, 0
                                        ; implicit-def: $vgpr16
	s_branch .LBB135_2498
.LBB135_2489:
	s_or_b32 s12, s12, exec_lo
	s_trap 2
	s_cbranch_execz .LBB135_2428
	s_branch .LBB135_2429
.LBB135_2490:
	s_mov_b32 s19, -1
	s_mov_b32 s18, 0
	s_mov_b32 s16, 0
	s_branch .LBB135_2492
.LBB135_2491:
	s_mov_b32 s16, -1
	s_mov_b32 s18, 0
.LBB135_2492:
                                        ; implicit-def: $vgpr16
.LBB135_2493:
	s_and_b32 vcc_lo, exec_lo, s19
	s_cbranch_vccz .LBB135_2497
; %bb.2494:
	s_cmp_eq_u32 s13, 44
	s_cbranch_scc0 .LBB135_2496
; %bb.2495:
	global_load_u8 v1, v[32:33], off
	s_mov_b32 s16, 0
	s_mov_b32 s18, -1
	s_wait_loadcnt 0x0
	v_lshlrev_b32_e32 v3, 23, v1
	v_cmp_ne_u32_e32 vcc_lo, 0, v1
	s_delay_alu instid0(VALU_DEP_2) | instskip(NEXT) | instid1(VALU_DEP_1)
	v_cvt_i32_f32_e32 v3, v3
	v_cndmask_b32_e32 v16, 0, v3, vcc_lo
	s_branch .LBB135_2497
.LBB135_2496:
	s_mov_b32 s16, -1
                                        ; implicit-def: $vgpr16
.LBB135_2497:
	s_mov_b32 s19, 0
.LBB135_2498:
	s_delay_alu instid0(SALU_CYCLE_1)
	s_and_b32 vcc_lo, exec_lo, s19
	s_cbranch_vccz .LBB135_2502
; %bb.2499:
	s_cmp_eq_u32 s13, 29
	s_cbranch_scc0 .LBB135_2501
; %bb.2500:
	global_load_b64 v[16:17], v[32:33], off
	s_mov_b32 s16, 0
	s_mov_b32 s18, -1
	s_branch .LBB135_2502
.LBB135_2501:
	s_mov_b32 s16, -1
                                        ; implicit-def: $vgpr16
.LBB135_2502:
	s_mov_b32 s19, 0
.LBB135_2503:
	s_delay_alu instid0(SALU_CYCLE_1)
	s_and_b32 vcc_lo, exec_lo, s19
	s_cbranch_vccz .LBB135_2519
; %bb.2504:
	s_cmp_lt_i32 s13, 27
	s_cbranch_scc1 .LBB135_2507
; %bb.2505:
	s_cmp_gt_i32 s13, 27
	s_cbranch_scc0 .LBB135_2508
; %bb.2506:
	s_wait_loadcnt 0x0
	global_load_b32 v16, v[32:33], off
	s_mov_b32 s18, 0
	s_branch .LBB135_2509
.LBB135_2507:
	s_mov_b32 s18, -1
                                        ; implicit-def: $vgpr16
	s_branch .LBB135_2512
.LBB135_2508:
	s_mov_b32 s18, -1
                                        ; implicit-def: $vgpr16
.LBB135_2509:
	s_delay_alu instid0(SALU_CYCLE_1)
	s_and_not1_b32 vcc_lo, exec_lo, s18
	s_cbranch_vccnz .LBB135_2511
; %bb.2510:
	s_wait_loadcnt 0x0
	global_load_u16 v16, v[32:33], off
.LBB135_2511:
	s_mov_b32 s18, 0
.LBB135_2512:
	s_delay_alu instid0(SALU_CYCLE_1)
	s_and_not1_b32 vcc_lo, exec_lo, s18
	s_cbranch_vccnz .LBB135_2518
; %bb.2513:
	global_load_u8 v1, v[32:33], off
	s_mov_b32 s19, 0
	s_mov_b32 s18, exec_lo
	s_wait_loadcnt 0x0
	v_cmpx_lt_i16_e32 0x7f, v1
	s_xor_b32 s18, exec_lo, s18
	s_cbranch_execz .LBB135_2530
; %bb.2514:
	v_cmp_ne_u16_e32 vcc_lo, 0x80, v1
	s_and_b32 s19, vcc_lo, exec_lo
	s_and_not1_saveexec_b32 s18, s18
	s_cbranch_execnz .LBB135_2531
.LBB135_2515:
	s_or_b32 exec_lo, exec_lo, s18
	v_mov_b32_e32 v16, 0
	s_and_saveexec_b32 s18, s19
	s_cbranch_execz .LBB135_2517
.LBB135_2516:
	v_and_b32_e32 v3, 0xffff, v1
	s_delay_alu instid0(VALU_DEP_1) | instskip(SKIP_1) | instid1(VALU_DEP_2)
	v_dual_lshlrev_b32 v1, 24, v1 :: v_dual_bitop2_b32 v5, 7, v3 bitop3:0x40
	v_bfe_u32 v11, v3, 3, 4
	v_and_b32_e32 v1, 0x80000000, v1
	s_delay_alu instid0(VALU_DEP_3) | instskip(NEXT) | instid1(VALU_DEP_3)
	v_clz_i32_u32_e32 v7, v5
	v_cmp_eq_u32_e32 vcc_lo, 0, v11
	s_delay_alu instid0(VALU_DEP_2) | instskip(NEXT) | instid1(VALU_DEP_1)
	v_min_u32_e32 v7, 32, v7
	v_subrev_nc_u32_e32 v9, 28, v7
	v_sub_nc_u32_e32 v7, 29, v7
	s_delay_alu instid0(VALU_DEP_2) | instskip(NEXT) | instid1(VALU_DEP_2)
	v_lshlrev_b32_e32 v3, v9, v3
	v_cndmask_b32_e32 v7, v11, v7, vcc_lo
	s_delay_alu instid0(VALU_DEP_2) | instskip(NEXT) | instid1(VALU_DEP_1)
	v_and_b32_e32 v3, 7, v3
	v_cndmask_b32_e32 v3, v5, v3, vcc_lo
	s_delay_alu instid0(VALU_DEP_3) | instskip(NEXT) | instid1(VALU_DEP_2)
	v_lshl_add_u32 v5, v7, 23, 0x3b800000
	v_lshlrev_b32_e32 v3, 20, v3
	s_delay_alu instid0(VALU_DEP_1) | instskip(NEXT) | instid1(VALU_DEP_1)
	v_or3_b32 v1, v1, v5, v3
	v_cvt_i32_f32_e32 v16, v1
.LBB135_2517:
	s_or_b32 exec_lo, exec_lo, s18
.LBB135_2518:
	s_mov_b32 s18, -1
.LBB135_2519:
	s_mov_b32 s19, 0
.LBB135_2520:
	s_delay_alu instid0(SALU_CYCLE_1)
	s_and_b32 vcc_lo, exec_lo, s19
	s_cbranch_vccz .LBB135_2551
; %bb.2521:
	s_cmp_gt_i32 s13, 22
	s_cbranch_scc0 .LBB135_2529
; %bb.2522:
	s_cmp_lt_i32 s13, 24
	s_cbranch_scc1 .LBB135_2532
; %bb.2523:
	s_cmp_gt_i32 s13, 24
	s_cbranch_scc0 .LBB135_2533
; %bb.2524:
	global_load_u8 v1, v[32:33], off
	s_mov_b32 s18, 0
	s_mov_b32 s17, exec_lo
	s_wait_loadcnt 0x0
	v_cmpx_lt_i16_e32 0x7f, v1
	s_xor_b32 s17, exec_lo, s17
	s_cbranch_execz .LBB135_2545
; %bb.2525:
	v_cmp_ne_u16_e32 vcc_lo, 0x80, v1
	s_and_b32 s18, vcc_lo, exec_lo
	s_and_not1_saveexec_b32 s17, s17
	s_cbranch_execnz .LBB135_2546
.LBB135_2526:
	s_or_b32 exec_lo, exec_lo, s17
	v_mov_b32_e32 v16, 0
	s_and_saveexec_b32 s17, s18
	s_cbranch_execz .LBB135_2528
.LBB135_2527:
	v_and_b32_e32 v3, 0xffff, v1
	s_delay_alu instid0(VALU_DEP_1) | instskip(SKIP_1) | instid1(VALU_DEP_2)
	v_dual_lshlrev_b32 v1, 24, v1 :: v_dual_bitop2_b32 v5, 3, v3 bitop3:0x40
	v_bfe_u32 v11, v3, 2, 5
	v_and_b32_e32 v1, 0x80000000, v1
	s_delay_alu instid0(VALU_DEP_3) | instskip(NEXT) | instid1(VALU_DEP_3)
	v_clz_i32_u32_e32 v7, v5
	v_cmp_eq_u32_e32 vcc_lo, 0, v11
	s_delay_alu instid0(VALU_DEP_2) | instskip(NEXT) | instid1(VALU_DEP_1)
	v_min_u32_e32 v7, 32, v7
	v_subrev_nc_u32_e32 v9, 29, v7
	v_sub_nc_u32_e32 v7, 30, v7
	s_delay_alu instid0(VALU_DEP_2) | instskip(NEXT) | instid1(VALU_DEP_2)
	v_lshlrev_b32_e32 v3, v9, v3
	v_cndmask_b32_e32 v7, v11, v7, vcc_lo
	s_delay_alu instid0(VALU_DEP_2) | instskip(NEXT) | instid1(VALU_DEP_1)
	v_and_b32_e32 v3, 3, v3
	v_cndmask_b32_e32 v3, v5, v3, vcc_lo
	s_delay_alu instid0(VALU_DEP_3) | instskip(NEXT) | instid1(VALU_DEP_2)
	v_lshl_add_u32 v5, v7, 23, 0x37800000
	v_lshlrev_b32_e32 v3, 21, v3
	s_delay_alu instid0(VALU_DEP_1) | instskip(NEXT) | instid1(VALU_DEP_1)
	v_or3_b32 v1, v1, v5, v3
	v_cvt_i32_f32_e32 v16, v1
.LBB135_2528:
	s_or_b32 exec_lo, exec_lo, s17
	s_mov_b32 s17, 0
	s_branch .LBB135_2534
.LBB135_2529:
	s_mov_b32 s17, -1
                                        ; implicit-def: $vgpr16
	s_branch .LBB135_2540
.LBB135_2530:
	s_and_not1_saveexec_b32 s18, s18
	s_cbranch_execz .LBB135_2515
.LBB135_2531:
	v_cmp_ne_u16_e32 vcc_lo, 0, v1
	s_and_not1_b32 s19, s19, exec_lo
	s_and_b32 s20, vcc_lo, exec_lo
	s_delay_alu instid0(SALU_CYCLE_1)
	s_or_b32 s19, s19, s20
	s_or_b32 exec_lo, exec_lo, s18
	v_mov_b32_e32 v16, 0
	s_and_saveexec_b32 s18, s19
	s_cbranch_execnz .LBB135_2516
	s_branch .LBB135_2517
.LBB135_2532:
	s_mov_b32 s17, -1
                                        ; implicit-def: $vgpr16
	s_branch .LBB135_2537
.LBB135_2533:
	s_mov_b32 s17, -1
                                        ; implicit-def: $vgpr16
.LBB135_2534:
	s_delay_alu instid0(SALU_CYCLE_1)
	s_and_b32 vcc_lo, exec_lo, s17
	s_cbranch_vccz .LBB135_2536
; %bb.2535:
	global_load_u8 v1, v[32:33], off
	s_wait_loadcnt 0x0
	v_lshlrev_b32_e32 v1, 24, v1
	s_delay_alu instid0(VALU_DEP_1) | instskip(NEXT) | instid1(VALU_DEP_1)
	v_and_b32_e32 v3, 0x7f000000, v1
	v_clz_i32_u32_e32 v5, v3
	v_add_nc_u32_e32 v9, 0x1000000, v3
	v_cmp_ne_u32_e32 vcc_lo, 0, v3
	s_delay_alu instid0(VALU_DEP_3) | instskip(NEXT) | instid1(VALU_DEP_1)
	v_min_u32_e32 v5, 32, v5
	v_sub_nc_u32_e64 v5, v5, 4 clamp
	s_delay_alu instid0(VALU_DEP_1) | instskip(NEXT) | instid1(VALU_DEP_1)
	v_dual_lshlrev_b32 v7, v5, v3 :: v_dual_lshlrev_b32 v5, 23, v5
	v_lshrrev_b32_e32 v7, 4, v7
	s_delay_alu instid0(VALU_DEP_1) | instskip(SKIP_1) | instid1(VALU_DEP_2)
	v_sub_nc_u32_e32 v5, v7, v5
	v_ashrrev_i32_e32 v7, 8, v9
	v_add_nc_u32_e32 v5, 0x3c000000, v5
	s_delay_alu instid0(VALU_DEP_1) | instskip(NEXT) | instid1(VALU_DEP_1)
	v_and_or_b32 v5, 0x7f800000, v7, v5
	v_cndmask_b32_e32 v3, 0, v5, vcc_lo
	s_delay_alu instid0(VALU_DEP_1) | instskip(NEXT) | instid1(VALU_DEP_1)
	v_and_or_b32 v1, 0x80000000, v1, v3
	v_cvt_i32_f32_e32 v16, v1
.LBB135_2536:
	s_mov_b32 s17, 0
.LBB135_2537:
	s_delay_alu instid0(SALU_CYCLE_1)
	s_and_not1_b32 vcc_lo, exec_lo, s17
	s_cbranch_vccnz .LBB135_2539
; %bb.2538:
	global_load_u8 v1, v[32:33], off
	s_wait_loadcnt 0x0
	v_lshlrev_b32_e32 v3, 25, v1
	v_lshlrev_b16 v1, 8, v1
	s_delay_alu instid0(VALU_DEP_1) | instskip(SKIP_1) | instid1(VALU_DEP_2)
	v_and_or_b32 v7, 0x7f00, v1, 0.5
	v_bfe_i32 v1, v1, 0, 16
	v_add_f32_e32 v7, -0.5, v7
	v_lshrrev_b32_e32 v5, 4, v3
	v_cmp_gt_u32_e32 vcc_lo, 0x8000000, v3
	s_delay_alu instid0(VALU_DEP_2) | instskip(NEXT) | instid1(VALU_DEP_1)
	v_or_b32_e32 v5, 0x70000000, v5
	v_mul_f32_e32 v5, 0x7800000, v5
	s_delay_alu instid0(VALU_DEP_1) | instskip(NEXT) | instid1(VALU_DEP_1)
	v_cndmask_b32_e32 v3, v5, v7, vcc_lo
	v_and_or_b32 v1, 0x80000000, v1, v3
	s_delay_alu instid0(VALU_DEP_1)
	v_cvt_i32_f32_e32 v16, v1
.LBB135_2539:
	s_mov_b32 s17, 0
	s_mov_b32 s18, -1
.LBB135_2540:
	s_and_not1_b32 vcc_lo, exec_lo, s17
	s_mov_b32 s17, 0
	s_cbranch_vccnz .LBB135_2551
; %bb.2541:
	s_cmp_gt_i32 s13, 14
	s_cbranch_scc0 .LBB135_2544
; %bb.2542:
	s_cmp_eq_u32 s13, 15
	s_cbranch_scc0 .LBB135_2547
; %bb.2543:
	global_load_u16 v1, v[32:33], off
	s_mov_b32 s16, 0
	s_mov_b32 s18, -1
	s_wait_loadcnt 0x0
	v_lshlrev_b32_e32 v1, 16, v1
	s_delay_alu instid0(VALU_DEP_1)
	v_cvt_i32_f32_e32 v16, v1
	s_branch .LBB135_2549
.LBB135_2544:
	s_mov_b32 s17, -1
	s_branch .LBB135_2548
.LBB135_2545:
	s_and_not1_saveexec_b32 s17, s17
	s_cbranch_execz .LBB135_2526
.LBB135_2546:
	v_cmp_ne_u16_e32 vcc_lo, 0, v1
	s_and_not1_b32 s18, s18, exec_lo
	s_and_b32 s19, vcc_lo, exec_lo
	s_delay_alu instid0(SALU_CYCLE_1)
	s_or_b32 s18, s18, s19
	s_or_b32 exec_lo, exec_lo, s17
	v_mov_b32_e32 v16, 0
	s_and_saveexec_b32 s17, s18
	s_cbranch_execnz .LBB135_2527
	s_branch .LBB135_2528
.LBB135_2547:
	s_mov_b32 s16, -1
.LBB135_2548:
                                        ; implicit-def: $vgpr16
.LBB135_2549:
	s_and_b32 vcc_lo, exec_lo, s17
	s_mov_b32 s17, 0
	s_cbranch_vccz .LBB135_2551
; %bb.2550:
	s_cmp_lg_u32 s13, 11
	s_mov_b32 s17, -1
	s_cselect_b32 s16, -1, 0
.LBB135_2551:
	s_delay_alu instid0(SALU_CYCLE_1)
	s_and_b32 vcc_lo, exec_lo, s16
	s_cbranch_vccnz .LBB135_2616
; %bb.2552:
	s_and_not1_b32 vcc_lo, exec_lo, s17
	s_cbranch_vccnz .LBB135_2554
.LBB135_2553:
	global_load_u8 v1, v[32:33], off
	s_mov_b32 s18, -1
	s_wait_loadcnt 0x0
	v_cmp_ne_u16_e32 vcc_lo, 0, v1
	v_cndmask_b32_e64 v16, 0, 1, vcc_lo
.LBB135_2554:
	s_mov_b32 s16, 0
.LBB135_2555:
	s_delay_alu instid0(SALU_CYCLE_1)
	s_and_b32 vcc_lo, exec_lo, s16
	s_cbranch_vccz .LBB135_2604
; %bb.2556:
	s_cmp_lt_i32 s13, 5
	s_cbranch_scc1 .LBB135_2561
; %bb.2557:
	s_cmp_lt_i32 s13, 8
	s_cbranch_scc1 .LBB135_2562
	;; [unrolled: 3-line block ×3, first 2 shown]
; %bb.2559:
	s_cmp_gt_i32 s13, 9
	s_cbranch_scc0 .LBB135_2564
; %bb.2560:
	s_wait_loadcnt 0x0
	global_load_b64 v[16:17], v[32:33], off
	s_mov_b32 s16, 0
	s_wait_loadcnt 0x0
	v_cvt_i32_f64_e32 v16, v[16:17]
	s_branch .LBB135_2565
.LBB135_2561:
	s_mov_b32 s16, -1
                                        ; implicit-def: $vgpr16
	s_branch .LBB135_2583
.LBB135_2562:
	s_mov_b32 s16, -1
                                        ; implicit-def: $vgpr16
	s_branch .LBB135_2571
.LBB135_2563:
	s_mov_b32 s16, -1
                                        ; implicit-def: $vgpr16
	s_branch .LBB135_2568
.LBB135_2564:
	s_mov_b32 s16, -1
                                        ; implicit-def: $vgpr16
.LBB135_2565:
	s_delay_alu instid0(SALU_CYCLE_1)
	s_and_not1_b32 vcc_lo, exec_lo, s16
	s_cbranch_vccnz .LBB135_2567
; %bb.2566:
	global_load_b32 v1, v[32:33], off
	s_wait_loadcnt 0x0
	v_cvt_i32_f32_e32 v16, v1
.LBB135_2567:
	s_mov_b32 s16, 0
.LBB135_2568:
	s_delay_alu instid0(SALU_CYCLE_1)
	s_and_not1_b32 vcc_lo, exec_lo, s16
	s_cbranch_vccnz .LBB135_2570
; %bb.2569:
	global_load_b32 v1, v[32:33], off
	s_wait_loadcnt 0x0
	v_cvt_i16_f16_e32 v16, v1
.LBB135_2570:
	s_mov_b32 s16, 0
.LBB135_2571:
	s_delay_alu instid0(SALU_CYCLE_1)
	s_and_not1_b32 vcc_lo, exec_lo, s16
	s_cbranch_vccnz .LBB135_2582
; %bb.2572:
	s_cmp_lt_i32 s13, 6
	s_cbranch_scc1 .LBB135_2575
; %bb.2573:
	s_cmp_gt_i32 s13, 6
	s_cbranch_scc0 .LBB135_2576
; %bb.2574:
	s_wait_loadcnt 0x0
	global_load_b64 v[16:17], v[32:33], off
	s_mov_b32 s16, 0
	s_wait_loadcnt 0x0
	v_cvt_i32_f64_e32 v16, v[16:17]
	s_branch .LBB135_2577
.LBB135_2575:
	s_mov_b32 s16, -1
                                        ; implicit-def: $vgpr16
	s_branch .LBB135_2580
.LBB135_2576:
	s_mov_b32 s16, -1
                                        ; implicit-def: $vgpr16
.LBB135_2577:
	s_delay_alu instid0(SALU_CYCLE_1)
	s_and_not1_b32 vcc_lo, exec_lo, s16
	s_cbranch_vccnz .LBB135_2579
; %bb.2578:
	global_load_b32 v1, v[32:33], off
	s_wait_loadcnt 0x0
	v_cvt_i32_f32_e32 v16, v1
.LBB135_2579:
	s_mov_b32 s16, 0
.LBB135_2580:
	s_delay_alu instid0(SALU_CYCLE_1)
	s_and_not1_b32 vcc_lo, exec_lo, s16
	s_cbranch_vccnz .LBB135_2582
; %bb.2581:
	global_load_u16 v1, v[32:33], off
	s_wait_loadcnt 0x0
	v_cvt_i16_f16_e32 v16, v1
.LBB135_2582:
	s_mov_b32 s16, 0
.LBB135_2583:
	s_delay_alu instid0(SALU_CYCLE_1)
	s_and_not1_b32 vcc_lo, exec_lo, s16
	s_cbranch_vccnz .LBB135_2603
; %bb.2584:
	s_cmp_lt_i32 s13, 2
	s_cbranch_scc1 .LBB135_2588
; %bb.2585:
	s_cmp_lt_i32 s13, 3
	s_cbranch_scc1 .LBB135_2589
; %bb.2586:
	s_cmp_gt_i32 s13, 3
	s_cbranch_scc0 .LBB135_2590
; %bb.2587:
	s_wait_loadcnt 0x0
	global_load_b64 v[16:17], v[32:33], off
	s_mov_b32 s16, 0
	s_branch .LBB135_2591
.LBB135_2588:
	s_mov_b32 s16, -1
                                        ; implicit-def: $vgpr16
	s_branch .LBB135_2597
.LBB135_2589:
	s_mov_b32 s16, -1
                                        ; implicit-def: $vgpr16
	s_branch .LBB135_2594
.LBB135_2590:
	s_mov_b32 s16, -1
                                        ; implicit-def: $vgpr16
.LBB135_2591:
	s_delay_alu instid0(SALU_CYCLE_1)
	s_and_not1_b32 vcc_lo, exec_lo, s16
	s_cbranch_vccnz .LBB135_2593
; %bb.2592:
	s_wait_loadcnt 0x0
	global_load_b32 v16, v[32:33], off
.LBB135_2593:
	s_mov_b32 s16, 0
.LBB135_2594:
	s_delay_alu instid0(SALU_CYCLE_1)
	s_and_not1_b32 vcc_lo, exec_lo, s16
	s_cbranch_vccnz .LBB135_2596
; %bb.2595:
	s_wait_loadcnt 0x0
	global_load_u16 v16, v[32:33], off
.LBB135_2596:
	s_mov_b32 s16, 0
.LBB135_2597:
	s_delay_alu instid0(SALU_CYCLE_1)
	s_and_not1_b32 vcc_lo, exec_lo, s16
	s_cbranch_vccnz .LBB135_2603
; %bb.2598:
	s_cmp_gt_i32 s13, 0
	s_mov_b32 s16, 0
	s_cbranch_scc0 .LBB135_2600
; %bb.2599:
	s_wait_loadcnt 0x0
	global_load_i8 v16, v[32:33], off
	s_branch .LBB135_2601
.LBB135_2600:
	s_mov_b32 s16, -1
                                        ; implicit-def: $vgpr16
.LBB135_2601:
	s_delay_alu instid0(SALU_CYCLE_1)
	s_and_not1_b32 vcc_lo, exec_lo, s16
	s_cbranch_vccnz .LBB135_2603
; %bb.2602:
	s_wait_loadcnt 0x0
	global_load_u8 v16, v[32:33], off
.LBB135_2603:
	s_mov_b32 s18, -1
.LBB135_2604:
	s_delay_alu instid0(SALU_CYCLE_1)
	s_and_not1_b32 vcc_lo, exec_lo, s18
	s_cbranch_vccnz .LBB135_4058
; %bb.2605:
	v_mov_b32_e32 v23, 0
	s_and_b32 s14, 0xffff, s14
	s_delay_alu instid0(SALU_CYCLE_1) | instskip(SKIP_1) | instid1(VALU_DEP_1)
	s_cmp_lt_i32 s14, 11
	s_wait_xcnt 0x0
	v_add_nc_u64_e32 v[32:33], s[0:1], v[22:23]
	s_cbranch_scc1 .LBB135_2612
; %bb.2606:
	s_cmp_gt_i32 s14, 25
	s_mov_b32 s17, 0
	s_cbranch_scc0 .LBB135_2613
; %bb.2607:
	s_cmp_gt_i32 s14, 28
	s_cbranch_scc0 .LBB135_2614
; %bb.2608:
	s_cmp_gt_i32 s14, 43
	;; [unrolled: 3-line block ×3, first 2 shown]
	s_cbranch_scc0 .LBB135_2617
; %bb.2610:
	s_cmp_eq_u32 s14, 46
	s_mov_b32 s19, 0
	s_cbranch_scc0 .LBB135_2618
; %bb.2611:
	global_load_b32 v1, v[32:33], off
	s_mov_b32 s16, 0
	s_mov_b32 s18, -1
	s_wait_loadcnt 0x0
	v_lshlrev_b32_e32 v1, 16, v1
	s_delay_alu instid0(VALU_DEP_1)
	v_cvt_i32_f32_e32 v22, v1
	s_branch .LBB135_2620
.LBB135_2612:
	s_mov_b32 s16, -1
	s_mov_b32 s18, 0
                                        ; implicit-def: $vgpr22
	s_branch .LBB135_2682
.LBB135_2613:
	s_mov_b32 s19, -1
	s_mov_b32 s18, 0
	s_mov_b32 s16, 0
                                        ; implicit-def: $vgpr22
	s_branch .LBB135_2647
.LBB135_2614:
	s_mov_b32 s19, -1
	s_mov_b32 s18, 0
	s_mov_b32 s16, 0
                                        ; implicit-def: $vgpr22
	s_branch .LBB135_2630
.LBB135_2615:
	s_mov_b32 s19, -1
	s_mov_b32 s18, 0
	s_mov_b32 s16, 0
                                        ; implicit-def: $vgpr22
	s_branch .LBB135_2625
.LBB135_2616:
	s_or_b32 s12, s12, exec_lo
	s_trap 2
	s_cbranch_execz .LBB135_2553
	s_branch .LBB135_2554
.LBB135_2617:
	s_mov_b32 s19, -1
	s_mov_b32 s18, 0
	s_mov_b32 s16, 0
	s_branch .LBB135_2619
.LBB135_2618:
	s_mov_b32 s16, -1
	s_mov_b32 s18, 0
.LBB135_2619:
                                        ; implicit-def: $vgpr22
.LBB135_2620:
	s_and_b32 vcc_lo, exec_lo, s19
	s_cbranch_vccz .LBB135_2624
; %bb.2621:
	s_cmp_eq_u32 s14, 44
	s_cbranch_scc0 .LBB135_2623
; %bb.2622:
	global_load_u8 v1, v[32:33], off
	s_mov_b32 s16, 0
	s_mov_b32 s18, -1
	s_wait_loadcnt 0x0
	v_lshlrev_b32_e32 v3, 23, v1
	v_cmp_ne_u32_e32 vcc_lo, 0, v1
	s_delay_alu instid0(VALU_DEP_2) | instskip(NEXT) | instid1(VALU_DEP_1)
	v_cvt_i32_f32_e32 v3, v3
	v_cndmask_b32_e32 v22, 0, v3, vcc_lo
	s_branch .LBB135_2624
.LBB135_2623:
	s_mov_b32 s16, -1
                                        ; implicit-def: $vgpr22
.LBB135_2624:
	s_mov_b32 s19, 0
.LBB135_2625:
	s_delay_alu instid0(SALU_CYCLE_1)
	s_and_b32 vcc_lo, exec_lo, s19
	s_cbranch_vccz .LBB135_2629
; %bb.2626:
	s_cmp_eq_u32 s14, 29
	s_cbranch_scc0 .LBB135_2628
; %bb.2627:
	global_load_b64 v[22:23], v[32:33], off
	s_mov_b32 s16, 0
	s_mov_b32 s18, -1
	s_branch .LBB135_2629
.LBB135_2628:
	s_mov_b32 s16, -1
                                        ; implicit-def: $vgpr22
.LBB135_2629:
	s_mov_b32 s19, 0
.LBB135_2630:
	s_delay_alu instid0(SALU_CYCLE_1)
	s_and_b32 vcc_lo, exec_lo, s19
	s_cbranch_vccz .LBB135_2646
; %bb.2631:
	s_cmp_lt_i32 s14, 27
	s_cbranch_scc1 .LBB135_2634
; %bb.2632:
	s_cmp_gt_i32 s14, 27
	s_cbranch_scc0 .LBB135_2635
; %bb.2633:
	s_wait_loadcnt 0x0
	global_load_b32 v22, v[32:33], off
	s_mov_b32 s18, 0
	s_branch .LBB135_2636
.LBB135_2634:
	s_mov_b32 s18, -1
                                        ; implicit-def: $vgpr22
	s_branch .LBB135_2639
.LBB135_2635:
	s_mov_b32 s18, -1
                                        ; implicit-def: $vgpr22
.LBB135_2636:
	s_delay_alu instid0(SALU_CYCLE_1)
	s_and_not1_b32 vcc_lo, exec_lo, s18
	s_cbranch_vccnz .LBB135_2638
; %bb.2637:
	s_wait_loadcnt 0x0
	global_load_u16 v22, v[32:33], off
.LBB135_2638:
	s_mov_b32 s18, 0
.LBB135_2639:
	s_delay_alu instid0(SALU_CYCLE_1)
	s_and_not1_b32 vcc_lo, exec_lo, s18
	s_cbranch_vccnz .LBB135_2645
; %bb.2640:
	global_load_u8 v1, v[32:33], off
	s_mov_b32 s19, 0
	s_mov_b32 s18, exec_lo
	s_wait_loadcnt 0x0
	v_cmpx_lt_i16_e32 0x7f, v1
	s_xor_b32 s18, exec_lo, s18
	s_cbranch_execz .LBB135_2657
; %bb.2641:
	v_cmp_ne_u16_e32 vcc_lo, 0x80, v1
	s_and_b32 s19, vcc_lo, exec_lo
	s_and_not1_saveexec_b32 s18, s18
	s_cbranch_execnz .LBB135_2658
.LBB135_2642:
	s_or_b32 exec_lo, exec_lo, s18
	v_mov_b32_e32 v22, 0
	s_and_saveexec_b32 s18, s19
	s_cbranch_execz .LBB135_2644
.LBB135_2643:
	v_and_b32_e32 v3, 0xffff, v1
	s_delay_alu instid0(VALU_DEP_1) | instskip(SKIP_1) | instid1(VALU_DEP_2)
	v_dual_lshlrev_b32 v1, 24, v1 :: v_dual_bitop2_b32 v5, 7, v3 bitop3:0x40
	v_bfe_u32 v11, v3, 3, 4
	v_and_b32_e32 v1, 0x80000000, v1
	s_delay_alu instid0(VALU_DEP_3) | instskip(NEXT) | instid1(VALU_DEP_3)
	v_clz_i32_u32_e32 v7, v5
	v_cmp_eq_u32_e32 vcc_lo, 0, v11
	s_delay_alu instid0(VALU_DEP_2) | instskip(NEXT) | instid1(VALU_DEP_1)
	v_min_u32_e32 v7, 32, v7
	v_subrev_nc_u32_e32 v9, 28, v7
	v_sub_nc_u32_e32 v7, 29, v7
	s_delay_alu instid0(VALU_DEP_2) | instskip(NEXT) | instid1(VALU_DEP_2)
	v_lshlrev_b32_e32 v3, v9, v3
	v_cndmask_b32_e32 v7, v11, v7, vcc_lo
	s_delay_alu instid0(VALU_DEP_2) | instskip(NEXT) | instid1(VALU_DEP_1)
	v_and_b32_e32 v3, 7, v3
	v_cndmask_b32_e32 v3, v5, v3, vcc_lo
	s_delay_alu instid0(VALU_DEP_3) | instskip(NEXT) | instid1(VALU_DEP_2)
	v_lshl_add_u32 v5, v7, 23, 0x3b800000
	v_lshlrev_b32_e32 v3, 20, v3
	s_delay_alu instid0(VALU_DEP_1) | instskip(NEXT) | instid1(VALU_DEP_1)
	v_or3_b32 v1, v1, v5, v3
	v_cvt_i32_f32_e32 v22, v1
.LBB135_2644:
	s_or_b32 exec_lo, exec_lo, s18
.LBB135_2645:
	s_mov_b32 s18, -1
.LBB135_2646:
	s_mov_b32 s19, 0
.LBB135_2647:
	s_delay_alu instid0(SALU_CYCLE_1)
	s_and_b32 vcc_lo, exec_lo, s19
	s_cbranch_vccz .LBB135_2678
; %bb.2648:
	s_cmp_gt_i32 s14, 22
	s_cbranch_scc0 .LBB135_2656
; %bb.2649:
	s_cmp_lt_i32 s14, 24
	s_cbranch_scc1 .LBB135_2659
; %bb.2650:
	s_cmp_gt_i32 s14, 24
	s_cbranch_scc0 .LBB135_2660
; %bb.2651:
	global_load_u8 v1, v[32:33], off
	s_mov_b32 s18, 0
	s_mov_b32 s17, exec_lo
	s_wait_loadcnt 0x0
	v_cmpx_lt_i16_e32 0x7f, v1
	s_xor_b32 s17, exec_lo, s17
	s_cbranch_execz .LBB135_2672
; %bb.2652:
	v_cmp_ne_u16_e32 vcc_lo, 0x80, v1
	s_and_b32 s18, vcc_lo, exec_lo
	s_and_not1_saveexec_b32 s17, s17
	s_cbranch_execnz .LBB135_2673
.LBB135_2653:
	s_or_b32 exec_lo, exec_lo, s17
	v_mov_b32_e32 v22, 0
	s_and_saveexec_b32 s17, s18
	s_cbranch_execz .LBB135_2655
.LBB135_2654:
	v_and_b32_e32 v3, 0xffff, v1
	s_delay_alu instid0(VALU_DEP_1) | instskip(SKIP_1) | instid1(VALU_DEP_2)
	v_dual_lshlrev_b32 v1, 24, v1 :: v_dual_bitop2_b32 v5, 3, v3 bitop3:0x40
	v_bfe_u32 v11, v3, 2, 5
	v_and_b32_e32 v1, 0x80000000, v1
	s_delay_alu instid0(VALU_DEP_3) | instskip(NEXT) | instid1(VALU_DEP_3)
	v_clz_i32_u32_e32 v7, v5
	v_cmp_eq_u32_e32 vcc_lo, 0, v11
	s_delay_alu instid0(VALU_DEP_2) | instskip(NEXT) | instid1(VALU_DEP_1)
	v_min_u32_e32 v7, 32, v7
	v_subrev_nc_u32_e32 v9, 29, v7
	v_sub_nc_u32_e32 v7, 30, v7
	s_delay_alu instid0(VALU_DEP_2) | instskip(NEXT) | instid1(VALU_DEP_2)
	v_lshlrev_b32_e32 v3, v9, v3
	v_cndmask_b32_e32 v7, v11, v7, vcc_lo
	s_delay_alu instid0(VALU_DEP_2) | instskip(NEXT) | instid1(VALU_DEP_1)
	v_and_b32_e32 v3, 3, v3
	v_cndmask_b32_e32 v3, v5, v3, vcc_lo
	s_delay_alu instid0(VALU_DEP_3) | instskip(NEXT) | instid1(VALU_DEP_2)
	v_lshl_add_u32 v5, v7, 23, 0x37800000
	v_lshlrev_b32_e32 v3, 21, v3
	s_delay_alu instid0(VALU_DEP_1) | instskip(NEXT) | instid1(VALU_DEP_1)
	v_or3_b32 v1, v1, v5, v3
	v_cvt_i32_f32_e32 v22, v1
.LBB135_2655:
	s_or_b32 exec_lo, exec_lo, s17
	s_mov_b32 s17, 0
	s_branch .LBB135_2661
.LBB135_2656:
	s_mov_b32 s17, -1
                                        ; implicit-def: $vgpr22
	s_branch .LBB135_2667
.LBB135_2657:
	s_and_not1_saveexec_b32 s18, s18
	s_cbranch_execz .LBB135_2642
.LBB135_2658:
	v_cmp_ne_u16_e32 vcc_lo, 0, v1
	s_and_not1_b32 s19, s19, exec_lo
	s_and_b32 s20, vcc_lo, exec_lo
	s_delay_alu instid0(SALU_CYCLE_1)
	s_or_b32 s19, s19, s20
	s_or_b32 exec_lo, exec_lo, s18
	v_mov_b32_e32 v22, 0
	s_and_saveexec_b32 s18, s19
	s_cbranch_execnz .LBB135_2643
	s_branch .LBB135_2644
.LBB135_2659:
	s_mov_b32 s17, -1
                                        ; implicit-def: $vgpr22
	s_branch .LBB135_2664
.LBB135_2660:
	s_mov_b32 s17, -1
                                        ; implicit-def: $vgpr22
.LBB135_2661:
	s_delay_alu instid0(SALU_CYCLE_1)
	s_and_b32 vcc_lo, exec_lo, s17
	s_cbranch_vccz .LBB135_2663
; %bb.2662:
	global_load_u8 v1, v[32:33], off
	s_wait_loadcnt 0x0
	v_lshlrev_b32_e32 v1, 24, v1
	s_delay_alu instid0(VALU_DEP_1) | instskip(NEXT) | instid1(VALU_DEP_1)
	v_and_b32_e32 v3, 0x7f000000, v1
	v_clz_i32_u32_e32 v5, v3
	v_add_nc_u32_e32 v9, 0x1000000, v3
	v_cmp_ne_u32_e32 vcc_lo, 0, v3
	s_delay_alu instid0(VALU_DEP_3) | instskip(NEXT) | instid1(VALU_DEP_1)
	v_min_u32_e32 v5, 32, v5
	v_sub_nc_u32_e64 v5, v5, 4 clamp
	s_delay_alu instid0(VALU_DEP_1) | instskip(NEXT) | instid1(VALU_DEP_1)
	v_dual_lshlrev_b32 v7, v5, v3 :: v_dual_lshlrev_b32 v5, 23, v5
	v_lshrrev_b32_e32 v7, 4, v7
	s_delay_alu instid0(VALU_DEP_1) | instskip(SKIP_1) | instid1(VALU_DEP_2)
	v_sub_nc_u32_e32 v5, v7, v5
	v_ashrrev_i32_e32 v7, 8, v9
	v_add_nc_u32_e32 v5, 0x3c000000, v5
	s_delay_alu instid0(VALU_DEP_1) | instskip(NEXT) | instid1(VALU_DEP_1)
	v_and_or_b32 v5, 0x7f800000, v7, v5
	v_cndmask_b32_e32 v3, 0, v5, vcc_lo
	s_delay_alu instid0(VALU_DEP_1) | instskip(NEXT) | instid1(VALU_DEP_1)
	v_and_or_b32 v1, 0x80000000, v1, v3
	v_cvt_i32_f32_e32 v22, v1
.LBB135_2663:
	s_mov_b32 s17, 0
.LBB135_2664:
	s_delay_alu instid0(SALU_CYCLE_1)
	s_and_not1_b32 vcc_lo, exec_lo, s17
	s_cbranch_vccnz .LBB135_2666
; %bb.2665:
	global_load_u8 v1, v[32:33], off
	s_wait_loadcnt 0x0
	v_lshlrev_b32_e32 v3, 25, v1
	v_lshlrev_b16 v1, 8, v1
	s_delay_alu instid0(VALU_DEP_1) | instskip(SKIP_1) | instid1(VALU_DEP_2)
	v_and_or_b32 v7, 0x7f00, v1, 0.5
	v_bfe_i32 v1, v1, 0, 16
	v_add_f32_e32 v7, -0.5, v7
	v_lshrrev_b32_e32 v5, 4, v3
	v_cmp_gt_u32_e32 vcc_lo, 0x8000000, v3
	s_delay_alu instid0(VALU_DEP_2) | instskip(NEXT) | instid1(VALU_DEP_1)
	v_or_b32_e32 v5, 0x70000000, v5
	v_mul_f32_e32 v5, 0x7800000, v5
	s_delay_alu instid0(VALU_DEP_1) | instskip(NEXT) | instid1(VALU_DEP_1)
	v_cndmask_b32_e32 v3, v5, v7, vcc_lo
	v_and_or_b32 v1, 0x80000000, v1, v3
	s_delay_alu instid0(VALU_DEP_1)
	v_cvt_i32_f32_e32 v22, v1
.LBB135_2666:
	s_mov_b32 s17, 0
	s_mov_b32 s18, -1
.LBB135_2667:
	s_and_not1_b32 vcc_lo, exec_lo, s17
	s_mov_b32 s17, 0
	s_cbranch_vccnz .LBB135_2678
; %bb.2668:
	s_cmp_gt_i32 s14, 14
	s_cbranch_scc0 .LBB135_2671
; %bb.2669:
	s_cmp_eq_u32 s14, 15
	s_cbranch_scc0 .LBB135_2674
; %bb.2670:
	global_load_u16 v1, v[32:33], off
	s_mov_b32 s16, 0
	s_mov_b32 s18, -1
	s_wait_loadcnt 0x0
	v_lshlrev_b32_e32 v1, 16, v1
	s_delay_alu instid0(VALU_DEP_1)
	v_cvt_i32_f32_e32 v22, v1
	s_branch .LBB135_2676
.LBB135_2671:
	s_mov_b32 s17, -1
	s_branch .LBB135_2675
.LBB135_2672:
	s_and_not1_saveexec_b32 s17, s17
	s_cbranch_execz .LBB135_2653
.LBB135_2673:
	v_cmp_ne_u16_e32 vcc_lo, 0, v1
	s_and_not1_b32 s18, s18, exec_lo
	s_and_b32 s19, vcc_lo, exec_lo
	s_delay_alu instid0(SALU_CYCLE_1)
	s_or_b32 s18, s18, s19
	s_or_b32 exec_lo, exec_lo, s17
	v_mov_b32_e32 v22, 0
	s_and_saveexec_b32 s17, s18
	s_cbranch_execnz .LBB135_2654
	s_branch .LBB135_2655
.LBB135_2674:
	s_mov_b32 s16, -1
.LBB135_2675:
                                        ; implicit-def: $vgpr22
.LBB135_2676:
	s_and_b32 vcc_lo, exec_lo, s17
	s_mov_b32 s17, 0
	s_cbranch_vccz .LBB135_2678
; %bb.2677:
	s_cmp_lg_u32 s14, 11
	s_mov_b32 s17, -1
	s_cselect_b32 s16, -1, 0
.LBB135_2678:
	s_delay_alu instid0(SALU_CYCLE_1)
	s_and_b32 vcc_lo, exec_lo, s16
	s_cbranch_vccnz .LBB135_2743
; %bb.2679:
	s_and_not1_b32 vcc_lo, exec_lo, s17
	s_cbranch_vccnz .LBB135_2681
.LBB135_2680:
	global_load_u8 v1, v[32:33], off
	s_mov_b32 s18, -1
	s_wait_loadcnt 0x0
	v_cmp_ne_u16_e32 vcc_lo, 0, v1
	v_cndmask_b32_e64 v22, 0, 1, vcc_lo
.LBB135_2681:
	s_mov_b32 s16, 0
.LBB135_2682:
	s_delay_alu instid0(SALU_CYCLE_1)
	s_and_b32 vcc_lo, exec_lo, s16
	s_cbranch_vccz .LBB135_2731
; %bb.2683:
	s_cmp_lt_i32 s14, 5
	s_cbranch_scc1 .LBB135_2688
; %bb.2684:
	s_cmp_lt_i32 s14, 8
	s_cbranch_scc1 .LBB135_2689
; %bb.2685:
	s_cmp_lt_i32 s14, 9
	s_cbranch_scc1 .LBB135_2690
; %bb.2686:
	s_cmp_gt_i32 s14, 9
	s_cbranch_scc0 .LBB135_2691
; %bb.2687:
	s_wait_loadcnt 0x0
	global_load_b64 v[22:23], v[32:33], off
	s_mov_b32 s16, 0
	s_wait_loadcnt 0x0
	v_cvt_i32_f64_e32 v22, v[22:23]
	s_branch .LBB135_2692
.LBB135_2688:
	s_mov_b32 s16, -1
                                        ; implicit-def: $vgpr22
	s_branch .LBB135_2710
.LBB135_2689:
	s_mov_b32 s16, -1
                                        ; implicit-def: $vgpr22
	s_branch .LBB135_2698
.LBB135_2690:
	s_mov_b32 s16, -1
                                        ; implicit-def: $vgpr22
	s_branch .LBB135_2695
.LBB135_2691:
	s_mov_b32 s16, -1
                                        ; implicit-def: $vgpr22
.LBB135_2692:
	s_delay_alu instid0(SALU_CYCLE_1)
	s_and_not1_b32 vcc_lo, exec_lo, s16
	s_cbranch_vccnz .LBB135_2694
; %bb.2693:
	global_load_b32 v1, v[32:33], off
	s_wait_loadcnt 0x0
	v_cvt_i32_f32_e32 v22, v1
.LBB135_2694:
	s_mov_b32 s16, 0
.LBB135_2695:
	s_delay_alu instid0(SALU_CYCLE_1)
	s_and_not1_b32 vcc_lo, exec_lo, s16
	s_cbranch_vccnz .LBB135_2697
; %bb.2696:
	global_load_b32 v1, v[32:33], off
	s_wait_loadcnt 0x0
	v_cvt_i16_f16_e32 v22, v1
.LBB135_2697:
	s_mov_b32 s16, 0
.LBB135_2698:
	s_delay_alu instid0(SALU_CYCLE_1)
	s_and_not1_b32 vcc_lo, exec_lo, s16
	s_cbranch_vccnz .LBB135_2709
; %bb.2699:
	s_cmp_lt_i32 s14, 6
	s_cbranch_scc1 .LBB135_2702
; %bb.2700:
	s_cmp_gt_i32 s14, 6
	s_cbranch_scc0 .LBB135_2703
; %bb.2701:
	s_wait_loadcnt 0x0
	global_load_b64 v[22:23], v[32:33], off
	s_mov_b32 s16, 0
	s_wait_loadcnt 0x0
	v_cvt_i32_f64_e32 v22, v[22:23]
	s_branch .LBB135_2704
.LBB135_2702:
	s_mov_b32 s16, -1
                                        ; implicit-def: $vgpr22
	s_branch .LBB135_2707
.LBB135_2703:
	s_mov_b32 s16, -1
                                        ; implicit-def: $vgpr22
.LBB135_2704:
	s_delay_alu instid0(SALU_CYCLE_1)
	s_and_not1_b32 vcc_lo, exec_lo, s16
	s_cbranch_vccnz .LBB135_2706
; %bb.2705:
	global_load_b32 v1, v[32:33], off
	s_wait_loadcnt 0x0
	v_cvt_i32_f32_e32 v22, v1
.LBB135_2706:
	s_mov_b32 s16, 0
.LBB135_2707:
	s_delay_alu instid0(SALU_CYCLE_1)
	s_and_not1_b32 vcc_lo, exec_lo, s16
	s_cbranch_vccnz .LBB135_2709
; %bb.2708:
	global_load_u16 v1, v[32:33], off
	s_wait_loadcnt 0x0
	v_cvt_i16_f16_e32 v22, v1
.LBB135_2709:
	s_mov_b32 s16, 0
.LBB135_2710:
	s_delay_alu instid0(SALU_CYCLE_1)
	s_and_not1_b32 vcc_lo, exec_lo, s16
	s_cbranch_vccnz .LBB135_2730
; %bb.2711:
	s_cmp_lt_i32 s14, 2
	s_cbranch_scc1 .LBB135_2715
; %bb.2712:
	s_cmp_lt_i32 s14, 3
	s_cbranch_scc1 .LBB135_2716
; %bb.2713:
	s_cmp_gt_i32 s14, 3
	s_cbranch_scc0 .LBB135_2717
; %bb.2714:
	s_wait_loadcnt 0x0
	global_load_b64 v[22:23], v[32:33], off
	s_mov_b32 s16, 0
	s_branch .LBB135_2718
.LBB135_2715:
	s_mov_b32 s16, -1
                                        ; implicit-def: $vgpr22
	s_branch .LBB135_2724
.LBB135_2716:
	s_mov_b32 s16, -1
                                        ; implicit-def: $vgpr22
	s_branch .LBB135_2721
.LBB135_2717:
	s_mov_b32 s16, -1
                                        ; implicit-def: $vgpr22
.LBB135_2718:
	s_delay_alu instid0(SALU_CYCLE_1)
	s_and_not1_b32 vcc_lo, exec_lo, s16
	s_cbranch_vccnz .LBB135_2720
; %bb.2719:
	s_wait_loadcnt 0x0
	global_load_b32 v22, v[32:33], off
.LBB135_2720:
	s_mov_b32 s16, 0
.LBB135_2721:
	s_delay_alu instid0(SALU_CYCLE_1)
	s_and_not1_b32 vcc_lo, exec_lo, s16
	s_cbranch_vccnz .LBB135_2723
; %bb.2722:
	s_wait_loadcnt 0x0
	global_load_u16 v22, v[32:33], off
.LBB135_2723:
	s_mov_b32 s16, 0
.LBB135_2724:
	s_delay_alu instid0(SALU_CYCLE_1)
	s_and_not1_b32 vcc_lo, exec_lo, s16
	s_cbranch_vccnz .LBB135_2730
; %bb.2725:
	s_cmp_gt_i32 s14, 0
	s_mov_b32 s16, 0
	s_cbranch_scc0 .LBB135_2727
; %bb.2726:
	s_wait_loadcnt 0x0
	global_load_i8 v22, v[32:33], off
	s_branch .LBB135_2728
.LBB135_2727:
	s_mov_b32 s16, -1
                                        ; implicit-def: $vgpr22
.LBB135_2728:
	s_delay_alu instid0(SALU_CYCLE_1)
	s_and_not1_b32 vcc_lo, exec_lo, s16
	s_cbranch_vccnz .LBB135_2730
; %bb.2729:
	s_wait_loadcnt 0x0
	global_load_u8 v22, v[32:33], off
.LBB135_2730:
	s_mov_b32 s18, -1
.LBB135_2731:
	s_delay_alu instid0(SALU_CYCLE_1)
	s_and_not1_b32 vcc_lo, exec_lo, s18
	s_cbranch_vccnz .LBB135_4058
; %bb.2732:
	v_mov_b32_e32 v29, 0
	s_and_b32 s15, 0xffff, s15
	s_delay_alu instid0(SALU_CYCLE_1) | instskip(SKIP_1) | instid1(VALU_DEP_1)
	s_cmp_lt_i32 s15, 11
	s_wait_xcnt 0x0
	v_add_nc_u64_e32 v[32:33], s[8:9], v[28:29]
	s_cbranch_scc1 .LBB135_2739
; %bb.2733:
	s_cmp_gt_i32 s15, 25
	s_mov_b32 s17, 0
	s_cbranch_scc0 .LBB135_2740
; %bb.2734:
	s_cmp_gt_i32 s15, 28
	s_cbranch_scc0 .LBB135_2741
; %bb.2735:
	s_cmp_gt_i32 s15, 43
	s_cbranch_scc0 .LBB135_2742
; %bb.2736:
	s_cmp_gt_i32 s15, 45
	s_cbranch_scc0 .LBB135_2744
; %bb.2737:
	s_cmp_eq_u32 s15, 46
	s_mov_b32 s19, 0
	s_cbranch_scc0 .LBB135_2747
; %bb.2738:
	global_load_b32 v1, v[32:33], off
	s_mov_b32 s16, 0
	s_mov_b32 s18, -1
	s_wait_loadcnt 0x0
	v_lshlrev_b32_e32 v1, 16, v1
	s_delay_alu instid0(VALU_DEP_1)
	v_cvt_i32_f32_e32 v28, v1
	s_branch .LBB135_2749
.LBB135_2739:
	s_mov_b32 s16, -1
	s_mov_b32 s18, 0
                                        ; implicit-def: $vgpr28
	s_branch .LBB135_2811
.LBB135_2740:
	s_mov_b32 s19, -1
	s_mov_b32 s18, 0
	s_mov_b32 s16, 0
                                        ; implicit-def: $vgpr28
	s_branch .LBB135_2776
.LBB135_2741:
	s_mov_b32 s19, -1
	s_mov_b32 s18, 0
	s_mov_b32 s16, 0
                                        ; implicit-def: $vgpr28
	s_branch .LBB135_2759
.LBB135_2742:
	s_mov_b32 s19, -1
	s_mov_b32 s18, 0
	s_mov_b32 s16, 0
                                        ; implicit-def: $vgpr28
	s_branch .LBB135_2754
.LBB135_2743:
	s_or_b32 s12, s12, exec_lo
	s_trap 2
	s_cbranch_execz .LBB135_2680
	s_branch .LBB135_2681
.LBB135_2744:
	s_mov_b32 s19, -1
	s_mov_b32 s18, 0
	s_mov_b32 s16, 0
	s_branch .LBB135_2748
.LBB135_2745:
	s_and_not1_saveexec_b32 s59, s59
	s_cbranch_execz .LBB135_1462
.LBB135_2746:
	v_add_f32_e64 v5, 0x46000000, |v4|
	s_and_not1_b32 s58, s58, exec_lo
	s_delay_alu instid0(VALU_DEP_1) | instskip(NEXT) | instid1(VALU_DEP_1)
	v_and_b32_e32 v5, 0xff, v5
	v_cmp_ne_u32_e32 vcc_lo, 0, v5
	s_and_b32 s60, vcc_lo, exec_lo
	s_delay_alu instid0(SALU_CYCLE_1)
	s_or_b32 s58, s58, s60
	s_or_b32 exec_lo, exec_lo, s59
	v_mov_b32_e32 v6, 0
	s_and_saveexec_b32 s59, s58
	s_cbranch_execnz .LBB135_1463
	s_branch .LBB135_1464
.LBB135_2747:
	s_mov_b32 s16, -1
	s_mov_b32 s18, 0
.LBB135_2748:
                                        ; implicit-def: $vgpr28
.LBB135_2749:
	s_and_b32 vcc_lo, exec_lo, s19
	s_cbranch_vccz .LBB135_2753
; %bb.2750:
	s_cmp_eq_u32 s15, 44
	s_cbranch_scc0 .LBB135_2752
; %bb.2751:
	global_load_u8 v1, v[32:33], off
	s_mov_b32 s16, 0
	s_mov_b32 s18, -1
	s_wait_loadcnt 0x0
	v_lshlrev_b32_e32 v3, 23, v1
	v_cmp_ne_u32_e32 vcc_lo, 0, v1
	s_delay_alu instid0(VALU_DEP_2) | instskip(NEXT) | instid1(VALU_DEP_1)
	v_cvt_i32_f32_e32 v3, v3
	v_cndmask_b32_e32 v28, 0, v3, vcc_lo
	s_branch .LBB135_2753
.LBB135_2752:
	s_mov_b32 s16, -1
                                        ; implicit-def: $vgpr28
.LBB135_2753:
	s_mov_b32 s19, 0
.LBB135_2754:
	s_delay_alu instid0(SALU_CYCLE_1)
	s_and_b32 vcc_lo, exec_lo, s19
	s_cbranch_vccz .LBB135_2758
; %bb.2755:
	s_cmp_eq_u32 s15, 29
	s_cbranch_scc0 .LBB135_2757
; %bb.2756:
	global_load_b64 v[28:29], v[32:33], off
	s_mov_b32 s16, 0
	s_mov_b32 s18, -1
	s_branch .LBB135_2758
.LBB135_2757:
	s_mov_b32 s16, -1
                                        ; implicit-def: $vgpr28
.LBB135_2758:
	s_mov_b32 s19, 0
.LBB135_2759:
	s_delay_alu instid0(SALU_CYCLE_1)
	s_and_b32 vcc_lo, exec_lo, s19
	s_cbranch_vccz .LBB135_2775
; %bb.2760:
	s_cmp_lt_i32 s15, 27
	s_cbranch_scc1 .LBB135_2763
; %bb.2761:
	s_cmp_gt_i32 s15, 27
	s_cbranch_scc0 .LBB135_2764
; %bb.2762:
	s_wait_loadcnt 0x0
	global_load_b32 v28, v[32:33], off
	s_mov_b32 s18, 0
	s_branch .LBB135_2765
.LBB135_2763:
	s_mov_b32 s18, -1
                                        ; implicit-def: $vgpr28
	s_branch .LBB135_2768
.LBB135_2764:
	s_mov_b32 s18, -1
                                        ; implicit-def: $vgpr28
.LBB135_2765:
	s_delay_alu instid0(SALU_CYCLE_1)
	s_and_not1_b32 vcc_lo, exec_lo, s18
	s_cbranch_vccnz .LBB135_2767
; %bb.2766:
	s_wait_loadcnt 0x0
	global_load_u16 v28, v[32:33], off
.LBB135_2767:
	s_mov_b32 s18, 0
.LBB135_2768:
	s_delay_alu instid0(SALU_CYCLE_1)
	s_and_not1_b32 vcc_lo, exec_lo, s18
	s_cbranch_vccnz .LBB135_2774
; %bb.2769:
	global_load_u8 v1, v[32:33], off
	s_mov_b32 s19, 0
	s_mov_b32 s18, exec_lo
	s_wait_loadcnt 0x0
	v_cmpx_lt_i16_e32 0x7f, v1
	s_xor_b32 s18, exec_lo, s18
	s_cbranch_execz .LBB135_2786
; %bb.2770:
	v_cmp_ne_u16_e32 vcc_lo, 0x80, v1
	s_and_b32 s19, vcc_lo, exec_lo
	s_and_not1_saveexec_b32 s18, s18
	s_cbranch_execnz .LBB135_2787
.LBB135_2771:
	s_or_b32 exec_lo, exec_lo, s18
	v_mov_b32_e32 v28, 0
	s_and_saveexec_b32 s18, s19
	s_cbranch_execz .LBB135_2773
.LBB135_2772:
	v_and_b32_e32 v3, 0xffff, v1
	s_delay_alu instid0(VALU_DEP_1) | instskip(SKIP_1) | instid1(VALU_DEP_2)
	v_dual_lshlrev_b32 v1, 24, v1 :: v_dual_bitop2_b32 v5, 7, v3 bitop3:0x40
	v_bfe_u32 v11, v3, 3, 4
	v_and_b32_e32 v1, 0x80000000, v1
	s_delay_alu instid0(VALU_DEP_3) | instskip(NEXT) | instid1(VALU_DEP_3)
	v_clz_i32_u32_e32 v7, v5
	v_cmp_eq_u32_e32 vcc_lo, 0, v11
	s_delay_alu instid0(VALU_DEP_2) | instskip(NEXT) | instid1(VALU_DEP_1)
	v_min_u32_e32 v7, 32, v7
	v_subrev_nc_u32_e32 v9, 28, v7
	v_sub_nc_u32_e32 v7, 29, v7
	s_delay_alu instid0(VALU_DEP_2) | instskip(NEXT) | instid1(VALU_DEP_2)
	v_lshlrev_b32_e32 v3, v9, v3
	v_cndmask_b32_e32 v7, v11, v7, vcc_lo
	s_delay_alu instid0(VALU_DEP_2) | instskip(NEXT) | instid1(VALU_DEP_1)
	v_and_b32_e32 v3, 7, v3
	v_cndmask_b32_e32 v3, v5, v3, vcc_lo
	s_delay_alu instid0(VALU_DEP_3) | instskip(NEXT) | instid1(VALU_DEP_2)
	v_lshl_add_u32 v5, v7, 23, 0x3b800000
	v_lshlrev_b32_e32 v3, 20, v3
	s_delay_alu instid0(VALU_DEP_1) | instskip(NEXT) | instid1(VALU_DEP_1)
	v_or3_b32 v1, v1, v5, v3
	v_cvt_i32_f32_e32 v28, v1
.LBB135_2773:
	s_or_b32 exec_lo, exec_lo, s18
.LBB135_2774:
	s_mov_b32 s18, -1
.LBB135_2775:
	s_mov_b32 s19, 0
.LBB135_2776:
	s_delay_alu instid0(SALU_CYCLE_1)
	s_and_b32 vcc_lo, exec_lo, s19
	s_cbranch_vccz .LBB135_2807
; %bb.2777:
	s_cmp_gt_i32 s15, 22
	s_cbranch_scc0 .LBB135_2785
; %bb.2778:
	s_cmp_lt_i32 s15, 24
	s_cbranch_scc1 .LBB135_2788
; %bb.2779:
	s_cmp_gt_i32 s15, 24
	s_cbranch_scc0 .LBB135_2789
; %bb.2780:
	global_load_u8 v1, v[32:33], off
	s_mov_b32 s18, 0
	s_mov_b32 s17, exec_lo
	s_wait_loadcnt 0x0
	v_cmpx_lt_i16_e32 0x7f, v1
	s_xor_b32 s17, exec_lo, s17
	s_cbranch_execz .LBB135_2801
; %bb.2781:
	v_cmp_ne_u16_e32 vcc_lo, 0x80, v1
	s_and_b32 s18, vcc_lo, exec_lo
	s_and_not1_saveexec_b32 s17, s17
	s_cbranch_execnz .LBB135_2802
.LBB135_2782:
	s_or_b32 exec_lo, exec_lo, s17
	v_mov_b32_e32 v28, 0
	s_and_saveexec_b32 s17, s18
	s_cbranch_execz .LBB135_2784
.LBB135_2783:
	v_and_b32_e32 v3, 0xffff, v1
	s_delay_alu instid0(VALU_DEP_1) | instskip(SKIP_1) | instid1(VALU_DEP_2)
	v_dual_lshlrev_b32 v1, 24, v1 :: v_dual_bitop2_b32 v5, 3, v3 bitop3:0x40
	v_bfe_u32 v11, v3, 2, 5
	v_and_b32_e32 v1, 0x80000000, v1
	s_delay_alu instid0(VALU_DEP_3) | instskip(NEXT) | instid1(VALU_DEP_3)
	v_clz_i32_u32_e32 v7, v5
	v_cmp_eq_u32_e32 vcc_lo, 0, v11
	s_delay_alu instid0(VALU_DEP_2) | instskip(NEXT) | instid1(VALU_DEP_1)
	v_min_u32_e32 v7, 32, v7
	v_subrev_nc_u32_e32 v9, 29, v7
	v_sub_nc_u32_e32 v7, 30, v7
	s_delay_alu instid0(VALU_DEP_2) | instskip(NEXT) | instid1(VALU_DEP_2)
	v_lshlrev_b32_e32 v3, v9, v3
	v_cndmask_b32_e32 v7, v11, v7, vcc_lo
	s_delay_alu instid0(VALU_DEP_2) | instskip(NEXT) | instid1(VALU_DEP_1)
	v_and_b32_e32 v3, 3, v3
	v_cndmask_b32_e32 v3, v5, v3, vcc_lo
	s_delay_alu instid0(VALU_DEP_3) | instskip(NEXT) | instid1(VALU_DEP_2)
	v_lshl_add_u32 v5, v7, 23, 0x37800000
	v_lshlrev_b32_e32 v3, 21, v3
	s_delay_alu instid0(VALU_DEP_1) | instskip(NEXT) | instid1(VALU_DEP_1)
	v_or3_b32 v1, v1, v5, v3
	v_cvt_i32_f32_e32 v28, v1
.LBB135_2784:
	s_or_b32 exec_lo, exec_lo, s17
	s_mov_b32 s17, 0
	s_branch .LBB135_2790
.LBB135_2785:
	s_mov_b32 s17, -1
                                        ; implicit-def: $vgpr28
	s_branch .LBB135_2796
.LBB135_2786:
	s_and_not1_saveexec_b32 s18, s18
	s_cbranch_execz .LBB135_2771
.LBB135_2787:
	v_cmp_ne_u16_e32 vcc_lo, 0, v1
	s_and_not1_b32 s19, s19, exec_lo
	s_and_b32 s20, vcc_lo, exec_lo
	s_delay_alu instid0(SALU_CYCLE_1)
	s_or_b32 s19, s19, s20
	s_or_b32 exec_lo, exec_lo, s18
	v_mov_b32_e32 v28, 0
	s_and_saveexec_b32 s18, s19
	s_cbranch_execnz .LBB135_2772
	s_branch .LBB135_2773
.LBB135_2788:
	s_mov_b32 s17, -1
                                        ; implicit-def: $vgpr28
	s_branch .LBB135_2793
.LBB135_2789:
	s_mov_b32 s17, -1
                                        ; implicit-def: $vgpr28
.LBB135_2790:
	s_delay_alu instid0(SALU_CYCLE_1)
	s_and_b32 vcc_lo, exec_lo, s17
	s_cbranch_vccz .LBB135_2792
; %bb.2791:
	global_load_u8 v1, v[32:33], off
	s_wait_loadcnt 0x0
	v_lshlrev_b32_e32 v1, 24, v1
	s_delay_alu instid0(VALU_DEP_1) | instskip(NEXT) | instid1(VALU_DEP_1)
	v_and_b32_e32 v3, 0x7f000000, v1
	v_clz_i32_u32_e32 v5, v3
	v_add_nc_u32_e32 v9, 0x1000000, v3
	v_cmp_ne_u32_e32 vcc_lo, 0, v3
	s_delay_alu instid0(VALU_DEP_3) | instskip(NEXT) | instid1(VALU_DEP_1)
	v_min_u32_e32 v5, 32, v5
	v_sub_nc_u32_e64 v5, v5, 4 clamp
	s_delay_alu instid0(VALU_DEP_1) | instskip(NEXT) | instid1(VALU_DEP_1)
	v_dual_lshlrev_b32 v7, v5, v3 :: v_dual_lshlrev_b32 v5, 23, v5
	v_lshrrev_b32_e32 v7, 4, v7
	s_delay_alu instid0(VALU_DEP_1) | instskip(SKIP_1) | instid1(VALU_DEP_2)
	v_sub_nc_u32_e32 v5, v7, v5
	v_ashrrev_i32_e32 v7, 8, v9
	v_add_nc_u32_e32 v5, 0x3c000000, v5
	s_delay_alu instid0(VALU_DEP_1) | instskip(NEXT) | instid1(VALU_DEP_1)
	v_and_or_b32 v5, 0x7f800000, v7, v5
	v_cndmask_b32_e32 v3, 0, v5, vcc_lo
	s_delay_alu instid0(VALU_DEP_1) | instskip(NEXT) | instid1(VALU_DEP_1)
	v_and_or_b32 v1, 0x80000000, v1, v3
	v_cvt_i32_f32_e32 v28, v1
.LBB135_2792:
	s_mov_b32 s17, 0
.LBB135_2793:
	s_delay_alu instid0(SALU_CYCLE_1)
	s_and_not1_b32 vcc_lo, exec_lo, s17
	s_cbranch_vccnz .LBB135_2795
; %bb.2794:
	global_load_u8 v1, v[32:33], off
	s_wait_loadcnt 0x0
	v_lshlrev_b32_e32 v3, 25, v1
	v_lshlrev_b16 v1, 8, v1
	s_delay_alu instid0(VALU_DEP_1) | instskip(SKIP_1) | instid1(VALU_DEP_2)
	v_and_or_b32 v7, 0x7f00, v1, 0.5
	v_bfe_i32 v1, v1, 0, 16
	v_add_f32_e32 v7, -0.5, v7
	v_lshrrev_b32_e32 v5, 4, v3
	v_cmp_gt_u32_e32 vcc_lo, 0x8000000, v3
	s_delay_alu instid0(VALU_DEP_2) | instskip(NEXT) | instid1(VALU_DEP_1)
	v_or_b32_e32 v5, 0x70000000, v5
	v_mul_f32_e32 v5, 0x7800000, v5
	s_delay_alu instid0(VALU_DEP_1) | instskip(NEXT) | instid1(VALU_DEP_1)
	v_cndmask_b32_e32 v3, v5, v7, vcc_lo
	v_and_or_b32 v1, 0x80000000, v1, v3
	s_delay_alu instid0(VALU_DEP_1)
	v_cvt_i32_f32_e32 v28, v1
.LBB135_2795:
	s_mov_b32 s17, 0
	s_mov_b32 s18, -1
.LBB135_2796:
	s_and_not1_b32 vcc_lo, exec_lo, s17
	s_mov_b32 s17, 0
	s_cbranch_vccnz .LBB135_2807
; %bb.2797:
	s_cmp_gt_i32 s15, 14
	s_cbranch_scc0 .LBB135_2800
; %bb.2798:
	s_cmp_eq_u32 s15, 15
	s_cbranch_scc0 .LBB135_2803
; %bb.2799:
	global_load_u16 v1, v[32:33], off
	s_mov_b32 s16, 0
	s_mov_b32 s18, -1
	s_wait_loadcnt 0x0
	v_lshlrev_b32_e32 v1, 16, v1
	s_delay_alu instid0(VALU_DEP_1)
	v_cvt_i32_f32_e32 v28, v1
	s_branch .LBB135_2805
.LBB135_2800:
	s_mov_b32 s17, -1
	s_branch .LBB135_2804
.LBB135_2801:
	s_and_not1_saveexec_b32 s17, s17
	s_cbranch_execz .LBB135_2782
.LBB135_2802:
	v_cmp_ne_u16_e32 vcc_lo, 0, v1
	s_and_not1_b32 s18, s18, exec_lo
	s_and_b32 s19, vcc_lo, exec_lo
	s_delay_alu instid0(SALU_CYCLE_1)
	s_or_b32 s18, s18, s19
	s_or_b32 exec_lo, exec_lo, s17
	v_mov_b32_e32 v28, 0
	s_and_saveexec_b32 s17, s18
	s_cbranch_execnz .LBB135_2783
	s_branch .LBB135_2784
.LBB135_2803:
	s_mov_b32 s16, -1
.LBB135_2804:
                                        ; implicit-def: $vgpr28
.LBB135_2805:
	s_and_b32 vcc_lo, exec_lo, s17
	s_mov_b32 s17, 0
	s_cbranch_vccz .LBB135_2807
; %bb.2806:
	s_cmp_lg_u32 s15, 11
	s_mov_b32 s17, -1
	s_cselect_b32 s16, -1, 0
.LBB135_2807:
	s_delay_alu instid0(SALU_CYCLE_1)
	s_and_b32 vcc_lo, exec_lo, s16
	s_cbranch_vccnz .LBB135_2872
; %bb.2808:
	s_and_not1_b32 vcc_lo, exec_lo, s17
	s_cbranch_vccnz .LBB135_2810
.LBB135_2809:
	global_load_u8 v1, v[32:33], off
	s_mov_b32 s18, -1
	s_wait_loadcnt 0x0
	v_cmp_ne_u16_e32 vcc_lo, 0, v1
	v_cndmask_b32_e64 v28, 0, 1, vcc_lo
.LBB135_2810:
	s_mov_b32 s16, 0
.LBB135_2811:
	s_delay_alu instid0(SALU_CYCLE_1)
	s_and_b32 vcc_lo, exec_lo, s16
	s_cbranch_vccz .LBB135_2860
; %bb.2812:
	s_cmp_lt_i32 s15, 5
	s_cbranch_scc1 .LBB135_2817
; %bb.2813:
	s_cmp_lt_i32 s15, 8
	s_cbranch_scc1 .LBB135_2818
	;; [unrolled: 3-line block ×3, first 2 shown]
; %bb.2815:
	s_cmp_gt_i32 s15, 9
	s_cbranch_scc0 .LBB135_2820
; %bb.2816:
	s_wait_loadcnt 0x0
	global_load_b64 v[28:29], v[32:33], off
	s_mov_b32 s16, 0
	s_wait_loadcnt 0x0
	v_cvt_i32_f64_e32 v28, v[28:29]
	s_branch .LBB135_2821
.LBB135_2817:
	s_mov_b32 s16, -1
                                        ; implicit-def: $vgpr28
	s_branch .LBB135_2839
.LBB135_2818:
	s_mov_b32 s16, -1
                                        ; implicit-def: $vgpr28
	s_branch .LBB135_2827
.LBB135_2819:
	s_mov_b32 s16, -1
                                        ; implicit-def: $vgpr28
	s_branch .LBB135_2824
.LBB135_2820:
	s_mov_b32 s16, -1
                                        ; implicit-def: $vgpr28
.LBB135_2821:
	s_delay_alu instid0(SALU_CYCLE_1)
	s_and_not1_b32 vcc_lo, exec_lo, s16
	s_cbranch_vccnz .LBB135_2823
; %bb.2822:
	global_load_b32 v1, v[32:33], off
	s_wait_loadcnt 0x0
	v_cvt_i32_f32_e32 v28, v1
.LBB135_2823:
	s_mov_b32 s16, 0
.LBB135_2824:
	s_delay_alu instid0(SALU_CYCLE_1)
	s_and_not1_b32 vcc_lo, exec_lo, s16
	s_cbranch_vccnz .LBB135_2826
; %bb.2825:
	global_load_b32 v1, v[32:33], off
	s_wait_loadcnt 0x0
	v_cvt_i16_f16_e32 v28, v1
.LBB135_2826:
	s_mov_b32 s16, 0
.LBB135_2827:
	s_delay_alu instid0(SALU_CYCLE_1)
	s_and_not1_b32 vcc_lo, exec_lo, s16
	s_cbranch_vccnz .LBB135_2838
; %bb.2828:
	s_cmp_lt_i32 s15, 6
	s_cbranch_scc1 .LBB135_2831
; %bb.2829:
	s_cmp_gt_i32 s15, 6
	s_cbranch_scc0 .LBB135_2832
; %bb.2830:
	s_wait_loadcnt 0x0
	global_load_b64 v[28:29], v[32:33], off
	s_mov_b32 s16, 0
	s_wait_loadcnt 0x0
	v_cvt_i32_f64_e32 v28, v[28:29]
	s_branch .LBB135_2833
.LBB135_2831:
	s_mov_b32 s16, -1
                                        ; implicit-def: $vgpr28
	s_branch .LBB135_2836
.LBB135_2832:
	s_mov_b32 s16, -1
                                        ; implicit-def: $vgpr28
.LBB135_2833:
	s_delay_alu instid0(SALU_CYCLE_1)
	s_and_not1_b32 vcc_lo, exec_lo, s16
	s_cbranch_vccnz .LBB135_2835
; %bb.2834:
	global_load_b32 v1, v[32:33], off
	s_wait_loadcnt 0x0
	v_cvt_i32_f32_e32 v28, v1
.LBB135_2835:
	s_mov_b32 s16, 0
.LBB135_2836:
	s_delay_alu instid0(SALU_CYCLE_1)
	s_and_not1_b32 vcc_lo, exec_lo, s16
	s_cbranch_vccnz .LBB135_2838
; %bb.2837:
	global_load_u16 v1, v[32:33], off
	s_wait_loadcnt 0x0
	v_cvt_i16_f16_e32 v28, v1
.LBB135_2838:
	s_mov_b32 s16, 0
.LBB135_2839:
	s_delay_alu instid0(SALU_CYCLE_1)
	s_and_not1_b32 vcc_lo, exec_lo, s16
	s_cbranch_vccnz .LBB135_2859
; %bb.2840:
	s_cmp_lt_i32 s15, 2
	s_cbranch_scc1 .LBB135_2844
; %bb.2841:
	s_cmp_lt_i32 s15, 3
	s_cbranch_scc1 .LBB135_2845
; %bb.2842:
	s_cmp_gt_i32 s15, 3
	s_cbranch_scc0 .LBB135_2846
; %bb.2843:
	s_wait_loadcnt 0x0
	global_load_b64 v[28:29], v[32:33], off
	s_mov_b32 s16, 0
	s_branch .LBB135_2847
.LBB135_2844:
	s_mov_b32 s16, -1
                                        ; implicit-def: $vgpr28
	s_branch .LBB135_2853
.LBB135_2845:
	s_mov_b32 s16, -1
                                        ; implicit-def: $vgpr28
	s_branch .LBB135_2850
.LBB135_2846:
	s_mov_b32 s16, -1
                                        ; implicit-def: $vgpr28
.LBB135_2847:
	s_delay_alu instid0(SALU_CYCLE_1)
	s_and_not1_b32 vcc_lo, exec_lo, s16
	s_cbranch_vccnz .LBB135_2849
; %bb.2848:
	s_wait_loadcnt 0x0
	global_load_b32 v28, v[32:33], off
.LBB135_2849:
	s_mov_b32 s16, 0
.LBB135_2850:
	s_delay_alu instid0(SALU_CYCLE_1)
	s_and_not1_b32 vcc_lo, exec_lo, s16
	s_cbranch_vccnz .LBB135_2852
; %bb.2851:
	s_wait_loadcnt 0x0
	global_load_u16 v28, v[32:33], off
.LBB135_2852:
	s_mov_b32 s16, 0
.LBB135_2853:
	s_delay_alu instid0(SALU_CYCLE_1)
	s_and_not1_b32 vcc_lo, exec_lo, s16
	s_cbranch_vccnz .LBB135_2859
; %bb.2854:
	s_cmp_gt_i32 s15, 0
	s_mov_b32 s16, 0
	s_cbranch_scc0 .LBB135_2856
; %bb.2855:
	s_wait_loadcnt 0x0
	global_load_i8 v28, v[32:33], off
	s_branch .LBB135_2857
.LBB135_2856:
	s_mov_b32 s16, -1
                                        ; implicit-def: $vgpr28
.LBB135_2857:
	s_delay_alu instid0(SALU_CYCLE_1)
	s_and_not1_b32 vcc_lo, exec_lo, s16
	s_cbranch_vccnz .LBB135_2859
; %bb.2858:
	s_wait_loadcnt 0x0
	global_load_u8 v28, v[32:33], off
.LBB135_2859:
	s_mov_b32 s18, -1
.LBB135_2860:
	s_delay_alu instid0(SALU_CYCLE_1)
	s_and_not1_b32 vcc_lo, exec_lo, s18
	s_cbranch_vccnz .LBB135_4058
; %bb.2861:
	v_mov_b32_e32 v27, 0
	s_cmp_lt_i32 s13, 11
	s_wait_xcnt 0x0
	s_delay_alu instid0(VALU_DEP_1)
	v_add_nc_u64_e32 v[32:33], s[6:7], v[26:27]
	s_cbranch_scc1 .LBB135_2868
; %bb.2862:
	s_cmp_gt_i32 s13, 25
	s_mov_b32 s17, 0
	s_cbranch_scc0 .LBB135_2869
; %bb.2863:
	s_cmp_gt_i32 s13, 28
	s_cbranch_scc0 .LBB135_2870
; %bb.2864:
	s_cmp_gt_i32 s13, 43
	;; [unrolled: 3-line block ×3, first 2 shown]
	s_cbranch_scc0 .LBB135_2873
; %bb.2866:
	s_cmp_eq_u32 s13, 46
	s_mov_b32 s19, 0
	s_cbranch_scc0 .LBB135_2876
; %bb.2867:
	global_load_b32 v1, v[32:33], off
	s_mov_b32 s16, 0
	s_mov_b32 s18, -1
	s_wait_loadcnt 0x0
	v_lshlrev_b32_e32 v1, 16, v1
	s_delay_alu instid0(VALU_DEP_1)
	v_cvt_i32_f32_e32 v26, v1
	s_branch .LBB135_2878
.LBB135_2868:
	s_mov_b32 s16, -1
	s_mov_b32 s18, 0
                                        ; implicit-def: $vgpr26
	s_branch .LBB135_2940
.LBB135_2869:
	s_mov_b32 s19, -1
	s_mov_b32 s18, 0
	s_mov_b32 s16, 0
                                        ; implicit-def: $vgpr26
	s_branch .LBB135_2905
.LBB135_2870:
	s_mov_b32 s19, -1
	s_mov_b32 s18, 0
	s_mov_b32 s16, 0
                                        ; implicit-def: $vgpr26
	s_branch .LBB135_2888
.LBB135_2871:
	s_mov_b32 s19, -1
	s_mov_b32 s18, 0
	s_mov_b32 s16, 0
                                        ; implicit-def: $vgpr26
	s_branch .LBB135_2883
.LBB135_2872:
	s_or_b32 s12, s12, exec_lo
	s_trap 2
	s_cbranch_execz .LBB135_2809
	s_branch .LBB135_2810
.LBB135_2873:
	s_mov_b32 s19, -1
	s_mov_b32 s18, 0
	s_mov_b32 s16, 0
	s_branch .LBB135_2877
.LBB135_2874:
	s_and_not1_saveexec_b32 s59, s59
	s_cbranch_execz .LBB135_1475
.LBB135_2875:
	v_add_f32_e64 v5, 0x42800000, |v4|
	s_and_not1_b32 s58, s58, exec_lo
	s_delay_alu instid0(VALU_DEP_1) | instskip(NEXT) | instid1(VALU_DEP_1)
	v_and_b32_e32 v5, 0xff, v5
	v_cmp_ne_u32_e32 vcc_lo, 0, v5
	s_and_b32 s60, vcc_lo, exec_lo
	s_delay_alu instid0(SALU_CYCLE_1)
	s_or_b32 s58, s58, s60
	s_or_b32 exec_lo, exec_lo, s59
	v_mov_b32_e32 v6, 0
	s_and_saveexec_b32 s59, s58
	s_cbranch_execnz .LBB135_1476
	s_branch .LBB135_1477
.LBB135_2876:
	s_mov_b32 s16, -1
	s_mov_b32 s18, 0
.LBB135_2877:
                                        ; implicit-def: $vgpr26
.LBB135_2878:
	s_and_b32 vcc_lo, exec_lo, s19
	s_cbranch_vccz .LBB135_2882
; %bb.2879:
	s_cmp_eq_u32 s13, 44
	s_cbranch_scc0 .LBB135_2881
; %bb.2880:
	global_load_u8 v1, v[32:33], off
	s_mov_b32 s16, 0
	s_mov_b32 s18, -1
	s_wait_loadcnt 0x0
	v_lshlrev_b32_e32 v3, 23, v1
	v_cmp_ne_u32_e32 vcc_lo, 0, v1
	s_delay_alu instid0(VALU_DEP_2) | instskip(NEXT) | instid1(VALU_DEP_1)
	v_cvt_i32_f32_e32 v3, v3
	v_cndmask_b32_e32 v26, 0, v3, vcc_lo
	s_branch .LBB135_2882
.LBB135_2881:
	s_mov_b32 s16, -1
                                        ; implicit-def: $vgpr26
.LBB135_2882:
	s_mov_b32 s19, 0
.LBB135_2883:
	s_delay_alu instid0(SALU_CYCLE_1)
	s_and_b32 vcc_lo, exec_lo, s19
	s_cbranch_vccz .LBB135_2887
; %bb.2884:
	s_cmp_eq_u32 s13, 29
	s_cbranch_scc0 .LBB135_2886
; %bb.2885:
	global_load_b64 v[26:27], v[32:33], off
	s_mov_b32 s16, 0
	s_mov_b32 s18, -1
	s_branch .LBB135_2887
.LBB135_2886:
	s_mov_b32 s16, -1
                                        ; implicit-def: $vgpr26
.LBB135_2887:
	s_mov_b32 s19, 0
.LBB135_2888:
	s_delay_alu instid0(SALU_CYCLE_1)
	s_and_b32 vcc_lo, exec_lo, s19
	s_cbranch_vccz .LBB135_2904
; %bb.2889:
	s_cmp_lt_i32 s13, 27
	s_cbranch_scc1 .LBB135_2892
; %bb.2890:
	s_cmp_gt_i32 s13, 27
	s_cbranch_scc0 .LBB135_2893
; %bb.2891:
	s_wait_loadcnt 0x0
	global_load_b32 v26, v[32:33], off
	s_mov_b32 s18, 0
	s_branch .LBB135_2894
.LBB135_2892:
	s_mov_b32 s18, -1
                                        ; implicit-def: $vgpr26
	s_branch .LBB135_2897
.LBB135_2893:
	s_mov_b32 s18, -1
                                        ; implicit-def: $vgpr26
.LBB135_2894:
	s_delay_alu instid0(SALU_CYCLE_1)
	s_and_not1_b32 vcc_lo, exec_lo, s18
	s_cbranch_vccnz .LBB135_2896
; %bb.2895:
	s_wait_loadcnt 0x0
	global_load_u16 v26, v[32:33], off
.LBB135_2896:
	s_mov_b32 s18, 0
.LBB135_2897:
	s_delay_alu instid0(SALU_CYCLE_1)
	s_and_not1_b32 vcc_lo, exec_lo, s18
	s_cbranch_vccnz .LBB135_2903
; %bb.2898:
	global_load_u8 v1, v[32:33], off
	s_mov_b32 s19, 0
	s_mov_b32 s18, exec_lo
	s_wait_loadcnt 0x0
	v_cmpx_lt_i16_e32 0x7f, v1
	s_xor_b32 s18, exec_lo, s18
	s_cbranch_execz .LBB135_2915
; %bb.2899:
	v_cmp_ne_u16_e32 vcc_lo, 0x80, v1
	s_and_b32 s19, vcc_lo, exec_lo
	s_and_not1_saveexec_b32 s18, s18
	s_cbranch_execnz .LBB135_2916
.LBB135_2900:
	s_or_b32 exec_lo, exec_lo, s18
	v_mov_b32_e32 v26, 0
	s_and_saveexec_b32 s18, s19
	s_cbranch_execz .LBB135_2902
.LBB135_2901:
	v_and_b32_e32 v3, 0xffff, v1
	s_delay_alu instid0(VALU_DEP_1) | instskip(SKIP_1) | instid1(VALU_DEP_2)
	v_dual_lshlrev_b32 v1, 24, v1 :: v_dual_bitop2_b32 v5, 7, v3 bitop3:0x40
	v_bfe_u32 v11, v3, 3, 4
	v_and_b32_e32 v1, 0x80000000, v1
	s_delay_alu instid0(VALU_DEP_3) | instskip(NEXT) | instid1(VALU_DEP_3)
	v_clz_i32_u32_e32 v7, v5
	v_cmp_eq_u32_e32 vcc_lo, 0, v11
	s_delay_alu instid0(VALU_DEP_2) | instskip(NEXT) | instid1(VALU_DEP_1)
	v_min_u32_e32 v7, 32, v7
	v_subrev_nc_u32_e32 v9, 28, v7
	v_sub_nc_u32_e32 v7, 29, v7
	s_delay_alu instid0(VALU_DEP_2) | instskip(NEXT) | instid1(VALU_DEP_2)
	v_lshlrev_b32_e32 v3, v9, v3
	v_cndmask_b32_e32 v7, v11, v7, vcc_lo
	s_delay_alu instid0(VALU_DEP_2) | instskip(NEXT) | instid1(VALU_DEP_1)
	v_and_b32_e32 v3, 7, v3
	v_cndmask_b32_e32 v3, v5, v3, vcc_lo
	s_delay_alu instid0(VALU_DEP_3) | instskip(NEXT) | instid1(VALU_DEP_2)
	v_lshl_add_u32 v5, v7, 23, 0x3b800000
	v_lshlrev_b32_e32 v3, 20, v3
	s_delay_alu instid0(VALU_DEP_1) | instskip(NEXT) | instid1(VALU_DEP_1)
	v_or3_b32 v1, v1, v5, v3
	v_cvt_i32_f32_e32 v26, v1
.LBB135_2902:
	s_or_b32 exec_lo, exec_lo, s18
.LBB135_2903:
	s_mov_b32 s18, -1
.LBB135_2904:
	s_mov_b32 s19, 0
.LBB135_2905:
	s_delay_alu instid0(SALU_CYCLE_1)
	s_and_b32 vcc_lo, exec_lo, s19
	s_cbranch_vccz .LBB135_2936
; %bb.2906:
	s_cmp_gt_i32 s13, 22
	s_cbranch_scc0 .LBB135_2914
; %bb.2907:
	s_cmp_lt_i32 s13, 24
	s_cbranch_scc1 .LBB135_2917
; %bb.2908:
	s_cmp_gt_i32 s13, 24
	s_cbranch_scc0 .LBB135_2918
; %bb.2909:
	global_load_u8 v1, v[32:33], off
	s_mov_b32 s18, 0
	s_mov_b32 s17, exec_lo
	s_wait_loadcnt 0x0
	v_cmpx_lt_i16_e32 0x7f, v1
	s_xor_b32 s17, exec_lo, s17
	s_cbranch_execz .LBB135_2930
; %bb.2910:
	v_cmp_ne_u16_e32 vcc_lo, 0x80, v1
	s_and_b32 s18, vcc_lo, exec_lo
	s_and_not1_saveexec_b32 s17, s17
	s_cbranch_execnz .LBB135_2931
.LBB135_2911:
	s_or_b32 exec_lo, exec_lo, s17
	v_mov_b32_e32 v26, 0
	s_and_saveexec_b32 s17, s18
	s_cbranch_execz .LBB135_2913
.LBB135_2912:
	v_and_b32_e32 v3, 0xffff, v1
	s_delay_alu instid0(VALU_DEP_1) | instskip(SKIP_1) | instid1(VALU_DEP_2)
	v_dual_lshlrev_b32 v1, 24, v1 :: v_dual_bitop2_b32 v5, 3, v3 bitop3:0x40
	v_bfe_u32 v11, v3, 2, 5
	v_and_b32_e32 v1, 0x80000000, v1
	s_delay_alu instid0(VALU_DEP_3) | instskip(NEXT) | instid1(VALU_DEP_3)
	v_clz_i32_u32_e32 v7, v5
	v_cmp_eq_u32_e32 vcc_lo, 0, v11
	s_delay_alu instid0(VALU_DEP_2) | instskip(NEXT) | instid1(VALU_DEP_1)
	v_min_u32_e32 v7, 32, v7
	v_subrev_nc_u32_e32 v9, 29, v7
	v_sub_nc_u32_e32 v7, 30, v7
	s_delay_alu instid0(VALU_DEP_2) | instskip(NEXT) | instid1(VALU_DEP_2)
	v_lshlrev_b32_e32 v3, v9, v3
	v_cndmask_b32_e32 v7, v11, v7, vcc_lo
	s_delay_alu instid0(VALU_DEP_2) | instskip(NEXT) | instid1(VALU_DEP_1)
	v_and_b32_e32 v3, 3, v3
	v_cndmask_b32_e32 v3, v5, v3, vcc_lo
	s_delay_alu instid0(VALU_DEP_3) | instskip(NEXT) | instid1(VALU_DEP_2)
	v_lshl_add_u32 v5, v7, 23, 0x37800000
	v_lshlrev_b32_e32 v3, 21, v3
	s_delay_alu instid0(VALU_DEP_1) | instskip(NEXT) | instid1(VALU_DEP_1)
	v_or3_b32 v1, v1, v5, v3
	v_cvt_i32_f32_e32 v26, v1
.LBB135_2913:
	s_or_b32 exec_lo, exec_lo, s17
	s_mov_b32 s17, 0
	s_branch .LBB135_2919
.LBB135_2914:
	s_mov_b32 s17, -1
                                        ; implicit-def: $vgpr26
	s_branch .LBB135_2925
.LBB135_2915:
	s_and_not1_saveexec_b32 s18, s18
	s_cbranch_execz .LBB135_2900
.LBB135_2916:
	v_cmp_ne_u16_e32 vcc_lo, 0, v1
	s_and_not1_b32 s19, s19, exec_lo
	s_and_b32 s20, vcc_lo, exec_lo
	s_delay_alu instid0(SALU_CYCLE_1)
	s_or_b32 s19, s19, s20
	s_or_b32 exec_lo, exec_lo, s18
	v_mov_b32_e32 v26, 0
	s_and_saveexec_b32 s18, s19
	s_cbranch_execnz .LBB135_2901
	s_branch .LBB135_2902
.LBB135_2917:
	s_mov_b32 s17, -1
                                        ; implicit-def: $vgpr26
	s_branch .LBB135_2922
.LBB135_2918:
	s_mov_b32 s17, -1
                                        ; implicit-def: $vgpr26
.LBB135_2919:
	s_delay_alu instid0(SALU_CYCLE_1)
	s_and_b32 vcc_lo, exec_lo, s17
	s_cbranch_vccz .LBB135_2921
; %bb.2920:
	global_load_u8 v1, v[32:33], off
	s_wait_loadcnt 0x0
	v_lshlrev_b32_e32 v1, 24, v1
	s_delay_alu instid0(VALU_DEP_1) | instskip(NEXT) | instid1(VALU_DEP_1)
	v_and_b32_e32 v3, 0x7f000000, v1
	v_clz_i32_u32_e32 v5, v3
	v_add_nc_u32_e32 v9, 0x1000000, v3
	v_cmp_ne_u32_e32 vcc_lo, 0, v3
	s_delay_alu instid0(VALU_DEP_3) | instskip(NEXT) | instid1(VALU_DEP_1)
	v_min_u32_e32 v5, 32, v5
	v_sub_nc_u32_e64 v5, v5, 4 clamp
	s_delay_alu instid0(VALU_DEP_1) | instskip(NEXT) | instid1(VALU_DEP_1)
	v_dual_lshlrev_b32 v7, v5, v3 :: v_dual_lshlrev_b32 v5, 23, v5
	v_lshrrev_b32_e32 v7, 4, v7
	s_delay_alu instid0(VALU_DEP_1) | instskip(SKIP_1) | instid1(VALU_DEP_2)
	v_sub_nc_u32_e32 v5, v7, v5
	v_ashrrev_i32_e32 v7, 8, v9
	v_add_nc_u32_e32 v5, 0x3c000000, v5
	s_delay_alu instid0(VALU_DEP_1) | instskip(NEXT) | instid1(VALU_DEP_1)
	v_and_or_b32 v5, 0x7f800000, v7, v5
	v_cndmask_b32_e32 v3, 0, v5, vcc_lo
	s_delay_alu instid0(VALU_DEP_1) | instskip(NEXT) | instid1(VALU_DEP_1)
	v_and_or_b32 v1, 0x80000000, v1, v3
	v_cvt_i32_f32_e32 v26, v1
.LBB135_2921:
	s_mov_b32 s17, 0
.LBB135_2922:
	s_delay_alu instid0(SALU_CYCLE_1)
	s_and_not1_b32 vcc_lo, exec_lo, s17
	s_cbranch_vccnz .LBB135_2924
; %bb.2923:
	global_load_u8 v1, v[32:33], off
	s_wait_loadcnt 0x0
	v_lshlrev_b32_e32 v3, 25, v1
	v_lshlrev_b16 v1, 8, v1
	s_delay_alu instid0(VALU_DEP_1) | instskip(SKIP_1) | instid1(VALU_DEP_2)
	v_and_or_b32 v7, 0x7f00, v1, 0.5
	v_bfe_i32 v1, v1, 0, 16
	v_add_f32_e32 v7, -0.5, v7
	v_lshrrev_b32_e32 v5, 4, v3
	v_cmp_gt_u32_e32 vcc_lo, 0x8000000, v3
	s_delay_alu instid0(VALU_DEP_2) | instskip(NEXT) | instid1(VALU_DEP_1)
	v_or_b32_e32 v5, 0x70000000, v5
	v_mul_f32_e32 v5, 0x7800000, v5
	s_delay_alu instid0(VALU_DEP_1) | instskip(NEXT) | instid1(VALU_DEP_1)
	v_cndmask_b32_e32 v3, v5, v7, vcc_lo
	v_and_or_b32 v1, 0x80000000, v1, v3
	s_delay_alu instid0(VALU_DEP_1)
	v_cvt_i32_f32_e32 v26, v1
.LBB135_2924:
	s_mov_b32 s17, 0
	s_mov_b32 s18, -1
.LBB135_2925:
	s_and_not1_b32 vcc_lo, exec_lo, s17
	s_mov_b32 s17, 0
	s_cbranch_vccnz .LBB135_2936
; %bb.2926:
	s_cmp_gt_i32 s13, 14
	s_cbranch_scc0 .LBB135_2929
; %bb.2927:
	s_cmp_eq_u32 s13, 15
	s_cbranch_scc0 .LBB135_2932
; %bb.2928:
	global_load_u16 v1, v[32:33], off
	s_mov_b32 s16, 0
	s_mov_b32 s18, -1
	s_wait_loadcnt 0x0
	v_lshlrev_b32_e32 v1, 16, v1
	s_delay_alu instid0(VALU_DEP_1)
	v_cvt_i32_f32_e32 v26, v1
	s_branch .LBB135_2934
.LBB135_2929:
	s_mov_b32 s17, -1
	s_branch .LBB135_2933
.LBB135_2930:
	s_and_not1_saveexec_b32 s17, s17
	s_cbranch_execz .LBB135_2911
.LBB135_2931:
	v_cmp_ne_u16_e32 vcc_lo, 0, v1
	s_and_not1_b32 s18, s18, exec_lo
	s_and_b32 s19, vcc_lo, exec_lo
	s_delay_alu instid0(SALU_CYCLE_1)
	s_or_b32 s18, s18, s19
	s_or_b32 exec_lo, exec_lo, s17
	v_mov_b32_e32 v26, 0
	s_and_saveexec_b32 s17, s18
	s_cbranch_execnz .LBB135_2912
	s_branch .LBB135_2913
.LBB135_2932:
	s_mov_b32 s16, -1
.LBB135_2933:
                                        ; implicit-def: $vgpr26
.LBB135_2934:
	s_and_b32 vcc_lo, exec_lo, s17
	s_mov_b32 s17, 0
	s_cbranch_vccz .LBB135_2936
; %bb.2935:
	s_cmp_lg_u32 s13, 11
	s_mov_b32 s17, -1
	s_cselect_b32 s16, -1, 0
.LBB135_2936:
	s_delay_alu instid0(SALU_CYCLE_1)
	s_and_b32 vcc_lo, exec_lo, s16
	s_cbranch_vccnz .LBB135_3001
; %bb.2937:
	s_and_not1_b32 vcc_lo, exec_lo, s17
	s_cbranch_vccnz .LBB135_2939
.LBB135_2938:
	global_load_u8 v1, v[32:33], off
	s_mov_b32 s18, -1
	s_wait_loadcnt 0x0
	v_cmp_ne_u16_e32 vcc_lo, 0, v1
	v_cndmask_b32_e64 v26, 0, 1, vcc_lo
.LBB135_2939:
	s_mov_b32 s16, 0
.LBB135_2940:
	s_delay_alu instid0(SALU_CYCLE_1)
	s_and_b32 vcc_lo, exec_lo, s16
	s_cbranch_vccz .LBB135_2989
; %bb.2941:
	s_cmp_lt_i32 s13, 5
	s_cbranch_scc1 .LBB135_2946
; %bb.2942:
	s_cmp_lt_i32 s13, 8
	s_cbranch_scc1 .LBB135_2947
	;; [unrolled: 3-line block ×3, first 2 shown]
; %bb.2944:
	s_cmp_gt_i32 s13, 9
	s_cbranch_scc0 .LBB135_2949
; %bb.2945:
	s_wait_loadcnt 0x0
	global_load_b64 v[26:27], v[32:33], off
	s_mov_b32 s16, 0
	s_wait_loadcnt 0x0
	v_cvt_i32_f64_e32 v26, v[26:27]
	s_branch .LBB135_2950
.LBB135_2946:
	s_mov_b32 s16, -1
                                        ; implicit-def: $vgpr26
	s_branch .LBB135_2968
.LBB135_2947:
	s_mov_b32 s16, -1
                                        ; implicit-def: $vgpr26
	s_branch .LBB135_2956
.LBB135_2948:
	s_mov_b32 s16, -1
                                        ; implicit-def: $vgpr26
	s_branch .LBB135_2953
.LBB135_2949:
	s_mov_b32 s16, -1
                                        ; implicit-def: $vgpr26
.LBB135_2950:
	s_delay_alu instid0(SALU_CYCLE_1)
	s_and_not1_b32 vcc_lo, exec_lo, s16
	s_cbranch_vccnz .LBB135_2952
; %bb.2951:
	global_load_b32 v1, v[32:33], off
	s_wait_loadcnt 0x0
	v_cvt_i32_f32_e32 v26, v1
.LBB135_2952:
	s_mov_b32 s16, 0
.LBB135_2953:
	s_delay_alu instid0(SALU_CYCLE_1)
	s_and_not1_b32 vcc_lo, exec_lo, s16
	s_cbranch_vccnz .LBB135_2955
; %bb.2954:
	global_load_b32 v1, v[32:33], off
	s_wait_loadcnt 0x0
	v_cvt_i16_f16_e32 v26, v1
.LBB135_2955:
	s_mov_b32 s16, 0
.LBB135_2956:
	s_delay_alu instid0(SALU_CYCLE_1)
	s_and_not1_b32 vcc_lo, exec_lo, s16
	s_cbranch_vccnz .LBB135_2967
; %bb.2957:
	s_cmp_lt_i32 s13, 6
	s_cbranch_scc1 .LBB135_2960
; %bb.2958:
	s_cmp_gt_i32 s13, 6
	s_cbranch_scc0 .LBB135_2961
; %bb.2959:
	s_wait_loadcnt 0x0
	global_load_b64 v[26:27], v[32:33], off
	s_mov_b32 s16, 0
	s_wait_loadcnt 0x0
	v_cvt_i32_f64_e32 v26, v[26:27]
	s_branch .LBB135_2962
.LBB135_2960:
	s_mov_b32 s16, -1
                                        ; implicit-def: $vgpr26
	s_branch .LBB135_2965
.LBB135_2961:
	s_mov_b32 s16, -1
                                        ; implicit-def: $vgpr26
.LBB135_2962:
	s_delay_alu instid0(SALU_CYCLE_1)
	s_and_not1_b32 vcc_lo, exec_lo, s16
	s_cbranch_vccnz .LBB135_2964
; %bb.2963:
	global_load_b32 v1, v[32:33], off
	s_wait_loadcnt 0x0
	v_cvt_i32_f32_e32 v26, v1
.LBB135_2964:
	s_mov_b32 s16, 0
.LBB135_2965:
	s_delay_alu instid0(SALU_CYCLE_1)
	s_and_not1_b32 vcc_lo, exec_lo, s16
	s_cbranch_vccnz .LBB135_2967
; %bb.2966:
	global_load_u16 v1, v[32:33], off
	s_wait_loadcnt 0x0
	v_cvt_i16_f16_e32 v26, v1
.LBB135_2967:
	s_mov_b32 s16, 0
.LBB135_2968:
	s_delay_alu instid0(SALU_CYCLE_1)
	s_and_not1_b32 vcc_lo, exec_lo, s16
	s_cbranch_vccnz .LBB135_2988
; %bb.2969:
	s_cmp_lt_i32 s13, 2
	s_cbranch_scc1 .LBB135_2973
; %bb.2970:
	s_cmp_lt_i32 s13, 3
	s_cbranch_scc1 .LBB135_2974
; %bb.2971:
	s_cmp_gt_i32 s13, 3
	s_cbranch_scc0 .LBB135_2975
; %bb.2972:
	s_wait_loadcnt 0x0
	global_load_b64 v[26:27], v[32:33], off
	s_mov_b32 s16, 0
	s_branch .LBB135_2976
.LBB135_2973:
	s_mov_b32 s16, -1
                                        ; implicit-def: $vgpr26
	s_branch .LBB135_2982
.LBB135_2974:
	s_mov_b32 s16, -1
                                        ; implicit-def: $vgpr26
	s_branch .LBB135_2979
.LBB135_2975:
	s_mov_b32 s16, -1
                                        ; implicit-def: $vgpr26
.LBB135_2976:
	s_delay_alu instid0(SALU_CYCLE_1)
	s_and_not1_b32 vcc_lo, exec_lo, s16
	s_cbranch_vccnz .LBB135_2978
; %bb.2977:
	s_wait_loadcnt 0x0
	global_load_b32 v26, v[32:33], off
.LBB135_2978:
	s_mov_b32 s16, 0
.LBB135_2979:
	s_delay_alu instid0(SALU_CYCLE_1)
	s_and_not1_b32 vcc_lo, exec_lo, s16
	s_cbranch_vccnz .LBB135_2981
; %bb.2980:
	s_wait_loadcnt 0x0
	global_load_u16 v26, v[32:33], off
.LBB135_2981:
	s_mov_b32 s16, 0
.LBB135_2982:
	s_delay_alu instid0(SALU_CYCLE_1)
	s_and_not1_b32 vcc_lo, exec_lo, s16
	s_cbranch_vccnz .LBB135_2988
; %bb.2983:
	s_cmp_gt_i32 s13, 0
	s_mov_b32 s16, 0
	s_cbranch_scc0 .LBB135_2985
; %bb.2984:
	s_wait_loadcnt 0x0
	global_load_i8 v26, v[32:33], off
	s_branch .LBB135_2986
.LBB135_2985:
	s_mov_b32 s16, -1
                                        ; implicit-def: $vgpr26
.LBB135_2986:
	s_delay_alu instid0(SALU_CYCLE_1)
	s_and_not1_b32 vcc_lo, exec_lo, s16
	s_cbranch_vccnz .LBB135_2988
; %bb.2987:
	s_wait_loadcnt 0x0
	global_load_u8 v26, v[32:33], off
.LBB135_2988:
	s_mov_b32 s18, -1
.LBB135_2989:
	s_delay_alu instid0(SALU_CYCLE_1)
	s_and_not1_b32 vcc_lo, exec_lo, s18
	s_cbranch_vccnz .LBB135_4058
; %bb.2990:
	v_mov_b32_e32 v31, 0
	s_cmp_lt_i32 s14, 11
	s_wait_xcnt 0x0
	s_delay_alu instid0(VALU_DEP_1)
	v_add_nc_u64_e32 v[32:33], s[0:1], v[30:31]
	s_cbranch_scc1 .LBB135_2997
; %bb.2991:
	s_cmp_gt_i32 s14, 25
	s_mov_b32 s17, 0
	s_cbranch_scc0 .LBB135_2998
; %bb.2992:
	s_cmp_gt_i32 s14, 28
	s_cbranch_scc0 .LBB135_2999
; %bb.2993:
	s_cmp_gt_i32 s14, 43
	;; [unrolled: 3-line block ×3, first 2 shown]
	s_cbranch_scc0 .LBB135_3002
; %bb.2995:
	s_cmp_eq_u32 s14, 46
	s_mov_b32 s19, 0
	s_cbranch_scc0 .LBB135_3003
; %bb.2996:
	global_load_b32 v1, v[32:33], off
	s_mov_b32 s16, 0
	s_mov_b32 s18, -1
	s_wait_loadcnt 0x0
	v_lshlrev_b32_e32 v1, 16, v1
	s_delay_alu instid0(VALU_DEP_1)
	v_cvt_i32_f32_e32 v30, v1
	s_branch .LBB135_3005
.LBB135_2997:
	s_mov_b32 s16, -1
	s_mov_b32 s18, 0
                                        ; implicit-def: $vgpr30
	s_branch .LBB135_3067
.LBB135_2998:
	s_mov_b32 s19, -1
	s_mov_b32 s18, 0
	s_mov_b32 s16, 0
                                        ; implicit-def: $vgpr30
	s_branch .LBB135_3032
.LBB135_2999:
	s_mov_b32 s19, -1
	s_mov_b32 s18, 0
	s_mov_b32 s16, 0
                                        ; implicit-def: $vgpr30
	s_branch .LBB135_3015
.LBB135_3000:
	s_mov_b32 s19, -1
	s_mov_b32 s18, 0
	s_mov_b32 s16, 0
                                        ; implicit-def: $vgpr30
	s_branch .LBB135_3010
.LBB135_3001:
	s_or_b32 s12, s12, exec_lo
	s_trap 2
	s_cbranch_execz .LBB135_2938
	s_branch .LBB135_2939
.LBB135_3002:
	s_mov_b32 s19, -1
	s_mov_b32 s18, 0
	s_mov_b32 s16, 0
	s_branch .LBB135_3004
.LBB135_3003:
	s_mov_b32 s16, -1
	s_mov_b32 s18, 0
.LBB135_3004:
                                        ; implicit-def: $vgpr30
.LBB135_3005:
	s_and_b32 vcc_lo, exec_lo, s19
	s_cbranch_vccz .LBB135_3009
; %bb.3006:
	s_cmp_eq_u32 s14, 44
	s_cbranch_scc0 .LBB135_3008
; %bb.3007:
	global_load_u8 v1, v[32:33], off
	s_mov_b32 s16, 0
	s_mov_b32 s18, -1
	s_wait_loadcnt 0x0
	v_lshlrev_b32_e32 v3, 23, v1
	v_cmp_ne_u32_e32 vcc_lo, 0, v1
	s_delay_alu instid0(VALU_DEP_2) | instskip(NEXT) | instid1(VALU_DEP_1)
	v_cvt_i32_f32_e32 v3, v3
	v_cndmask_b32_e32 v30, 0, v3, vcc_lo
	s_branch .LBB135_3009
.LBB135_3008:
	s_mov_b32 s16, -1
                                        ; implicit-def: $vgpr30
.LBB135_3009:
	s_mov_b32 s19, 0
.LBB135_3010:
	s_delay_alu instid0(SALU_CYCLE_1)
	s_and_b32 vcc_lo, exec_lo, s19
	s_cbranch_vccz .LBB135_3014
; %bb.3011:
	s_cmp_eq_u32 s14, 29
	s_cbranch_scc0 .LBB135_3013
; %bb.3012:
	global_load_b64 v[30:31], v[32:33], off
	s_mov_b32 s16, 0
	s_mov_b32 s18, -1
	s_branch .LBB135_3014
.LBB135_3013:
	s_mov_b32 s16, -1
                                        ; implicit-def: $vgpr30
.LBB135_3014:
	s_mov_b32 s19, 0
.LBB135_3015:
	s_delay_alu instid0(SALU_CYCLE_1)
	s_and_b32 vcc_lo, exec_lo, s19
	s_cbranch_vccz .LBB135_3031
; %bb.3016:
	s_cmp_lt_i32 s14, 27
	s_cbranch_scc1 .LBB135_3019
; %bb.3017:
	s_cmp_gt_i32 s14, 27
	s_cbranch_scc0 .LBB135_3020
; %bb.3018:
	s_wait_loadcnt 0x0
	global_load_b32 v30, v[32:33], off
	s_mov_b32 s18, 0
	s_branch .LBB135_3021
.LBB135_3019:
	s_mov_b32 s18, -1
                                        ; implicit-def: $vgpr30
	s_branch .LBB135_3024
.LBB135_3020:
	s_mov_b32 s18, -1
                                        ; implicit-def: $vgpr30
.LBB135_3021:
	s_delay_alu instid0(SALU_CYCLE_1)
	s_and_not1_b32 vcc_lo, exec_lo, s18
	s_cbranch_vccnz .LBB135_3023
; %bb.3022:
	s_wait_loadcnt 0x0
	global_load_u16 v30, v[32:33], off
.LBB135_3023:
	s_mov_b32 s18, 0
.LBB135_3024:
	s_delay_alu instid0(SALU_CYCLE_1)
	s_and_not1_b32 vcc_lo, exec_lo, s18
	s_cbranch_vccnz .LBB135_3030
; %bb.3025:
	global_load_u8 v1, v[32:33], off
	s_mov_b32 s19, 0
	s_mov_b32 s18, exec_lo
	s_wait_loadcnt 0x0
	v_cmpx_lt_i16_e32 0x7f, v1
	s_xor_b32 s18, exec_lo, s18
	s_cbranch_execz .LBB135_3042
; %bb.3026:
	v_cmp_ne_u16_e32 vcc_lo, 0x80, v1
	s_and_b32 s19, vcc_lo, exec_lo
	s_and_not1_saveexec_b32 s18, s18
	s_cbranch_execnz .LBB135_3043
.LBB135_3027:
	s_or_b32 exec_lo, exec_lo, s18
	v_mov_b32_e32 v30, 0
	s_and_saveexec_b32 s18, s19
	s_cbranch_execz .LBB135_3029
.LBB135_3028:
	v_and_b32_e32 v3, 0xffff, v1
	s_delay_alu instid0(VALU_DEP_1) | instskip(SKIP_1) | instid1(VALU_DEP_2)
	v_dual_lshlrev_b32 v1, 24, v1 :: v_dual_bitop2_b32 v5, 7, v3 bitop3:0x40
	v_bfe_u32 v11, v3, 3, 4
	v_and_b32_e32 v1, 0x80000000, v1
	s_delay_alu instid0(VALU_DEP_3) | instskip(NEXT) | instid1(VALU_DEP_3)
	v_clz_i32_u32_e32 v7, v5
	v_cmp_eq_u32_e32 vcc_lo, 0, v11
	s_delay_alu instid0(VALU_DEP_2) | instskip(NEXT) | instid1(VALU_DEP_1)
	v_min_u32_e32 v7, 32, v7
	v_subrev_nc_u32_e32 v9, 28, v7
	v_sub_nc_u32_e32 v7, 29, v7
	s_delay_alu instid0(VALU_DEP_2) | instskip(NEXT) | instid1(VALU_DEP_2)
	v_lshlrev_b32_e32 v3, v9, v3
	v_cndmask_b32_e32 v7, v11, v7, vcc_lo
	s_delay_alu instid0(VALU_DEP_2) | instskip(NEXT) | instid1(VALU_DEP_1)
	v_and_b32_e32 v3, 7, v3
	v_cndmask_b32_e32 v3, v5, v3, vcc_lo
	s_delay_alu instid0(VALU_DEP_3) | instskip(NEXT) | instid1(VALU_DEP_2)
	v_lshl_add_u32 v5, v7, 23, 0x3b800000
	v_lshlrev_b32_e32 v3, 20, v3
	s_delay_alu instid0(VALU_DEP_1) | instskip(NEXT) | instid1(VALU_DEP_1)
	v_or3_b32 v1, v1, v5, v3
	v_cvt_i32_f32_e32 v30, v1
.LBB135_3029:
	s_or_b32 exec_lo, exec_lo, s18
.LBB135_3030:
	s_mov_b32 s18, -1
.LBB135_3031:
	s_mov_b32 s19, 0
.LBB135_3032:
	s_delay_alu instid0(SALU_CYCLE_1)
	s_and_b32 vcc_lo, exec_lo, s19
	s_cbranch_vccz .LBB135_3063
; %bb.3033:
	s_cmp_gt_i32 s14, 22
	s_cbranch_scc0 .LBB135_3041
; %bb.3034:
	s_cmp_lt_i32 s14, 24
	s_cbranch_scc1 .LBB135_3044
; %bb.3035:
	s_cmp_gt_i32 s14, 24
	s_cbranch_scc0 .LBB135_3045
; %bb.3036:
	global_load_u8 v1, v[32:33], off
	s_mov_b32 s18, 0
	s_mov_b32 s17, exec_lo
	s_wait_loadcnt 0x0
	v_cmpx_lt_i16_e32 0x7f, v1
	s_xor_b32 s17, exec_lo, s17
	s_cbranch_execz .LBB135_3057
; %bb.3037:
	v_cmp_ne_u16_e32 vcc_lo, 0x80, v1
	s_and_b32 s18, vcc_lo, exec_lo
	s_and_not1_saveexec_b32 s17, s17
	s_cbranch_execnz .LBB135_3058
.LBB135_3038:
	s_or_b32 exec_lo, exec_lo, s17
	v_mov_b32_e32 v30, 0
	s_and_saveexec_b32 s17, s18
	s_cbranch_execz .LBB135_3040
.LBB135_3039:
	v_and_b32_e32 v3, 0xffff, v1
	s_delay_alu instid0(VALU_DEP_1) | instskip(SKIP_1) | instid1(VALU_DEP_2)
	v_dual_lshlrev_b32 v1, 24, v1 :: v_dual_bitop2_b32 v5, 3, v3 bitop3:0x40
	v_bfe_u32 v11, v3, 2, 5
	v_and_b32_e32 v1, 0x80000000, v1
	s_delay_alu instid0(VALU_DEP_3) | instskip(NEXT) | instid1(VALU_DEP_3)
	v_clz_i32_u32_e32 v7, v5
	v_cmp_eq_u32_e32 vcc_lo, 0, v11
	s_delay_alu instid0(VALU_DEP_2) | instskip(NEXT) | instid1(VALU_DEP_1)
	v_min_u32_e32 v7, 32, v7
	v_subrev_nc_u32_e32 v9, 29, v7
	v_sub_nc_u32_e32 v7, 30, v7
	s_delay_alu instid0(VALU_DEP_2) | instskip(NEXT) | instid1(VALU_DEP_2)
	v_lshlrev_b32_e32 v3, v9, v3
	v_cndmask_b32_e32 v7, v11, v7, vcc_lo
	s_delay_alu instid0(VALU_DEP_2) | instskip(NEXT) | instid1(VALU_DEP_1)
	v_and_b32_e32 v3, 3, v3
	v_cndmask_b32_e32 v3, v5, v3, vcc_lo
	s_delay_alu instid0(VALU_DEP_3) | instskip(NEXT) | instid1(VALU_DEP_2)
	v_lshl_add_u32 v5, v7, 23, 0x37800000
	v_lshlrev_b32_e32 v3, 21, v3
	s_delay_alu instid0(VALU_DEP_1) | instskip(NEXT) | instid1(VALU_DEP_1)
	v_or3_b32 v1, v1, v5, v3
	v_cvt_i32_f32_e32 v30, v1
.LBB135_3040:
	s_or_b32 exec_lo, exec_lo, s17
	s_mov_b32 s17, 0
	s_branch .LBB135_3046
.LBB135_3041:
	s_mov_b32 s17, -1
                                        ; implicit-def: $vgpr30
	s_branch .LBB135_3052
.LBB135_3042:
	s_and_not1_saveexec_b32 s18, s18
	s_cbranch_execz .LBB135_3027
.LBB135_3043:
	v_cmp_ne_u16_e32 vcc_lo, 0, v1
	s_and_not1_b32 s19, s19, exec_lo
	s_and_b32 s20, vcc_lo, exec_lo
	s_delay_alu instid0(SALU_CYCLE_1)
	s_or_b32 s19, s19, s20
	s_or_b32 exec_lo, exec_lo, s18
	v_mov_b32_e32 v30, 0
	s_and_saveexec_b32 s18, s19
	s_cbranch_execnz .LBB135_3028
	s_branch .LBB135_3029
.LBB135_3044:
	s_mov_b32 s17, -1
                                        ; implicit-def: $vgpr30
	s_branch .LBB135_3049
.LBB135_3045:
	s_mov_b32 s17, -1
                                        ; implicit-def: $vgpr30
.LBB135_3046:
	s_delay_alu instid0(SALU_CYCLE_1)
	s_and_b32 vcc_lo, exec_lo, s17
	s_cbranch_vccz .LBB135_3048
; %bb.3047:
	global_load_u8 v1, v[32:33], off
	s_wait_loadcnt 0x0
	v_lshlrev_b32_e32 v1, 24, v1
	s_delay_alu instid0(VALU_DEP_1) | instskip(NEXT) | instid1(VALU_DEP_1)
	v_and_b32_e32 v3, 0x7f000000, v1
	v_clz_i32_u32_e32 v5, v3
	v_add_nc_u32_e32 v9, 0x1000000, v3
	v_cmp_ne_u32_e32 vcc_lo, 0, v3
	s_delay_alu instid0(VALU_DEP_3) | instskip(NEXT) | instid1(VALU_DEP_1)
	v_min_u32_e32 v5, 32, v5
	v_sub_nc_u32_e64 v5, v5, 4 clamp
	s_delay_alu instid0(VALU_DEP_1) | instskip(NEXT) | instid1(VALU_DEP_1)
	v_dual_lshlrev_b32 v7, v5, v3 :: v_dual_lshlrev_b32 v5, 23, v5
	v_lshrrev_b32_e32 v7, 4, v7
	s_delay_alu instid0(VALU_DEP_1) | instskip(SKIP_1) | instid1(VALU_DEP_2)
	v_sub_nc_u32_e32 v5, v7, v5
	v_ashrrev_i32_e32 v7, 8, v9
	v_add_nc_u32_e32 v5, 0x3c000000, v5
	s_delay_alu instid0(VALU_DEP_1) | instskip(NEXT) | instid1(VALU_DEP_1)
	v_and_or_b32 v5, 0x7f800000, v7, v5
	v_cndmask_b32_e32 v3, 0, v5, vcc_lo
	s_delay_alu instid0(VALU_DEP_1) | instskip(NEXT) | instid1(VALU_DEP_1)
	v_and_or_b32 v1, 0x80000000, v1, v3
	v_cvt_i32_f32_e32 v30, v1
.LBB135_3048:
	s_mov_b32 s17, 0
.LBB135_3049:
	s_delay_alu instid0(SALU_CYCLE_1)
	s_and_not1_b32 vcc_lo, exec_lo, s17
	s_cbranch_vccnz .LBB135_3051
; %bb.3050:
	global_load_u8 v1, v[32:33], off
	s_wait_loadcnt 0x0
	v_lshlrev_b32_e32 v3, 25, v1
	v_lshlrev_b16 v1, 8, v1
	s_delay_alu instid0(VALU_DEP_1) | instskip(SKIP_1) | instid1(VALU_DEP_2)
	v_and_or_b32 v7, 0x7f00, v1, 0.5
	v_bfe_i32 v1, v1, 0, 16
	v_add_f32_e32 v7, -0.5, v7
	v_lshrrev_b32_e32 v5, 4, v3
	v_cmp_gt_u32_e32 vcc_lo, 0x8000000, v3
	s_delay_alu instid0(VALU_DEP_2) | instskip(NEXT) | instid1(VALU_DEP_1)
	v_or_b32_e32 v5, 0x70000000, v5
	v_mul_f32_e32 v5, 0x7800000, v5
	s_delay_alu instid0(VALU_DEP_1) | instskip(NEXT) | instid1(VALU_DEP_1)
	v_cndmask_b32_e32 v3, v5, v7, vcc_lo
	v_and_or_b32 v1, 0x80000000, v1, v3
	s_delay_alu instid0(VALU_DEP_1)
	v_cvt_i32_f32_e32 v30, v1
.LBB135_3051:
	s_mov_b32 s17, 0
	s_mov_b32 s18, -1
.LBB135_3052:
	s_and_not1_b32 vcc_lo, exec_lo, s17
	s_mov_b32 s17, 0
	s_cbranch_vccnz .LBB135_3063
; %bb.3053:
	s_cmp_gt_i32 s14, 14
	s_cbranch_scc0 .LBB135_3056
; %bb.3054:
	s_cmp_eq_u32 s14, 15
	s_cbranch_scc0 .LBB135_3059
; %bb.3055:
	global_load_u16 v1, v[32:33], off
	s_mov_b32 s16, 0
	s_mov_b32 s18, -1
	s_wait_loadcnt 0x0
	v_lshlrev_b32_e32 v1, 16, v1
	s_delay_alu instid0(VALU_DEP_1)
	v_cvt_i32_f32_e32 v30, v1
	s_branch .LBB135_3061
.LBB135_3056:
	s_mov_b32 s17, -1
	s_branch .LBB135_3060
.LBB135_3057:
	s_and_not1_saveexec_b32 s17, s17
	s_cbranch_execz .LBB135_3038
.LBB135_3058:
	v_cmp_ne_u16_e32 vcc_lo, 0, v1
	s_and_not1_b32 s18, s18, exec_lo
	s_and_b32 s19, vcc_lo, exec_lo
	s_delay_alu instid0(SALU_CYCLE_1)
	s_or_b32 s18, s18, s19
	s_or_b32 exec_lo, exec_lo, s17
	v_mov_b32_e32 v30, 0
	s_and_saveexec_b32 s17, s18
	s_cbranch_execnz .LBB135_3039
	s_branch .LBB135_3040
.LBB135_3059:
	s_mov_b32 s16, -1
.LBB135_3060:
                                        ; implicit-def: $vgpr30
.LBB135_3061:
	s_and_b32 vcc_lo, exec_lo, s17
	s_mov_b32 s17, 0
	s_cbranch_vccz .LBB135_3063
; %bb.3062:
	s_cmp_lg_u32 s14, 11
	s_mov_b32 s17, -1
	s_cselect_b32 s16, -1, 0
.LBB135_3063:
	s_delay_alu instid0(SALU_CYCLE_1)
	s_and_b32 vcc_lo, exec_lo, s16
	s_cbranch_vccnz .LBB135_3128
; %bb.3064:
	s_and_not1_b32 vcc_lo, exec_lo, s17
	s_cbranch_vccnz .LBB135_3066
.LBB135_3065:
	global_load_u8 v1, v[32:33], off
	s_mov_b32 s18, -1
	s_wait_loadcnt 0x0
	v_cmp_ne_u16_e32 vcc_lo, 0, v1
	v_cndmask_b32_e64 v30, 0, 1, vcc_lo
.LBB135_3066:
	s_mov_b32 s16, 0
.LBB135_3067:
	s_delay_alu instid0(SALU_CYCLE_1)
	s_and_b32 vcc_lo, exec_lo, s16
	s_cbranch_vccz .LBB135_3116
; %bb.3068:
	s_cmp_lt_i32 s14, 5
	s_cbranch_scc1 .LBB135_3073
; %bb.3069:
	s_cmp_lt_i32 s14, 8
	s_cbranch_scc1 .LBB135_3074
	;; [unrolled: 3-line block ×3, first 2 shown]
; %bb.3071:
	s_cmp_gt_i32 s14, 9
	s_cbranch_scc0 .LBB135_3076
; %bb.3072:
	s_wait_loadcnt 0x0
	global_load_b64 v[30:31], v[32:33], off
	s_mov_b32 s16, 0
	s_wait_loadcnt 0x0
	v_cvt_i32_f64_e32 v30, v[30:31]
	s_branch .LBB135_3077
.LBB135_3073:
	s_mov_b32 s16, -1
                                        ; implicit-def: $vgpr30
	s_branch .LBB135_3095
.LBB135_3074:
	s_mov_b32 s16, -1
                                        ; implicit-def: $vgpr30
	s_branch .LBB135_3083
.LBB135_3075:
	s_mov_b32 s16, -1
                                        ; implicit-def: $vgpr30
	s_branch .LBB135_3080
.LBB135_3076:
	s_mov_b32 s16, -1
                                        ; implicit-def: $vgpr30
.LBB135_3077:
	s_delay_alu instid0(SALU_CYCLE_1)
	s_and_not1_b32 vcc_lo, exec_lo, s16
	s_cbranch_vccnz .LBB135_3079
; %bb.3078:
	global_load_b32 v1, v[32:33], off
	s_wait_loadcnt 0x0
	v_cvt_i32_f32_e32 v30, v1
.LBB135_3079:
	s_mov_b32 s16, 0
.LBB135_3080:
	s_delay_alu instid0(SALU_CYCLE_1)
	s_and_not1_b32 vcc_lo, exec_lo, s16
	s_cbranch_vccnz .LBB135_3082
; %bb.3081:
	global_load_b32 v1, v[32:33], off
	s_wait_loadcnt 0x0
	v_cvt_i16_f16_e32 v30, v1
.LBB135_3082:
	s_mov_b32 s16, 0
.LBB135_3083:
	s_delay_alu instid0(SALU_CYCLE_1)
	s_and_not1_b32 vcc_lo, exec_lo, s16
	s_cbranch_vccnz .LBB135_3094
; %bb.3084:
	s_cmp_lt_i32 s14, 6
	s_cbranch_scc1 .LBB135_3087
; %bb.3085:
	s_cmp_gt_i32 s14, 6
	s_cbranch_scc0 .LBB135_3088
; %bb.3086:
	s_wait_loadcnt 0x0
	global_load_b64 v[30:31], v[32:33], off
	s_mov_b32 s16, 0
	s_wait_loadcnt 0x0
	v_cvt_i32_f64_e32 v30, v[30:31]
	s_branch .LBB135_3089
.LBB135_3087:
	s_mov_b32 s16, -1
                                        ; implicit-def: $vgpr30
	s_branch .LBB135_3092
.LBB135_3088:
	s_mov_b32 s16, -1
                                        ; implicit-def: $vgpr30
.LBB135_3089:
	s_delay_alu instid0(SALU_CYCLE_1)
	s_and_not1_b32 vcc_lo, exec_lo, s16
	s_cbranch_vccnz .LBB135_3091
; %bb.3090:
	global_load_b32 v1, v[32:33], off
	s_wait_loadcnt 0x0
	v_cvt_i32_f32_e32 v30, v1
.LBB135_3091:
	s_mov_b32 s16, 0
.LBB135_3092:
	s_delay_alu instid0(SALU_CYCLE_1)
	s_and_not1_b32 vcc_lo, exec_lo, s16
	s_cbranch_vccnz .LBB135_3094
; %bb.3093:
	global_load_u16 v1, v[32:33], off
	s_wait_loadcnt 0x0
	v_cvt_i16_f16_e32 v30, v1
.LBB135_3094:
	s_mov_b32 s16, 0
.LBB135_3095:
	s_delay_alu instid0(SALU_CYCLE_1)
	s_and_not1_b32 vcc_lo, exec_lo, s16
	s_cbranch_vccnz .LBB135_3115
; %bb.3096:
	s_cmp_lt_i32 s14, 2
	s_cbranch_scc1 .LBB135_3100
; %bb.3097:
	s_cmp_lt_i32 s14, 3
	s_cbranch_scc1 .LBB135_3101
; %bb.3098:
	s_cmp_gt_i32 s14, 3
	s_cbranch_scc0 .LBB135_3102
; %bb.3099:
	s_wait_loadcnt 0x0
	global_load_b64 v[30:31], v[32:33], off
	s_mov_b32 s16, 0
	s_branch .LBB135_3103
.LBB135_3100:
	s_mov_b32 s16, -1
                                        ; implicit-def: $vgpr30
	s_branch .LBB135_3109
.LBB135_3101:
	s_mov_b32 s16, -1
                                        ; implicit-def: $vgpr30
	s_branch .LBB135_3106
.LBB135_3102:
	s_mov_b32 s16, -1
                                        ; implicit-def: $vgpr30
.LBB135_3103:
	s_delay_alu instid0(SALU_CYCLE_1)
	s_and_not1_b32 vcc_lo, exec_lo, s16
	s_cbranch_vccnz .LBB135_3105
; %bb.3104:
	s_wait_loadcnt 0x0
	global_load_b32 v30, v[32:33], off
.LBB135_3105:
	s_mov_b32 s16, 0
.LBB135_3106:
	s_delay_alu instid0(SALU_CYCLE_1)
	s_and_not1_b32 vcc_lo, exec_lo, s16
	s_cbranch_vccnz .LBB135_3108
; %bb.3107:
	s_wait_loadcnt 0x0
	global_load_u16 v30, v[32:33], off
.LBB135_3108:
	s_mov_b32 s16, 0
.LBB135_3109:
	s_delay_alu instid0(SALU_CYCLE_1)
	s_and_not1_b32 vcc_lo, exec_lo, s16
	s_cbranch_vccnz .LBB135_3115
; %bb.3110:
	s_cmp_gt_i32 s14, 0
	s_mov_b32 s16, 0
	s_cbranch_scc0 .LBB135_3112
; %bb.3111:
	s_wait_loadcnt 0x0
	global_load_i8 v30, v[32:33], off
	s_branch .LBB135_3113
.LBB135_3112:
	s_mov_b32 s16, -1
                                        ; implicit-def: $vgpr30
.LBB135_3113:
	s_delay_alu instid0(SALU_CYCLE_1)
	s_and_not1_b32 vcc_lo, exec_lo, s16
	s_cbranch_vccnz .LBB135_3115
; %bb.3114:
	s_wait_loadcnt 0x0
	global_load_u8 v30, v[32:33], off
.LBB135_3115:
	s_mov_b32 s18, -1
.LBB135_3116:
	s_delay_alu instid0(SALU_CYCLE_1)
	s_and_not1_b32 vcc_lo, exec_lo, s18
	s_cbranch_vccnz .LBB135_4058
; %bb.3117:
	v_mov_b32_e32 v25, 0
	s_cmp_lt_i32 s15, 11
	s_wait_xcnt 0x0
	s_delay_alu instid0(VALU_DEP_1)
	v_add_nc_u64_e32 v[32:33], s[8:9], v[24:25]
	s_cbranch_scc1 .LBB135_3124
; %bb.3118:
	s_cmp_gt_i32 s15, 25
	s_mov_b32 s17, 0
	s_cbranch_scc0 .LBB135_3125
; %bb.3119:
	s_cmp_gt_i32 s15, 28
	s_cbranch_scc0 .LBB135_3126
; %bb.3120:
	s_cmp_gt_i32 s15, 43
	;; [unrolled: 3-line block ×3, first 2 shown]
	s_cbranch_scc0 .LBB135_3129
; %bb.3122:
	s_cmp_eq_u32 s15, 46
	s_mov_b32 s19, 0
	s_cbranch_scc0 .LBB135_3130
; %bb.3123:
	global_load_b32 v1, v[32:33], off
	s_mov_b32 s16, 0
	s_mov_b32 s18, -1
	s_wait_loadcnt 0x0
	v_lshlrev_b32_e32 v1, 16, v1
	s_delay_alu instid0(VALU_DEP_1)
	v_cvt_i32_f32_e32 v24, v1
	s_branch .LBB135_3132
.LBB135_3124:
	s_mov_b32 s16, -1
	s_mov_b32 s18, 0
                                        ; implicit-def: $vgpr24
	s_branch .LBB135_3194
.LBB135_3125:
	s_mov_b32 s19, -1
	s_mov_b32 s18, 0
	s_mov_b32 s16, 0
                                        ; implicit-def: $vgpr24
	s_branch .LBB135_3159
.LBB135_3126:
	s_mov_b32 s19, -1
	s_mov_b32 s18, 0
	s_mov_b32 s16, 0
                                        ; implicit-def: $vgpr24
	s_branch .LBB135_3142
.LBB135_3127:
	s_mov_b32 s19, -1
	s_mov_b32 s18, 0
	s_mov_b32 s16, 0
                                        ; implicit-def: $vgpr24
	s_branch .LBB135_3137
.LBB135_3128:
	s_or_b32 s12, s12, exec_lo
	s_trap 2
	s_cbranch_execz .LBB135_3065
	s_branch .LBB135_3066
.LBB135_3129:
	s_mov_b32 s19, -1
	s_mov_b32 s18, 0
	s_mov_b32 s16, 0
	s_branch .LBB135_3131
.LBB135_3130:
	s_mov_b32 s16, -1
	s_mov_b32 s18, 0
.LBB135_3131:
                                        ; implicit-def: $vgpr24
.LBB135_3132:
	s_and_b32 vcc_lo, exec_lo, s19
	s_cbranch_vccz .LBB135_3136
; %bb.3133:
	s_cmp_eq_u32 s15, 44
	s_cbranch_scc0 .LBB135_3135
; %bb.3134:
	global_load_u8 v1, v[32:33], off
	s_mov_b32 s16, 0
	s_mov_b32 s18, -1
	s_wait_loadcnt 0x0
	v_lshlrev_b32_e32 v3, 23, v1
	v_cmp_ne_u32_e32 vcc_lo, 0, v1
	s_delay_alu instid0(VALU_DEP_2) | instskip(NEXT) | instid1(VALU_DEP_1)
	v_cvt_i32_f32_e32 v3, v3
	v_cndmask_b32_e32 v24, 0, v3, vcc_lo
	s_branch .LBB135_3136
.LBB135_3135:
	s_mov_b32 s16, -1
                                        ; implicit-def: $vgpr24
.LBB135_3136:
	s_mov_b32 s19, 0
.LBB135_3137:
	s_delay_alu instid0(SALU_CYCLE_1)
	s_and_b32 vcc_lo, exec_lo, s19
	s_cbranch_vccz .LBB135_3141
; %bb.3138:
	s_cmp_eq_u32 s15, 29
	s_cbranch_scc0 .LBB135_3140
; %bb.3139:
	global_load_b64 v[24:25], v[32:33], off
	s_mov_b32 s16, 0
	s_mov_b32 s18, -1
	s_branch .LBB135_3141
.LBB135_3140:
	s_mov_b32 s16, -1
                                        ; implicit-def: $vgpr24
.LBB135_3141:
	s_mov_b32 s19, 0
.LBB135_3142:
	s_delay_alu instid0(SALU_CYCLE_1)
	s_and_b32 vcc_lo, exec_lo, s19
	s_cbranch_vccz .LBB135_3158
; %bb.3143:
	s_cmp_lt_i32 s15, 27
	s_cbranch_scc1 .LBB135_3146
; %bb.3144:
	s_cmp_gt_i32 s15, 27
	s_cbranch_scc0 .LBB135_3147
; %bb.3145:
	s_wait_loadcnt 0x0
	global_load_b32 v24, v[32:33], off
	s_mov_b32 s18, 0
	s_branch .LBB135_3148
.LBB135_3146:
	s_mov_b32 s18, -1
                                        ; implicit-def: $vgpr24
	s_branch .LBB135_3151
.LBB135_3147:
	s_mov_b32 s18, -1
                                        ; implicit-def: $vgpr24
.LBB135_3148:
	s_delay_alu instid0(SALU_CYCLE_1)
	s_and_not1_b32 vcc_lo, exec_lo, s18
	s_cbranch_vccnz .LBB135_3150
; %bb.3149:
	s_wait_loadcnt 0x0
	global_load_u16 v24, v[32:33], off
.LBB135_3150:
	s_mov_b32 s18, 0
.LBB135_3151:
	s_delay_alu instid0(SALU_CYCLE_1)
	s_and_not1_b32 vcc_lo, exec_lo, s18
	s_cbranch_vccnz .LBB135_3157
; %bb.3152:
	global_load_u8 v1, v[32:33], off
	s_mov_b32 s19, 0
	s_mov_b32 s18, exec_lo
	s_wait_loadcnt 0x0
	v_cmpx_lt_i16_e32 0x7f, v1
	s_xor_b32 s18, exec_lo, s18
	s_cbranch_execz .LBB135_3169
; %bb.3153:
	v_cmp_ne_u16_e32 vcc_lo, 0x80, v1
	s_and_b32 s19, vcc_lo, exec_lo
	s_and_not1_saveexec_b32 s18, s18
	s_cbranch_execnz .LBB135_3170
.LBB135_3154:
	s_or_b32 exec_lo, exec_lo, s18
	v_mov_b32_e32 v24, 0
	s_and_saveexec_b32 s18, s19
	s_cbranch_execz .LBB135_3156
.LBB135_3155:
	v_and_b32_e32 v3, 0xffff, v1
	s_delay_alu instid0(VALU_DEP_1) | instskip(SKIP_1) | instid1(VALU_DEP_2)
	v_dual_lshlrev_b32 v1, 24, v1 :: v_dual_bitop2_b32 v5, 7, v3 bitop3:0x40
	v_bfe_u32 v11, v3, 3, 4
	v_and_b32_e32 v1, 0x80000000, v1
	s_delay_alu instid0(VALU_DEP_3) | instskip(NEXT) | instid1(VALU_DEP_3)
	v_clz_i32_u32_e32 v7, v5
	v_cmp_eq_u32_e32 vcc_lo, 0, v11
	s_delay_alu instid0(VALU_DEP_2) | instskip(NEXT) | instid1(VALU_DEP_1)
	v_min_u32_e32 v7, 32, v7
	v_subrev_nc_u32_e32 v9, 28, v7
	v_sub_nc_u32_e32 v7, 29, v7
	s_delay_alu instid0(VALU_DEP_2) | instskip(NEXT) | instid1(VALU_DEP_2)
	v_lshlrev_b32_e32 v3, v9, v3
	v_cndmask_b32_e32 v7, v11, v7, vcc_lo
	s_delay_alu instid0(VALU_DEP_2) | instskip(NEXT) | instid1(VALU_DEP_1)
	v_and_b32_e32 v3, 7, v3
	v_cndmask_b32_e32 v3, v5, v3, vcc_lo
	s_delay_alu instid0(VALU_DEP_3) | instskip(NEXT) | instid1(VALU_DEP_2)
	v_lshl_add_u32 v5, v7, 23, 0x3b800000
	v_lshlrev_b32_e32 v3, 20, v3
	s_delay_alu instid0(VALU_DEP_1) | instskip(NEXT) | instid1(VALU_DEP_1)
	v_or3_b32 v1, v1, v5, v3
	v_cvt_i32_f32_e32 v24, v1
.LBB135_3156:
	s_or_b32 exec_lo, exec_lo, s18
.LBB135_3157:
	s_mov_b32 s18, -1
.LBB135_3158:
	s_mov_b32 s19, 0
.LBB135_3159:
	s_delay_alu instid0(SALU_CYCLE_1)
	s_and_b32 vcc_lo, exec_lo, s19
	s_cbranch_vccz .LBB135_3190
; %bb.3160:
	s_cmp_gt_i32 s15, 22
	s_cbranch_scc0 .LBB135_3168
; %bb.3161:
	s_cmp_lt_i32 s15, 24
	s_cbranch_scc1 .LBB135_3171
; %bb.3162:
	s_cmp_gt_i32 s15, 24
	s_cbranch_scc0 .LBB135_3172
; %bb.3163:
	global_load_u8 v1, v[32:33], off
	s_mov_b32 s18, 0
	s_mov_b32 s17, exec_lo
	s_wait_loadcnt 0x0
	v_cmpx_lt_i16_e32 0x7f, v1
	s_xor_b32 s17, exec_lo, s17
	s_cbranch_execz .LBB135_3184
; %bb.3164:
	v_cmp_ne_u16_e32 vcc_lo, 0x80, v1
	s_and_b32 s18, vcc_lo, exec_lo
	s_and_not1_saveexec_b32 s17, s17
	s_cbranch_execnz .LBB135_3185
.LBB135_3165:
	s_or_b32 exec_lo, exec_lo, s17
	v_mov_b32_e32 v24, 0
	s_and_saveexec_b32 s17, s18
	s_cbranch_execz .LBB135_3167
.LBB135_3166:
	v_and_b32_e32 v3, 0xffff, v1
	s_delay_alu instid0(VALU_DEP_1) | instskip(SKIP_1) | instid1(VALU_DEP_2)
	v_dual_lshlrev_b32 v1, 24, v1 :: v_dual_bitop2_b32 v5, 3, v3 bitop3:0x40
	v_bfe_u32 v11, v3, 2, 5
	v_and_b32_e32 v1, 0x80000000, v1
	s_delay_alu instid0(VALU_DEP_3) | instskip(NEXT) | instid1(VALU_DEP_3)
	v_clz_i32_u32_e32 v7, v5
	v_cmp_eq_u32_e32 vcc_lo, 0, v11
	s_delay_alu instid0(VALU_DEP_2) | instskip(NEXT) | instid1(VALU_DEP_1)
	v_min_u32_e32 v7, 32, v7
	v_subrev_nc_u32_e32 v9, 29, v7
	v_sub_nc_u32_e32 v7, 30, v7
	s_delay_alu instid0(VALU_DEP_2) | instskip(NEXT) | instid1(VALU_DEP_2)
	v_lshlrev_b32_e32 v3, v9, v3
	v_cndmask_b32_e32 v7, v11, v7, vcc_lo
	s_delay_alu instid0(VALU_DEP_2) | instskip(NEXT) | instid1(VALU_DEP_1)
	v_and_b32_e32 v3, 3, v3
	v_cndmask_b32_e32 v3, v5, v3, vcc_lo
	s_delay_alu instid0(VALU_DEP_3) | instskip(NEXT) | instid1(VALU_DEP_2)
	v_lshl_add_u32 v5, v7, 23, 0x37800000
	v_lshlrev_b32_e32 v3, 21, v3
	s_delay_alu instid0(VALU_DEP_1) | instskip(NEXT) | instid1(VALU_DEP_1)
	v_or3_b32 v1, v1, v5, v3
	v_cvt_i32_f32_e32 v24, v1
.LBB135_3167:
	s_or_b32 exec_lo, exec_lo, s17
	s_mov_b32 s17, 0
	s_branch .LBB135_3173
.LBB135_3168:
	s_mov_b32 s17, -1
                                        ; implicit-def: $vgpr24
	s_branch .LBB135_3179
.LBB135_3169:
	s_and_not1_saveexec_b32 s18, s18
	s_cbranch_execz .LBB135_3154
.LBB135_3170:
	v_cmp_ne_u16_e32 vcc_lo, 0, v1
	s_and_not1_b32 s19, s19, exec_lo
	s_and_b32 s20, vcc_lo, exec_lo
	s_delay_alu instid0(SALU_CYCLE_1)
	s_or_b32 s19, s19, s20
	s_or_b32 exec_lo, exec_lo, s18
	v_mov_b32_e32 v24, 0
	s_and_saveexec_b32 s18, s19
	s_cbranch_execnz .LBB135_3155
	s_branch .LBB135_3156
.LBB135_3171:
	s_mov_b32 s17, -1
                                        ; implicit-def: $vgpr24
	s_branch .LBB135_3176
.LBB135_3172:
	s_mov_b32 s17, -1
                                        ; implicit-def: $vgpr24
.LBB135_3173:
	s_delay_alu instid0(SALU_CYCLE_1)
	s_and_b32 vcc_lo, exec_lo, s17
	s_cbranch_vccz .LBB135_3175
; %bb.3174:
	global_load_u8 v1, v[32:33], off
	s_wait_loadcnt 0x0
	v_lshlrev_b32_e32 v1, 24, v1
	s_delay_alu instid0(VALU_DEP_1) | instskip(NEXT) | instid1(VALU_DEP_1)
	v_and_b32_e32 v3, 0x7f000000, v1
	v_clz_i32_u32_e32 v5, v3
	v_add_nc_u32_e32 v9, 0x1000000, v3
	v_cmp_ne_u32_e32 vcc_lo, 0, v3
	s_delay_alu instid0(VALU_DEP_3) | instskip(NEXT) | instid1(VALU_DEP_1)
	v_min_u32_e32 v5, 32, v5
	v_sub_nc_u32_e64 v5, v5, 4 clamp
	s_delay_alu instid0(VALU_DEP_1) | instskip(NEXT) | instid1(VALU_DEP_1)
	v_dual_lshlrev_b32 v7, v5, v3 :: v_dual_lshlrev_b32 v5, 23, v5
	v_lshrrev_b32_e32 v7, 4, v7
	s_delay_alu instid0(VALU_DEP_1) | instskip(SKIP_1) | instid1(VALU_DEP_2)
	v_sub_nc_u32_e32 v5, v7, v5
	v_ashrrev_i32_e32 v7, 8, v9
	v_add_nc_u32_e32 v5, 0x3c000000, v5
	s_delay_alu instid0(VALU_DEP_1) | instskip(NEXT) | instid1(VALU_DEP_1)
	v_and_or_b32 v5, 0x7f800000, v7, v5
	v_cndmask_b32_e32 v3, 0, v5, vcc_lo
	s_delay_alu instid0(VALU_DEP_1) | instskip(NEXT) | instid1(VALU_DEP_1)
	v_and_or_b32 v1, 0x80000000, v1, v3
	v_cvt_i32_f32_e32 v24, v1
.LBB135_3175:
	s_mov_b32 s17, 0
.LBB135_3176:
	s_delay_alu instid0(SALU_CYCLE_1)
	s_and_not1_b32 vcc_lo, exec_lo, s17
	s_cbranch_vccnz .LBB135_3178
; %bb.3177:
	global_load_u8 v1, v[32:33], off
	s_wait_loadcnt 0x0
	v_lshlrev_b32_e32 v3, 25, v1
	v_lshlrev_b16 v1, 8, v1
	s_delay_alu instid0(VALU_DEP_1) | instskip(SKIP_1) | instid1(VALU_DEP_2)
	v_and_or_b32 v7, 0x7f00, v1, 0.5
	v_bfe_i32 v1, v1, 0, 16
	v_add_f32_e32 v7, -0.5, v7
	v_lshrrev_b32_e32 v5, 4, v3
	v_cmp_gt_u32_e32 vcc_lo, 0x8000000, v3
	s_delay_alu instid0(VALU_DEP_2) | instskip(NEXT) | instid1(VALU_DEP_1)
	v_or_b32_e32 v5, 0x70000000, v5
	v_mul_f32_e32 v5, 0x7800000, v5
	s_delay_alu instid0(VALU_DEP_1) | instskip(NEXT) | instid1(VALU_DEP_1)
	v_cndmask_b32_e32 v3, v5, v7, vcc_lo
	v_and_or_b32 v1, 0x80000000, v1, v3
	s_delay_alu instid0(VALU_DEP_1)
	v_cvt_i32_f32_e32 v24, v1
.LBB135_3178:
	s_mov_b32 s17, 0
	s_mov_b32 s18, -1
.LBB135_3179:
	s_and_not1_b32 vcc_lo, exec_lo, s17
	s_mov_b32 s17, 0
	s_cbranch_vccnz .LBB135_3190
; %bb.3180:
	s_cmp_gt_i32 s15, 14
	s_cbranch_scc0 .LBB135_3183
; %bb.3181:
	s_cmp_eq_u32 s15, 15
	s_cbranch_scc0 .LBB135_3186
; %bb.3182:
	global_load_u16 v1, v[32:33], off
	s_mov_b32 s16, 0
	s_mov_b32 s18, -1
	s_wait_loadcnt 0x0
	v_lshlrev_b32_e32 v1, 16, v1
	s_delay_alu instid0(VALU_DEP_1)
	v_cvt_i32_f32_e32 v24, v1
	s_branch .LBB135_3188
.LBB135_3183:
	s_mov_b32 s17, -1
	s_branch .LBB135_3187
.LBB135_3184:
	s_and_not1_saveexec_b32 s17, s17
	s_cbranch_execz .LBB135_3165
.LBB135_3185:
	v_cmp_ne_u16_e32 vcc_lo, 0, v1
	s_and_not1_b32 s18, s18, exec_lo
	s_and_b32 s19, vcc_lo, exec_lo
	s_delay_alu instid0(SALU_CYCLE_1)
	s_or_b32 s18, s18, s19
	s_or_b32 exec_lo, exec_lo, s17
	v_mov_b32_e32 v24, 0
	s_and_saveexec_b32 s17, s18
	s_cbranch_execnz .LBB135_3166
	s_branch .LBB135_3167
.LBB135_3186:
	s_mov_b32 s16, -1
.LBB135_3187:
                                        ; implicit-def: $vgpr24
.LBB135_3188:
	s_and_b32 vcc_lo, exec_lo, s17
	s_mov_b32 s17, 0
	s_cbranch_vccz .LBB135_3190
; %bb.3189:
	s_cmp_lg_u32 s15, 11
	s_mov_b32 s17, -1
	s_cselect_b32 s16, -1, 0
.LBB135_3190:
	s_delay_alu instid0(SALU_CYCLE_1)
	s_and_b32 vcc_lo, exec_lo, s16
	s_cbranch_vccnz .LBB135_3255
; %bb.3191:
	s_and_not1_b32 vcc_lo, exec_lo, s17
	s_cbranch_vccnz .LBB135_3193
.LBB135_3192:
	global_load_u8 v1, v[32:33], off
	s_mov_b32 s18, -1
	s_wait_loadcnt 0x0
	v_cmp_ne_u16_e32 vcc_lo, 0, v1
	v_cndmask_b32_e64 v24, 0, 1, vcc_lo
.LBB135_3193:
	s_mov_b32 s16, 0
.LBB135_3194:
	s_delay_alu instid0(SALU_CYCLE_1)
	s_and_b32 vcc_lo, exec_lo, s16
	s_cbranch_vccz .LBB135_3243
; %bb.3195:
	s_cmp_lt_i32 s15, 5
	s_cbranch_scc1 .LBB135_3200
; %bb.3196:
	s_cmp_lt_i32 s15, 8
	s_cbranch_scc1 .LBB135_3201
	;; [unrolled: 3-line block ×3, first 2 shown]
; %bb.3198:
	s_cmp_gt_i32 s15, 9
	s_cbranch_scc0 .LBB135_3203
; %bb.3199:
	s_wait_loadcnt 0x0
	global_load_b64 v[24:25], v[32:33], off
	s_mov_b32 s16, 0
	s_wait_loadcnt 0x0
	v_cvt_i32_f64_e32 v24, v[24:25]
	s_branch .LBB135_3204
.LBB135_3200:
	s_mov_b32 s16, -1
                                        ; implicit-def: $vgpr24
	s_branch .LBB135_3222
.LBB135_3201:
	s_mov_b32 s16, -1
                                        ; implicit-def: $vgpr24
	s_branch .LBB135_3210
.LBB135_3202:
	s_mov_b32 s16, -1
                                        ; implicit-def: $vgpr24
	s_branch .LBB135_3207
.LBB135_3203:
	s_mov_b32 s16, -1
                                        ; implicit-def: $vgpr24
.LBB135_3204:
	s_delay_alu instid0(SALU_CYCLE_1)
	s_and_not1_b32 vcc_lo, exec_lo, s16
	s_cbranch_vccnz .LBB135_3206
; %bb.3205:
	global_load_b32 v1, v[32:33], off
	s_wait_loadcnt 0x0
	v_cvt_i32_f32_e32 v24, v1
.LBB135_3206:
	s_mov_b32 s16, 0
.LBB135_3207:
	s_delay_alu instid0(SALU_CYCLE_1)
	s_and_not1_b32 vcc_lo, exec_lo, s16
	s_cbranch_vccnz .LBB135_3209
; %bb.3208:
	global_load_b32 v1, v[32:33], off
	s_wait_loadcnt 0x0
	v_cvt_i16_f16_e32 v24, v1
.LBB135_3209:
	s_mov_b32 s16, 0
.LBB135_3210:
	s_delay_alu instid0(SALU_CYCLE_1)
	s_and_not1_b32 vcc_lo, exec_lo, s16
	s_cbranch_vccnz .LBB135_3221
; %bb.3211:
	s_cmp_lt_i32 s15, 6
	s_cbranch_scc1 .LBB135_3214
; %bb.3212:
	s_cmp_gt_i32 s15, 6
	s_cbranch_scc0 .LBB135_3215
; %bb.3213:
	s_wait_loadcnt 0x0
	global_load_b64 v[24:25], v[32:33], off
	s_mov_b32 s16, 0
	s_wait_loadcnt 0x0
	v_cvt_i32_f64_e32 v24, v[24:25]
	s_branch .LBB135_3216
.LBB135_3214:
	s_mov_b32 s16, -1
                                        ; implicit-def: $vgpr24
	s_branch .LBB135_3219
.LBB135_3215:
	s_mov_b32 s16, -1
                                        ; implicit-def: $vgpr24
.LBB135_3216:
	s_delay_alu instid0(SALU_CYCLE_1)
	s_and_not1_b32 vcc_lo, exec_lo, s16
	s_cbranch_vccnz .LBB135_3218
; %bb.3217:
	global_load_b32 v1, v[32:33], off
	s_wait_loadcnt 0x0
	v_cvt_i32_f32_e32 v24, v1
.LBB135_3218:
	s_mov_b32 s16, 0
.LBB135_3219:
	s_delay_alu instid0(SALU_CYCLE_1)
	s_and_not1_b32 vcc_lo, exec_lo, s16
	s_cbranch_vccnz .LBB135_3221
; %bb.3220:
	global_load_u16 v1, v[32:33], off
	s_wait_loadcnt 0x0
	v_cvt_i16_f16_e32 v24, v1
.LBB135_3221:
	s_mov_b32 s16, 0
.LBB135_3222:
	s_delay_alu instid0(SALU_CYCLE_1)
	s_and_not1_b32 vcc_lo, exec_lo, s16
	s_cbranch_vccnz .LBB135_3242
; %bb.3223:
	s_cmp_lt_i32 s15, 2
	s_cbranch_scc1 .LBB135_3227
; %bb.3224:
	s_cmp_lt_i32 s15, 3
	s_cbranch_scc1 .LBB135_3228
; %bb.3225:
	s_cmp_gt_i32 s15, 3
	s_cbranch_scc0 .LBB135_3229
; %bb.3226:
	s_wait_loadcnt 0x0
	global_load_b64 v[24:25], v[32:33], off
	s_mov_b32 s16, 0
	s_branch .LBB135_3230
.LBB135_3227:
	s_mov_b32 s16, -1
                                        ; implicit-def: $vgpr24
	s_branch .LBB135_3236
.LBB135_3228:
	s_mov_b32 s16, -1
                                        ; implicit-def: $vgpr24
	s_branch .LBB135_3233
.LBB135_3229:
	s_mov_b32 s16, -1
                                        ; implicit-def: $vgpr24
.LBB135_3230:
	s_delay_alu instid0(SALU_CYCLE_1)
	s_and_not1_b32 vcc_lo, exec_lo, s16
	s_cbranch_vccnz .LBB135_3232
; %bb.3231:
	s_wait_loadcnt 0x0
	global_load_b32 v24, v[32:33], off
.LBB135_3232:
	s_mov_b32 s16, 0
.LBB135_3233:
	s_delay_alu instid0(SALU_CYCLE_1)
	s_and_not1_b32 vcc_lo, exec_lo, s16
	s_cbranch_vccnz .LBB135_3235
; %bb.3234:
	s_wait_loadcnt 0x0
	global_load_u16 v24, v[32:33], off
.LBB135_3235:
	s_mov_b32 s16, 0
.LBB135_3236:
	s_delay_alu instid0(SALU_CYCLE_1)
	s_and_not1_b32 vcc_lo, exec_lo, s16
	s_cbranch_vccnz .LBB135_3242
; %bb.3237:
	s_cmp_gt_i32 s15, 0
	s_mov_b32 s16, 0
	s_cbranch_scc0 .LBB135_3239
; %bb.3238:
	s_wait_loadcnt 0x0
	global_load_i8 v24, v[32:33], off
	s_branch .LBB135_3240
.LBB135_3239:
	s_mov_b32 s16, -1
                                        ; implicit-def: $vgpr24
.LBB135_3240:
	s_delay_alu instid0(SALU_CYCLE_1)
	s_and_not1_b32 vcc_lo, exec_lo, s16
	s_cbranch_vccnz .LBB135_3242
; %bb.3241:
	s_wait_loadcnt 0x0
	global_load_u8 v24, v[32:33], off
.LBB135_3242:
	s_mov_b32 s18, -1
.LBB135_3243:
	s_delay_alu instid0(SALU_CYCLE_1)
	s_and_not1_b32 vcc_lo, exec_lo, s18
	s_cbranch_vccnz .LBB135_4058
; %bb.3244:
	v_mov_b32_e32 v21, 0
	s_cmp_lt_i32 s13, 11
	s_wait_xcnt 0x0
	s_delay_alu instid0(VALU_DEP_1)
	v_add_nc_u64_e32 v[32:33], s[6:7], v[20:21]
	s_cbranch_scc1 .LBB135_3251
; %bb.3245:
	s_cmp_gt_i32 s13, 25
	s_mov_b32 s7, 0
	s_cbranch_scc0 .LBB135_3252
; %bb.3246:
	s_cmp_gt_i32 s13, 28
	s_cbranch_scc0 .LBB135_3253
; %bb.3247:
	s_cmp_gt_i32 s13, 43
	;; [unrolled: 3-line block ×3, first 2 shown]
	s_cbranch_scc0 .LBB135_3256
; %bb.3249:
	s_cmp_eq_u32 s13, 46
	s_mov_b32 s17, 0
	s_cbranch_scc0 .LBB135_3257
; %bb.3250:
	global_load_b32 v1, v[32:33], off
	s_mov_b32 s6, 0
	s_mov_b32 s16, -1
	s_wait_loadcnt 0x0
	v_lshlrev_b32_e32 v1, 16, v1
	s_delay_alu instid0(VALU_DEP_1)
	v_cvt_i32_f32_e32 v20, v1
	s_branch .LBB135_3259
.LBB135_3251:
	s_mov_b32 s6, -1
	s_mov_b32 s16, 0
                                        ; implicit-def: $vgpr20
	s_branch .LBB135_3321
.LBB135_3252:
	s_mov_b32 s17, -1
	s_mov_b32 s16, 0
	s_mov_b32 s6, 0
                                        ; implicit-def: $vgpr20
	s_branch .LBB135_3286
.LBB135_3253:
	s_mov_b32 s17, -1
	s_mov_b32 s16, 0
	s_mov_b32 s6, 0
                                        ; implicit-def: $vgpr20
	s_branch .LBB135_3269
.LBB135_3254:
	s_mov_b32 s17, -1
	s_mov_b32 s16, 0
	s_mov_b32 s6, 0
                                        ; implicit-def: $vgpr20
	s_branch .LBB135_3264
.LBB135_3255:
	s_or_b32 s12, s12, exec_lo
	s_trap 2
	s_cbranch_execz .LBB135_3192
	s_branch .LBB135_3193
.LBB135_3256:
	s_mov_b32 s17, -1
	s_mov_b32 s16, 0
	s_mov_b32 s6, 0
	s_branch .LBB135_3258
.LBB135_3257:
	s_mov_b32 s6, -1
	s_mov_b32 s16, 0
.LBB135_3258:
                                        ; implicit-def: $vgpr20
.LBB135_3259:
	s_and_b32 vcc_lo, exec_lo, s17
	s_cbranch_vccz .LBB135_3263
; %bb.3260:
	s_cmp_eq_u32 s13, 44
	s_cbranch_scc0 .LBB135_3262
; %bb.3261:
	global_load_u8 v1, v[32:33], off
	s_mov_b32 s6, 0
	s_mov_b32 s16, -1
	s_wait_loadcnt 0x0
	v_lshlrev_b32_e32 v3, 23, v1
	v_cmp_ne_u32_e32 vcc_lo, 0, v1
	s_delay_alu instid0(VALU_DEP_2) | instskip(NEXT) | instid1(VALU_DEP_1)
	v_cvt_i32_f32_e32 v3, v3
	v_cndmask_b32_e32 v20, 0, v3, vcc_lo
	s_branch .LBB135_3263
.LBB135_3262:
	s_mov_b32 s6, -1
                                        ; implicit-def: $vgpr20
.LBB135_3263:
	s_mov_b32 s17, 0
.LBB135_3264:
	s_delay_alu instid0(SALU_CYCLE_1)
	s_and_b32 vcc_lo, exec_lo, s17
	s_cbranch_vccz .LBB135_3268
; %bb.3265:
	s_cmp_eq_u32 s13, 29
	s_cbranch_scc0 .LBB135_3267
; %bb.3266:
	global_load_b64 v[20:21], v[32:33], off
	s_mov_b32 s6, 0
	s_mov_b32 s16, -1
	s_branch .LBB135_3268
.LBB135_3267:
	s_mov_b32 s6, -1
                                        ; implicit-def: $vgpr20
.LBB135_3268:
	s_mov_b32 s17, 0
.LBB135_3269:
	s_delay_alu instid0(SALU_CYCLE_1)
	s_and_b32 vcc_lo, exec_lo, s17
	s_cbranch_vccz .LBB135_3285
; %bb.3270:
	s_cmp_lt_i32 s13, 27
	s_cbranch_scc1 .LBB135_3273
; %bb.3271:
	s_cmp_gt_i32 s13, 27
	s_cbranch_scc0 .LBB135_3274
; %bb.3272:
	s_wait_loadcnt 0x0
	global_load_b32 v20, v[32:33], off
	s_mov_b32 s16, 0
	s_branch .LBB135_3275
.LBB135_3273:
	s_mov_b32 s16, -1
                                        ; implicit-def: $vgpr20
	s_branch .LBB135_3278
.LBB135_3274:
	s_mov_b32 s16, -1
                                        ; implicit-def: $vgpr20
.LBB135_3275:
	s_delay_alu instid0(SALU_CYCLE_1)
	s_and_not1_b32 vcc_lo, exec_lo, s16
	s_cbranch_vccnz .LBB135_3277
; %bb.3276:
	s_wait_loadcnt 0x0
	global_load_u16 v20, v[32:33], off
.LBB135_3277:
	s_mov_b32 s16, 0
.LBB135_3278:
	s_delay_alu instid0(SALU_CYCLE_1)
	s_and_not1_b32 vcc_lo, exec_lo, s16
	s_cbranch_vccnz .LBB135_3284
; %bb.3279:
	global_load_u8 v1, v[32:33], off
	s_mov_b32 s17, 0
	s_mov_b32 s16, exec_lo
	s_wait_loadcnt 0x0
	v_cmpx_lt_i16_e32 0x7f, v1
	s_xor_b32 s16, exec_lo, s16
	s_cbranch_execz .LBB135_3296
; %bb.3280:
	v_cmp_ne_u16_e32 vcc_lo, 0x80, v1
	s_and_b32 s17, vcc_lo, exec_lo
	s_and_not1_saveexec_b32 s16, s16
	s_cbranch_execnz .LBB135_3297
.LBB135_3281:
	s_or_b32 exec_lo, exec_lo, s16
	v_mov_b32_e32 v20, 0
	s_and_saveexec_b32 s16, s17
	s_cbranch_execz .LBB135_3283
.LBB135_3282:
	v_and_b32_e32 v3, 0xffff, v1
	s_delay_alu instid0(VALU_DEP_1) | instskip(SKIP_1) | instid1(VALU_DEP_2)
	v_dual_lshlrev_b32 v1, 24, v1 :: v_dual_bitop2_b32 v5, 7, v3 bitop3:0x40
	v_bfe_u32 v11, v3, 3, 4
	v_and_b32_e32 v1, 0x80000000, v1
	s_delay_alu instid0(VALU_DEP_3) | instskip(NEXT) | instid1(VALU_DEP_3)
	v_clz_i32_u32_e32 v7, v5
	v_cmp_eq_u32_e32 vcc_lo, 0, v11
	s_delay_alu instid0(VALU_DEP_2) | instskip(NEXT) | instid1(VALU_DEP_1)
	v_min_u32_e32 v7, 32, v7
	v_subrev_nc_u32_e32 v9, 28, v7
	v_sub_nc_u32_e32 v7, 29, v7
	s_delay_alu instid0(VALU_DEP_2) | instskip(NEXT) | instid1(VALU_DEP_2)
	v_lshlrev_b32_e32 v3, v9, v3
	v_cndmask_b32_e32 v7, v11, v7, vcc_lo
	s_delay_alu instid0(VALU_DEP_2) | instskip(NEXT) | instid1(VALU_DEP_1)
	v_and_b32_e32 v3, 7, v3
	v_cndmask_b32_e32 v3, v5, v3, vcc_lo
	s_delay_alu instid0(VALU_DEP_3) | instskip(NEXT) | instid1(VALU_DEP_2)
	v_lshl_add_u32 v5, v7, 23, 0x3b800000
	v_lshlrev_b32_e32 v3, 20, v3
	s_delay_alu instid0(VALU_DEP_1) | instskip(NEXT) | instid1(VALU_DEP_1)
	v_or3_b32 v1, v1, v5, v3
	v_cvt_i32_f32_e32 v20, v1
.LBB135_3283:
	s_or_b32 exec_lo, exec_lo, s16
.LBB135_3284:
	s_mov_b32 s16, -1
.LBB135_3285:
	s_mov_b32 s17, 0
.LBB135_3286:
	s_delay_alu instid0(SALU_CYCLE_1)
	s_and_b32 vcc_lo, exec_lo, s17
	s_cbranch_vccz .LBB135_3317
; %bb.3287:
	s_cmp_gt_i32 s13, 22
	s_cbranch_scc0 .LBB135_3295
; %bb.3288:
	s_cmp_lt_i32 s13, 24
	s_cbranch_scc1 .LBB135_3298
; %bb.3289:
	s_cmp_gt_i32 s13, 24
	s_cbranch_scc0 .LBB135_3299
; %bb.3290:
	global_load_u8 v1, v[32:33], off
	s_mov_b32 s16, 0
	s_mov_b32 s7, exec_lo
	s_wait_loadcnt 0x0
	v_cmpx_lt_i16_e32 0x7f, v1
	s_xor_b32 s7, exec_lo, s7
	s_cbranch_execz .LBB135_3311
; %bb.3291:
	v_cmp_ne_u16_e32 vcc_lo, 0x80, v1
	s_and_b32 s16, vcc_lo, exec_lo
	s_and_not1_saveexec_b32 s7, s7
	s_cbranch_execnz .LBB135_3312
.LBB135_3292:
	s_or_b32 exec_lo, exec_lo, s7
	v_mov_b32_e32 v20, 0
	s_and_saveexec_b32 s7, s16
	s_cbranch_execz .LBB135_3294
.LBB135_3293:
	v_and_b32_e32 v3, 0xffff, v1
	s_delay_alu instid0(VALU_DEP_1) | instskip(SKIP_1) | instid1(VALU_DEP_2)
	v_dual_lshlrev_b32 v1, 24, v1 :: v_dual_bitop2_b32 v5, 3, v3 bitop3:0x40
	v_bfe_u32 v11, v3, 2, 5
	v_and_b32_e32 v1, 0x80000000, v1
	s_delay_alu instid0(VALU_DEP_3) | instskip(NEXT) | instid1(VALU_DEP_3)
	v_clz_i32_u32_e32 v7, v5
	v_cmp_eq_u32_e32 vcc_lo, 0, v11
	s_delay_alu instid0(VALU_DEP_2) | instskip(NEXT) | instid1(VALU_DEP_1)
	v_min_u32_e32 v7, 32, v7
	v_subrev_nc_u32_e32 v9, 29, v7
	v_sub_nc_u32_e32 v7, 30, v7
	s_delay_alu instid0(VALU_DEP_2) | instskip(NEXT) | instid1(VALU_DEP_2)
	v_lshlrev_b32_e32 v3, v9, v3
	v_cndmask_b32_e32 v7, v11, v7, vcc_lo
	s_delay_alu instid0(VALU_DEP_2) | instskip(NEXT) | instid1(VALU_DEP_1)
	v_and_b32_e32 v3, 3, v3
	v_cndmask_b32_e32 v3, v5, v3, vcc_lo
	s_delay_alu instid0(VALU_DEP_3) | instskip(NEXT) | instid1(VALU_DEP_2)
	v_lshl_add_u32 v5, v7, 23, 0x37800000
	v_lshlrev_b32_e32 v3, 21, v3
	s_delay_alu instid0(VALU_DEP_1) | instskip(NEXT) | instid1(VALU_DEP_1)
	v_or3_b32 v1, v1, v5, v3
	v_cvt_i32_f32_e32 v20, v1
.LBB135_3294:
	s_or_b32 exec_lo, exec_lo, s7
	s_mov_b32 s7, 0
	s_branch .LBB135_3300
.LBB135_3295:
	s_mov_b32 s7, -1
                                        ; implicit-def: $vgpr20
	s_branch .LBB135_3306
.LBB135_3296:
	s_and_not1_saveexec_b32 s16, s16
	s_cbranch_execz .LBB135_3281
.LBB135_3297:
	v_cmp_ne_u16_e32 vcc_lo, 0, v1
	s_and_not1_b32 s17, s17, exec_lo
	s_and_b32 s18, vcc_lo, exec_lo
	s_delay_alu instid0(SALU_CYCLE_1)
	s_or_b32 s17, s17, s18
	s_or_b32 exec_lo, exec_lo, s16
	v_mov_b32_e32 v20, 0
	s_and_saveexec_b32 s16, s17
	s_cbranch_execnz .LBB135_3282
	s_branch .LBB135_3283
.LBB135_3298:
	s_mov_b32 s7, -1
                                        ; implicit-def: $vgpr20
	s_branch .LBB135_3303
.LBB135_3299:
	s_mov_b32 s7, -1
                                        ; implicit-def: $vgpr20
.LBB135_3300:
	s_delay_alu instid0(SALU_CYCLE_1)
	s_and_b32 vcc_lo, exec_lo, s7
	s_cbranch_vccz .LBB135_3302
; %bb.3301:
	global_load_u8 v1, v[32:33], off
	s_wait_loadcnt 0x0
	v_lshlrev_b32_e32 v1, 24, v1
	s_delay_alu instid0(VALU_DEP_1) | instskip(NEXT) | instid1(VALU_DEP_1)
	v_and_b32_e32 v3, 0x7f000000, v1
	v_clz_i32_u32_e32 v5, v3
	v_add_nc_u32_e32 v9, 0x1000000, v3
	v_cmp_ne_u32_e32 vcc_lo, 0, v3
	s_delay_alu instid0(VALU_DEP_3) | instskip(NEXT) | instid1(VALU_DEP_1)
	v_min_u32_e32 v5, 32, v5
	v_sub_nc_u32_e64 v5, v5, 4 clamp
	s_delay_alu instid0(VALU_DEP_1) | instskip(NEXT) | instid1(VALU_DEP_1)
	v_dual_lshlrev_b32 v7, v5, v3 :: v_dual_lshlrev_b32 v5, 23, v5
	v_lshrrev_b32_e32 v7, 4, v7
	s_delay_alu instid0(VALU_DEP_1) | instskip(SKIP_1) | instid1(VALU_DEP_2)
	v_sub_nc_u32_e32 v5, v7, v5
	v_ashrrev_i32_e32 v7, 8, v9
	v_add_nc_u32_e32 v5, 0x3c000000, v5
	s_delay_alu instid0(VALU_DEP_1) | instskip(NEXT) | instid1(VALU_DEP_1)
	v_and_or_b32 v5, 0x7f800000, v7, v5
	v_cndmask_b32_e32 v3, 0, v5, vcc_lo
	s_delay_alu instid0(VALU_DEP_1) | instskip(NEXT) | instid1(VALU_DEP_1)
	v_and_or_b32 v1, 0x80000000, v1, v3
	v_cvt_i32_f32_e32 v20, v1
.LBB135_3302:
	s_mov_b32 s7, 0
.LBB135_3303:
	s_delay_alu instid0(SALU_CYCLE_1)
	s_and_not1_b32 vcc_lo, exec_lo, s7
	s_cbranch_vccnz .LBB135_3305
; %bb.3304:
	global_load_u8 v1, v[32:33], off
	s_wait_loadcnt 0x0
	v_lshlrev_b32_e32 v3, 25, v1
	v_lshlrev_b16 v1, 8, v1
	s_delay_alu instid0(VALU_DEP_1) | instskip(SKIP_1) | instid1(VALU_DEP_2)
	v_and_or_b32 v7, 0x7f00, v1, 0.5
	v_bfe_i32 v1, v1, 0, 16
	v_add_f32_e32 v7, -0.5, v7
	v_lshrrev_b32_e32 v5, 4, v3
	v_cmp_gt_u32_e32 vcc_lo, 0x8000000, v3
	s_delay_alu instid0(VALU_DEP_2) | instskip(NEXT) | instid1(VALU_DEP_1)
	v_or_b32_e32 v5, 0x70000000, v5
	v_mul_f32_e32 v5, 0x7800000, v5
	s_delay_alu instid0(VALU_DEP_1) | instskip(NEXT) | instid1(VALU_DEP_1)
	v_cndmask_b32_e32 v3, v5, v7, vcc_lo
	v_and_or_b32 v1, 0x80000000, v1, v3
	s_delay_alu instid0(VALU_DEP_1)
	v_cvt_i32_f32_e32 v20, v1
.LBB135_3305:
	s_mov_b32 s7, 0
	s_mov_b32 s16, -1
.LBB135_3306:
	s_and_not1_b32 vcc_lo, exec_lo, s7
	s_mov_b32 s7, 0
	s_cbranch_vccnz .LBB135_3317
; %bb.3307:
	s_cmp_gt_i32 s13, 14
	s_cbranch_scc0 .LBB135_3310
; %bb.3308:
	s_cmp_eq_u32 s13, 15
	s_cbranch_scc0 .LBB135_3313
; %bb.3309:
	global_load_u16 v1, v[32:33], off
	s_mov_b32 s6, 0
	s_mov_b32 s16, -1
	s_wait_loadcnt 0x0
	v_lshlrev_b32_e32 v1, 16, v1
	s_delay_alu instid0(VALU_DEP_1)
	v_cvt_i32_f32_e32 v20, v1
	s_branch .LBB135_3315
.LBB135_3310:
	s_mov_b32 s7, -1
	s_branch .LBB135_3314
.LBB135_3311:
	s_and_not1_saveexec_b32 s7, s7
	s_cbranch_execz .LBB135_3292
.LBB135_3312:
	v_cmp_ne_u16_e32 vcc_lo, 0, v1
	s_and_not1_b32 s16, s16, exec_lo
	s_and_b32 s17, vcc_lo, exec_lo
	s_delay_alu instid0(SALU_CYCLE_1)
	s_or_b32 s16, s16, s17
	s_or_b32 exec_lo, exec_lo, s7
	v_mov_b32_e32 v20, 0
	s_and_saveexec_b32 s7, s16
	s_cbranch_execnz .LBB135_3293
	s_branch .LBB135_3294
.LBB135_3313:
	s_mov_b32 s6, -1
.LBB135_3314:
                                        ; implicit-def: $vgpr20
.LBB135_3315:
	s_and_b32 vcc_lo, exec_lo, s7
	s_mov_b32 s7, 0
	s_cbranch_vccz .LBB135_3317
; %bb.3316:
	s_cmp_lg_u32 s13, 11
	s_mov_b32 s7, -1
	s_cselect_b32 s6, -1, 0
.LBB135_3317:
	s_delay_alu instid0(SALU_CYCLE_1)
	s_and_b32 vcc_lo, exec_lo, s6
	s_cbranch_vccnz .LBB135_3382
; %bb.3318:
	s_and_not1_b32 vcc_lo, exec_lo, s7
	s_cbranch_vccnz .LBB135_3320
.LBB135_3319:
	global_load_u8 v1, v[32:33], off
	s_mov_b32 s16, -1
	s_wait_loadcnt 0x0
	v_cmp_ne_u16_e32 vcc_lo, 0, v1
	v_cndmask_b32_e64 v20, 0, 1, vcc_lo
.LBB135_3320:
	s_mov_b32 s6, 0
.LBB135_3321:
	s_delay_alu instid0(SALU_CYCLE_1)
	s_and_b32 vcc_lo, exec_lo, s6
	s_cbranch_vccz .LBB135_3370
; %bb.3322:
	s_cmp_lt_i32 s13, 5
	s_cbranch_scc1 .LBB135_3327
; %bb.3323:
	s_cmp_lt_i32 s13, 8
	s_cbranch_scc1 .LBB135_3328
	;; [unrolled: 3-line block ×3, first 2 shown]
; %bb.3325:
	s_cmp_gt_i32 s13, 9
	s_cbranch_scc0 .LBB135_3330
; %bb.3326:
	s_wait_loadcnt 0x0
	global_load_b64 v[20:21], v[32:33], off
	s_mov_b32 s6, 0
	s_wait_loadcnt 0x0
	v_cvt_i32_f64_e32 v20, v[20:21]
	s_branch .LBB135_3331
.LBB135_3327:
	s_mov_b32 s6, -1
                                        ; implicit-def: $vgpr20
	s_branch .LBB135_3349
.LBB135_3328:
	s_mov_b32 s6, -1
                                        ; implicit-def: $vgpr20
	s_branch .LBB135_3337
.LBB135_3329:
	s_mov_b32 s6, -1
                                        ; implicit-def: $vgpr20
	s_branch .LBB135_3334
.LBB135_3330:
	s_mov_b32 s6, -1
                                        ; implicit-def: $vgpr20
.LBB135_3331:
	s_delay_alu instid0(SALU_CYCLE_1)
	s_and_not1_b32 vcc_lo, exec_lo, s6
	s_cbranch_vccnz .LBB135_3333
; %bb.3332:
	global_load_b32 v1, v[32:33], off
	s_wait_loadcnt 0x0
	v_cvt_i32_f32_e32 v20, v1
.LBB135_3333:
	s_mov_b32 s6, 0
.LBB135_3334:
	s_delay_alu instid0(SALU_CYCLE_1)
	s_and_not1_b32 vcc_lo, exec_lo, s6
	s_cbranch_vccnz .LBB135_3336
; %bb.3335:
	global_load_b32 v1, v[32:33], off
	s_wait_loadcnt 0x0
	v_cvt_i16_f16_e32 v20, v1
.LBB135_3336:
	s_mov_b32 s6, 0
.LBB135_3337:
	s_delay_alu instid0(SALU_CYCLE_1)
	s_and_not1_b32 vcc_lo, exec_lo, s6
	s_cbranch_vccnz .LBB135_3348
; %bb.3338:
	s_cmp_lt_i32 s13, 6
	s_cbranch_scc1 .LBB135_3341
; %bb.3339:
	s_cmp_gt_i32 s13, 6
	s_cbranch_scc0 .LBB135_3342
; %bb.3340:
	s_wait_loadcnt 0x0
	global_load_b64 v[20:21], v[32:33], off
	s_mov_b32 s6, 0
	s_wait_loadcnt 0x0
	v_cvt_i32_f64_e32 v20, v[20:21]
	s_branch .LBB135_3343
.LBB135_3341:
	s_mov_b32 s6, -1
                                        ; implicit-def: $vgpr20
	s_branch .LBB135_3346
.LBB135_3342:
	s_mov_b32 s6, -1
                                        ; implicit-def: $vgpr20
.LBB135_3343:
	s_delay_alu instid0(SALU_CYCLE_1)
	s_and_not1_b32 vcc_lo, exec_lo, s6
	s_cbranch_vccnz .LBB135_3345
; %bb.3344:
	global_load_b32 v1, v[32:33], off
	s_wait_loadcnt 0x0
	v_cvt_i32_f32_e32 v20, v1
.LBB135_3345:
	s_mov_b32 s6, 0
.LBB135_3346:
	s_delay_alu instid0(SALU_CYCLE_1)
	s_and_not1_b32 vcc_lo, exec_lo, s6
	s_cbranch_vccnz .LBB135_3348
; %bb.3347:
	global_load_u16 v1, v[32:33], off
	s_wait_loadcnt 0x0
	v_cvt_i16_f16_e32 v20, v1
.LBB135_3348:
	s_mov_b32 s6, 0
.LBB135_3349:
	s_delay_alu instid0(SALU_CYCLE_1)
	s_and_not1_b32 vcc_lo, exec_lo, s6
	s_cbranch_vccnz .LBB135_3369
; %bb.3350:
	s_cmp_lt_i32 s13, 2
	s_cbranch_scc1 .LBB135_3354
; %bb.3351:
	s_cmp_lt_i32 s13, 3
	s_cbranch_scc1 .LBB135_3355
; %bb.3352:
	s_cmp_gt_i32 s13, 3
	s_cbranch_scc0 .LBB135_3356
; %bb.3353:
	s_wait_loadcnt 0x0
	global_load_b64 v[20:21], v[32:33], off
	s_mov_b32 s6, 0
	s_branch .LBB135_3357
.LBB135_3354:
	s_mov_b32 s6, -1
                                        ; implicit-def: $vgpr20
	s_branch .LBB135_3363
.LBB135_3355:
	s_mov_b32 s6, -1
                                        ; implicit-def: $vgpr20
	s_branch .LBB135_3360
.LBB135_3356:
	s_mov_b32 s6, -1
                                        ; implicit-def: $vgpr20
.LBB135_3357:
	s_delay_alu instid0(SALU_CYCLE_1)
	s_and_not1_b32 vcc_lo, exec_lo, s6
	s_cbranch_vccnz .LBB135_3359
; %bb.3358:
	s_wait_loadcnt 0x0
	global_load_b32 v20, v[32:33], off
.LBB135_3359:
	s_mov_b32 s6, 0
.LBB135_3360:
	s_delay_alu instid0(SALU_CYCLE_1)
	s_and_not1_b32 vcc_lo, exec_lo, s6
	s_cbranch_vccnz .LBB135_3362
; %bb.3361:
	s_wait_loadcnt 0x0
	global_load_u16 v20, v[32:33], off
.LBB135_3362:
	s_mov_b32 s6, 0
.LBB135_3363:
	s_delay_alu instid0(SALU_CYCLE_1)
	s_and_not1_b32 vcc_lo, exec_lo, s6
	s_cbranch_vccnz .LBB135_3369
; %bb.3364:
	s_cmp_gt_i32 s13, 0
	s_mov_b32 s6, 0
	s_cbranch_scc0 .LBB135_3366
; %bb.3365:
	s_wait_loadcnt 0x0
	global_load_i8 v20, v[32:33], off
	s_branch .LBB135_3367
.LBB135_3366:
	s_mov_b32 s6, -1
                                        ; implicit-def: $vgpr20
.LBB135_3367:
	s_delay_alu instid0(SALU_CYCLE_1)
	s_and_not1_b32 vcc_lo, exec_lo, s6
	s_cbranch_vccnz .LBB135_3369
; %bb.3368:
	s_wait_loadcnt 0x0
	global_load_u8 v20, v[32:33], off
.LBB135_3369:
	s_mov_b32 s16, -1
.LBB135_3370:
	s_delay_alu instid0(SALU_CYCLE_1)
	s_and_not1_b32 vcc_lo, exec_lo, s16
	s_cbranch_vccnz .LBB135_4058
; %bb.3371:
	v_mov_b32_e32 v15, 0
	s_cmp_lt_i32 s14, 11
	s_wait_xcnt 0x0
	s_delay_alu instid0(VALU_DEP_1)
	v_add_nc_u64_e32 v[32:33], s[0:1], v[14:15]
	s_cbranch_scc1 .LBB135_3378
; %bb.3372:
	s_cmp_gt_i32 s14, 25
	s_mov_b32 s1, 0
	s_cbranch_scc0 .LBB135_3379
; %bb.3373:
	s_cmp_gt_i32 s14, 28
	s_cbranch_scc0 .LBB135_3380
; %bb.3374:
	s_cmp_gt_i32 s14, 43
	;; [unrolled: 3-line block ×3, first 2 shown]
	s_cbranch_scc0 .LBB135_3383
; %bb.3376:
	s_cmp_eq_u32 s14, 46
	s_mov_b32 s7, 0
	s_cbranch_scc0 .LBB135_3384
; %bb.3377:
	global_load_b32 v1, v[32:33], off
	s_mov_b32 s0, 0
	s_mov_b32 s6, -1
	s_wait_loadcnt 0x0
	v_lshlrev_b32_e32 v1, 16, v1
	s_delay_alu instid0(VALU_DEP_1)
	v_cvt_i32_f32_e32 v14, v1
	s_branch .LBB135_3386
.LBB135_3378:
	s_mov_b32 s0, -1
	s_mov_b32 s6, 0
                                        ; implicit-def: $vgpr14
	s_branch .LBB135_3448
.LBB135_3379:
	s_mov_b32 s7, -1
	s_mov_b32 s6, 0
	s_mov_b32 s0, 0
                                        ; implicit-def: $vgpr14
	s_branch .LBB135_3413
.LBB135_3380:
	s_mov_b32 s7, -1
	s_mov_b32 s6, 0
	s_mov_b32 s0, 0
                                        ; implicit-def: $vgpr14
	s_branch .LBB135_3396
.LBB135_3381:
	s_mov_b32 s7, -1
	s_mov_b32 s6, 0
	s_mov_b32 s0, 0
                                        ; implicit-def: $vgpr14
	s_branch .LBB135_3391
.LBB135_3382:
	s_or_b32 s12, s12, exec_lo
	s_trap 2
	s_cbranch_execz .LBB135_3319
	s_branch .LBB135_3320
.LBB135_3383:
	s_mov_b32 s7, -1
	s_mov_b32 s6, 0
	s_mov_b32 s0, 0
	s_branch .LBB135_3385
.LBB135_3384:
	s_mov_b32 s0, -1
	s_mov_b32 s6, 0
.LBB135_3385:
                                        ; implicit-def: $vgpr14
.LBB135_3386:
	s_and_b32 vcc_lo, exec_lo, s7
	s_cbranch_vccz .LBB135_3390
; %bb.3387:
	s_cmp_eq_u32 s14, 44
	s_cbranch_scc0 .LBB135_3389
; %bb.3388:
	global_load_u8 v1, v[32:33], off
	s_mov_b32 s0, 0
	s_mov_b32 s6, -1
	s_wait_loadcnt 0x0
	v_lshlrev_b32_e32 v3, 23, v1
	v_cmp_ne_u32_e32 vcc_lo, 0, v1
	s_delay_alu instid0(VALU_DEP_2) | instskip(NEXT) | instid1(VALU_DEP_1)
	v_cvt_i32_f32_e32 v3, v3
	v_cndmask_b32_e32 v14, 0, v3, vcc_lo
	s_branch .LBB135_3390
.LBB135_3389:
	s_mov_b32 s0, -1
                                        ; implicit-def: $vgpr14
.LBB135_3390:
	s_mov_b32 s7, 0
.LBB135_3391:
	s_delay_alu instid0(SALU_CYCLE_1)
	s_and_b32 vcc_lo, exec_lo, s7
	s_cbranch_vccz .LBB135_3395
; %bb.3392:
	s_cmp_eq_u32 s14, 29
	s_cbranch_scc0 .LBB135_3394
; %bb.3393:
	global_load_b64 v[14:15], v[32:33], off
	s_mov_b32 s0, 0
	s_mov_b32 s6, -1
	s_branch .LBB135_3395
.LBB135_3394:
	s_mov_b32 s0, -1
                                        ; implicit-def: $vgpr14
.LBB135_3395:
	s_mov_b32 s7, 0
.LBB135_3396:
	s_delay_alu instid0(SALU_CYCLE_1)
	s_and_b32 vcc_lo, exec_lo, s7
	s_cbranch_vccz .LBB135_3412
; %bb.3397:
	s_cmp_lt_i32 s14, 27
	s_cbranch_scc1 .LBB135_3400
; %bb.3398:
	s_cmp_gt_i32 s14, 27
	s_cbranch_scc0 .LBB135_3401
; %bb.3399:
	s_wait_loadcnt 0x0
	global_load_b32 v14, v[32:33], off
	s_mov_b32 s6, 0
	s_branch .LBB135_3402
.LBB135_3400:
	s_mov_b32 s6, -1
                                        ; implicit-def: $vgpr14
	s_branch .LBB135_3405
.LBB135_3401:
	s_mov_b32 s6, -1
                                        ; implicit-def: $vgpr14
.LBB135_3402:
	s_delay_alu instid0(SALU_CYCLE_1)
	s_and_not1_b32 vcc_lo, exec_lo, s6
	s_cbranch_vccnz .LBB135_3404
; %bb.3403:
	s_wait_loadcnt 0x0
	global_load_u16 v14, v[32:33], off
.LBB135_3404:
	s_mov_b32 s6, 0
.LBB135_3405:
	s_delay_alu instid0(SALU_CYCLE_1)
	s_and_not1_b32 vcc_lo, exec_lo, s6
	s_cbranch_vccnz .LBB135_3411
; %bb.3406:
	global_load_u8 v1, v[32:33], off
	s_mov_b32 s7, 0
	s_mov_b32 s6, exec_lo
	s_wait_loadcnt 0x0
	v_cmpx_lt_i16_e32 0x7f, v1
	s_xor_b32 s6, exec_lo, s6
	s_cbranch_execz .LBB135_3423
; %bb.3407:
	v_cmp_ne_u16_e32 vcc_lo, 0x80, v1
	s_and_b32 s7, vcc_lo, exec_lo
	s_and_not1_saveexec_b32 s6, s6
	s_cbranch_execnz .LBB135_3424
.LBB135_3408:
	s_or_b32 exec_lo, exec_lo, s6
	v_mov_b32_e32 v14, 0
	s_and_saveexec_b32 s6, s7
	s_cbranch_execz .LBB135_3410
.LBB135_3409:
	v_and_b32_e32 v3, 0xffff, v1
	s_delay_alu instid0(VALU_DEP_1) | instskip(SKIP_1) | instid1(VALU_DEP_2)
	v_dual_lshlrev_b32 v1, 24, v1 :: v_dual_bitop2_b32 v5, 7, v3 bitop3:0x40
	v_bfe_u32 v11, v3, 3, 4
	v_and_b32_e32 v1, 0x80000000, v1
	s_delay_alu instid0(VALU_DEP_3) | instskip(NEXT) | instid1(VALU_DEP_3)
	v_clz_i32_u32_e32 v7, v5
	v_cmp_eq_u32_e32 vcc_lo, 0, v11
	s_delay_alu instid0(VALU_DEP_2) | instskip(NEXT) | instid1(VALU_DEP_1)
	v_min_u32_e32 v7, 32, v7
	v_subrev_nc_u32_e32 v9, 28, v7
	v_sub_nc_u32_e32 v7, 29, v7
	s_delay_alu instid0(VALU_DEP_2) | instskip(NEXT) | instid1(VALU_DEP_2)
	v_lshlrev_b32_e32 v3, v9, v3
	v_cndmask_b32_e32 v7, v11, v7, vcc_lo
	s_delay_alu instid0(VALU_DEP_2) | instskip(NEXT) | instid1(VALU_DEP_1)
	v_and_b32_e32 v3, 7, v3
	v_cndmask_b32_e32 v3, v5, v3, vcc_lo
	s_delay_alu instid0(VALU_DEP_3) | instskip(NEXT) | instid1(VALU_DEP_2)
	v_lshl_add_u32 v5, v7, 23, 0x3b800000
	v_lshlrev_b32_e32 v3, 20, v3
	s_delay_alu instid0(VALU_DEP_1) | instskip(NEXT) | instid1(VALU_DEP_1)
	v_or3_b32 v1, v1, v5, v3
	v_cvt_i32_f32_e32 v14, v1
.LBB135_3410:
	s_or_b32 exec_lo, exec_lo, s6
.LBB135_3411:
	s_mov_b32 s6, -1
.LBB135_3412:
	s_mov_b32 s7, 0
.LBB135_3413:
	s_delay_alu instid0(SALU_CYCLE_1)
	s_and_b32 vcc_lo, exec_lo, s7
	s_cbranch_vccz .LBB135_3444
; %bb.3414:
	s_cmp_gt_i32 s14, 22
	s_cbranch_scc0 .LBB135_3422
; %bb.3415:
	s_cmp_lt_i32 s14, 24
	s_cbranch_scc1 .LBB135_3425
; %bb.3416:
	s_cmp_gt_i32 s14, 24
	s_cbranch_scc0 .LBB135_3426
; %bb.3417:
	global_load_u8 v1, v[32:33], off
	s_mov_b32 s6, 0
	s_mov_b32 s1, exec_lo
	s_wait_loadcnt 0x0
	v_cmpx_lt_i16_e32 0x7f, v1
	s_xor_b32 s1, exec_lo, s1
	s_cbranch_execz .LBB135_3438
; %bb.3418:
	v_cmp_ne_u16_e32 vcc_lo, 0x80, v1
	s_and_b32 s6, vcc_lo, exec_lo
	s_and_not1_saveexec_b32 s1, s1
	s_cbranch_execnz .LBB135_3439
.LBB135_3419:
	s_or_b32 exec_lo, exec_lo, s1
	v_mov_b32_e32 v14, 0
	s_and_saveexec_b32 s1, s6
	s_cbranch_execz .LBB135_3421
.LBB135_3420:
	v_and_b32_e32 v3, 0xffff, v1
	s_delay_alu instid0(VALU_DEP_1) | instskip(SKIP_1) | instid1(VALU_DEP_2)
	v_dual_lshlrev_b32 v1, 24, v1 :: v_dual_bitop2_b32 v5, 3, v3 bitop3:0x40
	v_bfe_u32 v11, v3, 2, 5
	v_and_b32_e32 v1, 0x80000000, v1
	s_delay_alu instid0(VALU_DEP_3) | instskip(NEXT) | instid1(VALU_DEP_3)
	v_clz_i32_u32_e32 v7, v5
	v_cmp_eq_u32_e32 vcc_lo, 0, v11
	s_delay_alu instid0(VALU_DEP_2) | instskip(NEXT) | instid1(VALU_DEP_1)
	v_min_u32_e32 v7, 32, v7
	v_subrev_nc_u32_e32 v9, 29, v7
	v_sub_nc_u32_e32 v7, 30, v7
	s_delay_alu instid0(VALU_DEP_2) | instskip(NEXT) | instid1(VALU_DEP_2)
	v_lshlrev_b32_e32 v3, v9, v3
	v_cndmask_b32_e32 v7, v11, v7, vcc_lo
	s_delay_alu instid0(VALU_DEP_2) | instskip(NEXT) | instid1(VALU_DEP_1)
	v_and_b32_e32 v3, 3, v3
	v_cndmask_b32_e32 v3, v5, v3, vcc_lo
	s_delay_alu instid0(VALU_DEP_3) | instskip(NEXT) | instid1(VALU_DEP_2)
	v_lshl_add_u32 v5, v7, 23, 0x37800000
	v_lshlrev_b32_e32 v3, 21, v3
	s_delay_alu instid0(VALU_DEP_1) | instskip(NEXT) | instid1(VALU_DEP_1)
	v_or3_b32 v1, v1, v5, v3
	v_cvt_i32_f32_e32 v14, v1
.LBB135_3421:
	s_or_b32 exec_lo, exec_lo, s1
	s_mov_b32 s1, 0
	s_branch .LBB135_3427
.LBB135_3422:
	s_mov_b32 s1, -1
                                        ; implicit-def: $vgpr14
	s_branch .LBB135_3433
.LBB135_3423:
	s_and_not1_saveexec_b32 s6, s6
	s_cbranch_execz .LBB135_3408
.LBB135_3424:
	v_cmp_ne_u16_e32 vcc_lo, 0, v1
	s_and_not1_b32 s7, s7, exec_lo
	s_and_b32 s13, vcc_lo, exec_lo
	s_delay_alu instid0(SALU_CYCLE_1)
	s_or_b32 s7, s7, s13
	s_or_b32 exec_lo, exec_lo, s6
	v_mov_b32_e32 v14, 0
	s_and_saveexec_b32 s6, s7
	s_cbranch_execnz .LBB135_3409
	s_branch .LBB135_3410
.LBB135_3425:
	s_mov_b32 s1, -1
                                        ; implicit-def: $vgpr14
	s_branch .LBB135_3430
.LBB135_3426:
	s_mov_b32 s1, -1
                                        ; implicit-def: $vgpr14
.LBB135_3427:
	s_delay_alu instid0(SALU_CYCLE_1)
	s_and_b32 vcc_lo, exec_lo, s1
	s_cbranch_vccz .LBB135_3429
; %bb.3428:
	global_load_u8 v1, v[32:33], off
	s_wait_loadcnt 0x0
	v_lshlrev_b32_e32 v1, 24, v1
	s_delay_alu instid0(VALU_DEP_1) | instskip(NEXT) | instid1(VALU_DEP_1)
	v_and_b32_e32 v3, 0x7f000000, v1
	v_clz_i32_u32_e32 v5, v3
	v_add_nc_u32_e32 v9, 0x1000000, v3
	v_cmp_ne_u32_e32 vcc_lo, 0, v3
	s_delay_alu instid0(VALU_DEP_3) | instskip(NEXT) | instid1(VALU_DEP_1)
	v_min_u32_e32 v5, 32, v5
	v_sub_nc_u32_e64 v5, v5, 4 clamp
	s_delay_alu instid0(VALU_DEP_1) | instskip(NEXT) | instid1(VALU_DEP_1)
	v_dual_lshlrev_b32 v7, v5, v3 :: v_dual_lshlrev_b32 v5, 23, v5
	v_lshrrev_b32_e32 v7, 4, v7
	s_delay_alu instid0(VALU_DEP_1) | instskip(SKIP_1) | instid1(VALU_DEP_2)
	v_sub_nc_u32_e32 v5, v7, v5
	v_ashrrev_i32_e32 v7, 8, v9
	v_add_nc_u32_e32 v5, 0x3c000000, v5
	s_delay_alu instid0(VALU_DEP_1) | instskip(NEXT) | instid1(VALU_DEP_1)
	v_and_or_b32 v5, 0x7f800000, v7, v5
	v_cndmask_b32_e32 v3, 0, v5, vcc_lo
	s_delay_alu instid0(VALU_DEP_1) | instskip(NEXT) | instid1(VALU_DEP_1)
	v_and_or_b32 v1, 0x80000000, v1, v3
	v_cvt_i32_f32_e32 v14, v1
.LBB135_3429:
	s_mov_b32 s1, 0
.LBB135_3430:
	s_delay_alu instid0(SALU_CYCLE_1)
	s_and_not1_b32 vcc_lo, exec_lo, s1
	s_cbranch_vccnz .LBB135_3432
; %bb.3431:
	global_load_u8 v1, v[32:33], off
	s_wait_loadcnt 0x0
	v_lshlrev_b32_e32 v3, 25, v1
	v_lshlrev_b16 v1, 8, v1
	s_delay_alu instid0(VALU_DEP_1) | instskip(SKIP_1) | instid1(VALU_DEP_2)
	v_and_or_b32 v7, 0x7f00, v1, 0.5
	v_bfe_i32 v1, v1, 0, 16
	v_add_f32_e32 v7, -0.5, v7
	v_lshrrev_b32_e32 v5, 4, v3
	v_cmp_gt_u32_e32 vcc_lo, 0x8000000, v3
	s_delay_alu instid0(VALU_DEP_2) | instskip(NEXT) | instid1(VALU_DEP_1)
	v_or_b32_e32 v5, 0x70000000, v5
	v_mul_f32_e32 v5, 0x7800000, v5
	s_delay_alu instid0(VALU_DEP_1) | instskip(NEXT) | instid1(VALU_DEP_1)
	v_cndmask_b32_e32 v3, v5, v7, vcc_lo
	v_and_or_b32 v1, 0x80000000, v1, v3
	s_delay_alu instid0(VALU_DEP_1)
	v_cvt_i32_f32_e32 v14, v1
.LBB135_3432:
	s_mov_b32 s1, 0
	s_mov_b32 s6, -1
.LBB135_3433:
	s_and_not1_b32 vcc_lo, exec_lo, s1
	s_mov_b32 s1, 0
	s_cbranch_vccnz .LBB135_3444
; %bb.3434:
	s_cmp_gt_i32 s14, 14
	s_cbranch_scc0 .LBB135_3437
; %bb.3435:
	s_cmp_eq_u32 s14, 15
	s_cbranch_scc0 .LBB135_3440
; %bb.3436:
	global_load_u16 v1, v[32:33], off
	s_mov_b32 s0, 0
	s_mov_b32 s6, -1
	s_wait_loadcnt 0x0
	v_lshlrev_b32_e32 v1, 16, v1
	s_delay_alu instid0(VALU_DEP_1)
	v_cvt_i32_f32_e32 v14, v1
	s_branch .LBB135_3442
.LBB135_3437:
	s_mov_b32 s1, -1
	s_branch .LBB135_3441
.LBB135_3438:
	s_and_not1_saveexec_b32 s1, s1
	s_cbranch_execz .LBB135_3419
.LBB135_3439:
	v_cmp_ne_u16_e32 vcc_lo, 0, v1
	s_and_not1_b32 s6, s6, exec_lo
	s_and_b32 s7, vcc_lo, exec_lo
	s_delay_alu instid0(SALU_CYCLE_1)
	s_or_b32 s6, s6, s7
	s_or_b32 exec_lo, exec_lo, s1
	v_mov_b32_e32 v14, 0
	s_and_saveexec_b32 s1, s6
	s_cbranch_execnz .LBB135_3420
	s_branch .LBB135_3421
.LBB135_3440:
	s_mov_b32 s0, -1
.LBB135_3441:
                                        ; implicit-def: $vgpr14
.LBB135_3442:
	s_and_b32 vcc_lo, exec_lo, s1
	s_mov_b32 s1, 0
	s_cbranch_vccz .LBB135_3444
; %bb.3443:
	s_cmp_lg_u32 s14, 11
	s_mov_b32 s1, -1
	s_cselect_b32 s0, -1, 0
.LBB135_3444:
	s_delay_alu instid0(SALU_CYCLE_1)
	s_and_b32 vcc_lo, exec_lo, s0
	s_cbranch_vccnz .LBB135_3509
; %bb.3445:
	s_and_not1_b32 vcc_lo, exec_lo, s1
	s_cbranch_vccnz .LBB135_3447
.LBB135_3446:
	global_load_u8 v1, v[32:33], off
	s_mov_b32 s6, -1
	s_wait_loadcnt 0x0
	v_cmp_ne_u16_e32 vcc_lo, 0, v1
	v_cndmask_b32_e64 v14, 0, 1, vcc_lo
.LBB135_3447:
	s_mov_b32 s0, 0
.LBB135_3448:
	s_delay_alu instid0(SALU_CYCLE_1)
	s_and_b32 vcc_lo, exec_lo, s0
	s_cbranch_vccz .LBB135_3497
; %bb.3449:
	s_cmp_lt_i32 s14, 5
	s_cbranch_scc1 .LBB135_3454
; %bb.3450:
	s_cmp_lt_i32 s14, 8
	s_cbranch_scc1 .LBB135_3455
	;; [unrolled: 3-line block ×3, first 2 shown]
; %bb.3452:
	s_cmp_gt_i32 s14, 9
	s_cbranch_scc0 .LBB135_3457
; %bb.3453:
	s_wait_loadcnt 0x0
	global_load_b64 v[14:15], v[32:33], off
	s_mov_b32 s0, 0
	s_wait_loadcnt 0x0
	v_cvt_i32_f64_e32 v14, v[14:15]
	s_branch .LBB135_3458
.LBB135_3454:
	s_mov_b32 s0, -1
                                        ; implicit-def: $vgpr14
	s_branch .LBB135_3476
.LBB135_3455:
	s_mov_b32 s0, -1
                                        ; implicit-def: $vgpr14
	s_branch .LBB135_3464
.LBB135_3456:
	s_mov_b32 s0, -1
                                        ; implicit-def: $vgpr14
	s_branch .LBB135_3461
.LBB135_3457:
	s_mov_b32 s0, -1
                                        ; implicit-def: $vgpr14
.LBB135_3458:
	s_delay_alu instid0(SALU_CYCLE_1)
	s_and_not1_b32 vcc_lo, exec_lo, s0
	s_cbranch_vccnz .LBB135_3460
; %bb.3459:
	global_load_b32 v1, v[32:33], off
	s_wait_loadcnt 0x0
	v_cvt_i32_f32_e32 v14, v1
.LBB135_3460:
	s_mov_b32 s0, 0
.LBB135_3461:
	s_delay_alu instid0(SALU_CYCLE_1)
	s_and_not1_b32 vcc_lo, exec_lo, s0
	s_cbranch_vccnz .LBB135_3463
; %bb.3462:
	global_load_b32 v1, v[32:33], off
	s_wait_loadcnt 0x0
	v_cvt_i16_f16_e32 v14, v1
.LBB135_3463:
	s_mov_b32 s0, 0
.LBB135_3464:
	s_delay_alu instid0(SALU_CYCLE_1)
	s_and_not1_b32 vcc_lo, exec_lo, s0
	s_cbranch_vccnz .LBB135_3475
; %bb.3465:
	s_cmp_lt_i32 s14, 6
	s_cbranch_scc1 .LBB135_3468
; %bb.3466:
	s_cmp_gt_i32 s14, 6
	s_cbranch_scc0 .LBB135_3469
; %bb.3467:
	s_wait_loadcnt 0x0
	global_load_b64 v[14:15], v[32:33], off
	s_mov_b32 s0, 0
	s_wait_loadcnt 0x0
	v_cvt_i32_f64_e32 v14, v[14:15]
	s_branch .LBB135_3470
.LBB135_3468:
	s_mov_b32 s0, -1
                                        ; implicit-def: $vgpr14
	s_branch .LBB135_3473
.LBB135_3469:
	s_mov_b32 s0, -1
                                        ; implicit-def: $vgpr14
.LBB135_3470:
	s_delay_alu instid0(SALU_CYCLE_1)
	s_and_not1_b32 vcc_lo, exec_lo, s0
	s_cbranch_vccnz .LBB135_3472
; %bb.3471:
	global_load_b32 v1, v[32:33], off
	s_wait_loadcnt 0x0
	v_cvt_i32_f32_e32 v14, v1
.LBB135_3472:
	s_mov_b32 s0, 0
.LBB135_3473:
	s_delay_alu instid0(SALU_CYCLE_1)
	s_and_not1_b32 vcc_lo, exec_lo, s0
	s_cbranch_vccnz .LBB135_3475
; %bb.3474:
	global_load_u16 v1, v[32:33], off
	s_wait_loadcnt 0x0
	v_cvt_i16_f16_e32 v14, v1
.LBB135_3475:
	s_mov_b32 s0, 0
.LBB135_3476:
	s_delay_alu instid0(SALU_CYCLE_1)
	s_and_not1_b32 vcc_lo, exec_lo, s0
	s_cbranch_vccnz .LBB135_3496
; %bb.3477:
	s_cmp_lt_i32 s14, 2
	s_cbranch_scc1 .LBB135_3481
; %bb.3478:
	s_cmp_lt_i32 s14, 3
	s_cbranch_scc1 .LBB135_3482
; %bb.3479:
	s_cmp_gt_i32 s14, 3
	s_cbranch_scc0 .LBB135_3483
; %bb.3480:
	s_wait_loadcnt 0x0
	global_load_b64 v[14:15], v[32:33], off
	s_mov_b32 s0, 0
	s_branch .LBB135_3484
.LBB135_3481:
	s_mov_b32 s0, -1
                                        ; implicit-def: $vgpr14
	s_branch .LBB135_3490
.LBB135_3482:
	s_mov_b32 s0, -1
                                        ; implicit-def: $vgpr14
	s_branch .LBB135_3487
.LBB135_3483:
	s_mov_b32 s0, -1
                                        ; implicit-def: $vgpr14
.LBB135_3484:
	s_delay_alu instid0(SALU_CYCLE_1)
	s_and_not1_b32 vcc_lo, exec_lo, s0
	s_cbranch_vccnz .LBB135_3486
; %bb.3485:
	s_wait_loadcnt 0x0
	global_load_b32 v14, v[32:33], off
.LBB135_3486:
	s_mov_b32 s0, 0
.LBB135_3487:
	s_delay_alu instid0(SALU_CYCLE_1)
	s_and_not1_b32 vcc_lo, exec_lo, s0
	s_cbranch_vccnz .LBB135_3489
; %bb.3488:
	s_wait_loadcnt 0x0
	global_load_u16 v14, v[32:33], off
.LBB135_3489:
	s_mov_b32 s0, 0
.LBB135_3490:
	s_delay_alu instid0(SALU_CYCLE_1)
	s_and_not1_b32 vcc_lo, exec_lo, s0
	s_cbranch_vccnz .LBB135_3496
; %bb.3491:
	s_cmp_gt_i32 s14, 0
	s_mov_b32 s0, 0
	s_cbranch_scc0 .LBB135_3493
; %bb.3492:
	s_wait_loadcnt 0x0
	global_load_i8 v14, v[32:33], off
	s_branch .LBB135_3494
.LBB135_3493:
	s_mov_b32 s0, -1
                                        ; implicit-def: $vgpr14
.LBB135_3494:
	s_delay_alu instid0(SALU_CYCLE_1)
	s_and_not1_b32 vcc_lo, exec_lo, s0
	s_cbranch_vccnz .LBB135_3496
; %bb.3495:
	s_wait_loadcnt 0x0
	global_load_u8 v14, v[32:33], off
.LBB135_3496:
	s_mov_b32 s6, -1
.LBB135_3497:
	s_delay_alu instid0(SALU_CYCLE_1)
	s_and_not1_b32 vcc_lo, exec_lo, s6
	s_cbranch_vccnz .LBB135_4058
; %bb.3498:
	v_mov_b32_e32 v11, 0
	s_cmp_lt_i32 s15, 11
	s_wait_xcnt 0x0
	s_delay_alu instid0(VALU_DEP_1)
	v_add_nc_u64_e32 v[32:33], s[8:9], v[10:11]
	s_cbranch_scc1 .LBB135_3505
; %bb.3499:
	s_cmp_gt_i32 s15, 25
	s_mov_b32 s1, 0
	s_cbranch_scc0 .LBB135_3506
; %bb.3500:
	s_cmp_gt_i32 s15, 28
	s_cbranch_scc0 .LBB135_3507
; %bb.3501:
	s_cmp_gt_i32 s15, 43
	;; [unrolled: 3-line block ×3, first 2 shown]
	s_cbranch_scc0 .LBB135_3510
; %bb.3503:
	s_cmp_eq_u32 s15, 46
	s_mov_b32 s7, 0
	s_cbranch_scc0 .LBB135_3511
; %bb.3504:
	global_load_b32 v1, v[32:33], off
	s_mov_b32 s0, 0
	s_mov_b32 s6, -1
	s_wait_loadcnt 0x0
	v_lshlrev_b32_e32 v1, 16, v1
	s_delay_alu instid0(VALU_DEP_1)
	v_cvt_i32_f32_e32 v10, v1
	s_branch .LBB135_3513
.LBB135_3505:
	s_mov_b32 s0, -1
	s_mov_b32 s6, 0
                                        ; implicit-def: $vgpr10
	s_branch .LBB135_3575
.LBB135_3506:
	s_mov_b32 s7, -1
	s_mov_b32 s6, 0
	s_mov_b32 s0, 0
                                        ; implicit-def: $vgpr10
	s_branch .LBB135_3540
.LBB135_3507:
	s_mov_b32 s7, -1
	s_mov_b32 s6, 0
	s_mov_b32 s0, 0
                                        ; implicit-def: $vgpr10
	s_branch .LBB135_3523
.LBB135_3508:
	s_mov_b32 s7, -1
	s_mov_b32 s6, 0
	s_mov_b32 s0, 0
                                        ; implicit-def: $vgpr10
	s_branch .LBB135_3518
.LBB135_3509:
	s_or_b32 s12, s12, exec_lo
	s_trap 2
	s_cbranch_execz .LBB135_3446
	s_branch .LBB135_3447
.LBB135_3510:
	s_mov_b32 s7, -1
	s_mov_b32 s6, 0
	s_mov_b32 s0, 0
	s_branch .LBB135_3512
.LBB135_3511:
	s_mov_b32 s0, -1
	s_mov_b32 s6, 0
.LBB135_3512:
                                        ; implicit-def: $vgpr10
.LBB135_3513:
	s_and_b32 vcc_lo, exec_lo, s7
	s_cbranch_vccz .LBB135_3517
; %bb.3514:
	s_cmp_eq_u32 s15, 44
	s_cbranch_scc0 .LBB135_3516
; %bb.3515:
	global_load_u8 v1, v[32:33], off
	s_mov_b32 s0, 0
	s_mov_b32 s6, -1
	s_wait_loadcnt 0x0
	v_lshlrev_b32_e32 v3, 23, v1
	v_cmp_ne_u32_e32 vcc_lo, 0, v1
	s_delay_alu instid0(VALU_DEP_2) | instskip(NEXT) | instid1(VALU_DEP_1)
	v_cvt_i32_f32_e32 v3, v3
	v_cndmask_b32_e32 v10, 0, v3, vcc_lo
	s_branch .LBB135_3517
.LBB135_3516:
	s_mov_b32 s0, -1
                                        ; implicit-def: $vgpr10
.LBB135_3517:
	s_mov_b32 s7, 0
.LBB135_3518:
	s_delay_alu instid0(SALU_CYCLE_1)
	s_and_b32 vcc_lo, exec_lo, s7
	s_cbranch_vccz .LBB135_3522
; %bb.3519:
	s_cmp_eq_u32 s15, 29
	s_cbranch_scc0 .LBB135_3521
; %bb.3520:
	global_load_b64 v[10:11], v[32:33], off
	s_mov_b32 s0, 0
	s_mov_b32 s6, -1
	s_branch .LBB135_3522
.LBB135_3521:
	s_mov_b32 s0, -1
                                        ; implicit-def: $vgpr10
.LBB135_3522:
	s_mov_b32 s7, 0
.LBB135_3523:
	s_delay_alu instid0(SALU_CYCLE_1)
	s_and_b32 vcc_lo, exec_lo, s7
	s_cbranch_vccz .LBB135_3539
; %bb.3524:
	s_cmp_lt_i32 s15, 27
	s_cbranch_scc1 .LBB135_3527
; %bb.3525:
	s_cmp_gt_i32 s15, 27
	s_cbranch_scc0 .LBB135_3528
; %bb.3526:
	s_wait_loadcnt 0x0
	global_load_b32 v10, v[32:33], off
	s_mov_b32 s6, 0
	s_branch .LBB135_3529
.LBB135_3527:
	s_mov_b32 s6, -1
                                        ; implicit-def: $vgpr10
	s_branch .LBB135_3532
.LBB135_3528:
	s_mov_b32 s6, -1
                                        ; implicit-def: $vgpr10
.LBB135_3529:
	s_delay_alu instid0(SALU_CYCLE_1)
	s_and_not1_b32 vcc_lo, exec_lo, s6
	s_cbranch_vccnz .LBB135_3531
; %bb.3530:
	s_wait_loadcnt 0x0
	global_load_u16 v10, v[32:33], off
.LBB135_3531:
	s_mov_b32 s6, 0
.LBB135_3532:
	s_delay_alu instid0(SALU_CYCLE_1)
	s_and_not1_b32 vcc_lo, exec_lo, s6
	s_cbranch_vccnz .LBB135_3538
; %bb.3533:
	global_load_u8 v1, v[32:33], off
	s_mov_b32 s7, 0
	s_mov_b32 s6, exec_lo
	s_wait_loadcnt 0x0
	v_cmpx_lt_i16_e32 0x7f, v1
	s_xor_b32 s6, exec_lo, s6
	s_cbranch_execz .LBB135_3550
; %bb.3534:
	v_cmp_ne_u16_e32 vcc_lo, 0x80, v1
	s_and_b32 s7, vcc_lo, exec_lo
	s_and_not1_saveexec_b32 s6, s6
	s_cbranch_execnz .LBB135_3551
.LBB135_3535:
	s_or_b32 exec_lo, exec_lo, s6
	v_mov_b32_e32 v10, 0
	s_and_saveexec_b32 s6, s7
	s_cbranch_execz .LBB135_3537
.LBB135_3536:
	v_and_b32_e32 v3, 0xffff, v1
	s_delay_alu instid0(VALU_DEP_1) | instskip(SKIP_1) | instid1(VALU_DEP_2)
	v_dual_lshlrev_b32 v1, 24, v1 :: v_dual_bitop2_b32 v5, 7, v3 bitop3:0x40
	v_bfe_u32 v10, v3, 3, 4
	v_and_b32_e32 v1, 0x80000000, v1
	s_delay_alu instid0(VALU_DEP_3) | instskip(NEXT) | instid1(VALU_DEP_3)
	v_clz_i32_u32_e32 v7, v5
	v_cmp_eq_u32_e32 vcc_lo, 0, v10
	s_delay_alu instid0(VALU_DEP_2) | instskip(NEXT) | instid1(VALU_DEP_1)
	v_min_u32_e32 v7, 32, v7
	v_subrev_nc_u32_e32 v9, 28, v7
	v_sub_nc_u32_e32 v7, 29, v7
	s_delay_alu instid0(VALU_DEP_2) | instskip(NEXT) | instid1(VALU_DEP_2)
	v_lshlrev_b32_e32 v3, v9, v3
	v_cndmask_b32_e32 v7, v10, v7, vcc_lo
	s_delay_alu instid0(VALU_DEP_2) | instskip(NEXT) | instid1(VALU_DEP_1)
	v_and_b32_e32 v3, 7, v3
	v_cndmask_b32_e32 v3, v5, v3, vcc_lo
	s_delay_alu instid0(VALU_DEP_3) | instskip(NEXT) | instid1(VALU_DEP_2)
	v_lshl_add_u32 v5, v7, 23, 0x3b800000
	v_lshlrev_b32_e32 v3, 20, v3
	s_delay_alu instid0(VALU_DEP_1) | instskip(NEXT) | instid1(VALU_DEP_1)
	v_or3_b32 v1, v1, v5, v3
	v_cvt_i32_f32_e32 v10, v1
.LBB135_3537:
	s_or_b32 exec_lo, exec_lo, s6
.LBB135_3538:
	s_mov_b32 s6, -1
.LBB135_3539:
	s_mov_b32 s7, 0
.LBB135_3540:
	s_delay_alu instid0(SALU_CYCLE_1)
	s_and_b32 vcc_lo, exec_lo, s7
	s_cbranch_vccz .LBB135_3571
; %bb.3541:
	s_cmp_gt_i32 s15, 22
	s_cbranch_scc0 .LBB135_3549
; %bb.3542:
	s_cmp_lt_i32 s15, 24
	s_cbranch_scc1 .LBB135_3552
; %bb.3543:
	s_cmp_gt_i32 s15, 24
	s_cbranch_scc0 .LBB135_3553
; %bb.3544:
	global_load_u8 v1, v[32:33], off
	s_mov_b32 s6, 0
	s_mov_b32 s1, exec_lo
	s_wait_loadcnt 0x0
	v_cmpx_lt_i16_e32 0x7f, v1
	s_xor_b32 s1, exec_lo, s1
	s_cbranch_execz .LBB135_3565
; %bb.3545:
	v_cmp_ne_u16_e32 vcc_lo, 0x80, v1
	s_and_b32 s6, vcc_lo, exec_lo
	s_and_not1_saveexec_b32 s1, s1
	s_cbranch_execnz .LBB135_3566
.LBB135_3546:
	s_or_b32 exec_lo, exec_lo, s1
	v_mov_b32_e32 v10, 0
	s_and_saveexec_b32 s1, s6
	s_cbranch_execz .LBB135_3548
.LBB135_3547:
	v_and_b32_e32 v3, 0xffff, v1
	s_delay_alu instid0(VALU_DEP_1) | instskip(SKIP_1) | instid1(VALU_DEP_2)
	v_dual_lshlrev_b32 v1, 24, v1 :: v_dual_bitop2_b32 v5, 3, v3 bitop3:0x40
	v_bfe_u32 v10, v3, 2, 5
	v_and_b32_e32 v1, 0x80000000, v1
	s_delay_alu instid0(VALU_DEP_3) | instskip(NEXT) | instid1(VALU_DEP_3)
	v_clz_i32_u32_e32 v7, v5
	v_cmp_eq_u32_e32 vcc_lo, 0, v10
	s_delay_alu instid0(VALU_DEP_2) | instskip(NEXT) | instid1(VALU_DEP_1)
	v_min_u32_e32 v7, 32, v7
	v_subrev_nc_u32_e32 v9, 29, v7
	v_sub_nc_u32_e32 v7, 30, v7
	s_delay_alu instid0(VALU_DEP_2) | instskip(NEXT) | instid1(VALU_DEP_2)
	v_lshlrev_b32_e32 v3, v9, v3
	v_cndmask_b32_e32 v7, v10, v7, vcc_lo
	s_delay_alu instid0(VALU_DEP_2) | instskip(NEXT) | instid1(VALU_DEP_1)
	v_and_b32_e32 v3, 3, v3
	v_cndmask_b32_e32 v3, v5, v3, vcc_lo
	s_delay_alu instid0(VALU_DEP_3) | instskip(NEXT) | instid1(VALU_DEP_2)
	v_lshl_add_u32 v5, v7, 23, 0x37800000
	v_lshlrev_b32_e32 v3, 21, v3
	s_delay_alu instid0(VALU_DEP_1) | instskip(NEXT) | instid1(VALU_DEP_1)
	v_or3_b32 v1, v1, v5, v3
	v_cvt_i32_f32_e32 v10, v1
.LBB135_3548:
	s_or_b32 exec_lo, exec_lo, s1
	s_mov_b32 s1, 0
	s_branch .LBB135_3554
.LBB135_3549:
	s_mov_b32 s1, -1
                                        ; implicit-def: $vgpr10
	s_branch .LBB135_3560
.LBB135_3550:
	s_and_not1_saveexec_b32 s6, s6
	s_cbranch_execz .LBB135_3535
.LBB135_3551:
	v_cmp_ne_u16_e32 vcc_lo, 0, v1
	s_and_not1_b32 s7, s7, exec_lo
	s_and_b32 s8, vcc_lo, exec_lo
	s_delay_alu instid0(SALU_CYCLE_1)
	s_or_b32 s7, s7, s8
	s_or_b32 exec_lo, exec_lo, s6
	v_mov_b32_e32 v10, 0
	s_and_saveexec_b32 s6, s7
	s_cbranch_execnz .LBB135_3536
	s_branch .LBB135_3537
.LBB135_3552:
	s_mov_b32 s1, -1
                                        ; implicit-def: $vgpr10
	s_branch .LBB135_3557
.LBB135_3553:
	s_mov_b32 s1, -1
                                        ; implicit-def: $vgpr10
.LBB135_3554:
	s_delay_alu instid0(SALU_CYCLE_1)
	s_and_b32 vcc_lo, exec_lo, s1
	s_cbranch_vccz .LBB135_3556
; %bb.3555:
	global_load_u8 v1, v[32:33], off
	s_wait_loadcnt 0x0
	v_lshlrev_b32_e32 v1, 24, v1
	s_delay_alu instid0(VALU_DEP_1) | instskip(NEXT) | instid1(VALU_DEP_1)
	v_and_b32_e32 v3, 0x7f000000, v1
	v_clz_i32_u32_e32 v5, v3
	v_add_nc_u32_e32 v9, 0x1000000, v3
	v_cmp_ne_u32_e32 vcc_lo, 0, v3
	s_delay_alu instid0(VALU_DEP_3) | instskip(NEXT) | instid1(VALU_DEP_1)
	v_min_u32_e32 v5, 32, v5
	v_sub_nc_u32_e64 v5, v5, 4 clamp
	s_delay_alu instid0(VALU_DEP_1) | instskip(NEXT) | instid1(VALU_DEP_1)
	v_dual_lshlrev_b32 v7, v5, v3 :: v_dual_lshlrev_b32 v5, 23, v5
	v_lshrrev_b32_e32 v7, 4, v7
	s_delay_alu instid0(VALU_DEP_1) | instskip(SKIP_1) | instid1(VALU_DEP_2)
	v_sub_nc_u32_e32 v5, v7, v5
	v_ashrrev_i32_e32 v7, 8, v9
	v_add_nc_u32_e32 v5, 0x3c000000, v5
	s_delay_alu instid0(VALU_DEP_1) | instskip(NEXT) | instid1(VALU_DEP_1)
	v_and_or_b32 v5, 0x7f800000, v7, v5
	v_cndmask_b32_e32 v3, 0, v5, vcc_lo
	s_delay_alu instid0(VALU_DEP_1) | instskip(NEXT) | instid1(VALU_DEP_1)
	v_and_or_b32 v1, 0x80000000, v1, v3
	v_cvt_i32_f32_e32 v10, v1
.LBB135_3556:
	s_mov_b32 s1, 0
.LBB135_3557:
	s_delay_alu instid0(SALU_CYCLE_1)
	s_and_not1_b32 vcc_lo, exec_lo, s1
	s_cbranch_vccnz .LBB135_3559
; %bb.3558:
	global_load_u8 v1, v[32:33], off
	s_wait_loadcnt 0x0
	v_lshlrev_b32_e32 v3, 25, v1
	v_lshlrev_b16 v1, 8, v1
	s_delay_alu instid0(VALU_DEP_1) | instskip(SKIP_1) | instid1(VALU_DEP_2)
	v_and_or_b32 v7, 0x7f00, v1, 0.5
	v_bfe_i32 v1, v1, 0, 16
	v_add_f32_e32 v7, -0.5, v7
	v_lshrrev_b32_e32 v5, 4, v3
	v_cmp_gt_u32_e32 vcc_lo, 0x8000000, v3
	s_delay_alu instid0(VALU_DEP_2) | instskip(NEXT) | instid1(VALU_DEP_1)
	v_or_b32_e32 v5, 0x70000000, v5
	v_mul_f32_e32 v5, 0x7800000, v5
	s_delay_alu instid0(VALU_DEP_1) | instskip(NEXT) | instid1(VALU_DEP_1)
	v_cndmask_b32_e32 v3, v5, v7, vcc_lo
	v_and_or_b32 v1, 0x80000000, v1, v3
	s_delay_alu instid0(VALU_DEP_1)
	v_cvt_i32_f32_e32 v10, v1
.LBB135_3559:
	s_mov_b32 s1, 0
	s_mov_b32 s6, -1
.LBB135_3560:
	s_and_not1_b32 vcc_lo, exec_lo, s1
	s_mov_b32 s1, 0
	s_cbranch_vccnz .LBB135_3571
; %bb.3561:
	s_cmp_gt_i32 s15, 14
	s_cbranch_scc0 .LBB135_3564
; %bb.3562:
	s_cmp_eq_u32 s15, 15
	s_cbranch_scc0 .LBB135_3567
; %bb.3563:
	global_load_u16 v1, v[32:33], off
	s_mov_b32 s0, 0
	s_mov_b32 s6, -1
	s_wait_loadcnt 0x0
	v_lshlrev_b32_e32 v1, 16, v1
	s_delay_alu instid0(VALU_DEP_1)
	v_cvt_i32_f32_e32 v10, v1
	s_branch .LBB135_3569
.LBB135_3564:
	s_mov_b32 s1, -1
	s_branch .LBB135_3568
.LBB135_3565:
	s_and_not1_saveexec_b32 s1, s1
	s_cbranch_execz .LBB135_3546
.LBB135_3566:
	v_cmp_ne_u16_e32 vcc_lo, 0, v1
	s_and_not1_b32 s6, s6, exec_lo
	s_and_b32 s7, vcc_lo, exec_lo
	s_delay_alu instid0(SALU_CYCLE_1)
	s_or_b32 s6, s6, s7
	s_or_b32 exec_lo, exec_lo, s1
	v_mov_b32_e32 v10, 0
	s_and_saveexec_b32 s1, s6
	s_cbranch_execnz .LBB135_3547
	s_branch .LBB135_3548
.LBB135_3567:
	s_mov_b32 s0, -1
.LBB135_3568:
                                        ; implicit-def: $vgpr10
.LBB135_3569:
	s_and_b32 vcc_lo, exec_lo, s1
	s_mov_b32 s1, 0
	s_cbranch_vccz .LBB135_3571
; %bb.3570:
	s_cmp_lg_u32 s15, 11
	s_mov_b32 s1, -1
	s_cselect_b32 s0, -1, 0
.LBB135_3571:
	s_delay_alu instid0(SALU_CYCLE_1)
	s_and_b32 vcc_lo, exec_lo, s0
	s_cbranch_vccnz .LBB135_4104
; %bb.3572:
	s_and_not1_b32 vcc_lo, exec_lo, s1
	s_cbranch_vccnz .LBB135_3574
.LBB135_3573:
	global_load_u8 v1, v[32:33], off
	s_mov_b32 s6, -1
	s_wait_loadcnt 0x0
	v_cmp_ne_u16_e32 vcc_lo, 0, v1
	v_cndmask_b32_e64 v10, 0, 1, vcc_lo
.LBB135_3574:
	s_mov_b32 s0, 0
.LBB135_3575:
	s_delay_alu instid0(SALU_CYCLE_1)
	s_and_b32 vcc_lo, exec_lo, s0
	s_cbranch_vccz .LBB135_3624
; %bb.3576:
	s_cmp_lt_i32 s15, 5
	s_cbranch_scc1 .LBB135_3581
; %bb.3577:
	s_cmp_lt_i32 s15, 8
	s_cbranch_scc1 .LBB135_3582
	;; [unrolled: 3-line block ×3, first 2 shown]
; %bb.3579:
	s_cmp_gt_i32 s15, 9
	s_cbranch_scc0 .LBB135_3584
; %bb.3580:
	s_wait_loadcnt 0x0
	global_load_b64 v[10:11], v[32:33], off
	s_mov_b32 s0, 0
	s_wait_loadcnt 0x0
	v_cvt_i32_f64_e32 v10, v[10:11]
	s_branch .LBB135_3585
.LBB135_3581:
	s_mov_b32 s0, -1
                                        ; implicit-def: $vgpr10
	s_branch .LBB135_3603
.LBB135_3582:
	s_mov_b32 s0, -1
                                        ; implicit-def: $vgpr10
	s_branch .LBB135_3591
.LBB135_3583:
	s_mov_b32 s0, -1
                                        ; implicit-def: $vgpr10
	s_branch .LBB135_3588
.LBB135_3584:
	s_mov_b32 s0, -1
                                        ; implicit-def: $vgpr10
.LBB135_3585:
	s_delay_alu instid0(SALU_CYCLE_1)
	s_and_not1_b32 vcc_lo, exec_lo, s0
	s_cbranch_vccnz .LBB135_3587
; %bb.3586:
	global_load_b32 v1, v[32:33], off
	s_wait_loadcnt 0x0
	v_cvt_i32_f32_e32 v10, v1
.LBB135_3587:
	s_mov_b32 s0, 0
.LBB135_3588:
	s_delay_alu instid0(SALU_CYCLE_1)
	s_and_not1_b32 vcc_lo, exec_lo, s0
	s_cbranch_vccnz .LBB135_3590
; %bb.3589:
	global_load_b32 v1, v[32:33], off
	s_wait_loadcnt 0x0
	v_cvt_i16_f16_e32 v10, v1
.LBB135_3590:
	s_mov_b32 s0, 0
.LBB135_3591:
	s_delay_alu instid0(SALU_CYCLE_1)
	s_and_not1_b32 vcc_lo, exec_lo, s0
	s_cbranch_vccnz .LBB135_3602
; %bb.3592:
	s_cmp_lt_i32 s15, 6
	s_cbranch_scc1 .LBB135_3595
; %bb.3593:
	s_cmp_gt_i32 s15, 6
	s_cbranch_scc0 .LBB135_3596
; %bb.3594:
	s_wait_loadcnt 0x0
	global_load_b64 v[10:11], v[32:33], off
	s_mov_b32 s0, 0
	s_wait_loadcnt 0x0
	v_cvt_i32_f64_e32 v10, v[10:11]
	s_branch .LBB135_3597
.LBB135_3595:
	s_mov_b32 s0, -1
                                        ; implicit-def: $vgpr10
	s_branch .LBB135_3600
.LBB135_3596:
	s_mov_b32 s0, -1
                                        ; implicit-def: $vgpr10
.LBB135_3597:
	s_delay_alu instid0(SALU_CYCLE_1)
	s_and_not1_b32 vcc_lo, exec_lo, s0
	s_cbranch_vccnz .LBB135_3599
; %bb.3598:
	global_load_b32 v1, v[32:33], off
	s_wait_loadcnt 0x0
	v_cvt_i32_f32_e32 v10, v1
.LBB135_3599:
	s_mov_b32 s0, 0
.LBB135_3600:
	s_delay_alu instid0(SALU_CYCLE_1)
	s_and_not1_b32 vcc_lo, exec_lo, s0
	s_cbranch_vccnz .LBB135_3602
; %bb.3601:
	global_load_u16 v1, v[32:33], off
	s_wait_loadcnt 0x0
	v_cvt_i16_f16_e32 v10, v1
.LBB135_3602:
	s_mov_b32 s0, 0
.LBB135_3603:
	s_delay_alu instid0(SALU_CYCLE_1)
	s_and_not1_b32 vcc_lo, exec_lo, s0
	s_cbranch_vccnz .LBB135_3623
; %bb.3604:
	s_cmp_lt_i32 s15, 2
	s_cbranch_scc1 .LBB135_3608
; %bb.3605:
	s_cmp_lt_i32 s15, 3
	s_cbranch_scc1 .LBB135_3609
; %bb.3606:
	s_cmp_gt_i32 s15, 3
	s_cbranch_scc0 .LBB135_3610
; %bb.3607:
	s_wait_loadcnt 0x0
	global_load_b64 v[10:11], v[32:33], off
	s_mov_b32 s0, 0
	s_branch .LBB135_3611
.LBB135_3608:
	s_mov_b32 s0, -1
                                        ; implicit-def: $vgpr10
	s_branch .LBB135_3617
.LBB135_3609:
	s_mov_b32 s0, -1
                                        ; implicit-def: $vgpr10
	s_branch .LBB135_3614
.LBB135_3610:
	s_mov_b32 s0, -1
                                        ; implicit-def: $vgpr10
.LBB135_3611:
	s_delay_alu instid0(SALU_CYCLE_1)
	s_and_not1_b32 vcc_lo, exec_lo, s0
	s_cbranch_vccnz .LBB135_3613
; %bb.3612:
	s_wait_loadcnt 0x0
	global_load_b32 v10, v[32:33], off
.LBB135_3613:
	s_mov_b32 s0, 0
.LBB135_3614:
	s_delay_alu instid0(SALU_CYCLE_1)
	s_and_not1_b32 vcc_lo, exec_lo, s0
	s_cbranch_vccnz .LBB135_3616
; %bb.3615:
	s_wait_loadcnt 0x0
	global_load_u16 v10, v[32:33], off
.LBB135_3616:
	s_mov_b32 s0, 0
.LBB135_3617:
	s_delay_alu instid0(SALU_CYCLE_1)
	s_and_not1_b32 vcc_lo, exec_lo, s0
	s_cbranch_vccnz .LBB135_3623
; %bb.3618:
	s_cmp_gt_i32 s15, 0
	s_mov_b32 s0, 0
	s_cbranch_scc0 .LBB135_3620
; %bb.3619:
	s_wait_loadcnt 0x0
	global_load_i8 v10, v[32:33], off
	s_branch .LBB135_3621
.LBB135_3620:
	s_mov_b32 s0, -1
                                        ; implicit-def: $vgpr10
.LBB135_3621:
	s_delay_alu instid0(SALU_CYCLE_1)
	s_and_not1_b32 vcc_lo, exec_lo, s0
	s_cbranch_vccnz .LBB135_3623
; %bb.3622:
	s_wait_loadcnt 0x0
	global_load_u8 v10, v[32:33], off
.LBB135_3623:
	s_mov_b32 s6, -1
.LBB135_3624:
	s_delay_alu instid0(SALU_CYCLE_1)
	s_and_not1_b32 vcc_lo, exec_lo, s6
	s_cbranch_vccnz .LBB135_4058
; %bb.3625:
	v_mov_b32_e32 v7, 0
	s_wait_loadcnt 0x0
	v_max_i16 v5, v8, v12
	global_load_u8 v1, v7, s[2:3] offset:489
	s_wait_xcnt 0x0
	v_add_nc_u64_e32 v[6:7], s[4:5], v[6:7]
	s_wait_loadcnt 0x0
	v_and_b32_e32 v3, 0xffff, v1
	v_readfirstlane_b32 s1, v1
	v_min_i16 v1, v5, v18
	s_delay_alu instid0(VALU_DEP_3)
	v_cmp_gt_i32_e32 vcc_lo, 11, v3
	s_cbranch_vccnz .LBB135_3703
; %bb.3626:
	s_and_b32 s2, 0xffff, s1
	s_mov_b32 s7, -1
	s_mov_b32 s3, 0
	s_cmp_gt_i32 s2, 25
	s_mov_b32 s6, 0
	s_mov_b32 s0, 0
	s_cbranch_scc0 .LBB135_3659
; %bb.3627:
	s_cmp_gt_i32 s2, 28
	s_cbranch_scc0 .LBB135_3642
; %bb.3628:
	s_cmp_gt_i32 s2, 43
	;; [unrolled: 3-line block ×3, first 2 shown]
	s_cbranch_scc0 .LBB135_3632
; %bb.3630:
	s_mov_b32 s0, -1
	s_mov_b32 s7, 0
	s_cmp_eq_u32 s2, 46
	s_cbranch_scc0 .LBB135_3632
; %bb.3631:
	v_bfe_i32 v3, v1, 0, 16
	s_mov_b32 s0, 0
	s_mov_b32 s6, -1
	s_delay_alu instid0(VALU_DEP_1) | instskip(NEXT) | instid1(VALU_DEP_1)
	v_cvt_f32_i32_e32 v3, v3
	v_bfe_u32 v5, v3, 16, 1
	s_delay_alu instid0(VALU_DEP_1) | instskip(NEXT) | instid1(VALU_DEP_1)
	v_add3_u32 v3, v3, v5, 0x7fff
	v_lshrrev_b32_e32 v3, 16, v3
	global_store_b32 v[6:7], v3, off
.LBB135_3632:
	s_and_b32 vcc_lo, exec_lo, s7
	s_cbranch_vccz .LBB135_3637
; %bb.3633:
	s_cmp_eq_u32 s2, 44
	s_mov_b32 s0, -1
	s_cbranch_scc0 .LBB135_3637
; %bb.3634:
	s_wait_xcnt 0x0
	v_bfe_i32 v3, v1, 0, 16
	v_mov_b32_e32 v5, 0xff
	s_mov_b32 s6, exec_lo
	s_delay_alu instid0(VALU_DEP_2) | instskip(NEXT) | instid1(VALU_DEP_1)
	v_cvt_f32_i32_e32 v3, v3
	v_bfe_u32 v8, v3, 23, 8
	s_delay_alu instid0(VALU_DEP_1)
	v_cmpx_ne_u32_e32 0xff, v8
	s_cbranch_execz .LBB135_3636
; %bb.3635:
	v_and_b32_e32 v5, 0x400000, v3
	v_and_or_b32 v8, 0x3fffff, v3, v8
	v_lshrrev_b32_e32 v3, 23, v3
	s_delay_alu instid0(VALU_DEP_3) | instskip(NEXT) | instid1(VALU_DEP_3)
	v_cmp_ne_u32_e32 vcc_lo, 0, v5
	v_cmp_ne_u32_e64 s0, 0, v8
	s_and_b32 s0, vcc_lo, s0
	s_delay_alu instid0(SALU_CYCLE_1) | instskip(NEXT) | instid1(VALU_DEP_1)
	v_cndmask_b32_e64 v5, 0, 1, s0
	v_add_nc_u32_e32 v5, v3, v5
.LBB135_3636:
	s_or_b32 exec_lo, exec_lo, s6
	s_mov_b32 s0, 0
	s_mov_b32 s6, -1
	global_store_b8 v[6:7], v5, off
.LBB135_3637:
	s_mov_b32 s7, 0
.LBB135_3638:
	s_delay_alu instid0(SALU_CYCLE_1)
	s_and_b32 vcc_lo, exec_lo, s7
	s_cbranch_vccz .LBB135_3641
; %bb.3639:
	s_cmp_eq_u32 s2, 29
	s_mov_b32 s0, -1
	s_cbranch_scc0 .LBB135_3641
; %bb.3640:
	v_bfe_i32 v8, v1, 0, 16
	s_mov_b32 s0, 0
	s_mov_b32 s6, -1
	s_delay_alu instid0(VALU_DEP_1)
	v_ashrrev_i32_e32 v9, 31, v8
	global_store_b64 v[6:7], v[8:9], off
.LBB135_3641:
	s_mov_b32 s7, 0
.LBB135_3642:
	s_delay_alu instid0(SALU_CYCLE_1)
	s_and_b32 vcc_lo, exec_lo, s7
	s_cbranch_vccz .LBB135_3658
; %bb.3643:
	s_cmp_lt_i32 s2, 27
	s_mov_b32 s6, -1
	s_cbranch_scc1 .LBB135_3649
; %bb.3644:
	s_cmp_gt_i32 s2, 27
	s_cbranch_scc0 .LBB135_3646
; %bb.3645:
	s_wait_xcnt 0x0
	v_bfe_i32 v3, v1, 0, 16
	s_mov_b32 s6, 0
	global_store_b32 v[6:7], v3, off
.LBB135_3646:
	s_and_not1_b32 vcc_lo, exec_lo, s6
	s_cbranch_vccnz .LBB135_3648
; %bb.3647:
	global_store_b16 v[6:7], v1, off
.LBB135_3648:
	s_mov_b32 s6, 0
.LBB135_3649:
	s_delay_alu instid0(SALU_CYCLE_1)
	s_and_not1_b32 vcc_lo, exec_lo, s6
	s_cbranch_vccnz .LBB135_3657
; %bb.3650:
	s_wait_xcnt 0x0
	v_bfe_i32 v3, v1, 0, 16
	v_mov_b32_e32 v8, 0x80
	s_mov_b32 s6, exec_lo
	s_delay_alu instid0(VALU_DEP_2) | instskip(NEXT) | instid1(VALU_DEP_1)
	v_cvt_f32_i32_e32 v3, v3
	v_and_b32_e32 v5, 0x7fffffff, v3
	s_delay_alu instid0(VALU_DEP_1)
	v_cmpx_gt_u32_e32 0x43800000, v5
	s_cbranch_execz .LBB135_3656
; %bb.3651:
	v_cmp_lt_u32_e32 vcc_lo, 0x3bffffff, v5
	s_mov_b32 s7, 0
                                        ; implicit-def: $vgpr5
	s_and_saveexec_b32 s8, vcc_lo
	s_delay_alu instid0(SALU_CYCLE_1)
	s_xor_b32 s8, exec_lo, s8
	s_cbranch_execz .LBB135_4105
; %bb.3652:
	v_bfe_u32 v5, v3, 20, 1
	s_mov_b32 s7, exec_lo
	s_delay_alu instid0(VALU_DEP_1) | instskip(NEXT) | instid1(VALU_DEP_1)
	v_add3_u32 v5, v3, v5, 0x487ffff
	v_lshrrev_b32_e32 v5, 20, v5
	s_and_not1_saveexec_b32 s8, s8
	s_cbranch_execnz .LBB135_4106
.LBB135_3653:
	s_or_b32 exec_lo, exec_lo, s8
	v_mov_b32_e32 v8, 0
	s_and_saveexec_b32 s8, s7
.LBB135_3654:
	v_lshrrev_b32_e32 v3, 24, v3
	s_delay_alu instid0(VALU_DEP_1)
	v_and_or_b32 v8, 0x80, v3, v5
.LBB135_3655:
	s_or_b32 exec_lo, exec_lo, s8
.LBB135_3656:
	s_delay_alu instid0(SALU_CYCLE_1)
	s_or_b32 exec_lo, exec_lo, s6
	global_store_b8 v[6:7], v8, off
.LBB135_3657:
	s_mov_b32 s6, -1
.LBB135_3658:
	s_mov_b32 s7, 0
.LBB135_3659:
	s_delay_alu instid0(SALU_CYCLE_1)
	s_and_b32 vcc_lo, exec_lo, s7
	s_cbranch_vccz .LBB135_3699
; %bb.3660:
	s_cmp_gt_i32 s2, 22
	s_mov_b32 s3, -1
	s_cbranch_scc0 .LBB135_3692
; %bb.3661:
	s_cmp_lt_i32 s2, 24
	s_cbranch_scc1 .LBB135_3681
; %bb.3662:
	s_cmp_gt_i32 s2, 24
	s_cbranch_scc0 .LBB135_3670
; %bb.3663:
	s_wait_xcnt 0x0
	v_bfe_i32 v3, v1, 0, 16
	v_mov_b32_e32 v8, 0x80
	s_mov_b32 s3, exec_lo
	s_delay_alu instid0(VALU_DEP_2) | instskip(NEXT) | instid1(VALU_DEP_1)
	v_cvt_f32_i32_e32 v3, v3
	v_and_b32_e32 v5, 0x7fffffff, v3
	s_delay_alu instid0(VALU_DEP_1)
	v_cmpx_gt_u32_e32 0x47800000, v5
	s_cbranch_execz .LBB135_3669
; %bb.3664:
	v_cmp_lt_u32_e32 vcc_lo, 0x37ffffff, v5
	s_mov_b32 s6, 0
                                        ; implicit-def: $vgpr5
	s_and_saveexec_b32 s7, vcc_lo
	s_delay_alu instid0(SALU_CYCLE_1)
	s_xor_b32 s7, exec_lo, s7
	s_cbranch_execz .LBB135_4108
; %bb.3665:
	v_bfe_u32 v5, v3, 21, 1
	s_mov_b32 s6, exec_lo
	s_delay_alu instid0(VALU_DEP_1) | instskip(NEXT) | instid1(VALU_DEP_1)
	v_add3_u32 v5, v3, v5, 0x88fffff
	v_lshrrev_b32_e32 v5, 21, v5
	s_and_not1_saveexec_b32 s7, s7
	s_cbranch_execnz .LBB135_4109
.LBB135_3666:
	s_or_b32 exec_lo, exec_lo, s7
	v_mov_b32_e32 v8, 0
	s_and_saveexec_b32 s7, s6
.LBB135_3667:
	v_lshrrev_b32_e32 v3, 24, v3
	s_delay_alu instid0(VALU_DEP_1)
	v_and_or_b32 v8, 0x80, v3, v5
.LBB135_3668:
	s_or_b32 exec_lo, exec_lo, s7
.LBB135_3669:
	s_delay_alu instid0(SALU_CYCLE_1)
	s_or_b32 exec_lo, exec_lo, s3
	s_mov_b32 s3, 0
	global_store_b8 v[6:7], v8, off
.LBB135_3670:
	s_and_b32 vcc_lo, exec_lo, s3
	s_cbranch_vccz .LBB135_3680
; %bb.3671:
	s_wait_xcnt 0x0
	v_bfe_i32 v3, v1, 0, 16
	s_mov_b32 s3, exec_lo
                                        ; implicit-def: $vgpr5
	s_delay_alu instid0(VALU_DEP_1) | instskip(NEXT) | instid1(VALU_DEP_1)
	v_cvt_f32_i32_e32 v3, v3
	v_and_b32_e32 v8, 0x7fffffff, v3
	s_delay_alu instid0(VALU_DEP_1)
	v_cmpx_gt_u32_e32 0x43f00000, v8
	s_xor_b32 s3, exec_lo, s3
	s_cbranch_execz .LBB135_3677
; %bb.3672:
	s_mov_b32 s6, exec_lo
                                        ; implicit-def: $vgpr5
	v_cmpx_lt_u32_e32 0x3c7fffff, v8
	s_xor_b32 s6, exec_lo, s6
; %bb.3673:
	v_bfe_u32 v5, v3, 20, 1
	s_delay_alu instid0(VALU_DEP_1) | instskip(NEXT) | instid1(VALU_DEP_1)
	v_add3_u32 v5, v3, v5, 0x407ffff
	v_and_b32_e32 v8, 0xff00000, v5
	v_lshrrev_b32_e32 v5, 20, v5
	s_delay_alu instid0(VALU_DEP_2) | instskip(NEXT) | instid1(VALU_DEP_2)
	v_cmp_ne_u32_e32 vcc_lo, 0x7f00000, v8
	v_cndmask_b32_e32 v5, 0x7e, v5, vcc_lo
; %bb.3674:
	s_and_not1_saveexec_b32 s6, s6
; %bb.3675:
	v_add_f32_e64 v5, 0x46800000, |v3|
; %bb.3676:
	s_or_b32 exec_lo, exec_lo, s6
                                        ; implicit-def: $vgpr8
.LBB135_3677:
	s_and_not1_saveexec_b32 s3, s3
; %bb.3678:
	v_mov_b32_e32 v5, 0x7f
	v_cmp_lt_u32_e32 vcc_lo, 0x7f800000, v8
	s_delay_alu instid0(VALU_DEP_2)
	v_cndmask_b32_e32 v5, 0x7e, v5, vcc_lo
; %bb.3679:
	s_or_b32 exec_lo, exec_lo, s3
	v_lshrrev_b32_e32 v3, 24, v3
	s_delay_alu instid0(VALU_DEP_1)
	v_and_or_b32 v3, 0x80, v3, v5
	global_store_b8 v[6:7], v3, off
.LBB135_3680:
	s_mov_b32 s3, 0
.LBB135_3681:
	s_delay_alu instid0(SALU_CYCLE_1)
	s_and_not1_b32 vcc_lo, exec_lo, s3
	s_cbranch_vccnz .LBB135_3691
; %bb.3682:
	s_wait_xcnt 0x0
	v_bfe_i32 v3, v1, 0, 16
	s_mov_b32 s3, exec_lo
                                        ; implicit-def: $vgpr5
	s_delay_alu instid0(VALU_DEP_1) | instskip(NEXT) | instid1(VALU_DEP_1)
	v_cvt_f32_i32_e32 v3, v3
	v_and_b32_e32 v8, 0x7fffffff, v3
	s_delay_alu instid0(VALU_DEP_1)
	v_cmpx_gt_u32_e32 0x47800000, v8
	s_xor_b32 s3, exec_lo, s3
	s_cbranch_execz .LBB135_3688
; %bb.3683:
	s_mov_b32 s6, exec_lo
                                        ; implicit-def: $vgpr5
	v_cmpx_lt_u32_e32 0x387fffff, v8
	s_xor_b32 s6, exec_lo, s6
; %bb.3684:
	v_bfe_u32 v5, v3, 21, 1
	s_delay_alu instid0(VALU_DEP_1) | instskip(NEXT) | instid1(VALU_DEP_1)
	v_add3_u32 v5, v3, v5, 0x80fffff
	v_lshrrev_b32_e32 v5, 21, v5
; %bb.3685:
	s_and_not1_saveexec_b32 s6, s6
; %bb.3686:
	v_add_f32_e64 v5, 0x43000000, |v3|
; %bb.3687:
	s_or_b32 exec_lo, exec_lo, s6
                                        ; implicit-def: $vgpr8
.LBB135_3688:
	s_and_not1_saveexec_b32 s3, s3
; %bb.3689:
	v_mov_b32_e32 v5, 0x7f
	v_cmp_lt_u32_e32 vcc_lo, 0x7f800000, v8
	s_delay_alu instid0(VALU_DEP_2)
	v_cndmask_b32_e32 v5, 0x7c, v5, vcc_lo
; %bb.3690:
	s_or_b32 exec_lo, exec_lo, s3
	v_lshrrev_b32_e32 v3, 24, v3
	s_delay_alu instid0(VALU_DEP_1)
	v_and_or_b32 v3, 0x80, v3, v5
	global_store_b8 v[6:7], v3, off
.LBB135_3691:
	s_mov_b32 s3, 0
	s_mov_b32 s6, -1
.LBB135_3692:
	s_and_not1_b32 vcc_lo, exec_lo, s3
	s_mov_b32 s3, 0
	s_cbranch_vccnz .LBB135_3699
; %bb.3693:
	s_cmp_gt_i32 s2, 14
	s_mov_b32 s3, -1
	s_cbranch_scc0 .LBB135_3697
; %bb.3694:
	s_cmp_eq_u32 s2, 15
	s_mov_b32 s0, -1
	s_cbranch_scc0 .LBB135_3696
; %bb.3695:
	s_wait_xcnt 0x0
	v_bfe_i32 v3, v1, 0, 16
	s_mov_b32 s0, 0
	s_mov_b32 s6, -1
	s_delay_alu instid0(VALU_DEP_1) | instskip(NEXT) | instid1(VALU_DEP_1)
	v_cvt_f32_i32_e32 v3, v3
	v_bfe_u32 v5, v3, 16, 1
	s_delay_alu instid0(VALU_DEP_1)
	v_add3_u32 v3, v3, v5, 0x7fff
	global_store_d16_hi_b16 v[6:7], v3, off
.LBB135_3696:
	s_mov_b32 s3, 0
.LBB135_3697:
	s_delay_alu instid0(SALU_CYCLE_1)
	s_and_b32 vcc_lo, exec_lo, s3
	s_mov_b32 s3, 0
	s_cbranch_vccz .LBB135_3699
; %bb.3698:
	s_cmp_lg_u32 s2, 11
	s_mov_b32 s3, -1
	s_cselect_b32 s0, -1, 0
.LBB135_3699:
	s_delay_alu instid0(SALU_CYCLE_1)
	s_and_b32 vcc_lo, exec_lo, s0
	s_cbranch_vccnz .LBB135_4107
; %bb.3700:
	s_and_not1_b32 vcc_lo, exec_lo, s3
	s_cbranch_vccnz .LBB135_3702
.LBB135_3701:
	v_cmp_ne_u16_e32 vcc_lo, 0, v1
	s_mov_b32 s6, -1
	s_wait_xcnt 0x0
	v_cndmask_b32_e64 v3, 0, 1, vcc_lo
	global_store_b8 v[6:7], v3, off
.LBB135_3702:
	s_mov_b32 s0, 0
	s_branch .LBB135_3704
.LBB135_3703:
	s_mov_b32 s0, -1
	s_mov_b32 s6, 0
.LBB135_3704:
	s_and_b32 vcc_lo, exec_lo, s0
	s_cbranch_vccz .LBB135_3743
; %bb.3705:
	s_and_b32 s0, 0xffff, s1
	s_mov_b32 s2, -1
	s_cmp_lt_i32 s0, 5
	s_cbranch_scc1 .LBB135_3726
; %bb.3706:
	s_cmp_lt_i32 s0, 8
	s_cbranch_scc1 .LBB135_3716
; %bb.3707:
	;; [unrolled: 3-line block ×3, first 2 shown]
	s_cmp_gt_i32 s0, 9
	s_cbranch_scc0 .LBB135_3710
; %bb.3709:
	s_wait_xcnt 0x0
	v_bfe_i32 v3, v1, 0, 16
	v_mov_b32_e32 v34, 0
	s_mov_b32 s2, 0
	s_delay_alu instid0(VALU_DEP_2) | instskip(NEXT) | instid1(VALU_DEP_2)
	v_cvt_f64_i32_e32 v[32:33], v3
	v_mov_b32_e32 v35, v34
	global_store_b128 v[6:7], v[32:35], off
.LBB135_3710:
	s_and_not1_b32 vcc_lo, exec_lo, s2
	s_cbranch_vccnz .LBB135_3712
; %bb.3711:
	s_wait_xcnt 0x0
	v_bfe_i32 v3, v1, 0, 16
	v_mov_b32_e32 v9, 0
	s_delay_alu instid0(VALU_DEP_2)
	v_cvt_f32_i32_e32 v8, v3
	global_store_b64 v[6:7], v[8:9], off
.LBB135_3712:
	s_mov_b32 s2, 0
.LBB135_3713:
	s_delay_alu instid0(SALU_CYCLE_1)
	s_and_not1_b32 vcc_lo, exec_lo, s2
	s_cbranch_vccnz .LBB135_3715
; %bb.3714:
	s_wait_xcnt 0x0
	v_cvt_f16_i16_e32 v3, v1
	s_delay_alu instid0(VALU_DEP_1)
	v_and_b32_e32 v3, 0xffff, v3
	global_store_b32 v[6:7], v3, off
.LBB135_3715:
	s_mov_b32 s2, 0
.LBB135_3716:
	s_delay_alu instid0(SALU_CYCLE_1)
	s_and_not1_b32 vcc_lo, exec_lo, s2
	s_cbranch_vccnz .LBB135_3725
; %bb.3717:
	s_cmp_lt_i32 s0, 6
	s_mov_b32 s2, -1
	s_cbranch_scc1 .LBB135_3723
; %bb.3718:
	s_cmp_gt_i32 s0, 6
	s_cbranch_scc0 .LBB135_3720
; %bb.3719:
	s_wait_xcnt 0x0
	v_bfe_i32 v3, v1, 0, 16
	s_mov_b32 s2, 0
	s_delay_alu instid0(VALU_DEP_1)
	v_cvt_f64_i32_e32 v[8:9], v3
	global_store_b64 v[6:7], v[8:9], off
.LBB135_3720:
	s_and_not1_b32 vcc_lo, exec_lo, s2
	s_cbranch_vccnz .LBB135_3722
; %bb.3721:
	s_wait_xcnt 0x0
	v_bfe_i32 v3, v1, 0, 16
	s_delay_alu instid0(VALU_DEP_1)
	v_cvt_f32_i32_e32 v3, v3
	global_store_b32 v[6:7], v3, off
.LBB135_3722:
	s_mov_b32 s2, 0
.LBB135_3723:
	s_delay_alu instid0(SALU_CYCLE_1)
	s_and_not1_b32 vcc_lo, exec_lo, s2
	s_cbranch_vccnz .LBB135_3725
; %bb.3724:
	s_wait_xcnt 0x0
	v_cvt_f16_i16_e32 v3, v1
	global_store_b16 v[6:7], v3, off
.LBB135_3725:
	s_mov_b32 s2, 0
.LBB135_3726:
	s_delay_alu instid0(SALU_CYCLE_1)
	s_and_not1_b32 vcc_lo, exec_lo, s2
	s_cbranch_vccnz .LBB135_3742
; %bb.3727:
	s_cmp_lt_i32 s0, 2
	s_mov_b32 s2, -1
	s_cbranch_scc1 .LBB135_3737
; %bb.3728:
	s_cmp_lt_i32 s0, 3
	s_cbranch_scc1 .LBB135_3734
; %bb.3729:
	s_wait_xcnt 0x0
	v_bfe_i32 v8, v1, 0, 16
	s_cmp_gt_i32 s0, 3
	s_cbranch_scc0 .LBB135_3731
; %bb.3730:
	s_delay_alu instid0(VALU_DEP_1)
	v_ashrrev_i32_e32 v9, 31, v8
	s_mov_b32 s2, 0
	global_store_b64 v[6:7], v[8:9], off
.LBB135_3731:
	s_and_not1_b32 vcc_lo, exec_lo, s2
	s_cbranch_vccnz .LBB135_3733
; %bb.3732:
	global_store_b32 v[6:7], v8, off
.LBB135_3733:
	s_mov_b32 s2, 0
.LBB135_3734:
	s_delay_alu instid0(SALU_CYCLE_1)
	s_and_not1_b32 vcc_lo, exec_lo, s2
	s_cbranch_vccnz .LBB135_3736
; %bb.3735:
	global_store_b16 v[6:7], v1, off
.LBB135_3736:
	s_mov_b32 s2, 0
.LBB135_3737:
	s_delay_alu instid0(SALU_CYCLE_1)
	s_and_not1_b32 vcc_lo, exec_lo, s2
	s_cbranch_vccnz .LBB135_3742
; %bb.3738:
	s_cmp_gt_i32 s0, 0
	s_mov_b32 s0, -1
	s_cbranch_scc0 .LBB135_3740
; %bb.3739:
	s_mov_b32 s0, 0
	global_store_b8 v[6:7], v1, off
.LBB135_3740:
	s_and_not1_b32 vcc_lo, exec_lo, s0
	s_cbranch_vccnz .LBB135_3742
; %bb.3741:
	global_store_b8 v[6:7], v1, off
.LBB135_3742:
	s_mov_b32 s6, -1
.LBB135_3743:
	s_delay_alu instid0(SALU_CYCLE_1)
	s_and_not1_b32 vcc_lo, exec_lo, s6
	s_cbranch_vccnz .LBB135_4058
; %bb.3744:
	s_wait_xcnt 0x0
	v_mov_b32_e32 v5, 0
	v_max_i16 v1, v16, v22
	s_and_b32 s2, 0xffff, s1
	s_delay_alu instid0(SALU_CYCLE_1) | instskip(NEXT) | instid1(VALU_DEP_2)
	s_cmp_lt_i32 s2, 11
	v_add_nc_u64_e32 v[4:5], s[4:5], v[4:5]
	s_delay_alu instid0(VALU_DEP_2)
	v_min_i16 v1, v1, v28
	s_cbranch_scc1 .LBB135_3822
; %bb.3745:
	s_mov_b32 s7, -1
	s_mov_b32 s3, 0
	s_cmp_gt_i32 s2, 25
	s_mov_b32 s6, 0
	s_mov_b32 s0, 0
	s_cbranch_scc0 .LBB135_3778
; %bb.3746:
	s_cmp_gt_i32 s2, 28
	s_cbranch_scc0 .LBB135_3761
; %bb.3747:
	s_cmp_gt_i32 s2, 43
	s_cbranch_scc0 .LBB135_3757
; %bb.3748:
	s_cmp_gt_i32 s2, 45
	s_cbranch_scc0 .LBB135_3751
; %bb.3749:
	s_mov_b32 s0, -1
	s_mov_b32 s7, 0
	s_cmp_eq_u32 s2, 46
	s_cbranch_scc0 .LBB135_3751
; %bb.3750:
	v_bfe_i32 v3, v1, 0, 16
	s_mov_b32 s0, 0
	s_mov_b32 s6, -1
	s_delay_alu instid0(VALU_DEP_1) | instskip(NEXT) | instid1(VALU_DEP_1)
	v_cvt_f32_i32_e32 v3, v3
	v_bfe_u32 v6, v3, 16, 1
	s_delay_alu instid0(VALU_DEP_1) | instskip(NEXT) | instid1(VALU_DEP_1)
	v_add3_u32 v3, v3, v6, 0x7fff
	v_lshrrev_b32_e32 v3, 16, v3
	global_store_b32 v[4:5], v3, off
.LBB135_3751:
	s_and_b32 vcc_lo, exec_lo, s7
	s_cbranch_vccz .LBB135_3756
; %bb.3752:
	s_cmp_eq_u32 s2, 44
	s_mov_b32 s0, -1
	s_cbranch_scc0 .LBB135_3756
; %bb.3753:
	s_wait_xcnt 0x0
	v_bfe_i32 v3, v1, 0, 16
	v_mov_b32_e32 v6, 0xff
	s_mov_b32 s6, exec_lo
	s_delay_alu instid0(VALU_DEP_2) | instskip(NEXT) | instid1(VALU_DEP_1)
	v_cvt_f32_i32_e32 v3, v3
	v_bfe_u32 v7, v3, 23, 8
	s_delay_alu instid0(VALU_DEP_1)
	v_cmpx_ne_u32_e32 0xff, v7
	s_cbranch_execz .LBB135_3755
; %bb.3754:
	v_and_b32_e32 v6, 0x400000, v3
	v_and_or_b32 v7, 0x3fffff, v3, v7
	v_lshrrev_b32_e32 v3, 23, v3
	s_delay_alu instid0(VALU_DEP_3) | instskip(NEXT) | instid1(VALU_DEP_3)
	v_cmp_ne_u32_e32 vcc_lo, 0, v6
	v_cmp_ne_u32_e64 s0, 0, v7
	s_and_b32 s0, vcc_lo, s0
	s_delay_alu instid0(SALU_CYCLE_1) | instskip(NEXT) | instid1(VALU_DEP_1)
	v_cndmask_b32_e64 v6, 0, 1, s0
	v_add_nc_u32_e32 v6, v3, v6
.LBB135_3755:
	s_or_b32 exec_lo, exec_lo, s6
	s_mov_b32 s0, 0
	s_mov_b32 s6, -1
	global_store_b8 v[4:5], v6, off
.LBB135_3756:
	s_mov_b32 s7, 0
.LBB135_3757:
	s_delay_alu instid0(SALU_CYCLE_1)
	s_and_b32 vcc_lo, exec_lo, s7
	s_cbranch_vccz .LBB135_3760
; %bb.3758:
	s_cmp_eq_u32 s2, 29
	s_mov_b32 s0, -1
	s_cbranch_scc0 .LBB135_3760
; %bb.3759:
	s_wait_xcnt 0x0
	v_bfe_i32 v6, v1, 0, 16
	s_mov_b32 s0, 0
	s_mov_b32 s6, -1
	s_delay_alu instid0(VALU_DEP_1)
	v_ashrrev_i32_e32 v7, 31, v6
	global_store_b64 v[4:5], v[6:7], off
.LBB135_3760:
	s_mov_b32 s7, 0
.LBB135_3761:
	s_delay_alu instid0(SALU_CYCLE_1)
	s_and_b32 vcc_lo, exec_lo, s7
	s_cbranch_vccz .LBB135_3777
; %bb.3762:
	s_cmp_lt_i32 s2, 27
	s_mov_b32 s6, -1
	s_cbranch_scc1 .LBB135_3768
; %bb.3763:
	s_cmp_gt_i32 s2, 27
	s_cbranch_scc0 .LBB135_3765
; %bb.3764:
	s_wait_xcnt 0x0
	v_bfe_i32 v3, v1, 0, 16
	s_mov_b32 s6, 0
	global_store_b32 v[4:5], v3, off
.LBB135_3765:
	s_and_not1_b32 vcc_lo, exec_lo, s6
	s_cbranch_vccnz .LBB135_3767
; %bb.3766:
	global_store_b16 v[4:5], v1, off
.LBB135_3767:
	s_mov_b32 s6, 0
.LBB135_3768:
	s_delay_alu instid0(SALU_CYCLE_1)
	s_and_not1_b32 vcc_lo, exec_lo, s6
	s_cbranch_vccnz .LBB135_3776
; %bb.3769:
	s_wait_xcnt 0x0
	v_bfe_i32 v3, v1, 0, 16
	v_mov_b32_e32 v7, 0x80
	s_mov_b32 s6, exec_lo
	s_delay_alu instid0(VALU_DEP_2) | instskip(NEXT) | instid1(VALU_DEP_1)
	v_cvt_f32_i32_e32 v3, v3
	v_and_b32_e32 v6, 0x7fffffff, v3
	s_delay_alu instid0(VALU_DEP_1)
	v_cmpx_gt_u32_e32 0x43800000, v6
	s_cbranch_execz .LBB135_3775
; %bb.3770:
	v_cmp_lt_u32_e32 vcc_lo, 0x3bffffff, v6
	s_mov_b32 s7, 0
                                        ; implicit-def: $vgpr6
	s_and_saveexec_b32 s8, vcc_lo
	s_delay_alu instid0(SALU_CYCLE_1)
	s_xor_b32 s8, exec_lo, s8
	s_cbranch_execz .LBB135_4110
; %bb.3771:
	v_bfe_u32 v6, v3, 20, 1
	s_mov_b32 s7, exec_lo
	s_delay_alu instid0(VALU_DEP_1) | instskip(NEXT) | instid1(VALU_DEP_1)
	v_add3_u32 v6, v3, v6, 0x487ffff
	v_lshrrev_b32_e32 v6, 20, v6
	s_and_not1_saveexec_b32 s8, s8
	s_cbranch_execnz .LBB135_4111
.LBB135_3772:
	s_or_b32 exec_lo, exec_lo, s8
	v_mov_b32_e32 v7, 0
	s_and_saveexec_b32 s8, s7
.LBB135_3773:
	v_lshrrev_b32_e32 v3, 24, v3
	s_delay_alu instid0(VALU_DEP_1)
	v_and_or_b32 v7, 0x80, v3, v6
.LBB135_3774:
	s_or_b32 exec_lo, exec_lo, s8
.LBB135_3775:
	s_delay_alu instid0(SALU_CYCLE_1)
	s_or_b32 exec_lo, exec_lo, s6
	global_store_b8 v[4:5], v7, off
.LBB135_3776:
	s_mov_b32 s6, -1
.LBB135_3777:
	s_mov_b32 s7, 0
.LBB135_3778:
	s_delay_alu instid0(SALU_CYCLE_1)
	s_and_b32 vcc_lo, exec_lo, s7
	s_cbranch_vccz .LBB135_3818
; %bb.3779:
	s_cmp_gt_i32 s2, 22
	s_mov_b32 s3, -1
	s_cbranch_scc0 .LBB135_3811
; %bb.3780:
	s_cmp_lt_i32 s2, 24
	s_cbranch_scc1 .LBB135_3800
; %bb.3781:
	s_cmp_gt_i32 s2, 24
	s_cbranch_scc0 .LBB135_3789
; %bb.3782:
	s_wait_xcnt 0x0
	v_bfe_i32 v3, v1, 0, 16
	v_mov_b32_e32 v7, 0x80
	s_mov_b32 s3, exec_lo
	s_delay_alu instid0(VALU_DEP_2) | instskip(NEXT) | instid1(VALU_DEP_1)
	v_cvt_f32_i32_e32 v3, v3
	v_and_b32_e32 v6, 0x7fffffff, v3
	s_delay_alu instid0(VALU_DEP_1)
	v_cmpx_gt_u32_e32 0x47800000, v6
	s_cbranch_execz .LBB135_3788
; %bb.3783:
	v_cmp_lt_u32_e32 vcc_lo, 0x37ffffff, v6
	s_mov_b32 s6, 0
                                        ; implicit-def: $vgpr6
	s_and_saveexec_b32 s7, vcc_lo
	s_delay_alu instid0(SALU_CYCLE_1)
	s_xor_b32 s7, exec_lo, s7
	s_cbranch_execz .LBB135_4113
; %bb.3784:
	v_bfe_u32 v6, v3, 21, 1
	s_mov_b32 s6, exec_lo
	s_delay_alu instid0(VALU_DEP_1) | instskip(NEXT) | instid1(VALU_DEP_1)
	v_add3_u32 v6, v3, v6, 0x88fffff
	v_lshrrev_b32_e32 v6, 21, v6
	s_and_not1_saveexec_b32 s7, s7
	s_cbranch_execnz .LBB135_4114
.LBB135_3785:
	s_or_b32 exec_lo, exec_lo, s7
	v_mov_b32_e32 v7, 0
	s_and_saveexec_b32 s7, s6
.LBB135_3786:
	v_lshrrev_b32_e32 v3, 24, v3
	s_delay_alu instid0(VALU_DEP_1)
	v_and_or_b32 v7, 0x80, v3, v6
.LBB135_3787:
	s_or_b32 exec_lo, exec_lo, s7
.LBB135_3788:
	s_delay_alu instid0(SALU_CYCLE_1)
	s_or_b32 exec_lo, exec_lo, s3
	s_mov_b32 s3, 0
	global_store_b8 v[4:5], v7, off
.LBB135_3789:
	s_and_b32 vcc_lo, exec_lo, s3
	s_cbranch_vccz .LBB135_3799
; %bb.3790:
	s_wait_xcnt 0x0
	v_bfe_i32 v3, v1, 0, 16
	s_mov_b32 s3, exec_lo
                                        ; implicit-def: $vgpr6
	s_delay_alu instid0(VALU_DEP_1) | instskip(NEXT) | instid1(VALU_DEP_1)
	v_cvt_f32_i32_e32 v3, v3
	v_and_b32_e32 v7, 0x7fffffff, v3
	s_delay_alu instid0(VALU_DEP_1)
	v_cmpx_gt_u32_e32 0x43f00000, v7
	s_xor_b32 s3, exec_lo, s3
	s_cbranch_execz .LBB135_3796
; %bb.3791:
	s_mov_b32 s6, exec_lo
                                        ; implicit-def: $vgpr6
	v_cmpx_lt_u32_e32 0x3c7fffff, v7
	s_xor_b32 s6, exec_lo, s6
; %bb.3792:
	v_bfe_u32 v6, v3, 20, 1
	s_delay_alu instid0(VALU_DEP_1) | instskip(NEXT) | instid1(VALU_DEP_1)
	v_add3_u32 v6, v3, v6, 0x407ffff
	v_and_b32_e32 v7, 0xff00000, v6
	v_lshrrev_b32_e32 v6, 20, v6
	s_delay_alu instid0(VALU_DEP_2) | instskip(NEXT) | instid1(VALU_DEP_2)
	v_cmp_ne_u32_e32 vcc_lo, 0x7f00000, v7
	v_cndmask_b32_e32 v6, 0x7e, v6, vcc_lo
; %bb.3793:
	s_and_not1_saveexec_b32 s6, s6
; %bb.3794:
	v_add_f32_e64 v6, 0x46800000, |v3|
; %bb.3795:
	s_or_b32 exec_lo, exec_lo, s6
                                        ; implicit-def: $vgpr7
.LBB135_3796:
	s_and_not1_saveexec_b32 s3, s3
; %bb.3797:
	v_mov_b32_e32 v6, 0x7f
	v_cmp_lt_u32_e32 vcc_lo, 0x7f800000, v7
	s_delay_alu instid0(VALU_DEP_2)
	v_cndmask_b32_e32 v6, 0x7e, v6, vcc_lo
; %bb.3798:
	s_or_b32 exec_lo, exec_lo, s3
	v_lshrrev_b32_e32 v3, 24, v3
	s_delay_alu instid0(VALU_DEP_1)
	v_and_or_b32 v3, 0x80, v3, v6
	global_store_b8 v[4:5], v3, off
.LBB135_3799:
	s_mov_b32 s3, 0
.LBB135_3800:
	s_delay_alu instid0(SALU_CYCLE_1)
	s_and_not1_b32 vcc_lo, exec_lo, s3
	s_cbranch_vccnz .LBB135_3810
; %bb.3801:
	s_wait_xcnt 0x0
	v_bfe_i32 v3, v1, 0, 16
	s_mov_b32 s3, exec_lo
                                        ; implicit-def: $vgpr6
	s_delay_alu instid0(VALU_DEP_1) | instskip(NEXT) | instid1(VALU_DEP_1)
	v_cvt_f32_i32_e32 v3, v3
	v_and_b32_e32 v7, 0x7fffffff, v3
	s_delay_alu instid0(VALU_DEP_1)
	v_cmpx_gt_u32_e32 0x47800000, v7
	s_xor_b32 s3, exec_lo, s3
	s_cbranch_execz .LBB135_3807
; %bb.3802:
	s_mov_b32 s6, exec_lo
                                        ; implicit-def: $vgpr6
	v_cmpx_lt_u32_e32 0x387fffff, v7
	s_xor_b32 s6, exec_lo, s6
; %bb.3803:
	v_bfe_u32 v6, v3, 21, 1
	s_delay_alu instid0(VALU_DEP_1) | instskip(NEXT) | instid1(VALU_DEP_1)
	v_add3_u32 v6, v3, v6, 0x80fffff
	v_lshrrev_b32_e32 v6, 21, v6
; %bb.3804:
	s_and_not1_saveexec_b32 s6, s6
; %bb.3805:
	v_add_f32_e64 v6, 0x43000000, |v3|
; %bb.3806:
	s_or_b32 exec_lo, exec_lo, s6
                                        ; implicit-def: $vgpr7
.LBB135_3807:
	s_and_not1_saveexec_b32 s3, s3
; %bb.3808:
	v_mov_b32_e32 v6, 0x7f
	v_cmp_lt_u32_e32 vcc_lo, 0x7f800000, v7
	s_delay_alu instid0(VALU_DEP_2)
	v_cndmask_b32_e32 v6, 0x7c, v6, vcc_lo
; %bb.3809:
	s_or_b32 exec_lo, exec_lo, s3
	v_lshrrev_b32_e32 v3, 24, v3
	s_delay_alu instid0(VALU_DEP_1)
	v_and_or_b32 v3, 0x80, v3, v6
	global_store_b8 v[4:5], v3, off
.LBB135_3810:
	s_mov_b32 s3, 0
	s_mov_b32 s6, -1
.LBB135_3811:
	s_and_not1_b32 vcc_lo, exec_lo, s3
	s_mov_b32 s3, 0
	s_cbranch_vccnz .LBB135_3818
; %bb.3812:
	s_cmp_gt_i32 s2, 14
	s_mov_b32 s3, -1
	s_cbranch_scc0 .LBB135_3816
; %bb.3813:
	s_cmp_eq_u32 s2, 15
	s_mov_b32 s0, -1
	s_cbranch_scc0 .LBB135_3815
; %bb.3814:
	s_wait_xcnt 0x0
	v_bfe_i32 v3, v1, 0, 16
	s_mov_b32 s0, 0
	s_mov_b32 s6, -1
	s_delay_alu instid0(VALU_DEP_1) | instskip(NEXT) | instid1(VALU_DEP_1)
	v_cvt_f32_i32_e32 v3, v3
	v_bfe_u32 v6, v3, 16, 1
	s_delay_alu instid0(VALU_DEP_1)
	v_add3_u32 v3, v3, v6, 0x7fff
	global_store_d16_hi_b16 v[4:5], v3, off
.LBB135_3815:
	s_mov_b32 s3, 0
.LBB135_3816:
	s_delay_alu instid0(SALU_CYCLE_1)
	s_and_b32 vcc_lo, exec_lo, s3
	s_mov_b32 s3, 0
	s_cbranch_vccz .LBB135_3818
; %bb.3817:
	s_cmp_lg_u32 s2, 11
	s_mov_b32 s3, -1
	s_cselect_b32 s0, -1, 0
.LBB135_3818:
	s_delay_alu instid0(SALU_CYCLE_1)
	s_and_b32 vcc_lo, exec_lo, s0
	s_cbranch_vccnz .LBB135_4112
; %bb.3819:
	s_and_not1_b32 vcc_lo, exec_lo, s3
	s_cbranch_vccnz .LBB135_3821
.LBB135_3820:
	v_cmp_ne_u16_e32 vcc_lo, 0, v1
	s_mov_b32 s6, -1
	s_wait_xcnt 0x0
	v_cndmask_b32_e64 v3, 0, 1, vcc_lo
	global_store_b8 v[4:5], v3, off
.LBB135_3821:
	s_mov_b32 s0, 0
	s_branch .LBB135_3823
.LBB135_3822:
	s_mov_b32 s0, -1
	s_mov_b32 s6, 0
.LBB135_3823:
	s_and_b32 vcc_lo, exec_lo, s0
	s_cbranch_vccz .LBB135_3862
; %bb.3824:
	s_cmp_lt_i32 s2, 5
	s_mov_b32 s0, -1
	s_cbranch_scc1 .LBB135_3845
; %bb.3825:
	s_cmp_lt_i32 s2, 8
	s_cbranch_scc1 .LBB135_3835
; %bb.3826:
	s_cmp_lt_i32 s2, 9
	s_cbranch_scc1 .LBB135_3832
; %bb.3827:
	s_cmp_gt_i32 s2, 9
	s_cbranch_scc0 .LBB135_3829
; %bb.3828:
	s_wait_xcnt 0x0
	v_bfe_i32 v3, v1, 0, 16
	v_mov_b32_e32 v8, 0
	s_mov_b32 s0, 0
	s_delay_alu instid0(VALU_DEP_2) | instskip(NEXT) | instid1(VALU_DEP_2)
	v_cvt_f64_i32_e32 v[6:7], v3
	v_mov_b32_e32 v9, v8
	global_store_b128 v[4:5], v[6:9], off
.LBB135_3829:
	s_and_not1_b32 vcc_lo, exec_lo, s0
	s_cbranch_vccnz .LBB135_3831
; %bb.3830:
	s_wait_xcnt 0x0
	v_bfe_i32 v3, v1, 0, 16
	v_mov_b32_e32 v7, 0
	s_delay_alu instid0(VALU_DEP_2)
	v_cvt_f32_i32_e32 v6, v3
	global_store_b64 v[4:5], v[6:7], off
.LBB135_3831:
	s_mov_b32 s0, 0
.LBB135_3832:
	s_delay_alu instid0(SALU_CYCLE_1)
	s_and_not1_b32 vcc_lo, exec_lo, s0
	s_cbranch_vccnz .LBB135_3834
; %bb.3833:
	s_wait_xcnt 0x0
	v_cvt_f16_i16_e32 v3, v1
	s_delay_alu instid0(VALU_DEP_1)
	v_and_b32_e32 v3, 0xffff, v3
	global_store_b32 v[4:5], v3, off
.LBB135_3834:
	s_mov_b32 s0, 0
.LBB135_3835:
	s_delay_alu instid0(SALU_CYCLE_1)
	s_and_not1_b32 vcc_lo, exec_lo, s0
	s_cbranch_vccnz .LBB135_3844
; %bb.3836:
	s_cmp_lt_i32 s2, 6
	s_mov_b32 s0, -1
	s_cbranch_scc1 .LBB135_3842
; %bb.3837:
	s_cmp_gt_i32 s2, 6
	s_cbranch_scc0 .LBB135_3839
; %bb.3838:
	s_wait_xcnt 0x0
	v_bfe_i32 v3, v1, 0, 16
	s_mov_b32 s0, 0
	s_delay_alu instid0(VALU_DEP_1)
	v_cvt_f64_i32_e32 v[6:7], v3
	global_store_b64 v[4:5], v[6:7], off
.LBB135_3839:
	s_and_not1_b32 vcc_lo, exec_lo, s0
	s_cbranch_vccnz .LBB135_3841
; %bb.3840:
	s_wait_xcnt 0x0
	v_bfe_i32 v3, v1, 0, 16
	s_delay_alu instid0(VALU_DEP_1)
	v_cvt_f32_i32_e32 v3, v3
	global_store_b32 v[4:5], v3, off
.LBB135_3841:
	s_mov_b32 s0, 0
.LBB135_3842:
	s_delay_alu instid0(SALU_CYCLE_1)
	s_and_not1_b32 vcc_lo, exec_lo, s0
	s_cbranch_vccnz .LBB135_3844
; %bb.3843:
	s_wait_xcnt 0x0
	v_cvt_f16_i16_e32 v3, v1
	global_store_b16 v[4:5], v3, off
.LBB135_3844:
	s_mov_b32 s0, 0
.LBB135_3845:
	s_delay_alu instid0(SALU_CYCLE_1)
	s_and_not1_b32 vcc_lo, exec_lo, s0
	s_cbranch_vccnz .LBB135_3861
; %bb.3846:
	s_cmp_lt_i32 s2, 2
	s_mov_b32 s0, -1
	s_cbranch_scc1 .LBB135_3856
; %bb.3847:
	s_cmp_lt_i32 s2, 3
	s_cbranch_scc1 .LBB135_3853
; %bb.3848:
	s_cmp_gt_i32 s2, 3
	s_cbranch_scc0 .LBB135_3850
; %bb.3849:
	s_wait_xcnt 0x0
	v_bfe_i32 v6, v1, 0, 16
	s_mov_b32 s0, 0
	s_delay_alu instid0(VALU_DEP_1)
	v_ashrrev_i32_e32 v7, 31, v6
	global_store_b64 v[4:5], v[6:7], off
.LBB135_3850:
	s_and_not1_b32 vcc_lo, exec_lo, s0
	s_cbranch_vccnz .LBB135_3852
; %bb.3851:
	s_wait_xcnt 0x0
	v_bfe_i32 v3, v1, 0, 16
	global_store_b32 v[4:5], v3, off
.LBB135_3852:
	s_mov_b32 s0, 0
.LBB135_3853:
	s_delay_alu instid0(SALU_CYCLE_1)
	s_and_not1_b32 vcc_lo, exec_lo, s0
	s_cbranch_vccnz .LBB135_3855
; %bb.3854:
	global_store_b16 v[4:5], v1, off
.LBB135_3855:
	s_mov_b32 s0, 0
.LBB135_3856:
	s_delay_alu instid0(SALU_CYCLE_1)
	s_and_not1_b32 vcc_lo, exec_lo, s0
	s_cbranch_vccnz .LBB135_3861
; %bb.3857:
	s_cmp_gt_i32 s2, 0
	s_mov_b32 s0, -1
	s_cbranch_scc0 .LBB135_3859
; %bb.3858:
	s_mov_b32 s0, 0
	global_store_b8 v[4:5], v1, off
.LBB135_3859:
	s_and_not1_b32 vcc_lo, exec_lo, s0
	s_cbranch_vccnz .LBB135_3861
; %bb.3860:
	global_store_b8 v[4:5], v1, off
.LBB135_3861:
	s_mov_b32 s6, -1
.LBB135_3862:
	s_delay_alu instid0(SALU_CYCLE_1)
	s_and_not1_b32 vcc_lo, exec_lo, s6
	s_cbranch_vccnz .LBB135_4058
; %bb.3863:
	s_wait_xcnt 0x0
	v_mov_b32_e32 v3, 0
	v_max_i16 v1, v26, v30
	s_cmp_lt_i32 s2, 11
	s_delay_alu instid0(VALU_DEP_2) | instskip(NEXT) | instid1(VALU_DEP_2)
	v_add_nc_u64_e32 v[2:3], s[4:5], v[2:3]
	v_min_i16 v1, v1, v24
	s_cbranch_scc1 .LBB135_3941
; %bb.3864:
	s_mov_b32 s7, -1
	s_mov_b32 s3, 0
	s_cmp_gt_i32 s2, 25
	s_mov_b32 s6, 0
	s_mov_b32 s0, 0
	s_cbranch_scc0 .LBB135_3897
; %bb.3865:
	s_cmp_gt_i32 s2, 28
	s_cbranch_scc0 .LBB135_3880
; %bb.3866:
	s_cmp_gt_i32 s2, 43
	;; [unrolled: 3-line block ×3, first 2 shown]
	s_cbranch_scc0 .LBB135_3870
; %bb.3868:
	s_mov_b32 s0, -1
	s_mov_b32 s7, 0
	s_cmp_eq_u32 s2, 46
	s_cbranch_scc0 .LBB135_3870
; %bb.3869:
	v_bfe_i32 v4, v1, 0, 16
	s_mov_b32 s0, 0
	s_mov_b32 s6, -1
	s_delay_alu instid0(VALU_DEP_1) | instskip(NEXT) | instid1(VALU_DEP_1)
	v_cvt_f32_i32_e32 v4, v4
	v_bfe_u32 v5, v4, 16, 1
	s_delay_alu instid0(VALU_DEP_1) | instskip(NEXT) | instid1(VALU_DEP_1)
	v_add3_u32 v4, v4, v5, 0x7fff
	v_lshrrev_b32_e32 v4, 16, v4
	global_store_b32 v[2:3], v4, off
.LBB135_3870:
	s_and_b32 vcc_lo, exec_lo, s7
	s_cbranch_vccz .LBB135_3875
; %bb.3871:
	s_cmp_eq_u32 s2, 44
	s_mov_b32 s0, -1
	s_cbranch_scc0 .LBB135_3875
; %bb.3872:
	s_wait_xcnt 0x0
	v_bfe_i32 v4, v1, 0, 16
	v_mov_b32_e32 v5, 0xff
	s_mov_b32 s6, exec_lo
	s_delay_alu instid0(VALU_DEP_2) | instskip(NEXT) | instid1(VALU_DEP_1)
	v_cvt_f32_i32_e32 v4, v4
	v_bfe_u32 v6, v4, 23, 8
	s_delay_alu instid0(VALU_DEP_1)
	v_cmpx_ne_u32_e32 0xff, v6
	s_cbranch_execz .LBB135_3874
; %bb.3873:
	v_and_b32_e32 v5, 0x400000, v4
	v_and_or_b32 v6, 0x3fffff, v4, v6
	v_lshrrev_b32_e32 v4, 23, v4
	s_delay_alu instid0(VALU_DEP_3) | instskip(NEXT) | instid1(VALU_DEP_3)
	v_cmp_ne_u32_e32 vcc_lo, 0, v5
	v_cmp_ne_u32_e64 s0, 0, v6
	s_and_b32 s0, vcc_lo, s0
	s_delay_alu instid0(SALU_CYCLE_1) | instskip(NEXT) | instid1(VALU_DEP_1)
	v_cndmask_b32_e64 v5, 0, 1, s0
	v_add_nc_u32_e32 v5, v4, v5
.LBB135_3874:
	s_or_b32 exec_lo, exec_lo, s6
	s_mov_b32 s0, 0
	s_mov_b32 s6, -1
	global_store_b8 v[2:3], v5, off
.LBB135_3875:
	s_mov_b32 s7, 0
.LBB135_3876:
	s_delay_alu instid0(SALU_CYCLE_1)
	s_and_b32 vcc_lo, exec_lo, s7
	s_cbranch_vccz .LBB135_3879
; %bb.3877:
	s_cmp_eq_u32 s2, 29
	s_mov_b32 s0, -1
	s_cbranch_scc0 .LBB135_3879
; %bb.3878:
	s_wait_xcnt 0x0
	v_bfe_i32 v4, v1, 0, 16
	s_mov_b32 s0, 0
	s_mov_b32 s6, -1
	s_delay_alu instid0(VALU_DEP_1)
	v_ashrrev_i32_e32 v5, 31, v4
	global_store_b64 v[2:3], v[4:5], off
.LBB135_3879:
	s_mov_b32 s7, 0
.LBB135_3880:
	s_delay_alu instid0(SALU_CYCLE_1)
	s_and_b32 vcc_lo, exec_lo, s7
	s_cbranch_vccz .LBB135_3896
; %bb.3881:
	s_cmp_lt_i32 s2, 27
	s_mov_b32 s6, -1
	s_cbranch_scc1 .LBB135_3887
; %bb.3882:
	s_cmp_gt_i32 s2, 27
	s_cbranch_scc0 .LBB135_3884
; %bb.3883:
	s_wait_xcnt 0x0
	v_bfe_i32 v4, v1, 0, 16
	s_mov_b32 s6, 0
	global_store_b32 v[2:3], v4, off
.LBB135_3884:
	s_and_not1_b32 vcc_lo, exec_lo, s6
	s_cbranch_vccnz .LBB135_3886
; %bb.3885:
	global_store_b16 v[2:3], v1, off
.LBB135_3886:
	s_mov_b32 s6, 0
.LBB135_3887:
	s_delay_alu instid0(SALU_CYCLE_1)
	s_and_not1_b32 vcc_lo, exec_lo, s6
	s_cbranch_vccnz .LBB135_3895
; %bb.3888:
	s_wait_xcnt 0x0
	v_bfe_i32 v4, v1, 0, 16
	v_mov_b32_e32 v6, 0x80
	s_mov_b32 s6, exec_lo
	s_delay_alu instid0(VALU_DEP_2) | instskip(NEXT) | instid1(VALU_DEP_1)
	v_cvt_f32_i32_e32 v4, v4
	v_and_b32_e32 v5, 0x7fffffff, v4
	s_delay_alu instid0(VALU_DEP_1)
	v_cmpx_gt_u32_e32 0x43800000, v5
	s_cbranch_execz .LBB135_3894
; %bb.3889:
	v_cmp_lt_u32_e32 vcc_lo, 0x3bffffff, v5
	s_mov_b32 s7, 0
                                        ; implicit-def: $vgpr5
	s_and_saveexec_b32 s8, vcc_lo
	s_delay_alu instid0(SALU_CYCLE_1)
	s_xor_b32 s8, exec_lo, s8
	s_cbranch_execz .LBB135_4115
; %bb.3890:
	v_bfe_u32 v5, v4, 20, 1
	s_mov_b32 s7, exec_lo
	s_delay_alu instid0(VALU_DEP_1) | instskip(NEXT) | instid1(VALU_DEP_1)
	v_add3_u32 v5, v4, v5, 0x487ffff
	v_lshrrev_b32_e32 v5, 20, v5
	s_and_not1_saveexec_b32 s8, s8
	s_cbranch_execnz .LBB135_4116
.LBB135_3891:
	s_or_b32 exec_lo, exec_lo, s8
	v_mov_b32_e32 v6, 0
	s_and_saveexec_b32 s8, s7
.LBB135_3892:
	v_lshrrev_b32_e32 v4, 24, v4
	s_delay_alu instid0(VALU_DEP_1)
	v_and_or_b32 v6, 0x80, v4, v5
.LBB135_3893:
	s_or_b32 exec_lo, exec_lo, s8
.LBB135_3894:
	s_delay_alu instid0(SALU_CYCLE_1)
	s_or_b32 exec_lo, exec_lo, s6
	global_store_b8 v[2:3], v6, off
.LBB135_3895:
	s_mov_b32 s6, -1
.LBB135_3896:
	s_mov_b32 s7, 0
.LBB135_3897:
	s_delay_alu instid0(SALU_CYCLE_1)
	s_and_b32 vcc_lo, exec_lo, s7
	s_cbranch_vccz .LBB135_3937
; %bb.3898:
	s_cmp_gt_i32 s2, 22
	s_mov_b32 s3, -1
	s_cbranch_scc0 .LBB135_3930
; %bb.3899:
	s_cmp_lt_i32 s2, 24
	s_cbranch_scc1 .LBB135_3919
; %bb.3900:
	s_cmp_gt_i32 s2, 24
	s_cbranch_scc0 .LBB135_3908
; %bb.3901:
	s_wait_xcnt 0x0
	v_bfe_i32 v4, v1, 0, 16
	v_mov_b32_e32 v6, 0x80
	s_mov_b32 s3, exec_lo
	s_delay_alu instid0(VALU_DEP_2) | instskip(NEXT) | instid1(VALU_DEP_1)
	v_cvt_f32_i32_e32 v4, v4
	v_and_b32_e32 v5, 0x7fffffff, v4
	s_delay_alu instid0(VALU_DEP_1)
	v_cmpx_gt_u32_e32 0x47800000, v5
	s_cbranch_execz .LBB135_3907
; %bb.3902:
	v_cmp_lt_u32_e32 vcc_lo, 0x37ffffff, v5
	s_mov_b32 s6, 0
                                        ; implicit-def: $vgpr5
	s_and_saveexec_b32 s7, vcc_lo
	s_delay_alu instid0(SALU_CYCLE_1)
	s_xor_b32 s7, exec_lo, s7
	s_cbranch_execz .LBB135_4118
; %bb.3903:
	v_bfe_u32 v5, v4, 21, 1
	s_mov_b32 s6, exec_lo
	s_delay_alu instid0(VALU_DEP_1) | instskip(NEXT) | instid1(VALU_DEP_1)
	v_add3_u32 v5, v4, v5, 0x88fffff
	v_lshrrev_b32_e32 v5, 21, v5
	s_and_not1_saveexec_b32 s7, s7
	s_cbranch_execnz .LBB135_4119
.LBB135_3904:
	s_or_b32 exec_lo, exec_lo, s7
	v_mov_b32_e32 v6, 0
	s_and_saveexec_b32 s7, s6
.LBB135_3905:
	v_lshrrev_b32_e32 v4, 24, v4
	s_delay_alu instid0(VALU_DEP_1)
	v_and_or_b32 v6, 0x80, v4, v5
.LBB135_3906:
	s_or_b32 exec_lo, exec_lo, s7
.LBB135_3907:
	s_delay_alu instid0(SALU_CYCLE_1)
	s_or_b32 exec_lo, exec_lo, s3
	s_mov_b32 s3, 0
	global_store_b8 v[2:3], v6, off
.LBB135_3908:
	s_and_b32 vcc_lo, exec_lo, s3
	s_cbranch_vccz .LBB135_3918
; %bb.3909:
	s_wait_xcnt 0x0
	v_bfe_i32 v4, v1, 0, 16
	s_mov_b32 s3, exec_lo
                                        ; implicit-def: $vgpr5
	s_delay_alu instid0(VALU_DEP_1) | instskip(NEXT) | instid1(VALU_DEP_1)
	v_cvt_f32_i32_e32 v4, v4
	v_and_b32_e32 v6, 0x7fffffff, v4
	s_delay_alu instid0(VALU_DEP_1)
	v_cmpx_gt_u32_e32 0x43f00000, v6
	s_xor_b32 s3, exec_lo, s3
	s_cbranch_execz .LBB135_3915
; %bb.3910:
	s_mov_b32 s6, exec_lo
                                        ; implicit-def: $vgpr5
	v_cmpx_lt_u32_e32 0x3c7fffff, v6
	s_xor_b32 s6, exec_lo, s6
; %bb.3911:
	v_bfe_u32 v5, v4, 20, 1
	s_delay_alu instid0(VALU_DEP_1) | instskip(NEXT) | instid1(VALU_DEP_1)
	v_add3_u32 v5, v4, v5, 0x407ffff
	v_and_b32_e32 v6, 0xff00000, v5
	v_lshrrev_b32_e32 v5, 20, v5
	s_delay_alu instid0(VALU_DEP_2) | instskip(NEXT) | instid1(VALU_DEP_2)
	v_cmp_ne_u32_e32 vcc_lo, 0x7f00000, v6
	v_cndmask_b32_e32 v5, 0x7e, v5, vcc_lo
; %bb.3912:
	s_and_not1_saveexec_b32 s6, s6
; %bb.3913:
	v_add_f32_e64 v5, 0x46800000, |v4|
; %bb.3914:
	s_or_b32 exec_lo, exec_lo, s6
                                        ; implicit-def: $vgpr6
.LBB135_3915:
	s_and_not1_saveexec_b32 s3, s3
; %bb.3916:
	v_mov_b32_e32 v5, 0x7f
	v_cmp_lt_u32_e32 vcc_lo, 0x7f800000, v6
	s_delay_alu instid0(VALU_DEP_2)
	v_cndmask_b32_e32 v5, 0x7e, v5, vcc_lo
; %bb.3917:
	s_or_b32 exec_lo, exec_lo, s3
	v_lshrrev_b32_e32 v4, 24, v4
	s_delay_alu instid0(VALU_DEP_1)
	v_and_or_b32 v4, 0x80, v4, v5
	global_store_b8 v[2:3], v4, off
.LBB135_3918:
	s_mov_b32 s3, 0
.LBB135_3919:
	s_delay_alu instid0(SALU_CYCLE_1)
	s_and_not1_b32 vcc_lo, exec_lo, s3
	s_cbranch_vccnz .LBB135_3929
; %bb.3920:
	s_wait_xcnt 0x0
	v_bfe_i32 v4, v1, 0, 16
	s_mov_b32 s3, exec_lo
                                        ; implicit-def: $vgpr5
	s_delay_alu instid0(VALU_DEP_1) | instskip(NEXT) | instid1(VALU_DEP_1)
	v_cvt_f32_i32_e32 v4, v4
	v_and_b32_e32 v6, 0x7fffffff, v4
	s_delay_alu instid0(VALU_DEP_1)
	v_cmpx_gt_u32_e32 0x47800000, v6
	s_xor_b32 s3, exec_lo, s3
	s_cbranch_execz .LBB135_3926
; %bb.3921:
	s_mov_b32 s6, exec_lo
                                        ; implicit-def: $vgpr5
	v_cmpx_lt_u32_e32 0x387fffff, v6
	s_xor_b32 s6, exec_lo, s6
; %bb.3922:
	v_bfe_u32 v5, v4, 21, 1
	s_delay_alu instid0(VALU_DEP_1) | instskip(NEXT) | instid1(VALU_DEP_1)
	v_add3_u32 v5, v4, v5, 0x80fffff
	v_lshrrev_b32_e32 v5, 21, v5
; %bb.3923:
	s_and_not1_saveexec_b32 s6, s6
; %bb.3924:
	v_add_f32_e64 v5, 0x43000000, |v4|
; %bb.3925:
	s_or_b32 exec_lo, exec_lo, s6
                                        ; implicit-def: $vgpr6
.LBB135_3926:
	s_and_not1_saveexec_b32 s3, s3
; %bb.3927:
	v_mov_b32_e32 v5, 0x7f
	v_cmp_lt_u32_e32 vcc_lo, 0x7f800000, v6
	s_delay_alu instid0(VALU_DEP_2)
	v_cndmask_b32_e32 v5, 0x7c, v5, vcc_lo
; %bb.3928:
	s_or_b32 exec_lo, exec_lo, s3
	v_lshrrev_b32_e32 v4, 24, v4
	s_delay_alu instid0(VALU_DEP_1)
	v_and_or_b32 v4, 0x80, v4, v5
	global_store_b8 v[2:3], v4, off
.LBB135_3929:
	s_mov_b32 s3, 0
	s_mov_b32 s6, -1
.LBB135_3930:
	s_and_not1_b32 vcc_lo, exec_lo, s3
	s_mov_b32 s3, 0
	s_cbranch_vccnz .LBB135_3937
; %bb.3931:
	s_cmp_gt_i32 s2, 14
	s_mov_b32 s3, -1
	s_cbranch_scc0 .LBB135_3935
; %bb.3932:
	s_cmp_eq_u32 s2, 15
	s_mov_b32 s0, -1
	s_cbranch_scc0 .LBB135_3934
; %bb.3933:
	s_wait_xcnt 0x0
	v_bfe_i32 v4, v1, 0, 16
	s_mov_b32 s0, 0
	s_mov_b32 s6, -1
	s_delay_alu instid0(VALU_DEP_1) | instskip(NEXT) | instid1(VALU_DEP_1)
	v_cvt_f32_i32_e32 v4, v4
	v_bfe_u32 v5, v4, 16, 1
	s_delay_alu instid0(VALU_DEP_1)
	v_add3_u32 v4, v4, v5, 0x7fff
	global_store_d16_hi_b16 v[2:3], v4, off
.LBB135_3934:
	s_mov_b32 s3, 0
.LBB135_3935:
	s_delay_alu instid0(SALU_CYCLE_1)
	s_and_b32 vcc_lo, exec_lo, s3
	s_mov_b32 s3, 0
	s_cbranch_vccz .LBB135_3937
; %bb.3936:
	s_cmp_lg_u32 s2, 11
	s_mov_b32 s3, -1
	s_cselect_b32 s0, -1, 0
.LBB135_3937:
	s_delay_alu instid0(SALU_CYCLE_1)
	s_and_b32 vcc_lo, exec_lo, s0
	s_cbranch_vccnz .LBB135_4117
; %bb.3938:
	s_and_not1_b32 vcc_lo, exec_lo, s3
	s_cbranch_vccnz .LBB135_3940
.LBB135_3939:
	v_cmp_ne_u16_e32 vcc_lo, 0, v1
	s_mov_b32 s6, -1
	s_wait_xcnt 0x0
	v_cndmask_b32_e64 v4, 0, 1, vcc_lo
	global_store_b8 v[2:3], v4, off
.LBB135_3940:
	s_mov_b32 s0, 0
	s_branch .LBB135_3942
.LBB135_3941:
	s_mov_b32 s0, -1
	s_mov_b32 s6, 0
.LBB135_3942:
	s_and_b32 vcc_lo, exec_lo, s0
	s_cbranch_vccz .LBB135_3981
; %bb.3943:
	s_cmp_lt_i32 s2, 5
	s_mov_b32 s0, -1
	s_cbranch_scc1 .LBB135_3964
; %bb.3944:
	s_cmp_lt_i32 s2, 8
	s_cbranch_scc1 .LBB135_3954
; %bb.3945:
	s_cmp_lt_i32 s2, 9
	s_cbranch_scc1 .LBB135_3951
; %bb.3946:
	s_cmp_gt_i32 s2, 9
	s_cbranch_scc0 .LBB135_3948
; %bb.3947:
	s_wait_xcnt 0x0
	v_bfe_i32 v4, v1, 0, 16
	v_mov_b32_e32 v6, 0
	s_mov_b32 s0, 0
	s_delay_alu instid0(VALU_DEP_2) | instskip(NEXT) | instid1(VALU_DEP_2)
	v_cvt_f64_i32_e32 v[4:5], v4
	v_mov_b32_e32 v7, v6
	global_store_b128 v[2:3], v[4:7], off
.LBB135_3948:
	s_and_not1_b32 vcc_lo, exec_lo, s0
	s_cbranch_vccnz .LBB135_3950
; %bb.3949:
	s_wait_xcnt 0x0
	v_bfe_i32 v4, v1, 0, 16
	v_mov_b32_e32 v5, 0
	s_delay_alu instid0(VALU_DEP_2)
	v_cvt_f32_i32_e32 v4, v4
	global_store_b64 v[2:3], v[4:5], off
.LBB135_3950:
	s_mov_b32 s0, 0
.LBB135_3951:
	s_delay_alu instid0(SALU_CYCLE_1)
	s_and_not1_b32 vcc_lo, exec_lo, s0
	s_cbranch_vccnz .LBB135_3953
; %bb.3952:
	s_wait_xcnt 0x0
	v_cvt_f16_i16_e32 v4, v1
	s_delay_alu instid0(VALU_DEP_1)
	v_and_b32_e32 v4, 0xffff, v4
	global_store_b32 v[2:3], v4, off
.LBB135_3953:
	s_mov_b32 s0, 0
.LBB135_3954:
	s_delay_alu instid0(SALU_CYCLE_1)
	s_and_not1_b32 vcc_lo, exec_lo, s0
	s_cbranch_vccnz .LBB135_3963
; %bb.3955:
	s_cmp_lt_i32 s2, 6
	s_mov_b32 s0, -1
	s_cbranch_scc1 .LBB135_3961
; %bb.3956:
	s_cmp_gt_i32 s2, 6
	s_cbranch_scc0 .LBB135_3958
; %bb.3957:
	s_wait_xcnt 0x0
	v_bfe_i32 v4, v1, 0, 16
	s_mov_b32 s0, 0
	s_delay_alu instid0(VALU_DEP_1)
	v_cvt_f64_i32_e32 v[4:5], v4
	global_store_b64 v[2:3], v[4:5], off
.LBB135_3958:
	s_and_not1_b32 vcc_lo, exec_lo, s0
	s_cbranch_vccnz .LBB135_3960
; %bb.3959:
	s_wait_xcnt 0x0
	v_bfe_i32 v4, v1, 0, 16
	s_delay_alu instid0(VALU_DEP_1)
	v_cvt_f32_i32_e32 v4, v4
	global_store_b32 v[2:3], v4, off
.LBB135_3960:
	s_mov_b32 s0, 0
.LBB135_3961:
	s_delay_alu instid0(SALU_CYCLE_1)
	s_and_not1_b32 vcc_lo, exec_lo, s0
	s_cbranch_vccnz .LBB135_3963
; %bb.3962:
	s_wait_xcnt 0x0
	v_cvt_f16_i16_e32 v4, v1
	global_store_b16 v[2:3], v4, off
.LBB135_3963:
	s_mov_b32 s0, 0
.LBB135_3964:
	s_delay_alu instid0(SALU_CYCLE_1)
	s_and_not1_b32 vcc_lo, exec_lo, s0
	s_cbranch_vccnz .LBB135_3980
; %bb.3965:
	s_cmp_lt_i32 s2, 2
	s_mov_b32 s0, -1
	s_cbranch_scc1 .LBB135_3975
; %bb.3966:
	s_cmp_lt_i32 s2, 3
	s_cbranch_scc1 .LBB135_3972
; %bb.3967:
	s_cmp_gt_i32 s2, 3
	s_cbranch_scc0 .LBB135_3969
; %bb.3968:
	s_wait_xcnt 0x0
	v_bfe_i32 v4, v1, 0, 16
	s_mov_b32 s0, 0
	s_delay_alu instid0(VALU_DEP_1)
	v_ashrrev_i32_e32 v5, 31, v4
	global_store_b64 v[2:3], v[4:5], off
.LBB135_3969:
	s_and_not1_b32 vcc_lo, exec_lo, s0
	s_cbranch_vccnz .LBB135_3971
; %bb.3970:
	s_wait_xcnt 0x0
	v_bfe_i32 v4, v1, 0, 16
	global_store_b32 v[2:3], v4, off
.LBB135_3971:
	s_mov_b32 s0, 0
.LBB135_3972:
	s_delay_alu instid0(SALU_CYCLE_1)
	s_and_not1_b32 vcc_lo, exec_lo, s0
	s_cbranch_vccnz .LBB135_3974
; %bb.3973:
	global_store_b16 v[2:3], v1, off
.LBB135_3974:
	s_mov_b32 s0, 0
.LBB135_3975:
	s_delay_alu instid0(SALU_CYCLE_1)
	s_and_not1_b32 vcc_lo, exec_lo, s0
	s_cbranch_vccnz .LBB135_3980
; %bb.3976:
	s_cmp_gt_i32 s2, 0
	s_mov_b32 s0, -1
	s_cbranch_scc0 .LBB135_3978
; %bb.3977:
	s_mov_b32 s0, 0
	global_store_b8 v[2:3], v1, off
.LBB135_3978:
	s_and_not1_b32 vcc_lo, exec_lo, s0
	s_cbranch_vccnz .LBB135_3980
; %bb.3979:
	global_store_b8 v[2:3], v1, off
.LBB135_3980:
	s_mov_b32 s6, -1
.LBB135_3981:
	s_delay_alu instid0(SALU_CYCLE_1)
	s_and_not1_b32 vcc_lo, exec_lo, s6
	s_cbranch_vccnz .LBB135_4058
; %bb.3982:
	s_wait_xcnt 0x0
	v_mov_b32_e32 v1, 0
	v_max_i16 v4, v20, v14
	s_cmp_lt_i32 s2, 11
	s_delay_alu instid0(VALU_DEP_2) | instskip(NEXT) | instid1(VALU_DEP_2)
	v_add_nc_u64_e32 v[2:3], s[4:5], v[0:1]
	v_min_i16 v4, v4, v10
	s_cbranch_scc1 .LBB135_4103
; %bb.3983:
	s_mov_b32 s4, -1
	s_mov_b32 s3, 0
	s_cmp_gt_i32 s2, 25
	s_mov_b32 s0, 0
	s_cbranch_scc0 .LBB135_4016
; %bb.3984:
	s_cmp_gt_i32 s2, 28
	s_cbranch_scc0 .LBB135_4000
; %bb.3985:
	s_cmp_gt_i32 s2, 43
	;; [unrolled: 3-line block ×3, first 2 shown]
	s_cbranch_scc0 .LBB135_3990
; %bb.3987:
	s_cmp_eq_u32 s2, 46
	s_mov_b32 s0, -1
	s_cbranch_scc0 .LBB135_3989
; %bb.3988:
	v_bfe_i32 v0, v4, 0, 16
	s_mov_b32 s0, 0
	s_delay_alu instid0(VALU_DEP_1) | instskip(NEXT) | instid1(VALU_DEP_1)
	v_cvt_f32_i32_e32 v0, v0
	v_bfe_u32 v1, v0, 16, 1
	s_delay_alu instid0(VALU_DEP_1) | instskip(NEXT) | instid1(VALU_DEP_1)
	v_add3_u32 v0, v0, v1, 0x7fff
	v_lshrrev_b32_e32 v0, 16, v0
	global_store_b32 v[2:3], v0, off
.LBB135_3989:
	s_mov_b32 s4, 0
.LBB135_3990:
	s_delay_alu instid0(SALU_CYCLE_1)
	s_and_b32 vcc_lo, exec_lo, s4
	s_cbranch_vccz .LBB135_3995
; %bb.3991:
	s_cmp_eq_u32 s2, 44
	s_mov_b32 s0, -1
	s_cbranch_scc0 .LBB135_3995
; %bb.3992:
	s_wait_xcnt 0x0
	v_bfe_i32 v0, v4, 0, 16
	v_mov_b32_e32 v1, 0xff
	s_mov_b32 s4, exec_lo
	s_delay_alu instid0(VALU_DEP_2) | instskip(NEXT) | instid1(VALU_DEP_1)
	v_cvt_f32_i32_e32 v0, v0
	v_bfe_u32 v5, v0, 23, 8
	s_delay_alu instid0(VALU_DEP_1)
	v_cmpx_ne_u32_e32 0xff, v5
	s_cbranch_execz .LBB135_3994
; %bb.3993:
	v_and_b32_e32 v1, 0x400000, v0
	v_and_or_b32 v5, 0x3fffff, v0, v5
	v_lshrrev_b32_e32 v0, 23, v0
	s_delay_alu instid0(VALU_DEP_3) | instskip(NEXT) | instid1(VALU_DEP_3)
	v_cmp_ne_u32_e32 vcc_lo, 0, v1
	v_cmp_ne_u32_e64 s0, 0, v5
	s_and_b32 s0, vcc_lo, s0
	s_delay_alu instid0(SALU_CYCLE_1) | instskip(NEXT) | instid1(VALU_DEP_1)
	v_cndmask_b32_e64 v1, 0, 1, s0
	v_add_nc_u32_e32 v1, v0, v1
.LBB135_3994:
	s_or_b32 exec_lo, exec_lo, s4
	s_mov_b32 s0, 0
	global_store_b8 v[2:3], v1, off
.LBB135_3995:
	s_mov_b32 s4, 0
.LBB135_3996:
	s_delay_alu instid0(SALU_CYCLE_1)
	s_and_b32 vcc_lo, exec_lo, s4
	s_cbranch_vccz .LBB135_3999
; %bb.3997:
	s_cmp_eq_u32 s2, 29
	s_mov_b32 s0, -1
	s_cbranch_scc0 .LBB135_3999
; %bb.3998:
	s_wait_xcnt 0x0
	v_bfe_i32 v0, v4, 0, 16
	s_mov_b32 s0, 0
	s_delay_alu instid0(VALU_DEP_1)
	v_ashrrev_i32_e32 v1, 31, v0
	global_store_b64 v[2:3], v[0:1], off
.LBB135_3999:
	s_mov_b32 s4, 0
.LBB135_4000:
	s_delay_alu instid0(SALU_CYCLE_1)
	s_and_b32 vcc_lo, exec_lo, s4
	s_cbranch_vccz .LBB135_4015
; %bb.4001:
	s_cmp_lt_i32 s2, 27
	s_mov_b32 s4, -1
	s_cbranch_scc1 .LBB135_4007
; %bb.4002:
	s_cmp_gt_i32 s2, 27
	s_cbranch_scc0 .LBB135_4004
; %bb.4003:
	s_wait_xcnt 0x0
	v_bfe_i32 v0, v4, 0, 16
	s_mov_b32 s4, 0
	global_store_b32 v[2:3], v0, off
.LBB135_4004:
	s_and_not1_b32 vcc_lo, exec_lo, s4
	s_cbranch_vccnz .LBB135_4006
; %bb.4005:
	global_store_b16 v[2:3], v4, off
.LBB135_4006:
	s_mov_b32 s4, 0
.LBB135_4007:
	s_delay_alu instid0(SALU_CYCLE_1)
	s_and_not1_b32 vcc_lo, exec_lo, s4
	s_cbranch_vccnz .LBB135_4015
; %bb.4008:
	s_wait_xcnt 0x0
	v_bfe_i32 v0, v4, 0, 16
	v_mov_b32_e32 v5, 0x80
	s_mov_b32 s4, exec_lo
	s_delay_alu instid0(VALU_DEP_2) | instskip(NEXT) | instid1(VALU_DEP_1)
	v_cvt_f32_i32_e32 v0, v0
	v_and_b32_e32 v1, 0x7fffffff, v0
	s_delay_alu instid0(VALU_DEP_1)
	v_cmpx_gt_u32_e32 0x43800000, v1
	s_cbranch_execz .LBB135_4014
; %bb.4009:
	v_cmp_lt_u32_e32 vcc_lo, 0x3bffffff, v1
	s_mov_b32 s5, 0
                                        ; implicit-def: $vgpr1
	s_and_saveexec_b32 s6, vcc_lo
	s_delay_alu instid0(SALU_CYCLE_1)
	s_xor_b32 s6, exec_lo, s6
	s_cbranch_execz .LBB135_4120
; %bb.4010:
	v_bfe_u32 v1, v0, 20, 1
	s_mov_b32 s5, exec_lo
	s_delay_alu instid0(VALU_DEP_1) | instskip(NEXT) | instid1(VALU_DEP_1)
	v_add3_u32 v1, v0, v1, 0x487ffff
	v_lshrrev_b32_e32 v1, 20, v1
	s_and_not1_saveexec_b32 s6, s6
	s_cbranch_execnz .LBB135_4121
.LBB135_4011:
	s_or_b32 exec_lo, exec_lo, s6
	v_mov_b32_e32 v5, 0
	s_and_saveexec_b32 s6, s5
.LBB135_4012:
	v_lshrrev_b32_e32 v0, 24, v0
	s_delay_alu instid0(VALU_DEP_1)
	v_and_or_b32 v5, 0x80, v0, v1
.LBB135_4013:
	s_or_b32 exec_lo, exec_lo, s6
.LBB135_4014:
	s_delay_alu instid0(SALU_CYCLE_1)
	s_or_b32 exec_lo, exec_lo, s4
	global_store_b8 v[2:3], v5, off
.LBB135_4015:
	s_mov_b32 s4, 0
.LBB135_4016:
	s_delay_alu instid0(SALU_CYCLE_1)
	s_and_b32 vcc_lo, exec_lo, s4
	s_cbranch_vccz .LBB135_4056
; %bb.4017:
	s_cmp_gt_i32 s2, 22
	s_mov_b32 s3, -1
	s_cbranch_scc0 .LBB135_4049
; %bb.4018:
	s_cmp_lt_i32 s2, 24
	s_cbranch_scc1 .LBB135_4038
; %bb.4019:
	s_cmp_gt_i32 s2, 24
	s_cbranch_scc0 .LBB135_4027
; %bb.4020:
	s_wait_xcnt 0x0
	v_bfe_i32 v0, v4, 0, 16
	v_mov_b32_e32 v5, 0x80
	s_mov_b32 s3, exec_lo
	s_delay_alu instid0(VALU_DEP_2) | instskip(NEXT) | instid1(VALU_DEP_1)
	v_cvt_f32_i32_e32 v0, v0
	v_and_b32_e32 v1, 0x7fffffff, v0
	s_delay_alu instid0(VALU_DEP_1)
	v_cmpx_gt_u32_e32 0x47800000, v1
	s_cbranch_execz .LBB135_4026
; %bb.4021:
	v_cmp_lt_u32_e32 vcc_lo, 0x37ffffff, v1
	s_mov_b32 s4, 0
                                        ; implicit-def: $vgpr1
	s_and_saveexec_b32 s5, vcc_lo
	s_delay_alu instid0(SALU_CYCLE_1)
	s_xor_b32 s5, exec_lo, s5
	s_cbranch_execz .LBB135_4123
; %bb.4022:
	v_bfe_u32 v1, v0, 21, 1
	s_mov_b32 s4, exec_lo
	s_delay_alu instid0(VALU_DEP_1) | instskip(NEXT) | instid1(VALU_DEP_1)
	v_add3_u32 v1, v0, v1, 0x88fffff
	v_lshrrev_b32_e32 v1, 21, v1
	s_and_not1_saveexec_b32 s5, s5
	s_cbranch_execnz .LBB135_4124
.LBB135_4023:
	s_or_b32 exec_lo, exec_lo, s5
	v_mov_b32_e32 v5, 0
	s_and_saveexec_b32 s5, s4
.LBB135_4024:
	v_lshrrev_b32_e32 v0, 24, v0
	s_delay_alu instid0(VALU_DEP_1)
	v_and_or_b32 v5, 0x80, v0, v1
.LBB135_4025:
	s_or_b32 exec_lo, exec_lo, s5
.LBB135_4026:
	s_delay_alu instid0(SALU_CYCLE_1)
	s_or_b32 exec_lo, exec_lo, s3
	s_mov_b32 s3, 0
	global_store_b8 v[2:3], v5, off
.LBB135_4027:
	s_and_b32 vcc_lo, exec_lo, s3
	s_cbranch_vccz .LBB135_4037
; %bb.4028:
	s_wait_xcnt 0x0
	v_bfe_i32 v0, v4, 0, 16
	s_mov_b32 s3, exec_lo
                                        ; implicit-def: $vgpr1
	s_delay_alu instid0(VALU_DEP_1) | instskip(NEXT) | instid1(VALU_DEP_1)
	v_cvt_f32_i32_e32 v0, v0
	v_and_b32_e32 v5, 0x7fffffff, v0
	s_delay_alu instid0(VALU_DEP_1)
	v_cmpx_gt_u32_e32 0x43f00000, v5
	s_xor_b32 s3, exec_lo, s3
	s_cbranch_execz .LBB135_4034
; %bb.4029:
	s_mov_b32 s4, exec_lo
                                        ; implicit-def: $vgpr1
	v_cmpx_lt_u32_e32 0x3c7fffff, v5
	s_xor_b32 s4, exec_lo, s4
; %bb.4030:
	v_bfe_u32 v1, v0, 20, 1
	s_delay_alu instid0(VALU_DEP_1) | instskip(NEXT) | instid1(VALU_DEP_1)
	v_add3_u32 v1, v0, v1, 0x407ffff
	v_and_b32_e32 v5, 0xff00000, v1
	v_lshrrev_b32_e32 v1, 20, v1
	s_delay_alu instid0(VALU_DEP_2) | instskip(NEXT) | instid1(VALU_DEP_2)
	v_cmp_ne_u32_e32 vcc_lo, 0x7f00000, v5
	v_cndmask_b32_e32 v1, 0x7e, v1, vcc_lo
; %bb.4031:
	s_and_not1_saveexec_b32 s4, s4
; %bb.4032:
	v_add_f32_e64 v1, 0x46800000, |v0|
; %bb.4033:
	s_or_b32 exec_lo, exec_lo, s4
                                        ; implicit-def: $vgpr5
.LBB135_4034:
	s_and_not1_saveexec_b32 s3, s3
; %bb.4035:
	v_mov_b32_e32 v1, 0x7f
	v_cmp_lt_u32_e32 vcc_lo, 0x7f800000, v5
	s_delay_alu instid0(VALU_DEP_2)
	v_cndmask_b32_e32 v1, 0x7e, v1, vcc_lo
; %bb.4036:
	s_or_b32 exec_lo, exec_lo, s3
	v_lshrrev_b32_e32 v0, 24, v0
	s_delay_alu instid0(VALU_DEP_1)
	v_and_or_b32 v0, 0x80, v0, v1
	global_store_b8 v[2:3], v0, off
.LBB135_4037:
	s_mov_b32 s3, 0
.LBB135_4038:
	s_delay_alu instid0(SALU_CYCLE_1)
	s_and_not1_b32 vcc_lo, exec_lo, s3
	s_cbranch_vccnz .LBB135_4048
; %bb.4039:
	s_wait_xcnt 0x0
	v_bfe_i32 v0, v4, 0, 16
	s_mov_b32 s3, exec_lo
                                        ; implicit-def: $vgpr1
	s_delay_alu instid0(VALU_DEP_1) | instskip(NEXT) | instid1(VALU_DEP_1)
	v_cvt_f32_i32_e32 v0, v0
	v_and_b32_e32 v5, 0x7fffffff, v0
	s_delay_alu instid0(VALU_DEP_1)
	v_cmpx_gt_u32_e32 0x47800000, v5
	s_xor_b32 s3, exec_lo, s3
	s_cbranch_execz .LBB135_4045
; %bb.4040:
	s_mov_b32 s4, exec_lo
                                        ; implicit-def: $vgpr1
	v_cmpx_lt_u32_e32 0x387fffff, v5
	s_xor_b32 s4, exec_lo, s4
; %bb.4041:
	v_bfe_u32 v1, v0, 21, 1
	s_delay_alu instid0(VALU_DEP_1) | instskip(NEXT) | instid1(VALU_DEP_1)
	v_add3_u32 v1, v0, v1, 0x80fffff
	v_lshrrev_b32_e32 v1, 21, v1
; %bb.4042:
	s_and_not1_saveexec_b32 s4, s4
; %bb.4043:
	v_add_f32_e64 v1, 0x43000000, |v0|
; %bb.4044:
	s_or_b32 exec_lo, exec_lo, s4
                                        ; implicit-def: $vgpr5
.LBB135_4045:
	s_and_not1_saveexec_b32 s3, s3
; %bb.4046:
	v_mov_b32_e32 v1, 0x7f
	v_cmp_lt_u32_e32 vcc_lo, 0x7f800000, v5
	s_delay_alu instid0(VALU_DEP_2)
	v_cndmask_b32_e32 v1, 0x7c, v1, vcc_lo
; %bb.4047:
	s_or_b32 exec_lo, exec_lo, s3
	v_lshrrev_b32_e32 v0, 24, v0
	s_delay_alu instid0(VALU_DEP_1)
	v_and_or_b32 v0, 0x80, v0, v1
	global_store_b8 v[2:3], v0, off
.LBB135_4048:
	s_mov_b32 s3, 0
.LBB135_4049:
	s_delay_alu instid0(SALU_CYCLE_1)
	s_and_not1_b32 vcc_lo, exec_lo, s3
	s_mov_b32 s3, 0
	s_cbranch_vccnz .LBB135_4056
; %bb.4050:
	s_cmp_gt_i32 s2, 14
	s_mov_b32 s3, -1
	s_cbranch_scc0 .LBB135_4054
; %bb.4051:
	s_cmp_eq_u32 s2, 15
	s_mov_b32 s0, -1
	s_cbranch_scc0 .LBB135_4053
; %bb.4052:
	s_wait_xcnt 0x0
	v_bfe_i32 v0, v4, 0, 16
	s_mov_b32 s0, 0
	s_delay_alu instid0(VALU_DEP_1) | instskip(NEXT) | instid1(VALU_DEP_1)
	v_cvt_f32_i32_e32 v0, v0
	v_bfe_u32 v1, v0, 16, 1
	s_delay_alu instid0(VALU_DEP_1)
	v_add3_u32 v0, v0, v1, 0x7fff
	global_store_d16_hi_b16 v[2:3], v0, off
.LBB135_4053:
	s_mov_b32 s3, 0
.LBB135_4054:
	s_delay_alu instid0(SALU_CYCLE_1)
	s_and_b32 vcc_lo, exec_lo, s3
	s_mov_b32 s3, 0
	s_cbranch_vccz .LBB135_4056
; %bb.4055:
	s_cmp_lg_u32 s2, 11
	s_mov_b32 s3, -1
	s_cselect_b32 s0, -1, 0
.LBB135_4056:
	s_delay_alu instid0(SALU_CYCLE_1)
	s_and_b32 vcc_lo, exec_lo, s0
	s_cbranch_vccnz .LBB135_4122
.LBB135_4057:
	s_mov_b32 s0, 0
	s_branch .LBB135_4059
.LBB135_4058:
	s_mov_b32 s0, 0
	s_wait_xcnt 0x0
	s_mov_b32 s3, 0
                                        ; implicit-def: $vgpr2_vgpr3
                                        ; implicit-def: $sgpr1
                                        ; implicit-def: $vgpr4
.LBB135_4059:
	s_and_not1_b32 s2, s10, exec_lo
	s_and_b32 s4, s12, exec_lo
	s_and_b32 s0, s0, exec_lo
	;; [unrolled: 1-line block ×3, first 2 shown]
	s_or_b32 s10, s2, s4
.LBB135_4060:
	s_wait_xcnt 0x0
	s_or_b32 exec_lo, exec_lo, s11
	s_and_saveexec_b32 s2, s10
	s_cbranch_execz .LBB135_4063
; %bb.4061:
	; divergent unreachable
	s_or_b32 exec_lo, exec_lo, s2
	s_and_saveexec_b32 s2, s35
	s_delay_alu instid0(SALU_CYCLE_1)
	s_xor_b32 s2, exec_lo, s2
	s_cbranch_execnz .LBB135_4064
.LBB135_4062:
	s_or_b32 exec_lo, exec_lo, s2
	s_and_saveexec_b32 s2, s0
	s_cbranch_execnz .LBB135_4065
	s_branch .LBB135_4102
.LBB135_4063:
	s_or_b32 exec_lo, exec_lo, s2
	s_and_saveexec_b32 s2, s35
	s_delay_alu instid0(SALU_CYCLE_1)
	s_xor_b32 s2, exec_lo, s2
	s_cbranch_execz .LBB135_4062
.LBB135_4064:
	s_wait_loadcnt 0x0
	v_cmp_ne_u16_e32 vcc_lo, 0, v4
	v_cndmask_b32_e64 v0, 0, 1, vcc_lo
	global_store_b8 v[2:3], v0, off
	s_wait_xcnt 0x0
	s_or_b32 exec_lo, exec_lo, s2
	s_and_saveexec_b32 s2, s0
	s_cbranch_execz .LBB135_4102
.LBB135_4065:
	s_sext_i32_i16 s2, s1
	s_mov_b32 s0, -1
	s_cmp_lt_i32 s2, 5
	s_cbranch_scc1 .LBB135_4086
; %bb.4066:
	s_cmp_lt_i32 s2, 8
	s_cbranch_scc1 .LBB135_4076
; %bb.4067:
	;; [unrolled: 3-line block ×3, first 2 shown]
	s_cmp_gt_i32 s2, 9
	s_cbranch_scc0 .LBB135_4070
; %bb.4069:
	s_wait_loadcnt 0x0
	v_bfe_i32 v0, v4, 0, 16
	v_mov_b32_e32 v8, 0
	s_mov_b32 s0, 0
	s_delay_alu instid0(VALU_DEP_2) | instskip(NEXT) | instid1(VALU_DEP_2)
	v_cvt_f64_i32_e32 v[6:7], v0
	v_mov_b32_e32 v9, v8
	global_store_b128 v[2:3], v[6:9], off
.LBB135_4070:
	s_and_not1_b32 vcc_lo, exec_lo, s0
	s_cbranch_vccnz .LBB135_4072
; %bb.4071:
	s_wait_loadcnt 0x0
	v_bfe_i32 v0, v4, 0, 16
	v_mov_b32_e32 v1, 0
	s_delay_alu instid0(VALU_DEP_2)
	v_cvt_f32_i32_e32 v0, v0
	global_store_b64 v[2:3], v[0:1], off
.LBB135_4072:
	s_mov_b32 s0, 0
.LBB135_4073:
	s_delay_alu instid0(SALU_CYCLE_1)
	s_and_not1_b32 vcc_lo, exec_lo, s0
	s_cbranch_vccnz .LBB135_4075
; %bb.4074:
	s_wait_loadcnt 0x0
	v_cvt_f16_i16_e32 v0, v4
	s_delay_alu instid0(VALU_DEP_1)
	v_and_b32_e32 v0, 0xffff, v0
	global_store_b32 v[2:3], v0, off
.LBB135_4075:
	s_mov_b32 s0, 0
.LBB135_4076:
	s_delay_alu instid0(SALU_CYCLE_1)
	s_and_not1_b32 vcc_lo, exec_lo, s0
	s_cbranch_vccnz .LBB135_4085
; %bb.4077:
	s_sext_i32_i16 s2, s1
	s_mov_b32 s0, -1
	s_cmp_lt_i32 s2, 6
	s_cbranch_scc1 .LBB135_4083
; %bb.4078:
	s_cmp_gt_i32 s2, 6
	s_cbranch_scc0 .LBB135_4080
; %bb.4079:
	s_wait_loadcnt 0x0
	v_bfe_i32 v0, v4, 0, 16
	s_mov_b32 s0, 0
	s_delay_alu instid0(VALU_DEP_1)
	v_cvt_f64_i32_e32 v[0:1], v0
	global_store_b64 v[2:3], v[0:1], off
.LBB135_4080:
	s_and_not1_b32 vcc_lo, exec_lo, s0
	s_cbranch_vccnz .LBB135_4082
; %bb.4081:
	s_wait_loadcnt 0x0
	v_bfe_i32 v0, v4, 0, 16
	s_delay_alu instid0(VALU_DEP_1)
	v_cvt_f32_i32_e32 v0, v0
	global_store_b32 v[2:3], v0, off
.LBB135_4082:
	s_mov_b32 s0, 0
.LBB135_4083:
	s_delay_alu instid0(SALU_CYCLE_1)
	s_and_not1_b32 vcc_lo, exec_lo, s0
	s_cbranch_vccnz .LBB135_4085
; %bb.4084:
	s_wait_loadcnt 0x0
	v_cvt_f16_i16_e32 v0, v4
	global_store_b16 v[2:3], v0, off
.LBB135_4085:
	s_mov_b32 s0, 0
.LBB135_4086:
	s_delay_alu instid0(SALU_CYCLE_1)
	s_and_not1_b32 vcc_lo, exec_lo, s0
	s_cbranch_vccnz .LBB135_4102
; %bb.4087:
	s_sext_i32_i16 s2, s1
	s_mov_b32 s0, -1
	s_cmp_lt_i32 s2, 2
	s_cbranch_scc1 .LBB135_4097
; %bb.4088:
	s_cmp_lt_i32 s2, 3
	s_cbranch_scc1 .LBB135_4094
; %bb.4089:
	s_wait_loadcnt 0x0
	v_bfe_i32 v0, v4, 0, 16
	s_cmp_gt_i32 s2, 3
	s_cbranch_scc0 .LBB135_4091
; %bb.4090:
	s_delay_alu instid0(VALU_DEP_1)
	v_ashrrev_i32_e32 v1, 31, v0
	s_mov_b32 s0, 0
	global_store_b64 v[2:3], v[0:1], off
.LBB135_4091:
	s_and_not1_b32 vcc_lo, exec_lo, s0
	s_cbranch_vccnz .LBB135_4093
; %bb.4092:
	global_store_b32 v[2:3], v0, off
.LBB135_4093:
	s_mov_b32 s0, 0
.LBB135_4094:
	s_delay_alu instid0(SALU_CYCLE_1)
	s_and_not1_b32 vcc_lo, exec_lo, s0
	s_cbranch_vccnz .LBB135_4096
; %bb.4095:
	s_wait_loadcnt 0x0
	global_store_b16 v[2:3], v4, off
.LBB135_4096:
	s_mov_b32 s0, 0
.LBB135_4097:
	s_delay_alu instid0(SALU_CYCLE_1)
	s_and_not1_b32 vcc_lo, exec_lo, s0
	s_cbranch_vccnz .LBB135_4102
; %bb.4098:
	s_sext_i32_i16 s0, s1
	s_delay_alu instid0(SALU_CYCLE_1)
	s_cmp_gt_i32 s0, 0
	s_mov_b32 s0, -1
	s_cbranch_scc0 .LBB135_4100
; %bb.4099:
	s_mov_b32 s0, 0
	s_wait_loadcnt 0x0
	global_store_b8 v[2:3], v4, off
.LBB135_4100:
	s_and_not1_b32 vcc_lo, exec_lo, s0
	s_cbranch_vccnz .LBB135_4102
; %bb.4101:
	s_wait_loadcnt 0x0
	global_store_b8 v[2:3], v4, off
	s_endpgm
.LBB135_4102:
	s_endpgm
.LBB135_4103:
	s_mov_b32 s3, 0
	s_mov_b32 s0, -1
	s_branch .LBB135_4059
.LBB135_4104:
	s_or_b32 s12, s12, exec_lo
	s_trap 2
	s_cbranch_execz .LBB135_3573
	s_branch .LBB135_3574
.LBB135_4105:
	s_and_not1_saveexec_b32 s8, s8
	s_cbranch_execz .LBB135_3653
.LBB135_4106:
	v_add_f32_e64 v5, 0x46000000, |v3|
	s_and_not1_b32 s7, s7, exec_lo
	s_delay_alu instid0(VALU_DEP_1) | instskip(NEXT) | instid1(VALU_DEP_1)
	v_and_b32_e32 v5, 0xff, v5
	v_cmp_ne_u32_e32 vcc_lo, 0, v5
	s_and_b32 s9, vcc_lo, exec_lo
	s_delay_alu instid0(SALU_CYCLE_1)
	s_or_b32 s7, s7, s9
	s_or_b32 exec_lo, exec_lo, s8
	v_mov_b32_e32 v8, 0
	s_and_saveexec_b32 s8, s7
	s_cbranch_execnz .LBB135_3654
	s_branch .LBB135_3655
.LBB135_4107:
	s_or_b32 s12, s12, exec_lo
	s_trap 2
	s_cbranch_execz .LBB135_3701
	s_branch .LBB135_3702
.LBB135_4108:
	s_and_not1_saveexec_b32 s7, s7
	s_cbranch_execz .LBB135_3666
.LBB135_4109:
	v_add_f32_e64 v5, 0x42800000, |v3|
	s_and_not1_b32 s6, s6, exec_lo
	s_delay_alu instid0(VALU_DEP_1) | instskip(NEXT) | instid1(VALU_DEP_1)
	v_and_b32_e32 v5, 0xff, v5
	v_cmp_ne_u32_e32 vcc_lo, 0, v5
	s_and_b32 s8, vcc_lo, exec_lo
	s_delay_alu instid0(SALU_CYCLE_1)
	s_or_b32 s6, s6, s8
	s_or_b32 exec_lo, exec_lo, s7
	v_mov_b32_e32 v8, 0
	s_and_saveexec_b32 s7, s6
	s_cbranch_execnz .LBB135_3667
	s_branch .LBB135_3668
.LBB135_4110:
	s_and_not1_saveexec_b32 s8, s8
	s_cbranch_execz .LBB135_3772
.LBB135_4111:
	v_add_f32_e64 v6, 0x46000000, |v3|
	s_and_not1_b32 s7, s7, exec_lo
	s_delay_alu instid0(VALU_DEP_1) | instskip(NEXT) | instid1(VALU_DEP_1)
	v_and_b32_e32 v6, 0xff, v6
	v_cmp_ne_u32_e32 vcc_lo, 0, v6
	s_and_b32 s9, vcc_lo, exec_lo
	s_delay_alu instid0(SALU_CYCLE_1)
	s_or_b32 s7, s7, s9
	s_or_b32 exec_lo, exec_lo, s8
	v_mov_b32_e32 v7, 0
	s_and_saveexec_b32 s8, s7
	s_cbranch_execnz .LBB135_3773
	s_branch .LBB135_3774
.LBB135_4112:
	s_or_b32 s12, s12, exec_lo
	s_trap 2
	s_cbranch_execz .LBB135_3820
	s_branch .LBB135_3821
.LBB135_4113:
	s_and_not1_saveexec_b32 s7, s7
	s_cbranch_execz .LBB135_3785
.LBB135_4114:
	v_add_f32_e64 v6, 0x42800000, |v3|
	s_and_not1_b32 s6, s6, exec_lo
	s_delay_alu instid0(VALU_DEP_1) | instskip(NEXT) | instid1(VALU_DEP_1)
	v_and_b32_e32 v6, 0xff, v6
	v_cmp_ne_u32_e32 vcc_lo, 0, v6
	s_and_b32 s8, vcc_lo, exec_lo
	s_delay_alu instid0(SALU_CYCLE_1)
	s_or_b32 s6, s6, s8
	s_or_b32 exec_lo, exec_lo, s7
	v_mov_b32_e32 v7, 0
	s_and_saveexec_b32 s7, s6
	s_cbranch_execnz .LBB135_3786
	s_branch .LBB135_3787
.LBB135_4115:
	s_and_not1_saveexec_b32 s8, s8
	s_cbranch_execz .LBB135_3891
.LBB135_4116:
	v_add_f32_e64 v5, 0x46000000, |v4|
	s_and_not1_b32 s7, s7, exec_lo
	s_delay_alu instid0(VALU_DEP_1) | instskip(NEXT) | instid1(VALU_DEP_1)
	v_and_b32_e32 v5, 0xff, v5
	v_cmp_ne_u32_e32 vcc_lo, 0, v5
	s_and_b32 s9, vcc_lo, exec_lo
	s_delay_alu instid0(SALU_CYCLE_1)
	s_or_b32 s7, s7, s9
	s_or_b32 exec_lo, exec_lo, s8
	v_mov_b32_e32 v6, 0
	s_and_saveexec_b32 s8, s7
	s_cbranch_execnz .LBB135_3892
	s_branch .LBB135_3893
.LBB135_4117:
	s_or_b32 s12, s12, exec_lo
	s_trap 2
	s_cbranch_execz .LBB135_3939
	s_branch .LBB135_3940
.LBB135_4118:
	s_and_not1_saveexec_b32 s7, s7
	s_cbranch_execz .LBB135_3904
.LBB135_4119:
	v_add_f32_e64 v5, 0x42800000, |v4|
	s_and_not1_b32 s6, s6, exec_lo
	s_delay_alu instid0(VALU_DEP_1) | instskip(NEXT) | instid1(VALU_DEP_1)
	v_and_b32_e32 v5, 0xff, v5
	v_cmp_ne_u32_e32 vcc_lo, 0, v5
	s_and_b32 s8, vcc_lo, exec_lo
	s_delay_alu instid0(SALU_CYCLE_1)
	s_or_b32 s6, s6, s8
	s_or_b32 exec_lo, exec_lo, s7
	v_mov_b32_e32 v6, 0
	s_and_saveexec_b32 s7, s6
	s_cbranch_execnz .LBB135_3905
	s_branch .LBB135_3906
.LBB135_4120:
	s_and_not1_saveexec_b32 s6, s6
	s_cbranch_execz .LBB135_4011
.LBB135_4121:
	v_add_f32_e64 v1, 0x46000000, |v0|
	s_and_not1_b32 s5, s5, exec_lo
	s_delay_alu instid0(VALU_DEP_1) | instskip(NEXT) | instid1(VALU_DEP_1)
	v_and_b32_e32 v1, 0xff, v1
	v_cmp_ne_u32_e32 vcc_lo, 0, v1
	s_and_b32 s7, vcc_lo, exec_lo
	s_delay_alu instid0(SALU_CYCLE_1)
	s_or_b32 s5, s5, s7
	s_or_b32 exec_lo, exec_lo, s6
	v_mov_b32_e32 v5, 0
	s_and_saveexec_b32 s6, s5
	s_cbranch_execnz .LBB135_4012
	s_branch .LBB135_4013
.LBB135_4122:
	s_mov_b32 s3, 0
	s_or_b32 s12, s12, exec_lo
	s_trap 2
	s_branch .LBB135_4057
.LBB135_4123:
	s_and_not1_saveexec_b32 s5, s5
	s_cbranch_execz .LBB135_4023
.LBB135_4124:
	v_add_f32_e64 v1, 0x42800000, |v0|
	s_and_not1_b32 s4, s4, exec_lo
	s_delay_alu instid0(VALU_DEP_1) | instskip(NEXT) | instid1(VALU_DEP_1)
	v_and_b32_e32 v1, 0xff, v1
	v_cmp_ne_u32_e32 vcc_lo, 0, v1
	s_and_b32 s6, vcc_lo, exec_lo
	s_delay_alu instid0(SALU_CYCLE_1)
	s_or_b32 s4, s4, s6
	s_or_b32 exec_lo, exec_lo, s5
	v_mov_b32_e32 v5, 0
	s_and_saveexec_b32 s5, s4
	s_cbranch_execnz .LBB135_4024
	s_branch .LBB135_4025
	.section	.rodata,"a",@progbits
	.p2align	6, 0x0
	.amdhsa_kernel _ZN2at6native32elementwise_kernel_manual_unrollILi128ELi4EZNS0_15gpu_kernel_implIZZZNS0_12_GLOBAL__N_117clamp_kernel_implERNS_18TensorIteratorBaseEENKUlvE_clEvENKUlvE3_clEvEUlsssE_EEvS5_RKT_EUlibE0_EEviT1_
		.amdhsa_group_segment_fixed_size 0
		.amdhsa_private_segment_fixed_size 0
		.amdhsa_kernarg_size 504
		.amdhsa_user_sgpr_count 2
		.amdhsa_user_sgpr_dispatch_ptr 0
		.amdhsa_user_sgpr_queue_ptr 0
		.amdhsa_user_sgpr_kernarg_segment_ptr 1
		.amdhsa_user_sgpr_dispatch_id 0
		.amdhsa_user_sgpr_kernarg_preload_length 0
		.amdhsa_user_sgpr_kernarg_preload_offset 0
		.amdhsa_user_sgpr_private_segment_size 0
		.amdhsa_wavefront_size32 1
		.amdhsa_uses_dynamic_stack 0
		.amdhsa_enable_private_segment 0
		.amdhsa_system_sgpr_workgroup_id_x 1
		.amdhsa_system_sgpr_workgroup_id_y 0
		.amdhsa_system_sgpr_workgroup_id_z 0
		.amdhsa_system_sgpr_workgroup_info 0
		.amdhsa_system_vgpr_workitem_id 0
		.amdhsa_next_free_vgpr 36
		.amdhsa_next_free_sgpr 74
		.amdhsa_named_barrier_count 0
		.amdhsa_reserve_vcc 1
		.amdhsa_float_round_mode_32 0
		.amdhsa_float_round_mode_16_64 0
		.amdhsa_float_denorm_mode_32 3
		.amdhsa_float_denorm_mode_16_64 3
		.amdhsa_fp16_overflow 0
		.amdhsa_memory_ordered 1
		.amdhsa_forward_progress 1
		.amdhsa_inst_pref_size 255
		.amdhsa_round_robin_scheduling 0
		.amdhsa_exception_fp_ieee_invalid_op 0
		.amdhsa_exception_fp_denorm_src 0
		.amdhsa_exception_fp_ieee_div_zero 0
		.amdhsa_exception_fp_ieee_overflow 0
		.amdhsa_exception_fp_ieee_underflow 0
		.amdhsa_exception_fp_ieee_inexact 0
		.amdhsa_exception_int_div_zero 0
	.end_amdhsa_kernel
	.section	.text._ZN2at6native32elementwise_kernel_manual_unrollILi128ELi4EZNS0_15gpu_kernel_implIZZZNS0_12_GLOBAL__N_117clamp_kernel_implERNS_18TensorIteratorBaseEENKUlvE_clEvENKUlvE3_clEvEUlsssE_EEvS5_RKT_EUlibE0_EEviT1_,"axG",@progbits,_ZN2at6native32elementwise_kernel_manual_unrollILi128ELi4EZNS0_15gpu_kernel_implIZZZNS0_12_GLOBAL__N_117clamp_kernel_implERNS_18TensorIteratorBaseEENKUlvE_clEvENKUlvE3_clEvEUlsssE_EEvS5_RKT_EUlibE0_EEviT1_,comdat
.Lfunc_end135:
	.size	_ZN2at6native32elementwise_kernel_manual_unrollILi128ELi4EZNS0_15gpu_kernel_implIZZZNS0_12_GLOBAL__N_117clamp_kernel_implERNS_18TensorIteratorBaseEENKUlvE_clEvENKUlvE3_clEvEUlsssE_EEvS5_RKT_EUlibE0_EEviT1_, .Lfunc_end135-_ZN2at6native32elementwise_kernel_manual_unrollILi128ELi4EZNS0_15gpu_kernel_implIZZZNS0_12_GLOBAL__N_117clamp_kernel_implERNS_18TensorIteratorBaseEENKUlvE_clEvENKUlvE3_clEvEUlsssE_EEvS5_RKT_EUlibE0_EEviT1_
                                        ; -- End function
	.set _ZN2at6native32elementwise_kernel_manual_unrollILi128ELi4EZNS0_15gpu_kernel_implIZZZNS0_12_GLOBAL__N_117clamp_kernel_implERNS_18TensorIteratorBaseEENKUlvE_clEvENKUlvE3_clEvEUlsssE_EEvS5_RKT_EUlibE0_EEviT1_.num_vgpr, 36
	.set _ZN2at6native32elementwise_kernel_manual_unrollILi128ELi4EZNS0_15gpu_kernel_implIZZZNS0_12_GLOBAL__N_117clamp_kernel_implERNS_18TensorIteratorBaseEENKUlvE_clEvENKUlvE3_clEvEUlsssE_EEvS5_RKT_EUlibE0_EEviT1_.num_agpr, 0
	.set _ZN2at6native32elementwise_kernel_manual_unrollILi128ELi4EZNS0_15gpu_kernel_implIZZZNS0_12_GLOBAL__N_117clamp_kernel_implERNS_18TensorIteratorBaseEENKUlvE_clEvENKUlvE3_clEvEUlsssE_EEvS5_RKT_EUlibE0_EEviT1_.numbered_sgpr, 74
	.set _ZN2at6native32elementwise_kernel_manual_unrollILi128ELi4EZNS0_15gpu_kernel_implIZZZNS0_12_GLOBAL__N_117clamp_kernel_implERNS_18TensorIteratorBaseEENKUlvE_clEvENKUlvE3_clEvEUlsssE_EEvS5_RKT_EUlibE0_EEviT1_.num_named_barrier, 0
	.set _ZN2at6native32elementwise_kernel_manual_unrollILi128ELi4EZNS0_15gpu_kernel_implIZZZNS0_12_GLOBAL__N_117clamp_kernel_implERNS_18TensorIteratorBaseEENKUlvE_clEvENKUlvE3_clEvEUlsssE_EEvS5_RKT_EUlibE0_EEviT1_.private_seg_size, 0
	.set _ZN2at6native32elementwise_kernel_manual_unrollILi128ELi4EZNS0_15gpu_kernel_implIZZZNS0_12_GLOBAL__N_117clamp_kernel_implERNS_18TensorIteratorBaseEENKUlvE_clEvENKUlvE3_clEvEUlsssE_EEvS5_RKT_EUlibE0_EEviT1_.uses_vcc, 1
	.set _ZN2at6native32elementwise_kernel_manual_unrollILi128ELi4EZNS0_15gpu_kernel_implIZZZNS0_12_GLOBAL__N_117clamp_kernel_implERNS_18TensorIteratorBaseEENKUlvE_clEvENKUlvE3_clEvEUlsssE_EEvS5_RKT_EUlibE0_EEviT1_.uses_flat_scratch, 0
	.set _ZN2at6native32elementwise_kernel_manual_unrollILi128ELi4EZNS0_15gpu_kernel_implIZZZNS0_12_GLOBAL__N_117clamp_kernel_implERNS_18TensorIteratorBaseEENKUlvE_clEvENKUlvE3_clEvEUlsssE_EEvS5_RKT_EUlibE0_EEviT1_.has_dyn_sized_stack, 0
	.set _ZN2at6native32elementwise_kernel_manual_unrollILi128ELi4EZNS0_15gpu_kernel_implIZZZNS0_12_GLOBAL__N_117clamp_kernel_implERNS_18TensorIteratorBaseEENKUlvE_clEvENKUlvE3_clEvEUlsssE_EEvS5_RKT_EUlibE0_EEviT1_.has_recursion, 0
	.set _ZN2at6native32elementwise_kernel_manual_unrollILi128ELi4EZNS0_15gpu_kernel_implIZZZNS0_12_GLOBAL__N_117clamp_kernel_implERNS_18TensorIteratorBaseEENKUlvE_clEvENKUlvE3_clEvEUlsssE_EEvS5_RKT_EUlibE0_EEviT1_.has_indirect_call, 0
	.section	.AMDGPU.csdata,"",@progbits
; Kernel info:
; codeLenInByte = 73748
; TotalNumSgprs: 76
; NumVgprs: 36
; ScratchSize: 0
; MemoryBound: 1
; FloatMode: 240
; IeeeMode: 1
; LDSByteSize: 0 bytes/workgroup (compile time only)
; SGPRBlocks: 0
; VGPRBlocks: 2
; NumSGPRsForWavesPerEU: 76
; NumVGPRsForWavesPerEU: 36
; NamedBarCnt: 0
; Occupancy: 16
; WaveLimiterHint : 1
; COMPUTE_PGM_RSRC2:SCRATCH_EN: 0
; COMPUTE_PGM_RSRC2:USER_SGPR: 2
; COMPUTE_PGM_RSRC2:TRAP_HANDLER: 0
; COMPUTE_PGM_RSRC2:TGID_X_EN: 1
; COMPUTE_PGM_RSRC2:TGID_Y_EN: 0
; COMPUTE_PGM_RSRC2:TGID_Z_EN: 0
; COMPUTE_PGM_RSRC2:TIDIG_COMP_CNT: 0
	.section	.text._ZN2at6native29vectorized_elementwise_kernelILi16EZZZNS0_12_GLOBAL__N_117clamp_kernel_implERNS_18TensorIteratorBaseEENKUlvE_clEvENKUlvE4_clEvEUldddE_St5arrayIPcLm4EEEEviT0_T1_,"axG",@progbits,_ZN2at6native29vectorized_elementwise_kernelILi16EZZZNS0_12_GLOBAL__N_117clamp_kernel_implERNS_18TensorIteratorBaseEENKUlvE_clEvENKUlvE4_clEvEUldddE_St5arrayIPcLm4EEEEviT0_T1_,comdat
	.globl	_ZN2at6native29vectorized_elementwise_kernelILi16EZZZNS0_12_GLOBAL__N_117clamp_kernel_implERNS_18TensorIteratorBaseEENKUlvE_clEvENKUlvE4_clEvEUldddE_St5arrayIPcLm4EEEEviT0_T1_ ; -- Begin function _ZN2at6native29vectorized_elementwise_kernelILi16EZZZNS0_12_GLOBAL__N_117clamp_kernel_implERNS_18TensorIteratorBaseEENKUlvE_clEvENKUlvE4_clEvEUldddE_St5arrayIPcLm4EEEEviT0_T1_
	.p2align	8
	.type	_ZN2at6native29vectorized_elementwise_kernelILi16EZZZNS0_12_GLOBAL__N_117clamp_kernel_implERNS_18TensorIteratorBaseEENKUlvE_clEvENKUlvE4_clEvEUldddE_St5arrayIPcLm4EEEEviT0_T1_,@function
_ZN2at6native29vectorized_elementwise_kernelILi16EZZZNS0_12_GLOBAL__N_117clamp_kernel_implERNS_18TensorIteratorBaseEENKUlvE_clEvENKUlvE4_clEvEUldddE_St5arrayIPcLm4EEEEviT0_T1_: ; @_ZN2at6native29vectorized_elementwise_kernelILi16EZZZNS0_12_GLOBAL__N_117clamp_kernel_implERNS_18TensorIteratorBaseEENKUlvE_clEvENKUlvE4_clEvEUldddE_St5arrayIPcLm4EEEEviT0_T1_
; %bb.0:
	s_clause 0x1
	s_load_b32 s2, s[0:1], 0x0
	s_load_b256 s[4:11], s[0:1], 0x8
	s_wait_xcnt 0x0
	s_bfe_u32 s0, ttmp6, 0x4000c
	s_and_b32 s1, ttmp6, 15
	s_add_co_i32 s0, s0, 1
	s_getreg_b32 s3, hwreg(HW_REG_IB_STS2, 6, 4)
	s_mul_i32 s0, ttmp9, s0
	s_delay_alu instid0(SALU_CYCLE_1) | instskip(SKIP_2) | instid1(SALU_CYCLE_1)
	s_add_co_i32 s1, s1, s0
	s_cmp_eq_u32 s3, 0
	s_cselect_b32 s0, ttmp9, s1
	s_lshl_b32 s12, s0, 10
	s_mov_b32 s0, -1
	s_wait_kmcnt 0x0
	s_sub_co_i32 s3, s2, s12
	s_delay_alu instid0(SALU_CYCLE_1)
	s_cmp_gt_i32 s3, 0x3ff
	s_cbranch_scc0 .LBB136_2
; %bb.1:
	s_ashr_i32 s13, s12, 31
	v_lshlrev_b32_e32 v1, 5, v0
	s_lshl_b64 s[14:15], s[12:13], 3
	s_delay_alu instid0(SALU_CYCLE_1)
	s_add_nc_u64 s[0:1], s[8:9], s[14:15]
	s_add_nc_u64 s[16:17], s[6:7], s[14:15]
	s_clause 0x3
	global_load_b128 v[2:5], v1, s[0:1]
	global_load_b128 v[6:9], v1, s[16:17]
	global_load_b128 v[10:13], v1, s[0:1] offset:16
	global_load_b128 v[14:17], v1, s[16:17] offset:16
	s_wait_xcnt 0x1
	s_add_nc_u64 s[0:1], s[10:11], s[14:15]
	s_add_nc_u64 s[14:15], s[4:5], s[14:15]
	s_wait_loadcnt 0x3
	v_max_num_f64_e32 v[26:27], v[2:3], v[2:3]
	s_clause 0x1
	global_load_b128 v[18:21], v1, s[0:1]
	global_load_b128 v[22:25], v1, s[0:1] offset:16
	s_wait_loadcnt 0x1
	v_cmp_u_f64_e32 vcc_lo, v[18:19], v[18:19]
	s_wait_loadcnt 0x0
	v_cmp_u_f64_e64 s2, v[24:25], v[24:25]
	v_max_num_f64_e32 v[28:29], v[6:7], v[6:7]
	v_max_num_f64_e32 v[42:43], v[18:19], v[18:19]
	v_cmp_u_f64_e64 s0, v[20:21], v[20:21]
	v_cmp_u_f64_e64 s1, v[22:23], v[22:23]
	s_delay_alu instid0(VALU_DEP_4) | instskip(NEXT) | instid1(VALU_DEP_1)
	v_max_num_f64_e32 v[26:27], v[28:29], v[26:27]
	v_min_num_f64_e32 v[26:27], v[26:27], v[42:43]
	v_max_num_f64_e32 v[30:31], v[4:5], v[4:5]
	s_delay_alu instid0(VALU_DEP_2) | instskip(NEXT) | instid1(VALU_DEP_3)
	v_dual_max_num_f64 v[32:33], v[8:9], v[8:9] :: v_dual_cndmask_b32 v18, v26, v18, vcc_lo
	v_cndmask_b32_e32 v19, v27, v19, vcc_lo
	s_delay_alu instid0(VALU_DEP_2) | instskip(SKIP_1) | instid1(VALU_DEP_4)
	v_max_num_f64_e32 v[30:31], v[32:33], v[30:31]
	v_cmp_u_f64_e32 vcc_lo, v[2:3], v[2:3]
	v_dual_max_num_f64 v[28:29], v[20:21], v[20:21] :: v_dual_cndmask_b32 v2, v18, v2, vcc_lo
	s_delay_alu instid0(VALU_DEP_1) | instskip(SKIP_1) | instid1(VALU_DEP_2)
	v_min_num_f64_e32 v[28:29], v[30:31], v[28:29]
	v_max_num_f64_e32 v[34:35], v[10:11], v[10:11]
	v_dual_max_num_f64 v[36:37], v[14:15], v[14:15] :: v_dual_cndmask_b32 v20, v28, v20, s0
	s_delay_alu instid0(VALU_DEP_3) | instskip(NEXT) | instid1(VALU_DEP_2)
	v_cndmask_b32_e64 v21, v29, v21, s0
	v_max_num_f64_e32 v[34:35], v[36:37], v[34:35]
	v_cmp_u_f64_e64 s0, v[4:5], v[4:5]
	v_max_num_f64_e32 v[32:33], v[22:23], v[22:23]
	v_cndmask_b32_e32 v3, v19, v3, vcc_lo
	v_cmp_u_f64_e32 vcc_lo, v[6:7], v[6:7]
	s_delay_alu instid0(VALU_DEP_4) | instskip(NEXT) | instid1(VALU_DEP_4)
	v_cndmask_b32_e64 v4, v20, v4, s0
	v_min_num_f64_e32 v[30:31], v[34:35], v[32:33]
	v_max_num_f64_e32 v[38:39], v[12:13], v[12:13]
	v_max_num_f64_e32 v[40:41], v[16:17], v[16:17]
	v_cndmask_b32_e64 v5, v21, v5, s0
	v_cmp_u_f64_e64 s0, v[8:9], v[8:9]
	v_dual_cndmask_b32 v3, v3, v7 :: v_dual_cndmask_b32 v2, v2, v6
	v_dual_cndmask_b32 v23, v31, v23, s1 :: v_dual_cndmask_b32 v22, v30, v22, s1
	v_max_num_f64_e32 v[38:39], v[40:41], v[38:39]
	v_cmp_u_f64_e64 s1, v[10:11], v[10:11]
	v_max_num_f64_e32 v[36:37], v[24:25], v[24:25]
	v_dual_cndmask_b32 v5, v5, v9, s0 :: v_dual_cndmask_b32 v4, v4, v8, s0
	s_mov_b32 s0, 0
	v_cndmask_b32_e64 v10, v22, v10, s1
	s_delay_alu instid0(VALU_DEP_3) | instskip(NEXT) | instid1(VALU_DEP_1)
	v_min_num_f64_e32 v[32:33], v[38:39], v[36:37]
	v_dual_cndmask_b32 v25, v33, v25, s2 :: v_dual_cndmask_b32 v24, v32, v24, s2
	v_cmp_u_f64_e64 s2, v[12:13], v[12:13]
	v_cndmask_b32_e64 v11, v23, v11, s1
	v_cmp_u_f64_e64 s1, v[14:15], v[14:15]
	s_delay_alu instid0(VALU_DEP_3) | instskip(SKIP_1) | instid1(VALU_DEP_3)
	v_dual_cndmask_b32 v12, v24, v12, s2 :: v_dual_cndmask_b32 v13, v25, v13, s2
	v_cmp_u_f64_e64 s2, v[16:17], v[16:17]
	v_dual_cndmask_b32 v7, v11, v15, s1 :: v_dual_cndmask_b32 v6, v10, v14, s1
	s_delay_alu instid0(VALU_DEP_2)
	v_dual_cndmask_b32 v8, v12, v16, s2 :: v_dual_cndmask_b32 v9, v13, v17, s2
	s_clause 0x1
	global_store_b128 v1, v[2:5], s[14:15]
	global_store_b128 v1, v[6:9], s[14:15] offset:16
.LBB136_2:
	s_and_not1_b32 vcc_lo, exec_lo, s0
	s_cbranch_vccnz .LBB136_23
; %bb.3:
	s_wait_xcnt 0x1
	v_mov_b64_e32 v[4:5], 0
	s_wait_xcnt 0x0
	v_mov_b64_e32 v[8:9], 0
	v_mov_b64_e32 v[16:17], 0
	;; [unrolled: 1-line block ×3, first 2 shown]
	v_cmp_gt_i32_e32 vcc_lo, s3, v0
	v_dual_mov_b32 v26, v0 :: v_dual_bitop2_b32 v1, s12, v0 bitop3:0x54
	v_or_b32_e32 v28, 0x100, v0
	s_and_saveexec_b32 s0, vcc_lo
	s_cbranch_execz .LBB136_5
; %bb.4:
	s_clause 0x2
	global_load_b64 v[8:9], v1, s[6:7] scale_offset
	global_load_b64 v[16:17], v1, s[8:9] scale_offset
	;; [unrolled: 1-line block ×3, first 2 shown]
	v_or_b32_e32 v26, 0x100, v0
.LBB136_5:
	s_wait_xcnt 0x0
	s_or_b32 exec_lo, exec_lo, s0
	v_mov_b64_e32 v[14:15], 0
	v_mov_b64_e32 v[22:23], 0
	s_mov_b32 s1, exec_lo
	v_cmpx_gt_i32_e64 s3, v26
	s_cbranch_execz .LBB136_7
; %bb.6:
	v_add_nc_u32_e32 v2, s12, v26
	v_add_nc_u32_e32 v26, 0x100, v26
	s_clause 0x2
	global_load_b64 v[4:5], v2, s[6:7] scale_offset
	global_load_b64 v[14:15], v2, s[8:9] scale_offset
	;; [unrolled: 1-line block ×3, first 2 shown]
.LBB136_7:
	s_wait_xcnt 0x0
	s_or_b32 exec_lo, exec_lo, s1
	v_mov_b64_e32 v[2:3], 0
	v_mov_b64_e32 v[6:7], 0
	;; [unrolled: 1-line block ×4, first 2 shown]
	s_mov_b32 s1, exec_lo
	v_cmpx_gt_i32_e64 s3, v26
	s_cbranch_execz .LBB136_9
; %bb.8:
	v_add_nc_u32_e32 v10, s12, v26
	v_add_nc_u32_e32 v26, 0x100, v26
	s_clause 0x2
	global_load_b64 v[6:7], v10, s[6:7] scale_offset
	global_load_b64 v[12:13], v10, s[8:9] scale_offset
	;; [unrolled: 1-line block ×3, first 2 shown]
.LBB136_9:
	s_wait_xcnt 0x0
	s_or_b32 exec_lo, exec_lo, s1
	v_mov_b64_e32 v[10:11], 0
	v_mov_b64_e32 v[18:19], 0
	s_mov_b32 s1, exec_lo
	v_cmpx_gt_i32_e64 s3, v26
	s_cbranch_execz .LBB136_11
; %bb.10:
	v_add_nc_u32_e32 v26, s12, v26
	s_clause 0x2
	global_load_b64 v[2:3], v26, s[6:7] scale_offset
	global_load_b64 v[10:11], v26, s[8:9] scale_offset
	;; [unrolled: 1-line block ×3, first 2 shown]
	s_wait_xcnt 0x0
	s_or_b32 exec_lo, exec_lo, s1
                                        ; implicit-def: $vgpr26_vgpr27
	s_and_saveexec_b32 s1, vcc_lo
	s_cbranch_execz .LBB136_13
	s_branch .LBB136_12
.LBB136_11:
	s_or_b32 exec_lo, exec_lo, s1
                                        ; implicit-def: $vgpr26_vgpr27
	s_and_saveexec_b32 s1, vcc_lo
	s_cbranch_execz .LBB136_13
.LBB136_12:
	s_wait_loadcnt 0x1
	v_max_num_f64_e32 v[26:27], v[16:17], v[16:17]
	v_max_num_f64_e32 v[30:31], v[8:9], v[8:9]
	s_wait_loadcnt 0x0
	v_max_num_f64_e32 v[32:33], v[24:25], v[24:25]
	v_cmp_u_f64_e64 s0, v[24:25], v[24:25]
	s_delay_alu instid0(VALU_DEP_3) | instskip(NEXT) | instid1(VALU_DEP_1)
	v_max_num_f64_e32 v[26:27], v[30:31], v[26:27]
	v_min_num_f64_e32 v[26:27], v[26:27], v[32:33]
	s_delay_alu instid0(VALU_DEP_1) | instskip(SKIP_1) | instid1(VALU_DEP_1)
	v_dual_cndmask_b32 v25, v27, v25, s0 :: v_dual_cndmask_b32 v24, v26, v24, s0
	v_cmp_u_f64_e64 s0, v[16:17], v[16:17]
	v_dual_cndmask_b32 v16, v24, v16, s0 :: v_dual_cndmask_b32 v17, v25, v17, s0
	v_cmp_u_f64_e64 s0, v[8:9], v[8:9]
	s_delay_alu instid0(VALU_DEP_1)
	v_dual_cndmask_b32 v26, v16, v8, s0 :: v_dual_cndmask_b32 v27, v17, v9, s0
.LBB136_13:
	s_or_b32 exec_lo, exec_lo, s1
	s_delay_alu instid0(SALU_CYCLE_1)
	s_mov_b32 s1, exec_lo
                                        ; implicit-def: $vgpr8_vgpr9
	v_cmpx_gt_i32_e64 s3, v28
	s_cbranch_execz .LBB136_15
; %bb.14:
	s_wait_loadcnt 0x1
	v_max_num_f64_e32 v[8:9], v[14:15], v[14:15]
	v_max_num_f64_e32 v[16:17], v[4:5], v[4:5]
	s_wait_loadcnt 0x0
	v_max_num_f64_e32 v[24:25], v[22:23], v[22:23]
	v_cmp_u_f64_e64 s0, v[22:23], v[22:23]
	s_delay_alu instid0(VALU_DEP_3) | instskip(NEXT) | instid1(VALU_DEP_1)
	v_max_num_f64_e32 v[8:9], v[16:17], v[8:9]
	v_min_num_f64_e32 v[8:9], v[8:9], v[24:25]
	s_delay_alu instid0(VALU_DEP_1) | instskip(SKIP_1) | instid1(VALU_DEP_1)
	v_dual_cndmask_b32 v9, v9, v23, s0 :: v_dual_cndmask_b32 v8, v8, v22, s0
	v_cmp_u_f64_e64 s0, v[14:15], v[14:15]
	v_dual_cndmask_b32 v8, v8, v14, s0 :: v_dual_cndmask_b32 v9, v9, v15, s0
	v_cmp_u_f64_e64 s0, v[4:5], v[4:5]
	s_delay_alu instid0(VALU_DEP_1)
	v_dual_cndmask_b32 v9, v9, v5, s0 :: v_dual_cndmask_b32 v8, v8, v4, s0
.LBB136_15:
	s_or_b32 exec_lo, exec_lo, s1
	s_wait_loadcnt 0x2
	v_or_b32_e32 v4, 0x200, v0
	s_delay_alu instid0(VALU_DEP_1)
	v_cmp_gt_i32_e64 s0, s3, v4
                                        ; implicit-def: $vgpr4_vgpr5
	s_and_saveexec_b32 s1, s0
	s_cbranch_execz .LBB136_17
; %bb.16:
	s_wait_loadcnt 0x1
	v_max_num_f64_e32 v[4:5], v[12:13], v[12:13]
	s_wait_loadcnt 0x0
	v_cmp_u_f64_e64 s0, v[20:21], v[20:21]
	v_max_num_f64_e32 v[14:15], v[6:7], v[6:7]
	v_max_num_f64_e32 v[16:17], v[20:21], v[20:21]
	s_delay_alu instid0(VALU_DEP_2) | instskip(NEXT) | instid1(VALU_DEP_1)
	v_max_num_f64_e32 v[4:5], v[14:15], v[4:5]
	v_min_num_f64_e32 v[4:5], v[4:5], v[16:17]
	s_delay_alu instid0(VALU_DEP_1) | instskip(SKIP_1) | instid1(VALU_DEP_1)
	v_dual_cndmask_b32 v5, v5, v21, s0 :: v_dual_cndmask_b32 v4, v4, v20, s0
	v_cmp_u_f64_e64 s0, v[12:13], v[12:13]
	v_dual_cndmask_b32 v5, v5, v13, s0 :: v_dual_cndmask_b32 v4, v4, v12, s0
	v_cmp_u_f64_e64 s0, v[6:7], v[6:7]
	s_delay_alu instid0(VALU_DEP_1)
	v_dual_cndmask_b32 v5, v5, v7, s0 :: v_dual_cndmask_b32 v4, v4, v6, s0
.LBB136_17:
	s_or_b32 exec_lo, exec_lo, s1
	v_or_b32_e32 v6, 0x300, v0
	s_delay_alu instid0(VALU_DEP_1)
	v_cmp_gt_i32_e64 s0, s3, v6
                                        ; implicit-def: $vgpr6_vgpr7
	s_and_saveexec_b32 s1, s0
	s_cbranch_execz .LBB136_24
; %bb.18:
	s_wait_loadcnt 0x1
	v_max_num_f64_e32 v[6:7], v[10:11], v[10:11]
	v_max_num_f64_e32 v[12:13], v[2:3], v[2:3]
	s_wait_loadcnt 0x0
	v_max_num_f64_e32 v[14:15], v[18:19], v[18:19]
	v_cmp_u_f64_e64 s0, v[18:19], v[18:19]
	s_delay_alu instid0(VALU_DEP_3) | instskip(NEXT) | instid1(VALU_DEP_1)
	v_max_num_f64_e32 v[6:7], v[12:13], v[6:7]
	v_min_num_f64_e32 v[6:7], v[6:7], v[14:15]
	s_delay_alu instid0(VALU_DEP_1) | instskip(SKIP_1) | instid1(VALU_DEP_1)
	v_dual_cndmask_b32 v7, v7, v19, s0 :: v_dual_cndmask_b32 v6, v6, v18, s0
	v_cmp_u_f64_e64 s0, v[10:11], v[10:11]
	v_dual_cndmask_b32 v6, v6, v10, s0 :: v_dual_cndmask_b32 v7, v7, v11, s0
	v_cmp_u_f64_e64 s0, v[2:3], v[2:3]
	s_delay_alu instid0(VALU_DEP_1) | instskip(SKIP_2) | instid1(SALU_CYCLE_1)
	v_dual_cndmask_b32 v7, v7, v3, s0 :: v_dual_cndmask_b32 v6, v6, v2, s0
	s_or_b32 exec_lo, exec_lo, s1
	s_and_saveexec_b32 s0, vcc_lo
	s_xor_b32 s0, exec_lo, s0
	s_cbranch_execnz .LBB136_25
.LBB136_19:
	s_or_b32 exec_lo, exec_lo, s0
	s_delay_alu instid0(SALU_CYCLE_1)
	s_mov_b32 s0, exec_lo
	v_cmpx_gt_i32_e64 s3, v0
	s_cbranch_execz .LBB136_26
.LBB136_20:
	v_add_nc_u32_e32 v1, s12, v0
	v_add_nc_u32_e32 v0, 0x100, v0
	global_store_b64 v1, v[8:9], s[4:5] scale_offset
	s_wait_xcnt 0x0
	s_or_b32 exec_lo, exec_lo, s0
	s_delay_alu instid0(SALU_CYCLE_1)
	s_mov_b32 s0, exec_lo
	v_cmpx_gt_i32_e64 s3, v0
	s_cbranch_execnz .LBB136_27
.LBB136_21:
	s_or_b32 exec_lo, exec_lo, s0
	s_delay_alu instid0(SALU_CYCLE_1)
	s_mov_b32 s0, exec_lo
	v_cmpx_gt_i32_e64 s3, v0
	s_cbranch_execz .LBB136_23
.LBB136_22:
	v_add_nc_u32_e32 v0, s12, v0
	global_store_b64 v0, v[6:7], s[4:5] scale_offset
.LBB136_23:
	s_endpgm
.LBB136_24:
	s_or_b32 exec_lo, exec_lo, s1
	s_and_saveexec_b32 s0, vcc_lo
	s_delay_alu instid0(SALU_CYCLE_1)
	s_xor_b32 s0, exec_lo, s0
	s_cbranch_execz .LBB136_19
.LBB136_25:
	v_mov_b32_e32 v0, v28
	global_store_b64 v1, v[26:27], s[4:5] scale_offset
	s_wait_xcnt 0x0
	s_or_b32 exec_lo, exec_lo, s0
	s_delay_alu instid0(SALU_CYCLE_1)
	s_mov_b32 s0, exec_lo
	v_cmpx_gt_i32_e64 s3, v0
	s_cbranch_execnz .LBB136_20
.LBB136_26:
	s_or_b32 exec_lo, exec_lo, s0
	s_delay_alu instid0(SALU_CYCLE_1)
	s_mov_b32 s0, exec_lo
	v_cmpx_gt_i32_e64 s3, v0
	s_cbranch_execz .LBB136_21
.LBB136_27:
	v_add_nc_u32_e32 v1, s12, v0
	v_add_nc_u32_e32 v0, 0x100, v0
	global_store_b64 v1, v[4:5], s[4:5] scale_offset
	s_wait_xcnt 0x0
	s_or_b32 exec_lo, exec_lo, s0
	s_delay_alu instid0(SALU_CYCLE_1)
	s_mov_b32 s0, exec_lo
	v_cmpx_gt_i32_e64 s3, v0
	s_cbranch_execnz .LBB136_22
	s_branch .LBB136_23
	.section	.rodata,"a",@progbits
	.p2align	6, 0x0
	.amdhsa_kernel _ZN2at6native29vectorized_elementwise_kernelILi16EZZZNS0_12_GLOBAL__N_117clamp_kernel_implERNS_18TensorIteratorBaseEENKUlvE_clEvENKUlvE4_clEvEUldddE_St5arrayIPcLm4EEEEviT0_T1_
		.amdhsa_group_segment_fixed_size 0
		.amdhsa_private_segment_fixed_size 0
		.amdhsa_kernarg_size 40
		.amdhsa_user_sgpr_count 2
		.amdhsa_user_sgpr_dispatch_ptr 0
		.amdhsa_user_sgpr_queue_ptr 0
		.amdhsa_user_sgpr_kernarg_segment_ptr 1
		.amdhsa_user_sgpr_dispatch_id 0
		.amdhsa_user_sgpr_kernarg_preload_length 0
		.amdhsa_user_sgpr_kernarg_preload_offset 0
		.amdhsa_user_sgpr_private_segment_size 0
		.amdhsa_wavefront_size32 1
		.amdhsa_uses_dynamic_stack 0
		.amdhsa_enable_private_segment 0
		.amdhsa_system_sgpr_workgroup_id_x 1
		.amdhsa_system_sgpr_workgroup_id_y 0
		.amdhsa_system_sgpr_workgroup_id_z 0
		.amdhsa_system_sgpr_workgroup_info 0
		.amdhsa_system_vgpr_workitem_id 0
		.amdhsa_next_free_vgpr 44
		.amdhsa_next_free_sgpr 18
		.amdhsa_named_barrier_count 0
		.amdhsa_reserve_vcc 1
		.amdhsa_float_round_mode_32 0
		.amdhsa_float_round_mode_16_64 0
		.amdhsa_float_denorm_mode_32 3
		.amdhsa_float_denorm_mode_16_64 3
		.amdhsa_fp16_overflow 0
		.amdhsa_memory_ordered 1
		.amdhsa_forward_progress 1
		.amdhsa_inst_pref_size 14
		.amdhsa_round_robin_scheduling 0
		.amdhsa_exception_fp_ieee_invalid_op 0
		.amdhsa_exception_fp_denorm_src 0
		.amdhsa_exception_fp_ieee_div_zero 0
		.amdhsa_exception_fp_ieee_overflow 0
		.amdhsa_exception_fp_ieee_underflow 0
		.amdhsa_exception_fp_ieee_inexact 0
		.amdhsa_exception_int_div_zero 0
	.end_amdhsa_kernel
	.section	.text._ZN2at6native29vectorized_elementwise_kernelILi16EZZZNS0_12_GLOBAL__N_117clamp_kernel_implERNS_18TensorIteratorBaseEENKUlvE_clEvENKUlvE4_clEvEUldddE_St5arrayIPcLm4EEEEviT0_T1_,"axG",@progbits,_ZN2at6native29vectorized_elementwise_kernelILi16EZZZNS0_12_GLOBAL__N_117clamp_kernel_implERNS_18TensorIteratorBaseEENKUlvE_clEvENKUlvE4_clEvEUldddE_St5arrayIPcLm4EEEEviT0_T1_,comdat
.Lfunc_end136:
	.size	_ZN2at6native29vectorized_elementwise_kernelILi16EZZZNS0_12_GLOBAL__N_117clamp_kernel_implERNS_18TensorIteratorBaseEENKUlvE_clEvENKUlvE4_clEvEUldddE_St5arrayIPcLm4EEEEviT0_T1_, .Lfunc_end136-_ZN2at6native29vectorized_elementwise_kernelILi16EZZZNS0_12_GLOBAL__N_117clamp_kernel_implERNS_18TensorIteratorBaseEENKUlvE_clEvENKUlvE4_clEvEUldddE_St5arrayIPcLm4EEEEviT0_T1_
                                        ; -- End function
	.set _ZN2at6native29vectorized_elementwise_kernelILi16EZZZNS0_12_GLOBAL__N_117clamp_kernel_implERNS_18TensorIteratorBaseEENKUlvE_clEvENKUlvE4_clEvEUldddE_St5arrayIPcLm4EEEEviT0_T1_.num_vgpr, 44
	.set _ZN2at6native29vectorized_elementwise_kernelILi16EZZZNS0_12_GLOBAL__N_117clamp_kernel_implERNS_18TensorIteratorBaseEENKUlvE_clEvENKUlvE4_clEvEUldddE_St5arrayIPcLm4EEEEviT0_T1_.num_agpr, 0
	.set _ZN2at6native29vectorized_elementwise_kernelILi16EZZZNS0_12_GLOBAL__N_117clamp_kernel_implERNS_18TensorIteratorBaseEENKUlvE_clEvENKUlvE4_clEvEUldddE_St5arrayIPcLm4EEEEviT0_T1_.numbered_sgpr, 18
	.set _ZN2at6native29vectorized_elementwise_kernelILi16EZZZNS0_12_GLOBAL__N_117clamp_kernel_implERNS_18TensorIteratorBaseEENKUlvE_clEvENKUlvE4_clEvEUldddE_St5arrayIPcLm4EEEEviT0_T1_.num_named_barrier, 0
	.set _ZN2at6native29vectorized_elementwise_kernelILi16EZZZNS0_12_GLOBAL__N_117clamp_kernel_implERNS_18TensorIteratorBaseEENKUlvE_clEvENKUlvE4_clEvEUldddE_St5arrayIPcLm4EEEEviT0_T1_.private_seg_size, 0
	.set _ZN2at6native29vectorized_elementwise_kernelILi16EZZZNS0_12_GLOBAL__N_117clamp_kernel_implERNS_18TensorIteratorBaseEENKUlvE_clEvENKUlvE4_clEvEUldddE_St5arrayIPcLm4EEEEviT0_T1_.uses_vcc, 1
	.set _ZN2at6native29vectorized_elementwise_kernelILi16EZZZNS0_12_GLOBAL__N_117clamp_kernel_implERNS_18TensorIteratorBaseEENKUlvE_clEvENKUlvE4_clEvEUldddE_St5arrayIPcLm4EEEEviT0_T1_.uses_flat_scratch, 0
	.set _ZN2at6native29vectorized_elementwise_kernelILi16EZZZNS0_12_GLOBAL__N_117clamp_kernel_implERNS_18TensorIteratorBaseEENKUlvE_clEvENKUlvE4_clEvEUldddE_St5arrayIPcLm4EEEEviT0_T1_.has_dyn_sized_stack, 0
	.set _ZN2at6native29vectorized_elementwise_kernelILi16EZZZNS0_12_GLOBAL__N_117clamp_kernel_implERNS_18TensorIteratorBaseEENKUlvE_clEvENKUlvE4_clEvEUldddE_St5arrayIPcLm4EEEEviT0_T1_.has_recursion, 0
	.set _ZN2at6native29vectorized_elementwise_kernelILi16EZZZNS0_12_GLOBAL__N_117clamp_kernel_implERNS_18TensorIteratorBaseEENKUlvE_clEvENKUlvE4_clEvEUldddE_St5arrayIPcLm4EEEEviT0_T1_.has_indirect_call, 0
	.section	.AMDGPU.csdata,"",@progbits
; Kernel info:
; codeLenInByte = 1776
; TotalNumSgprs: 20
; NumVgprs: 44
; ScratchSize: 0
; MemoryBound: 0
; FloatMode: 240
; IeeeMode: 1
; LDSByteSize: 0 bytes/workgroup (compile time only)
; SGPRBlocks: 0
; VGPRBlocks: 2
; NumSGPRsForWavesPerEU: 20
; NumVGPRsForWavesPerEU: 44
; NamedBarCnt: 0
; Occupancy: 16
; WaveLimiterHint : 0
; COMPUTE_PGM_RSRC2:SCRATCH_EN: 0
; COMPUTE_PGM_RSRC2:USER_SGPR: 2
; COMPUTE_PGM_RSRC2:TRAP_HANDLER: 0
; COMPUTE_PGM_RSRC2:TGID_X_EN: 1
; COMPUTE_PGM_RSRC2:TGID_Y_EN: 0
; COMPUTE_PGM_RSRC2:TGID_Z_EN: 0
; COMPUTE_PGM_RSRC2:TIDIG_COMP_CNT: 0
	.section	.text._ZN2at6native29vectorized_elementwise_kernelILi8EZZZNS0_12_GLOBAL__N_117clamp_kernel_implERNS_18TensorIteratorBaseEENKUlvE_clEvENKUlvE4_clEvEUldddE_St5arrayIPcLm4EEEEviT0_T1_,"axG",@progbits,_ZN2at6native29vectorized_elementwise_kernelILi8EZZZNS0_12_GLOBAL__N_117clamp_kernel_implERNS_18TensorIteratorBaseEENKUlvE_clEvENKUlvE4_clEvEUldddE_St5arrayIPcLm4EEEEviT0_T1_,comdat
	.globl	_ZN2at6native29vectorized_elementwise_kernelILi8EZZZNS0_12_GLOBAL__N_117clamp_kernel_implERNS_18TensorIteratorBaseEENKUlvE_clEvENKUlvE4_clEvEUldddE_St5arrayIPcLm4EEEEviT0_T1_ ; -- Begin function _ZN2at6native29vectorized_elementwise_kernelILi8EZZZNS0_12_GLOBAL__N_117clamp_kernel_implERNS_18TensorIteratorBaseEENKUlvE_clEvENKUlvE4_clEvEUldddE_St5arrayIPcLm4EEEEviT0_T1_
	.p2align	8
	.type	_ZN2at6native29vectorized_elementwise_kernelILi8EZZZNS0_12_GLOBAL__N_117clamp_kernel_implERNS_18TensorIteratorBaseEENKUlvE_clEvENKUlvE4_clEvEUldddE_St5arrayIPcLm4EEEEviT0_T1_,@function
_ZN2at6native29vectorized_elementwise_kernelILi8EZZZNS0_12_GLOBAL__N_117clamp_kernel_implERNS_18TensorIteratorBaseEENKUlvE_clEvENKUlvE4_clEvEUldddE_St5arrayIPcLm4EEEEviT0_T1_: ; @_ZN2at6native29vectorized_elementwise_kernelILi8EZZZNS0_12_GLOBAL__N_117clamp_kernel_implERNS_18TensorIteratorBaseEENKUlvE_clEvENKUlvE4_clEvEUldddE_St5arrayIPcLm4EEEEviT0_T1_
; %bb.0:
	s_clause 0x1
	s_load_b32 s2, s[0:1], 0x0
	s_load_b256 s[4:11], s[0:1], 0x8
	s_wait_xcnt 0x0
	s_bfe_u32 s0, ttmp6, 0x4000c
	s_and_b32 s1, ttmp6, 15
	s_add_co_i32 s0, s0, 1
	s_getreg_b32 s3, hwreg(HW_REG_IB_STS2, 6, 4)
	s_mul_i32 s0, ttmp9, s0
	s_delay_alu instid0(SALU_CYCLE_1) | instskip(SKIP_2) | instid1(SALU_CYCLE_1)
	s_add_co_i32 s1, s1, s0
	s_cmp_eq_u32 s3, 0
	s_cselect_b32 s0, ttmp9, s1
	s_lshl_b32 s12, s0, 10
	s_mov_b32 s0, -1
	s_wait_kmcnt 0x0
	s_sub_co_i32 s3, s2, s12
	s_delay_alu instid0(SALU_CYCLE_1)
	s_cmp_gt_i32 s3, 0x3ff
	s_cbranch_scc0 .LBB137_2
; %bb.1:
	s_ashr_i32 s13, s12, 31
	v_lshlrev_b32_e32 v1, 5, v0
	s_lshl_b64 s[14:15], s[12:13], 3
	s_delay_alu instid0(SALU_CYCLE_1)
	s_add_nc_u64 s[0:1], s[8:9], s[14:15]
	s_add_nc_u64 s[16:17], s[6:7], s[14:15]
	s_clause 0x3
	global_load_b128 v[2:5], v1, s[0:1]
	global_load_b128 v[6:9], v1, s[16:17]
	global_load_b128 v[10:13], v1, s[0:1] offset:16
	global_load_b128 v[14:17], v1, s[16:17] offset:16
	s_wait_xcnt 0x1
	s_add_nc_u64 s[0:1], s[10:11], s[14:15]
	s_add_nc_u64 s[14:15], s[4:5], s[14:15]
	s_wait_loadcnt 0x3
	v_max_num_f64_e32 v[26:27], v[2:3], v[2:3]
	s_clause 0x1
	global_load_b128 v[18:21], v1, s[0:1]
	global_load_b128 v[22:25], v1, s[0:1] offset:16
	s_wait_loadcnt 0x1
	v_cmp_u_f64_e32 vcc_lo, v[18:19], v[18:19]
	s_wait_loadcnt 0x0
	v_cmp_u_f64_e64 s2, v[24:25], v[24:25]
	v_max_num_f64_e32 v[28:29], v[6:7], v[6:7]
	v_max_num_f64_e32 v[42:43], v[18:19], v[18:19]
	v_cmp_u_f64_e64 s0, v[20:21], v[20:21]
	v_cmp_u_f64_e64 s1, v[22:23], v[22:23]
	s_delay_alu instid0(VALU_DEP_4) | instskip(NEXT) | instid1(VALU_DEP_1)
	v_max_num_f64_e32 v[26:27], v[28:29], v[26:27]
	v_min_num_f64_e32 v[26:27], v[26:27], v[42:43]
	v_max_num_f64_e32 v[30:31], v[4:5], v[4:5]
	s_delay_alu instid0(VALU_DEP_2) | instskip(NEXT) | instid1(VALU_DEP_3)
	v_dual_max_num_f64 v[32:33], v[8:9], v[8:9] :: v_dual_cndmask_b32 v18, v26, v18, vcc_lo
	v_cndmask_b32_e32 v19, v27, v19, vcc_lo
	s_delay_alu instid0(VALU_DEP_2) | instskip(SKIP_1) | instid1(VALU_DEP_4)
	v_max_num_f64_e32 v[30:31], v[32:33], v[30:31]
	v_cmp_u_f64_e32 vcc_lo, v[2:3], v[2:3]
	v_dual_max_num_f64 v[28:29], v[20:21], v[20:21] :: v_dual_cndmask_b32 v2, v18, v2, vcc_lo
	s_delay_alu instid0(VALU_DEP_1) | instskip(SKIP_1) | instid1(VALU_DEP_2)
	v_min_num_f64_e32 v[28:29], v[30:31], v[28:29]
	v_max_num_f64_e32 v[34:35], v[10:11], v[10:11]
	v_dual_max_num_f64 v[36:37], v[14:15], v[14:15] :: v_dual_cndmask_b32 v20, v28, v20, s0
	s_delay_alu instid0(VALU_DEP_3) | instskip(NEXT) | instid1(VALU_DEP_2)
	v_cndmask_b32_e64 v21, v29, v21, s0
	v_max_num_f64_e32 v[34:35], v[36:37], v[34:35]
	v_cmp_u_f64_e64 s0, v[4:5], v[4:5]
	v_max_num_f64_e32 v[32:33], v[22:23], v[22:23]
	v_cndmask_b32_e32 v3, v19, v3, vcc_lo
	v_cmp_u_f64_e32 vcc_lo, v[6:7], v[6:7]
	s_delay_alu instid0(VALU_DEP_4) | instskip(NEXT) | instid1(VALU_DEP_4)
	v_cndmask_b32_e64 v4, v20, v4, s0
	v_min_num_f64_e32 v[30:31], v[34:35], v[32:33]
	v_max_num_f64_e32 v[38:39], v[12:13], v[12:13]
	v_max_num_f64_e32 v[40:41], v[16:17], v[16:17]
	v_cndmask_b32_e64 v5, v21, v5, s0
	v_cmp_u_f64_e64 s0, v[8:9], v[8:9]
	v_dual_cndmask_b32 v3, v3, v7 :: v_dual_cndmask_b32 v2, v2, v6
	v_dual_cndmask_b32 v23, v31, v23, s1 :: v_dual_cndmask_b32 v22, v30, v22, s1
	v_max_num_f64_e32 v[38:39], v[40:41], v[38:39]
	v_cmp_u_f64_e64 s1, v[10:11], v[10:11]
	v_max_num_f64_e32 v[36:37], v[24:25], v[24:25]
	v_dual_cndmask_b32 v5, v5, v9, s0 :: v_dual_cndmask_b32 v4, v4, v8, s0
	s_mov_b32 s0, 0
	v_cndmask_b32_e64 v10, v22, v10, s1
	s_delay_alu instid0(VALU_DEP_3) | instskip(NEXT) | instid1(VALU_DEP_1)
	v_min_num_f64_e32 v[32:33], v[38:39], v[36:37]
	v_dual_cndmask_b32 v25, v33, v25, s2 :: v_dual_cndmask_b32 v24, v32, v24, s2
	v_cmp_u_f64_e64 s2, v[12:13], v[12:13]
	v_cndmask_b32_e64 v11, v23, v11, s1
	v_cmp_u_f64_e64 s1, v[14:15], v[14:15]
	s_delay_alu instid0(VALU_DEP_3) | instskip(SKIP_1) | instid1(VALU_DEP_3)
	v_dual_cndmask_b32 v12, v24, v12, s2 :: v_dual_cndmask_b32 v13, v25, v13, s2
	v_cmp_u_f64_e64 s2, v[16:17], v[16:17]
	v_dual_cndmask_b32 v7, v11, v15, s1 :: v_dual_cndmask_b32 v6, v10, v14, s1
	s_delay_alu instid0(VALU_DEP_2)
	v_dual_cndmask_b32 v8, v12, v16, s2 :: v_dual_cndmask_b32 v9, v13, v17, s2
	s_clause 0x1
	global_store_b128 v1, v[2:5], s[14:15]
	global_store_b128 v1, v[6:9], s[14:15] offset:16
.LBB137_2:
	s_and_not1_b32 vcc_lo, exec_lo, s0
	s_cbranch_vccnz .LBB137_23
; %bb.3:
	s_wait_xcnt 0x1
	v_mov_b64_e32 v[4:5], 0
	s_wait_xcnt 0x0
	v_mov_b64_e32 v[8:9], 0
	v_mov_b64_e32 v[16:17], 0
	;; [unrolled: 1-line block ×3, first 2 shown]
	v_cmp_gt_i32_e32 vcc_lo, s3, v0
	v_dual_mov_b32 v26, v0 :: v_dual_bitop2_b32 v1, s12, v0 bitop3:0x54
	v_or_b32_e32 v28, 0x100, v0
	s_and_saveexec_b32 s0, vcc_lo
	s_cbranch_execz .LBB137_5
; %bb.4:
	s_clause 0x2
	global_load_b64 v[8:9], v1, s[6:7] scale_offset
	global_load_b64 v[16:17], v1, s[8:9] scale_offset
	;; [unrolled: 1-line block ×3, first 2 shown]
	v_or_b32_e32 v26, 0x100, v0
.LBB137_5:
	s_wait_xcnt 0x0
	s_or_b32 exec_lo, exec_lo, s0
	v_mov_b64_e32 v[14:15], 0
	v_mov_b64_e32 v[22:23], 0
	s_mov_b32 s1, exec_lo
	v_cmpx_gt_i32_e64 s3, v26
	s_cbranch_execz .LBB137_7
; %bb.6:
	v_add_nc_u32_e32 v2, s12, v26
	v_add_nc_u32_e32 v26, 0x100, v26
	s_clause 0x2
	global_load_b64 v[4:5], v2, s[6:7] scale_offset
	global_load_b64 v[14:15], v2, s[8:9] scale_offset
	;; [unrolled: 1-line block ×3, first 2 shown]
.LBB137_7:
	s_wait_xcnt 0x0
	s_or_b32 exec_lo, exec_lo, s1
	v_mov_b64_e32 v[2:3], 0
	v_mov_b64_e32 v[6:7], 0
	;; [unrolled: 1-line block ×4, first 2 shown]
	s_mov_b32 s1, exec_lo
	v_cmpx_gt_i32_e64 s3, v26
	s_cbranch_execz .LBB137_9
; %bb.8:
	v_add_nc_u32_e32 v10, s12, v26
	v_add_nc_u32_e32 v26, 0x100, v26
	s_clause 0x2
	global_load_b64 v[6:7], v10, s[6:7] scale_offset
	global_load_b64 v[12:13], v10, s[8:9] scale_offset
	;; [unrolled: 1-line block ×3, first 2 shown]
.LBB137_9:
	s_wait_xcnt 0x0
	s_or_b32 exec_lo, exec_lo, s1
	v_mov_b64_e32 v[10:11], 0
	v_mov_b64_e32 v[18:19], 0
	s_mov_b32 s1, exec_lo
	v_cmpx_gt_i32_e64 s3, v26
	s_cbranch_execz .LBB137_11
; %bb.10:
	v_add_nc_u32_e32 v26, s12, v26
	s_clause 0x2
	global_load_b64 v[2:3], v26, s[6:7] scale_offset
	global_load_b64 v[10:11], v26, s[8:9] scale_offset
	;; [unrolled: 1-line block ×3, first 2 shown]
	s_wait_xcnt 0x0
	s_or_b32 exec_lo, exec_lo, s1
                                        ; implicit-def: $vgpr26_vgpr27
	s_and_saveexec_b32 s1, vcc_lo
	s_cbranch_execz .LBB137_13
	s_branch .LBB137_12
.LBB137_11:
	s_or_b32 exec_lo, exec_lo, s1
                                        ; implicit-def: $vgpr26_vgpr27
	s_and_saveexec_b32 s1, vcc_lo
	s_cbranch_execz .LBB137_13
.LBB137_12:
	s_wait_loadcnt 0x1
	v_max_num_f64_e32 v[26:27], v[16:17], v[16:17]
	v_max_num_f64_e32 v[30:31], v[8:9], v[8:9]
	s_wait_loadcnt 0x0
	v_max_num_f64_e32 v[32:33], v[24:25], v[24:25]
	v_cmp_u_f64_e64 s0, v[24:25], v[24:25]
	s_delay_alu instid0(VALU_DEP_3) | instskip(NEXT) | instid1(VALU_DEP_1)
	v_max_num_f64_e32 v[26:27], v[30:31], v[26:27]
	v_min_num_f64_e32 v[26:27], v[26:27], v[32:33]
	s_delay_alu instid0(VALU_DEP_1) | instskip(SKIP_1) | instid1(VALU_DEP_1)
	v_dual_cndmask_b32 v25, v27, v25, s0 :: v_dual_cndmask_b32 v24, v26, v24, s0
	v_cmp_u_f64_e64 s0, v[16:17], v[16:17]
	v_dual_cndmask_b32 v16, v24, v16, s0 :: v_dual_cndmask_b32 v17, v25, v17, s0
	v_cmp_u_f64_e64 s0, v[8:9], v[8:9]
	s_delay_alu instid0(VALU_DEP_1)
	v_dual_cndmask_b32 v26, v16, v8, s0 :: v_dual_cndmask_b32 v27, v17, v9, s0
.LBB137_13:
	s_or_b32 exec_lo, exec_lo, s1
	s_delay_alu instid0(SALU_CYCLE_1)
	s_mov_b32 s1, exec_lo
                                        ; implicit-def: $vgpr8_vgpr9
	v_cmpx_gt_i32_e64 s3, v28
	s_cbranch_execz .LBB137_15
; %bb.14:
	s_wait_loadcnt 0x1
	v_max_num_f64_e32 v[8:9], v[14:15], v[14:15]
	v_max_num_f64_e32 v[16:17], v[4:5], v[4:5]
	s_wait_loadcnt 0x0
	v_max_num_f64_e32 v[24:25], v[22:23], v[22:23]
	v_cmp_u_f64_e64 s0, v[22:23], v[22:23]
	s_delay_alu instid0(VALU_DEP_3) | instskip(NEXT) | instid1(VALU_DEP_1)
	v_max_num_f64_e32 v[8:9], v[16:17], v[8:9]
	v_min_num_f64_e32 v[8:9], v[8:9], v[24:25]
	s_delay_alu instid0(VALU_DEP_1) | instskip(SKIP_1) | instid1(VALU_DEP_1)
	v_dual_cndmask_b32 v9, v9, v23, s0 :: v_dual_cndmask_b32 v8, v8, v22, s0
	v_cmp_u_f64_e64 s0, v[14:15], v[14:15]
	v_dual_cndmask_b32 v8, v8, v14, s0 :: v_dual_cndmask_b32 v9, v9, v15, s0
	v_cmp_u_f64_e64 s0, v[4:5], v[4:5]
	s_delay_alu instid0(VALU_DEP_1)
	v_dual_cndmask_b32 v9, v9, v5, s0 :: v_dual_cndmask_b32 v8, v8, v4, s0
.LBB137_15:
	s_or_b32 exec_lo, exec_lo, s1
	s_wait_loadcnt 0x2
	v_or_b32_e32 v4, 0x200, v0
	s_delay_alu instid0(VALU_DEP_1)
	v_cmp_gt_i32_e64 s0, s3, v4
                                        ; implicit-def: $vgpr4_vgpr5
	s_and_saveexec_b32 s1, s0
	s_cbranch_execz .LBB137_17
; %bb.16:
	s_wait_loadcnt 0x1
	v_max_num_f64_e32 v[4:5], v[12:13], v[12:13]
	s_wait_loadcnt 0x0
	v_cmp_u_f64_e64 s0, v[20:21], v[20:21]
	v_max_num_f64_e32 v[14:15], v[6:7], v[6:7]
	v_max_num_f64_e32 v[16:17], v[20:21], v[20:21]
	s_delay_alu instid0(VALU_DEP_2) | instskip(NEXT) | instid1(VALU_DEP_1)
	v_max_num_f64_e32 v[4:5], v[14:15], v[4:5]
	v_min_num_f64_e32 v[4:5], v[4:5], v[16:17]
	s_delay_alu instid0(VALU_DEP_1) | instskip(SKIP_1) | instid1(VALU_DEP_1)
	v_dual_cndmask_b32 v5, v5, v21, s0 :: v_dual_cndmask_b32 v4, v4, v20, s0
	v_cmp_u_f64_e64 s0, v[12:13], v[12:13]
	v_dual_cndmask_b32 v5, v5, v13, s0 :: v_dual_cndmask_b32 v4, v4, v12, s0
	v_cmp_u_f64_e64 s0, v[6:7], v[6:7]
	s_delay_alu instid0(VALU_DEP_1)
	v_dual_cndmask_b32 v5, v5, v7, s0 :: v_dual_cndmask_b32 v4, v4, v6, s0
.LBB137_17:
	s_or_b32 exec_lo, exec_lo, s1
	v_or_b32_e32 v6, 0x300, v0
	s_delay_alu instid0(VALU_DEP_1)
	v_cmp_gt_i32_e64 s0, s3, v6
                                        ; implicit-def: $vgpr6_vgpr7
	s_and_saveexec_b32 s1, s0
	s_cbranch_execz .LBB137_24
; %bb.18:
	s_wait_loadcnt 0x1
	v_max_num_f64_e32 v[6:7], v[10:11], v[10:11]
	v_max_num_f64_e32 v[12:13], v[2:3], v[2:3]
	s_wait_loadcnt 0x0
	v_max_num_f64_e32 v[14:15], v[18:19], v[18:19]
	v_cmp_u_f64_e64 s0, v[18:19], v[18:19]
	s_delay_alu instid0(VALU_DEP_3) | instskip(NEXT) | instid1(VALU_DEP_1)
	v_max_num_f64_e32 v[6:7], v[12:13], v[6:7]
	v_min_num_f64_e32 v[6:7], v[6:7], v[14:15]
	s_delay_alu instid0(VALU_DEP_1) | instskip(SKIP_1) | instid1(VALU_DEP_1)
	v_dual_cndmask_b32 v7, v7, v19, s0 :: v_dual_cndmask_b32 v6, v6, v18, s0
	v_cmp_u_f64_e64 s0, v[10:11], v[10:11]
	v_dual_cndmask_b32 v6, v6, v10, s0 :: v_dual_cndmask_b32 v7, v7, v11, s0
	v_cmp_u_f64_e64 s0, v[2:3], v[2:3]
	s_delay_alu instid0(VALU_DEP_1) | instskip(SKIP_2) | instid1(SALU_CYCLE_1)
	v_dual_cndmask_b32 v7, v7, v3, s0 :: v_dual_cndmask_b32 v6, v6, v2, s0
	s_or_b32 exec_lo, exec_lo, s1
	s_and_saveexec_b32 s0, vcc_lo
	s_xor_b32 s0, exec_lo, s0
	s_cbranch_execnz .LBB137_25
.LBB137_19:
	s_or_b32 exec_lo, exec_lo, s0
	s_delay_alu instid0(SALU_CYCLE_1)
	s_mov_b32 s0, exec_lo
	v_cmpx_gt_i32_e64 s3, v0
	s_cbranch_execz .LBB137_26
.LBB137_20:
	v_add_nc_u32_e32 v1, s12, v0
	v_add_nc_u32_e32 v0, 0x100, v0
	global_store_b64 v1, v[8:9], s[4:5] scale_offset
	s_wait_xcnt 0x0
	s_or_b32 exec_lo, exec_lo, s0
	s_delay_alu instid0(SALU_CYCLE_1)
	s_mov_b32 s0, exec_lo
	v_cmpx_gt_i32_e64 s3, v0
	s_cbranch_execnz .LBB137_27
.LBB137_21:
	s_or_b32 exec_lo, exec_lo, s0
	s_delay_alu instid0(SALU_CYCLE_1)
	s_mov_b32 s0, exec_lo
	v_cmpx_gt_i32_e64 s3, v0
	s_cbranch_execz .LBB137_23
.LBB137_22:
	v_add_nc_u32_e32 v0, s12, v0
	global_store_b64 v0, v[6:7], s[4:5] scale_offset
.LBB137_23:
	s_endpgm
.LBB137_24:
	s_or_b32 exec_lo, exec_lo, s1
	s_and_saveexec_b32 s0, vcc_lo
	s_delay_alu instid0(SALU_CYCLE_1)
	s_xor_b32 s0, exec_lo, s0
	s_cbranch_execz .LBB137_19
.LBB137_25:
	v_mov_b32_e32 v0, v28
	global_store_b64 v1, v[26:27], s[4:5] scale_offset
	s_wait_xcnt 0x0
	s_or_b32 exec_lo, exec_lo, s0
	s_delay_alu instid0(SALU_CYCLE_1)
	s_mov_b32 s0, exec_lo
	v_cmpx_gt_i32_e64 s3, v0
	s_cbranch_execnz .LBB137_20
.LBB137_26:
	s_or_b32 exec_lo, exec_lo, s0
	s_delay_alu instid0(SALU_CYCLE_1)
	s_mov_b32 s0, exec_lo
	v_cmpx_gt_i32_e64 s3, v0
	s_cbranch_execz .LBB137_21
.LBB137_27:
	v_add_nc_u32_e32 v1, s12, v0
	v_add_nc_u32_e32 v0, 0x100, v0
	global_store_b64 v1, v[4:5], s[4:5] scale_offset
	s_wait_xcnt 0x0
	s_or_b32 exec_lo, exec_lo, s0
	s_delay_alu instid0(SALU_CYCLE_1)
	s_mov_b32 s0, exec_lo
	v_cmpx_gt_i32_e64 s3, v0
	s_cbranch_execnz .LBB137_22
	s_branch .LBB137_23
	.section	.rodata,"a",@progbits
	.p2align	6, 0x0
	.amdhsa_kernel _ZN2at6native29vectorized_elementwise_kernelILi8EZZZNS0_12_GLOBAL__N_117clamp_kernel_implERNS_18TensorIteratorBaseEENKUlvE_clEvENKUlvE4_clEvEUldddE_St5arrayIPcLm4EEEEviT0_T1_
		.amdhsa_group_segment_fixed_size 0
		.amdhsa_private_segment_fixed_size 0
		.amdhsa_kernarg_size 40
		.amdhsa_user_sgpr_count 2
		.amdhsa_user_sgpr_dispatch_ptr 0
		.amdhsa_user_sgpr_queue_ptr 0
		.amdhsa_user_sgpr_kernarg_segment_ptr 1
		.amdhsa_user_sgpr_dispatch_id 0
		.amdhsa_user_sgpr_kernarg_preload_length 0
		.amdhsa_user_sgpr_kernarg_preload_offset 0
		.amdhsa_user_sgpr_private_segment_size 0
		.amdhsa_wavefront_size32 1
		.amdhsa_uses_dynamic_stack 0
		.amdhsa_enable_private_segment 0
		.amdhsa_system_sgpr_workgroup_id_x 1
		.amdhsa_system_sgpr_workgroup_id_y 0
		.amdhsa_system_sgpr_workgroup_id_z 0
		.amdhsa_system_sgpr_workgroup_info 0
		.amdhsa_system_vgpr_workitem_id 0
		.amdhsa_next_free_vgpr 44
		.amdhsa_next_free_sgpr 18
		.amdhsa_named_barrier_count 0
		.amdhsa_reserve_vcc 1
		.amdhsa_float_round_mode_32 0
		.amdhsa_float_round_mode_16_64 0
		.amdhsa_float_denorm_mode_32 3
		.amdhsa_float_denorm_mode_16_64 3
		.amdhsa_fp16_overflow 0
		.amdhsa_memory_ordered 1
		.amdhsa_forward_progress 1
		.amdhsa_inst_pref_size 14
		.amdhsa_round_robin_scheduling 0
		.amdhsa_exception_fp_ieee_invalid_op 0
		.amdhsa_exception_fp_denorm_src 0
		.amdhsa_exception_fp_ieee_div_zero 0
		.amdhsa_exception_fp_ieee_overflow 0
		.amdhsa_exception_fp_ieee_underflow 0
		.amdhsa_exception_fp_ieee_inexact 0
		.amdhsa_exception_int_div_zero 0
	.end_amdhsa_kernel
	.section	.text._ZN2at6native29vectorized_elementwise_kernelILi8EZZZNS0_12_GLOBAL__N_117clamp_kernel_implERNS_18TensorIteratorBaseEENKUlvE_clEvENKUlvE4_clEvEUldddE_St5arrayIPcLm4EEEEviT0_T1_,"axG",@progbits,_ZN2at6native29vectorized_elementwise_kernelILi8EZZZNS0_12_GLOBAL__N_117clamp_kernel_implERNS_18TensorIteratorBaseEENKUlvE_clEvENKUlvE4_clEvEUldddE_St5arrayIPcLm4EEEEviT0_T1_,comdat
.Lfunc_end137:
	.size	_ZN2at6native29vectorized_elementwise_kernelILi8EZZZNS0_12_GLOBAL__N_117clamp_kernel_implERNS_18TensorIteratorBaseEENKUlvE_clEvENKUlvE4_clEvEUldddE_St5arrayIPcLm4EEEEviT0_T1_, .Lfunc_end137-_ZN2at6native29vectorized_elementwise_kernelILi8EZZZNS0_12_GLOBAL__N_117clamp_kernel_implERNS_18TensorIteratorBaseEENKUlvE_clEvENKUlvE4_clEvEUldddE_St5arrayIPcLm4EEEEviT0_T1_
                                        ; -- End function
	.set _ZN2at6native29vectorized_elementwise_kernelILi8EZZZNS0_12_GLOBAL__N_117clamp_kernel_implERNS_18TensorIteratorBaseEENKUlvE_clEvENKUlvE4_clEvEUldddE_St5arrayIPcLm4EEEEviT0_T1_.num_vgpr, 44
	.set _ZN2at6native29vectorized_elementwise_kernelILi8EZZZNS0_12_GLOBAL__N_117clamp_kernel_implERNS_18TensorIteratorBaseEENKUlvE_clEvENKUlvE4_clEvEUldddE_St5arrayIPcLm4EEEEviT0_T1_.num_agpr, 0
	.set _ZN2at6native29vectorized_elementwise_kernelILi8EZZZNS0_12_GLOBAL__N_117clamp_kernel_implERNS_18TensorIteratorBaseEENKUlvE_clEvENKUlvE4_clEvEUldddE_St5arrayIPcLm4EEEEviT0_T1_.numbered_sgpr, 18
	.set _ZN2at6native29vectorized_elementwise_kernelILi8EZZZNS0_12_GLOBAL__N_117clamp_kernel_implERNS_18TensorIteratorBaseEENKUlvE_clEvENKUlvE4_clEvEUldddE_St5arrayIPcLm4EEEEviT0_T1_.num_named_barrier, 0
	.set _ZN2at6native29vectorized_elementwise_kernelILi8EZZZNS0_12_GLOBAL__N_117clamp_kernel_implERNS_18TensorIteratorBaseEENKUlvE_clEvENKUlvE4_clEvEUldddE_St5arrayIPcLm4EEEEviT0_T1_.private_seg_size, 0
	.set _ZN2at6native29vectorized_elementwise_kernelILi8EZZZNS0_12_GLOBAL__N_117clamp_kernel_implERNS_18TensorIteratorBaseEENKUlvE_clEvENKUlvE4_clEvEUldddE_St5arrayIPcLm4EEEEviT0_T1_.uses_vcc, 1
	.set _ZN2at6native29vectorized_elementwise_kernelILi8EZZZNS0_12_GLOBAL__N_117clamp_kernel_implERNS_18TensorIteratorBaseEENKUlvE_clEvENKUlvE4_clEvEUldddE_St5arrayIPcLm4EEEEviT0_T1_.uses_flat_scratch, 0
	.set _ZN2at6native29vectorized_elementwise_kernelILi8EZZZNS0_12_GLOBAL__N_117clamp_kernel_implERNS_18TensorIteratorBaseEENKUlvE_clEvENKUlvE4_clEvEUldddE_St5arrayIPcLm4EEEEviT0_T1_.has_dyn_sized_stack, 0
	.set _ZN2at6native29vectorized_elementwise_kernelILi8EZZZNS0_12_GLOBAL__N_117clamp_kernel_implERNS_18TensorIteratorBaseEENKUlvE_clEvENKUlvE4_clEvEUldddE_St5arrayIPcLm4EEEEviT0_T1_.has_recursion, 0
	.set _ZN2at6native29vectorized_elementwise_kernelILi8EZZZNS0_12_GLOBAL__N_117clamp_kernel_implERNS_18TensorIteratorBaseEENKUlvE_clEvENKUlvE4_clEvEUldddE_St5arrayIPcLm4EEEEviT0_T1_.has_indirect_call, 0
	.section	.AMDGPU.csdata,"",@progbits
; Kernel info:
; codeLenInByte = 1776
; TotalNumSgprs: 20
; NumVgprs: 44
; ScratchSize: 0
; MemoryBound: 0
; FloatMode: 240
; IeeeMode: 1
; LDSByteSize: 0 bytes/workgroup (compile time only)
; SGPRBlocks: 0
; VGPRBlocks: 2
; NumSGPRsForWavesPerEU: 20
; NumVGPRsForWavesPerEU: 44
; NamedBarCnt: 0
; Occupancy: 16
; WaveLimiterHint : 0
; COMPUTE_PGM_RSRC2:SCRATCH_EN: 0
; COMPUTE_PGM_RSRC2:USER_SGPR: 2
; COMPUTE_PGM_RSRC2:TRAP_HANDLER: 0
; COMPUTE_PGM_RSRC2:TGID_X_EN: 1
; COMPUTE_PGM_RSRC2:TGID_Y_EN: 0
; COMPUTE_PGM_RSRC2:TGID_Z_EN: 0
; COMPUTE_PGM_RSRC2:TIDIG_COMP_CNT: 0
	.section	.text._ZN2at6native29vectorized_elementwise_kernelILi4EZZZNS0_12_GLOBAL__N_117clamp_kernel_implERNS_18TensorIteratorBaseEENKUlvE_clEvENKUlvE4_clEvEUldddE_St5arrayIPcLm4EEEEviT0_T1_,"axG",@progbits,_ZN2at6native29vectorized_elementwise_kernelILi4EZZZNS0_12_GLOBAL__N_117clamp_kernel_implERNS_18TensorIteratorBaseEENKUlvE_clEvENKUlvE4_clEvEUldddE_St5arrayIPcLm4EEEEviT0_T1_,comdat
	.globl	_ZN2at6native29vectorized_elementwise_kernelILi4EZZZNS0_12_GLOBAL__N_117clamp_kernel_implERNS_18TensorIteratorBaseEENKUlvE_clEvENKUlvE4_clEvEUldddE_St5arrayIPcLm4EEEEviT0_T1_ ; -- Begin function _ZN2at6native29vectorized_elementwise_kernelILi4EZZZNS0_12_GLOBAL__N_117clamp_kernel_implERNS_18TensorIteratorBaseEENKUlvE_clEvENKUlvE4_clEvEUldddE_St5arrayIPcLm4EEEEviT0_T1_
	.p2align	8
	.type	_ZN2at6native29vectorized_elementwise_kernelILi4EZZZNS0_12_GLOBAL__N_117clamp_kernel_implERNS_18TensorIteratorBaseEENKUlvE_clEvENKUlvE4_clEvEUldddE_St5arrayIPcLm4EEEEviT0_T1_,@function
_ZN2at6native29vectorized_elementwise_kernelILi4EZZZNS0_12_GLOBAL__N_117clamp_kernel_implERNS_18TensorIteratorBaseEENKUlvE_clEvENKUlvE4_clEvEUldddE_St5arrayIPcLm4EEEEviT0_T1_: ; @_ZN2at6native29vectorized_elementwise_kernelILi4EZZZNS0_12_GLOBAL__N_117clamp_kernel_implERNS_18TensorIteratorBaseEENKUlvE_clEvENKUlvE4_clEvEUldddE_St5arrayIPcLm4EEEEviT0_T1_
; %bb.0:
	s_clause 0x1
	s_load_b32 s2, s[0:1], 0x0
	s_load_b256 s[4:11], s[0:1], 0x8
	s_wait_xcnt 0x0
	s_bfe_u32 s0, ttmp6, 0x4000c
	s_and_b32 s1, ttmp6, 15
	s_add_co_i32 s0, s0, 1
	s_getreg_b32 s3, hwreg(HW_REG_IB_STS2, 6, 4)
	s_mul_i32 s0, ttmp9, s0
	s_delay_alu instid0(SALU_CYCLE_1) | instskip(SKIP_2) | instid1(SALU_CYCLE_1)
	s_add_co_i32 s1, s1, s0
	s_cmp_eq_u32 s3, 0
	s_cselect_b32 s0, ttmp9, s1
	s_lshl_b32 s12, s0, 10
	s_mov_b32 s0, -1
	s_wait_kmcnt 0x0
	s_sub_co_i32 s3, s2, s12
	s_delay_alu instid0(SALU_CYCLE_1)
	s_cmp_gt_i32 s3, 0x3ff
	s_cbranch_scc0 .LBB138_2
; %bb.1:
	s_ashr_i32 s13, s12, 31
	v_lshlrev_b32_e32 v1, 5, v0
	s_lshl_b64 s[14:15], s[12:13], 3
	s_delay_alu instid0(SALU_CYCLE_1)
	s_add_nc_u64 s[0:1], s[8:9], s[14:15]
	s_add_nc_u64 s[16:17], s[6:7], s[14:15]
	s_clause 0x3
	global_load_b128 v[2:5], v1, s[0:1]
	global_load_b128 v[6:9], v1, s[16:17]
	global_load_b128 v[10:13], v1, s[0:1] offset:16
	global_load_b128 v[14:17], v1, s[16:17] offset:16
	s_wait_xcnt 0x1
	s_add_nc_u64 s[0:1], s[10:11], s[14:15]
	s_add_nc_u64 s[14:15], s[4:5], s[14:15]
	s_wait_loadcnt 0x3
	v_max_num_f64_e32 v[26:27], v[2:3], v[2:3]
	s_clause 0x1
	global_load_b128 v[18:21], v1, s[0:1]
	global_load_b128 v[22:25], v1, s[0:1] offset:16
	s_wait_loadcnt 0x1
	v_cmp_u_f64_e32 vcc_lo, v[18:19], v[18:19]
	s_wait_loadcnt 0x0
	v_cmp_u_f64_e64 s2, v[24:25], v[24:25]
	v_max_num_f64_e32 v[28:29], v[6:7], v[6:7]
	v_max_num_f64_e32 v[42:43], v[18:19], v[18:19]
	v_cmp_u_f64_e64 s0, v[20:21], v[20:21]
	v_cmp_u_f64_e64 s1, v[22:23], v[22:23]
	s_delay_alu instid0(VALU_DEP_4) | instskip(NEXT) | instid1(VALU_DEP_1)
	v_max_num_f64_e32 v[26:27], v[28:29], v[26:27]
	v_min_num_f64_e32 v[26:27], v[26:27], v[42:43]
	v_max_num_f64_e32 v[30:31], v[4:5], v[4:5]
	s_delay_alu instid0(VALU_DEP_2) | instskip(NEXT) | instid1(VALU_DEP_3)
	v_dual_max_num_f64 v[32:33], v[8:9], v[8:9] :: v_dual_cndmask_b32 v18, v26, v18, vcc_lo
	v_cndmask_b32_e32 v19, v27, v19, vcc_lo
	s_delay_alu instid0(VALU_DEP_2) | instskip(SKIP_1) | instid1(VALU_DEP_4)
	v_max_num_f64_e32 v[30:31], v[32:33], v[30:31]
	v_cmp_u_f64_e32 vcc_lo, v[2:3], v[2:3]
	v_dual_max_num_f64 v[28:29], v[20:21], v[20:21] :: v_dual_cndmask_b32 v2, v18, v2, vcc_lo
	s_delay_alu instid0(VALU_DEP_1) | instskip(SKIP_1) | instid1(VALU_DEP_2)
	v_min_num_f64_e32 v[28:29], v[30:31], v[28:29]
	v_max_num_f64_e32 v[34:35], v[10:11], v[10:11]
	v_dual_max_num_f64 v[36:37], v[14:15], v[14:15] :: v_dual_cndmask_b32 v20, v28, v20, s0
	s_delay_alu instid0(VALU_DEP_3) | instskip(NEXT) | instid1(VALU_DEP_2)
	v_cndmask_b32_e64 v21, v29, v21, s0
	v_max_num_f64_e32 v[34:35], v[36:37], v[34:35]
	v_cmp_u_f64_e64 s0, v[4:5], v[4:5]
	v_max_num_f64_e32 v[32:33], v[22:23], v[22:23]
	v_cndmask_b32_e32 v3, v19, v3, vcc_lo
	v_cmp_u_f64_e32 vcc_lo, v[6:7], v[6:7]
	s_delay_alu instid0(VALU_DEP_4) | instskip(NEXT) | instid1(VALU_DEP_4)
	v_cndmask_b32_e64 v4, v20, v4, s0
	v_min_num_f64_e32 v[30:31], v[34:35], v[32:33]
	v_max_num_f64_e32 v[38:39], v[12:13], v[12:13]
	v_max_num_f64_e32 v[40:41], v[16:17], v[16:17]
	v_cndmask_b32_e64 v5, v21, v5, s0
	v_cmp_u_f64_e64 s0, v[8:9], v[8:9]
	v_dual_cndmask_b32 v3, v3, v7 :: v_dual_cndmask_b32 v2, v2, v6
	v_dual_cndmask_b32 v23, v31, v23, s1 :: v_dual_cndmask_b32 v22, v30, v22, s1
	v_max_num_f64_e32 v[38:39], v[40:41], v[38:39]
	v_cmp_u_f64_e64 s1, v[10:11], v[10:11]
	v_max_num_f64_e32 v[36:37], v[24:25], v[24:25]
	v_dual_cndmask_b32 v5, v5, v9, s0 :: v_dual_cndmask_b32 v4, v4, v8, s0
	s_mov_b32 s0, 0
	v_cndmask_b32_e64 v10, v22, v10, s1
	s_delay_alu instid0(VALU_DEP_3) | instskip(NEXT) | instid1(VALU_DEP_1)
	v_min_num_f64_e32 v[32:33], v[38:39], v[36:37]
	v_dual_cndmask_b32 v25, v33, v25, s2 :: v_dual_cndmask_b32 v24, v32, v24, s2
	v_cmp_u_f64_e64 s2, v[12:13], v[12:13]
	v_cndmask_b32_e64 v11, v23, v11, s1
	v_cmp_u_f64_e64 s1, v[14:15], v[14:15]
	s_delay_alu instid0(VALU_DEP_3) | instskip(SKIP_1) | instid1(VALU_DEP_3)
	v_dual_cndmask_b32 v12, v24, v12, s2 :: v_dual_cndmask_b32 v13, v25, v13, s2
	v_cmp_u_f64_e64 s2, v[16:17], v[16:17]
	v_dual_cndmask_b32 v7, v11, v15, s1 :: v_dual_cndmask_b32 v6, v10, v14, s1
	s_delay_alu instid0(VALU_DEP_2)
	v_dual_cndmask_b32 v8, v12, v16, s2 :: v_dual_cndmask_b32 v9, v13, v17, s2
	s_clause 0x1
	global_store_b128 v1, v[2:5], s[14:15]
	global_store_b128 v1, v[6:9], s[14:15] offset:16
.LBB138_2:
	s_and_not1_b32 vcc_lo, exec_lo, s0
	s_cbranch_vccnz .LBB138_23
; %bb.3:
	s_wait_xcnt 0x1
	v_mov_b64_e32 v[4:5], 0
	s_wait_xcnt 0x0
	v_mov_b64_e32 v[8:9], 0
	v_mov_b64_e32 v[16:17], 0
	;; [unrolled: 1-line block ×3, first 2 shown]
	v_cmp_gt_i32_e32 vcc_lo, s3, v0
	v_dual_mov_b32 v26, v0 :: v_dual_bitop2_b32 v1, s12, v0 bitop3:0x54
	v_or_b32_e32 v28, 0x100, v0
	s_and_saveexec_b32 s0, vcc_lo
	s_cbranch_execz .LBB138_5
; %bb.4:
	s_clause 0x2
	global_load_b64 v[8:9], v1, s[6:7] scale_offset
	global_load_b64 v[16:17], v1, s[8:9] scale_offset
	;; [unrolled: 1-line block ×3, first 2 shown]
	v_or_b32_e32 v26, 0x100, v0
.LBB138_5:
	s_wait_xcnt 0x0
	s_or_b32 exec_lo, exec_lo, s0
	v_mov_b64_e32 v[14:15], 0
	v_mov_b64_e32 v[22:23], 0
	s_mov_b32 s1, exec_lo
	v_cmpx_gt_i32_e64 s3, v26
	s_cbranch_execz .LBB138_7
; %bb.6:
	v_add_nc_u32_e32 v2, s12, v26
	v_add_nc_u32_e32 v26, 0x100, v26
	s_clause 0x2
	global_load_b64 v[4:5], v2, s[6:7] scale_offset
	global_load_b64 v[14:15], v2, s[8:9] scale_offset
	;; [unrolled: 1-line block ×3, first 2 shown]
.LBB138_7:
	s_wait_xcnt 0x0
	s_or_b32 exec_lo, exec_lo, s1
	v_mov_b64_e32 v[2:3], 0
	v_mov_b64_e32 v[6:7], 0
	;; [unrolled: 1-line block ×4, first 2 shown]
	s_mov_b32 s1, exec_lo
	v_cmpx_gt_i32_e64 s3, v26
	s_cbranch_execz .LBB138_9
; %bb.8:
	v_add_nc_u32_e32 v10, s12, v26
	v_add_nc_u32_e32 v26, 0x100, v26
	s_clause 0x2
	global_load_b64 v[6:7], v10, s[6:7] scale_offset
	global_load_b64 v[12:13], v10, s[8:9] scale_offset
	global_load_b64 v[20:21], v10, s[10:11] scale_offset
.LBB138_9:
	s_wait_xcnt 0x0
	s_or_b32 exec_lo, exec_lo, s1
	v_mov_b64_e32 v[10:11], 0
	v_mov_b64_e32 v[18:19], 0
	s_mov_b32 s1, exec_lo
	v_cmpx_gt_i32_e64 s3, v26
	s_cbranch_execz .LBB138_11
; %bb.10:
	v_add_nc_u32_e32 v26, s12, v26
	s_clause 0x2
	global_load_b64 v[2:3], v26, s[6:7] scale_offset
	global_load_b64 v[10:11], v26, s[8:9] scale_offset
	;; [unrolled: 1-line block ×3, first 2 shown]
	s_wait_xcnt 0x0
	s_or_b32 exec_lo, exec_lo, s1
                                        ; implicit-def: $vgpr26_vgpr27
	s_and_saveexec_b32 s1, vcc_lo
	s_cbranch_execz .LBB138_13
	s_branch .LBB138_12
.LBB138_11:
	s_or_b32 exec_lo, exec_lo, s1
                                        ; implicit-def: $vgpr26_vgpr27
	s_and_saveexec_b32 s1, vcc_lo
	s_cbranch_execz .LBB138_13
.LBB138_12:
	s_wait_loadcnt 0x1
	v_max_num_f64_e32 v[26:27], v[16:17], v[16:17]
	v_max_num_f64_e32 v[30:31], v[8:9], v[8:9]
	s_wait_loadcnt 0x0
	v_max_num_f64_e32 v[32:33], v[24:25], v[24:25]
	v_cmp_u_f64_e64 s0, v[24:25], v[24:25]
	s_delay_alu instid0(VALU_DEP_3) | instskip(NEXT) | instid1(VALU_DEP_1)
	v_max_num_f64_e32 v[26:27], v[30:31], v[26:27]
	v_min_num_f64_e32 v[26:27], v[26:27], v[32:33]
	s_delay_alu instid0(VALU_DEP_1) | instskip(SKIP_1) | instid1(VALU_DEP_1)
	v_dual_cndmask_b32 v25, v27, v25, s0 :: v_dual_cndmask_b32 v24, v26, v24, s0
	v_cmp_u_f64_e64 s0, v[16:17], v[16:17]
	v_dual_cndmask_b32 v16, v24, v16, s0 :: v_dual_cndmask_b32 v17, v25, v17, s0
	v_cmp_u_f64_e64 s0, v[8:9], v[8:9]
	s_delay_alu instid0(VALU_DEP_1)
	v_dual_cndmask_b32 v26, v16, v8, s0 :: v_dual_cndmask_b32 v27, v17, v9, s0
.LBB138_13:
	s_or_b32 exec_lo, exec_lo, s1
	s_delay_alu instid0(SALU_CYCLE_1)
	s_mov_b32 s1, exec_lo
                                        ; implicit-def: $vgpr8_vgpr9
	v_cmpx_gt_i32_e64 s3, v28
	s_cbranch_execz .LBB138_15
; %bb.14:
	s_wait_loadcnt 0x1
	v_max_num_f64_e32 v[8:9], v[14:15], v[14:15]
	v_max_num_f64_e32 v[16:17], v[4:5], v[4:5]
	s_wait_loadcnt 0x0
	v_max_num_f64_e32 v[24:25], v[22:23], v[22:23]
	v_cmp_u_f64_e64 s0, v[22:23], v[22:23]
	s_delay_alu instid0(VALU_DEP_3) | instskip(NEXT) | instid1(VALU_DEP_1)
	v_max_num_f64_e32 v[8:9], v[16:17], v[8:9]
	v_min_num_f64_e32 v[8:9], v[8:9], v[24:25]
	s_delay_alu instid0(VALU_DEP_1) | instskip(SKIP_1) | instid1(VALU_DEP_1)
	v_dual_cndmask_b32 v9, v9, v23, s0 :: v_dual_cndmask_b32 v8, v8, v22, s0
	v_cmp_u_f64_e64 s0, v[14:15], v[14:15]
	v_dual_cndmask_b32 v8, v8, v14, s0 :: v_dual_cndmask_b32 v9, v9, v15, s0
	v_cmp_u_f64_e64 s0, v[4:5], v[4:5]
	s_delay_alu instid0(VALU_DEP_1)
	v_dual_cndmask_b32 v9, v9, v5, s0 :: v_dual_cndmask_b32 v8, v8, v4, s0
.LBB138_15:
	s_or_b32 exec_lo, exec_lo, s1
	s_wait_loadcnt 0x2
	v_or_b32_e32 v4, 0x200, v0
	s_delay_alu instid0(VALU_DEP_1)
	v_cmp_gt_i32_e64 s0, s3, v4
                                        ; implicit-def: $vgpr4_vgpr5
	s_and_saveexec_b32 s1, s0
	s_cbranch_execz .LBB138_17
; %bb.16:
	s_wait_loadcnt 0x1
	v_max_num_f64_e32 v[4:5], v[12:13], v[12:13]
	s_wait_loadcnt 0x0
	v_cmp_u_f64_e64 s0, v[20:21], v[20:21]
	v_max_num_f64_e32 v[14:15], v[6:7], v[6:7]
	v_max_num_f64_e32 v[16:17], v[20:21], v[20:21]
	s_delay_alu instid0(VALU_DEP_2) | instskip(NEXT) | instid1(VALU_DEP_1)
	v_max_num_f64_e32 v[4:5], v[14:15], v[4:5]
	v_min_num_f64_e32 v[4:5], v[4:5], v[16:17]
	s_delay_alu instid0(VALU_DEP_1) | instskip(SKIP_1) | instid1(VALU_DEP_1)
	v_dual_cndmask_b32 v5, v5, v21, s0 :: v_dual_cndmask_b32 v4, v4, v20, s0
	v_cmp_u_f64_e64 s0, v[12:13], v[12:13]
	v_dual_cndmask_b32 v5, v5, v13, s0 :: v_dual_cndmask_b32 v4, v4, v12, s0
	v_cmp_u_f64_e64 s0, v[6:7], v[6:7]
	s_delay_alu instid0(VALU_DEP_1)
	v_dual_cndmask_b32 v5, v5, v7, s0 :: v_dual_cndmask_b32 v4, v4, v6, s0
.LBB138_17:
	s_or_b32 exec_lo, exec_lo, s1
	v_or_b32_e32 v6, 0x300, v0
	s_delay_alu instid0(VALU_DEP_1)
	v_cmp_gt_i32_e64 s0, s3, v6
                                        ; implicit-def: $vgpr6_vgpr7
	s_and_saveexec_b32 s1, s0
	s_cbranch_execz .LBB138_24
; %bb.18:
	s_wait_loadcnt 0x1
	v_max_num_f64_e32 v[6:7], v[10:11], v[10:11]
	v_max_num_f64_e32 v[12:13], v[2:3], v[2:3]
	s_wait_loadcnt 0x0
	v_max_num_f64_e32 v[14:15], v[18:19], v[18:19]
	v_cmp_u_f64_e64 s0, v[18:19], v[18:19]
	s_delay_alu instid0(VALU_DEP_3) | instskip(NEXT) | instid1(VALU_DEP_1)
	v_max_num_f64_e32 v[6:7], v[12:13], v[6:7]
	v_min_num_f64_e32 v[6:7], v[6:7], v[14:15]
	s_delay_alu instid0(VALU_DEP_1) | instskip(SKIP_1) | instid1(VALU_DEP_1)
	v_dual_cndmask_b32 v7, v7, v19, s0 :: v_dual_cndmask_b32 v6, v6, v18, s0
	v_cmp_u_f64_e64 s0, v[10:11], v[10:11]
	v_dual_cndmask_b32 v6, v6, v10, s0 :: v_dual_cndmask_b32 v7, v7, v11, s0
	v_cmp_u_f64_e64 s0, v[2:3], v[2:3]
	s_delay_alu instid0(VALU_DEP_1) | instskip(SKIP_2) | instid1(SALU_CYCLE_1)
	v_dual_cndmask_b32 v7, v7, v3, s0 :: v_dual_cndmask_b32 v6, v6, v2, s0
	s_or_b32 exec_lo, exec_lo, s1
	s_and_saveexec_b32 s0, vcc_lo
	s_xor_b32 s0, exec_lo, s0
	s_cbranch_execnz .LBB138_25
.LBB138_19:
	s_or_b32 exec_lo, exec_lo, s0
	s_delay_alu instid0(SALU_CYCLE_1)
	s_mov_b32 s0, exec_lo
	v_cmpx_gt_i32_e64 s3, v0
	s_cbranch_execz .LBB138_26
.LBB138_20:
	v_add_nc_u32_e32 v1, s12, v0
	v_add_nc_u32_e32 v0, 0x100, v0
	global_store_b64 v1, v[8:9], s[4:5] scale_offset
	s_wait_xcnt 0x0
	s_or_b32 exec_lo, exec_lo, s0
	s_delay_alu instid0(SALU_CYCLE_1)
	s_mov_b32 s0, exec_lo
	v_cmpx_gt_i32_e64 s3, v0
	s_cbranch_execnz .LBB138_27
.LBB138_21:
	s_or_b32 exec_lo, exec_lo, s0
	s_delay_alu instid0(SALU_CYCLE_1)
	s_mov_b32 s0, exec_lo
	v_cmpx_gt_i32_e64 s3, v0
	s_cbranch_execz .LBB138_23
.LBB138_22:
	v_add_nc_u32_e32 v0, s12, v0
	global_store_b64 v0, v[6:7], s[4:5] scale_offset
.LBB138_23:
	s_endpgm
.LBB138_24:
	s_or_b32 exec_lo, exec_lo, s1
	s_and_saveexec_b32 s0, vcc_lo
	s_delay_alu instid0(SALU_CYCLE_1)
	s_xor_b32 s0, exec_lo, s0
	s_cbranch_execz .LBB138_19
.LBB138_25:
	v_mov_b32_e32 v0, v28
	global_store_b64 v1, v[26:27], s[4:5] scale_offset
	s_wait_xcnt 0x0
	s_or_b32 exec_lo, exec_lo, s0
	s_delay_alu instid0(SALU_CYCLE_1)
	s_mov_b32 s0, exec_lo
	v_cmpx_gt_i32_e64 s3, v0
	s_cbranch_execnz .LBB138_20
.LBB138_26:
	s_or_b32 exec_lo, exec_lo, s0
	s_delay_alu instid0(SALU_CYCLE_1)
	s_mov_b32 s0, exec_lo
	v_cmpx_gt_i32_e64 s3, v0
	s_cbranch_execz .LBB138_21
.LBB138_27:
	v_add_nc_u32_e32 v1, s12, v0
	v_add_nc_u32_e32 v0, 0x100, v0
	global_store_b64 v1, v[4:5], s[4:5] scale_offset
	s_wait_xcnt 0x0
	s_or_b32 exec_lo, exec_lo, s0
	s_delay_alu instid0(SALU_CYCLE_1)
	s_mov_b32 s0, exec_lo
	v_cmpx_gt_i32_e64 s3, v0
	s_cbranch_execnz .LBB138_22
	s_branch .LBB138_23
	.section	.rodata,"a",@progbits
	.p2align	6, 0x0
	.amdhsa_kernel _ZN2at6native29vectorized_elementwise_kernelILi4EZZZNS0_12_GLOBAL__N_117clamp_kernel_implERNS_18TensorIteratorBaseEENKUlvE_clEvENKUlvE4_clEvEUldddE_St5arrayIPcLm4EEEEviT0_T1_
		.amdhsa_group_segment_fixed_size 0
		.amdhsa_private_segment_fixed_size 0
		.amdhsa_kernarg_size 40
		.amdhsa_user_sgpr_count 2
		.amdhsa_user_sgpr_dispatch_ptr 0
		.amdhsa_user_sgpr_queue_ptr 0
		.amdhsa_user_sgpr_kernarg_segment_ptr 1
		.amdhsa_user_sgpr_dispatch_id 0
		.amdhsa_user_sgpr_kernarg_preload_length 0
		.amdhsa_user_sgpr_kernarg_preload_offset 0
		.amdhsa_user_sgpr_private_segment_size 0
		.amdhsa_wavefront_size32 1
		.amdhsa_uses_dynamic_stack 0
		.amdhsa_enable_private_segment 0
		.amdhsa_system_sgpr_workgroup_id_x 1
		.amdhsa_system_sgpr_workgroup_id_y 0
		.amdhsa_system_sgpr_workgroup_id_z 0
		.amdhsa_system_sgpr_workgroup_info 0
		.amdhsa_system_vgpr_workitem_id 0
		.amdhsa_next_free_vgpr 44
		.amdhsa_next_free_sgpr 18
		.amdhsa_named_barrier_count 0
		.amdhsa_reserve_vcc 1
		.amdhsa_float_round_mode_32 0
		.amdhsa_float_round_mode_16_64 0
		.amdhsa_float_denorm_mode_32 3
		.amdhsa_float_denorm_mode_16_64 3
		.amdhsa_fp16_overflow 0
		.amdhsa_memory_ordered 1
		.amdhsa_forward_progress 1
		.amdhsa_inst_pref_size 14
		.amdhsa_round_robin_scheduling 0
		.amdhsa_exception_fp_ieee_invalid_op 0
		.amdhsa_exception_fp_denorm_src 0
		.amdhsa_exception_fp_ieee_div_zero 0
		.amdhsa_exception_fp_ieee_overflow 0
		.amdhsa_exception_fp_ieee_underflow 0
		.amdhsa_exception_fp_ieee_inexact 0
		.amdhsa_exception_int_div_zero 0
	.end_amdhsa_kernel
	.section	.text._ZN2at6native29vectorized_elementwise_kernelILi4EZZZNS0_12_GLOBAL__N_117clamp_kernel_implERNS_18TensorIteratorBaseEENKUlvE_clEvENKUlvE4_clEvEUldddE_St5arrayIPcLm4EEEEviT0_T1_,"axG",@progbits,_ZN2at6native29vectorized_elementwise_kernelILi4EZZZNS0_12_GLOBAL__N_117clamp_kernel_implERNS_18TensorIteratorBaseEENKUlvE_clEvENKUlvE4_clEvEUldddE_St5arrayIPcLm4EEEEviT0_T1_,comdat
.Lfunc_end138:
	.size	_ZN2at6native29vectorized_elementwise_kernelILi4EZZZNS0_12_GLOBAL__N_117clamp_kernel_implERNS_18TensorIteratorBaseEENKUlvE_clEvENKUlvE4_clEvEUldddE_St5arrayIPcLm4EEEEviT0_T1_, .Lfunc_end138-_ZN2at6native29vectorized_elementwise_kernelILi4EZZZNS0_12_GLOBAL__N_117clamp_kernel_implERNS_18TensorIteratorBaseEENKUlvE_clEvENKUlvE4_clEvEUldddE_St5arrayIPcLm4EEEEviT0_T1_
                                        ; -- End function
	.set _ZN2at6native29vectorized_elementwise_kernelILi4EZZZNS0_12_GLOBAL__N_117clamp_kernel_implERNS_18TensorIteratorBaseEENKUlvE_clEvENKUlvE4_clEvEUldddE_St5arrayIPcLm4EEEEviT0_T1_.num_vgpr, 44
	.set _ZN2at6native29vectorized_elementwise_kernelILi4EZZZNS0_12_GLOBAL__N_117clamp_kernel_implERNS_18TensorIteratorBaseEENKUlvE_clEvENKUlvE4_clEvEUldddE_St5arrayIPcLm4EEEEviT0_T1_.num_agpr, 0
	.set _ZN2at6native29vectorized_elementwise_kernelILi4EZZZNS0_12_GLOBAL__N_117clamp_kernel_implERNS_18TensorIteratorBaseEENKUlvE_clEvENKUlvE4_clEvEUldddE_St5arrayIPcLm4EEEEviT0_T1_.numbered_sgpr, 18
	.set _ZN2at6native29vectorized_elementwise_kernelILi4EZZZNS0_12_GLOBAL__N_117clamp_kernel_implERNS_18TensorIteratorBaseEENKUlvE_clEvENKUlvE4_clEvEUldddE_St5arrayIPcLm4EEEEviT0_T1_.num_named_barrier, 0
	.set _ZN2at6native29vectorized_elementwise_kernelILi4EZZZNS0_12_GLOBAL__N_117clamp_kernel_implERNS_18TensorIteratorBaseEENKUlvE_clEvENKUlvE4_clEvEUldddE_St5arrayIPcLm4EEEEviT0_T1_.private_seg_size, 0
	.set _ZN2at6native29vectorized_elementwise_kernelILi4EZZZNS0_12_GLOBAL__N_117clamp_kernel_implERNS_18TensorIteratorBaseEENKUlvE_clEvENKUlvE4_clEvEUldddE_St5arrayIPcLm4EEEEviT0_T1_.uses_vcc, 1
	.set _ZN2at6native29vectorized_elementwise_kernelILi4EZZZNS0_12_GLOBAL__N_117clamp_kernel_implERNS_18TensorIteratorBaseEENKUlvE_clEvENKUlvE4_clEvEUldddE_St5arrayIPcLm4EEEEviT0_T1_.uses_flat_scratch, 0
	.set _ZN2at6native29vectorized_elementwise_kernelILi4EZZZNS0_12_GLOBAL__N_117clamp_kernel_implERNS_18TensorIteratorBaseEENKUlvE_clEvENKUlvE4_clEvEUldddE_St5arrayIPcLm4EEEEviT0_T1_.has_dyn_sized_stack, 0
	.set _ZN2at6native29vectorized_elementwise_kernelILi4EZZZNS0_12_GLOBAL__N_117clamp_kernel_implERNS_18TensorIteratorBaseEENKUlvE_clEvENKUlvE4_clEvEUldddE_St5arrayIPcLm4EEEEviT0_T1_.has_recursion, 0
	.set _ZN2at6native29vectorized_elementwise_kernelILi4EZZZNS0_12_GLOBAL__N_117clamp_kernel_implERNS_18TensorIteratorBaseEENKUlvE_clEvENKUlvE4_clEvEUldddE_St5arrayIPcLm4EEEEviT0_T1_.has_indirect_call, 0
	.section	.AMDGPU.csdata,"",@progbits
; Kernel info:
; codeLenInByte = 1776
; TotalNumSgprs: 20
; NumVgprs: 44
; ScratchSize: 0
; MemoryBound: 0
; FloatMode: 240
; IeeeMode: 1
; LDSByteSize: 0 bytes/workgroup (compile time only)
; SGPRBlocks: 0
; VGPRBlocks: 2
; NumSGPRsForWavesPerEU: 20
; NumVGPRsForWavesPerEU: 44
; NamedBarCnt: 0
; Occupancy: 16
; WaveLimiterHint : 0
; COMPUTE_PGM_RSRC2:SCRATCH_EN: 0
; COMPUTE_PGM_RSRC2:USER_SGPR: 2
; COMPUTE_PGM_RSRC2:TRAP_HANDLER: 0
; COMPUTE_PGM_RSRC2:TGID_X_EN: 1
; COMPUTE_PGM_RSRC2:TGID_Y_EN: 0
; COMPUTE_PGM_RSRC2:TGID_Z_EN: 0
; COMPUTE_PGM_RSRC2:TIDIG_COMP_CNT: 0
	.section	.text._ZN2at6native29vectorized_elementwise_kernelILi2EZZZNS0_12_GLOBAL__N_117clamp_kernel_implERNS_18TensorIteratorBaseEENKUlvE_clEvENKUlvE4_clEvEUldddE_St5arrayIPcLm4EEEEviT0_T1_,"axG",@progbits,_ZN2at6native29vectorized_elementwise_kernelILi2EZZZNS0_12_GLOBAL__N_117clamp_kernel_implERNS_18TensorIteratorBaseEENKUlvE_clEvENKUlvE4_clEvEUldddE_St5arrayIPcLm4EEEEviT0_T1_,comdat
	.globl	_ZN2at6native29vectorized_elementwise_kernelILi2EZZZNS0_12_GLOBAL__N_117clamp_kernel_implERNS_18TensorIteratorBaseEENKUlvE_clEvENKUlvE4_clEvEUldddE_St5arrayIPcLm4EEEEviT0_T1_ ; -- Begin function _ZN2at6native29vectorized_elementwise_kernelILi2EZZZNS0_12_GLOBAL__N_117clamp_kernel_implERNS_18TensorIteratorBaseEENKUlvE_clEvENKUlvE4_clEvEUldddE_St5arrayIPcLm4EEEEviT0_T1_
	.p2align	8
	.type	_ZN2at6native29vectorized_elementwise_kernelILi2EZZZNS0_12_GLOBAL__N_117clamp_kernel_implERNS_18TensorIteratorBaseEENKUlvE_clEvENKUlvE4_clEvEUldddE_St5arrayIPcLm4EEEEviT0_T1_,@function
_ZN2at6native29vectorized_elementwise_kernelILi2EZZZNS0_12_GLOBAL__N_117clamp_kernel_implERNS_18TensorIteratorBaseEENKUlvE_clEvENKUlvE4_clEvEUldddE_St5arrayIPcLm4EEEEviT0_T1_: ; @_ZN2at6native29vectorized_elementwise_kernelILi2EZZZNS0_12_GLOBAL__N_117clamp_kernel_implERNS_18TensorIteratorBaseEENKUlvE_clEvENKUlvE4_clEvEUldddE_St5arrayIPcLm4EEEEviT0_T1_
; %bb.0:
	s_clause 0x1
	s_load_b32 s2, s[0:1], 0x0
	s_load_b256 s[4:11], s[0:1], 0x8
	s_wait_xcnt 0x0
	s_bfe_u32 s0, ttmp6, 0x4000c
	s_and_b32 s1, ttmp6, 15
	s_add_co_i32 s0, s0, 1
	s_getreg_b32 s3, hwreg(HW_REG_IB_STS2, 6, 4)
	s_mul_i32 s0, ttmp9, s0
	s_delay_alu instid0(SALU_CYCLE_1) | instskip(SKIP_2) | instid1(SALU_CYCLE_1)
	s_add_co_i32 s1, s1, s0
	s_cmp_eq_u32 s3, 0
	s_cselect_b32 s0, ttmp9, s1
	s_lshl_b32 s12, s0, 10
	s_mov_b32 s0, -1
	s_wait_kmcnt 0x0
	s_sub_co_i32 s3, s2, s12
	s_delay_alu instid0(SALU_CYCLE_1)
	s_cmp_gt_i32 s3, 0x3ff
	s_cbranch_scc0 .LBB139_2
; %bb.1:
	s_ashr_i32 s13, s12, 31
	s_delay_alu instid0(SALU_CYCLE_1) | instskip(NEXT) | instid1(SALU_CYCLE_1)
	s_lshl_b64 s[14:15], s[12:13], 3
	s_add_nc_u64 s[0:1], s[8:9], s[14:15]
	s_add_nc_u64 s[16:17], s[6:7], s[14:15]
	s_clause 0x3
	global_load_b128 v[2:5], v0, s[0:1] scale_offset
	global_load_b128 v[6:9], v0, s[16:17] scale_offset
	global_load_b128 v[10:13], v0, s[0:1] offset:4096 scale_offset
	global_load_b128 v[14:17], v0, s[16:17] offset:4096 scale_offset
	s_wait_xcnt 0x1
	s_add_nc_u64 s[0:1], s[10:11], s[14:15]
	s_clause 0x1
	global_load_b128 v[18:21], v0, s[0:1] scale_offset
	global_load_b128 v[22:25], v0, s[0:1] offset:4096 scale_offset
	s_add_nc_u64 s[14:15], s[4:5], s[14:15]
	s_wait_loadcnt 0x1
	s_wait_xcnt 0x0
	v_cmp_u_f64_e64 s0, v[20:21], v[20:21]
	v_max_num_f64_e32 v[26:27], v[2:3], v[2:3]
	s_wait_loadcnt 0x0
	v_cmp_u_f64_e64 s2, v[24:25], v[24:25]
	v_max_num_f64_e32 v[28:29], v[6:7], v[6:7]
	v_max_num_f64_e32 v[42:43], v[18:19], v[18:19]
	v_cmp_u_f64_e32 vcc_lo, v[18:19], v[18:19]
	v_max_num_f64_e32 v[36:37], v[14:15], v[14:15]
	v_cmp_u_f64_e64 s1, v[22:23], v[22:23]
	v_max_num_f64_e32 v[26:27], v[28:29], v[26:27]
	s_delay_alu instid0(VALU_DEP_1) | instskip(SKIP_1) | instid1(VALU_DEP_2)
	v_min_num_f64_e32 v[26:27], v[26:27], v[42:43]
	v_max_num_f64_e32 v[30:31], v[4:5], v[4:5]
	v_dual_max_num_f64 v[32:33], v[8:9], v[8:9] :: v_dual_cndmask_b32 v18, v26, v18, vcc_lo
	s_delay_alu instid0(VALU_DEP_3) | instskip(NEXT) | instid1(VALU_DEP_2)
	v_cndmask_b32_e32 v1, v27, v19, vcc_lo
	v_max_num_f64_e32 v[30:31], v[32:33], v[30:31]
	v_cmp_u_f64_e32 vcc_lo, v[2:3], v[2:3]
	v_max_num_f64_e32 v[28:29], v[20:21], v[20:21]
	v_max_num_f64_e32 v[32:33], v[22:23], v[22:23]
	v_cndmask_b32_e32 v2, v18, v2, vcc_lo
	s_delay_alu instid0(VALU_DEP_3) | instskip(SKIP_2) | instid1(VALU_DEP_3)
	v_dual_min_num_f64 v[28:29], v[30:31], v[28:29] :: v_dual_cndmask_b32 v1, v1, v3, vcc_lo
	v_max_num_f64_e32 v[34:35], v[10:11], v[10:11]
	v_cmp_u_f64_e32 vcc_lo, v[6:7], v[6:7]
	v_dual_cndmask_b32 v20, v28, v20, s0 :: v_dual_cndmask_b32 v19, v29, v21, s0
	s_delay_alu instid0(VALU_DEP_3) | instskip(SKIP_1) | instid1(VALU_DEP_2)
	v_max_num_f64_e32 v[34:35], v[36:37], v[34:35]
	v_cmp_u_f64_e64 s0, v[4:5], v[4:5]
	v_dual_min_num_f64 v[30:31], v[34:35], v[32:33] :: v_dual_cndmask_b32 v3, v1, v7, vcc_lo
	v_max_num_f64_e32 v[38:39], v[12:13], v[12:13]
	v_max_num_f64_e32 v[40:41], v[16:17], v[16:17]
	s_delay_alu instid0(VALU_DEP_4)
	v_dual_cndmask_b32 v4, v20, v4, s0 :: v_dual_cndmask_b32 v5, v19, v5, s0
	v_cmp_u_f64_e64 s0, v[8:9], v[8:9]
	v_dual_cndmask_b32 v2, v2, v6, vcc_lo :: v_dual_cndmask_b32 v21, v31, v23, s1
	v_cndmask_b32_e64 v22, v30, v22, s1
	v_max_num_f64_e32 v[38:39], v[40:41], v[38:39]
	v_cmp_u_f64_e64 s1, v[10:11], v[10:11]
	v_max_num_f64_e32 v[36:37], v[24:25], v[24:25]
	v_dual_cndmask_b32 v5, v5, v9, s0 :: v_dual_cndmask_b32 v4, v4, v8, s0
	s_mov_b32 s0, 0
	v_cndmask_b32_e64 v10, v22, v10, s1
	s_delay_alu instid0(VALU_DEP_3) | instskip(SKIP_1) | instid1(VALU_DEP_2)
	v_dual_min_num_f64 v[32:33], v[38:39], v[36:37] :: v_dual_cndmask_b32 v11, v21, v11, s1
	v_cmp_u_f64_e64 s1, v[14:15], v[14:15]
	v_dual_cndmask_b32 v23, v33, v25, s2 :: v_dual_cndmask_b32 v24, v32, v24, s2
	v_cmp_u_f64_e64 s2, v[12:13], v[12:13]
	s_delay_alu instid0(VALU_DEP_1) | instskip(SKIP_2) | instid1(VALU_DEP_2)
	v_dual_cndmask_b32 v12, v24, v12, s2 :: v_dual_cndmask_b32 v13, v23, v13, s2
	v_cmp_u_f64_e64 s2, v[16:17], v[16:17]
	v_dual_cndmask_b32 v7, v11, v15, s1 :: v_dual_cndmask_b32 v6, v10, v14, s1
	v_dual_cndmask_b32 v8, v12, v16, s2 :: v_dual_cndmask_b32 v9, v13, v17, s2
	s_clause 0x1
	global_store_b128 v0, v[2:5], s[14:15] scale_offset
	global_store_b128 v0, v[6:9], s[14:15] offset:4096 scale_offset
.LBB139_2:
	s_and_not1_b32 vcc_lo, exec_lo, s0
	s_cbranch_vccnz .LBB139_23
; %bb.3:
	s_wait_xcnt 0x1
	v_mov_b64_e32 v[4:5], 0
	s_wait_xcnt 0x0
	v_mov_b64_e32 v[8:9], 0
	v_mov_b64_e32 v[16:17], 0
	;; [unrolled: 1-line block ×3, first 2 shown]
	v_cmp_gt_i32_e32 vcc_lo, s3, v0
	v_dual_mov_b32 v26, v0 :: v_dual_bitop2_b32 v1, s12, v0 bitop3:0x54
	v_or_b32_e32 v28, 0x100, v0
	s_and_saveexec_b32 s0, vcc_lo
	s_cbranch_execz .LBB139_5
; %bb.4:
	s_clause 0x2
	global_load_b64 v[8:9], v1, s[6:7] scale_offset
	global_load_b64 v[16:17], v1, s[8:9] scale_offset
	global_load_b64 v[24:25], v1, s[10:11] scale_offset
	v_or_b32_e32 v26, 0x100, v0
.LBB139_5:
	s_wait_xcnt 0x0
	s_or_b32 exec_lo, exec_lo, s0
	v_mov_b64_e32 v[14:15], 0
	v_mov_b64_e32 v[22:23], 0
	s_mov_b32 s1, exec_lo
	v_cmpx_gt_i32_e64 s3, v26
	s_cbranch_execz .LBB139_7
; %bb.6:
	v_add_nc_u32_e32 v2, s12, v26
	v_add_nc_u32_e32 v26, 0x100, v26
	s_clause 0x2
	global_load_b64 v[4:5], v2, s[6:7] scale_offset
	global_load_b64 v[14:15], v2, s[8:9] scale_offset
	;; [unrolled: 1-line block ×3, first 2 shown]
.LBB139_7:
	s_wait_xcnt 0x0
	s_or_b32 exec_lo, exec_lo, s1
	v_mov_b64_e32 v[2:3], 0
	v_mov_b64_e32 v[6:7], 0
	;; [unrolled: 1-line block ×4, first 2 shown]
	s_mov_b32 s1, exec_lo
	v_cmpx_gt_i32_e64 s3, v26
	s_cbranch_execz .LBB139_9
; %bb.8:
	v_add_nc_u32_e32 v10, s12, v26
	v_add_nc_u32_e32 v26, 0x100, v26
	s_clause 0x2
	global_load_b64 v[6:7], v10, s[6:7] scale_offset
	global_load_b64 v[12:13], v10, s[8:9] scale_offset
	global_load_b64 v[20:21], v10, s[10:11] scale_offset
.LBB139_9:
	s_wait_xcnt 0x0
	s_or_b32 exec_lo, exec_lo, s1
	v_mov_b64_e32 v[10:11], 0
	v_mov_b64_e32 v[18:19], 0
	s_mov_b32 s1, exec_lo
	v_cmpx_gt_i32_e64 s3, v26
	s_cbranch_execz .LBB139_11
; %bb.10:
	v_add_nc_u32_e32 v26, s12, v26
	s_clause 0x2
	global_load_b64 v[2:3], v26, s[6:7] scale_offset
	global_load_b64 v[10:11], v26, s[8:9] scale_offset
	;; [unrolled: 1-line block ×3, first 2 shown]
	s_wait_xcnt 0x0
	s_or_b32 exec_lo, exec_lo, s1
                                        ; implicit-def: $vgpr26_vgpr27
	s_and_saveexec_b32 s1, vcc_lo
	s_cbranch_execz .LBB139_13
	s_branch .LBB139_12
.LBB139_11:
	s_or_b32 exec_lo, exec_lo, s1
                                        ; implicit-def: $vgpr26_vgpr27
	s_and_saveexec_b32 s1, vcc_lo
	s_cbranch_execz .LBB139_13
.LBB139_12:
	s_wait_loadcnt 0x1
	v_max_num_f64_e32 v[26:27], v[16:17], v[16:17]
	v_max_num_f64_e32 v[30:31], v[8:9], v[8:9]
	s_wait_loadcnt 0x0
	v_max_num_f64_e32 v[32:33], v[24:25], v[24:25]
	v_cmp_u_f64_e64 s0, v[24:25], v[24:25]
	s_delay_alu instid0(VALU_DEP_3) | instskip(NEXT) | instid1(VALU_DEP_1)
	v_max_num_f64_e32 v[26:27], v[30:31], v[26:27]
	v_min_num_f64_e32 v[26:27], v[26:27], v[32:33]
	s_delay_alu instid0(VALU_DEP_1) | instskip(SKIP_1) | instid1(VALU_DEP_1)
	v_dual_cndmask_b32 v25, v27, v25, s0 :: v_dual_cndmask_b32 v24, v26, v24, s0
	v_cmp_u_f64_e64 s0, v[16:17], v[16:17]
	v_dual_cndmask_b32 v16, v24, v16, s0 :: v_dual_cndmask_b32 v17, v25, v17, s0
	v_cmp_u_f64_e64 s0, v[8:9], v[8:9]
	s_delay_alu instid0(VALU_DEP_1)
	v_dual_cndmask_b32 v26, v16, v8, s0 :: v_dual_cndmask_b32 v27, v17, v9, s0
.LBB139_13:
	s_or_b32 exec_lo, exec_lo, s1
	s_delay_alu instid0(SALU_CYCLE_1)
	s_mov_b32 s1, exec_lo
                                        ; implicit-def: $vgpr8_vgpr9
	v_cmpx_gt_i32_e64 s3, v28
	s_cbranch_execz .LBB139_15
; %bb.14:
	s_wait_loadcnt 0x1
	v_max_num_f64_e32 v[8:9], v[14:15], v[14:15]
	v_max_num_f64_e32 v[16:17], v[4:5], v[4:5]
	s_wait_loadcnt 0x0
	v_max_num_f64_e32 v[24:25], v[22:23], v[22:23]
	v_cmp_u_f64_e64 s0, v[22:23], v[22:23]
	s_delay_alu instid0(VALU_DEP_3) | instskip(NEXT) | instid1(VALU_DEP_1)
	v_max_num_f64_e32 v[8:9], v[16:17], v[8:9]
	v_min_num_f64_e32 v[8:9], v[8:9], v[24:25]
	s_delay_alu instid0(VALU_DEP_1) | instskip(SKIP_1) | instid1(VALU_DEP_1)
	v_dual_cndmask_b32 v9, v9, v23, s0 :: v_dual_cndmask_b32 v8, v8, v22, s0
	v_cmp_u_f64_e64 s0, v[14:15], v[14:15]
	v_dual_cndmask_b32 v8, v8, v14, s0 :: v_dual_cndmask_b32 v9, v9, v15, s0
	v_cmp_u_f64_e64 s0, v[4:5], v[4:5]
	s_delay_alu instid0(VALU_DEP_1)
	v_dual_cndmask_b32 v9, v9, v5, s0 :: v_dual_cndmask_b32 v8, v8, v4, s0
.LBB139_15:
	s_or_b32 exec_lo, exec_lo, s1
	s_wait_loadcnt 0x2
	v_or_b32_e32 v4, 0x200, v0
	s_delay_alu instid0(VALU_DEP_1)
	v_cmp_gt_i32_e64 s0, s3, v4
                                        ; implicit-def: $vgpr4_vgpr5
	s_and_saveexec_b32 s1, s0
	s_cbranch_execz .LBB139_17
; %bb.16:
	s_wait_loadcnt 0x1
	v_max_num_f64_e32 v[4:5], v[12:13], v[12:13]
	s_wait_loadcnt 0x0
	v_cmp_u_f64_e64 s0, v[20:21], v[20:21]
	v_max_num_f64_e32 v[14:15], v[6:7], v[6:7]
	v_max_num_f64_e32 v[16:17], v[20:21], v[20:21]
	s_delay_alu instid0(VALU_DEP_2) | instskip(NEXT) | instid1(VALU_DEP_1)
	v_max_num_f64_e32 v[4:5], v[14:15], v[4:5]
	v_min_num_f64_e32 v[4:5], v[4:5], v[16:17]
	s_delay_alu instid0(VALU_DEP_1) | instskip(SKIP_1) | instid1(VALU_DEP_1)
	v_dual_cndmask_b32 v5, v5, v21, s0 :: v_dual_cndmask_b32 v4, v4, v20, s0
	v_cmp_u_f64_e64 s0, v[12:13], v[12:13]
	v_dual_cndmask_b32 v5, v5, v13, s0 :: v_dual_cndmask_b32 v4, v4, v12, s0
	v_cmp_u_f64_e64 s0, v[6:7], v[6:7]
	s_delay_alu instid0(VALU_DEP_1)
	v_dual_cndmask_b32 v5, v5, v7, s0 :: v_dual_cndmask_b32 v4, v4, v6, s0
.LBB139_17:
	s_or_b32 exec_lo, exec_lo, s1
	v_or_b32_e32 v6, 0x300, v0
	s_delay_alu instid0(VALU_DEP_1)
	v_cmp_gt_i32_e64 s0, s3, v6
                                        ; implicit-def: $vgpr6_vgpr7
	s_and_saveexec_b32 s1, s0
	s_cbranch_execz .LBB139_24
; %bb.18:
	s_wait_loadcnt 0x1
	v_max_num_f64_e32 v[6:7], v[10:11], v[10:11]
	v_max_num_f64_e32 v[12:13], v[2:3], v[2:3]
	s_wait_loadcnt 0x0
	v_max_num_f64_e32 v[14:15], v[18:19], v[18:19]
	v_cmp_u_f64_e64 s0, v[18:19], v[18:19]
	s_delay_alu instid0(VALU_DEP_3) | instskip(NEXT) | instid1(VALU_DEP_1)
	v_max_num_f64_e32 v[6:7], v[12:13], v[6:7]
	v_min_num_f64_e32 v[6:7], v[6:7], v[14:15]
	s_delay_alu instid0(VALU_DEP_1) | instskip(SKIP_1) | instid1(VALU_DEP_1)
	v_dual_cndmask_b32 v7, v7, v19, s0 :: v_dual_cndmask_b32 v6, v6, v18, s0
	v_cmp_u_f64_e64 s0, v[10:11], v[10:11]
	v_dual_cndmask_b32 v6, v6, v10, s0 :: v_dual_cndmask_b32 v7, v7, v11, s0
	v_cmp_u_f64_e64 s0, v[2:3], v[2:3]
	s_delay_alu instid0(VALU_DEP_1) | instskip(SKIP_2) | instid1(SALU_CYCLE_1)
	v_dual_cndmask_b32 v7, v7, v3, s0 :: v_dual_cndmask_b32 v6, v6, v2, s0
	s_or_b32 exec_lo, exec_lo, s1
	s_and_saveexec_b32 s0, vcc_lo
	s_xor_b32 s0, exec_lo, s0
	s_cbranch_execnz .LBB139_25
.LBB139_19:
	s_or_b32 exec_lo, exec_lo, s0
	s_delay_alu instid0(SALU_CYCLE_1)
	s_mov_b32 s0, exec_lo
	v_cmpx_gt_i32_e64 s3, v0
	s_cbranch_execz .LBB139_26
.LBB139_20:
	v_add_nc_u32_e32 v1, s12, v0
	v_add_nc_u32_e32 v0, 0x100, v0
	global_store_b64 v1, v[8:9], s[4:5] scale_offset
	s_wait_xcnt 0x0
	s_or_b32 exec_lo, exec_lo, s0
	s_delay_alu instid0(SALU_CYCLE_1)
	s_mov_b32 s0, exec_lo
	v_cmpx_gt_i32_e64 s3, v0
	s_cbranch_execnz .LBB139_27
.LBB139_21:
	s_or_b32 exec_lo, exec_lo, s0
	s_delay_alu instid0(SALU_CYCLE_1)
	s_mov_b32 s0, exec_lo
	v_cmpx_gt_i32_e64 s3, v0
	s_cbranch_execz .LBB139_23
.LBB139_22:
	v_add_nc_u32_e32 v0, s12, v0
	global_store_b64 v0, v[6:7], s[4:5] scale_offset
.LBB139_23:
	s_endpgm
.LBB139_24:
	s_or_b32 exec_lo, exec_lo, s1
	s_and_saveexec_b32 s0, vcc_lo
	s_delay_alu instid0(SALU_CYCLE_1)
	s_xor_b32 s0, exec_lo, s0
	s_cbranch_execz .LBB139_19
.LBB139_25:
	v_mov_b32_e32 v0, v28
	global_store_b64 v1, v[26:27], s[4:5] scale_offset
	s_wait_xcnt 0x0
	s_or_b32 exec_lo, exec_lo, s0
	s_delay_alu instid0(SALU_CYCLE_1)
	s_mov_b32 s0, exec_lo
	v_cmpx_gt_i32_e64 s3, v0
	s_cbranch_execnz .LBB139_20
.LBB139_26:
	s_or_b32 exec_lo, exec_lo, s0
	s_delay_alu instid0(SALU_CYCLE_1)
	s_mov_b32 s0, exec_lo
	v_cmpx_gt_i32_e64 s3, v0
	s_cbranch_execz .LBB139_21
.LBB139_27:
	v_add_nc_u32_e32 v1, s12, v0
	v_add_nc_u32_e32 v0, 0x100, v0
	global_store_b64 v1, v[4:5], s[4:5] scale_offset
	s_wait_xcnt 0x0
	s_or_b32 exec_lo, exec_lo, s0
	s_delay_alu instid0(SALU_CYCLE_1)
	s_mov_b32 s0, exec_lo
	v_cmpx_gt_i32_e64 s3, v0
	s_cbranch_execnz .LBB139_22
	s_branch .LBB139_23
	.section	.rodata,"a",@progbits
	.p2align	6, 0x0
	.amdhsa_kernel _ZN2at6native29vectorized_elementwise_kernelILi2EZZZNS0_12_GLOBAL__N_117clamp_kernel_implERNS_18TensorIteratorBaseEENKUlvE_clEvENKUlvE4_clEvEUldddE_St5arrayIPcLm4EEEEviT0_T1_
		.amdhsa_group_segment_fixed_size 0
		.amdhsa_private_segment_fixed_size 0
		.amdhsa_kernarg_size 40
		.amdhsa_user_sgpr_count 2
		.amdhsa_user_sgpr_dispatch_ptr 0
		.amdhsa_user_sgpr_queue_ptr 0
		.amdhsa_user_sgpr_kernarg_segment_ptr 1
		.amdhsa_user_sgpr_dispatch_id 0
		.amdhsa_user_sgpr_kernarg_preload_length 0
		.amdhsa_user_sgpr_kernarg_preload_offset 0
		.amdhsa_user_sgpr_private_segment_size 0
		.amdhsa_wavefront_size32 1
		.amdhsa_uses_dynamic_stack 0
		.amdhsa_enable_private_segment 0
		.amdhsa_system_sgpr_workgroup_id_x 1
		.amdhsa_system_sgpr_workgroup_id_y 0
		.amdhsa_system_sgpr_workgroup_id_z 0
		.amdhsa_system_sgpr_workgroup_info 0
		.amdhsa_system_vgpr_workitem_id 0
		.amdhsa_next_free_vgpr 44
		.amdhsa_next_free_sgpr 18
		.amdhsa_named_barrier_count 0
		.amdhsa_reserve_vcc 1
		.amdhsa_float_round_mode_32 0
		.amdhsa_float_round_mode_16_64 0
		.amdhsa_float_denorm_mode_32 3
		.amdhsa_float_denorm_mode_16_64 3
		.amdhsa_fp16_overflow 0
		.amdhsa_memory_ordered 1
		.amdhsa_forward_progress 1
		.amdhsa_inst_pref_size 14
		.amdhsa_round_robin_scheduling 0
		.amdhsa_exception_fp_ieee_invalid_op 0
		.amdhsa_exception_fp_denorm_src 0
		.amdhsa_exception_fp_ieee_div_zero 0
		.amdhsa_exception_fp_ieee_overflow 0
		.amdhsa_exception_fp_ieee_underflow 0
		.amdhsa_exception_fp_ieee_inexact 0
		.amdhsa_exception_int_div_zero 0
	.end_amdhsa_kernel
	.section	.text._ZN2at6native29vectorized_elementwise_kernelILi2EZZZNS0_12_GLOBAL__N_117clamp_kernel_implERNS_18TensorIteratorBaseEENKUlvE_clEvENKUlvE4_clEvEUldddE_St5arrayIPcLm4EEEEviT0_T1_,"axG",@progbits,_ZN2at6native29vectorized_elementwise_kernelILi2EZZZNS0_12_GLOBAL__N_117clamp_kernel_implERNS_18TensorIteratorBaseEENKUlvE_clEvENKUlvE4_clEvEUldddE_St5arrayIPcLm4EEEEviT0_T1_,comdat
.Lfunc_end139:
	.size	_ZN2at6native29vectorized_elementwise_kernelILi2EZZZNS0_12_GLOBAL__N_117clamp_kernel_implERNS_18TensorIteratorBaseEENKUlvE_clEvENKUlvE4_clEvEUldddE_St5arrayIPcLm4EEEEviT0_T1_, .Lfunc_end139-_ZN2at6native29vectorized_elementwise_kernelILi2EZZZNS0_12_GLOBAL__N_117clamp_kernel_implERNS_18TensorIteratorBaseEENKUlvE_clEvENKUlvE4_clEvEUldddE_St5arrayIPcLm4EEEEviT0_T1_
                                        ; -- End function
	.set _ZN2at6native29vectorized_elementwise_kernelILi2EZZZNS0_12_GLOBAL__N_117clamp_kernel_implERNS_18TensorIteratorBaseEENKUlvE_clEvENKUlvE4_clEvEUldddE_St5arrayIPcLm4EEEEviT0_T1_.num_vgpr, 44
	.set _ZN2at6native29vectorized_elementwise_kernelILi2EZZZNS0_12_GLOBAL__N_117clamp_kernel_implERNS_18TensorIteratorBaseEENKUlvE_clEvENKUlvE4_clEvEUldddE_St5arrayIPcLm4EEEEviT0_T1_.num_agpr, 0
	.set _ZN2at6native29vectorized_elementwise_kernelILi2EZZZNS0_12_GLOBAL__N_117clamp_kernel_implERNS_18TensorIteratorBaseEENKUlvE_clEvENKUlvE4_clEvEUldddE_St5arrayIPcLm4EEEEviT0_T1_.numbered_sgpr, 18
	.set _ZN2at6native29vectorized_elementwise_kernelILi2EZZZNS0_12_GLOBAL__N_117clamp_kernel_implERNS_18TensorIteratorBaseEENKUlvE_clEvENKUlvE4_clEvEUldddE_St5arrayIPcLm4EEEEviT0_T1_.num_named_barrier, 0
	.set _ZN2at6native29vectorized_elementwise_kernelILi2EZZZNS0_12_GLOBAL__N_117clamp_kernel_implERNS_18TensorIteratorBaseEENKUlvE_clEvENKUlvE4_clEvEUldddE_St5arrayIPcLm4EEEEviT0_T1_.private_seg_size, 0
	.set _ZN2at6native29vectorized_elementwise_kernelILi2EZZZNS0_12_GLOBAL__N_117clamp_kernel_implERNS_18TensorIteratorBaseEENKUlvE_clEvENKUlvE4_clEvEUldddE_St5arrayIPcLm4EEEEviT0_T1_.uses_vcc, 1
	.set _ZN2at6native29vectorized_elementwise_kernelILi2EZZZNS0_12_GLOBAL__N_117clamp_kernel_implERNS_18TensorIteratorBaseEENKUlvE_clEvENKUlvE4_clEvEUldddE_St5arrayIPcLm4EEEEviT0_T1_.uses_flat_scratch, 0
	.set _ZN2at6native29vectorized_elementwise_kernelILi2EZZZNS0_12_GLOBAL__N_117clamp_kernel_implERNS_18TensorIteratorBaseEENKUlvE_clEvENKUlvE4_clEvEUldddE_St5arrayIPcLm4EEEEviT0_T1_.has_dyn_sized_stack, 0
	.set _ZN2at6native29vectorized_elementwise_kernelILi2EZZZNS0_12_GLOBAL__N_117clamp_kernel_implERNS_18TensorIteratorBaseEENKUlvE_clEvENKUlvE4_clEvEUldddE_St5arrayIPcLm4EEEEviT0_T1_.has_recursion, 0
	.set _ZN2at6native29vectorized_elementwise_kernelILi2EZZZNS0_12_GLOBAL__N_117clamp_kernel_implERNS_18TensorIteratorBaseEENKUlvE_clEvENKUlvE4_clEvEUldddE_St5arrayIPcLm4EEEEviT0_T1_.has_indirect_call, 0
	.section	.AMDGPU.csdata,"",@progbits
; Kernel info:
; codeLenInByte = 1764
; TotalNumSgprs: 20
; NumVgprs: 44
; ScratchSize: 0
; MemoryBound: 0
; FloatMode: 240
; IeeeMode: 1
; LDSByteSize: 0 bytes/workgroup (compile time only)
; SGPRBlocks: 0
; VGPRBlocks: 2
; NumSGPRsForWavesPerEU: 20
; NumVGPRsForWavesPerEU: 44
; NamedBarCnt: 0
; Occupancy: 16
; WaveLimiterHint : 1
; COMPUTE_PGM_RSRC2:SCRATCH_EN: 0
; COMPUTE_PGM_RSRC2:USER_SGPR: 2
; COMPUTE_PGM_RSRC2:TRAP_HANDLER: 0
; COMPUTE_PGM_RSRC2:TGID_X_EN: 1
; COMPUTE_PGM_RSRC2:TGID_Y_EN: 0
; COMPUTE_PGM_RSRC2:TGID_Z_EN: 0
; COMPUTE_PGM_RSRC2:TIDIG_COMP_CNT: 0
	.section	.text._ZN2at6native27unrolled_elementwise_kernelIZZZNS0_12_GLOBAL__N_117clamp_kernel_implERNS_18TensorIteratorBaseEENKUlvE_clEvENKUlvE4_clEvEUldddE_St5arrayIPcLm4EELi4E23TrivialOffsetCalculatorILi3EjESB_ILi1EjENS0_6memory15LoadWithoutCastENSE_16StoreWithoutCastEEEviT_T0_T2_T3_T4_T5_,"axG",@progbits,_ZN2at6native27unrolled_elementwise_kernelIZZZNS0_12_GLOBAL__N_117clamp_kernel_implERNS_18TensorIteratorBaseEENKUlvE_clEvENKUlvE4_clEvEUldddE_St5arrayIPcLm4EELi4E23TrivialOffsetCalculatorILi3EjESB_ILi1EjENS0_6memory15LoadWithoutCastENSE_16StoreWithoutCastEEEviT_T0_T2_T3_T4_T5_,comdat
	.globl	_ZN2at6native27unrolled_elementwise_kernelIZZZNS0_12_GLOBAL__N_117clamp_kernel_implERNS_18TensorIteratorBaseEENKUlvE_clEvENKUlvE4_clEvEUldddE_St5arrayIPcLm4EELi4E23TrivialOffsetCalculatorILi3EjESB_ILi1EjENS0_6memory15LoadWithoutCastENSE_16StoreWithoutCastEEEviT_T0_T2_T3_T4_T5_ ; -- Begin function _ZN2at6native27unrolled_elementwise_kernelIZZZNS0_12_GLOBAL__N_117clamp_kernel_implERNS_18TensorIteratorBaseEENKUlvE_clEvENKUlvE4_clEvEUldddE_St5arrayIPcLm4EELi4E23TrivialOffsetCalculatorILi3EjESB_ILi1EjENS0_6memory15LoadWithoutCastENSE_16StoreWithoutCastEEEviT_T0_T2_T3_T4_T5_
	.p2align	8
	.type	_ZN2at6native27unrolled_elementwise_kernelIZZZNS0_12_GLOBAL__N_117clamp_kernel_implERNS_18TensorIteratorBaseEENKUlvE_clEvENKUlvE4_clEvEUldddE_St5arrayIPcLm4EELi4E23TrivialOffsetCalculatorILi3EjESB_ILi1EjENS0_6memory15LoadWithoutCastENSE_16StoreWithoutCastEEEviT_T0_T2_T3_T4_T5_,@function
_ZN2at6native27unrolled_elementwise_kernelIZZZNS0_12_GLOBAL__N_117clamp_kernel_implERNS_18TensorIteratorBaseEENKUlvE_clEvENKUlvE4_clEvEUldddE_St5arrayIPcLm4EELi4E23TrivialOffsetCalculatorILi3EjESB_ILi1EjENS0_6memory15LoadWithoutCastENSE_16StoreWithoutCastEEEviT_T0_T2_T3_T4_T5_: ; @_ZN2at6native27unrolled_elementwise_kernelIZZZNS0_12_GLOBAL__N_117clamp_kernel_implERNS_18TensorIteratorBaseEENKUlvE_clEvENKUlvE4_clEvEUldddE_St5arrayIPcLm4EELi4E23TrivialOffsetCalculatorILi3EjESB_ILi1EjENS0_6memory15LoadWithoutCastENSE_16StoreWithoutCastEEEviT_T0_T2_T3_T4_T5_
; %bb.0:
	s_load_b32 s2, s[0:1], 0x0
	s_bfe_u32 s12, ttmp6, 0x4000c
	s_load_b256 s[4:11], s[0:1], 0x8
	s_add_co_i32 s12, s12, 1
	s_and_b32 s3, ttmp6, 15
	s_wait_xcnt 0x0
	s_mul_i32 s0, ttmp9, s12
	s_getreg_b32 s13, hwreg(HW_REG_IB_STS2, 6, 4)
	s_add_co_i32 s3, s3, s0
	s_cmp_eq_u32 s13, 0
	v_mov_b64_e32 v[2:3], 0
	s_cselect_b32 s0, ttmp9, s3
	v_mov_b64_e32 v[6:7], 0
	s_lshl_b32 s1, s0, 10
	v_mov_b64_e32 v[12:13], 0
	v_mov_b64_e32 v[20:21], 0
	v_or_b32_e32 v1, 0x100, v0
	v_dual_mov_b32 v26, v0 :: v_dual_bitop2_b32 v28, s1, v0 bitop3:0x54
	s_wait_kmcnt 0x0
	s_sub_co_i32 s2, s2, s1
	s_delay_alu instid0(SALU_CYCLE_1)
	v_cmp_gt_i32_e32 vcc_lo, s2, v0
	s_and_saveexec_b32 s0, vcc_lo
	s_cbranch_execz .LBB140_2
; %bb.1:
	s_clause 0x2
	global_load_b64 v[6:7], v28, s[6:7] scale_offset
	global_load_b64 v[12:13], v28, s[8:9] scale_offset
	;; [unrolled: 1-line block ×3, first 2 shown]
	v_or_b32_e32 v26, 0x100, v0
.LBB140_2:
	s_wait_xcnt 0x0
	s_or_b32 exec_lo, exec_lo, s0
	v_mov_b64_e32 v[16:17], 0
	v_mov_b64_e32 v[24:25], 0
	s_mov_b32 s3, exec_lo
	v_cmpx_gt_i32_e64 s2, v26
	s_cbranch_execz .LBB140_4
; %bb.3:
	v_add_nc_u32_e32 v4, s1, v26
	v_add_nc_u32_e32 v26, 0x100, v26
	s_clause 0x2
	global_load_b64 v[2:3], v4, s[6:7] scale_offset
	global_load_b64 v[16:17], v4, s[8:9] scale_offset
	;; [unrolled: 1-line block ×3, first 2 shown]
.LBB140_4:
	s_wait_xcnt 0x0
	s_or_b32 exec_lo, exec_lo, s3
	v_mov_b64_e32 v[4:5], 0
	v_mov_b64_e32 v[8:9], 0
	;; [unrolled: 1-line block ×4, first 2 shown]
	s_mov_b32 s3, exec_lo
	v_cmpx_gt_i32_e64 s2, v26
	s_cbranch_execz .LBB140_6
; %bb.5:
	v_add_nc_u32_e32 v10, s1, v26
	v_add_nc_u32_e32 v26, 0x100, v26
	s_clause 0x2
	global_load_b64 v[8:9], v10, s[6:7] scale_offset
	global_load_b64 v[14:15], v10, s[8:9] scale_offset
	;; [unrolled: 1-line block ×3, first 2 shown]
.LBB140_6:
	s_wait_xcnt 0x0
	s_or_b32 exec_lo, exec_lo, s3
	v_mov_b64_e32 v[10:11], 0
	v_mov_b64_e32 v[18:19], 0
	s_mov_b32 s3, exec_lo
	v_cmpx_gt_i32_e64 s2, v26
	s_cbranch_execz .LBB140_8
; %bb.7:
	v_add_nc_u32_e32 v26, s1, v26
	s_clause 0x2
	global_load_b64 v[4:5], v26, s[6:7] scale_offset
	global_load_b64 v[10:11], v26, s[8:9] scale_offset
	;; [unrolled: 1-line block ×3, first 2 shown]
	s_wait_xcnt 0x0
	s_or_b32 exec_lo, exec_lo, s3
                                        ; implicit-def: $vgpr26_vgpr27
	s_and_saveexec_b32 s3, vcc_lo
	s_cbranch_execz .LBB140_10
	s_branch .LBB140_9
.LBB140_8:
	s_or_b32 exec_lo, exec_lo, s3
                                        ; implicit-def: $vgpr26_vgpr27
	s_and_saveexec_b32 s3, vcc_lo
	s_cbranch_execz .LBB140_10
.LBB140_9:
	s_wait_loadcnt 0x1
	v_max_num_f64_e32 v[26:27], v[12:13], v[12:13]
	v_max_num_f64_e32 v[30:31], v[6:7], v[6:7]
	s_wait_loadcnt 0x0
	v_max_num_f64_e32 v[32:33], v[20:21], v[20:21]
	v_cmp_u_f64_e64 s0, v[20:21], v[20:21]
	s_delay_alu instid0(VALU_DEP_3) | instskip(NEXT) | instid1(VALU_DEP_1)
	v_max_num_f64_e32 v[26:27], v[30:31], v[26:27]
	v_min_num_f64_e32 v[26:27], v[26:27], v[32:33]
	s_delay_alu instid0(VALU_DEP_1) | instskip(SKIP_1) | instid1(VALU_DEP_1)
	v_dual_cndmask_b32 v21, v27, v21, s0 :: v_dual_cndmask_b32 v20, v26, v20, s0
	v_cmp_u_f64_e64 s0, v[12:13], v[12:13]
	v_dual_cndmask_b32 v12, v20, v12, s0 :: v_dual_cndmask_b32 v13, v21, v13, s0
	v_cmp_u_f64_e64 s0, v[6:7], v[6:7]
	s_delay_alu instid0(VALU_DEP_1)
	v_dual_cndmask_b32 v27, v13, v7, s0 :: v_dual_cndmask_b32 v26, v12, v6, s0
.LBB140_10:
	s_or_b32 exec_lo, exec_lo, s3
	s_delay_alu instid0(SALU_CYCLE_1)
	s_mov_b32 s3, exec_lo
                                        ; implicit-def: $vgpr6_vgpr7
	v_cmpx_gt_i32_e64 s2, v1
	s_cbranch_execz .LBB140_12
; %bb.11:
	s_wait_loadcnt 0x1
	v_max_num_f64_e32 v[6:7], v[16:17], v[16:17]
	v_max_num_f64_e32 v[12:13], v[2:3], v[2:3]
	s_wait_loadcnt 0x0
	v_max_num_f64_e32 v[20:21], v[24:25], v[24:25]
	v_cmp_u_f64_e64 s0, v[24:25], v[24:25]
	s_delay_alu instid0(VALU_DEP_3) | instskip(NEXT) | instid1(VALU_DEP_1)
	v_max_num_f64_e32 v[6:7], v[12:13], v[6:7]
	v_min_num_f64_e32 v[6:7], v[6:7], v[20:21]
	s_delay_alu instid0(VALU_DEP_1) | instskip(SKIP_1) | instid1(VALU_DEP_1)
	v_dual_cndmask_b32 v7, v7, v25, s0 :: v_dual_cndmask_b32 v6, v6, v24, s0
	v_cmp_u_f64_e64 s0, v[16:17], v[16:17]
	v_dual_cndmask_b32 v6, v6, v16, s0 :: v_dual_cndmask_b32 v7, v7, v17, s0
	v_cmp_u_f64_e64 s0, v[2:3], v[2:3]
	s_delay_alu instid0(VALU_DEP_1)
	v_dual_cndmask_b32 v7, v7, v3, s0 :: v_dual_cndmask_b32 v6, v6, v2, s0
.LBB140_12:
	s_or_b32 exec_lo, exec_lo, s3
	s_wait_loadcnt 0x2
	v_or_b32_e32 v2, 0x200, v0
	s_delay_alu instid0(VALU_DEP_1)
	v_cmp_gt_i32_e64 s0, s2, v2
                                        ; implicit-def: $vgpr2_vgpr3
	s_and_saveexec_b32 s3, s0
	s_cbranch_execz .LBB140_14
; %bb.13:
	s_wait_loadcnt 0x1
	v_max_num_f64_e32 v[2:3], v[14:15], v[14:15]
	s_wait_loadcnt 0x0
	v_cmp_u_f64_e64 s0, v[22:23], v[22:23]
	v_max_num_f64_e32 v[12:13], v[8:9], v[8:9]
	v_max_num_f64_e32 v[16:17], v[22:23], v[22:23]
	s_delay_alu instid0(VALU_DEP_2) | instskip(NEXT) | instid1(VALU_DEP_1)
	v_max_num_f64_e32 v[2:3], v[12:13], v[2:3]
	v_min_num_f64_e32 v[2:3], v[2:3], v[16:17]
	s_delay_alu instid0(VALU_DEP_1) | instskip(SKIP_1) | instid1(VALU_DEP_1)
	v_dual_cndmask_b32 v3, v3, v23, s0 :: v_dual_cndmask_b32 v2, v2, v22, s0
	v_cmp_u_f64_e64 s0, v[14:15], v[14:15]
	v_dual_cndmask_b32 v3, v3, v15, s0 :: v_dual_cndmask_b32 v2, v2, v14, s0
	v_cmp_u_f64_e64 s0, v[8:9], v[8:9]
	s_delay_alu instid0(VALU_DEP_1)
	v_dual_cndmask_b32 v3, v3, v9, s0 :: v_dual_cndmask_b32 v2, v2, v8, s0
.LBB140_14:
	s_or_b32 exec_lo, exec_lo, s3
	v_or_b32_e32 v8, 0x300, v0
	s_delay_alu instid0(VALU_DEP_1)
	v_cmp_gt_i32_e64 s0, s2, v8
                                        ; implicit-def: $vgpr8_vgpr9
	s_and_saveexec_b32 s3, s0
	s_cbranch_execz .LBB140_20
; %bb.15:
	s_wait_loadcnt 0x1
	v_max_num_f64_e32 v[8:9], v[10:11], v[10:11]
	v_max_num_f64_e32 v[12:13], v[4:5], v[4:5]
	s_wait_loadcnt 0x0
	v_max_num_f64_e32 v[14:15], v[18:19], v[18:19]
	v_cmp_u_f64_e64 s0, v[18:19], v[18:19]
	s_delay_alu instid0(VALU_DEP_3) | instskip(NEXT) | instid1(VALU_DEP_1)
	v_max_num_f64_e32 v[8:9], v[12:13], v[8:9]
	v_min_num_f64_e32 v[8:9], v[8:9], v[14:15]
	s_delay_alu instid0(VALU_DEP_1) | instskip(SKIP_1) | instid1(VALU_DEP_1)
	v_dual_cndmask_b32 v9, v9, v19, s0 :: v_dual_cndmask_b32 v8, v8, v18, s0
	v_cmp_u_f64_e64 s0, v[10:11], v[10:11]
	v_dual_cndmask_b32 v8, v8, v10, s0 :: v_dual_cndmask_b32 v9, v9, v11, s0
	v_cmp_u_f64_e64 s0, v[4:5], v[4:5]
	s_delay_alu instid0(VALU_DEP_1) | instskip(SKIP_2) | instid1(SALU_CYCLE_1)
	v_dual_cndmask_b32 v9, v9, v5, s0 :: v_dual_cndmask_b32 v8, v8, v4, s0
	s_or_b32 exec_lo, exec_lo, s3
	s_and_saveexec_b32 s0, vcc_lo
	s_xor_b32 s0, exec_lo, s0
	s_cbranch_execnz .LBB140_21
.LBB140_16:
	s_or_b32 exec_lo, exec_lo, s0
	s_delay_alu instid0(SALU_CYCLE_1)
	s_mov_b32 s0, exec_lo
	v_cmpx_gt_i32_e64 s2, v0
	s_cbranch_execz .LBB140_22
.LBB140_17:
	v_add_nc_u32_e32 v1, 0x100, v0
	s_delay_alu instid0(VALU_DEP_1) | instskip(SKIP_3) | instid1(SALU_CYCLE_1)
	v_dual_add_nc_u32 v4, s1, v0 :: v_dual_mov_b32 v0, v1
	global_store_b64 v4, v[6:7], s[4:5] scale_offset
	s_wait_xcnt 0x0
	s_or_b32 exec_lo, exec_lo, s0
	s_mov_b32 s0, exec_lo
	v_cmpx_gt_i32_e64 s2, v0
	s_cbranch_execnz .LBB140_23
.LBB140_18:
	s_or_b32 exec_lo, exec_lo, s0
	s_delay_alu instid0(SALU_CYCLE_1)
	s_mov_b32 s0, exec_lo
	v_cmpx_gt_i32_e64 s2, v0
	s_cbranch_execz .LBB140_24
.LBB140_19:
	v_add_nc_u32_e32 v0, s1, v0
	global_store_b64 v0, v[8:9], s[4:5] scale_offset
	s_endpgm
.LBB140_20:
	s_or_b32 exec_lo, exec_lo, s3
	s_and_saveexec_b32 s0, vcc_lo
	s_delay_alu instid0(SALU_CYCLE_1)
	s_xor_b32 s0, exec_lo, s0
	s_cbranch_execz .LBB140_16
.LBB140_21:
	v_mov_b32_e32 v0, v1
	global_store_b64 v28, v[26:27], s[4:5] scale_offset
	s_wait_xcnt 0x0
	s_or_b32 exec_lo, exec_lo, s0
	s_delay_alu instid0(SALU_CYCLE_1)
	s_mov_b32 s0, exec_lo
	v_cmpx_gt_i32_e64 s2, v0
	s_cbranch_execnz .LBB140_17
.LBB140_22:
	s_or_b32 exec_lo, exec_lo, s0
	s_delay_alu instid0(SALU_CYCLE_1)
	s_mov_b32 s0, exec_lo
	v_cmpx_gt_i32_e64 s2, v0
	s_cbranch_execz .LBB140_18
.LBB140_23:
	v_add_nc_u32_e32 v1, 0x100, v0
	s_delay_alu instid0(VALU_DEP_1) | instskip(SKIP_3) | instid1(SALU_CYCLE_1)
	v_dual_add_nc_u32 v4, s1, v0 :: v_dual_mov_b32 v0, v1
	global_store_b64 v4, v[2:3], s[4:5] scale_offset
	s_wait_xcnt 0x0
	s_or_b32 exec_lo, exec_lo, s0
	s_mov_b32 s0, exec_lo
	v_cmpx_gt_i32_e64 s2, v0
	s_cbranch_execnz .LBB140_19
.LBB140_24:
	s_endpgm
	.section	.rodata,"a",@progbits
	.p2align	6, 0x0
	.amdhsa_kernel _ZN2at6native27unrolled_elementwise_kernelIZZZNS0_12_GLOBAL__N_117clamp_kernel_implERNS_18TensorIteratorBaseEENKUlvE_clEvENKUlvE4_clEvEUldddE_St5arrayIPcLm4EELi4E23TrivialOffsetCalculatorILi3EjESB_ILi1EjENS0_6memory15LoadWithoutCastENSE_16StoreWithoutCastEEEviT_T0_T2_T3_T4_T5_
		.amdhsa_group_segment_fixed_size 0
		.amdhsa_private_segment_fixed_size 0
		.amdhsa_kernarg_size 44
		.amdhsa_user_sgpr_count 2
		.amdhsa_user_sgpr_dispatch_ptr 0
		.amdhsa_user_sgpr_queue_ptr 0
		.amdhsa_user_sgpr_kernarg_segment_ptr 1
		.amdhsa_user_sgpr_dispatch_id 0
		.amdhsa_user_sgpr_kernarg_preload_length 0
		.amdhsa_user_sgpr_kernarg_preload_offset 0
		.amdhsa_user_sgpr_private_segment_size 0
		.amdhsa_wavefront_size32 1
		.amdhsa_uses_dynamic_stack 0
		.amdhsa_enable_private_segment 0
		.amdhsa_system_sgpr_workgroup_id_x 1
		.amdhsa_system_sgpr_workgroup_id_y 0
		.amdhsa_system_sgpr_workgroup_id_z 0
		.amdhsa_system_sgpr_workgroup_info 0
		.amdhsa_system_vgpr_workitem_id 0
		.amdhsa_next_free_vgpr 34
		.amdhsa_next_free_sgpr 14
		.amdhsa_named_barrier_count 0
		.amdhsa_reserve_vcc 1
		.amdhsa_float_round_mode_32 0
		.amdhsa_float_round_mode_16_64 0
		.amdhsa_float_denorm_mode_32 3
		.amdhsa_float_denorm_mode_16_64 3
		.amdhsa_fp16_overflow 0
		.amdhsa_memory_ordered 1
		.amdhsa_forward_progress 1
		.amdhsa_inst_pref_size 10
		.amdhsa_round_robin_scheduling 0
		.amdhsa_exception_fp_ieee_invalid_op 0
		.amdhsa_exception_fp_denorm_src 0
		.amdhsa_exception_fp_ieee_div_zero 0
		.amdhsa_exception_fp_ieee_overflow 0
		.amdhsa_exception_fp_ieee_underflow 0
		.amdhsa_exception_fp_ieee_inexact 0
		.amdhsa_exception_int_div_zero 0
	.end_amdhsa_kernel
	.section	.text._ZN2at6native27unrolled_elementwise_kernelIZZZNS0_12_GLOBAL__N_117clamp_kernel_implERNS_18TensorIteratorBaseEENKUlvE_clEvENKUlvE4_clEvEUldddE_St5arrayIPcLm4EELi4E23TrivialOffsetCalculatorILi3EjESB_ILi1EjENS0_6memory15LoadWithoutCastENSE_16StoreWithoutCastEEEviT_T0_T2_T3_T4_T5_,"axG",@progbits,_ZN2at6native27unrolled_elementwise_kernelIZZZNS0_12_GLOBAL__N_117clamp_kernel_implERNS_18TensorIteratorBaseEENKUlvE_clEvENKUlvE4_clEvEUldddE_St5arrayIPcLm4EELi4E23TrivialOffsetCalculatorILi3EjESB_ILi1EjENS0_6memory15LoadWithoutCastENSE_16StoreWithoutCastEEEviT_T0_T2_T3_T4_T5_,comdat
.Lfunc_end140:
	.size	_ZN2at6native27unrolled_elementwise_kernelIZZZNS0_12_GLOBAL__N_117clamp_kernel_implERNS_18TensorIteratorBaseEENKUlvE_clEvENKUlvE4_clEvEUldddE_St5arrayIPcLm4EELi4E23TrivialOffsetCalculatorILi3EjESB_ILi1EjENS0_6memory15LoadWithoutCastENSE_16StoreWithoutCastEEEviT_T0_T2_T3_T4_T5_, .Lfunc_end140-_ZN2at6native27unrolled_elementwise_kernelIZZZNS0_12_GLOBAL__N_117clamp_kernel_implERNS_18TensorIteratorBaseEENKUlvE_clEvENKUlvE4_clEvEUldddE_St5arrayIPcLm4EELi4E23TrivialOffsetCalculatorILi3EjESB_ILi1EjENS0_6memory15LoadWithoutCastENSE_16StoreWithoutCastEEEviT_T0_T2_T3_T4_T5_
                                        ; -- End function
	.set _ZN2at6native27unrolled_elementwise_kernelIZZZNS0_12_GLOBAL__N_117clamp_kernel_implERNS_18TensorIteratorBaseEENKUlvE_clEvENKUlvE4_clEvEUldddE_St5arrayIPcLm4EELi4E23TrivialOffsetCalculatorILi3EjESB_ILi1EjENS0_6memory15LoadWithoutCastENSE_16StoreWithoutCastEEEviT_T0_T2_T3_T4_T5_.num_vgpr, 34
	.set _ZN2at6native27unrolled_elementwise_kernelIZZZNS0_12_GLOBAL__N_117clamp_kernel_implERNS_18TensorIteratorBaseEENKUlvE_clEvENKUlvE4_clEvEUldddE_St5arrayIPcLm4EELi4E23TrivialOffsetCalculatorILi3EjESB_ILi1EjENS0_6memory15LoadWithoutCastENSE_16StoreWithoutCastEEEviT_T0_T2_T3_T4_T5_.num_agpr, 0
	.set _ZN2at6native27unrolled_elementwise_kernelIZZZNS0_12_GLOBAL__N_117clamp_kernel_implERNS_18TensorIteratorBaseEENKUlvE_clEvENKUlvE4_clEvEUldddE_St5arrayIPcLm4EELi4E23TrivialOffsetCalculatorILi3EjESB_ILi1EjENS0_6memory15LoadWithoutCastENSE_16StoreWithoutCastEEEviT_T0_T2_T3_T4_T5_.numbered_sgpr, 14
	.set _ZN2at6native27unrolled_elementwise_kernelIZZZNS0_12_GLOBAL__N_117clamp_kernel_implERNS_18TensorIteratorBaseEENKUlvE_clEvENKUlvE4_clEvEUldddE_St5arrayIPcLm4EELi4E23TrivialOffsetCalculatorILi3EjESB_ILi1EjENS0_6memory15LoadWithoutCastENSE_16StoreWithoutCastEEEviT_T0_T2_T3_T4_T5_.num_named_barrier, 0
	.set _ZN2at6native27unrolled_elementwise_kernelIZZZNS0_12_GLOBAL__N_117clamp_kernel_implERNS_18TensorIteratorBaseEENKUlvE_clEvENKUlvE4_clEvEUldddE_St5arrayIPcLm4EELi4E23TrivialOffsetCalculatorILi3EjESB_ILi1EjENS0_6memory15LoadWithoutCastENSE_16StoreWithoutCastEEEviT_T0_T2_T3_T4_T5_.private_seg_size, 0
	.set _ZN2at6native27unrolled_elementwise_kernelIZZZNS0_12_GLOBAL__N_117clamp_kernel_implERNS_18TensorIteratorBaseEENKUlvE_clEvENKUlvE4_clEvEUldddE_St5arrayIPcLm4EELi4E23TrivialOffsetCalculatorILi3EjESB_ILi1EjENS0_6memory15LoadWithoutCastENSE_16StoreWithoutCastEEEviT_T0_T2_T3_T4_T5_.uses_vcc, 1
	.set _ZN2at6native27unrolled_elementwise_kernelIZZZNS0_12_GLOBAL__N_117clamp_kernel_implERNS_18TensorIteratorBaseEENKUlvE_clEvENKUlvE4_clEvEUldddE_St5arrayIPcLm4EELi4E23TrivialOffsetCalculatorILi3EjESB_ILi1EjENS0_6memory15LoadWithoutCastENSE_16StoreWithoutCastEEEviT_T0_T2_T3_T4_T5_.uses_flat_scratch, 0
	.set _ZN2at6native27unrolled_elementwise_kernelIZZZNS0_12_GLOBAL__N_117clamp_kernel_implERNS_18TensorIteratorBaseEENKUlvE_clEvENKUlvE4_clEvEUldddE_St5arrayIPcLm4EELi4E23TrivialOffsetCalculatorILi3EjESB_ILi1EjENS0_6memory15LoadWithoutCastENSE_16StoreWithoutCastEEEviT_T0_T2_T3_T4_T5_.has_dyn_sized_stack, 0
	.set _ZN2at6native27unrolled_elementwise_kernelIZZZNS0_12_GLOBAL__N_117clamp_kernel_implERNS_18TensorIteratorBaseEENKUlvE_clEvENKUlvE4_clEvEUldddE_St5arrayIPcLm4EELi4E23TrivialOffsetCalculatorILi3EjESB_ILi1EjENS0_6memory15LoadWithoutCastENSE_16StoreWithoutCastEEEviT_T0_T2_T3_T4_T5_.has_recursion, 0
	.set _ZN2at6native27unrolled_elementwise_kernelIZZZNS0_12_GLOBAL__N_117clamp_kernel_implERNS_18TensorIteratorBaseEENKUlvE_clEvENKUlvE4_clEvEUldddE_St5arrayIPcLm4EELi4E23TrivialOffsetCalculatorILi3EjESB_ILi1EjENS0_6memory15LoadWithoutCastENSE_16StoreWithoutCastEEEviT_T0_T2_T3_T4_T5_.has_indirect_call, 0
	.section	.AMDGPU.csdata,"",@progbits
; Kernel info:
; codeLenInByte = 1240
; TotalNumSgprs: 16
; NumVgprs: 34
; ScratchSize: 0
; MemoryBound: 0
; FloatMode: 240
; IeeeMode: 1
; LDSByteSize: 0 bytes/workgroup (compile time only)
; SGPRBlocks: 0
; VGPRBlocks: 2
; NumSGPRsForWavesPerEU: 16
; NumVGPRsForWavesPerEU: 34
; NamedBarCnt: 0
; Occupancy: 16
; WaveLimiterHint : 0
; COMPUTE_PGM_RSRC2:SCRATCH_EN: 0
; COMPUTE_PGM_RSRC2:USER_SGPR: 2
; COMPUTE_PGM_RSRC2:TRAP_HANDLER: 0
; COMPUTE_PGM_RSRC2:TGID_X_EN: 1
; COMPUTE_PGM_RSRC2:TGID_Y_EN: 0
; COMPUTE_PGM_RSRC2:TGID_Z_EN: 0
; COMPUTE_PGM_RSRC2:TIDIG_COMP_CNT: 0
	.section	.text._ZN2at6native32elementwise_kernel_manual_unrollILi128ELi4EZNS0_22gpu_kernel_impl_nocastIZZZNS0_12_GLOBAL__N_117clamp_kernel_implERNS_18TensorIteratorBaseEENKUlvE_clEvENKUlvE4_clEvEUldddE_EEvS5_RKT_EUlibE_EEviT1_,"axG",@progbits,_ZN2at6native32elementwise_kernel_manual_unrollILi128ELi4EZNS0_22gpu_kernel_impl_nocastIZZZNS0_12_GLOBAL__N_117clamp_kernel_implERNS_18TensorIteratorBaseEENKUlvE_clEvENKUlvE4_clEvEUldddE_EEvS5_RKT_EUlibE_EEviT1_,comdat
	.globl	_ZN2at6native32elementwise_kernel_manual_unrollILi128ELi4EZNS0_22gpu_kernel_impl_nocastIZZZNS0_12_GLOBAL__N_117clamp_kernel_implERNS_18TensorIteratorBaseEENKUlvE_clEvENKUlvE4_clEvEUldddE_EEvS5_RKT_EUlibE_EEviT1_ ; -- Begin function _ZN2at6native32elementwise_kernel_manual_unrollILi128ELi4EZNS0_22gpu_kernel_impl_nocastIZZZNS0_12_GLOBAL__N_117clamp_kernel_implERNS_18TensorIteratorBaseEENKUlvE_clEvENKUlvE4_clEvEUldddE_EEvS5_RKT_EUlibE_EEviT1_
	.p2align	8
	.type	_ZN2at6native32elementwise_kernel_manual_unrollILi128ELi4EZNS0_22gpu_kernel_impl_nocastIZZZNS0_12_GLOBAL__N_117clamp_kernel_implERNS_18TensorIteratorBaseEENKUlvE_clEvENKUlvE4_clEvEUldddE_EEvS5_RKT_EUlibE_EEviT1_,@function
_ZN2at6native32elementwise_kernel_manual_unrollILi128ELi4EZNS0_22gpu_kernel_impl_nocastIZZZNS0_12_GLOBAL__N_117clamp_kernel_implERNS_18TensorIteratorBaseEENKUlvE_clEvENKUlvE4_clEvEUldddE_EEvS5_RKT_EUlibE_EEviT1_: ; @_ZN2at6native32elementwise_kernel_manual_unrollILi128ELi4EZNS0_22gpu_kernel_impl_nocastIZZZNS0_12_GLOBAL__N_117clamp_kernel_implERNS_18TensorIteratorBaseEENKUlvE_clEvENKUlvE4_clEvEUldddE_EEvS5_RKT_EUlibE_EEviT1_
; %bb.0:
	s_clause 0x1
	s_load_b32 s33, s[0:1], 0x8
	s_load_b32 s39, s[0:1], 0x0
	s_bfe_u32 s2, ttmp6, 0x4000c
	s_and_b32 s3, ttmp6, 15
	s_add_co_i32 s2, s2, 1
	s_getreg_b32 s4, hwreg(HW_REG_IB_STS2, 6, 4)
	s_mul_i32 s2, ttmp9, s2
	s_add_nc_u64 s[20:21], s[0:1], 8
	s_add_co_i32 s3, s3, s2
	s_cmp_eq_u32 s4, 0
	s_mov_b32 s25, 0
	s_cselect_b32 s2, ttmp9, s3
	s_wait_xcnt 0x0
	s_mov_b32 s0, exec_lo
	v_lshl_or_b32 v0, s2, 9, v0
	s_delay_alu instid0(VALU_DEP_1) | instskip(SKIP_2) | instid1(SALU_CYCLE_1)
	v_or_b32_e32 v5, 0x180, v0
	s_wait_kmcnt 0x0
	s_add_co_i32 s34, s33, -1
	s_cmp_gt_u32 s34, 1
	s_cselect_b32 s35, -1, 0
	v_cmpx_le_i32_e64 s39, v5
	s_xor_b32 s36, exec_lo, s0
	s_cbranch_execz .LBB141_54
; %bb.1:
	s_clause 0x3
	s_load_b128 s[16:19], s[20:21], 0x4
	s_load_b64 s[22:23], s[20:21], 0x14
	s_load_b256 s[8:15], s[20:21], 0xc4
	s_load_b256 s[0:7], s[20:21], 0x1c8
	s_cmp_lg_u32 s33, 0
	s_mov_b32 s27, s25
	s_cselect_b32 s40, -1, 0
	s_min_u32 s38, s34, 15
	s_cmp_gt_u32 s33, 1
	s_cselect_b32 s37, -1, 0
	s_wait_kmcnt 0x0
	s_mov_b32 s24, s17
	s_mov_b32 s26, s22
	s_mov_b32 s17, exec_lo
	v_cmpx_gt_i32_e64 s39, v0
	s_cbranch_execnz .LBB141_5
; %bb.2:
	s_or_b32 exec_lo, exec_lo, s17
	s_delay_alu instid0(SALU_CYCLE_1)
	s_mov_b32 s17, exec_lo
	v_cmpx_gt_i32_e64 s39, v0
	s_cbranch_execnz .LBB141_17
.LBB141_3:
	s_or_b32 exec_lo, exec_lo, s17
	s_delay_alu instid0(SALU_CYCLE_1)
	s_mov_b32 s17, exec_lo
	v_cmpx_gt_i32_e64 s39, v0
	s_cbranch_execnz .LBB141_29
.LBB141_4:
	s_or_b32 exec_lo, exec_lo, s17
	s_delay_alu instid0(SALU_CYCLE_1)
	s_mov_b32 s17, exec_lo
	v_cmpx_gt_i32_e64 s39, v0
	s_cbranch_execnz .LBB141_41
	s_branch .LBB141_53
.LBB141_5:
	s_and_not1_b32 vcc_lo, exec_lo, s35
	s_cbranch_vccnz .LBB141_11
; %bb.6:
	s_and_not1_b32 vcc_lo, exec_lo, s40
	s_cbranch_vccnz .LBB141_12
; %bb.7:
	v_dual_mov_b32 v6, 0 :: v_dual_mov_b32 v1, v0
	v_dual_mov_b32 v7, 0 :: v_dual_mov_b32 v4, 0
	v_mov_b32_e32 v5, 0
	s_add_co_i32 s22, s38, 1
	s_mov_b64 s[28:29], 0xffffffffffffffe0
	s_and_b32 s22, s22, 30
	s_add_nc_u64 s[28:29], s[20:21], s[28:29]
	s_mov_b64 s[30:31], s[20:21]
.LBB141_8:                              ; =>This Inner Loop Header: Depth=1
	s_clause 0x1
	s_load_b128 s[52:55], s[30:31], 0x4
	s_load_b64 s[42:43], s[30:31], 0x14
	s_load_b256 s[44:51], s[28:29], 0xe4
	s_add_co_i32 s22, s22, -2
	s_wait_xcnt 0x0
	s_add_nc_u64 s[30:31], s[30:31], 24
	s_cmp_lg_u32 s22, 0
	s_add_nc_u64 s[28:29], s[28:29], 32
	s_wait_kmcnt 0x0
	v_mul_hi_u32 v2, s53, v1
	s_delay_alu instid0(VALU_DEP_1) | instskip(NEXT) | instid1(VALU_DEP_1)
	v_add_nc_u32_e32 v2, v1, v2
	v_lshrrev_b32_e32 v2, s54, v2
	s_delay_alu instid0(VALU_DEP_1) | instskip(SKIP_1) | instid1(VALU_DEP_1)
	v_mul_hi_u32 v3, s42, v2
	v_mul_lo_u32 v8, v2, s52
	v_dual_add_nc_u32 v3, v2, v3 :: v_dual_sub_nc_u32 v8, v1, v8
	s_delay_alu instid0(VALU_DEP_1) | instskip(NEXT) | instid1(VALU_DEP_2)
	v_lshrrev_b32_e32 v1, s43, v3
	v_mad_u32 v5, v8, s45, v5
	v_mad_u32 v4, v8, s44, v4
	;; [unrolled: 1-line block ×4, first 2 shown]
	v_mul_lo_u32 v3, v1, s55
	s_delay_alu instid0(VALU_DEP_1) | instskip(NEXT) | instid1(VALU_DEP_1)
	v_sub_nc_u32_e32 v2, v2, v3
	v_mad_u32 v5, v2, s49, v5
	v_mad_u32 v4, v2, s48, v4
	;; [unrolled: 1-line block ×4, first 2 shown]
	s_cbranch_scc1 .LBB141_8
; %bb.9:
	s_bitcmp1_b32 s38, 0
	s_cselect_b32 s22, -1, 0
	s_delay_alu instid0(SALU_CYCLE_1)
	s_and_b32 vcc_lo, exec_lo, s22
	s_cbranch_vccnz .LBB141_13
; %bb.10:
	s_load_b96 s[48:50], s[30:31], 0x4
	s_load_b128 s[44:47], s[28:29], 0xe4
	s_wait_kmcnt 0x0
	v_mul_hi_u32 v2, s49, v1
	s_delay_alu instid0(VALU_DEP_1) | instskip(NEXT) | instid1(VALU_DEP_1)
	v_add_nc_u32_e32 v2, v1, v2
	v_lshrrev_b32_e32 v2, s50, v2
	s_delay_alu instid0(VALU_DEP_1) | instskip(NEXT) | instid1(VALU_DEP_1)
	v_mul_lo_u32 v2, v2, s48
	v_sub_nc_u32_e32 v1, v1, v2
	s_delay_alu instid0(VALU_DEP_1)
	v_mad_u32 v4, v1, s44, v4
	v_mad_u32 v5, v1, s45, v5
	;; [unrolled: 1-line block ×4, first 2 shown]
	s_cbranch_execz .LBB141_14
	s_branch .LBB141_16
.LBB141_11:
                                        ; implicit-def: $vgpr5
                                        ; implicit-def: $vgpr4
                                        ; implicit-def: $vgpr7
                                        ; implicit-def: $vgpr6
	s_branch .LBB141_14
.LBB141_12:
	v_dual_mov_b32 v5, 0 :: v_dual_mov_b32 v4, 0
	v_dual_mov_b32 v7, 0 :: v_dual_mov_b32 v6, 0
.LBB141_13:
	s_cbranch_execnz .LBB141_16
.LBB141_14:
	v_mov_b32_e32 v1, 0
	s_and_not1_b32 vcc_lo, exec_lo, s37
	s_delay_alu instid0(VALU_DEP_1) | instskip(NEXT) | instid1(VALU_DEP_1)
	v_mul_u64_e32 v[2:3], s[24:25], v[0:1]
	v_add_nc_u32_e32 v2, v0, v3
	s_delay_alu instid0(VALU_DEP_1) | instskip(NEXT) | instid1(VALU_DEP_1)
	v_lshrrev_b32_e32 v2, s18, v2
	v_mul_lo_u32 v3, v2, s16
	s_delay_alu instid0(VALU_DEP_1) | instskip(NEXT) | instid1(VALU_DEP_1)
	v_sub_nc_u32_e32 v3, v0, v3
	v_mul_lo_u32 v5, v3, s9
	v_mul_lo_u32 v4, v3, s8
	;; [unrolled: 1-line block ×4, first 2 shown]
	s_cbranch_vccnz .LBB141_16
; %bb.15:
	v_mov_b32_e32 v3, v1
	s_delay_alu instid0(VALU_DEP_1) | instskip(NEXT) | instid1(VALU_DEP_1)
	v_mul_u64_e32 v[8:9], s[26:27], v[2:3]
	v_add_nc_u32_e32 v1, v2, v9
	s_delay_alu instid0(VALU_DEP_1) | instskip(NEXT) | instid1(VALU_DEP_1)
	v_lshrrev_b32_e32 v1, s23, v1
	v_mul_lo_u32 v1, v1, s19
	s_delay_alu instid0(VALU_DEP_1) | instskip(NEXT) | instid1(VALU_DEP_1)
	v_sub_nc_u32_e32 v1, v2, v1
	v_mad_u32 v4, v1, s12, v4
	v_mad_u32 v5, v1, s13, v5
	;; [unrolled: 1-line block ×4, first 2 shown]
.LBB141_16:
	global_load_b64 v[2:3], v6, s[4:5]
	global_load_b64 v[8:9], v5, s[2:3]
	;; [unrolled: 1-line block ×3, first 2 shown]
	v_add_nc_u32_e32 v0, 0x80, v0
	s_wait_loadcnt 0x2
	s_wait_xcnt 0x0
	v_max_num_f64_e32 v[6:7], v[2:3], v[2:3]
	s_wait_loadcnt 0x0
	v_cmp_u_f64_e32 vcc_lo, v[10:11], v[10:11]
	v_max_num_f64_e32 v[12:13], v[8:9], v[8:9]
	v_max_num_f64_e32 v[14:15], v[10:11], v[10:11]
	s_delay_alu instid0(VALU_DEP_2) | instskip(NEXT) | instid1(VALU_DEP_1)
	v_max_num_f64_e32 v[6:7], v[12:13], v[6:7]
	v_min_num_f64_e32 v[6:7], v[6:7], v[14:15]
	s_delay_alu instid0(VALU_DEP_1) | instskip(SKIP_1) | instid1(VALU_DEP_2)
	v_dual_cndmask_b32 v1, v7, v11, vcc_lo :: v_dual_cndmask_b32 v5, v6, v10, vcc_lo
	v_cmp_u_f64_e32 vcc_lo, v[2:3], v[2:3]
	v_cndmask_b32_e32 v1, v1, v3, vcc_lo
	s_delay_alu instid0(VALU_DEP_3) | instskip(SKIP_1) | instid1(VALU_DEP_2)
	v_cndmask_b32_e32 v2, v5, v2, vcc_lo
	v_cmp_u_f64_e32 vcc_lo, v[8:9], v[8:9]
	v_dual_cndmask_b32 v3, v1, v9 :: v_dual_cndmask_b32 v2, v2, v8
	global_store_b64 v4, v[2:3], s[0:1]
	s_wait_xcnt 0x0
	s_or_b32 exec_lo, exec_lo, s17
	s_delay_alu instid0(SALU_CYCLE_1)
	s_mov_b32 s17, exec_lo
	v_cmpx_gt_i32_e64 s39, v0
	s_cbranch_execz .LBB141_3
.LBB141_17:
	s_and_not1_b32 vcc_lo, exec_lo, s35
	s_cbranch_vccnz .LBB141_23
; %bb.18:
	s_and_not1_b32 vcc_lo, exec_lo, s40
	s_cbranch_vccnz .LBB141_24
; %bb.19:
	v_dual_mov_b32 v6, 0 :: v_dual_mov_b32 v1, v0
	v_dual_mov_b32 v7, 0 :: v_dual_mov_b32 v4, 0
	v_mov_b32_e32 v5, 0
	s_add_co_i32 s22, s38, 1
	s_mov_b64 s[28:29], 0xffffffffffffffe0
	s_and_b32 s22, s22, 30
	s_add_nc_u64 s[28:29], s[20:21], s[28:29]
	s_mov_b64 s[30:31], s[20:21]
.LBB141_20:                             ; =>This Inner Loop Header: Depth=1
	s_clause 0x1
	s_load_b128 s[52:55], s[30:31], 0x4
	s_load_b64 s[42:43], s[30:31], 0x14
	s_load_b256 s[44:51], s[28:29], 0xe4
	s_add_co_i32 s22, s22, -2
	s_wait_xcnt 0x0
	s_add_nc_u64 s[30:31], s[30:31], 24
	s_cmp_eq_u32 s22, 0
	s_add_nc_u64 s[28:29], s[28:29], 32
	s_wait_kmcnt 0x0
	v_mul_hi_u32 v2, s53, v1
	s_delay_alu instid0(VALU_DEP_1) | instskip(NEXT) | instid1(VALU_DEP_1)
	v_add_nc_u32_e32 v2, v1, v2
	v_lshrrev_b32_e32 v2, s54, v2
	s_delay_alu instid0(VALU_DEP_1) | instskip(SKIP_1) | instid1(VALU_DEP_1)
	v_mul_hi_u32 v3, s42, v2
	v_mul_lo_u32 v8, v2, s52
	v_dual_add_nc_u32 v3, v2, v3 :: v_dual_sub_nc_u32 v8, v1, v8
	s_delay_alu instid0(VALU_DEP_1) | instskip(NEXT) | instid1(VALU_DEP_2)
	v_lshrrev_b32_e32 v1, s43, v3
	v_mad_u32 v5, v8, s45, v5
	v_mad_u32 v4, v8, s44, v4
	;; [unrolled: 1-line block ×4, first 2 shown]
	v_mul_lo_u32 v3, v1, s55
	s_delay_alu instid0(VALU_DEP_1) | instskip(NEXT) | instid1(VALU_DEP_1)
	v_sub_nc_u32_e32 v2, v2, v3
	v_mad_u32 v5, v2, s49, v5
	v_mad_u32 v4, v2, s48, v4
	;; [unrolled: 1-line block ×4, first 2 shown]
	s_cbranch_scc0 .LBB141_20
; %bb.21:
	s_bitcmp1_b32 s38, 0
	s_cselect_b32 s22, -1, 0
	s_delay_alu instid0(SALU_CYCLE_1)
	s_and_b32 vcc_lo, exec_lo, s22
	s_cbranch_vccnz .LBB141_25
; %bb.22:
	s_load_b96 s[48:50], s[30:31], 0x4
	s_load_b128 s[44:47], s[28:29], 0xe4
	s_wait_kmcnt 0x0
	v_mul_hi_u32 v2, s49, v1
	s_delay_alu instid0(VALU_DEP_1) | instskip(NEXT) | instid1(VALU_DEP_1)
	v_add_nc_u32_e32 v2, v1, v2
	v_lshrrev_b32_e32 v2, s50, v2
	s_delay_alu instid0(VALU_DEP_1) | instskip(NEXT) | instid1(VALU_DEP_1)
	v_mul_lo_u32 v2, v2, s48
	v_sub_nc_u32_e32 v1, v1, v2
	s_delay_alu instid0(VALU_DEP_1)
	v_mad_u32 v4, v1, s44, v4
	v_mad_u32 v5, v1, s45, v5
	;; [unrolled: 1-line block ×4, first 2 shown]
	s_branch .LBB141_25
.LBB141_23:
                                        ; implicit-def: $vgpr5
                                        ; implicit-def: $vgpr4
                                        ; implicit-def: $vgpr7
                                        ; implicit-def: $vgpr6
	s_branch .LBB141_26
.LBB141_24:
	v_dual_mov_b32 v5, 0 :: v_dual_mov_b32 v4, 0
	v_dual_mov_b32 v7, 0 :: v_dual_mov_b32 v6, 0
.LBB141_25:
	s_cbranch_execnz .LBB141_28
.LBB141_26:
	v_mov_b32_e32 v1, 0
	s_and_not1_b32 vcc_lo, exec_lo, s37
	s_delay_alu instid0(VALU_DEP_1) | instskip(NEXT) | instid1(VALU_DEP_1)
	v_mul_u64_e32 v[2:3], s[24:25], v[0:1]
	v_add_nc_u32_e32 v2, v0, v3
	s_delay_alu instid0(VALU_DEP_1) | instskip(NEXT) | instid1(VALU_DEP_1)
	v_lshrrev_b32_e32 v2, s18, v2
	v_mul_lo_u32 v3, v2, s16
	s_delay_alu instid0(VALU_DEP_1) | instskip(NEXT) | instid1(VALU_DEP_1)
	v_sub_nc_u32_e32 v3, v0, v3
	v_mul_lo_u32 v5, v3, s9
	v_mul_lo_u32 v4, v3, s8
	;; [unrolled: 1-line block ×4, first 2 shown]
	s_cbranch_vccnz .LBB141_28
; %bb.27:
	v_mov_b32_e32 v3, v1
	s_delay_alu instid0(VALU_DEP_1) | instskip(NEXT) | instid1(VALU_DEP_1)
	v_mul_u64_e32 v[8:9], s[26:27], v[2:3]
	v_add_nc_u32_e32 v1, v2, v9
	s_delay_alu instid0(VALU_DEP_1) | instskip(NEXT) | instid1(VALU_DEP_1)
	v_lshrrev_b32_e32 v1, s23, v1
	v_mul_lo_u32 v1, v1, s19
	s_delay_alu instid0(VALU_DEP_1) | instskip(NEXT) | instid1(VALU_DEP_1)
	v_sub_nc_u32_e32 v1, v2, v1
	v_mad_u32 v4, v1, s12, v4
	v_mad_u32 v5, v1, s13, v5
	;; [unrolled: 1-line block ×4, first 2 shown]
.LBB141_28:
	global_load_b64 v[2:3], v6, s[4:5]
	global_load_b64 v[8:9], v5, s[2:3]
	;; [unrolled: 1-line block ×3, first 2 shown]
	v_add_nc_u32_e32 v0, 0x80, v0
	s_wait_loadcnt 0x2
	s_wait_xcnt 0x0
	v_max_num_f64_e32 v[6:7], v[2:3], v[2:3]
	s_wait_loadcnt 0x0
	v_cmp_u_f64_e32 vcc_lo, v[10:11], v[10:11]
	v_max_num_f64_e32 v[12:13], v[8:9], v[8:9]
	v_max_num_f64_e32 v[14:15], v[10:11], v[10:11]
	s_delay_alu instid0(VALU_DEP_2) | instskip(NEXT) | instid1(VALU_DEP_1)
	v_max_num_f64_e32 v[6:7], v[12:13], v[6:7]
	v_min_num_f64_e32 v[6:7], v[6:7], v[14:15]
	s_delay_alu instid0(VALU_DEP_1) | instskip(SKIP_1) | instid1(VALU_DEP_2)
	v_dual_cndmask_b32 v1, v7, v11, vcc_lo :: v_dual_cndmask_b32 v5, v6, v10, vcc_lo
	v_cmp_u_f64_e32 vcc_lo, v[2:3], v[2:3]
	v_cndmask_b32_e32 v1, v1, v3, vcc_lo
	s_delay_alu instid0(VALU_DEP_3) | instskip(SKIP_1) | instid1(VALU_DEP_2)
	v_cndmask_b32_e32 v2, v5, v2, vcc_lo
	v_cmp_u_f64_e32 vcc_lo, v[8:9], v[8:9]
	v_dual_cndmask_b32 v3, v1, v9 :: v_dual_cndmask_b32 v2, v2, v8
	global_store_b64 v4, v[2:3], s[0:1]
	s_wait_xcnt 0x0
	s_or_b32 exec_lo, exec_lo, s17
	s_delay_alu instid0(SALU_CYCLE_1)
	s_mov_b32 s17, exec_lo
	v_cmpx_gt_i32_e64 s39, v0
	s_cbranch_execz .LBB141_4
.LBB141_29:
	s_and_not1_b32 vcc_lo, exec_lo, s35
	s_cbranch_vccnz .LBB141_35
; %bb.30:
	s_and_not1_b32 vcc_lo, exec_lo, s40
	s_cbranch_vccnz .LBB141_36
; %bb.31:
	v_dual_mov_b32 v6, 0 :: v_dual_mov_b32 v1, v0
	v_dual_mov_b32 v7, 0 :: v_dual_mov_b32 v4, 0
	v_mov_b32_e32 v5, 0
	s_add_co_i32 s22, s38, 1
	s_mov_b64 s[28:29], 0xffffffffffffffe0
	s_and_b32 s22, s22, 30
	s_add_nc_u64 s[28:29], s[20:21], s[28:29]
	s_mov_b64 s[30:31], s[20:21]
.LBB141_32:                             ; =>This Inner Loop Header: Depth=1
	s_clause 0x1
	s_load_b128 s[52:55], s[30:31], 0x4
	s_load_b64 s[42:43], s[30:31], 0x14
	s_load_b256 s[44:51], s[28:29], 0xe4
	s_add_co_i32 s22, s22, -2
	s_wait_xcnt 0x0
	s_add_nc_u64 s[30:31], s[30:31], 24
	s_cmp_eq_u32 s22, 0
	s_add_nc_u64 s[28:29], s[28:29], 32
	s_wait_kmcnt 0x0
	v_mul_hi_u32 v2, s53, v1
	s_delay_alu instid0(VALU_DEP_1) | instskip(NEXT) | instid1(VALU_DEP_1)
	v_add_nc_u32_e32 v2, v1, v2
	v_lshrrev_b32_e32 v2, s54, v2
	s_delay_alu instid0(VALU_DEP_1) | instskip(SKIP_1) | instid1(VALU_DEP_1)
	v_mul_hi_u32 v3, s42, v2
	v_mul_lo_u32 v8, v2, s52
	v_dual_add_nc_u32 v3, v2, v3 :: v_dual_sub_nc_u32 v8, v1, v8
	s_delay_alu instid0(VALU_DEP_1) | instskip(NEXT) | instid1(VALU_DEP_2)
	v_lshrrev_b32_e32 v1, s43, v3
	v_mad_u32 v5, v8, s45, v5
	v_mad_u32 v4, v8, s44, v4
	;; [unrolled: 1-line block ×4, first 2 shown]
	v_mul_lo_u32 v3, v1, s55
	s_delay_alu instid0(VALU_DEP_1) | instskip(NEXT) | instid1(VALU_DEP_1)
	v_sub_nc_u32_e32 v2, v2, v3
	v_mad_u32 v5, v2, s49, v5
	v_mad_u32 v4, v2, s48, v4
	;; [unrolled: 1-line block ×4, first 2 shown]
	s_cbranch_scc0 .LBB141_32
; %bb.33:
	s_bitcmp1_b32 s38, 0
	s_cselect_b32 s22, -1, 0
	s_delay_alu instid0(SALU_CYCLE_1)
	s_and_b32 vcc_lo, exec_lo, s22
	s_cbranch_vccnz .LBB141_37
; %bb.34:
	s_load_b96 s[48:50], s[30:31], 0x4
	s_load_b128 s[44:47], s[28:29], 0xe4
	s_wait_kmcnt 0x0
	v_mul_hi_u32 v2, s49, v1
	s_delay_alu instid0(VALU_DEP_1) | instskip(NEXT) | instid1(VALU_DEP_1)
	v_add_nc_u32_e32 v2, v1, v2
	v_lshrrev_b32_e32 v2, s50, v2
	s_delay_alu instid0(VALU_DEP_1) | instskip(NEXT) | instid1(VALU_DEP_1)
	v_mul_lo_u32 v2, v2, s48
	v_sub_nc_u32_e32 v1, v1, v2
	s_delay_alu instid0(VALU_DEP_1)
	v_mad_u32 v4, v1, s44, v4
	v_mad_u32 v5, v1, s45, v5
	;; [unrolled: 1-line block ×4, first 2 shown]
	s_branch .LBB141_37
.LBB141_35:
                                        ; implicit-def: $vgpr5
                                        ; implicit-def: $vgpr4
                                        ; implicit-def: $vgpr7
                                        ; implicit-def: $vgpr6
	s_branch .LBB141_38
.LBB141_36:
	v_dual_mov_b32 v5, 0 :: v_dual_mov_b32 v4, 0
	v_dual_mov_b32 v7, 0 :: v_dual_mov_b32 v6, 0
.LBB141_37:
	s_cbranch_execnz .LBB141_40
.LBB141_38:
	v_mov_b32_e32 v1, 0
	s_and_not1_b32 vcc_lo, exec_lo, s37
	s_delay_alu instid0(VALU_DEP_1) | instskip(NEXT) | instid1(VALU_DEP_1)
	v_mul_u64_e32 v[2:3], s[24:25], v[0:1]
	v_add_nc_u32_e32 v2, v0, v3
	s_delay_alu instid0(VALU_DEP_1) | instskip(NEXT) | instid1(VALU_DEP_1)
	v_lshrrev_b32_e32 v2, s18, v2
	v_mul_lo_u32 v3, v2, s16
	s_delay_alu instid0(VALU_DEP_1) | instskip(NEXT) | instid1(VALU_DEP_1)
	v_sub_nc_u32_e32 v3, v0, v3
	v_mul_lo_u32 v5, v3, s9
	v_mul_lo_u32 v4, v3, s8
	;; [unrolled: 1-line block ×4, first 2 shown]
	s_cbranch_vccnz .LBB141_40
; %bb.39:
	v_mov_b32_e32 v3, v1
	s_delay_alu instid0(VALU_DEP_1) | instskip(NEXT) | instid1(VALU_DEP_1)
	v_mul_u64_e32 v[8:9], s[26:27], v[2:3]
	v_add_nc_u32_e32 v1, v2, v9
	s_delay_alu instid0(VALU_DEP_1) | instskip(NEXT) | instid1(VALU_DEP_1)
	v_lshrrev_b32_e32 v1, s23, v1
	v_mul_lo_u32 v1, v1, s19
	s_delay_alu instid0(VALU_DEP_1) | instskip(NEXT) | instid1(VALU_DEP_1)
	v_sub_nc_u32_e32 v1, v2, v1
	v_mad_u32 v4, v1, s12, v4
	v_mad_u32 v5, v1, s13, v5
	;; [unrolled: 1-line block ×4, first 2 shown]
.LBB141_40:
	global_load_b64 v[2:3], v6, s[4:5]
	global_load_b64 v[8:9], v5, s[2:3]
	;; [unrolled: 1-line block ×3, first 2 shown]
	v_add_nc_u32_e32 v0, 0x80, v0
	s_wait_loadcnt 0x2
	s_wait_xcnt 0x0
	v_max_num_f64_e32 v[6:7], v[2:3], v[2:3]
	s_wait_loadcnt 0x0
	v_cmp_u_f64_e32 vcc_lo, v[10:11], v[10:11]
	v_max_num_f64_e32 v[12:13], v[8:9], v[8:9]
	v_max_num_f64_e32 v[14:15], v[10:11], v[10:11]
	s_delay_alu instid0(VALU_DEP_2) | instskip(NEXT) | instid1(VALU_DEP_1)
	v_max_num_f64_e32 v[6:7], v[12:13], v[6:7]
	v_min_num_f64_e32 v[6:7], v[6:7], v[14:15]
	s_delay_alu instid0(VALU_DEP_1) | instskip(SKIP_1) | instid1(VALU_DEP_2)
	v_dual_cndmask_b32 v1, v7, v11, vcc_lo :: v_dual_cndmask_b32 v5, v6, v10, vcc_lo
	v_cmp_u_f64_e32 vcc_lo, v[2:3], v[2:3]
	v_cndmask_b32_e32 v1, v1, v3, vcc_lo
	s_delay_alu instid0(VALU_DEP_3) | instskip(SKIP_1) | instid1(VALU_DEP_2)
	v_cndmask_b32_e32 v2, v5, v2, vcc_lo
	v_cmp_u_f64_e32 vcc_lo, v[8:9], v[8:9]
	v_dual_cndmask_b32 v3, v1, v9 :: v_dual_cndmask_b32 v2, v2, v8
	global_store_b64 v4, v[2:3], s[0:1]
	s_wait_xcnt 0x0
	s_or_b32 exec_lo, exec_lo, s17
	s_delay_alu instid0(SALU_CYCLE_1)
	s_mov_b32 s17, exec_lo
	v_cmpx_gt_i32_e64 s39, v0
	s_cbranch_execz .LBB141_53
.LBB141_41:
	s_and_not1_b32 vcc_lo, exec_lo, s35
	s_cbranch_vccnz .LBB141_47
; %bb.42:
	s_and_not1_b32 vcc_lo, exec_lo, s40
	s_cbranch_vccnz .LBB141_48
; %bb.43:
	v_dual_mov_b32 v6, 0 :: v_dual_mov_b32 v1, v0
	v_dual_mov_b32 v7, 0 :: v_dual_mov_b32 v4, 0
	v_mov_b32_e32 v5, 0
	s_add_co_i32 s22, s38, 1
	s_mov_b64 s[28:29], 0xffffffffffffffe0
	s_and_b32 s22, s22, 30
	s_add_nc_u64 s[28:29], s[20:21], s[28:29]
	s_mov_b64 s[30:31], s[20:21]
.LBB141_44:                             ; =>This Inner Loop Header: Depth=1
	s_clause 0x1
	s_load_b128 s[48:51], s[30:31], 0x4
	s_load_b64 s[52:53], s[30:31], 0x14
	s_load_b256 s[40:47], s[28:29], 0xe4
	s_add_co_i32 s22, s22, -2
	s_wait_xcnt 0x0
	s_add_nc_u64 s[30:31], s[30:31], 24
	s_cmp_eq_u32 s22, 0
	s_add_nc_u64 s[28:29], s[28:29], 32
	s_wait_kmcnt 0x0
	v_mul_hi_u32 v2, s49, v1
	s_delay_alu instid0(VALU_DEP_1) | instskip(NEXT) | instid1(VALU_DEP_1)
	v_add_nc_u32_e32 v2, v1, v2
	v_lshrrev_b32_e32 v2, s50, v2
	s_delay_alu instid0(VALU_DEP_1) | instskip(SKIP_1) | instid1(VALU_DEP_1)
	v_mul_hi_u32 v3, s52, v2
	v_mul_lo_u32 v8, v2, s48
	v_dual_add_nc_u32 v3, v2, v3 :: v_dual_sub_nc_u32 v8, v1, v8
	s_delay_alu instid0(VALU_DEP_1) | instskip(NEXT) | instid1(VALU_DEP_2)
	v_lshrrev_b32_e32 v1, s53, v3
	v_mad_u32 v5, v8, s41, v5
	v_mad_u32 v4, v8, s40, v4
	;; [unrolled: 1-line block ×4, first 2 shown]
	v_mul_lo_u32 v3, v1, s51
	s_delay_alu instid0(VALU_DEP_1) | instskip(NEXT) | instid1(VALU_DEP_1)
	v_sub_nc_u32_e32 v2, v2, v3
	v_mad_u32 v5, v2, s45, v5
	v_mad_u32 v4, v2, s44, v4
	;; [unrolled: 1-line block ×4, first 2 shown]
	s_cbranch_scc0 .LBB141_44
; %bb.45:
	s_bitcmp1_b32 s38, 0
	s_cselect_b32 s22, -1, 0
	s_delay_alu instid0(SALU_CYCLE_1)
	s_and_b32 vcc_lo, exec_lo, s22
	s_cbranch_vccnz .LBB141_49
; %bb.46:
	s_load_b96 s[44:46], s[30:31], 0x4
	s_load_b128 s[40:43], s[28:29], 0xe4
	s_wait_kmcnt 0x0
	v_mul_hi_u32 v2, s45, v1
	s_delay_alu instid0(VALU_DEP_1) | instskip(NEXT) | instid1(VALU_DEP_1)
	v_add_nc_u32_e32 v2, v1, v2
	v_lshrrev_b32_e32 v2, s46, v2
	s_delay_alu instid0(VALU_DEP_1) | instskip(NEXT) | instid1(VALU_DEP_1)
	v_mul_lo_u32 v2, v2, s44
	v_sub_nc_u32_e32 v1, v1, v2
	s_delay_alu instid0(VALU_DEP_1)
	v_mad_u32 v4, v1, s40, v4
	v_mad_u32 v5, v1, s41, v5
	;; [unrolled: 1-line block ×4, first 2 shown]
	s_branch .LBB141_49
.LBB141_47:
                                        ; implicit-def: $vgpr5
                                        ; implicit-def: $vgpr4
                                        ; implicit-def: $vgpr7
                                        ; implicit-def: $vgpr6
	s_branch .LBB141_50
.LBB141_48:
	v_dual_mov_b32 v5, 0 :: v_dual_mov_b32 v4, 0
	v_dual_mov_b32 v7, 0 :: v_dual_mov_b32 v6, 0
.LBB141_49:
	s_cbranch_execnz .LBB141_52
.LBB141_50:
	v_mov_b32_e32 v1, 0
	s_and_not1_b32 vcc_lo, exec_lo, s37
	s_delay_alu instid0(VALU_DEP_1) | instskip(NEXT) | instid1(VALU_DEP_1)
	v_mul_u64_e32 v[2:3], s[24:25], v[0:1]
	v_add_nc_u32_e32 v2, v0, v3
	s_delay_alu instid0(VALU_DEP_1) | instskip(NEXT) | instid1(VALU_DEP_1)
	v_lshrrev_b32_e32 v2, s18, v2
	v_mul_lo_u32 v3, v2, s16
	s_delay_alu instid0(VALU_DEP_1) | instskip(NEXT) | instid1(VALU_DEP_1)
	v_sub_nc_u32_e32 v0, v0, v3
	v_mul_lo_u32 v5, v0, s9
	v_mul_lo_u32 v4, v0, s8
	;; [unrolled: 1-line block ×4, first 2 shown]
	s_cbranch_vccnz .LBB141_52
; %bb.51:
	v_mov_b32_e32 v3, v1
	s_delay_alu instid0(VALU_DEP_1) | instskip(NEXT) | instid1(VALU_DEP_1)
	v_mul_u64_e32 v[0:1], s[26:27], v[2:3]
	v_add_nc_u32_e32 v0, v2, v1
	s_delay_alu instid0(VALU_DEP_1) | instskip(NEXT) | instid1(VALU_DEP_1)
	v_lshrrev_b32_e32 v0, s23, v0
	v_mul_lo_u32 v0, v0, s19
	s_delay_alu instid0(VALU_DEP_1) | instskip(NEXT) | instid1(VALU_DEP_1)
	v_sub_nc_u32_e32 v0, v2, v0
	v_mad_u32 v4, v0, s12, v4
	v_mad_u32 v5, v0, s13, v5
	;; [unrolled: 1-line block ×4, first 2 shown]
.LBB141_52:
	global_load_b64 v[0:1], v6, s[4:5]
	global_load_b64 v[2:3], v5, s[2:3]
	global_load_b64 v[8:9], v7, s[6:7]
	s_wait_loadcnt 0x2
	s_wait_xcnt 0x0
	v_max_num_f64_e32 v[6:7], v[0:1], v[0:1]
	s_wait_loadcnt 0x1
	v_max_num_f64_e32 v[10:11], v[2:3], v[2:3]
	s_wait_loadcnt 0x0
	v_max_num_f64_e32 v[12:13], v[8:9], v[8:9]
	v_cmp_u_f64_e32 vcc_lo, v[8:9], v[8:9]
	s_delay_alu instid0(VALU_DEP_3) | instskip(NEXT) | instid1(VALU_DEP_1)
	v_max_num_f64_e32 v[6:7], v[10:11], v[6:7]
	v_min_num_f64_e32 v[6:7], v[6:7], v[12:13]
	s_delay_alu instid0(VALU_DEP_1) | instskip(SKIP_1) | instid1(VALU_DEP_2)
	v_dual_cndmask_b32 v5, v7, v9 :: v_dual_cndmask_b32 v6, v6, v8
	v_cmp_u_f64_e32 vcc_lo, v[0:1], v[0:1]
	v_dual_cndmask_b32 v0, v6, v0 :: v_dual_cndmask_b32 v1, v5, v1
	v_cmp_u_f64_e32 vcc_lo, v[2:3], v[2:3]
	s_delay_alu instid0(VALU_DEP_2)
	v_dual_cndmask_b32 v1, v1, v3 :: v_dual_cndmask_b32 v0, v0, v2
	global_store_b64 v4, v[0:1], s[0:1]
.LBB141_53:
	s_wait_xcnt 0x0
	s_or_b32 exec_lo, exec_lo, s17
                                        ; implicit-def: $vgpr5
                                        ; implicit-def: $vgpr0
.LBB141_54:
	s_and_not1_saveexec_b32 s0, s36
	s_cbranch_execz .LBB141_61
; %bb.55:
	v_cndmask_b32_e64 v10, 0, 1, s35
	s_and_not1_b32 vcc_lo, exec_lo, s35
	s_cbranch_vccnz .LBB141_62
; %bb.56:
	s_cmp_lg_u32 s33, 0
	s_mov_b32 s4, 0
	s_cbranch_scc0 .LBB141_66
; %bb.57:
	s_min_u32 s5, s34, 15
	v_dual_mov_b32 v2, 0 :: v_dual_mov_b32 v6, v0
	v_dual_mov_b32 v4, 0 :: v_dual_mov_b32 v1, 0
	v_mov_b32_e32 v3, 0
	s_add_co_i32 s2, s5, 1
	s_mov_b64 s[0:1], 0xffffffffffffffe0
	s_and_b32 s6, s2, 30
	s_add_nc_u64 s[0:1], s[20:21], s[0:1]
	s_mov_b64 s[2:3], s[20:21]
.LBB141_58:                             ; =>This Inner Loop Header: Depth=1
	s_clause 0x1
	s_load_b128 s[16:19], s[2:3], 0x4
	s_load_b64 s[22:23], s[2:3], 0x14
	s_load_b256 s[8:15], s[0:1], 0xe4
	s_add_co_i32 s6, s6, -2
	s_wait_xcnt 0x0
	s_add_nc_u64 s[2:3], s[2:3], 24
	s_cmp_lg_u32 s6, 0
	s_add_nc_u64 s[0:1], s[0:1], 32
	s_wait_kmcnt 0x0
	v_mul_hi_u32 v7, s17, v6
	s_delay_alu instid0(VALU_DEP_1) | instskip(NEXT) | instid1(VALU_DEP_1)
	v_add_nc_u32_e32 v7, v6, v7
	v_lshrrev_b32_e32 v7, s18, v7
	s_delay_alu instid0(VALU_DEP_1) | instskip(SKIP_1) | instid1(VALU_DEP_1)
	v_mul_hi_u32 v8, s22, v7
	v_mul_lo_u32 v9, v7, s16
	v_dual_add_nc_u32 v8, v7, v8 :: v_dual_sub_nc_u32 v9, v6, v9
	s_delay_alu instid0(VALU_DEP_1) | instskip(NEXT) | instid1(VALU_DEP_2)
	v_lshrrev_b32_e32 v6, s23, v8
	v_mad_u32 v3, v9, s9, v3
	v_mad_u32 v1, v9, s8, v1
	;; [unrolled: 1-line block ×4, first 2 shown]
	v_mul_lo_u32 v8, v6, s19
	s_delay_alu instid0(VALU_DEP_1) | instskip(NEXT) | instid1(VALU_DEP_1)
	v_sub_nc_u32_e32 v7, v7, v8
	v_mad_u32 v3, v7, s13, v3
	v_mad_u32 v1, v7, s12, v1
	;; [unrolled: 1-line block ×4, first 2 shown]
	s_cbranch_scc1 .LBB141_58
; %bb.59:
	s_bitcmp1_b32 s5, 0
	s_cselect_b32 s5, -1, 0
	s_delay_alu instid0(SALU_CYCLE_1)
	s_and_b32 vcc_lo, exec_lo, s5
	s_cbranch_vccnz .LBB141_63
; %bb.60:
	s_load_b96 s[12:14], s[2:3], 0x4
	s_load_b128 s[8:11], s[0:1], 0xe4
	s_wait_kmcnt 0x0
	v_mul_hi_u32 v7, s13, v6
	s_delay_alu instid0(VALU_DEP_1) | instskip(NEXT) | instid1(VALU_DEP_1)
	v_add_nc_u32_e32 v7, v6, v7
	v_lshrrev_b32_e32 v7, s14, v7
	s_delay_alu instid0(VALU_DEP_1) | instskip(NEXT) | instid1(VALU_DEP_1)
	v_mul_lo_u32 v7, v7, s12
	v_sub_nc_u32_e32 v6, v6, v7
	s_delay_alu instid0(VALU_DEP_1)
	v_mad_u32 v1, v6, s8, v1
	v_mad_u32 v3, v6, s9, v3
	;; [unrolled: 1-line block ×4, first 2 shown]
	s_and_not1_b32 vcc_lo, exec_lo, s4
	s_cbranch_vccz .LBB141_64
	s_branch .LBB141_67
.LBB141_61:
	s_endpgm
.LBB141_62:
	s_mov_b32 s4, -1
                                        ; implicit-def: $vgpr3
                                        ; implicit-def: $vgpr1
                                        ; implicit-def: $vgpr4
                                        ; implicit-def: $vgpr2
.LBB141_63:
	s_delay_alu instid0(SALU_CYCLE_1)
	s_and_not1_b32 vcc_lo, exec_lo, s4
	s_cbranch_vccnz .LBB141_67
.LBB141_64:
	s_clause 0x1
	s_load_b96 s[4:6], s[20:21], 0x4
	s_load_b128 s[0:3], s[20:21], 0xc4
	s_cmp_lt_u32 s33, 2
	s_wait_kmcnt 0x0
	v_mul_hi_u32 v1, s5, v0
	s_delay_alu instid0(VALU_DEP_1) | instskip(NEXT) | instid1(VALU_DEP_1)
	v_add_nc_u32_e32 v1, v0, v1
	v_lshrrev_b32_e32 v6, s6, v1
	s_delay_alu instid0(VALU_DEP_1) | instskip(NEXT) | instid1(VALU_DEP_1)
	v_mul_lo_u32 v1, v6, s4
	v_sub_nc_u32_e32 v2, v0, v1
	s_delay_alu instid0(VALU_DEP_1)
	v_mul_lo_u32 v3, v2, s1
	v_mul_lo_u32 v1, v2, s0
	;; [unrolled: 1-line block ×4, first 2 shown]
	s_cbranch_scc1 .LBB141_67
; %bb.65:
	s_clause 0x1
	s_load_b96 s[4:6], s[20:21], 0x10
	s_load_b128 s[0:3], s[20:21], 0xd4
	s_wait_kmcnt 0x0
	v_mul_hi_u32 v7, s5, v6
	s_delay_alu instid0(VALU_DEP_1) | instskip(NEXT) | instid1(VALU_DEP_1)
	v_add_nc_u32_e32 v7, v6, v7
	v_lshrrev_b32_e32 v7, s6, v7
	s_delay_alu instid0(VALU_DEP_1) | instskip(NEXT) | instid1(VALU_DEP_1)
	v_mul_lo_u32 v7, v7, s4
	v_sub_nc_u32_e32 v6, v6, v7
	s_delay_alu instid0(VALU_DEP_1)
	v_mad_u32 v1, v6, s0, v1
	v_mad_u32 v3, v6, s1, v3
	;; [unrolled: 1-line block ×4, first 2 shown]
	s_branch .LBB141_67
.LBB141_66:
	v_dual_mov_b32 v3, 0 :: v_dual_mov_b32 v1, 0
	v_dual_mov_b32 v4, 0 :: v_dual_mov_b32 v2, 0
	s_and_not1_b32 vcc_lo, exec_lo, s4
	s_cbranch_vccz .LBB141_64
.LBB141_67:
	v_cmp_ne_u32_e32 vcc_lo, 1, v10
	v_add_nc_u32_e32 v11, 0x80, v0
	s_cbranch_vccnz .LBB141_73
; %bb.68:
	s_cmp_lg_u32 s33, 0
	s_mov_b32 s4, 0
	s_cbranch_scc0 .LBB141_77
; %bb.69:
	s_min_u32 s5, s34, 15
	v_dual_mov_b32 v9, 0 :: v_dual_mov_b32 v12, v11
	v_dual_mov_b32 v8, 0 :: v_dual_mov_b32 v6, 0
	v_mov_b32_e32 v7, 0
	s_add_co_i32 s2, s5, 1
	s_mov_b64 s[0:1], 0xffffffffffffffe0
	s_and_b32 s6, s2, 30
	s_add_nc_u64 s[0:1], s[20:21], s[0:1]
	s_mov_b64 s[2:3], s[20:21]
.LBB141_70:                             ; =>This Inner Loop Header: Depth=1
	s_clause 0x1
	s_load_b128 s[16:19], s[2:3], 0x4
	s_load_b64 s[22:23], s[2:3], 0x14
	s_load_b256 s[8:15], s[0:1], 0xe4
	s_add_co_i32 s6, s6, -2
	s_wait_xcnt 0x0
	s_add_nc_u64 s[2:3], s[2:3], 24
	s_cmp_lg_u32 s6, 0
	s_add_nc_u64 s[0:1], s[0:1], 32
	s_wait_kmcnt 0x0
	v_mul_hi_u32 v13, s17, v12
	s_delay_alu instid0(VALU_DEP_1) | instskip(NEXT) | instid1(VALU_DEP_1)
	v_add_nc_u32_e32 v13, v12, v13
	v_lshrrev_b32_e32 v13, s18, v13
	s_delay_alu instid0(VALU_DEP_1) | instskip(SKIP_1) | instid1(VALU_DEP_1)
	v_mul_hi_u32 v14, s22, v13
	v_mul_lo_u32 v15, v13, s16
	v_dual_add_nc_u32 v14, v13, v14 :: v_dual_sub_nc_u32 v15, v12, v15
	s_delay_alu instid0(VALU_DEP_1) | instskip(NEXT) | instid1(VALU_DEP_2)
	v_lshrrev_b32_e32 v12, s23, v14
	v_mad_u32 v7, v15, s9, v7
	v_mad_u32 v6, v15, s8, v6
	;; [unrolled: 1-line block ×4, first 2 shown]
	v_mul_lo_u32 v14, v12, s19
	s_delay_alu instid0(VALU_DEP_1) | instskip(NEXT) | instid1(VALU_DEP_1)
	v_sub_nc_u32_e32 v13, v13, v14
	v_mad_u32 v7, v13, s13, v7
	v_mad_u32 v6, v13, s12, v6
	;; [unrolled: 1-line block ×4, first 2 shown]
	s_cbranch_scc1 .LBB141_70
; %bb.71:
	s_bitcmp1_b32 s5, 0
	s_cselect_b32 s5, -1, 0
	s_delay_alu instid0(SALU_CYCLE_1)
	s_and_b32 vcc_lo, exec_lo, s5
	s_cbranch_vccnz .LBB141_74
; %bb.72:
	s_load_b96 s[12:14], s[2:3], 0x4
	s_load_b128 s[8:11], s[0:1], 0xe4
	s_wait_kmcnt 0x0
	v_mul_hi_u32 v13, s13, v12
	s_delay_alu instid0(VALU_DEP_1) | instskip(NEXT) | instid1(VALU_DEP_1)
	v_add_nc_u32_e32 v13, v12, v13
	v_lshrrev_b32_e32 v13, s14, v13
	s_delay_alu instid0(VALU_DEP_1) | instskip(NEXT) | instid1(VALU_DEP_1)
	v_mul_lo_u32 v13, v13, s12
	v_sub_nc_u32_e32 v12, v12, v13
	s_delay_alu instid0(VALU_DEP_1)
	v_mad_u32 v6, v12, s8, v6
	v_mad_u32 v7, v12, s9, v7
	;; [unrolled: 1-line block ×4, first 2 shown]
	s_and_not1_b32 vcc_lo, exec_lo, s4
	s_cbranch_vccz .LBB141_75
	s_branch .LBB141_78
.LBB141_73:
	s_mov_b32 s4, -1
                                        ; implicit-def: $vgpr7
                                        ; implicit-def: $vgpr6
                                        ; implicit-def: $vgpr8
                                        ; implicit-def: $vgpr9
.LBB141_74:
	s_delay_alu instid0(SALU_CYCLE_1)
	s_and_not1_b32 vcc_lo, exec_lo, s4
	s_cbranch_vccnz .LBB141_78
.LBB141_75:
	s_clause 0x1
	s_load_b96 s[4:6], s[20:21], 0x4
	s_load_b128 s[0:3], s[20:21], 0xc4
	s_cmp_lt_u32 s33, 2
	s_wait_kmcnt 0x0
	v_mul_hi_u32 v6, s5, v11
	s_delay_alu instid0(VALU_DEP_1) | instskip(NEXT) | instid1(VALU_DEP_1)
	v_add_nc_u32_e32 v6, v11, v6
	v_lshrrev_b32_e32 v12, s6, v6
	s_delay_alu instid0(VALU_DEP_1) | instskip(NEXT) | instid1(VALU_DEP_1)
	v_mul_lo_u32 v6, v12, s4
	v_sub_nc_u32_e32 v9, v11, v6
	s_delay_alu instid0(VALU_DEP_1)
	v_mul_lo_u32 v7, v9, s1
	v_mul_lo_u32 v6, v9, s0
	v_mul_lo_u32 v8, v9, s3
	v_mul_lo_u32 v9, v9, s2
	s_cbranch_scc1 .LBB141_78
; %bb.76:
	s_clause 0x1
	s_load_b96 s[4:6], s[20:21], 0x10
	s_load_b128 s[0:3], s[20:21], 0xd4
	s_wait_kmcnt 0x0
	v_mul_hi_u32 v11, s5, v12
	s_delay_alu instid0(VALU_DEP_1) | instskip(NEXT) | instid1(VALU_DEP_1)
	v_add_nc_u32_e32 v11, v12, v11
	v_lshrrev_b32_e32 v11, s6, v11
	s_delay_alu instid0(VALU_DEP_1) | instskip(NEXT) | instid1(VALU_DEP_1)
	v_mul_lo_u32 v11, v11, s4
	v_sub_nc_u32_e32 v11, v12, v11
	s_delay_alu instid0(VALU_DEP_1)
	v_mad_u32 v6, v11, s0, v6
	v_mad_u32 v7, v11, s1, v7
	;; [unrolled: 1-line block ×4, first 2 shown]
	s_branch .LBB141_78
.LBB141_77:
	v_dual_mov_b32 v7, 0 :: v_dual_mov_b32 v6, 0
	v_dual_mov_b32 v8, 0 :: v_dual_mov_b32 v9, 0
	s_and_not1_b32 vcc_lo, exec_lo, s4
	s_cbranch_vccz .LBB141_75
.LBB141_78:
	v_cmp_ne_u32_e32 vcc_lo, 1, v10
	v_add_nc_u32_e32 v14, 0x100, v0
	s_cbranch_vccnz .LBB141_84
; %bb.79:
	s_cmp_lg_u32 s33, 0
	s_mov_b32 s4, 0
	s_cbranch_scc0 .LBB141_88
; %bb.80:
	s_min_u32 s5, s34, 15
	v_dual_mov_b32 v13, 0 :: v_dual_mov_b32 v15, v14
	v_dual_mov_b32 v12, 0 :: v_dual_mov_b32 v0, 0
	v_mov_b32_e32 v11, 0
	s_add_co_i32 s2, s5, 1
	s_mov_b64 s[0:1], 0xffffffffffffffe0
	s_and_b32 s6, s2, 30
	s_add_nc_u64 s[0:1], s[20:21], s[0:1]
	s_mov_b64 s[2:3], s[20:21]
.LBB141_81:                             ; =>This Inner Loop Header: Depth=1
	s_clause 0x1
	s_load_b128 s[16:19], s[2:3], 0x4
	s_load_b64 s[22:23], s[2:3], 0x14
	s_load_b256 s[8:15], s[0:1], 0xe4
	s_add_co_i32 s6, s6, -2
	s_wait_xcnt 0x0
	s_add_nc_u64 s[2:3], s[2:3], 24
	s_cmp_lg_u32 s6, 0
	s_add_nc_u64 s[0:1], s[0:1], 32
	s_wait_kmcnt 0x0
	v_mul_hi_u32 v16, s17, v15
	s_delay_alu instid0(VALU_DEP_1) | instskip(NEXT) | instid1(VALU_DEP_1)
	v_add_nc_u32_e32 v16, v15, v16
	v_lshrrev_b32_e32 v16, s18, v16
	s_delay_alu instid0(VALU_DEP_1) | instskip(SKIP_1) | instid1(VALU_DEP_1)
	v_mul_hi_u32 v17, s22, v16
	v_mul_lo_u32 v18, v16, s16
	v_dual_add_nc_u32 v17, v16, v17 :: v_dual_sub_nc_u32 v18, v15, v18
	s_delay_alu instid0(VALU_DEP_1) | instskip(NEXT) | instid1(VALU_DEP_2)
	v_lshrrev_b32_e32 v15, s23, v17
	v_mad_u32 v11, v18, s9, v11
	v_mad_u32 v0, v18, s8, v0
	;; [unrolled: 1-line block ×4, first 2 shown]
	v_mul_lo_u32 v17, v15, s19
	s_delay_alu instid0(VALU_DEP_1) | instskip(NEXT) | instid1(VALU_DEP_1)
	v_sub_nc_u32_e32 v16, v16, v17
	v_mad_u32 v11, v16, s13, v11
	v_mad_u32 v0, v16, s12, v0
	;; [unrolled: 1-line block ×4, first 2 shown]
	s_cbranch_scc1 .LBB141_81
; %bb.82:
	s_bitcmp1_b32 s5, 0
	s_cselect_b32 s5, -1, 0
	s_delay_alu instid0(SALU_CYCLE_1)
	s_and_b32 vcc_lo, exec_lo, s5
	s_cbranch_vccnz .LBB141_85
; %bb.83:
	s_load_b96 s[12:14], s[2:3], 0x4
	s_load_b128 s[8:11], s[0:1], 0xe4
	s_wait_kmcnt 0x0
	v_mul_hi_u32 v16, s13, v15
	s_delay_alu instid0(VALU_DEP_1) | instskip(NEXT) | instid1(VALU_DEP_1)
	v_add_nc_u32_e32 v16, v15, v16
	v_lshrrev_b32_e32 v16, s14, v16
	s_delay_alu instid0(VALU_DEP_1) | instskip(NEXT) | instid1(VALU_DEP_1)
	v_mul_lo_u32 v16, v16, s12
	v_sub_nc_u32_e32 v15, v15, v16
	s_delay_alu instid0(VALU_DEP_1)
	v_mad_u32 v0, v15, s8, v0
	v_mad_u32 v11, v15, s9, v11
	;; [unrolled: 1-line block ×4, first 2 shown]
	s_and_not1_b32 vcc_lo, exec_lo, s4
	s_cbranch_vccz .LBB141_86
	s_branch .LBB141_89
.LBB141_84:
	s_mov_b32 s4, -1
                                        ; implicit-def: $vgpr11
                                        ; implicit-def: $vgpr0
                                        ; implicit-def: $vgpr12
                                        ; implicit-def: $vgpr13
.LBB141_85:
	s_delay_alu instid0(SALU_CYCLE_1)
	s_and_not1_b32 vcc_lo, exec_lo, s4
	s_cbranch_vccnz .LBB141_89
.LBB141_86:
	s_clause 0x1
	s_load_b96 s[4:6], s[20:21], 0x4
	s_load_b128 s[0:3], s[20:21], 0xc4
	s_cmp_lt_u32 s33, 2
	s_wait_kmcnt 0x0
	v_mul_hi_u32 v0, s5, v14
	s_delay_alu instid0(VALU_DEP_1) | instskip(NEXT) | instid1(VALU_DEP_1)
	v_add_nc_u32_e32 v0, v14, v0
	v_lshrrev_b32_e32 v15, s6, v0
	s_delay_alu instid0(VALU_DEP_1) | instskip(NEXT) | instid1(VALU_DEP_1)
	v_mul_lo_u32 v0, v15, s4
	v_sub_nc_u32_e32 v13, v14, v0
	s_delay_alu instid0(VALU_DEP_1)
	v_mul_lo_u32 v11, v13, s1
	v_mul_lo_u32 v0, v13, s0
	;; [unrolled: 1-line block ×4, first 2 shown]
	s_cbranch_scc1 .LBB141_89
; %bb.87:
	s_clause 0x1
	s_load_b96 s[4:6], s[20:21], 0x10
	s_load_b128 s[0:3], s[20:21], 0xd4
	s_wait_kmcnt 0x0
	v_mul_hi_u32 v14, s5, v15
	s_delay_alu instid0(VALU_DEP_1) | instskip(NEXT) | instid1(VALU_DEP_1)
	v_add_nc_u32_e32 v14, v15, v14
	v_lshrrev_b32_e32 v14, s6, v14
	s_delay_alu instid0(VALU_DEP_1) | instskip(NEXT) | instid1(VALU_DEP_1)
	v_mul_lo_u32 v14, v14, s4
	v_sub_nc_u32_e32 v14, v15, v14
	s_delay_alu instid0(VALU_DEP_1)
	v_mad_u32 v0, v14, s0, v0
	v_mad_u32 v11, v14, s1, v11
	;; [unrolled: 1-line block ×4, first 2 shown]
	s_branch .LBB141_89
.LBB141_88:
	v_dual_mov_b32 v11, 0 :: v_dual_mov_b32 v0, 0
	v_dual_mov_b32 v12, 0 :: v_dual_mov_b32 v13, 0
	s_and_not1_b32 vcc_lo, exec_lo, s4
	s_cbranch_vccz .LBB141_86
.LBB141_89:
	v_cmp_ne_u32_e32 vcc_lo, 1, v10
	s_cbranch_vccnz .LBB141_95
; %bb.90:
	s_cmp_lg_u32 s33, 0
	s_mov_b32 s4, 0
	s_cbranch_scc0 .LBB141_99
; %bb.91:
	s_min_u32 s5, s34, 15
	v_dual_mov_b32 v16, 0 :: v_dual_mov_b32 v17, v5
	v_dual_mov_b32 v15, 0 :: v_dual_mov_b32 v10, 0
	v_mov_b32_e32 v14, 0
	s_add_co_i32 s2, s5, 1
	s_mov_b64 s[0:1], 0xffffffffffffffe0
	s_and_b32 s6, s2, 30
	s_add_nc_u64 s[0:1], s[20:21], s[0:1]
	s_mov_b64 s[2:3], s[20:21]
.LBB141_92:                             ; =>This Inner Loop Header: Depth=1
	s_clause 0x1
	s_load_b128 s[16:19], s[2:3], 0x4
	s_load_b64 s[22:23], s[2:3], 0x14
	s_load_b256 s[8:15], s[0:1], 0xe4
	s_add_co_i32 s6, s6, -2
	s_wait_xcnt 0x0
	s_add_nc_u64 s[2:3], s[2:3], 24
	s_cmp_lg_u32 s6, 0
	s_add_nc_u64 s[0:1], s[0:1], 32
	s_wait_kmcnt 0x0
	v_mul_hi_u32 v18, s17, v17
	s_delay_alu instid0(VALU_DEP_1) | instskip(NEXT) | instid1(VALU_DEP_1)
	v_add_nc_u32_e32 v18, v17, v18
	v_lshrrev_b32_e32 v18, s18, v18
	s_delay_alu instid0(VALU_DEP_1) | instskip(SKIP_1) | instid1(VALU_DEP_1)
	v_mul_hi_u32 v19, s22, v18
	v_mul_lo_u32 v20, v18, s16
	v_dual_add_nc_u32 v19, v18, v19 :: v_dual_sub_nc_u32 v20, v17, v20
	s_delay_alu instid0(VALU_DEP_1) | instskip(NEXT) | instid1(VALU_DEP_2)
	v_lshrrev_b32_e32 v17, s23, v19
	v_mad_u32 v14, v20, s9, v14
	v_mad_u32 v10, v20, s8, v10
	;; [unrolled: 1-line block ×4, first 2 shown]
	v_mul_lo_u32 v19, v17, s19
	s_delay_alu instid0(VALU_DEP_1) | instskip(NEXT) | instid1(VALU_DEP_1)
	v_sub_nc_u32_e32 v18, v18, v19
	v_mad_u32 v14, v18, s13, v14
	v_mad_u32 v10, v18, s12, v10
	;; [unrolled: 1-line block ×4, first 2 shown]
	s_cbranch_scc1 .LBB141_92
; %bb.93:
	s_bitcmp1_b32 s5, 0
	s_cselect_b32 s5, -1, 0
	s_delay_alu instid0(SALU_CYCLE_1)
	s_and_b32 vcc_lo, exec_lo, s5
	s_cbranch_vccnz .LBB141_96
; %bb.94:
	s_load_b96 s[12:14], s[2:3], 0x4
	s_load_b128 s[8:11], s[0:1], 0xe4
	s_wait_kmcnt 0x0
	v_mul_hi_u32 v18, s13, v17
	s_delay_alu instid0(VALU_DEP_1) | instskip(NEXT) | instid1(VALU_DEP_1)
	v_add_nc_u32_e32 v18, v17, v18
	v_lshrrev_b32_e32 v18, s14, v18
	s_delay_alu instid0(VALU_DEP_1) | instskip(NEXT) | instid1(VALU_DEP_1)
	v_mul_lo_u32 v18, v18, s12
	v_sub_nc_u32_e32 v17, v17, v18
	s_delay_alu instid0(VALU_DEP_1)
	v_mad_u32 v10, v17, s8, v10
	v_mad_u32 v14, v17, s9, v14
	v_mad_u32 v16, v17, s10, v16
	v_mad_u32 v15, v17, s11, v15
	s_and_not1_b32 vcc_lo, exec_lo, s4
	s_cbranch_vccz .LBB141_97
	s_branch .LBB141_100
.LBB141_95:
	s_mov_b32 s4, -1
                                        ; implicit-def: $vgpr14
                                        ; implicit-def: $vgpr10
                                        ; implicit-def: $vgpr15
                                        ; implicit-def: $vgpr16
.LBB141_96:
	s_delay_alu instid0(SALU_CYCLE_1)
	s_and_not1_b32 vcc_lo, exec_lo, s4
	s_cbranch_vccnz .LBB141_100
.LBB141_97:
	s_clause 0x1
	s_load_b96 s[4:6], s[20:21], 0x4
	s_load_b128 s[0:3], s[20:21], 0xc4
	s_cmp_lt_u32 s33, 2
	s_wait_kmcnt 0x0
	v_mul_hi_u32 v10, s5, v5
	s_delay_alu instid0(VALU_DEP_1) | instskip(NEXT) | instid1(VALU_DEP_1)
	v_add_nc_u32_e32 v10, v5, v10
	v_lshrrev_b32_e32 v17, s6, v10
	s_delay_alu instid0(VALU_DEP_1) | instskip(NEXT) | instid1(VALU_DEP_1)
	v_mul_lo_u32 v10, v17, s4
	v_sub_nc_u32_e32 v5, v5, v10
	s_delay_alu instid0(VALU_DEP_1)
	v_mul_lo_u32 v14, v5, s1
	v_mul_lo_u32 v10, v5, s0
	;; [unrolled: 1-line block ×4, first 2 shown]
	s_cbranch_scc1 .LBB141_100
; %bb.98:
	s_clause 0x1
	s_load_b96 s[4:6], s[20:21], 0x10
	s_load_b128 s[0:3], s[20:21], 0xd4
	s_wait_kmcnt 0x0
	v_mul_hi_u32 v5, s5, v17
	s_delay_alu instid0(VALU_DEP_1) | instskip(NEXT) | instid1(VALU_DEP_1)
	v_add_nc_u32_e32 v5, v17, v5
	v_lshrrev_b32_e32 v5, s6, v5
	s_delay_alu instid0(VALU_DEP_1) | instskip(NEXT) | instid1(VALU_DEP_1)
	v_mul_lo_u32 v5, v5, s4
	v_sub_nc_u32_e32 v5, v17, v5
	s_delay_alu instid0(VALU_DEP_1)
	v_mad_u32 v10, v5, s0, v10
	v_mad_u32 v14, v5, s1, v14
	;; [unrolled: 1-line block ×4, first 2 shown]
	s_branch .LBB141_100
.LBB141_99:
	v_dual_mov_b32 v14, 0 :: v_dual_mov_b32 v10, 0
	v_dual_mov_b32 v15, 0 :: v_dual_mov_b32 v16, 0
	s_and_not1_b32 vcc_lo, exec_lo, s4
	s_cbranch_vccz .LBB141_97
.LBB141_100:
	s_load_b256 s[4:11], s[20:21], 0x1c8
	s_wait_kmcnt 0x0
	global_load_b64 v[18:19], v2, s[8:9]
	global_load_b64 v[20:21], v3, s[6:7]
	;; [unrolled: 1-line block ×8, first 2 shown]
	s_clause 0x3
	global_load_b64 v[34:35], v4, s[10:11]
	global_load_b64 v[36:37], v8, s[10:11]
	global_load_b64 v[38:39], v12, s[10:11]
	global_load_b64 v[40:41], v15, s[10:11]
	s_wait_loadcnt 0x4
	v_max_num_f64_e32 v[44:45], v[32:33], v[32:33]
	s_wait_loadcnt 0x3
	v_cmp_u_f64_e32 vcc_lo, v[34:35], v[34:35]
	s_wait_xcnt 0x3
	v_max_num_f64_e32 v[4:5], v[20:21], v[20:21]
	s_wait_loadcnt 0x2
	v_cmp_u_f64_e64 s0, v[36:37], v[36:37]
	v_max_num_f64_e32 v[2:3], v[18:19], v[18:19]
	v_max_num_f64_e32 v[46:47], v[34:35], v[34:35]
	s_wait_xcnt 0x2
	v_max_num_f64_e32 v[8:9], v[22:23], v[22:23]
	s_wait_loadcnt 0x0
	v_cmp_u_f64_e64 s2, v[40:41], v[40:41]
	s_wait_xcnt 0x0
	v_max_num_f64_e32 v[14:15], v[26:27], v[26:27]
	v_max_num_f64_e32 v[42:43], v[30:31], v[30:31]
	v_cmp_u_f64_e64 s1, v[38:39], v[38:39]
	v_max_num_f64_e32 v[2:3], v[4:5], v[2:3]
	s_delay_alu instid0(VALU_DEP_1) | instskip(NEXT) | instid1(VALU_DEP_1)
	v_min_num_f64_e32 v[2:3], v[2:3], v[46:47]
	v_dual_max_num_f64 v[12:13], v[24:25], v[24:25] :: v_dual_cndmask_b32 v2, v2, v34, vcc_lo
	s_delay_alu instid0(VALU_DEP_1) | instskip(SKIP_2) | instid1(VALU_DEP_4)
	v_dual_max_num_f64 v[8:9], v[12:13], v[8:9] :: v_dual_cndmask_b32 v3, v3, v35, vcc_lo
	v_cmp_u_f64_e32 vcc_lo, v[18:19], v[18:19]
	v_max_num_f64_e32 v[4:5], v[36:37], v[36:37]
	v_dual_max_num_f64 v[16:17], v[28:29], v[28:29] :: v_dual_cndmask_b32 v2, v2, v18, vcc_lo
	s_delay_alu instid0(VALU_DEP_2) | instskip(SKIP_1) | instid1(VALU_DEP_3)
	v_dual_min_num_f64 v[4:5], v[8:9], v[4:5] :: v_dual_cndmask_b32 v3, v3, v19, vcc_lo
	v_cmp_u_f64_e32 vcc_lo, v[20:21], v[20:21]
	v_max_num_f64_e32 v[14:15], v[16:17], v[14:15]
	v_max_num_f64_e32 v[16:17], v[40:41], v[40:41]
	;; [unrolled: 1-line block ×3, first 2 shown]
	v_dual_cndmask_b32 v5, v5, v37, s0 :: v_dual_cndmask_b32 v4, v4, v36, s0
	v_cmp_u_f64_e64 s0, v[22:23], v[22:23]
	v_dual_cndmask_b32 v3, v3, v21 :: v_dual_cndmask_b32 v2, v2, v20
	s_delay_alu instid0(VALU_DEP_2) | instskip(SKIP_1) | instid1(VALU_DEP_1)
	v_dual_cndmask_b32 v4, v4, v22, s0 :: v_dual_cndmask_b32 v5, v5, v23, s0
	v_cmp_u_f64_e64 s0, v[24:25], v[24:25]
	v_dual_max_num_f64 v[12:13], v[38:39], v[38:39] :: v_dual_cndmask_b32 v4, v4, v24, s0
	s_delay_alu instid0(VALU_DEP_1) | instskip(SKIP_2) | instid1(VALU_DEP_3)
	v_min_num_f64_e32 v[8:9], v[14:15], v[12:13]
	v_min_num_f64_e32 v[12:13], v[42:43], v[16:17]
	v_cndmask_b32_e64 v5, v5, v25, s0
	v_cndmask_b32_e64 v7, v9, v39, s1
	s_delay_alu instid0(VALU_DEP_3) | instskip(SKIP_3) | instid1(VALU_DEP_3)
	v_dual_cndmask_b32 v9, v13, v41, s2 :: v_dual_cndmask_b32 v11, v12, v40, s2
	v_cmp_u_f64_e64 s2, v[30:31], v[30:31]
	v_cndmask_b32_e64 v8, v8, v38, s1
	v_cmp_u_f64_e64 s1, v[26:27], v[26:27]
	v_dual_cndmask_b32 v11, v11, v30, s2 :: v_dual_cndmask_b32 v12, v9, v31, s2
	s_delay_alu instid0(VALU_DEP_2) | instskip(SKIP_3) | instid1(VALU_DEP_3)
	v_cndmask_b32_e64 v7, v7, v27, s1
	v_cmp_u_f64_e64 s2, v[32:33], v[32:33]
	v_cndmask_b32_e64 v8, v8, v26, s1
	v_cmp_u_f64_e64 s1, v[28:29], v[28:29]
	v_dual_cndmask_b32 v13, v12, v33, s2 :: v_dual_cndmask_b32 v12, v11, v32, s2
	s_delay_alu instid0(VALU_DEP_2)
	v_dual_cndmask_b32 v9, v7, v29, s1 :: v_dual_cndmask_b32 v8, v8, v28, s1
	s_clause 0x3
	global_store_b64 v1, v[2:3], s[4:5]
	global_store_b64 v6, v[4:5], s[4:5]
	;; [unrolled: 1-line block ×4, first 2 shown]
	s_endpgm
	.section	.rodata,"a",@progbits
	.p2align	6, 0x0
	.amdhsa_kernel _ZN2at6native32elementwise_kernel_manual_unrollILi128ELi4EZNS0_22gpu_kernel_impl_nocastIZZZNS0_12_GLOBAL__N_117clamp_kernel_implERNS_18TensorIteratorBaseEENKUlvE_clEvENKUlvE4_clEvEUldddE_EEvS5_RKT_EUlibE_EEviT1_
		.amdhsa_group_segment_fixed_size 0
		.amdhsa_private_segment_fixed_size 0
		.amdhsa_kernarg_size 504
		.amdhsa_user_sgpr_count 2
		.amdhsa_user_sgpr_dispatch_ptr 0
		.amdhsa_user_sgpr_queue_ptr 0
		.amdhsa_user_sgpr_kernarg_segment_ptr 1
		.amdhsa_user_sgpr_dispatch_id 0
		.amdhsa_user_sgpr_kernarg_preload_length 0
		.amdhsa_user_sgpr_kernarg_preload_offset 0
		.amdhsa_user_sgpr_private_segment_size 0
		.amdhsa_wavefront_size32 1
		.amdhsa_uses_dynamic_stack 0
		.amdhsa_enable_private_segment 0
		.amdhsa_system_sgpr_workgroup_id_x 1
		.amdhsa_system_sgpr_workgroup_id_y 0
		.amdhsa_system_sgpr_workgroup_id_z 0
		.amdhsa_system_sgpr_workgroup_info 0
		.amdhsa_system_vgpr_workitem_id 0
		.amdhsa_next_free_vgpr 48
		.amdhsa_next_free_sgpr 56
		.amdhsa_named_barrier_count 0
		.amdhsa_reserve_vcc 1
		.amdhsa_float_round_mode_32 0
		.amdhsa_float_round_mode_16_64 0
		.amdhsa_float_denorm_mode_32 3
		.amdhsa_float_denorm_mode_16_64 3
		.amdhsa_fp16_overflow 0
		.amdhsa_memory_ordered 1
		.amdhsa_forward_progress 1
		.amdhsa_inst_pref_size 50
		.amdhsa_round_robin_scheduling 0
		.amdhsa_exception_fp_ieee_invalid_op 0
		.amdhsa_exception_fp_denorm_src 0
		.amdhsa_exception_fp_ieee_div_zero 0
		.amdhsa_exception_fp_ieee_overflow 0
		.amdhsa_exception_fp_ieee_underflow 0
		.amdhsa_exception_fp_ieee_inexact 0
		.amdhsa_exception_int_div_zero 0
	.end_amdhsa_kernel
	.section	.text._ZN2at6native32elementwise_kernel_manual_unrollILi128ELi4EZNS0_22gpu_kernel_impl_nocastIZZZNS0_12_GLOBAL__N_117clamp_kernel_implERNS_18TensorIteratorBaseEENKUlvE_clEvENKUlvE4_clEvEUldddE_EEvS5_RKT_EUlibE_EEviT1_,"axG",@progbits,_ZN2at6native32elementwise_kernel_manual_unrollILi128ELi4EZNS0_22gpu_kernel_impl_nocastIZZZNS0_12_GLOBAL__N_117clamp_kernel_implERNS_18TensorIteratorBaseEENKUlvE_clEvENKUlvE4_clEvEUldddE_EEvS5_RKT_EUlibE_EEviT1_,comdat
.Lfunc_end141:
	.size	_ZN2at6native32elementwise_kernel_manual_unrollILi128ELi4EZNS0_22gpu_kernel_impl_nocastIZZZNS0_12_GLOBAL__N_117clamp_kernel_implERNS_18TensorIteratorBaseEENKUlvE_clEvENKUlvE4_clEvEUldddE_EEvS5_RKT_EUlibE_EEviT1_, .Lfunc_end141-_ZN2at6native32elementwise_kernel_manual_unrollILi128ELi4EZNS0_22gpu_kernel_impl_nocastIZZZNS0_12_GLOBAL__N_117clamp_kernel_implERNS_18TensorIteratorBaseEENKUlvE_clEvENKUlvE4_clEvEUldddE_EEvS5_RKT_EUlibE_EEviT1_
                                        ; -- End function
	.set _ZN2at6native32elementwise_kernel_manual_unrollILi128ELi4EZNS0_22gpu_kernel_impl_nocastIZZZNS0_12_GLOBAL__N_117clamp_kernel_implERNS_18TensorIteratorBaseEENKUlvE_clEvENKUlvE4_clEvEUldddE_EEvS5_RKT_EUlibE_EEviT1_.num_vgpr, 48
	.set _ZN2at6native32elementwise_kernel_manual_unrollILi128ELi4EZNS0_22gpu_kernel_impl_nocastIZZZNS0_12_GLOBAL__N_117clamp_kernel_implERNS_18TensorIteratorBaseEENKUlvE_clEvENKUlvE4_clEvEUldddE_EEvS5_RKT_EUlibE_EEviT1_.num_agpr, 0
	.set _ZN2at6native32elementwise_kernel_manual_unrollILi128ELi4EZNS0_22gpu_kernel_impl_nocastIZZZNS0_12_GLOBAL__N_117clamp_kernel_implERNS_18TensorIteratorBaseEENKUlvE_clEvENKUlvE4_clEvEUldddE_EEvS5_RKT_EUlibE_EEviT1_.numbered_sgpr, 56
	.set _ZN2at6native32elementwise_kernel_manual_unrollILi128ELi4EZNS0_22gpu_kernel_impl_nocastIZZZNS0_12_GLOBAL__N_117clamp_kernel_implERNS_18TensorIteratorBaseEENKUlvE_clEvENKUlvE4_clEvEUldddE_EEvS5_RKT_EUlibE_EEviT1_.num_named_barrier, 0
	.set _ZN2at6native32elementwise_kernel_manual_unrollILi128ELi4EZNS0_22gpu_kernel_impl_nocastIZZZNS0_12_GLOBAL__N_117clamp_kernel_implERNS_18TensorIteratorBaseEENKUlvE_clEvENKUlvE4_clEvEUldddE_EEvS5_RKT_EUlibE_EEviT1_.private_seg_size, 0
	.set _ZN2at6native32elementwise_kernel_manual_unrollILi128ELi4EZNS0_22gpu_kernel_impl_nocastIZZZNS0_12_GLOBAL__N_117clamp_kernel_implERNS_18TensorIteratorBaseEENKUlvE_clEvENKUlvE4_clEvEUldddE_EEvS5_RKT_EUlibE_EEviT1_.uses_vcc, 1
	.set _ZN2at6native32elementwise_kernel_manual_unrollILi128ELi4EZNS0_22gpu_kernel_impl_nocastIZZZNS0_12_GLOBAL__N_117clamp_kernel_implERNS_18TensorIteratorBaseEENKUlvE_clEvENKUlvE4_clEvEUldddE_EEvS5_RKT_EUlibE_EEviT1_.uses_flat_scratch, 0
	.set _ZN2at6native32elementwise_kernel_manual_unrollILi128ELi4EZNS0_22gpu_kernel_impl_nocastIZZZNS0_12_GLOBAL__N_117clamp_kernel_implERNS_18TensorIteratorBaseEENKUlvE_clEvENKUlvE4_clEvEUldddE_EEvS5_RKT_EUlibE_EEviT1_.has_dyn_sized_stack, 0
	.set _ZN2at6native32elementwise_kernel_manual_unrollILi128ELi4EZNS0_22gpu_kernel_impl_nocastIZZZNS0_12_GLOBAL__N_117clamp_kernel_implERNS_18TensorIteratorBaseEENKUlvE_clEvENKUlvE4_clEvEUldddE_EEvS5_RKT_EUlibE_EEviT1_.has_recursion, 0
	.set _ZN2at6native32elementwise_kernel_manual_unrollILi128ELi4EZNS0_22gpu_kernel_impl_nocastIZZZNS0_12_GLOBAL__N_117clamp_kernel_implERNS_18TensorIteratorBaseEENKUlvE_clEvENKUlvE4_clEvEUldddE_EEvS5_RKT_EUlibE_EEviT1_.has_indirect_call, 0
	.section	.AMDGPU.csdata,"",@progbits
; Kernel info:
; codeLenInByte = 6320
; TotalNumSgprs: 58
; NumVgprs: 48
; ScratchSize: 0
; MemoryBound: 0
; FloatMode: 240
; IeeeMode: 1
; LDSByteSize: 0 bytes/workgroup (compile time only)
; SGPRBlocks: 0
; VGPRBlocks: 2
; NumSGPRsForWavesPerEU: 58
; NumVGPRsForWavesPerEU: 48
; NamedBarCnt: 0
; Occupancy: 16
; WaveLimiterHint : 1
; COMPUTE_PGM_RSRC2:SCRATCH_EN: 0
; COMPUTE_PGM_RSRC2:USER_SGPR: 2
; COMPUTE_PGM_RSRC2:TRAP_HANDLER: 0
; COMPUTE_PGM_RSRC2:TGID_X_EN: 1
; COMPUTE_PGM_RSRC2:TGID_Y_EN: 0
; COMPUTE_PGM_RSRC2:TGID_Z_EN: 0
; COMPUTE_PGM_RSRC2:TIDIG_COMP_CNT: 0
	.section	.text._ZN2at6native32elementwise_kernel_manual_unrollILi128ELi4EZNS0_15gpu_kernel_implIZZZNS0_12_GLOBAL__N_117clamp_kernel_implERNS_18TensorIteratorBaseEENKUlvE_clEvENKUlvE4_clEvEUldddE_EEvS5_RKT_EUlibE_EEviT1_,"axG",@progbits,_ZN2at6native32elementwise_kernel_manual_unrollILi128ELi4EZNS0_15gpu_kernel_implIZZZNS0_12_GLOBAL__N_117clamp_kernel_implERNS_18TensorIteratorBaseEENKUlvE_clEvENKUlvE4_clEvEUldddE_EEvS5_RKT_EUlibE_EEviT1_,comdat
	.globl	_ZN2at6native32elementwise_kernel_manual_unrollILi128ELi4EZNS0_15gpu_kernel_implIZZZNS0_12_GLOBAL__N_117clamp_kernel_implERNS_18TensorIteratorBaseEENKUlvE_clEvENKUlvE4_clEvEUldddE_EEvS5_RKT_EUlibE_EEviT1_ ; -- Begin function _ZN2at6native32elementwise_kernel_manual_unrollILi128ELi4EZNS0_15gpu_kernel_implIZZZNS0_12_GLOBAL__N_117clamp_kernel_implERNS_18TensorIteratorBaseEENKUlvE_clEvENKUlvE4_clEvEUldddE_EEvS5_RKT_EUlibE_EEviT1_
	.p2align	8
	.type	_ZN2at6native32elementwise_kernel_manual_unrollILi128ELi4EZNS0_15gpu_kernel_implIZZZNS0_12_GLOBAL__N_117clamp_kernel_implERNS_18TensorIteratorBaseEENKUlvE_clEvENKUlvE4_clEvEUldddE_EEvS5_RKT_EUlibE_EEviT1_,@function
_ZN2at6native32elementwise_kernel_manual_unrollILi128ELi4EZNS0_15gpu_kernel_implIZZZNS0_12_GLOBAL__N_117clamp_kernel_implERNS_18TensorIteratorBaseEENKUlvE_clEvENKUlvE4_clEvEUldddE_EEvS5_RKT_EUlibE_EEviT1_: ; @_ZN2at6native32elementwise_kernel_manual_unrollILi128ELi4EZNS0_15gpu_kernel_implIZZZNS0_12_GLOBAL__N_117clamp_kernel_implERNS_18TensorIteratorBaseEENKUlvE_clEvENKUlvE4_clEvEUldddE_EEvS5_RKT_EUlibE_EEviT1_
; %bb.0:
	v_mov_b32_e32 v1, 0
	s_bfe_u32 s3, ttmp6, 0x4000c
	s_clause 0x1
	s_load_b128 s[12:15], s[0:1], 0x28
	s_load_b256 s[4:11], s[0:1], 0x8
	s_add_co_i32 s3, s3, 1
	global_load_b32 v1, v1, s[0:1] offset:57
	s_load_b32 s20, s[0:1], 0x0
	s_and_b32 s16, ttmp6, 15
	s_wait_xcnt 0x0
	s_mul_i32 s0, ttmp9, s3
	s_getreg_b32 s18, hwreg(HW_REG_IB_STS2, 6, 4)
	s_add_co_i32 s16, s16, s0
	s_mov_b32 s19, 0
	s_wait_loadcnt 0x0
	v_readfirstlane_b32 s2, v1
	s_lshr_b32 s3, s2, 16
	s_lshr_b32 s17, s2, 8
	;; [unrolled: 1-line block ×3, first 2 shown]
	s_cmp_eq_u32 s18, 0
	s_cselect_b32 s0, ttmp9, s16
	s_mov_b32 s16, 0
	v_lshl_or_b32 v26, s0, 9, v0
	s_mov_b32 s0, exec_lo
	s_delay_alu instid0(VALU_DEP_1) | instskip(SKIP_1) | instid1(VALU_DEP_1)
	v_or_b32_e32 v0, 0x180, v26
	s_wait_kmcnt 0x0
	v_cmpx_le_i32_e64 s20, v0
	s_xor_b32 s18, exec_lo, s0
	s_cbranch_execz .LBB142_2063
; %bb.1:
	s_mov_b32 s28, -1
	s_mov_b32 s25, 0
	s_mov_b32 s23, 0
	;; [unrolled: 1-line block ×4, first 2 shown]
	s_mov_b32 s24, exec_lo
	v_cmpx_gt_i32_e64 s20, v26
	s_cbranch_execz .LBB142_512
; %bb.2:
	v_mul_lo_u32 v0, v26, s13
	s_and_b32 s0, s17, 0xff
	s_delay_alu instid0(SALU_CYCLE_1) | instskip(NEXT) | instid1(VALU_DEP_1)
	s_cmp_lt_i32 s0, 11
	v_ashrrev_i32_e32 v1, 31, v0
	s_delay_alu instid0(VALU_DEP_1)
	v_add_nc_u64_e32 v[2:3], s[6:7], v[0:1]
	s_cbranch_scc1 .LBB142_9
; %bb.3:
	s_and_b32 s19, 0xffff, s0
	s_delay_alu instid0(SALU_CYCLE_1)
	s_cmp_gt_i32 s19, 25
	s_cbranch_scc0 .LBB142_18
; %bb.4:
	s_cmp_gt_i32 s19, 28
	s_cbranch_scc0 .LBB142_28
; %bb.5:
	;; [unrolled: 3-line block ×4, first 2 shown]
	s_cmp_eq_u32 s19, 46
	s_cbranch_scc0 .LBB142_37
; %bb.8:
	global_load_b32 v0, v[2:3], off
	s_mov_b32 s21, -1
	s_wait_loadcnt 0x0
	v_lshlrev_b32_e32 v0, 16, v0
	s_delay_alu instid0(VALU_DEP_1)
	v_cvt_f64_f32_e32 v[0:1], v0
	s_branch .LBB142_39
.LBB142_9:
                                        ; implicit-def: $vgpr0_vgpr1
	s_cbranch_execnz .LBB142_105
.LBB142_10:
	s_and_not1_b32 vcc_lo, exec_lo, s21
	s_cbranch_vccnz .LBB142_152
.LBB142_11:
	s_wait_xcnt 0x0
	v_mul_lo_u32 v2, v26, s14
	s_and_b32 s0, s3, 0xff
	s_delay_alu instid0(SALU_CYCLE_1) | instskip(NEXT) | instid1(VALU_DEP_1)
	s_cmp_lt_i32 s0, 11
	v_ashrrev_i32_e32 v3, 31, v2
	s_delay_alu instid0(VALU_DEP_1)
	v_add_nc_u64_e32 v[4:5], s[8:9], v[2:3]
	s_cbranch_scc1 .LBB142_19
; %bb.12:
	s_and_b32 s19, 0xffff, s0
	s_delay_alu instid0(SALU_CYCLE_1)
	s_cmp_gt_i32 s19, 25
	s_cbranch_scc0 .LBB142_29
; %bb.13:
	s_cmp_gt_i32 s19, 28
	s_cbranch_scc0 .LBB142_32
; %bb.14:
	;; [unrolled: 3-line block ×4, first 2 shown]
	s_cmp_eq_u32 s19, 46
	s_mov_b32 s26, 0
	s_cbranch_scc0 .LBB142_153
; %bb.17:
	global_load_b32 v2, v[4:5], off
	s_mov_b32 s21, -1
	s_mov_b32 s22, 0
	s_wait_loadcnt 0x0
	v_lshlrev_b32_e32 v2, 16, v2
	s_delay_alu instid0(VALU_DEP_1)
	v_cvt_f64_f32_e32 v[2:3], v2
	s_branch .LBB142_155
.LBB142_18:
                                        ; implicit-def: $vgpr0_vgpr1
	s_cbranch_execnz .LBB142_70
	s_branch .LBB142_104
.LBB142_19:
	s_mov_b32 s22, 0
	s_mov_b32 s21, 0
                                        ; implicit-def: $vgpr2_vgpr3
	s_cbranch_execnz .LBB142_221
.LBB142_20:
	s_and_not1_b32 vcc_lo, exec_lo, s21
	s_cbranch_vccnz .LBB142_269
.LBB142_21:
	s_wait_xcnt 0x0
	v_mul_lo_u32 v4, v26, s15
	s_and_b32 s0, 0xffff, s1
	s_delay_alu instid0(SALU_CYCLE_1) | instskip(NEXT) | instid1(VALU_DEP_1)
	s_cmp_lt_i32 s0, 11
	v_ashrrev_i32_e32 v5, 31, v4
	s_delay_alu instid0(VALU_DEP_1)
	v_add_nc_u64_e32 v[4:5], s[10:11], v[4:5]
	s_cbranch_scc1 .LBB142_30
; %bb.22:
	s_cmp_gt_i32 s0, 25
	s_cbranch_scc0 .LBB142_33
; %bb.23:
	s_cmp_gt_i32 s0, 28
	s_cbranch_scc0 .LBB142_36
	;; [unrolled: 3-line block ×4, first 2 shown]
; %bb.26:
	s_cmp_eq_u32 s0, 46
	s_mov_b32 s26, 0
	s_cbranch_scc0 .LBB142_270
; %bb.27:
	global_load_b32 v6, v[4:5], off
	s_mov_b32 s19, -1
	s_mov_b32 s21, 0
	s_wait_loadcnt 0x0
	v_lshlrev_b32_e32 v6, 16, v6
	s_delay_alu instid0(VALU_DEP_1)
	v_cvt_f64_f32_e32 v[6:7], v6
	s_branch .LBB142_272
.LBB142_28:
	s_mov_b32 s22, -1
                                        ; implicit-def: $vgpr0_vgpr1
	s_branch .LBB142_51
.LBB142_29:
	s_mov_b32 s26, -1
	s_mov_b32 s22, 0
	s_mov_b32 s21, 0
                                        ; implicit-def: $vgpr2_vgpr3
	s_branch .LBB142_185
.LBB142_30:
	s_mov_b32 s26, -1
	s_mov_b32 s21, 0
	s_mov_b32 s19, 0
                                        ; implicit-def: $vgpr6_vgpr7
	s_branch .LBB142_337
.LBB142_31:
	s_mov_b32 s22, -1
                                        ; implicit-def: $vgpr0_vgpr1
	s_branch .LBB142_46
.LBB142_32:
	s_mov_b32 s26, -1
	s_mov_b32 s22, 0
	s_mov_b32 s21, 0
                                        ; implicit-def: $vgpr2_vgpr3
	s_branch .LBB142_166
.LBB142_33:
	s_mov_b32 s26, -1
	s_mov_b32 s21, 0
	s_mov_b32 s19, 0
                                        ; implicit-def: $vgpr6_vgpr7
	s_branch .LBB142_301
.LBB142_34:
	s_mov_b32 s22, -1
	s_branch .LBB142_38
.LBB142_35:
	s_mov_b32 s26, -1
	s_mov_b32 s22, 0
	s_mov_b32 s21, 0
                                        ; implicit-def: $vgpr2_vgpr3
	s_branch .LBB142_161
.LBB142_36:
	s_mov_b32 s26, -1
	s_mov_b32 s21, 0
	s_mov_b32 s19, 0
                                        ; implicit-def: $vgpr6_vgpr7
	s_branch .LBB142_282
.LBB142_37:
	s_mov_b32 s23, -1
.LBB142_38:
                                        ; implicit-def: $vgpr0_vgpr1
.LBB142_39:
	s_and_b32 vcc_lo, exec_lo, s22
	s_cbranch_vccz .LBB142_45
; %bb.40:
	s_cmp_eq_u32 s19, 44
	s_cbranch_scc0 .LBB142_44
; %bb.41:
	global_load_u8 v4, v[2:3], off
	s_mov_b32 s23, 0
	s_mov_b32 s21, -1
	s_wait_loadcnt 0x0
	v_cmp_ne_u32_e32 vcc_lo, 0xff, v4
	v_lshlrev_b32_e32 v0, 23, v4
	s_delay_alu instid0(VALU_DEP_1) | instskip(NEXT) | instid1(VALU_DEP_1)
	v_cvt_f64_f32_e32 v[0:1], v0
	v_cndmask_b32_e32 v0, 0x20000000, v0, vcc_lo
	s_delay_alu instid0(VALU_DEP_2) | instskip(SKIP_1) | instid1(VALU_DEP_2)
	v_cndmask_b32_e32 v1, 0x7ff80000, v1, vcc_lo
	v_cmp_ne_u32_e32 vcc_lo, 0, v4
	v_cndmask_b32_e32 v1, 0x38000000, v1, vcc_lo
	s_delay_alu instid0(VALU_DEP_4)
	v_cndmask_b32_e32 v0, 0, v0, vcc_lo
	s_branch .LBB142_45
.LBB142_42:
	s_mov_b32 s26, -1
	s_mov_b32 s22, 0
	s_branch .LBB142_154
.LBB142_43:
	s_mov_b32 s26, -1
	s_mov_b32 s21, 0
	s_mov_b32 s19, 0
                                        ; implicit-def: $vgpr6_vgpr7
	s_branch .LBB142_277
.LBB142_44:
	s_mov_b32 s23, -1
                                        ; implicit-def: $vgpr0_vgpr1
.LBB142_45:
	s_mov_b32 s22, 0
.LBB142_46:
	s_delay_alu instid0(SALU_CYCLE_1)
	s_and_b32 vcc_lo, exec_lo, s22
	s_cbranch_vccz .LBB142_50
; %bb.47:
	s_cmp_eq_u32 s19, 29
	s_cbranch_scc0 .LBB142_49
; %bb.48:
	global_load_b64 v[0:1], v[2:3], off
	s_mov_b32 s21, -1
	s_mov_b32 s23, 0
	s_mov_b32 s22, 0
	s_wait_loadcnt 0x0
	v_cvt_f64_u32_e32 v[4:5], v1
	v_cvt_f64_u32_e32 v[0:1], v0
	s_delay_alu instid0(VALU_DEP_2) | instskip(NEXT) | instid1(VALU_DEP_1)
	v_ldexp_f64 v[4:5], v[4:5], 32
	v_add_f64_e32 v[0:1], v[4:5], v[0:1]
	s_branch .LBB142_51
.LBB142_49:
	s_mov_b32 s23, -1
                                        ; implicit-def: $vgpr0_vgpr1
.LBB142_50:
	s_mov_b32 s22, 0
.LBB142_51:
	s_delay_alu instid0(SALU_CYCLE_1)
	s_and_b32 vcc_lo, exec_lo, s22
	s_cbranch_vccz .LBB142_69
; %bb.52:
	s_cmp_lt_i32 s19, 27
	s_cbranch_scc1 .LBB142_55
; %bb.53:
	s_cmp_gt_i32 s19, 27
	s_cbranch_scc0 .LBB142_56
; %bb.54:
	global_load_b32 v0, v[2:3], off
	s_mov_b32 s21, 0
	s_wait_loadcnt 0x0
	v_cvt_f64_u32_e32 v[0:1], v0
	s_branch .LBB142_57
.LBB142_55:
	s_mov_b32 s21, -1
                                        ; implicit-def: $vgpr0_vgpr1
	s_branch .LBB142_60
.LBB142_56:
	s_mov_b32 s21, -1
                                        ; implicit-def: $vgpr0_vgpr1
.LBB142_57:
	s_delay_alu instid0(SALU_CYCLE_1)
	s_and_not1_b32 vcc_lo, exec_lo, s21
	s_cbranch_vccnz .LBB142_59
; %bb.58:
	global_load_u16 v0, v[2:3], off
	s_wait_loadcnt 0x0
	v_cvt_f64_u32_e32 v[0:1], v0
.LBB142_59:
	s_mov_b32 s21, 0
.LBB142_60:
	s_delay_alu instid0(SALU_CYCLE_1)
	s_and_not1_b32 vcc_lo, exec_lo, s21
	s_cbranch_vccnz .LBB142_68
; %bb.61:
	global_load_u8 v4, v[2:3], off
	s_mov_b32 s21, 0
	s_mov_b32 s22, exec_lo
	s_wait_loadcnt 0x0
	v_cmpx_lt_i16_e32 0x7f, v4
	s_xor_b32 s22, exec_lo, s22
	s_cbranch_execz .LBB142_81
; %bb.62:
	s_mov_b32 s21, -1
	s_mov_b32 s26, exec_lo
	v_cmpx_eq_u16_e32 0x80, v4
; %bb.63:
	s_xor_b32 s21, exec_lo, -1
; %bb.64:
	s_or_b32 exec_lo, exec_lo, s26
	s_delay_alu instid0(SALU_CYCLE_1)
	s_and_b32 s21, s21, exec_lo
	s_or_saveexec_b32 s22, s22
	v_mov_b64_e32 v[0:1], 0x7ff8000020000000
	s_xor_b32 exec_lo, exec_lo, s22
	s_cbranch_execnz .LBB142_82
.LBB142_65:
	s_or_b32 exec_lo, exec_lo, s22
	s_and_saveexec_b32 s22, s21
	s_cbranch_execz .LBB142_67
.LBB142_66:
	v_and_b32_e32 v0, 0xffff, v4
	s_delay_alu instid0(VALU_DEP_1) | instskip(SKIP_1) | instid1(VALU_DEP_2)
	v_and_b32_e32 v1, 7, v0
	v_bfe_u32 v7, v0, 3, 4
	v_clz_i32_u32_e32 v5, v1
	s_delay_alu instid0(VALU_DEP_2) | instskip(NEXT) | instid1(VALU_DEP_2)
	v_cmp_eq_u32_e32 vcc_lo, 0, v7
	v_min_u32_e32 v5, 32, v5
	s_delay_alu instid0(VALU_DEP_1) | instskip(NEXT) | instid1(VALU_DEP_1)
	v_subrev_nc_u32_e32 v6, 28, v5
	v_dual_lshlrev_b32 v0, v6, v0 :: v_dual_sub_nc_u32 v5, 29, v5
	s_delay_alu instid0(VALU_DEP_1) | instskip(NEXT) | instid1(VALU_DEP_2)
	v_and_b32_e32 v0, 7, v0
	v_dual_cndmask_b32 v5, v7, v5 :: v_dual_lshlrev_b32 v4, 24, v4
	s_delay_alu instid0(VALU_DEP_2) | instskip(NEXT) | instid1(VALU_DEP_2)
	v_cndmask_b32_e32 v0, v1, v0, vcc_lo
	v_and_b32_e32 v1, 0x80000000, v4
	s_delay_alu instid0(VALU_DEP_3) | instskip(NEXT) | instid1(VALU_DEP_3)
	v_lshl_add_u32 v4, v5, 23, 0x3b800000
	v_lshlrev_b32_e32 v0, 20, v0
	s_delay_alu instid0(VALU_DEP_1) | instskip(NEXT) | instid1(VALU_DEP_1)
	v_or3_b32 v0, v1, v4, v0
	v_cvt_f64_f32_e32 v[0:1], v0
.LBB142_67:
	s_or_b32 exec_lo, exec_lo, s22
.LBB142_68:
	s_mov_b32 s21, -1
.LBB142_69:
	s_branch .LBB142_104
.LBB142_70:
	s_cmp_gt_i32 s19, 22
	s_cbranch_scc0 .LBB142_80
; %bb.71:
	s_cmp_lt_i32 s19, 24
	s_cbranch_scc1 .LBB142_83
; %bb.72:
	s_cmp_gt_i32 s19, 24
	s_cbranch_scc0 .LBB142_84
; %bb.73:
	global_load_u8 v4, v[2:3], off
	s_mov_b32 s21, 0
	s_mov_b32 s22, exec_lo
	s_wait_loadcnt 0x0
	v_cmpx_lt_i16_e32 0x7f, v4
	s_xor_b32 s22, exec_lo, s22
	s_cbranch_execz .LBB142_96
; %bb.74:
	s_mov_b32 s21, -1
	s_mov_b32 s26, exec_lo
	v_cmpx_eq_u16_e32 0x80, v4
; %bb.75:
	s_xor_b32 s21, exec_lo, -1
; %bb.76:
	s_or_b32 exec_lo, exec_lo, s26
	s_delay_alu instid0(SALU_CYCLE_1)
	s_and_b32 s21, s21, exec_lo
	s_or_saveexec_b32 s22, s22
	v_mov_b64_e32 v[0:1], 0x7ff8000020000000
	s_xor_b32 exec_lo, exec_lo, s22
	s_cbranch_execnz .LBB142_97
.LBB142_77:
	s_or_b32 exec_lo, exec_lo, s22
	s_and_saveexec_b32 s22, s21
	s_cbranch_execz .LBB142_79
.LBB142_78:
	v_and_b32_e32 v0, 0xffff, v4
	s_delay_alu instid0(VALU_DEP_1) | instskip(SKIP_1) | instid1(VALU_DEP_2)
	v_and_b32_e32 v1, 3, v0
	v_bfe_u32 v7, v0, 2, 5
	v_clz_i32_u32_e32 v5, v1
	s_delay_alu instid0(VALU_DEP_2) | instskip(NEXT) | instid1(VALU_DEP_2)
	v_cmp_eq_u32_e32 vcc_lo, 0, v7
	v_min_u32_e32 v5, 32, v5
	s_delay_alu instid0(VALU_DEP_1) | instskip(NEXT) | instid1(VALU_DEP_1)
	v_subrev_nc_u32_e32 v6, 29, v5
	v_dual_lshlrev_b32 v0, v6, v0 :: v_dual_sub_nc_u32 v5, 30, v5
	s_delay_alu instid0(VALU_DEP_1) | instskip(NEXT) | instid1(VALU_DEP_2)
	v_and_b32_e32 v0, 3, v0
	v_dual_cndmask_b32 v5, v7, v5 :: v_dual_lshlrev_b32 v4, 24, v4
	s_delay_alu instid0(VALU_DEP_2) | instskip(NEXT) | instid1(VALU_DEP_2)
	v_cndmask_b32_e32 v0, v1, v0, vcc_lo
	v_and_b32_e32 v1, 0x80000000, v4
	s_delay_alu instid0(VALU_DEP_3) | instskip(NEXT) | instid1(VALU_DEP_3)
	v_lshl_add_u32 v4, v5, 23, 0x37800000
	v_lshlrev_b32_e32 v0, 21, v0
	s_delay_alu instid0(VALU_DEP_1) | instskip(NEXT) | instid1(VALU_DEP_1)
	v_or3_b32 v0, v1, v4, v0
	v_cvt_f64_f32_e32 v[0:1], v0
.LBB142_79:
	s_or_b32 exec_lo, exec_lo, s22
	s_mov_b32 s21, 0
	s_branch .LBB142_85
.LBB142_80:
	s_mov_b32 s22, -1
                                        ; implicit-def: $vgpr0_vgpr1
	s_branch .LBB142_91
.LBB142_81:
	s_or_saveexec_b32 s22, s22
	v_mov_b64_e32 v[0:1], 0x7ff8000020000000
	s_xor_b32 exec_lo, exec_lo, s22
	s_cbranch_execz .LBB142_65
.LBB142_82:
	v_cmp_ne_u16_e32 vcc_lo, 0, v4
	v_mov_b64_e32 v[0:1], 0
	s_and_not1_b32 s21, s21, exec_lo
	s_and_b32 s26, vcc_lo, exec_lo
	s_delay_alu instid0(SALU_CYCLE_1)
	s_or_b32 s21, s21, s26
	s_or_b32 exec_lo, exec_lo, s22
	s_and_saveexec_b32 s22, s21
	s_cbranch_execnz .LBB142_66
	s_branch .LBB142_67
.LBB142_83:
	s_mov_b32 s21, -1
                                        ; implicit-def: $vgpr0_vgpr1
	s_branch .LBB142_88
.LBB142_84:
	s_mov_b32 s21, -1
                                        ; implicit-def: $vgpr0_vgpr1
.LBB142_85:
	s_delay_alu instid0(SALU_CYCLE_1)
	s_and_b32 vcc_lo, exec_lo, s21
	s_cbranch_vccz .LBB142_87
; %bb.86:
	global_load_u8 v0, v[2:3], off
	s_wait_loadcnt 0x0
	v_lshlrev_b32_e32 v0, 24, v0
	s_delay_alu instid0(VALU_DEP_1) | instskip(NEXT) | instid1(VALU_DEP_1)
	v_and_b32_e32 v1, 0x7f000000, v0
	v_clz_i32_u32_e32 v4, v1
	v_cmp_ne_u32_e32 vcc_lo, 0, v1
	v_add_nc_u32_e32 v6, 0x1000000, v1
	s_delay_alu instid0(VALU_DEP_3) | instskip(NEXT) | instid1(VALU_DEP_1)
	v_min_u32_e32 v4, 32, v4
	v_sub_nc_u32_e64 v4, v4, 4 clamp
	s_delay_alu instid0(VALU_DEP_1) | instskip(NEXT) | instid1(VALU_DEP_1)
	v_dual_lshlrev_b32 v5, v4, v1 :: v_dual_lshlrev_b32 v4, 23, v4
	v_lshrrev_b32_e32 v5, 4, v5
	s_delay_alu instid0(VALU_DEP_1) | instskip(NEXT) | instid1(VALU_DEP_1)
	v_dual_sub_nc_u32 v4, v5, v4 :: v_dual_ashrrev_i32 v5, 8, v6
	v_add_nc_u32_e32 v4, 0x3c000000, v4
	s_delay_alu instid0(VALU_DEP_1) | instskip(NEXT) | instid1(VALU_DEP_1)
	v_and_or_b32 v4, 0x7f800000, v5, v4
	v_cndmask_b32_e32 v1, 0, v4, vcc_lo
	s_delay_alu instid0(VALU_DEP_1) | instskip(NEXT) | instid1(VALU_DEP_1)
	v_and_or_b32 v0, 0x80000000, v0, v1
	v_cvt_f64_f32_e32 v[0:1], v0
.LBB142_87:
	s_mov_b32 s21, 0
.LBB142_88:
	s_delay_alu instid0(SALU_CYCLE_1)
	s_and_not1_b32 vcc_lo, exec_lo, s21
	s_cbranch_vccnz .LBB142_90
; %bb.89:
	global_load_u8 v0, v[2:3], off
	s_wait_loadcnt 0x0
	v_lshlrev_b32_e32 v1, 25, v0
	v_lshlrev_b16 v0, 8, v0
	s_delay_alu instid0(VALU_DEP_1) | instskip(SKIP_1) | instid1(VALU_DEP_2)
	v_and_or_b32 v5, 0x7f00, v0, 0.5
	v_bfe_i32 v0, v0, 0, 16
	v_add_f32_e32 v5, -0.5, v5
	v_lshrrev_b32_e32 v4, 4, v1
	v_cmp_gt_u32_e32 vcc_lo, 0x8000000, v1
	s_delay_alu instid0(VALU_DEP_2) | instskip(NEXT) | instid1(VALU_DEP_1)
	v_or_b32_e32 v4, 0x70000000, v4
	v_mul_f32_e32 v4, 0x7800000, v4
	s_delay_alu instid0(VALU_DEP_1) | instskip(NEXT) | instid1(VALU_DEP_1)
	v_cndmask_b32_e32 v1, v4, v5, vcc_lo
	v_and_or_b32 v0, 0x80000000, v0, v1
	s_delay_alu instid0(VALU_DEP_1)
	v_cvt_f64_f32_e32 v[0:1], v0
.LBB142_90:
	s_mov_b32 s22, 0
	s_mov_b32 s21, -1
.LBB142_91:
	s_and_not1_b32 vcc_lo, exec_lo, s22
	s_cbranch_vccnz .LBB142_104
; %bb.92:
	s_cmp_gt_i32 s19, 14
	s_cbranch_scc0 .LBB142_95
; %bb.93:
	s_cmp_eq_u32 s19, 15
	s_cbranch_scc0 .LBB142_98
; %bb.94:
	global_load_u16 v0, v[2:3], off
	s_mov_b32 s21, -1
	s_mov_b32 s23, 0
	s_wait_loadcnt 0x0
	v_lshlrev_b32_e32 v0, 16, v0
	s_delay_alu instid0(VALU_DEP_1)
	v_cvt_f64_f32_e32 v[0:1], v0
	s_branch .LBB142_99
.LBB142_95:
	s_mov_b32 s22, -1
                                        ; implicit-def: $vgpr0_vgpr1
	s_branch .LBB142_100
.LBB142_96:
	s_or_saveexec_b32 s22, s22
	v_mov_b64_e32 v[0:1], 0x7ff8000020000000
	s_xor_b32 exec_lo, exec_lo, s22
	s_cbranch_execz .LBB142_77
.LBB142_97:
	v_cmp_ne_u16_e32 vcc_lo, 0, v4
	v_mov_b64_e32 v[0:1], 0
	s_and_not1_b32 s21, s21, exec_lo
	s_and_b32 s26, vcc_lo, exec_lo
	s_delay_alu instid0(SALU_CYCLE_1)
	s_or_b32 s21, s21, s26
	s_or_b32 exec_lo, exec_lo, s22
	s_and_saveexec_b32 s22, s21
	s_cbranch_execnz .LBB142_78
	s_branch .LBB142_79
.LBB142_98:
	s_mov_b32 s23, -1
                                        ; implicit-def: $vgpr0_vgpr1
.LBB142_99:
	s_mov_b32 s22, 0
.LBB142_100:
	s_delay_alu instid0(SALU_CYCLE_1)
	s_and_b32 vcc_lo, exec_lo, s22
	s_cbranch_vccz .LBB142_104
; %bb.101:
	s_cmp_eq_u32 s19, 11
	s_cbranch_scc0 .LBB142_103
; %bb.102:
	global_load_u8 v0, v[2:3], off
	s_mov_b32 s23, 0
	s_mov_b32 s21, -1
	s_wait_loadcnt 0x0
	v_cmp_ne_u16_e32 vcc_lo, 0, v0
	v_mov_b32_e32 v0, 0
	v_cndmask_b32_e64 v1, 0, 0x3ff00000, vcc_lo
	s_branch .LBB142_104
.LBB142_103:
	s_mov_b32 s23, -1
                                        ; implicit-def: $vgpr0_vgpr1
.LBB142_104:
	s_branch .LBB142_10
.LBB142_105:
	s_and_b32 s0, 0xffff, s0
	s_delay_alu instid0(SALU_CYCLE_1)
	s_cmp_lt_i32 s0, 5
	s_cbranch_scc1 .LBB142_110
; %bb.106:
	s_cmp_lt_i32 s0, 8
	s_cbranch_scc1 .LBB142_111
; %bb.107:
	;; [unrolled: 3-line block ×3, first 2 shown]
	s_cmp_gt_i32 s0, 9
	s_cbranch_scc0 .LBB142_113
; %bb.109:
	global_load_b64 v[0:1], v[2:3], off
	s_mov_b32 s19, 0
	s_branch .LBB142_114
.LBB142_110:
                                        ; implicit-def: $vgpr0_vgpr1
	s_branch .LBB142_132
.LBB142_111:
	s_mov_b32 s19, -1
                                        ; implicit-def: $vgpr0_vgpr1
	s_branch .LBB142_120
.LBB142_112:
	s_mov_b32 s19, -1
                                        ; implicit-def: $vgpr0_vgpr1
	s_branch .LBB142_117
.LBB142_113:
	s_mov_b32 s19, -1
                                        ; implicit-def: $vgpr0_vgpr1
.LBB142_114:
	s_delay_alu instid0(SALU_CYCLE_1)
	s_and_not1_b32 vcc_lo, exec_lo, s19
	s_cbranch_vccnz .LBB142_116
; %bb.115:
	s_wait_loadcnt 0x0
	global_load_b32 v0, v[2:3], off
	s_wait_loadcnt 0x0
	v_cvt_f64_f32_e32 v[0:1], v0
.LBB142_116:
	s_mov_b32 s19, 0
.LBB142_117:
	s_delay_alu instid0(SALU_CYCLE_1)
	s_and_not1_b32 vcc_lo, exec_lo, s19
	s_cbranch_vccnz .LBB142_119
; %bb.118:
	s_wait_loadcnt 0x0
	global_load_b32 v0, v[2:3], off
	s_wait_loadcnt 0x0
	v_cvt_f32_f16_e32 v0, v0
	s_delay_alu instid0(VALU_DEP_1)
	v_cvt_f64_f32_e32 v[0:1], v0
.LBB142_119:
	s_mov_b32 s19, 0
.LBB142_120:
	s_delay_alu instid0(SALU_CYCLE_1)
	s_and_not1_b32 vcc_lo, exec_lo, s19
	s_cbranch_vccnz .LBB142_131
; %bb.121:
	s_cmp_lt_i32 s0, 6
	s_cbranch_scc1 .LBB142_124
; %bb.122:
	s_cmp_gt_i32 s0, 6
	s_cbranch_scc0 .LBB142_125
; %bb.123:
	s_wait_loadcnt 0x0
	global_load_b64 v[0:1], v[2:3], off
	s_mov_b32 s19, 0
	s_branch .LBB142_126
.LBB142_124:
	s_mov_b32 s19, -1
                                        ; implicit-def: $vgpr0_vgpr1
	s_branch .LBB142_129
.LBB142_125:
	s_mov_b32 s19, -1
                                        ; implicit-def: $vgpr0_vgpr1
.LBB142_126:
	s_delay_alu instid0(SALU_CYCLE_1)
	s_and_not1_b32 vcc_lo, exec_lo, s19
	s_cbranch_vccnz .LBB142_128
; %bb.127:
	s_wait_loadcnt 0x0
	global_load_b32 v0, v[2:3], off
	s_wait_loadcnt 0x0
	v_cvt_f64_f32_e32 v[0:1], v0
.LBB142_128:
	s_mov_b32 s19, 0
.LBB142_129:
	s_delay_alu instid0(SALU_CYCLE_1)
	s_and_not1_b32 vcc_lo, exec_lo, s19
	s_cbranch_vccnz .LBB142_131
; %bb.130:
	s_wait_loadcnt 0x0
	global_load_u16 v0, v[2:3], off
	s_wait_loadcnt 0x0
	v_cvt_f32_f16_e32 v0, v0
	s_delay_alu instid0(VALU_DEP_1)
	v_cvt_f64_f32_e32 v[0:1], v0
.LBB142_131:
	s_cbranch_execnz .LBB142_151
.LBB142_132:
	s_cmp_lt_i32 s0, 2
	s_cbranch_scc1 .LBB142_136
; %bb.133:
	s_cmp_lt_i32 s0, 3
	s_cbranch_scc1 .LBB142_137
; %bb.134:
	s_cmp_gt_i32 s0, 3
	s_cbranch_scc0 .LBB142_138
; %bb.135:
	s_wait_loadcnt 0x0
	global_load_b64 v[0:1], v[2:3], off
	s_mov_b32 s19, 0
	s_wait_loadcnt 0x0
	v_cvt_f64_i32_e32 v[4:5], v1
	v_cvt_f64_u32_e32 v[0:1], v0
	s_delay_alu instid0(VALU_DEP_2) | instskip(NEXT) | instid1(VALU_DEP_1)
	v_ldexp_f64 v[4:5], v[4:5], 32
	v_add_f64_e32 v[0:1], v[4:5], v[0:1]
	s_branch .LBB142_139
.LBB142_136:
	s_mov_b32 s19, -1
                                        ; implicit-def: $vgpr0_vgpr1
	s_branch .LBB142_145
.LBB142_137:
	s_mov_b32 s19, -1
                                        ; implicit-def: $vgpr0_vgpr1
	s_branch .LBB142_142
.LBB142_138:
	s_mov_b32 s19, -1
                                        ; implicit-def: $vgpr0_vgpr1
.LBB142_139:
	s_delay_alu instid0(SALU_CYCLE_1)
	s_and_not1_b32 vcc_lo, exec_lo, s19
	s_cbranch_vccnz .LBB142_141
; %bb.140:
	s_wait_loadcnt 0x0
	global_load_b32 v0, v[2:3], off
	s_wait_loadcnt 0x0
	v_cvt_f64_i32_e32 v[0:1], v0
.LBB142_141:
	s_mov_b32 s19, 0
.LBB142_142:
	s_delay_alu instid0(SALU_CYCLE_1)
	s_and_not1_b32 vcc_lo, exec_lo, s19
	s_cbranch_vccnz .LBB142_144
; %bb.143:
	s_wait_loadcnt 0x0
	global_load_i16 v0, v[2:3], off
	s_wait_loadcnt 0x0
	v_cvt_f64_i32_e32 v[0:1], v0
.LBB142_144:
	s_mov_b32 s19, 0
.LBB142_145:
	s_delay_alu instid0(SALU_CYCLE_1)
	s_and_not1_b32 vcc_lo, exec_lo, s19
	s_cbranch_vccnz .LBB142_151
; %bb.146:
	s_cmp_gt_i32 s0, 0
	s_mov_b32 s0, 0
	s_cbranch_scc0 .LBB142_148
; %bb.147:
	s_wait_loadcnt 0x0
	global_load_i8 v0, v[2:3], off
	s_wait_loadcnt 0x0
	v_cvt_f64_i32_e32 v[0:1], v0
	s_branch .LBB142_149
.LBB142_148:
	s_mov_b32 s0, -1
                                        ; implicit-def: $vgpr0_vgpr1
.LBB142_149:
	s_delay_alu instid0(SALU_CYCLE_1)
	s_and_not1_b32 vcc_lo, exec_lo, s0
	s_cbranch_vccnz .LBB142_151
; %bb.150:
	s_wait_loadcnt 0x0
	global_load_u8 v0, v[2:3], off
	s_wait_loadcnt 0x0
	v_cvt_f64_u32_e32 v[0:1], v0
.LBB142_151:
	s_branch .LBB142_11
.LBB142_152:
	s_mov_b32 s0, 0
	s_mov_b32 s21, 0
	;; [unrolled: 1-line block ×3, first 2 shown]
	s_branch .LBB142_510
.LBB142_153:
	s_mov_b32 s22, -1
.LBB142_154:
	s_mov_b32 s21, 0
                                        ; implicit-def: $vgpr2_vgpr3
.LBB142_155:
	s_and_b32 vcc_lo, exec_lo, s26
	s_cbranch_vccz .LBB142_160
; %bb.156:
	s_cmp_eq_u32 s19, 44
	s_cbranch_scc0 .LBB142_159
; %bb.157:
	global_load_u8 v6, v[4:5], off
	s_mov_b32 s22, 0
	s_mov_b32 s21, -1
	s_wait_loadcnt 0x0
	v_cmp_ne_u32_e32 vcc_lo, 0xff, v6
	v_lshlrev_b32_e32 v2, 23, v6
	s_delay_alu instid0(VALU_DEP_1) | instskip(NEXT) | instid1(VALU_DEP_1)
	v_cvt_f64_f32_e32 v[2:3], v2
	v_cndmask_b32_e32 v2, 0x20000000, v2, vcc_lo
	s_delay_alu instid0(VALU_DEP_2) | instskip(SKIP_1) | instid1(VALU_DEP_2)
	v_cndmask_b32_e32 v3, 0x7ff80000, v3, vcc_lo
	v_cmp_ne_u32_e32 vcc_lo, 0, v6
	v_cndmask_b32_e32 v3, 0x38000000, v3, vcc_lo
	s_delay_alu instid0(VALU_DEP_4)
	v_cndmask_b32_e32 v2, 0, v2, vcc_lo
	s_branch .LBB142_160
.LBB142_158:
	s_mov_b32 s26, -1
	s_mov_b32 s21, 0
	s_branch .LBB142_271
.LBB142_159:
	s_mov_b32 s22, -1
                                        ; implicit-def: $vgpr2_vgpr3
.LBB142_160:
	s_mov_b32 s26, 0
.LBB142_161:
	s_delay_alu instid0(SALU_CYCLE_1)
	s_and_b32 vcc_lo, exec_lo, s26
	s_cbranch_vccz .LBB142_165
; %bb.162:
	s_cmp_eq_u32 s19, 29
	s_cbranch_scc0 .LBB142_164
; %bb.163:
	global_load_b64 v[2:3], v[4:5], off
	s_mov_b32 s21, -1
	s_mov_b32 s22, 0
	s_mov_b32 s26, 0
	s_wait_loadcnt 0x0
	v_cvt_f64_u32_e32 v[6:7], v3
	v_cvt_f64_u32_e32 v[2:3], v2
	s_delay_alu instid0(VALU_DEP_2) | instskip(NEXT) | instid1(VALU_DEP_1)
	v_ldexp_f64 v[6:7], v[6:7], 32
	v_add_f64_e32 v[2:3], v[6:7], v[2:3]
	s_branch .LBB142_166
.LBB142_164:
	s_mov_b32 s22, -1
                                        ; implicit-def: $vgpr2_vgpr3
.LBB142_165:
	s_mov_b32 s26, 0
.LBB142_166:
	s_delay_alu instid0(SALU_CYCLE_1)
	s_and_b32 vcc_lo, exec_lo, s26
	s_cbranch_vccz .LBB142_184
; %bb.167:
	s_cmp_lt_i32 s19, 27
	s_cbranch_scc1 .LBB142_170
; %bb.168:
	s_cmp_gt_i32 s19, 27
	s_cbranch_scc0 .LBB142_171
; %bb.169:
	global_load_b32 v2, v[4:5], off
	s_mov_b32 s21, 0
	s_wait_loadcnt 0x0
	v_cvt_f64_u32_e32 v[2:3], v2
	s_branch .LBB142_172
.LBB142_170:
	s_mov_b32 s21, -1
                                        ; implicit-def: $vgpr2_vgpr3
	s_branch .LBB142_175
.LBB142_171:
	s_mov_b32 s21, -1
                                        ; implicit-def: $vgpr2_vgpr3
.LBB142_172:
	s_delay_alu instid0(SALU_CYCLE_1)
	s_and_not1_b32 vcc_lo, exec_lo, s21
	s_cbranch_vccnz .LBB142_174
; %bb.173:
	global_load_u16 v2, v[4:5], off
	s_wait_loadcnt 0x0
	v_cvt_f64_u32_e32 v[2:3], v2
.LBB142_174:
	s_mov_b32 s21, 0
.LBB142_175:
	s_delay_alu instid0(SALU_CYCLE_1)
	s_and_not1_b32 vcc_lo, exec_lo, s21
	s_cbranch_vccnz .LBB142_183
; %bb.176:
	global_load_u8 v6, v[4:5], off
	s_mov_b32 s21, 0
	s_mov_b32 s26, exec_lo
	s_wait_loadcnt 0x0
	v_cmpx_lt_i16_e32 0x7f, v6
	s_xor_b32 s26, exec_lo, s26
	s_cbranch_execz .LBB142_197
; %bb.177:
	s_mov_b32 s21, -1
	s_mov_b32 s27, exec_lo
	v_cmpx_eq_u16_e32 0x80, v6
; %bb.178:
	s_xor_b32 s21, exec_lo, -1
; %bb.179:
	s_or_b32 exec_lo, exec_lo, s27
	s_delay_alu instid0(SALU_CYCLE_1)
	s_and_b32 s21, s21, exec_lo
	s_or_saveexec_b32 s26, s26
	v_mov_b64_e32 v[2:3], 0x7ff8000020000000
	s_xor_b32 exec_lo, exec_lo, s26
	s_cbranch_execnz .LBB142_198
.LBB142_180:
	s_or_b32 exec_lo, exec_lo, s26
	s_and_saveexec_b32 s26, s21
	s_cbranch_execz .LBB142_182
.LBB142_181:
	v_and_b32_e32 v2, 0xffff, v6
	s_delay_alu instid0(VALU_DEP_1) | instskip(SKIP_1) | instid1(VALU_DEP_2)
	v_and_b32_e32 v3, 7, v2
	v_bfe_u32 v9, v2, 3, 4
	v_clz_i32_u32_e32 v7, v3
	s_delay_alu instid0(VALU_DEP_2) | instskip(NEXT) | instid1(VALU_DEP_2)
	v_cmp_eq_u32_e32 vcc_lo, 0, v9
	v_min_u32_e32 v7, 32, v7
	s_delay_alu instid0(VALU_DEP_1) | instskip(NEXT) | instid1(VALU_DEP_1)
	v_subrev_nc_u32_e32 v8, 28, v7
	v_dual_lshlrev_b32 v2, v8, v2 :: v_dual_sub_nc_u32 v7, 29, v7
	s_delay_alu instid0(VALU_DEP_1) | instskip(NEXT) | instid1(VALU_DEP_2)
	v_and_b32_e32 v2, 7, v2
	v_dual_cndmask_b32 v7, v9, v7 :: v_dual_lshlrev_b32 v6, 24, v6
	s_delay_alu instid0(VALU_DEP_2) | instskip(NEXT) | instid1(VALU_DEP_2)
	v_cndmask_b32_e32 v2, v3, v2, vcc_lo
	v_and_b32_e32 v3, 0x80000000, v6
	s_delay_alu instid0(VALU_DEP_3) | instskip(NEXT) | instid1(VALU_DEP_3)
	v_lshl_add_u32 v6, v7, 23, 0x3b800000
	v_lshlrev_b32_e32 v2, 20, v2
	s_delay_alu instid0(VALU_DEP_1) | instskip(NEXT) | instid1(VALU_DEP_1)
	v_or3_b32 v2, v3, v6, v2
	v_cvt_f64_f32_e32 v[2:3], v2
.LBB142_182:
	s_or_b32 exec_lo, exec_lo, s26
.LBB142_183:
	s_mov_b32 s21, -1
.LBB142_184:
	s_mov_b32 s26, 0
.LBB142_185:
	s_delay_alu instid0(SALU_CYCLE_1)
	s_and_b32 vcc_lo, exec_lo, s26
	s_cbranch_vccz .LBB142_220
; %bb.186:
	s_cmp_gt_i32 s19, 22
	s_cbranch_scc0 .LBB142_196
; %bb.187:
	s_cmp_lt_i32 s19, 24
	s_cbranch_scc1 .LBB142_199
; %bb.188:
	s_cmp_gt_i32 s19, 24
	s_cbranch_scc0 .LBB142_200
; %bb.189:
	global_load_u8 v6, v[4:5], off
	s_mov_b32 s21, 0
	s_mov_b32 s26, exec_lo
	s_wait_loadcnt 0x0
	v_cmpx_lt_i16_e32 0x7f, v6
	s_xor_b32 s26, exec_lo, s26
	s_cbranch_execz .LBB142_212
; %bb.190:
	s_mov_b32 s21, -1
	s_mov_b32 s27, exec_lo
	v_cmpx_eq_u16_e32 0x80, v6
; %bb.191:
	s_xor_b32 s21, exec_lo, -1
; %bb.192:
	s_or_b32 exec_lo, exec_lo, s27
	s_delay_alu instid0(SALU_CYCLE_1)
	s_and_b32 s21, s21, exec_lo
	s_or_saveexec_b32 s26, s26
	v_mov_b64_e32 v[2:3], 0x7ff8000020000000
	s_xor_b32 exec_lo, exec_lo, s26
	s_cbranch_execnz .LBB142_213
.LBB142_193:
	s_or_b32 exec_lo, exec_lo, s26
	s_and_saveexec_b32 s26, s21
	s_cbranch_execz .LBB142_195
.LBB142_194:
	v_and_b32_e32 v2, 0xffff, v6
	s_delay_alu instid0(VALU_DEP_1) | instskip(SKIP_1) | instid1(VALU_DEP_2)
	v_and_b32_e32 v3, 3, v2
	v_bfe_u32 v9, v2, 2, 5
	v_clz_i32_u32_e32 v7, v3
	s_delay_alu instid0(VALU_DEP_2) | instskip(NEXT) | instid1(VALU_DEP_2)
	v_cmp_eq_u32_e32 vcc_lo, 0, v9
	v_min_u32_e32 v7, 32, v7
	s_delay_alu instid0(VALU_DEP_1) | instskip(NEXT) | instid1(VALU_DEP_1)
	v_subrev_nc_u32_e32 v8, 29, v7
	v_dual_lshlrev_b32 v2, v8, v2 :: v_dual_sub_nc_u32 v7, 30, v7
	s_delay_alu instid0(VALU_DEP_1) | instskip(NEXT) | instid1(VALU_DEP_2)
	v_and_b32_e32 v2, 3, v2
	v_dual_cndmask_b32 v7, v9, v7 :: v_dual_lshlrev_b32 v6, 24, v6
	s_delay_alu instid0(VALU_DEP_2) | instskip(NEXT) | instid1(VALU_DEP_2)
	v_cndmask_b32_e32 v2, v3, v2, vcc_lo
	v_and_b32_e32 v3, 0x80000000, v6
	s_delay_alu instid0(VALU_DEP_3) | instskip(NEXT) | instid1(VALU_DEP_3)
	v_lshl_add_u32 v6, v7, 23, 0x37800000
	v_lshlrev_b32_e32 v2, 21, v2
	s_delay_alu instid0(VALU_DEP_1) | instskip(NEXT) | instid1(VALU_DEP_1)
	v_or3_b32 v2, v3, v6, v2
	v_cvt_f64_f32_e32 v[2:3], v2
.LBB142_195:
	s_or_b32 exec_lo, exec_lo, s26
	s_mov_b32 s21, 0
	s_branch .LBB142_201
.LBB142_196:
	s_mov_b32 s26, -1
                                        ; implicit-def: $vgpr2_vgpr3
	s_branch .LBB142_207
.LBB142_197:
	s_or_saveexec_b32 s26, s26
	v_mov_b64_e32 v[2:3], 0x7ff8000020000000
	s_xor_b32 exec_lo, exec_lo, s26
	s_cbranch_execz .LBB142_180
.LBB142_198:
	v_cmp_ne_u16_e32 vcc_lo, 0, v6
	v_mov_b64_e32 v[2:3], 0
	s_and_not1_b32 s21, s21, exec_lo
	s_and_b32 s27, vcc_lo, exec_lo
	s_delay_alu instid0(SALU_CYCLE_1)
	s_or_b32 s21, s21, s27
	s_or_b32 exec_lo, exec_lo, s26
	s_and_saveexec_b32 s26, s21
	s_cbranch_execnz .LBB142_181
	s_branch .LBB142_182
.LBB142_199:
	s_mov_b32 s21, -1
                                        ; implicit-def: $vgpr2_vgpr3
	s_branch .LBB142_204
.LBB142_200:
	s_mov_b32 s21, -1
                                        ; implicit-def: $vgpr2_vgpr3
.LBB142_201:
	s_delay_alu instid0(SALU_CYCLE_1)
	s_and_b32 vcc_lo, exec_lo, s21
	s_cbranch_vccz .LBB142_203
; %bb.202:
	global_load_u8 v2, v[4:5], off
	s_wait_loadcnt 0x0
	v_lshlrev_b32_e32 v2, 24, v2
	s_delay_alu instid0(VALU_DEP_1) | instskip(NEXT) | instid1(VALU_DEP_1)
	v_and_b32_e32 v3, 0x7f000000, v2
	v_clz_i32_u32_e32 v6, v3
	v_cmp_ne_u32_e32 vcc_lo, 0, v3
	v_add_nc_u32_e32 v8, 0x1000000, v3
	s_delay_alu instid0(VALU_DEP_3) | instskip(NEXT) | instid1(VALU_DEP_1)
	v_min_u32_e32 v6, 32, v6
	v_sub_nc_u32_e64 v6, v6, 4 clamp
	s_delay_alu instid0(VALU_DEP_1) | instskip(NEXT) | instid1(VALU_DEP_1)
	v_dual_lshlrev_b32 v7, v6, v3 :: v_dual_lshlrev_b32 v6, 23, v6
	v_lshrrev_b32_e32 v7, 4, v7
	s_delay_alu instid0(VALU_DEP_1) | instskip(NEXT) | instid1(VALU_DEP_1)
	v_dual_sub_nc_u32 v6, v7, v6 :: v_dual_ashrrev_i32 v7, 8, v8
	v_add_nc_u32_e32 v6, 0x3c000000, v6
	s_delay_alu instid0(VALU_DEP_1) | instskip(NEXT) | instid1(VALU_DEP_1)
	v_and_or_b32 v6, 0x7f800000, v7, v6
	v_cndmask_b32_e32 v3, 0, v6, vcc_lo
	s_delay_alu instid0(VALU_DEP_1) | instskip(NEXT) | instid1(VALU_DEP_1)
	v_and_or_b32 v2, 0x80000000, v2, v3
	v_cvt_f64_f32_e32 v[2:3], v2
.LBB142_203:
	s_mov_b32 s21, 0
.LBB142_204:
	s_delay_alu instid0(SALU_CYCLE_1)
	s_and_not1_b32 vcc_lo, exec_lo, s21
	s_cbranch_vccnz .LBB142_206
; %bb.205:
	global_load_u8 v2, v[4:5], off
	s_wait_loadcnt 0x0
	v_lshlrev_b32_e32 v3, 25, v2
	v_lshlrev_b16 v2, 8, v2
	s_delay_alu instid0(VALU_DEP_1) | instskip(SKIP_1) | instid1(VALU_DEP_2)
	v_and_or_b32 v7, 0x7f00, v2, 0.5
	v_bfe_i32 v2, v2, 0, 16
	v_add_f32_e32 v7, -0.5, v7
	v_lshrrev_b32_e32 v6, 4, v3
	v_cmp_gt_u32_e32 vcc_lo, 0x8000000, v3
	s_delay_alu instid0(VALU_DEP_2) | instskip(NEXT) | instid1(VALU_DEP_1)
	v_or_b32_e32 v6, 0x70000000, v6
	v_mul_f32_e32 v6, 0x7800000, v6
	s_delay_alu instid0(VALU_DEP_1) | instskip(NEXT) | instid1(VALU_DEP_1)
	v_cndmask_b32_e32 v3, v6, v7, vcc_lo
	v_and_or_b32 v2, 0x80000000, v2, v3
	s_delay_alu instid0(VALU_DEP_1)
	v_cvt_f64_f32_e32 v[2:3], v2
.LBB142_206:
	s_mov_b32 s26, 0
	s_mov_b32 s21, -1
.LBB142_207:
	s_and_not1_b32 vcc_lo, exec_lo, s26
	s_cbranch_vccnz .LBB142_220
; %bb.208:
	s_cmp_gt_i32 s19, 14
	s_cbranch_scc0 .LBB142_211
; %bb.209:
	s_cmp_eq_u32 s19, 15
	s_cbranch_scc0 .LBB142_214
; %bb.210:
	global_load_u16 v2, v[4:5], off
	s_mov_b32 s21, -1
	s_mov_b32 s22, 0
	s_wait_loadcnt 0x0
	v_lshlrev_b32_e32 v2, 16, v2
	s_delay_alu instid0(VALU_DEP_1)
	v_cvt_f64_f32_e32 v[2:3], v2
	s_branch .LBB142_215
.LBB142_211:
	s_mov_b32 s26, -1
                                        ; implicit-def: $vgpr2_vgpr3
	s_branch .LBB142_216
.LBB142_212:
	s_or_saveexec_b32 s26, s26
	v_mov_b64_e32 v[2:3], 0x7ff8000020000000
	s_xor_b32 exec_lo, exec_lo, s26
	s_cbranch_execz .LBB142_193
.LBB142_213:
	v_cmp_ne_u16_e32 vcc_lo, 0, v6
	v_mov_b64_e32 v[2:3], 0
	s_and_not1_b32 s21, s21, exec_lo
	s_and_b32 s27, vcc_lo, exec_lo
	s_delay_alu instid0(SALU_CYCLE_1)
	s_or_b32 s21, s21, s27
	s_or_b32 exec_lo, exec_lo, s26
	s_and_saveexec_b32 s26, s21
	s_cbranch_execnz .LBB142_194
	s_branch .LBB142_195
.LBB142_214:
	s_mov_b32 s22, -1
                                        ; implicit-def: $vgpr2_vgpr3
.LBB142_215:
	s_mov_b32 s26, 0
.LBB142_216:
	s_delay_alu instid0(SALU_CYCLE_1)
	s_and_b32 vcc_lo, exec_lo, s26
	s_cbranch_vccz .LBB142_220
; %bb.217:
	s_cmp_eq_u32 s19, 11
	s_cbranch_scc0 .LBB142_219
; %bb.218:
	global_load_u8 v2, v[4:5], off
	s_mov_b32 s22, 0
	s_mov_b32 s21, -1
	s_wait_loadcnt 0x0
	v_cmp_ne_u16_e32 vcc_lo, 0, v2
	v_mov_b32_e32 v2, 0
	v_cndmask_b32_e64 v3, 0, 0x3ff00000, vcc_lo
	s_branch .LBB142_220
.LBB142_219:
	s_mov_b32 s22, -1
                                        ; implicit-def: $vgpr2_vgpr3
.LBB142_220:
	s_branch .LBB142_20
.LBB142_221:
	s_and_b32 s0, 0xffff, s0
	s_delay_alu instid0(SALU_CYCLE_1)
	s_cmp_lt_i32 s0, 5
	s_cbranch_scc1 .LBB142_226
; %bb.222:
	s_cmp_lt_i32 s0, 8
	s_cbranch_scc1 .LBB142_227
; %bb.223:
	;; [unrolled: 3-line block ×3, first 2 shown]
	s_cmp_gt_i32 s0, 9
	s_cbranch_scc0 .LBB142_229
; %bb.225:
	global_load_b64 v[2:3], v[4:5], off
	s_mov_b32 s19, 0
	s_branch .LBB142_230
.LBB142_226:
	s_mov_b32 s19, -1
                                        ; implicit-def: $vgpr2_vgpr3
	s_branch .LBB142_248
.LBB142_227:
	s_mov_b32 s19, -1
                                        ; implicit-def: $vgpr2_vgpr3
	s_branch .LBB142_236
.LBB142_228:
	s_mov_b32 s19, -1
                                        ; implicit-def: $vgpr2_vgpr3
	s_branch .LBB142_233
.LBB142_229:
	s_mov_b32 s19, -1
                                        ; implicit-def: $vgpr2_vgpr3
.LBB142_230:
	s_delay_alu instid0(SALU_CYCLE_1)
	s_and_not1_b32 vcc_lo, exec_lo, s19
	s_cbranch_vccnz .LBB142_232
; %bb.231:
	s_wait_loadcnt 0x0
	global_load_b32 v2, v[4:5], off
	s_wait_loadcnt 0x0
	v_cvt_f64_f32_e32 v[2:3], v2
.LBB142_232:
	s_mov_b32 s19, 0
.LBB142_233:
	s_delay_alu instid0(SALU_CYCLE_1)
	s_and_not1_b32 vcc_lo, exec_lo, s19
	s_cbranch_vccnz .LBB142_235
; %bb.234:
	s_wait_loadcnt 0x0
	global_load_b32 v2, v[4:5], off
	s_wait_loadcnt 0x0
	v_cvt_f32_f16_e32 v2, v2
	s_delay_alu instid0(VALU_DEP_1)
	v_cvt_f64_f32_e32 v[2:3], v2
.LBB142_235:
	s_mov_b32 s19, 0
.LBB142_236:
	s_delay_alu instid0(SALU_CYCLE_1)
	s_and_not1_b32 vcc_lo, exec_lo, s19
	s_cbranch_vccnz .LBB142_247
; %bb.237:
	s_cmp_lt_i32 s0, 6
	s_cbranch_scc1 .LBB142_240
; %bb.238:
	s_cmp_gt_i32 s0, 6
	s_cbranch_scc0 .LBB142_241
; %bb.239:
	s_wait_loadcnt 0x0
	global_load_b64 v[2:3], v[4:5], off
	s_mov_b32 s19, 0
	s_branch .LBB142_242
.LBB142_240:
	s_mov_b32 s19, -1
                                        ; implicit-def: $vgpr2_vgpr3
	s_branch .LBB142_245
.LBB142_241:
	s_mov_b32 s19, -1
                                        ; implicit-def: $vgpr2_vgpr3
.LBB142_242:
	s_delay_alu instid0(SALU_CYCLE_1)
	s_and_not1_b32 vcc_lo, exec_lo, s19
	s_cbranch_vccnz .LBB142_244
; %bb.243:
	s_wait_loadcnt 0x0
	global_load_b32 v2, v[4:5], off
	s_wait_loadcnt 0x0
	v_cvt_f64_f32_e32 v[2:3], v2
.LBB142_244:
	s_mov_b32 s19, 0
.LBB142_245:
	s_delay_alu instid0(SALU_CYCLE_1)
	s_and_not1_b32 vcc_lo, exec_lo, s19
	s_cbranch_vccnz .LBB142_247
; %bb.246:
	s_wait_loadcnt 0x0
	global_load_u16 v2, v[4:5], off
	s_wait_loadcnt 0x0
	v_cvt_f32_f16_e32 v2, v2
	s_delay_alu instid0(VALU_DEP_1)
	v_cvt_f64_f32_e32 v[2:3], v2
.LBB142_247:
	s_mov_b32 s19, 0
.LBB142_248:
	s_delay_alu instid0(SALU_CYCLE_1)
	s_and_not1_b32 vcc_lo, exec_lo, s19
	s_cbranch_vccnz .LBB142_268
; %bb.249:
	s_cmp_lt_i32 s0, 2
	s_cbranch_scc1 .LBB142_253
; %bb.250:
	s_cmp_lt_i32 s0, 3
	s_cbranch_scc1 .LBB142_254
; %bb.251:
	s_cmp_gt_i32 s0, 3
	s_cbranch_scc0 .LBB142_255
; %bb.252:
	s_wait_loadcnt 0x0
	global_load_b64 v[2:3], v[4:5], off
	s_mov_b32 s19, 0
	s_wait_loadcnt 0x0
	v_cvt_f64_i32_e32 v[6:7], v3
	v_cvt_f64_u32_e32 v[2:3], v2
	s_delay_alu instid0(VALU_DEP_2) | instskip(NEXT) | instid1(VALU_DEP_1)
	v_ldexp_f64 v[6:7], v[6:7], 32
	v_add_f64_e32 v[2:3], v[6:7], v[2:3]
	s_branch .LBB142_256
.LBB142_253:
	s_mov_b32 s19, -1
                                        ; implicit-def: $vgpr2_vgpr3
	s_branch .LBB142_262
.LBB142_254:
	s_mov_b32 s19, -1
                                        ; implicit-def: $vgpr2_vgpr3
	s_branch .LBB142_259
.LBB142_255:
	s_mov_b32 s19, -1
                                        ; implicit-def: $vgpr2_vgpr3
.LBB142_256:
	s_delay_alu instid0(SALU_CYCLE_1)
	s_and_not1_b32 vcc_lo, exec_lo, s19
	s_cbranch_vccnz .LBB142_258
; %bb.257:
	s_wait_loadcnt 0x0
	global_load_b32 v2, v[4:5], off
	s_wait_loadcnt 0x0
	v_cvt_f64_i32_e32 v[2:3], v2
.LBB142_258:
	s_mov_b32 s19, 0
.LBB142_259:
	s_delay_alu instid0(SALU_CYCLE_1)
	s_and_not1_b32 vcc_lo, exec_lo, s19
	s_cbranch_vccnz .LBB142_261
; %bb.260:
	s_wait_loadcnt 0x0
	global_load_i16 v2, v[4:5], off
	s_wait_loadcnt 0x0
	v_cvt_f64_i32_e32 v[2:3], v2
.LBB142_261:
	s_mov_b32 s19, 0
.LBB142_262:
	s_delay_alu instid0(SALU_CYCLE_1)
	s_and_not1_b32 vcc_lo, exec_lo, s19
	s_cbranch_vccnz .LBB142_268
; %bb.263:
	s_cmp_gt_i32 s0, 0
	s_mov_b32 s0, 0
	s_cbranch_scc0 .LBB142_265
; %bb.264:
	s_wait_loadcnt 0x0
	global_load_i8 v2, v[4:5], off
	s_wait_loadcnt 0x0
	v_cvt_f64_i32_e32 v[2:3], v2
	s_branch .LBB142_266
.LBB142_265:
	s_mov_b32 s0, -1
                                        ; implicit-def: $vgpr2_vgpr3
.LBB142_266:
	s_delay_alu instid0(SALU_CYCLE_1)
	s_and_not1_b32 vcc_lo, exec_lo, s0
	s_cbranch_vccnz .LBB142_268
; %bb.267:
	s_wait_loadcnt 0x0
	global_load_u8 v2, v[4:5], off
	s_wait_loadcnt 0x0
	v_cvt_f64_u32_e32 v[2:3], v2
.LBB142_268:
	s_branch .LBB142_21
.LBB142_269:
	s_mov_b32 s0, 0
	s_mov_b32 s21, 0
	s_branch .LBB142_510
.LBB142_270:
	s_mov_b32 s21, -1
.LBB142_271:
	s_mov_b32 s19, 0
                                        ; implicit-def: $vgpr6_vgpr7
.LBB142_272:
	s_and_b32 vcc_lo, exec_lo, s26
	s_cbranch_vccz .LBB142_276
; %bb.273:
	s_cmp_eq_u32 s0, 44
	s_cbranch_scc0 .LBB142_275
; %bb.274:
	global_load_u8 v8, v[4:5], off
	s_mov_b32 s21, 0
	s_mov_b32 s19, -1
	s_wait_loadcnt 0x0
	v_cmp_ne_u32_e32 vcc_lo, 0xff, v8
	v_lshlrev_b32_e32 v6, 23, v8
	s_delay_alu instid0(VALU_DEP_1) | instskip(NEXT) | instid1(VALU_DEP_1)
	v_cvt_f64_f32_e32 v[6:7], v6
	v_cndmask_b32_e32 v6, 0x20000000, v6, vcc_lo
	s_delay_alu instid0(VALU_DEP_2) | instskip(SKIP_1) | instid1(VALU_DEP_2)
	v_cndmask_b32_e32 v7, 0x7ff80000, v7, vcc_lo
	v_cmp_ne_u32_e32 vcc_lo, 0, v8
	v_cndmask_b32_e32 v7, 0x38000000, v7, vcc_lo
	s_delay_alu instid0(VALU_DEP_4)
	v_cndmask_b32_e32 v6, 0, v6, vcc_lo
	s_branch .LBB142_276
.LBB142_275:
	s_mov_b32 s21, -1
                                        ; implicit-def: $vgpr6_vgpr7
.LBB142_276:
	s_mov_b32 s26, 0
.LBB142_277:
	s_delay_alu instid0(SALU_CYCLE_1)
	s_and_b32 vcc_lo, exec_lo, s26
	s_cbranch_vccz .LBB142_281
; %bb.278:
	s_cmp_eq_u32 s0, 29
	s_cbranch_scc0 .LBB142_280
; %bb.279:
	global_load_b64 v[6:7], v[4:5], off
	s_mov_b32 s19, -1
	s_mov_b32 s21, 0
	s_mov_b32 s26, 0
	s_wait_loadcnt 0x0
	v_cvt_f64_u32_e32 v[8:9], v7
	v_cvt_f64_u32_e32 v[6:7], v6
	s_delay_alu instid0(VALU_DEP_2) | instskip(NEXT) | instid1(VALU_DEP_1)
	v_ldexp_f64 v[8:9], v[8:9], 32
	v_add_f64_e32 v[6:7], v[8:9], v[6:7]
	s_branch .LBB142_282
.LBB142_280:
	s_mov_b32 s21, -1
                                        ; implicit-def: $vgpr6_vgpr7
.LBB142_281:
	s_mov_b32 s26, 0
.LBB142_282:
	s_delay_alu instid0(SALU_CYCLE_1)
	s_and_b32 vcc_lo, exec_lo, s26
	s_cbranch_vccz .LBB142_300
; %bb.283:
	s_cmp_lt_i32 s0, 27
	s_cbranch_scc1 .LBB142_286
; %bb.284:
	s_cmp_gt_i32 s0, 27
	s_cbranch_scc0 .LBB142_287
; %bb.285:
	global_load_b32 v6, v[4:5], off
	s_mov_b32 s19, 0
	s_wait_loadcnt 0x0
	v_cvt_f64_u32_e32 v[6:7], v6
	s_branch .LBB142_288
.LBB142_286:
	s_mov_b32 s19, -1
                                        ; implicit-def: $vgpr6_vgpr7
	s_branch .LBB142_291
.LBB142_287:
	s_mov_b32 s19, -1
                                        ; implicit-def: $vgpr6_vgpr7
.LBB142_288:
	s_delay_alu instid0(SALU_CYCLE_1)
	s_and_not1_b32 vcc_lo, exec_lo, s19
	s_cbranch_vccnz .LBB142_290
; %bb.289:
	global_load_u16 v6, v[4:5], off
	s_wait_loadcnt 0x0
	v_cvt_f64_u32_e32 v[6:7], v6
.LBB142_290:
	s_mov_b32 s19, 0
.LBB142_291:
	s_delay_alu instid0(SALU_CYCLE_1)
	s_and_not1_b32 vcc_lo, exec_lo, s19
	s_cbranch_vccnz .LBB142_299
; %bb.292:
	global_load_u8 v8, v[4:5], off
	s_mov_b32 s19, 0
	s_mov_b32 s26, exec_lo
	s_wait_loadcnt 0x0
	v_cmpx_lt_i16_e32 0x7f, v8
	s_xor_b32 s26, exec_lo, s26
	s_cbranch_execz .LBB142_313
; %bb.293:
	s_mov_b32 s19, -1
	s_mov_b32 s27, exec_lo
	v_cmpx_eq_u16_e32 0x80, v8
; %bb.294:
	s_xor_b32 s19, exec_lo, -1
; %bb.295:
	s_or_b32 exec_lo, exec_lo, s27
	s_delay_alu instid0(SALU_CYCLE_1)
	s_and_b32 s19, s19, exec_lo
	s_or_saveexec_b32 s26, s26
	v_mov_b64_e32 v[6:7], 0x7ff8000020000000
	s_xor_b32 exec_lo, exec_lo, s26
	s_cbranch_execnz .LBB142_314
.LBB142_296:
	s_or_b32 exec_lo, exec_lo, s26
	s_and_saveexec_b32 s26, s19
	s_cbranch_execz .LBB142_298
.LBB142_297:
	v_and_b32_e32 v6, 0xffff, v8
	s_delay_alu instid0(VALU_DEP_1) | instskip(SKIP_1) | instid1(VALU_DEP_2)
	v_and_b32_e32 v7, 7, v6
	v_bfe_u32 v11, v6, 3, 4
	v_clz_i32_u32_e32 v9, v7
	s_delay_alu instid0(VALU_DEP_2) | instskip(NEXT) | instid1(VALU_DEP_2)
	v_cmp_eq_u32_e32 vcc_lo, 0, v11
	v_min_u32_e32 v9, 32, v9
	s_delay_alu instid0(VALU_DEP_1) | instskip(NEXT) | instid1(VALU_DEP_1)
	v_subrev_nc_u32_e32 v10, 28, v9
	v_dual_lshlrev_b32 v6, v10, v6 :: v_dual_sub_nc_u32 v9, 29, v9
	s_delay_alu instid0(VALU_DEP_1) | instskip(NEXT) | instid1(VALU_DEP_2)
	v_dual_lshlrev_b32 v8, 24, v8 :: v_dual_bitop2_b32 v6, 7, v6 bitop3:0x40
	v_cndmask_b32_e32 v9, v11, v9, vcc_lo
	s_delay_alu instid0(VALU_DEP_2) | instskip(NEXT) | instid1(VALU_DEP_3)
	v_cndmask_b32_e32 v6, v7, v6, vcc_lo
	v_and_b32_e32 v7, 0x80000000, v8
	s_delay_alu instid0(VALU_DEP_3) | instskip(NEXT) | instid1(VALU_DEP_3)
	v_lshl_add_u32 v8, v9, 23, 0x3b800000
	v_lshlrev_b32_e32 v6, 20, v6
	s_delay_alu instid0(VALU_DEP_1) | instskip(NEXT) | instid1(VALU_DEP_1)
	v_or3_b32 v6, v7, v8, v6
	v_cvt_f64_f32_e32 v[6:7], v6
.LBB142_298:
	s_or_b32 exec_lo, exec_lo, s26
.LBB142_299:
	s_mov_b32 s19, -1
.LBB142_300:
	s_mov_b32 s26, 0
.LBB142_301:
	s_delay_alu instid0(SALU_CYCLE_1)
	s_and_b32 vcc_lo, exec_lo, s26
	s_cbranch_vccz .LBB142_336
; %bb.302:
	s_cmp_gt_i32 s0, 22
	s_cbranch_scc0 .LBB142_312
; %bb.303:
	s_cmp_lt_i32 s0, 24
	s_cbranch_scc1 .LBB142_315
; %bb.304:
	s_cmp_gt_i32 s0, 24
	s_cbranch_scc0 .LBB142_316
; %bb.305:
	global_load_u8 v8, v[4:5], off
	s_mov_b32 s19, 0
	s_mov_b32 s26, exec_lo
	s_wait_loadcnt 0x0
	v_cmpx_lt_i16_e32 0x7f, v8
	s_xor_b32 s26, exec_lo, s26
	s_cbranch_execz .LBB142_328
; %bb.306:
	s_mov_b32 s19, -1
	s_mov_b32 s27, exec_lo
	v_cmpx_eq_u16_e32 0x80, v8
; %bb.307:
	s_xor_b32 s19, exec_lo, -1
; %bb.308:
	s_or_b32 exec_lo, exec_lo, s27
	s_delay_alu instid0(SALU_CYCLE_1)
	s_and_b32 s19, s19, exec_lo
	s_or_saveexec_b32 s26, s26
	v_mov_b64_e32 v[6:7], 0x7ff8000020000000
	s_xor_b32 exec_lo, exec_lo, s26
	s_cbranch_execnz .LBB142_329
.LBB142_309:
	s_or_b32 exec_lo, exec_lo, s26
	s_and_saveexec_b32 s26, s19
	s_cbranch_execz .LBB142_311
.LBB142_310:
	v_and_b32_e32 v6, 0xffff, v8
	s_delay_alu instid0(VALU_DEP_1) | instskip(SKIP_1) | instid1(VALU_DEP_2)
	v_and_b32_e32 v7, 3, v6
	v_bfe_u32 v11, v6, 2, 5
	v_clz_i32_u32_e32 v9, v7
	s_delay_alu instid0(VALU_DEP_2) | instskip(NEXT) | instid1(VALU_DEP_2)
	v_cmp_eq_u32_e32 vcc_lo, 0, v11
	v_min_u32_e32 v9, 32, v9
	s_delay_alu instid0(VALU_DEP_1) | instskip(NEXT) | instid1(VALU_DEP_1)
	v_subrev_nc_u32_e32 v10, 29, v9
	v_dual_lshlrev_b32 v6, v10, v6 :: v_dual_sub_nc_u32 v9, 30, v9
	s_delay_alu instid0(VALU_DEP_1) | instskip(NEXT) | instid1(VALU_DEP_2)
	v_dual_lshlrev_b32 v8, 24, v8 :: v_dual_bitop2_b32 v6, 3, v6 bitop3:0x40
	v_cndmask_b32_e32 v9, v11, v9, vcc_lo
	s_delay_alu instid0(VALU_DEP_2) | instskip(NEXT) | instid1(VALU_DEP_3)
	v_cndmask_b32_e32 v6, v7, v6, vcc_lo
	v_and_b32_e32 v7, 0x80000000, v8
	s_delay_alu instid0(VALU_DEP_3) | instskip(NEXT) | instid1(VALU_DEP_3)
	v_lshl_add_u32 v8, v9, 23, 0x37800000
	v_lshlrev_b32_e32 v6, 21, v6
	s_delay_alu instid0(VALU_DEP_1) | instskip(NEXT) | instid1(VALU_DEP_1)
	v_or3_b32 v6, v7, v8, v6
	v_cvt_f64_f32_e32 v[6:7], v6
.LBB142_311:
	s_or_b32 exec_lo, exec_lo, s26
	s_mov_b32 s19, 0
	s_branch .LBB142_317
.LBB142_312:
	s_mov_b32 s26, -1
                                        ; implicit-def: $vgpr6_vgpr7
	s_branch .LBB142_323
.LBB142_313:
	s_or_saveexec_b32 s26, s26
	v_mov_b64_e32 v[6:7], 0x7ff8000020000000
	s_xor_b32 exec_lo, exec_lo, s26
	s_cbranch_execz .LBB142_296
.LBB142_314:
	v_cmp_ne_u16_e32 vcc_lo, 0, v8
	v_mov_b64_e32 v[6:7], 0
	s_and_not1_b32 s19, s19, exec_lo
	s_and_b32 s27, vcc_lo, exec_lo
	s_delay_alu instid0(SALU_CYCLE_1)
	s_or_b32 s19, s19, s27
	s_or_b32 exec_lo, exec_lo, s26
	s_and_saveexec_b32 s26, s19
	s_cbranch_execnz .LBB142_297
	s_branch .LBB142_298
.LBB142_315:
	s_mov_b32 s19, -1
                                        ; implicit-def: $vgpr6_vgpr7
	s_branch .LBB142_320
.LBB142_316:
	s_mov_b32 s19, -1
                                        ; implicit-def: $vgpr6_vgpr7
.LBB142_317:
	s_delay_alu instid0(SALU_CYCLE_1)
	s_and_b32 vcc_lo, exec_lo, s19
	s_cbranch_vccz .LBB142_319
; %bb.318:
	global_load_u8 v6, v[4:5], off
	s_wait_loadcnt 0x0
	v_lshlrev_b32_e32 v6, 24, v6
	s_delay_alu instid0(VALU_DEP_1) | instskip(NEXT) | instid1(VALU_DEP_1)
	v_and_b32_e32 v7, 0x7f000000, v6
	v_clz_i32_u32_e32 v8, v7
	v_cmp_ne_u32_e32 vcc_lo, 0, v7
	v_add_nc_u32_e32 v10, 0x1000000, v7
	s_delay_alu instid0(VALU_DEP_3) | instskip(NEXT) | instid1(VALU_DEP_1)
	v_min_u32_e32 v8, 32, v8
	v_sub_nc_u32_e64 v8, v8, 4 clamp
	s_delay_alu instid0(VALU_DEP_1) | instskip(NEXT) | instid1(VALU_DEP_1)
	v_dual_lshlrev_b32 v9, v8, v7 :: v_dual_lshlrev_b32 v8, 23, v8
	v_lshrrev_b32_e32 v9, 4, v9
	s_delay_alu instid0(VALU_DEP_1) | instskip(NEXT) | instid1(VALU_DEP_1)
	v_dual_sub_nc_u32 v8, v9, v8 :: v_dual_ashrrev_i32 v9, 8, v10
	v_add_nc_u32_e32 v8, 0x3c000000, v8
	s_delay_alu instid0(VALU_DEP_1) | instskip(NEXT) | instid1(VALU_DEP_1)
	v_and_or_b32 v8, 0x7f800000, v9, v8
	v_cndmask_b32_e32 v7, 0, v8, vcc_lo
	s_delay_alu instid0(VALU_DEP_1) | instskip(NEXT) | instid1(VALU_DEP_1)
	v_and_or_b32 v6, 0x80000000, v6, v7
	v_cvt_f64_f32_e32 v[6:7], v6
.LBB142_319:
	s_mov_b32 s19, 0
.LBB142_320:
	s_delay_alu instid0(SALU_CYCLE_1)
	s_and_not1_b32 vcc_lo, exec_lo, s19
	s_cbranch_vccnz .LBB142_322
; %bb.321:
	global_load_u8 v6, v[4:5], off
	s_wait_loadcnt 0x0
	v_lshlrev_b32_e32 v7, 25, v6
	v_lshlrev_b16 v6, 8, v6
	s_delay_alu instid0(VALU_DEP_1) | instskip(SKIP_1) | instid1(VALU_DEP_2)
	v_and_or_b32 v9, 0x7f00, v6, 0.5
	v_bfe_i32 v6, v6, 0, 16
	v_dual_add_f32 v9, -0.5, v9 :: v_dual_lshrrev_b32 v8, 4, v7
	v_cmp_gt_u32_e32 vcc_lo, 0x8000000, v7
	s_delay_alu instid0(VALU_DEP_2) | instskip(NEXT) | instid1(VALU_DEP_1)
	v_or_b32_e32 v8, 0x70000000, v8
	v_mul_f32_e32 v8, 0x7800000, v8
	s_delay_alu instid0(VALU_DEP_1) | instskip(NEXT) | instid1(VALU_DEP_1)
	v_cndmask_b32_e32 v7, v8, v9, vcc_lo
	v_and_or_b32 v6, 0x80000000, v6, v7
	s_delay_alu instid0(VALU_DEP_1)
	v_cvt_f64_f32_e32 v[6:7], v6
.LBB142_322:
	s_mov_b32 s26, 0
	s_mov_b32 s19, -1
.LBB142_323:
	s_and_not1_b32 vcc_lo, exec_lo, s26
	s_cbranch_vccnz .LBB142_336
; %bb.324:
	s_cmp_gt_i32 s0, 14
	s_cbranch_scc0 .LBB142_327
; %bb.325:
	s_cmp_eq_u32 s0, 15
	s_cbranch_scc0 .LBB142_330
; %bb.326:
	global_load_u16 v6, v[4:5], off
	s_mov_b32 s19, -1
	s_mov_b32 s21, 0
	s_wait_loadcnt 0x0
	v_lshlrev_b32_e32 v6, 16, v6
	s_delay_alu instid0(VALU_DEP_1)
	v_cvt_f64_f32_e32 v[6:7], v6
	s_branch .LBB142_331
.LBB142_327:
	s_mov_b32 s26, -1
                                        ; implicit-def: $vgpr6_vgpr7
	s_branch .LBB142_332
.LBB142_328:
	s_or_saveexec_b32 s26, s26
	v_mov_b64_e32 v[6:7], 0x7ff8000020000000
	s_xor_b32 exec_lo, exec_lo, s26
	s_cbranch_execz .LBB142_309
.LBB142_329:
	v_cmp_ne_u16_e32 vcc_lo, 0, v8
	v_mov_b64_e32 v[6:7], 0
	s_and_not1_b32 s19, s19, exec_lo
	s_and_b32 s27, vcc_lo, exec_lo
	s_delay_alu instid0(SALU_CYCLE_1)
	s_or_b32 s19, s19, s27
	s_or_b32 exec_lo, exec_lo, s26
	s_and_saveexec_b32 s26, s19
	s_cbranch_execnz .LBB142_310
	s_branch .LBB142_311
.LBB142_330:
	s_mov_b32 s21, -1
                                        ; implicit-def: $vgpr6_vgpr7
.LBB142_331:
	s_mov_b32 s26, 0
.LBB142_332:
	s_delay_alu instid0(SALU_CYCLE_1)
	s_and_b32 vcc_lo, exec_lo, s26
	s_cbranch_vccz .LBB142_336
; %bb.333:
	s_cmp_eq_u32 s0, 11
	s_cbranch_scc0 .LBB142_335
; %bb.334:
	global_load_u8 v6, v[4:5], off
	s_mov_b32 s21, 0
	s_mov_b32 s19, -1
	s_wait_loadcnt 0x0
	v_cmp_ne_u16_e32 vcc_lo, 0, v6
	v_mov_b32_e32 v6, 0
	v_cndmask_b32_e64 v7, 0, 0x3ff00000, vcc_lo
	s_branch .LBB142_336
.LBB142_335:
	s_mov_b32 s21, -1
                                        ; implicit-def: $vgpr6_vgpr7
.LBB142_336:
	s_mov_b32 s26, 0
.LBB142_337:
	s_delay_alu instid0(SALU_CYCLE_1)
	s_and_b32 vcc_lo, exec_lo, s26
	s_cbranch_vccz .LBB142_386
; %bb.338:
	s_cmp_lt_i32 s0, 5
	s_cbranch_scc1 .LBB142_343
; %bb.339:
	s_cmp_lt_i32 s0, 8
	s_cbranch_scc1 .LBB142_344
	;; [unrolled: 3-line block ×3, first 2 shown]
; %bb.341:
	s_cmp_gt_i32 s0, 9
	s_cbranch_scc0 .LBB142_346
; %bb.342:
	global_load_b64 v[6:7], v[4:5], off
	s_mov_b32 s19, 0
	s_branch .LBB142_347
.LBB142_343:
	s_mov_b32 s19, -1
                                        ; implicit-def: $vgpr6_vgpr7
	s_branch .LBB142_365
.LBB142_344:
	s_mov_b32 s19, -1
                                        ; implicit-def: $vgpr6_vgpr7
	s_branch .LBB142_353
.LBB142_345:
	s_mov_b32 s19, -1
                                        ; implicit-def: $vgpr6_vgpr7
	s_branch .LBB142_350
.LBB142_346:
	s_mov_b32 s19, -1
                                        ; implicit-def: $vgpr6_vgpr7
.LBB142_347:
	s_delay_alu instid0(SALU_CYCLE_1)
	s_and_not1_b32 vcc_lo, exec_lo, s19
	s_cbranch_vccnz .LBB142_349
; %bb.348:
	s_wait_loadcnt 0x0
	global_load_b32 v6, v[4:5], off
	s_wait_loadcnt 0x0
	v_cvt_f64_f32_e32 v[6:7], v6
.LBB142_349:
	s_mov_b32 s19, 0
.LBB142_350:
	s_delay_alu instid0(SALU_CYCLE_1)
	s_and_not1_b32 vcc_lo, exec_lo, s19
	s_cbranch_vccnz .LBB142_352
; %bb.351:
	s_wait_loadcnt 0x0
	global_load_b32 v6, v[4:5], off
	s_wait_loadcnt 0x0
	v_cvt_f32_f16_e32 v6, v6
	s_delay_alu instid0(VALU_DEP_1)
	v_cvt_f64_f32_e32 v[6:7], v6
.LBB142_352:
	s_mov_b32 s19, 0
.LBB142_353:
	s_delay_alu instid0(SALU_CYCLE_1)
	s_and_not1_b32 vcc_lo, exec_lo, s19
	s_cbranch_vccnz .LBB142_364
; %bb.354:
	s_cmp_lt_i32 s0, 6
	s_cbranch_scc1 .LBB142_357
; %bb.355:
	s_cmp_gt_i32 s0, 6
	s_cbranch_scc0 .LBB142_358
; %bb.356:
	s_wait_loadcnt 0x0
	global_load_b64 v[6:7], v[4:5], off
	s_mov_b32 s19, 0
	s_branch .LBB142_359
.LBB142_357:
	s_mov_b32 s19, -1
                                        ; implicit-def: $vgpr6_vgpr7
	s_branch .LBB142_362
.LBB142_358:
	s_mov_b32 s19, -1
                                        ; implicit-def: $vgpr6_vgpr7
.LBB142_359:
	s_delay_alu instid0(SALU_CYCLE_1)
	s_and_not1_b32 vcc_lo, exec_lo, s19
	s_cbranch_vccnz .LBB142_361
; %bb.360:
	s_wait_loadcnt 0x0
	global_load_b32 v6, v[4:5], off
	s_wait_loadcnt 0x0
	v_cvt_f64_f32_e32 v[6:7], v6
.LBB142_361:
	s_mov_b32 s19, 0
.LBB142_362:
	s_delay_alu instid0(SALU_CYCLE_1)
	s_and_not1_b32 vcc_lo, exec_lo, s19
	s_cbranch_vccnz .LBB142_364
; %bb.363:
	s_wait_loadcnt 0x0
	global_load_u16 v6, v[4:5], off
	s_wait_loadcnt 0x0
	v_cvt_f32_f16_e32 v6, v6
	s_delay_alu instid0(VALU_DEP_1)
	v_cvt_f64_f32_e32 v[6:7], v6
.LBB142_364:
	s_mov_b32 s19, 0
.LBB142_365:
	s_delay_alu instid0(SALU_CYCLE_1)
	s_and_not1_b32 vcc_lo, exec_lo, s19
	s_cbranch_vccnz .LBB142_385
; %bb.366:
	s_cmp_lt_i32 s0, 2
	s_cbranch_scc1 .LBB142_370
; %bb.367:
	s_cmp_lt_i32 s0, 3
	s_cbranch_scc1 .LBB142_371
; %bb.368:
	s_cmp_gt_i32 s0, 3
	s_cbranch_scc0 .LBB142_372
; %bb.369:
	s_wait_loadcnt 0x0
	global_load_b64 v[6:7], v[4:5], off
	s_mov_b32 s19, 0
	s_wait_loadcnt 0x0
	v_cvt_f64_i32_e32 v[8:9], v7
	v_cvt_f64_u32_e32 v[6:7], v6
	s_delay_alu instid0(VALU_DEP_2) | instskip(NEXT) | instid1(VALU_DEP_1)
	v_ldexp_f64 v[8:9], v[8:9], 32
	v_add_f64_e32 v[6:7], v[8:9], v[6:7]
	s_branch .LBB142_373
.LBB142_370:
	s_mov_b32 s19, -1
                                        ; implicit-def: $vgpr6_vgpr7
	s_branch .LBB142_379
.LBB142_371:
	s_mov_b32 s19, -1
                                        ; implicit-def: $vgpr6_vgpr7
	s_branch .LBB142_376
.LBB142_372:
	s_mov_b32 s19, -1
                                        ; implicit-def: $vgpr6_vgpr7
.LBB142_373:
	s_delay_alu instid0(SALU_CYCLE_1)
	s_and_not1_b32 vcc_lo, exec_lo, s19
	s_cbranch_vccnz .LBB142_375
; %bb.374:
	s_wait_loadcnt 0x0
	global_load_b32 v6, v[4:5], off
	s_wait_loadcnt 0x0
	v_cvt_f64_i32_e32 v[6:7], v6
.LBB142_375:
	s_mov_b32 s19, 0
.LBB142_376:
	s_delay_alu instid0(SALU_CYCLE_1)
	s_and_not1_b32 vcc_lo, exec_lo, s19
	s_cbranch_vccnz .LBB142_378
; %bb.377:
	s_wait_loadcnt 0x0
	global_load_i16 v6, v[4:5], off
	s_wait_loadcnt 0x0
	v_cvt_f64_i32_e32 v[6:7], v6
.LBB142_378:
	s_mov_b32 s19, 0
.LBB142_379:
	s_delay_alu instid0(SALU_CYCLE_1)
	s_and_not1_b32 vcc_lo, exec_lo, s19
	s_cbranch_vccnz .LBB142_385
; %bb.380:
	s_cmp_gt_i32 s0, 0
	s_mov_b32 s0, 0
	s_cbranch_scc0 .LBB142_382
; %bb.381:
	s_wait_loadcnt 0x0
	global_load_i8 v6, v[4:5], off
	s_wait_loadcnt 0x0
	v_cvt_f64_i32_e32 v[6:7], v6
	s_branch .LBB142_383
.LBB142_382:
	s_mov_b32 s0, -1
                                        ; implicit-def: $vgpr6_vgpr7
.LBB142_383:
	s_delay_alu instid0(SALU_CYCLE_1)
	s_and_not1_b32 vcc_lo, exec_lo, s0
	s_cbranch_vccnz .LBB142_385
; %bb.384:
	global_load_u8 v4, v[4:5], off
	s_wait_loadcnt 0x0
	v_cvt_f64_u32_e32 v[6:7], v4
.LBB142_385:
	s_mov_b32 s19, -1
.LBB142_386:
	s_delay_alu instid0(SALU_CYCLE_1)
	s_and_not1_b32 vcc_lo, exec_lo, s19
	s_cbranch_vccnz .LBB142_394
; %bb.387:
	s_wait_loadcnt 0x0
	s_delay_alu instid0(VALU_DEP_4) | instskip(SKIP_1) | instid1(VALU_DEP_3)
	v_max_num_f64_e32 v[4:5], v[2:3], v[2:3]
	v_max_num_f64_e32 v[8:9], v[0:1], v[0:1]
	;; [unrolled: 1-line block ×3, first 2 shown]
	v_cmp_u_f64_e32 vcc_lo, v[6:7], v[6:7]
	s_and_b32 s19, s2, 0xff
	s_delay_alu instid0(SALU_CYCLE_1) | instskip(NEXT) | instid1(VALU_DEP_3)
	s_cmp_lt_i32 s19, 11
	v_max_num_f64_e32 v[4:5], v[8:9], v[4:5]
	s_delay_alu instid0(VALU_DEP_1) | instskip(NEXT) | instid1(VALU_DEP_1)
	v_min_num_f64_e32 v[4:5], v[4:5], v[10:11]
	v_dual_cndmask_b32 v5, v5, v7 :: v_dual_cndmask_b32 v4, v4, v6
	v_cmp_u_f64_e32 vcc_lo, v[2:3], v[2:3]
	s_delay_alu instid0(VALU_DEP_2) | instskip(SKIP_2) | instid1(VALU_DEP_1)
	v_dual_cndmask_b32 v6, v4, v2 :: v_dual_cndmask_b32 v7, v5, v3
	v_cmp_u_f64_e32 vcc_lo, v[0:1], v[0:1]
	v_mul_lo_u32 v2, v26, s12
	v_ashrrev_i32_e32 v3, 31, v2
	s_delay_alu instid0(VALU_DEP_1)
	v_add_nc_u64_e32 v[4:5], s[4:5], v[2:3]
	v_dual_cndmask_b32 v1, v7, v1 :: v_dual_cndmask_b32 v0, v6, v0
	s_cbranch_scc1 .LBB142_395
; %bb.388:
	s_and_b32 s26, 0xffff, s19
	s_delay_alu instid0(SALU_CYCLE_1)
	s_cmp_gt_i32 s26, 25
	s_cbranch_scc0 .LBB142_396
; %bb.389:
	s_cmp_gt_i32 s26, 28
	s_cbranch_scc0 .LBB142_397
; %bb.390:
	;; [unrolled: 3-line block ×4, first 2 shown]
	s_mov_b32 s28, 0
	s_mov_b32 s0, -1
	s_cmp_eq_u32 s26, 46
	s_mov_b32 s27, 0
	s_cbranch_scc0 .LBB142_400
; %bb.393:
	v_cvt_f32_f64_e32 v2, v[0:1]
	s_mov_b32 s27, -1
	s_mov_b32 s0, 0
	s_delay_alu instid0(VALU_DEP_1) | instskip(SKIP_1) | instid1(VALU_DEP_2)
	v_bfe_u32 v3, v2, 16, 1
	v_cmp_o_f32_e32 vcc_lo, v2, v2
	v_add3_u32 v3, v2, v3, 0x7fff
	s_delay_alu instid0(VALU_DEP_1) | instskip(NEXT) | instid1(VALU_DEP_1)
	v_lshrrev_b32_e32 v3, 16, v3
	v_cndmask_b32_e32 v2, 0x7fc0, v3, vcc_lo
	global_store_b32 v[4:5], v2, off
	s_branch .LBB142_400
.LBB142_394:
	s_mov_b32 s0, 0
	s_branch .LBB142_510
.LBB142_395:
	s_mov_b32 s26, -1
	s_mov_b32 s0, 0
	s_mov_b32 s27, 0
	s_branch .LBB142_469
.LBB142_396:
	s_mov_b32 s0, 0
	s_mov_b32 s27, 0
	s_branch .LBB142_427
.LBB142_397:
	s_mov_b32 s0, 0
	s_mov_b32 s27, 0
	s_branch .LBB142_410
.LBB142_398:
	s_mov_b32 s0, 0
	s_mov_b32 s27, 0
	s_branch .LBB142_406
.LBB142_399:
	s_mov_b32 s0, 0
	s_mov_b32 s27, 0
.LBB142_400:
	s_and_b32 vcc_lo, exec_lo, s28
	s_cbranch_vccz .LBB142_405
; %bb.401:
	s_cmp_eq_u32 s26, 44
	s_mov_b32 s0, -1
	s_cbranch_scc0 .LBB142_405
; %bb.402:
	s_wait_xcnt 0x0
	v_cvt_f32_f64_e32 v2, v[0:1]
	v_mov_b32_e32 v3, 0xff
	s_mov_b32 s27, exec_lo
	s_delay_alu instid0(VALU_DEP_2) | instskip(NEXT) | instid1(VALU_DEP_1)
	v_bfe_u32 v6, v2, 23, 8
	v_cmpx_ne_u32_e32 0xff, v6
	s_cbranch_execz .LBB142_404
; %bb.403:
	v_and_b32_e32 v3, 0x400000, v2
	v_and_or_b32 v6, 0x3fffff, v2, v6
	v_lshrrev_b32_e32 v2, 23, v2
	s_delay_alu instid0(VALU_DEP_3) | instskip(NEXT) | instid1(VALU_DEP_3)
	v_cmp_ne_u32_e32 vcc_lo, 0, v3
	v_cmp_ne_u32_e64 s0, 0, v6
	s_and_b32 s0, vcc_lo, s0
	s_delay_alu instid0(SALU_CYCLE_1) | instskip(NEXT) | instid1(VALU_DEP_1)
	v_cndmask_b32_e64 v3, 0, 1, s0
	v_add_nc_u32_e32 v3, v2, v3
.LBB142_404:
	s_or_b32 exec_lo, exec_lo, s27
	s_mov_b32 s27, -1
	s_mov_b32 s0, 0
	global_store_b8 v[4:5], v3, off
.LBB142_405:
	s_mov_b32 s28, 0
.LBB142_406:
	s_delay_alu instid0(SALU_CYCLE_1)
	s_and_b32 vcc_lo, exec_lo, s28
	s_cbranch_vccz .LBB142_409
; %bb.407:
	s_cmp_eq_u32 s26, 29
	s_mov_b32 s0, -1
	s_cbranch_scc0 .LBB142_409
; %bb.408:
	s_wait_xcnt 0x0
	v_trunc_f64_e32 v[2:3], v[0:1]
	s_mov_b32 s27, -1
	s_mov_b32 s0, 0
	s_mov_b32 s28, 0
	s_delay_alu instid0(VALU_DEP_1) | instskip(NEXT) | instid1(VALU_DEP_1)
	v_ldexp_f64 v[6:7], v[2:3], 0xffffffe0
	v_floor_f64_e32 v[6:7], v[6:7]
	s_delay_alu instid0(VALU_DEP_1) | instskip(SKIP_1) | instid1(VALU_DEP_2)
	v_fmamk_f64 v[2:3], v[6:7], 0xc1f00000, v[2:3]
	v_cvt_u32_f64_e32 v7, v[6:7]
	v_cvt_u32_f64_e32 v6, v[2:3]
	global_store_b64 v[4:5], v[6:7], off
	s_branch .LBB142_410
.LBB142_409:
	s_mov_b32 s28, 0
.LBB142_410:
	s_delay_alu instid0(SALU_CYCLE_1)
	s_and_b32 vcc_lo, exec_lo, s28
	s_cbranch_vccz .LBB142_426
; %bb.411:
	s_cmp_lt_i32 s26, 27
	s_mov_b32 s27, -1
	s_cbranch_scc1 .LBB142_417
; %bb.412:
	s_wait_xcnt 0x0
	v_cvt_u32_f64_e32 v2, v[0:1]
	s_cmp_gt_i32 s26, 27
	s_cbranch_scc0 .LBB142_414
; %bb.413:
	s_mov_b32 s27, 0
	global_store_b32 v[4:5], v2, off
.LBB142_414:
	s_and_not1_b32 vcc_lo, exec_lo, s27
	s_cbranch_vccnz .LBB142_416
; %bb.415:
	global_store_b16 v[4:5], v2, off
.LBB142_416:
	s_mov_b32 s27, 0
.LBB142_417:
	s_delay_alu instid0(SALU_CYCLE_1)
	s_and_not1_b32 vcc_lo, exec_lo, s27
	s_cbranch_vccnz .LBB142_425
; %bb.418:
	s_wait_xcnt 0x0
	v_cvt_f32_f64_e32 v2, v[0:1]
	v_mov_b32_e32 v6, 0x80
	s_mov_b32 s27, exec_lo
	s_delay_alu instid0(VALU_DEP_2) | instskip(NEXT) | instid1(VALU_DEP_1)
	v_and_b32_e32 v3, 0x7fffffff, v2
	v_cmpx_gt_u32_e32 0x43800000, v3
	s_cbranch_execz .LBB142_424
; %bb.419:
	v_cmp_lt_u32_e32 vcc_lo, 0x3bffffff, v3
	s_mov_b32 s28, 0
                                        ; implicit-def: $vgpr3
	s_and_saveexec_b32 s29, vcc_lo
	s_delay_alu instid0(SALU_CYCLE_1)
	s_xor_b32 s29, exec_lo, s29
	s_cbranch_execz .LBB142_658
; %bb.420:
	v_bfe_u32 v3, v2, 20, 1
	s_mov_b32 s28, exec_lo
	s_delay_alu instid0(VALU_DEP_1) | instskip(NEXT) | instid1(VALU_DEP_1)
	v_add3_u32 v3, v2, v3, 0x487ffff
	v_lshrrev_b32_e32 v3, 20, v3
	s_and_not1_saveexec_b32 s29, s29
	s_cbranch_execnz .LBB142_659
.LBB142_421:
	s_or_b32 exec_lo, exec_lo, s29
	v_mov_b32_e32 v6, 0
	s_and_saveexec_b32 s29, s28
.LBB142_422:
	v_lshrrev_b32_e32 v2, 24, v2
	s_delay_alu instid0(VALU_DEP_1)
	v_and_or_b32 v6, 0x80, v2, v3
.LBB142_423:
	s_or_b32 exec_lo, exec_lo, s29
.LBB142_424:
	s_delay_alu instid0(SALU_CYCLE_1)
	s_or_b32 exec_lo, exec_lo, s27
	global_store_b8 v[4:5], v6, off
.LBB142_425:
	s_mov_b32 s27, -1
.LBB142_426:
	s_mov_b32 s28, 0
.LBB142_427:
	s_delay_alu instid0(SALU_CYCLE_1)
	s_and_b32 vcc_lo, exec_lo, s28
	s_cbranch_vccz .LBB142_468
; %bb.428:
	s_cmp_gt_i32 s26, 22
	s_mov_b32 s28, -1
	s_cbranch_scc0 .LBB142_460
; %bb.429:
	s_cmp_lt_i32 s26, 24
	s_mov_b32 s27, -1
	s_cbranch_scc1 .LBB142_449
; %bb.430:
	s_cmp_gt_i32 s26, 24
	s_cbranch_scc0 .LBB142_438
; %bb.431:
	s_wait_xcnt 0x0
	v_cvt_f32_f64_e32 v2, v[0:1]
	v_mov_b32_e32 v6, 0x80
	s_mov_b32 s27, exec_lo
	s_delay_alu instid0(VALU_DEP_2) | instskip(NEXT) | instid1(VALU_DEP_1)
	v_and_b32_e32 v3, 0x7fffffff, v2
	v_cmpx_gt_u32_e32 0x47800000, v3
	s_cbranch_execz .LBB142_437
; %bb.432:
	v_cmp_lt_u32_e32 vcc_lo, 0x37ffffff, v3
	s_mov_b32 s28, 0
                                        ; implicit-def: $vgpr3
	s_and_saveexec_b32 s29, vcc_lo
	s_delay_alu instid0(SALU_CYCLE_1)
	s_xor_b32 s29, exec_lo, s29
	s_cbranch_execz .LBB142_790
; %bb.433:
	v_bfe_u32 v3, v2, 21, 1
	s_mov_b32 s28, exec_lo
	s_delay_alu instid0(VALU_DEP_1) | instskip(NEXT) | instid1(VALU_DEP_1)
	v_add3_u32 v3, v2, v3, 0x88fffff
	v_lshrrev_b32_e32 v3, 21, v3
	s_and_not1_saveexec_b32 s29, s29
	s_cbranch_execnz .LBB142_791
.LBB142_434:
	s_or_b32 exec_lo, exec_lo, s29
	v_mov_b32_e32 v6, 0
	s_and_saveexec_b32 s29, s28
.LBB142_435:
	v_lshrrev_b32_e32 v2, 24, v2
	s_delay_alu instid0(VALU_DEP_1)
	v_and_or_b32 v6, 0x80, v2, v3
.LBB142_436:
	s_or_b32 exec_lo, exec_lo, s29
.LBB142_437:
	s_delay_alu instid0(SALU_CYCLE_1)
	s_or_b32 exec_lo, exec_lo, s27
	s_mov_b32 s27, 0
	global_store_b8 v[4:5], v6, off
.LBB142_438:
	s_and_b32 vcc_lo, exec_lo, s27
	s_cbranch_vccz .LBB142_448
; %bb.439:
	s_wait_xcnt 0x0
	v_cvt_f32_f64_e32 v2, v[0:1]
	s_mov_b32 s27, exec_lo
                                        ; implicit-def: $vgpr3
	s_delay_alu instid0(VALU_DEP_1) | instskip(NEXT) | instid1(VALU_DEP_1)
	v_and_b32_e32 v6, 0x7fffffff, v2
	v_cmpx_gt_u32_e32 0x43f00000, v6
	s_xor_b32 s27, exec_lo, s27
	s_cbranch_execz .LBB142_445
; %bb.440:
	s_mov_b32 s28, exec_lo
                                        ; implicit-def: $vgpr3
	v_cmpx_lt_u32_e32 0x3c7fffff, v6
	s_xor_b32 s28, exec_lo, s28
; %bb.441:
	v_bfe_u32 v3, v2, 20, 1
	s_delay_alu instid0(VALU_DEP_1) | instskip(NEXT) | instid1(VALU_DEP_1)
	v_add3_u32 v3, v2, v3, 0x407ffff
	v_and_b32_e32 v6, 0xff00000, v3
	v_lshrrev_b32_e32 v3, 20, v3
	s_delay_alu instid0(VALU_DEP_2) | instskip(NEXT) | instid1(VALU_DEP_2)
	v_cmp_ne_u32_e32 vcc_lo, 0x7f00000, v6
	v_cndmask_b32_e32 v3, 0x7e, v3, vcc_lo
; %bb.442:
	s_and_not1_saveexec_b32 s28, s28
; %bb.443:
	v_add_f32_e64 v3, 0x46800000, |v2|
; %bb.444:
	s_or_b32 exec_lo, exec_lo, s28
                                        ; implicit-def: $vgpr6
.LBB142_445:
	s_and_not1_saveexec_b32 s27, s27
; %bb.446:
	v_mov_b32_e32 v3, 0x7f
	v_cmp_lt_u32_e32 vcc_lo, 0x7f800000, v6
	s_delay_alu instid0(VALU_DEP_2)
	v_cndmask_b32_e32 v3, 0x7e, v3, vcc_lo
; %bb.447:
	s_or_b32 exec_lo, exec_lo, s27
	v_lshrrev_b32_e32 v2, 24, v2
	s_delay_alu instid0(VALU_DEP_1)
	v_and_or_b32 v2, 0x80, v2, v3
	global_store_b8 v[4:5], v2, off
.LBB142_448:
	s_mov_b32 s27, 0
.LBB142_449:
	s_delay_alu instid0(SALU_CYCLE_1)
	s_and_not1_b32 vcc_lo, exec_lo, s27
	s_cbranch_vccnz .LBB142_459
; %bb.450:
	s_wait_xcnt 0x0
	v_cvt_f32_f64_e32 v2, v[0:1]
	s_mov_b32 s27, exec_lo
                                        ; implicit-def: $vgpr3
	s_delay_alu instid0(VALU_DEP_1) | instskip(NEXT) | instid1(VALU_DEP_1)
	v_and_b32_e32 v6, 0x7fffffff, v2
	v_cmpx_gt_u32_e32 0x47800000, v6
	s_xor_b32 s27, exec_lo, s27
	s_cbranch_execz .LBB142_456
; %bb.451:
	s_mov_b32 s28, exec_lo
                                        ; implicit-def: $vgpr3
	v_cmpx_lt_u32_e32 0x387fffff, v6
	s_xor_b32 s28, exec_lo, s28
; %bb.452:
	v_bfe_u32 v3, v2, 21, 1
	s_delay_alu instid0(VALU_DEP_1) | instskip(NEXT) | instid1(VALU_DEP_1)
	v_add3_u32 v3, v2, v3, 0x80fffff
	v_lshrrev_b32_e32 v3, 21, v3
; %bb.453:
	s_and_not1_saveexec_b32 s28, s28
; %bb.454:
	v_add_f32_e64 v3, 0x43000000, |v2|
; %bb.455:
	s_or_b32 exec_lo, exec_lo, s28
                                        ; implicit-def: $vgpr6
.LBB142_456:
	s_and_not1_saveexec_b32 s27, s27
; %bb.457:
	v_mov_b32_e32 v3, 0x7f
	v_cmp_lt_u32_e32 vcc_lo, 0x7f800000, v6
	s_delay_alu instid0(VALU_DEP_2)
	v_cndmask_b32_e32 v3, 0x7c, v3, vcc_lo
; %bb.458:
	s_or_b32 exec_lo, exec_lo, s27
	v_lshrrev_b32_e32 v2, 24, v2
	s_delay_alu instid0(VALU_DEP_1)
	v_and_or_b32 v2, 0x80, v2, v3
	global_store_b8 v[4:5], v2, off
.LBB142_459:
	s_mov_b32 s28, 0
	s_mov_b32 s27, -1
.LBB142_460:
	s_and_not1_b32 vcc_lo, exec_lo, s28
	s_cbranch_vccnz .LBB142_468
; %bb.461:
	s_cmp_gt_i32 s26, 14
	s_mov_b32 s28, -1
	s_cbranch_scc0 .LBB142_465
; %bb.462:
	s_cmp_eq_u32 s26, 15
	s_mov_b32 s0, -1
	s_cbranch_scc0 .LBB142_464
; %bb.463:
	s_wait_xcnt 0x0
	v_cvt_f32_f64_e32 v2, v[0:1]
	s_mov_b32 s27, -1
	s_mov_b32 s0, 0
	s_delay_alu instid0(VALU_DEP_1) | instskip(SKIP_1) | instid1(VALU_DEP_2)
	v_bfe_u32 v3, v2, 16, 1
	v_cmp_o_f32_e32 vcc_lo, v2, v2
	v_add3_u32 v3, v2, v3, 0x7fff
	s_delay_alu instid0(VALU_DEP_1) | instskip(NEXT) | instid1(VALU_DEP_1)
	v_lshrrev_b32_e32 v3, 16, v3
	v_cndmask_b32_e32 v2, 0x7fc0, v3, vcc_lo
	global_store_b16 v[4:5], v2, off
.LBB142_464:
	s_mov_b32 s28, 0
.LBB142_465:
	s_delay_alu instid0(SALU_CYCLE_1)
	s_and_b32 vcc_lo, exec_lo, s28
	s_cbranch_vccz .LBB142_468
; %bb.466:
	s_cmp_eq_u32 s26, 11
	s_mov_b32 s0, -1
	s_cbranch_scc0 .LBB142_468
; %bb.467:
	v_cmp_neq_f64_e32 vcc_lo, 0, v[0:1]
	s_mov_b32 s27, -1
	s_mov_b32 s0, 0
	s_wait_xcnt 0x0
	v_cndmask_b32_e64 v2, 0, 1, vcc_lo
	global_store_b8 v[4:5], v2, off
.LBB142_468:
	s_mov_b32 s26, 0
.LBB142_469:
	s_delay_alu instid0(SALU_CYCLE_1)
	s_and_b32 vcc_lo, exec_lo, s26
	s_cbranch_vccz .LBB142_508
; %bb.470:
	s_and_b32 s19, 0xffff, s19
	s_mov_b32 s26, -1
	s_cmp_lt_i32 s19, 5
	s_cbranch_scc1 .LBB142_491
; %bb.471:
	s_cmp_lt_i32 s19, 8
	s_cbranch_scc1 .LBB142_481
; %bb.472:
	;; [unrolled: 3-line block ×3, first 2 shown]
	s_cmp_gt_i32 s19, 9
	s_cbranch_scc0 .LBB142_475
; %bb.474:
	s_wait_xcnt 0x0
	v_mov_b32_e32 v2, 0
	s_mov_b32 s26, 0
	s_delay_alu instid0(VALU_DEP_1)
	v_mov_b32_e32 v3, v2
	global_store_b128 v[4:5], v[0:3], off
.LBB142_475:
	s_and_not1_b32 vcc_lo, exec_lo, s26
	s_cbranch_vccnz .LBB142_477
; %bb.476:
	s_wait_xcnt 0x0
	v_cvt_f32_f64_e32 v2, v[0:1]
	v_mov_b32_e32 v3, 0
	global_store_b64 v[4:5], v[2:3], off
.LBB142_477:
	s_mov_b32 s26, 0
.LBB142_478:
	s_delay_alu instid0(SALU_CYCLE_1)
	s_and_not1_b32 vcc_lo, exec_lo, s26
	s_cbranch_vccnz .LBB142_480
; %bb.479:
	s_wait_xcnt 0x0
	v_and_or_b32 v2, 0x1ff, v1, v0
	v_lshrrev_b32_e32 v3, 8, v1
	v_bfe_u32 v6, v1, 20, 11
	s_delay_alu instid0(VALU_DEP_3) | instskip(NEXT) | instid1(VALU_DEP_2)
	v_cmp_ne_u32_e32 vcc_lo, 0, v2
	v_sub_nc_u32_e32 v7, 0x3f1, v6
	v_cndmask_b32_e64 v2, 0, 1, vcc_lo
	s_delay_alu instid0(VALU_DEP_1) | instskip(NEXT) | instid1(VALU_DEP_3)
	v_and_or_b32 v2, 0xffe, v3, v2
	v_med3_i32 v3, v7, 0, 13
	s_delay_alu instid0(VALU_DEP_2) | instskip(NEXT) | instid1(VALU_DEP_1)
	v_or_b32_e32 v7, 0x1000, v2
	v_lshrrev_b32_e32 v8, v3, v7
	s_delay_alu instid0(VALU_DEP_1) | instskip(NEXT) | instid1(VALU_DEP_1)
	v_lshlrev_b32_e32 v3, v3, v8
	v_cmp_ne_u32_e32 vcc_lo, v3, v7
	v_cndmask_b32_e64 v3, 0, 1, vcc_lo
	s_delay_alu instid0(VALU_DEP_1) | instskip(SKIP_1) | instid1(VALU_DEP_1)
	v_or_b32_e32 v3, v8, v3
	v_add_nc_u32_e32 v6, 0xfffffc10, v6
	v_lshl_or_b32 v7, v6, 12, v2
	v_cmp_gt_i32_e32 vcc_lo, 1, v6
	s_delay_alu instid0(VALU_DEP_2) | instskip(NEXT) | instid1(VALU_DEP_1)
	v_cndmask_b32_e32 v3, v7, v3, vcc_lo
	v_dual_lshrrev_b32 v3, 2, v3 :: v_dual_bitop2_b32 v7, 7, v3 bitop3:0x40
	s_delay_alu instid0(VALU_DEP_1) | instskip(SKIP_4) | instid1(VALU_DEP_2)
	v_cmp_lt_i32_e32 vcc_lo, 5, v7
	v_cndmask_b32_e64 v8, 0, 1, vcc_lo
	v_cmp_eq_u32_e32 vcc_lo, 3, v7
	v_cndmask_b32_e64 v7, 0, 1, vcc_lo
	v_cmp_ne_u32_e32 vcc_lo, 0, v2
	v_or_b32_e32 v7, v7, v8
	s_delay_alu instid0(VALU_DEP_1) | instskip(NEXT) | instid1(VALU_DEP_1)
	v_dual_mov_b32 v8, 0x7e00 :: v_dual_add_nc_u32 v3, v3, v7
	v_cndmask_b32_e32 v2, 0x7c00, v8, vcc_lo
	v_cmp_gt_i32_e32 vcc_lo, 31, v6
	v_lshrrev_b32_e32 v7, 16, v1
	s_delay_alu instid0(VALU_DEP_4) | instskip(SKIP_1) | instid1(VALU_DEP_2)
	v_cndmask_b32_e32 v3, 0x7c00, v3, vcc_lo
	v_cmp_eq_u32_e32 vcc_lo, 0x40f, v6
	v_cndmask_b32_e32 v2, v3, v2, vcc_lo
	s_delay_alu instid0(VALU_DEP_4) | instskip(NEXT) | instid1(VALU_DEP_1)
	v_and_b32_e32 v3, 0x8000, v7
	v_bitop3_b32 v2, v3, 0xffff, v2 bitop3:0xc8
	global_store_b32 v[4:5], v2, off
.LBB142_480:
	s_mov_b32 s26, 0
.LBB142_481:
	s_delay_alu instid0(SALU_CYCLE_1)
	s_and_not1_b32 vcc_lo, exec_lo, s26
	s_cbranch_vccnz .LBB142_490
; %bb.482:
	s_cmp_lt_i32 s19, 6
	s_mov_b32 s26, -1
	s_cbranch_scc1 .LBB142_488
; %bb.483:
	s_cmp_gt_i32 s19, 6
	s_cbranch_scc0 .LBB142_485
; %bb.484:
	s_mov_b32 s26, 0
	global_store_b64 v[4:5], v[0:1], off
.LBB142_485:
	s_and_not1_b32 vcc_lo, exec_lo, s26
	s_cbranch_vccnz .LBB142_487
; %bb.486:
	s_wait_xcnt 0x0
	v_cvt_f32_f64_e32 v2, v[0:1]
	global_store_b32 v[4:5], v2, off
.LBB142_487:
	s_mov_b32 s26, 0
.LBB142_488:
	s_delay_alu instid0(SALU_CYCLE_1)
	s_and_not1_b32 vcc_lo, exec_lo, s26
	s_cbranch_vccnz .LBB142_490
; %bb.489:
	s_wait_xcnt 0x0
	v_and_or_b32 v2, 0x1ff, v1, v0
	v_lshrrev_b32_e32 v3, 8, v1
	v_bfe_u32 v6, v1, 20, 11
	s_delay_alu instid0(VALU_DEP_3) | instskip(NEXT) | instid1(VALU_DEP_2)
	v_cmp_ne_u32_e32 vcc_lo, 0, v2
	v_sub_nc_u32_e32 v7, 0x3f1, v6
	v_cndmask_b32_e64 v2, 0, 1, vcc_lo
	s_delay_alu instid0(VALU_DEP_1) | instskip(NEXT) | instid1(VALU_DEP_3)
	v_and_or_b32 v2, 0xffe, v3, v2
	v_med3_i32 v3, v7, 0, 13
	s_delay_alu instid0(VALU_DEP_2) | instskip(NEXT) | instid1(VALU_DEP_1)
	v_or_b32_e32 v7, 0x1000, v2
	v_lshrrev_b32_e32 v8, v3, v7
	s_delay_alu instid0(VALU_DEP_1) | instskip(NEXT) | instid1(VALU_DEP_1)
	v_lshlrev_b32_e32 v3, v3, v8
	v_cmp_ne_u32_e32 vcc_lo, v3, v7
	v_cndmask_b32_e64 v3, 0, 1, vcc_lo
	s_delay_alu instid0(VALU_DEP_1) | instskip(SKIP_1) | instid1(VALU_DEP_1)
	v_or_b32_e32 v3, v8, v3
	v_add_nc_u32_e32 v6, 0xfffffc10, v6
	v_lshl_or_b32 v7, v6, 12, v2
	v_cmp_gt_i32_e32 vcc_lo, 1, v6
	s_delay_alu instid0(VALU_DEP_2) | instskip(NEXT) | instid1(VALU_DEP_1)
	v_cndmask_b32_e32 v3, v7, v3, vcc_lo
	v_dual_lshrrev_b32 v3, 2, v3 :: v_dual_bitop2_b32 v7, 7, v3 bitop3:0x40
	s_delay_alu instid0(VALU_DEP_1) | instskip(SKIP_4) | instid1(VALU_DEP_2)
	v_cmp_lt_i32_e32 vcc_lo, 5, v7
	v_cndmask_b32_e64 v8, 0, 1, vcc_lo
	v_cmp_eq_u32_e32 vcc_lo, 3, v7
	v_cndmask_b32_e64 v7, 0, 1, vcc_lo
	v_cmp_ne_u32_e32 vcc_lo, 0, v2
	v_or_b32_e32 v7, v7, v8
	s_delay_alu instid0(VALU_DEP_1) | instskip(NEXT) | instid1(VALU_DEP_1)
	v_dual_mov_b32 v8, 0x7e00 :: v_dual_add_nc_u32 v3, v3, v7
	v_cndmask_b32_e32 v2, 0x7c00, v8, vcc_lo
	v_cmp_gt_i32_e32 vcc_lo, 31, v6
	s_delay_alu instid0(VALU_DEP_3) | instskip(SKIP_1) | instid1(VALU_DEP_2)
	v_cndmask_b32_e32 v3, 0x7c00, v3, vcc_lo
	v_cmp_eq_u32_e32 vcc_lo, 0x40f, v6
	v_dual_cndmask_b32 v2, v3, v2 :: v_dual_lshrrev_b32 v3, 16, v1
	s_delay_alu instid0(VALU_DEP_1)
	v_and_or_b32 v2, 0x8000, v3, v2
	global_store_b16 v[4:5], v2, off
.LBB142_490:
	s_mov_b32 s26, 0
.LBB142_491:
	s_delay_alu instid0(SALU_CYCLE_1)
	s_and_not1_b32 vcc_lo, exec_lo, s26
	s_cbranch_vccnz .LBB142_507
; %bb.492:
	s_cmp_lt_i32 s19, 2
	s_mov_b32 s26, -1
	s_cbranch_scc1 .LBB142_502
; %bb.493:
	s_cmp_lt_i32 s19, 3
	s_cbranch_scc1 .LBB142_499
; %bb.494:
	s_cmp_gt_i32 s19, 3
	s_cbranch_scc0 .LBB142_496
; %bb.495:
	s_wait_xcnt 0x0
	v_trunc_f64_e32 v[2:3], v[0:1]
	s_mov_b32 s26, 0
	s_delay_alu instid0(VALU_DEP_1) | instskip(NEXT) | instid1(VALU_DEP_1)
	v_ldexp_f64 v[6:7], v[2:3], 0xffffffe0
	v_floor_f64_e32 v[6:7], v[6:7]
	s_delay_alu instid0(VALU_DEP_1) | instskip(SKIP_1) | instid1(VALU_DEP_2)
	v_fmamk_f64 v[2:3], v[6:7], 0xc1f00000, v[2:3]
	v_cvt_i32_f64_e32 v7, v[6:7]
	v_cvt_u32_f64_e32 v6, v[2:3]
	global_store_b64 v[4:5], v[6:7], off
.LBB142_496:
	s_and_not1_b32 vcc_lo, exec_lo, s26
	s_cbranch_vccnz .LBB142_498
; %bb.497:
	s_wait_xcnt 0x0
	v_cvt_i32_f64_e32 v2, v[0:1]
	global_store_b32 v[4:5], v2, off
.LBB142_498:
	s_mov_b32 s26, 0
.LBB142_499:
	s_delay_alu instid0(SALU_CYCLE_1)
	s_and_not1_b32 vcc_lo, exec_lo, s26
	s_cbranch_vccnz .LBB142_501
; %bb.500:
	s_wait_xcnt 0x0
	v_cvt_i32_f64_e32 v2, v[0:1]
	global_store_b16 v[4:5], v2, off
.LBB142_501:
	s_mov_b32 s26, 0
.LBB142_502:
	s_delay_alu instid0(SALU_CYCLE_1)
	s_and_not1_b32 vcc_lo, exec_lo, s26
	s_cbranch_vccnz .LBB142_507
; %bb.503:
	s_cmp_gt_i32 s19, 0
	s_mov_b32 s19, -1
	s_cbranch_scc0 .LBB142_505
; %bb.504:
	s_wait_xcnt 0x0
	v_cvt_i32_f64_e32 v2, v[0:1]
	s_mov_b32 s19, 0
	global_store_b8 v[4:5], v2, off
.LBB142_505:
	s_and_not1_b32 vcc_lo, exec_lo, s19
	s_cbranch_vccnz .LBB142_507
; %bb.506:
	s_wait_xcnt 0x0
	v_trunc_f64_e32 v[0:1], v[0:1]
	s_delay_alu instid0(VALU_DEP_1) | instskip(NEXT) | instid1(VALU_DEP_1)
	v_ldexp_f64 v[2:3], v[0:1], 0xffffffe0
	v_floor_f64_e32 v[2:3], v[2:3]
	s_delay_alu instid0(VALU_DEP_1) | instskip(NEXT) | instid1(VALU_DEP_1)
	v_fmamk_f64 v[0:1], v[2:3], 0xc1f00000, v[0:1]
	v_cvt_u32_f64_e32 v0, v[0:1]
	global_store_b8 v[4:5], v0, off
.LBB142_507:
	s_mov_b32 s27, -1
.LBB142_508:
	s_delay_alu instid0(SALU_CYCLE_1)
	s_and_not1_b32 vcc_lo, exec_lo, s27
	s_cbranch_vccnz .LBB142_510
; %bb.509:
	v_add_nc_u32_e32 v26, 0x80, v26
	s_mov_b32 s26, -1
	s_branch .LBB142_511
.LBB142_510:
	s_mov_b32 s26, 0
                                        ; implicit-def: $vgpr26
.LBB142_511:
	s_and_b32 s19, s0, exec_lo
	s_and_b32 s21, s21, exec_lo
	;; [unrolled: 1-line block ×4, first 2 shown]
	s_or_not1_b32 s28, s26, exec_lo
.LBB142_512:
	s_wait_xcnt 0x0
	s_or_b32 exec_lo, exec_lo, s24
	s_mov_b32 s27, 0
	s_mov_b32 s26, 0
                                        ; implicit-def: $sgpr0
                                        ; implicit-def: $vgpr0_vgpr1
                                        ; implicit-def: $vgpr2_vgpr3
	s_and_saveexec_b32 s24, s28
	s_cbranch_execz .LBB142_521
; %bb.513:
	s_mov_b32 s31, -1
	s_mov_b32 s25, s23
	s_mov_b32 s28, s22
	;; [unrolled: 1-line block ×4, first 2 shown]
	s_mov_b32 s29, exec_lo
	v_cmpx_gt_i32_e64 s20, v26
	s_cbranch_execz .LBB142_1035
; %bb.514:
	s_wait_loadcnt 0x0
	v_mul_lo_u32 v0, v26, s13
	s_and_b32 s0, s17, 0xff
	s_delay_alu instid0(SALU_CYCLE_1) | instskip(NEXT) | instid1(VALU_DEP_1)
	s_cmp_lt_i32 s0, 11
	v_ashrrev_i32_e32 v1, 31, v0
	s_delay_alu instid0(VALU_DEP_1)
	v_add_nc_u64_e32 v[2:3], s[6:7], v[0:1]
	s_cbranch_scc1 .LBB142_524
; %bb.515:
	s_and_b32 s26, 0xffff, s0
	s_delay_alu instid0(SALU_CYCLE_1)
	s_cmp_gt_i32 s26, 25
	s_cbranch_scc0 .LBB142_533
; %bb.516:
	s_cmp_gt_i32 s26, 28
	s_cbranch_scc0 .LBB142_535
; %bb.517:
	;; [unrolled: 3-line block ×4, first 2 shown]
	s_cmp_eq_u32 s26, 46
	s_mov_b32 s28, 0
	s_cbranch_scc0 .LBB142_541
; %bb.520:
	global_load_b32 v0, v[2:3], off
	s_mov_b32 s27, -1
	s_mov_b32 s25, 0
	s_wait_loadcnt 0x0
	v_lshlrev_b32_e32 v0, 16, v0
	s_delay_alu instid0(VALU_DEP_1)
	v_cvt_f64_f32_e32 v[0:1], v0
	s_branch .LBB142_543
.LBB142_521:
	s_or_b32 exec_lo, exec_lo, s24
	s_mov_b32 s20, 0
	s_and_saveexec_b32 s24, s23
	s_cbranch_execnz .LBB142_1639
.LBB142_522:
	s_or_b32 exec_lo, exec_lo, s24
	s_and_saveexec_b32 s23, s25
	s_delay_alu instid0(SALU_CYCLE_1)
	s_xor_b32 s23, exec_lo, s23
	s_cbranch_execz .LBB142_1640
.LBB142_523:
	s_wait_loadcnt 0x0
	global_load_u8 v2, v[0:1], off
	s_or_b32 s26, s26, exec_lo
	s_wait_loadcnt 0x0
	v_cmp_ne_u16_e32 vcc_lo, 0, v2
	v_mov_b32_e32 v2, 0
	v_cndmask_b32_e64 v3, 0, 0x3ff00000, vcc_lo
	s_wait_xcnt 0x0
	s_or_b32 exec_lo, exec_lo, s23
	s_and_saveexec_b32 s23, s27
	s_cbranch_execz .LBB142_1686
	s_branch .LBB142_1641
.LBB142_524:
	s_mov_b32 s27, 0
	s_mov_b32 s25, s23
                                        ; implicit-def: $vgpr0_vgpr1
	s_cbranch_execnz .LBB142_609
.LBB142_525:
	s_and_not1_b32 vcc_lo, exec_lo, s27
	s_cbranch_vccnz .LBB142_657
.LBB142_526:
	s_wait_xcnt 0x0
	v_mul_lo_u32 v2, v26, s14
	s_and_b32 s0, s3, 0xff
	s_delay_alu instid0(SALU_CYCLE_1) | instskip(NEXT) | instid1(VALU_DEP_1)
	s_cmp_lt_i32 s0, 11
	v_ashrrev_i32_e32 v3, 31, v2
	s_delay_alu instid0(VALU_DEP_1)
	v_add_nc_u64_e32 v[4:5], s[8:9], v[2:3]
	s_cbranch_scc1 .LBB142_534
; %bb.527:
	s_and_b32 s26, 0xffff, s0
	s_delay_alu instid0(SALU_CYCLE_1)
	s_cmp_gt_i32 s26, 25
	s_cbranch_scc0 .LBB142_536
; %bb.528:
	s_cmp_gt_i32 s26, 28
	s_cbranch_scc0 .LBB142_538
; %bb.529:
	;; [unrolled: 3-line block ×4, first 2 shown]
	s_cmp_eq_u32 s26, 46
	s_mov_b32 s30, 0
	s_cbranch_scc0 .LBB142_660
; %bb.532:
	global_load_b32 v2, v[4:5], off
	s_mov_b32 s27, -1
	s_mov_b32 s28, 0
	s_wait_loadcnt 0x0
	v_lshlrev_b32_e32 v2, 16, v2
	s_delay_alu instid0(VALU_DEP_1)
	v_cvt_f64_f32_e32 v[2:3], v2
	s_branch .LBB142_662
.LBB142_533:
	s_mov_b32 s28, -1
	s_mov_b32 s27, 0
	s_mov_b32 s25, s23
                                        ; implicit-def: $vgpr0_vgpr1
	s_branch .LBB142_573
.LBB142_534:
	s_mov_b32 s26, -1
	s_mov_b32 s27, 0
	s_mov_b32 s28, s22
                                        ; implicit-def: $vgpr2_vgpr3
	s_branch .LBB142_727
.LBB142_535:
	s_mov_b32 s28, -1
	s_mov_b32 s27, 0
	s_mov_b32 s25, s23
                                        ; implicit-def: $vgpr0_vgpr1
	s_branch .LBB142_554
.LBB142_536:
	s_mov_b32 s30, -1
	s_mov_b32 s27, 0
	s_mov_b32 s28, s22
                                        ; implicit-def: $vgpr2_vgpr3
	s_branch .LBB142_691
.LBB142_537:
	s_mov_b32 s28, -1
	s_mov_b32 s27, 0
	s_mov_b32 s25, s23
                                        ; implicit-def: $vgpr0_vgpr1
	s_branch .LBB142_549
.LBB142_538:
	s_mov_b32 s30, -1
	s_mov_b32 s27, 0
	s_mov_b32 s28, s22
                                        ; implicit-def: $vgpr2_vgpr3
	s_branch .LBB142_672
.LBB142_539:
	s_mov_b32 s28, -1
	s_mov_b32 s27, 0
	s_mov_b32 s25, s23
	s_branch .LBB142_542
.LBB142_540:
	s_mov_b32 s30, -1
	s_mov_b32 s27, 0
	s_mov_b32 s28, s22
                                        ; implicit-def: $vgpr2_vgpr3
	s_branch .LBB142_667
.LBB142_541:
	s_mov_b32 s25, -1
	s_mov_b32 s27, 0
.LBB142_542:
                                        ; implicit-def: $vgpr0_vgpr1
.LBB142_543:
	s_and_b32 vcc_lo, exec_lo, s28
	s_cbranch_vccz .LBB142_548
; %bb.544:
	s_cmp_eq_u32 s26, 44
	s_cbranch_scc0 .LBB142_547
; %bb.545:
	global_load_u8 v4, v[2:3], off
	s_mov_b32 s25, 0
	s_mov_b32 s27, -1
	s_wait_loadcnt 0x0
	v_cmp_ne_u32_e32 vcc_lo, 0xff, v4
	v_lshlrev_b32_e32 v0, 23, v4
	s_delay_alu instid0(VALU_DEP_1) | instskip(NEXT) | instid1(VALU_DEP_1)
	v_cvt_f64_f32_e32 v[0:1], v0
	v_cndmask_b32_e32 v0, 0x20000000, v0, vcc_lo
	s_delay_alu instid0(VALU_DEP_2) | instskip(SKIP_1) | instid1(VALU_DEP_2)
	v_cndmask_b32_e32 v1, 0x7ff80000, v1, vcc_lo
	v_cmp_ne_u32_e32 vcc_lo, 0, v4
	v_cndmask_b32_e32 v1, 0x38000000, v1, vcc_lo
	s_delay_alu instid0(VALU_DEP_4)
	v_cndmask_b32_e32 v0, 0, v0, vcc_lo
	s_branch .LBB142_548
.LBB142_546:
	s_mov_b32 s30, -1
	s_mov_b32 s27, 0
	s_mov_b32 s28, s22
	s_branch .LBB142_661
.LBB142_547:
	s_mov_b32 s25, -1
                                        ; implicit-def: $vgpr0_vgpr1
.LBB142_548:
	s_mov_b32 s28, 0
.LBB142_549:
	s_delay_alu instid0(SALU_CYCLE_1)
	s_and_b32 vcc_lo, exec_lo, s28
	s_cbranch_vccz .LBB142_553
; %bb.550:
	s_cmp_eq_u32 s26, 29
	s_cbranch_scc0 .LBB142_552
; %bb.551:
	global_load_b64 v[0:1], v[2:3], off
	s_mov_b32 s27, -1
	s_mov_b32 s25, 0
	s_mov_b32 s28, 0
	s_wait_loadcnt 0x0
	v_cvt_f64_u32_e32 v[4:5], v1
	v_cvt_f64_u32_e32 v[0:1], v0
	s_delay_alu instid0(VALU_DEP_2) | instskip(NEXT) | instid1(VALU_DEP_1)
	v_ldexp_f64 v[4:5], v[4:5], 32
	v_add_f64_e32 v[0:1], v[4:5], v[0:1]
	s_branch .LBB142_554
.LBB142_552:
	s_mov_b32 s25, -1
                                        ; implicit-def: $vgpr0_vgpr1
.LBB142_553:
	s_mov_b32 s28, 0
.LBB142_554:
	s_delay_alu instid0(SALU_CYCLE_1)
	s_and_b32 vcc_lo, exec_lo, s28
	s_cbranch_vccz .LBB142_572
; %bb.555:
	s_cmp_lt_i32 s26, 27
	s_cbranch_scc1 .LBB142_558
; %bb.556:
	s_cmp_gt_i32 s26, 27
	s_cbranch_scc0 .LBB142_559
; %bb.557:
	global_load_b32 v0, v[2:3], off
	s_mov_b32 s27, 0
	s_wait_loadcnt 0x0
	v_cvt_f64_u32_e32 v[0:1], v0
	s_branch .LBB142_560
.LBB142_558:
	s_mov_b32 s27, -1
                                        ; implicit-def: $vgpr0_vgpr1
	s_branch .LBB142_563
.LBB142_559:
	s_mov_b32 s27, -1
                                        ; implicit-def: $vgpr0_vgpr1
.LBB142_560:
	s_delay_alu instid0(SALU_CYCLE_1)
	s_and_not1_b32 vcc_lo, exec_lo, s27
	s_cbranch_vccnz .LBB142_562
; %bb.561:
	global_load_u16 v0, v[2:3], off
	s_wait_loadcnt 0x0
	v_cvt_f64_u32_e32 v[0:1], v0
.LBB142_562:
	s_mov_b32 s27, 0
.LBB142_563:
	s_delay_alu instid0(SALU_CYCLE_1)
	s_and_not1_b32 vcc_lo, exec_lo, s27
	s_cbranch_vccnz .LBB142_571
; %bb.564:
	global_load_u8 v4, v[2:3], off
	s_mov_b32 s27, 0
	s_mov_b32 s28, exec_lo
	s_wait_loadcnt 0x0
	v_cmpx_lt_i16_e32 0x7f, v4
	s_xor_b32 s28, exec_lo, s28
	s_cbranch_execz .LBB142_585
; %bb.565:
	s_mov_b32 s27, -1
	s_mov_b32 s30, exec_lo
	v_cmpx_eq_u16_e32 0x80, v4
; %bb.566:
	s_xor_b32 s27, exec_lo, -1
; %bb.567:
	s_or_b32 exec_lo, exec_lo, s30
	s_delay_alu instid0(SALU_CYCLE_1)
	s_and_b32 s27, s27, exec_lo
	s_or_saveexec_b32 s28, s28
	v_mov_b64_e32 v[0:1], 0x7ff8000020000000
	s_xor_b32 exec_lo, exec_lo, s28
	s_cbranch_execnz .LBB142_586
.LBB142_568:
	s_or_b32 exec_lo, exec_lo, s28
	s_and_saveexec_b32 s28, s27
	s_cbranch_execz .LBB142_570
.LBB142_569:
	v_and_b32_e32 v0, 0xffff, v4
	s_delay_alu instid0(VALU_DEP_1) | instskip(SKIP_1) | instid1(VALU_DEP_2)
	v_and_b32_e32 v1, 7, v0
	v_bfe_u32 v7, v0, 3, 4
	v_clz_i32_u32_e32 v5, v1
	s_delay_alu instid0(VALU_DEP_2) | instskip(NEXT) | instid1(VALU_DEP_2)
	v_cmp_eq_u32_e32 vcc_lo, 0, v7
	v_min_u32_e32 v5, 32, v5
	s_delay_alu instid0(VALU_DEP_1) | instskip(NEXT) | instid1(VALU_DEP_1)
	v_subrev_nc_u32_e32 v6, 28, v5
	v_dual_lshlrev_b32 v0, v6, v0 :: v_dual_sub_nc_u32 v5, 29, v5
	s_delay_alu instid0(VALU_DEP_1) | instskip(NEXT) | instid1(VALU_DEP_2)
	v_and_b32_e32 v0, 7, v0
	v_dual_cndmask_b32 v5, v7, v5 :: v_dual_lshlrev_b32 v4, 24, v4
	s_delay_alu instid0(VALU_DEP_2) | instskip(NEXT) | instid1(VALU_DEP_2)
	v_cndmask_b32_e32 v0, v1, v0, vcc_lo
	v_and_b32_e32 v1, 0x80000000, v4
	s_delay_alu instid0(VALU_DEP_3) | instskip(NEXT) | instid1(VALU_DEP_3)
	v_lshl_add_u32 v4, v5, 23, 0x3b800000
	v_lshlrev_b32_e32 v0, 20, v0
	s_delay_alu instid0(VALU_DEP_1) | instskip(NEXT) | instid1(VALU_DEP_1)
	v_or3_b32 v0, v1, v4, v0
	v_cvt_f64_f32_e32 v[0:1], v0
.LBB142_570:
	s_or_b32 exec_lo, exec_lo, s28
.LBB142_571:
	s_mov_b32 s27, -1
.LBB142_572:
	s_mov_b32 s28, 0
.LBB142_573:
	s_delay_alu instid0(SALU_CYCLE_1)
	s_and_b32 vcc_lo, exec_lo, s28
	s_cbranch_vccz .LBB142_608
; %bb.574:
	s_cmp_gt_i32 s26, 22
	s_cbranch_scc0 .LBB142_584
; %bb.575:
	s_cmp_lt_i32 s26, 24
	s_cbranch_scc1 .LBB142_587
; %bb.576:
	s_cmp_gt_i32 s26, 24
	s_cbranch_scc0 .LBB142_588
; %bb.577:
	global_load_u8 v4, v[2:3], off
	s_mov_b32 s27, 0
	s_mov_b32 s28, exec_lo
	s_wait_loadcnt 0x0
	v_cmpx_lt_i16_e32 0x7f, v4
	s_xor_b32 s28, exec_lo, s28
	s_cbranch_execz .LBB142_600
; %bb.578:
	s_mov_b32 s27, -1
	s_mov_b32 s30, exec_lo
	v_cmpx_eq_u16_e32 0x80, v4
; %bb.579:
	s_xor_b32 s27, exec_lo, -1
; %bb.580:
	s_or_b32 exec_lo, exec_lo, s30
	s_delay_alu instid0(SALU_CYCLE_1)
	s_and_b32 s27, s27, exec_lo
	s_or_saveexec_b32 s28, s28
	v_mov_b64_e32 v[0:1], 0x7ff8000020000000
	s_xor_b32 exec_lo, exec_lo, s28
	s_cbranch_execnz .LBB142_601
.LBB142_581:
	s_or_b32 exec_lo, exec_lo, s28
	s_and_saveexec_b32 s28, s27
	s_cbranch_execz .LBB142_583
.LBB142_582:
	v_and_b32_e32 v0, 0xffff, v4
	s_delay_alu instid0(VALU_DEP_1) | instskip(SKIP_1) | instid1(VALU_DEP_2)
	v_and_b32_e32 v1, 3, v0
	v_bfe_u32 v7, v0, 2, 5
	v_clz_i32_u32_e32 v5, v1
	s_delay_alu instid0(VALU_DEP_2) | instskip(NEXT) | instid1(VALU_DEP_2)
	v_cmp_eq_u32_e32 vcc_lo, 0, v7
	v_min_u32_e32 v5, 32, v5
	s_delay_alu instid0(VALU_DEP_1) | instskip(NEXT) | instid1(VALU_DEP_1)
	v_subrev_nc_u32_e32 v6, 29, v5
	v_dual_lshlrev_b32 v0, v6, v0 :: v_dual_sub_nc_u32 v5, 30, v5
	s_delay_alu instid0(VALU_DEP_1) | instskip(NEXT) | instid1(VALU_DEP_2)
	v_and_b32_e32 v0, 3, v0
	v_dual_cndmask_b32 v5, v7, v5 :: v_dual_lshlrev_b32 v4, 24, v4
	s_delay_alu instid0(VALU_DEP_2) | instskip(NEXT) | instid1(VALU_DEP_2)
	v_cndmask_b32_e32 v0, v1, v0, vcc_lo
	v_and_b32_e32 v1, 0x80000000, v4
	s_delay_alu instid0(VALU_DEP_3) | instskip(NEXT) | instid1(VALU_DEP_3)
	v_lshl_add_u32 v4, v5, 23, 0x37800000
	v_lshlrev_b32_e32 v0, 21, v0
	s_delay_alu instid0(VALU_DEP_1) | instskip(NEXT) | instid1(VALU_DEP_1)
	v_or3_b32 v0, v1, v4, v0
	v_cvt_f64_f32_e32 v[0:1], v0
.LBB142_583:
	s_or_b32 exec_lo, exec_lo, s28
	s_mov_b32 s27, 0
	s_branch .LBB142_589
.LBB142_584:
	s_mov_b32 s28, -1
                                        ; implicit-def: $vgpr0_vgpr1
	s_branch .LBB142_595
.LBB142_585:
	s_or_saveexec_b32 s28, s28
	v_mov_b64_e32 v[0:1], 0x7ff8000020000000
	s_xor_b32 exec_lo, exec_lo, s28
	s_cbranch_execz .LBB142_568
.LBB142_586:
	v_cmp_ne_u16_e32 vcc_lo, 0, v4
	v_mov_b64_e32 v[0:1], 0
	s_and_not1_b32 s27, s27, exec_lo
	s_and_b32 s30, vcc_lo, exec_lo
	s_delay_alu instid0(SALU_CYCLE_1)
	s_or_b32 s27, s27, s30
	s_or_b32 exec_lo, exec_lo, s28
	s_and_saveexec_b32 s28, s27
	s_cbranch_execnz .LBB142_569
	s_branch .LBB142_570
.LBB142_587:
	s_mov_b32 s27, -1
                                        ; implicit-def: $vgpr0_vgpr1
	s_branch .LBB142_592
.LBB142_588:
	s_mov_b32 s27, -1
                                        ; implicit-def: $vgpr0_vgpr1
.LBB142_589:
	s_delay_alu instid0(SALU_CYCLE_1)
	s_and_b32 vcc_lo, exec_lo, s27
	s_cbranch_vccz .LBB142_591
; %bb.590:
	global_load_u8 v0, v[2:3], off
	s_wait_loadcnt 0x0
	v_lshlrev_b32_e32 v0, 24, v0
	s_delay_alu instid0(VALU_DEP_1) | instskip(NEXT) | instid1(VALU_DEP_1)
	v_and_b32_e32 v1, 0x7f000000, v0
	v_clz_i32_u32_e32 v4, v1
	v_cmp_ne_u32_e32 vcc_lo, 0, v1
	v_add_nc_u32_e32 v6, 0x1000000, v1
	s_delay_alu instid0(VALU_DEP_3) | instskip(NEXT) | instid1(VALU_DEP_1)
	v_min_u32_e32 v4, 32, v4
	v_sub_nc_u32_e64 v4, v4, 4 clamp
	s_delay_alu instid0(VALU_DEP_1) | instskip(NEXT) | instid1(VALU_DEP_1)
	v_dual_lshlrev_b32 v5, v4, v1 :: v_dual_lshlrev_b32 v4, 23, v4
	v_lshrrev_b32_e32 v5, 4, v5
	s_delay_alu instid0(VALU_DEP_1) | instskip(NEXT) | instid1(VALU_DEP_1)
	v_dual_sub_nc_u32 v4, v5, v4 :: v_dual_ashrrev_i32 v5, 8, v6
	v_add_nc_u32_e32 v4, 0x3c000000, v4
	s_delay_alu instid0(VALU_DEP_1) | instskip(NEXT) | instid1(VALU_DEP_1)
	v_and_or_b32 v4, 0x7f800000, v5, v4
	v_cndmask_b32_e32 v1, 0, v4, vcc_lo
	s_delay_alu instid0(VALU_DEP_1) | instskip(NEXT) | instid1(VALU_DEP_1)
	v_and_or_b32 v0, 0x80000000, v0, v1
	v_cvt_f64_f32_e32 v[0:1], v0
.LBB142_591:
	s_mov_b32 s27, 0
.LBB142_592:
	s_delay_alu instid0(SALU_CYCLE_1)
	s_and_not1_b32 vcc_lo, exec_lo, s27
	s_cbranch_vccnz .LBB142_594
; %bb.593:
	global_load_u8 v0, v[2:3], off
	s_wait_loadcnt 0x0
	v_lshlrev_b32_e32 v1, 25, v0
	v_lshlrev_b16 v0, 8, v0
	s_delay_alu instid0(VALU_DEP_1) | instskip(SKIP_1) | instid1(VALU_DEP_2)
	v_and_or_b32 v5, 0x7f00, v0, 0.5
	v_bfe_i32 v0, v0, 0, 16
	v_add_f32_e32 v5, -0.5, v5
	v_lshrrev_b32_e32 v4, 4, v1
	v_cmp_gt_u32_e32 vcc_lo, 0x8000000, v1
	s_delay_alu instid0(VALU_DEP_2) | instskip(NEXT) | instid1(VALU_DEP_1)
	v_or_b32_e32 v4, 0x70000000, v4
	v_mul_f32_e32 v4, 0x7800000, v4
	s_delay_alu instid0(VALU_DEP_1) | instskip(NEXT) | instid1(VALU_DEP_1)
	v_cndmask_b32_e32 v1, v4, v5, vcc_lo
	v_and_or_b32 v0, 0x80000000, v0, v1
	s_delay_alu instid0(VALU_DEP_1)
	v_cvt_f64_f32_e32 v[0:1], v0
.LBB142_594:
	s_mov_b32 s28, 0
	s_mov_b32 s27, -1
.LBB142_595:
	s_and_not1_b32 vcc_lo, exec_lo, s28
	s_cbranch_vccnz .LBB142_608
; %bb.596:
	s_cmp_gt_i32 s26, 14
	s_cbranch_scc0 .LBB142_599
; %bb.597:
	s_cmp_eq_u32 s26, 15
	s_cbranch_scc0 .LBB142_602
; %bb.598:
	global_load_u16 v0, v[2:3], off
	s_mov_b32 s27, -1
	s_mov_b32 s25, 0
	s_wait_loadcnt 0x0
	v_lshlrev_b32_e32 v0, 16, v0
	s_delay_alu instid0(VALU_DEP_1)
	v_cvt_f64_f32_e32 v[0:1], v0
	s_branch .LBB142_603
.LBB142_599:
	s_mov_b32 s28, -1
                                        ; implicit-def: $vgpr0_vgpr1
	s_branch .LBB142_604
.LBB142_600:
	s_or_saveexec_b32 s28, s28
	v_mov_b64_e32 v[0:1], 0x7ff8000020000000
	s_xor_b32 exec_lo, exec_lo, s28
	s_cbranch_execz .LBB142_581
.LBB142_601:
	v_cmp_ne_u16_e32 vcc_lo, 0, v4
	v_mov_b64_e32 v[0:1], 0
	s_and_not1_b32 s27, s27, exec_lo
	s_and_b32 s30, vcc_lo, exec_lo
	s_delay_alu instid0(SALU_CYCLE_1)
	s_or_b32 s27, s27, s30
	s_or_b32 exec_lo, exec_lo, s28
	s_and_saveexec_b32 s28, s27
	s_cbranch_execnz .LBB142_582
	s_branch .LBB142_583
.LBB142_602:
	s_mov_b32 s25, -1
                                        ; implicit-def: $vgpr0_vgpr1
.LBB142_603:
	s_mov_b32 s28, 0
.LBB142_604:
	s_delay_alu instid0(SALU_CYCLE_1)
	s_and_b32 vcc_lo, exec_lo, s28
	s_cbranch_vccz .LBB142_608
; %bb.605:
	s_cmp_eq_u32 s26, 11
	s_cbranch_scc0 .LBB142_607
; %bb.606:
	global_load_u8 v0, v[2:3], off
	s_mov_b32 s25, 0
	s_mov_b32 s27, -1
	s_wait_loadcnt 0x0
	v_cmp_ne_u16_e32 vcc_lo, 0, v0
	v_mov_b32_e32 v0, 0
	v_cndmask_b32_e64 v1, 0, 0x3ff00000, vcc_lo
	s_branch .LBB142_608
.LBB142_607:
	s_mov_b32 s25, -1
                                        ; implicit-def: $vgpr0_vgpr1
.LBB142_608:
	s_branch .LBB142_525
.LBB142_609:
	s_and_b32 s0, 0xffff, s0
	s_delay_alu instid0(SALU_CYCLE_1)
	s_cmp_lt_i32 s0, 5
	s_cbranch_scc1 .LBB142_614
; %bb.610:
	s_cmp_lt_i32 s0, 8
	s_cbranch_scc1 .LBB142_615
; %bb.611:
	;; [unrolled: 3-line block ×3, first 2 shown]
	s_cmp_gt_i32 s0, 9
	s_cbranch_scc0 .LBB142_617
; %bb.613:
	global_load_b64 v[0:1], v[2:3], off
	s_mov_b32 s26, 0
	s_branch .LBB142_618
.LBB142_614:
	s_mov_b32 s26, -1
                                        ; implicit-def: $vgpr0_vgpr1
	s_branch .LBB142_636
.LBB142_615:
	s_mov_b32 s26, -1
                                        ; implicit-def: $vgpr0_vgpr1
	s_branch .LBB142_624
.LBB142_616:
	s_mov_b32 s26, -1
                                        ; implicit-def: $vgpr0_vgpr1
	s_branch .LBB142_621
.LBB142_617:
	s_mov_b32 s26, -1
                                        ; implicit-def: $vgpr0_vgpr1
.LBB142_618:
	s_delay_alu instid0(SALU_CYCLE_1)
	s_and_not1_b32 vcc_lo, exec_lo, s26
	s_cbranch_vccnz .LBB142_620
; %bb.619:
	s_wait_loadcnt 0x0
	global_load_b32 v0, v[2:3], off
	s_wait_loadcnt 0x0
	v_cvt_f64_f32_e32 v[0:1], v0
.LBB142_620:
	s_mov_b32 s26, 0
.LBB142_621:
	s_delay_alu instid0(SALU_CYCLE_1)
	s_and_not1_b32 vcc_lo, exec_lo, s26
	s_cbranch_vccnz .LBB142_623
; %bb.622:
	s_wait_loadcnt 0x0
	global_load_b32 v0, v[2:3], off
	s_wait_loadcnt 0x0
	v_cvt_f32_f16_e32 v0, v0
	s_delay_alu instid0(VALU_DEP_1)
	v_cvt_f64_f32_e32 v[0:1], v0
.LBB142_623:
	s_mov_b32 s26, 0
.LBB142_624:
	s_delay_alu instid0(SALU_CYCLE_1)
	s_and_not1_b32 vcc_lo, exec_lo, s26
	s_cbranch_vccnz .LBB142_635
; %bb.625:
	s_cmp_lt_i32 s0, 6
	s_cbranch_scc1 .LBB142_628
; %bb.626:
	s_cmp_gt_i32 s0, 6
	s_cbranch_scc0 .LBB142_629
; %bb.627:
	s_wait_loadcnt 0x0
	global_load_b64 v[0:1], v[2:3], off
	s_mov_b32 s26, 0
	s_branch .LBB142_630
.LBB142_628:
	s_mov_b32 s26, -1
                                        ; implicit-def: $vgpr0_vgpr1
	s_branch .LBB142_633
.LBB142_629:
	s_mov_b32 s26, -1
                                        ; implicit-def: $vgpr0_vgpr1
.LBB142_630:
	s_delay_alu instid0(SALU_CYCLE_1)
	s_and_not1_b32 vcc_lo, exec_lo, s26
	s_cbranch_vccnz .LBB142_632
; %bb.631:
	s_wait_loadcnt 0x0
	global_load_b32 v0, v[2:3], off
	s_wait_loadcnt 0x0
	v_cvt_f64_f32_e32 v[0:1], v0
.LBB142_632:
	s_mov_b32 s26, 0
.LBB142_633:
	s_delay_alu instid0(SALU_CYCLE_1)
	s_and_not1_b32 vcc_lo, exec_lo, s26
	s_cbranch_vccnz .LBB142_635
; %bb.634:
	s_wait_loadcnt 0x0
	global_load_u16 v0, v[2:3], off
	s_wait_loadcnt 0x0
	v_cvt_f32_f16_e32 v0, v0
	s_delay_alu instid0(VALU_DEP_1)
	v_cvt_f64_f32_e32 v[0:1], v0
.LBB142_635:
	s_mov_b32 s26, 0
.LBB142_636:
	s_delay_alu instid0(SALU_CYCLE_1)
	s_and_not1_b32 vcc_lo, exec_lo, s26
	s_cbranch_vccnz .LBB142_656
; %bb.637:
	s_cmp_lt_i32 s0, 2
	s_cbranch_scc1 .LBB142_641
; %bb.638:
	s_cmp_lt_i32 s0, 3
	s_cbranch_scc1 .LBB142_642
; %bb.639:
	s_cmp_gt_i32 s0, 3
	s_cbranch_scc0 .LBB142_643
; %bb.640:
	s_wait_loadcnt 0x0
	global_load_b64 v[0:1], v[2:3], off
	s_mov_b32 s26, 0
	s_wait_loadcnt 0x0
	v_cvt_f64_i32_e32 v[4:5], v1
	v_cvt_f64_u32_e32 v[0:1], v0
	s_delay_alu instid0(VALU_DEP_2) | instskip(NEXT) | instid1(VALU_DEP_1)
	v_ldexp_f64 v[4:5], v[4:5], 32
	v_add_f64_e32 v[0:1], v[4:5], v[0:1]
	s_branch .LBB142_644
.LBB142_641:
	s_mov_b32 s26, -1
                                        ; implicit-def: $vgpr0_vgpr1
	s_branch .LBB142_650
.LBB142_642:
	s_mov_b32 s26, -1
                                        ; implicit-def: $vgpr0_vgpr1
	s_branch .LBB142_647
.LBB142_643:
	s_mov_b32 s26, -1
                                        ; implicit-def: $vgpr0_vgpr1
.LBB142_644:
	s_delay_alu instid0(SALU_CYCLE_1)
	s_and_not1_b32 vcc_lo, exec_lo, s26
	s_cbranch_vccnz .LBB142_646
; %bb.645:
	s_wait_loadcnt 0x0
	global_load_b32 v0, v[2:3], off
	s_wait_loadcnt 0x0
	v_cvt_f64_i32_e32 v[0:1], v0
.LBB142_646:
	s_mov_b32 s26, 0
.LBB142_647:
	s_delay_alu instid0(SALU_CYCLE_1)
	s_and_not1_b32 vcc_lo, exec_lo, s26
	s_cbranch_vccnz .LBB142_649
; %bb.648:
	s_wait_loadcnt 0x0
	global_load_i16 v0, v[2:3], off
	s_wait_loadcnt 0x0
	v_cvt_f64_i32_e32 v[0:1], v0
.LBB142_649:
	s_mov_b32 s26, 0
.LBB142_650:
	s_delay_alu instid0(SALU_CYCLE_1)
	s_and_not1_b32 vcc_lo, exec_lo, s26
	s_cbranch_vccnz .LBB142_656
; %bb.651:
	s_cmp_gt_i32 s0, 0
	s_mov_b32 s0, 0
	s_cbranch_scc0 .LBB142_653
; %bb.652:
	s_wait_loadcnt 0x0
	global_load_i8 v0, v[2:3], off
	s_wait_loadcnt 0x0
	v_cvt_f64_i32_e32 v[0:1], v0
	s_branch .LBB142_654
.LBB142_653:
	s_mov_b32 s0, -1
                                        ; implicit-def: $vgpr0_vgpr1
.LBB142_654:
	s_delay_alu instid0(SALU_CYCLE_1)
	s_and_not1_b32 vcc_lo, exec_lo, s0
	s_cbranch_vccnz .LBB142_656
; %bb.655:
	s_wait_loadcnt 0x0
	global_load_u8 v0, v[2:3], off
	s_wait_loadcnt 0x0
	v_cvt_f64_u32_e32 v[0:1], v0
.LBB142_656:
	s_branch .LBB142_526
.LBB142_657:
	s_mov_b32 s30, 0
	s_mov_b32 s0, s19
	;; [unrolled: 1-line block ×4, first 2 shown]
	s_branch .LBB142_1033
.LBB142_658:
	s_and_not1_saveexec_b32 s29, s29
	s_cbranch_execz .LBB142_421
.LBB142_659:
	v_add_f32_e64 v3, 0x46000000, |v2|
	s_and_not1_b32 s28, s28, exec_lo
	s_delay_alu instid0(VALU_DEP_1) | instskip(NEXT) | instid1(VALU_DEP_1)
	v_and_b32_e32 v3, 0xff, v3
	v_cmp_ne_u32_e32 vcc_lo, 0, v3
	s_and_b32 s30, vcc_lo, exec_lo
	s_delay_alu instid0(SALU_CYCLE_1)
	s_or_b32 s28, s28, s30
	s_or_b32 exec_lo, exec_lo, s29
	v_mov_b32_e32 v6, 0
	s_and_saveexec_b32 s29, s28
	s_cbranch_execnz .LBB142_422
	s_branch .LBB142_423
.LBB142_660:
	s_mov_b32 s28, -1
	s_mov_b32 s27, 0
.LBB142_661:
                                        ; implicit-def: $vgpr2_vgpr3
.LBB142_662:
	s_and_b32 vcc_lo, exec_lo, s30
	s_cbranch_vccz .LBB142_666
; %bb.663:
	s_cmp_eq_u32 s26, 44
	s_cbranch_scc0 .LBB142_665
; %bb.664:
	global_load_u8 v6, v[4:5], off
	s_mov_b32 s28, 0
	s_mov_b32 s27, -1
	s_wait_loadcnt 0x0
	v_cmp_ne_u32_e32 vcc_lo, 0xff, v6
	v_lshlrev_b32_e32 v2, 23, v6
	s_delay_alu instid0(VALU_DEP_1) | instskip(NEXT) | instid1(VALU_DEP_1)
	v_cvt_f64_f32_e32 v[2:3], v2
	v_cndmask_b32_e32 v2, 0x20000000, v2, vcc_lo
	s_delay_alu instid0(VALU_DEP_2) | instskip(SKIP_1) | instid1(VALU_DEP_2)
	v_cndmask_b32_e32 v3, 0x7ff80000, v3, vcc_lo
	v_cmp_ne_u32_e32 vcc_lo, 0, v6
	v_cndmask_b32_e32 v3, 0x38000000, v3, vcc_lo
	s_delay_alu instid0(VALU_DEP_4)
	v_cndmask_b32_e32 v2, 0, v2, vcc_lo
	s_branch .LBB142_666
.LBB142_665:
	s_mov_b32 s28, -1
                                        ; implicit-def: $vgpr2_vgpr3
.LBB142_666:
	s_mov_b32 s30, 0
.LBB142_667:
	s_delay_alu instid0(SALU_CYCLE_1)
	s_and_b32 vcc_lo, exec_lo, s30
	s_cbranch_vccz .LBB142_671
; %bb.668:
	s_cmp_eq_u32 s26, 29
	s_cbranch_scc0 .LBB142_670
; %bb.669:
	global_load_b64 v[2:3], v[4:5], off
	s_mov_b32 s27, -1
	s_mov_b32 s28, 0
	s_mov_b32 s30, 0
	s_wait_loadcnt 0x0
	v_cvt_f64_u32_e32 v[6:7], v3
	v_cvt_f64_u32_e32 v[2:3], v2
	s_delay_alu instid0(VALU_DEP_2) | instskip(NEXT) | instid1(VALU_DEP_1)
	v_ldexp_f64 v[6:7], v[6:7], 32
	v_add_f64_e32 v[2:3], v[6:7], v[2:3]
	s_branch .LBB142_672
.LBB142_670:
	s_mov_b32 s28, -1
                                        ; implicit-def: $vgpr2_vgpr3
.LBB142_671:
	s_mov_b32 s30, 0
.LBB142_672:
	s_delay_alu instid0(SALU_CYCLE_1)
	s_and_b32 vcc_lo, exec_lo, s30
	s_cbranch_vccz .LBB142_690
; %bb.673:
	s_cmp_lt_i32 s26, 27
	s_cbranch_scc1 .LBB142_676
; %bb.674:
	s_cmp_gt_i32 s26, 27
	s_cbranch_scc0 .LBB142_677
; %bb.675:
	global_load_b32 v2, v[4:5], off
	s_mov_b32 s27, 0
	s_wait_loadcnt 0x0
	v_cvt_f64_u32_e32 v[2:3], v2
	s_branch .LBB142_678
.LBB142_676:
	s_mov_b32 s27, -1
                                        ; implicit-def: $vgpr2_vgpr3
	s_branch .LBB142_681
.LBB142_677:
	s_mov_b32 s27, -1
                                        ; implicit-def: $vgpr2_vgpr3
.LBB142_678:
	s_delay_alu instid0(SALU_CYCLE_1)
	s_and_not1_b32 vcc_lo, exec_lo, s27
	s_cbranch_vccnz .LBB142_680
; %bb.679:
	global_load_u16 v2, v[4:5], off
	s_wait_loadcnt 0x0
	v_cvt_f64_u32_e32 v[2:3], v2
.LBB142_680:
	s_mov_b32 s27, 0
.LBB142_681:
	s_delay_alu instid0(SALU_CYCLE_1)
	s_and_not1_b32 vcc_lo, exec_lo, s27
	s_cbranch_vccnz .LBB142_689
; %bb.682:
	global_load_u8 v6, v[4:5], off
	s_mov_b32 s27, 0
	s_mov_b32 s30, exec_lo
	s_wait_loadcnt 0x0
	v_cmpx_lt_i16_e32 0x7f, v6
	s_xor_b32 s30, exec_lo, s30
	s_cbranch_execz .LBB142_703
; %bb.683:
	s_mov_b32 s27, -1
	s_mov_b32 s31, exec_lo
	v_cmpx_eq_u16_e32 0x80, v6
; %bb.684:
	s_xor_b32 s27, exec_lo, -1
; %bb.685:
	s_or_b32 exec_lo, exec_lo, s31
	s_delay_alu instid0(SALU_CYCLE_1)
	s_and_b32 s27, s27, exec_lo
	s_or_saveexec_b32 s30, s30
	v_mov_b64_e32 v[2:3], 0x7ff8000020000000
	s_xor_b32 exec_lo, exec_lo, s30
	s_cbranch_execnz .LBB142_704
.LBB142_686:
	s_or_b32 exec_lo, exec_lo, s30
	s_and_saveexec_b32 s30, s27
	s_cbranch_execz .LBB142_688
.LBB142_687:
	v_and_b32_e32 v2, 0xffff, v6
	s_delay_alu instid0(VALU_DEP_1) | instskip(SKIP_1) | instid1(VALU_DEP_2)
	v_and_b32_e32 v3, 7, v2
	v_bfe_u32 v9, v2, 3, 4
	v_clz_i32_u32_e32 v7, v3
	s_delay_alu instid0(VALU_DEP_2) | instskip(NEXT) | instid1(VALU_DEP_2)
	v_cmp_eq_u32_e32 vcc_lo, 0, v9
	v_min_u32_e32 v7, 32, v7
	s_delay_alu instid0(VALU_DEP_1) | instskip(NEXT) | instid1(VALU_DEP_1)
	v_subrev_nc_u32_e32 v8, 28, v7
	v_dual_lshlrev_b32 v2, v8, v2 :: v_dual_sub_nc_u32 v7, 29, v7
	s_delay_alu instid0(VALU_DEP_1) | instskip(NEXT) | instid1(VALU_DEP_2)
	v_and_b32_e32 v2, 7, v2
	v_dual_cndmask_b32 v7, v9, v7 :: v_dual_lshlrev_b32 v6, 24, v6
	s_delay_alu instid0(VALU_DEP_2) | instskip(NEXT) | instid1(VALU_DEP_2)
	v_cndmask_b32_e32 v2, v3, v2, vcc_lo
	v_and_b32_e32 v3, 0x80000000, v6
	s_delay_alu instid0(VALU_DEP_3) | instskip(NEXT) | instid1(VALU_DEP_3)
	v_lshl_add_u32 v6, v7, 23, 0x3b800000
	v_lshlrev_b32_e32 v2, 20, v2
	s_delay_alu instid0(VALU_DEP_1) | instskip(NEXT) | instid1(VALU_DEP_1)
	v_or3_b32 v2, v3, v6, v2
	v_cvt_f64_f32_e32 v[2:3], v2
.LBB142_688:
	s_or_b32 exec_lo, exec_lo, s30
.LBB142_689:
	s_mov_b32 s27, -1
.LBB142_690:
	s_mov_b32 s30, 0
.LBB142_691:
	s_delay_alu instid0(SALU_CYCLE_1)
	s_and_b32 vcc_lo, exec_lo, s30
	s_cbranch_vccz .LBB142_726
; %bb.692:
	s_cmp_gt_i32 s26, 22
	s_cbranch_scc0 .LBB142_702
; %bb.693:
	s_cmp_lt_i32 s26, 24
	s_cbranch_scc1 .LBB142_705
; %bb.694:
	s_cmp_gt_i32 s26, 24
	s_cbranch_scc0 .LBB142_706
; %bb.695:
	global_load_u8 v6, v[4:5], off
	s_mov_b32 s27, 0
	s_mov_b32 s30, exec_lo
	s_wait_loadcnt 0x0
	v_cmpx_lt_i16_e32 0x7f, v6
	s_xor_b32 s30, exec_lo, s30
	s_cbranch_execz .LBB142_718
; %bb.696:
	s_mov_b32 s27, -1
	s_mov_b32 s31, exec_lo
	v_cmpx_eq_u16_e32 0x80, v6
; %bb.697:
	s_xor_b32 s27, exec_lo, -1
; %bb.698:
	s_or_b32 exec_lo, exec_lo, s31
	s_delay_alu instid0(SALU_CYCLE_1)
	s_and_b32 s27, s27, exec_lo
	s_or_saveexec_b32 s30, s30
	v_mov_b64_e32 v[2:3], 0x7ff8000020000000
	s_xor_b32 exec_lo, exec_lo, s30
	s_cbranch_execnz .LBB142_719
.LBB142_699:
	s_or_b32 exec_lo, exec_lo, s30
	s_and_saveexec_b32 s30, s27
	s_cbranch_execz .LBB142_701
.LBB142_700:
	v_and_b32_e32 v2, 0xffff, v6
	s_delay_alu instid0(VALU_DEP_1) | instskip(SKIP_1) | instid1(VALU_DEP_2)
	v_and_b32_e32 v3, 3, v2
	v_bfe_u32 v9, v2, 2, 5
	v_clz_i32_u32_e32 v7, v3
	s_delay_alu instid0(VALU_DEP_2) | instskip(NEXT) | instid1(VALU_DEP_2)
	v_cmp_eq_u32_e32 vcc_lo, 0, v9
	v_min_u32_e32 v7, 32, v7
	s_delay_alu instid0(VALU_DEP_1) | instskip(NEXT) | instid1(VALU_DEP_1)
	v_subrev_nc_u32_e32 v8, 29, v7
	v_dual_lshlrev_b32 v2, v8, v2 :: v_dual_sub_nc_u32 v7, 30, v7
	s_delay_alu instid0(VALU_DEP_1) | instskip(NEXT) | instid1(VALU_DEP_2)
	v_and_b32_e32 v2, 3, v2
	v_dual_cndmask_b32 v7, v9, v7 :: v_dual_lshlrev_b32 v6, 24, v6
	s_delay_alu instid0(VALU_DEP_2) | instskip(NEXT) | instid1(VALU_DEP_2)
	v_cndmask_b32_e32 v2, v3, v2, vcc_lo
	v_and_b32_e32 v3, 0x80000000, v6
	s_delay_alu instid0(VALU_DEP_3) | instskip(NEXT) | instid1(VALU_DEP_3)
	v_lshl_add_u32 v6, v7, 23, 0x37800000
	v_lshlrev_b32_e32 v2, 21, v2
	s_delay_alu instid0(VALU_DEP_1) | instskip(NEXT) | instid1(VALU_DEP_1)
	v_or3_b32 v2, v3, v6, v2
	v_cvt_f64_f32_e32 v[2:3], v2
.LBB142_701:
	s_or_b32 exec_lo, exec_lo, s30
	s_mov_b32 s27, 0
	s_branch .LBB142_707
.LBB142_702:
	s_mov_b32 s30, -1
                                        ; implicit-def: $vgpr2_vgpr3
	s_branch .LBB142_713
.LBB142_703:
	s_or_saveexec_b32 s30, s30
	v_mov_b64_e32 v[2:3], 0x7ff8000020000000
	s_xor_b32 exec_lo, exec_lo, s30
	s_cbranch_execz .LBB142_686
.LBB142_704:
	v_cmp_ne_u16_e32 vcc_lo, 0, v6
	v_mov_b64_e32 v[2:3], 0
	s_and_not1_b32 s27, s27, exec_lo
	s_and_b32 s31, vcc_lo, exec_lo
	s_delay_alu instid0(SALU_CYCLE_1)
	s_or_b32 s27, s27, s31
	s_or_b32 exec_lo, exec_lo, s30
	s_and_saveexec_b32 s30, s27
	s_cbranch_execnz .LBB142_687
	s_branch .LBB142_688
.LBB142_705:
	s_mov_b32 s27, -1
                                        ; implicit-def: $vgpr2_vgpr3
	s_branch .LBB142_710
.LBB142_706:
	s_mov_b32 s27, -1
                                        ; implicit-def: $vgpr2_vgpr3
.LBB142_707:
	s_delay_alu instid0(SALU_CYCLE_1)
	s_and_b32 vcc_lo, exec_lo, s27
	s_cbranch_vccz .LBB142_709
; %bb.708:
	global_load_u8 v2, v[4:5], off
	s_wait_loadcnt 0x0
	v_lshlrev_b32_e32 v2, 24, v2
	s_delay_alu instid0(VALU_DEP_1) | instskip(NEXT) | instid1(VALU_DEP_1)
	v_and_b32_e32 v3, 0x7f000000, v2
	v_clz_i32_u32_e32 v6, v3
	v_cmp_ne_u32_e32 vcc_lo, 0, v3
	v_add_nc_u32_e32 v8, 0x1000000, v3
	s_delay_alu instid0(VALU_DEP_3) | instskip(NEXT) | instid1(VALU_DEP_1)
	v_min_u32_e32 v6, 32, v6
	v_sub_nc_u32_e64 v6, v6, 4 clamp
	s_delay_alu instid0(VALU_DEP_1) | instskip(NEXT) | instid1(VALU_DEP_1)
	v_dual_lshlrev_b32 v7, v6, v3 :: v_dual_lshlrev_b32 v6, 23, v6
	v_lshrrev_b32_e32 v7, 4, v7
	s_delay_alu instid0(VALU_DEP_1) | instskip(NEXT) | instid1(VALU_DEP_1)
	v_dual_sub_nc_u32 v6, v7, v6 :: v_dual_ashrrev_i32 v7, 8, v8
	v_add_nc_u32_e32 v6, 0x3c000000, v6
	s_delay_alu instid0(VALU_DEP_1) | instskip(NEXT) | instid1(VALU_DEP_1)
	v_and_or_b32 v6, 0x7f800000, v7, v6
	v_cndmask_b32_e32 v3, 0, v6, vcc_lo
	s_delay_alu instid0(VALU_DEP_1) | instskip(NEXT) | instid1(VALU_DEP_1)
	v_and_or_b32 v2, 0x80000000, v2, v3
	v_cvt_f64_f32_e32 v[2:3], v2
.LBB142_709:
	s_mov_b32 s27, 0
.LBB142_710:
	s_delay_alu instid0(SALU_CYCLE_1)
	s_and_not1_b32 vcc_lo, exec_lo, s27
	s_cbranch_vccnz .LBB142_712
; %bb.711:
	global_load_u8 v2, v[4:5], off
	s_wait_loadcnt 0x0
	v_lshlrev_b32_e32 v3, 25, v2
	v_lshlrev_b16 v2, 8, v2
	s_delay_alu instid0(VALU_DEP_1) | instskip(SKIP_1) | instid1(VALU_DEP_2)
	v_and_or_b32 v7, 0x7f00, v2, 0.5
	v_bfe_i32 v2, v2, 0, 16
	v_add_f32_e32 v7, -0.5, v7
	v_lshrrev_b32_e32 v6, 4, v3
	v_cmp_gt_u32_e32 vcc_lo, 0x8000000, v3
	s_delay_alu instid0(VALU_DEP_2) | instskip(NEXT) | instid1(VALU_DEP_1)
	v_or_b32_e32 v6, 0x70000000, v6
	v_mul_f32_e32 v6, 0x7800000, v6
	s_delay_alu instid0(VALU_DEP_1) | instskip(NEXT) | instid1(VALU_DEP_1)
	v_cndmask_b32_e32 v3, v6, v7, vcc_lo
	v_and_or_b32 v2, 0x80000000, v2, v3
	s_delay_alu instid0(VALU_DEP_1)
	v_cvt_f64_f32_e32 v[2:3], v2
.LBB142_712:
	s_mov_b32 s30, 0
	s_mov_b32 s27, -1
.LBB142_713:
	s_and_not1_b32 vcc_lo, exec_lo, s30
	s_cbranch_vccnz .LBB142_726
; %bb.714:
	s_cmp_gt_i32 s26, 14
	s_cbranch_scc0 .LBB142_717
; %bb.715:
	s_cmp_eq_u32 s26, 15
	s_cbranch_scc0 .LBB142_720
; %bb.716:
	global_load_u16 v2, v[4:5], off
	s_mov_b32 s27, -1
	s_mov_b32 s28, 0
	s_wait_loadcnt 0x0
	v_lshlrev_b32_e32 v2, 16, v2
	s_delay_alu instid0(VALU_DEP_1)
	v_cvt_f64_f32_e32 v[2:3], v2
	s_branch .LBB142_721
.LBB142_717:
	s_mov_b32 s30, -1
                                        ; implicit-def: $vgpr2_vgpr3
	s_branch .LBB142_722
.LBB142_718:
	s_or_saveexec_b32 s30, s30
	v_mov_b64_e32 v[2:3], 0x7ff8000020000000
	s_xor_b32 exec_lo, exec_lo, s30
	s_cbranch_execz .LBB142_699
.LBB142_719:
	v_cmp_ne_u16_e32 vcc_lo, 0, v6
	v_mov_b64_e32 v[2:3], 0
	s_and_not1_b32 s27, s27, exec_lo
	s_and_b32 s31, vcc_lo, exec_lo
	s_delay_alu instid0(SALU_CYCLE_1)
	s_or_b32 s27, s27, s31
	s_or_b32 exec_lo, exec_lo, s30
	s_and_saveexec_b32 s30, s27
	s_cbranch_execnz .LBB142_700
	s_branch .LBB142_701
.LBB142_720:
	s_mov_b32 s28, -1
                                        ; implicit-def: $vgpr2_vgpr3
.LBB142_721:
	s_mov_b32 s30, 0
.LBB142_722:
	s_delay_alu instid0(SALU_CYCLE_1)
	s_and_b32 vcc_lo, exec_lo, s30
	s_cbranch_vccz .LBB142_726
; %bb.723:
	s_cmp_eq_u32 s26, 11
	s_cbranch_scc0 .LBB142_725
; %bb.724:
	global_load_u8 v2, v[4:5], off
	s_mov_b32 s28, 0
	s_mov_b32 s27, -1
	s_wait_loadcnt 0x0
	v_cmp_ne_u16_e32 vcc_lo, 0, v2
	v_mov_b32_e32 v2, 0
	v_cndmask_b32_e64 v3, 0, 0x3ff00000, vcc_lo
	s_branch .LBB142_726
.LBB142_725:
	s_mov_b32 s28, -1
                                        ; implicit-def: $vgpr2_vgpr3
.LBB142_726:
	s_mov_b32 s26, 0
.LBB142_727:
	s_delay_alu instid0(SALU_CYCLE_1)
	s_and_b32 vcc_lo, exec_lo, s26
	s_cbranch_vccz .LBB142_776
; %bb.728:
	s_and_b32 s0, 0xffff, s0
	s_delay_alu instid0(SALU_CYCLE_1)
	s_cmp_lt_i32 s0, 5
	s_cbranch_scc1 .LBB142_733
; %bb.729:
	s_cmp_lt_i32 s0, 8
	s_cbranch_scc1 .LBB142_734
; %bb.730:
	s_cmp_lt_i32 s0, 9
	s_cbranch_scc1 .LBB142_735
; %bb.731:
	s_cmp_gt_i32 s0, 9
	s_cbranch_scc0 .LBB142_736
; %bb.732:
	global_load_b64 v[2:3], v[4:5], off
	s_mov_b32 s26, 0
	s_branch .LBB142_737
.LBB142_733:
	s_mov_b32 s26, -1
                                        ; implicit-def: $vgpr2_vgpr3
	s_branch .LBB142_755
.LBB142_734:
	s_mov_b32 s26, -1
                                        ; implicit-def: $vgpr2_vgpr3
	s_branch .LBB142_743
.LBB142_735:
	s_mov_b32 s26, -1
                                        ; implicit-def: $vgpr2_vgpr3
	s_branch .LBB142_740
.LBB142_736:
	s_mov_b32 s26, -1
                                        ; implicit-def: $vgpr2_vgpr3
.LBB142_737:
	s_delay_alu instid0(SALU_CYCLE_1)
	s_and_not1_b32 vcc_lo, exec_lo, s26
	s_cbranch_vccnz .LBB142_739
; %bb.738:
	s_wait_loadcnt 0x0
	global_load_b32 v2, v[4:5], off
	s_wait_loadcnt 0x0
	v_cvt_f64_f32_e32 v[2:3], v2
.LBB142_739:
	s_mov_b32 s26, 0
.LBB142_740:
	s_delay_alu instid0(SALU_CYCLE_1)
	s_and_not1_b32 vcc_lo, exec_lo, s26
	s_cbranch_vccnz .LBB142_742
; %bb.741:
	s_wait_loadcnt 0x0
	global_load_b32 v2, v[4:5], off
	s_wait_loadcnt 0x0
	v_cvt_f32_f16_e32 v2, v2
	s_delay_alu instid0(VALU_DEP_1)
	v_cvt_f64_f32_e32 v[2:3], v2
.LBB142_742:
	s_mov_b32 s26, 0
.LBB142_743:
	s_delay_alu instid0(SALU_CYCLE_1)
	s_and_not1_b32 vcc_lo, exec_lo, s26
	s_cbranch_vccnz .LBB142_754
; %bb.744:
	s_cmp_lt_i32 s0, 6
	s_cbranch_scc1 .LBB142_747
; %bb.745:
	s_cmp_gt_i32 s0, 6
	s_cbranch_scc0 .LBB142_748
; %bb.746:
	s_wait_loadcnt 0x0
	global_load_b64 v[2:3], v[4:5], off
	s_mov_b32 s26, 0
	s_branch .LBB142_749
.LBB142_747:
	s_mov_b32 s26, -1
                                        ; implicit-def: $vgpr2_vgpr3
	s_branch .LBB142_752
.LBB142_748:
	s_mov_b32 s26, -1
                                        ; implicit-def: $vgpr2_vgpr3
.LBB142_749:
	s_delay_alu instid0(SALU_CYCLE_1)
	s_and_not1_b32 vcc_lo, exec_lo, s26
	s_cbranch_vccnz .LBB142_751
; %bb.750:
	s_wait_loadcnt 0x0
	global_load_b32 v2, v[4:5], off
	s_wait_loadcnt 0x0
	v_cvt_f64_f32_e32 v[2:3], v2
.LBB142_751:
	s_mov_b32 s26, 0
.LBB142_752:
	s_delay_alu instid0(SALU_CYCLE_1)
	s_and_not1_b32 vcc_lo, exec_lo, s26
	s_cbranch_vccnz .LBB142_754
; %bb.753:
	s_wait_loadcnt 0x0
	global_load_u16 v2, v[4:5], off
	s_wait_loadcnt 0x0
	v_cvt_f32_f16_e32 v2, v2
	s_delay_alu instid0(VALU_DEP_1)
	v_cvt_f64_f32_e32 v[2:3], v2
.LBB142_754:
	s_mov_b32 s26, 0
.LBB142_755:
	s_delay_alu instid0(SALU_CYCLE_1)
	s_and_not1_b32 vcc_lo, exec_lo, s26
	s_cbranch_vccnz .LBB142_775
; %bb.756:
	s_cmp_lt_i32 s0, 2
	s_cbranch_scc1 .LBB142_760
; %bb.757:
	s_cmp_lt_i32 s0, 3
	s_cbranch_scc1 .LBB142_761
; %bb.758:
	s_cmp_gt_i32 s0, 3
	s_cbranch_scc0 .LBB142_762
; %bb.759:
	s_wait_loadcnt 0x0
	global_load_b64 v[2:3], v[4:5], off
	s_mov_b32 s26, 0
	s_wait_loadcnt 0x0
	v_cvt_f64_i32_e32 v[6:7], v3
	v_cvt_f64_u32_e32 v[2:3], v2
	s_delay_alu instid0(VALU_DEP_2) | instskip(NEXT) | instid1(VALU_DEP_1)
	v_ldexp_f64 v[6:7], v[6:7], 32
	v_add_f64_e32 v[2:3], v[6:7], v[2:3]
	s_branch .LBB142_763
.LBB142_760:
	s_mov_b32 s26, -1
                                        ; implicit-def: $vgpr2_vgpr3
	s_branch .LBB142_769
.LBB142_761:
	s_mov_b32 s26, -1
                                        ; implicit-def: $vgpr2_vgpr3
	s_branch .LBB142_766
.LBB142_762:
	s_mov_b32 s26, -1
                                        ; implicit-def: $vgpr2_vgpr3
.LBB142_763:
	s_delay_alu instid0(SALU_CYCLE_1)
	s_and_not1_b32 vcc_lo, exec_lo, s26
	s_cbranch_vccnz .LBB142_765
; %bb.764:
	s_wait_loadcnt 0x0
	global_load_b32 v2, v[4:5], off
	s_wait_loadcnt 0x0
	v_cvt_f64_i32_e32 v[2:3], v2
.LBB142_765:
	s_mov_b32 s26, 0
.LBB142_766:
	s_delay_alu instid0(SALU_CYCLE_1)
	s_and_not1_b32 vcc_lo, exec_lo, s26
	s_cbranch_vccnz .LBB142_768
; %bb.767:
	s_wait_loadcnt 0x0
	global_load_i16 v2, v[4:5], off
	s_wait_loadcnt 0x0
	v_cvt_f64_i32_e32 v[2:3], v2
.LBB142_768:
	s_mov_b32 s26, 0
.LBB142_769:
	s_delay_alu instid0(SALU_CYCLE_1)
	s_and_not1_b32 vcc_lo, exec_lo, s26
	s_cbranch_vccnz .LBB142_775
; %bb.770:
	s_cmp_gt_i32 s0, 0
	s_mov_b32 s0, 0
	s_cbranch_scc0 .LBB142_772
; %bb.771:
	s_wait_loadcnt 0x0
	global_load_i8 v2, v[4:5], off
	s_wait_loadcnt 0x0
	v_cvt_f64_i32_e32 v[2:3], v2
	s_branch .LBB142_773
.LBB142_772:
	s_mov_b32 s0, -1
                                        ; implicit-def: $vgpr2_vgpr3
.LBB142_773:
	s_delay_alu instid0(SALU_CYCLE_1)
	s_and_not1_b32 vcc_lo, exec_lo, s0
	s_cbranch_vccnz .LBB142_775
; %bb.774:
	s_wait_loadcnt 0x0
	global_load_u8 v2, v[4:5], off
	s_wait_loadcnt 0x0
	v_cvt_f64_u32_e32 v[2:3], v2
.LBB142_775:
	s_mov_b32 s27, -1
.LBB142_776:
	s_delay_alu instid0(SALU_CYCLE_1)
	s_and_not1_b32 vcc_lo, exec_lo, s27
	s_cbranch_vccnz .LBB142_784
; %bb.777:
	s_wait_xcnt 0x0
	v_mul_lo_u32 v4, v26, s15
	s_and_b32 s0, 0xffff, s1
	s_delay_alu instid0(SALU_CYCLE_1) | instskip(NEXT) | instid1(VALU_DEP_1)
	s_cmp_lt_i32 s0, 11
	v_ashrrev_i32_e32 v5, 31, v4
	s_delay_alu instid0(VALU_DEP_1)
	v_add_nc_u64_e32 v[4:5], s[10:11], v[4:5]
	s_cbranch_scc1 .LBB142_785
; %bb.778:
	s_cmp_gt_i32 s0, 25
	s_cbranch_scc0 .LBB142_786
; %bb.779:
	s_cmp_gt_i32 s0, 28
	s_cbranch_scc0 .LBB142_787
	;; [unrolled: 3-line block ×4, first 2 shown]
; %bb.782:
	s_cmp_eq_u32 s0, 46
	s_mov_b32 s30, 0
	s_cbranch_scc0 .LBB142_792
; %bb.783:
	global_load_b32 v6, v[4:5], off
	s_mov_b32 s27, -1
	s_mov_b32 s26, 0
	s_wait_loadcnt 0x0
	v_lshlrev_b32_e32 v6, 16, v6
	s_delay_alu instid0(VALU_DEP_1)
	v_cvt_f64_f32_e32 v[6:7], v6
	s_branch .LBB142_794
.LBB142_784:
	s_mov_b32 s30, 0
	s_mov_b32 s0, s19
	s_mov_b32 s26, s21
	s_branch .LBB142_1033
.LBB142_785:
	s_mov_b32 s30, -1
	s_mov_b32 s27, 0
	s_mov_b32 s26, s21
                                        ; implicit-def: $vgpr6_vgpr7
	s_branch .LBB142_859
.LBB142_786:
	s_mov_b32 s30, -1
	s_mov_b32 s27, 0
	s_mov_b32 s26, s21
                                        ; implicit-def: $vgpr6_vgpr7
	s_branch .LBB142_823
.LBB142_787:
	s_mov_b32 s30, -1
	s_mov_b32 s27, 0
	s_mov_b32 s26, s21
                                        ; implicit-def: $vgpr6_vgpr7
	s_branch .LBB142_804
.LBB142_788:
	s_mov_b32 s30, -1
	s_mov_b32 s27, 0
	s_mov_b32 s26, s21
                                        ; implicit-def: $vgpr6_vgpr7
	s_branch .LBB142_799
.LBB142_789:
	s_mov_b32 s30, -1
	s_mov_b32 s27, 0
	s_mov_b32 s26, s21
	s_branch .LBB142_793
.LBB142_790:
	s_and_not1_saveexec_b32 s29, s29
	s_cbranch_execz .LBB142_434
.LBB142_791:
	v_add_f32_e64 v3, 0x42800000, |v2|
	s_and_not1_b32 s28, s28, exec_lo
	s_delay_alu instid0(VALU_DEP_1) | instskip(NEXT) | instid1(VALU_DEP_1)
	v_and_b32_e32 v3, 0xff, v3
	v_cmp_ne_u32_e32 vcc_lo, 0, v3
	s_and_b32 s30, vcc_lo, exec_lo
	s_delay_alu instid0(SALU_CYCLE_1)
	s_or_b32 s28, s28, s30
	s_or_b32 exec_lo, exec_lo, s29
	v_mov_b32_e32 v6, 0
	s_and_saveexec_b32 s29, s28
	s_cbranch_execnz .LBB142_435
	s_branch .LBB142_436
.LBB142_792:
	s_mov_b32 s26, -1
	s_mov_b32 s27, 0
.LBB142_793:
                                        ; implicit-def: $vgpr6_vgpr7
.LBB142_794:
	s_and_b32 vcc_lo, exec_lo, s30
	s_cbranch_vccz .LBB142_798
; %bb.795:
	s_cmp_eq_u32 s0, 44
	s_cbranch_scc0 .LBB142_797
; %bb.796:
	global_load_u8 v8, v[4:5], off
	s_mov_b32 s26, 0
	s_mov_b32 s27, -1
	s_wait_loadcnt 0x0
	v_cmp_ne_u32_e32 vcc_lo, 0xff, v8
	v_lshlrev_b32_e32 v6, 23, v8
	s_delay_alu instid0(VALU_DEP_1) | instskip(NEXT) | instid1(VALU_DEP_1)
	v_cvt_f64_f32_e32 v[6:7], v6
	v_cndmask_b32_e32 v6, 0x20000000, v6, vcc_lo
	s_delay_alu instid0(VALU_DEP_2) | instskip(SKIP_1) | instid1(VALU_DEP_2)
	v_cndmask_b32_e32 v7, 0x7ff80000, v7, vcc_lo
	v_cmp_ne_u32_e32 vcc_lo, 0, v8
	v_cndmask_b32_e32 v7, 0x38000000, v7, vcc_lo
	s_delay_alu instid0(VALU_DEP_4)
	v_cndmask_b32_e32 v6, 0, v6, vcc_lo
	s_branch .LBB142_798
.LBB142_797:
	s_mov_b32 s26, -1
                                        ; implicit-def: $vgpr6_vgpr7
.LBB142_798:
	s_mov_b32 s30, 0
.LBB142_799:
	s_delay_alu instid0(SALU_CYCLE_1)
	s_and_b32 vcc_lo, exec_lo, s30
	s_cbranch_vccz .LBB142_803
; %bb.800:
	s_cmp_eq_u32 s0, 29
	s_cbranch_scc0 .LBB142_802
; %bb.801:
	global_load_b64 v[6:7], v[4:5], off
	s_mov_b32 s27, -1
	s_mov_b32 s26, 0
	s_mov_b32 s30, 0
	s_wait_loadcnt 0x0
	v_cvt_f64_u32_e32 v[8:9], v7
	v_cvt_f64_u32_e32 v[6:7], v6
	s_delay_alu instid0(VALU_DEP_2) | instskip(NEXT) | instid1(VALU_DEP_1)
	v_ldexp_f64 v[8:9], v[8:9], 32
	v_add_f64_e32 v[6:7], v[8:9], v[6:7]
	s_branch .LBB142_804
.LBB142_802:
	s_mov_b32 s26, -1
                                        ; implicit-def: $vgpr6_vgpr7
.LBB142_803:
	s_mov_b32 s30, 0
.LBB142_804:
	s_delay_alu instid0(SALU_CYCLE_1)
	s_and_b32 vcc_lo, exec_lo, s30
	s_cbranch_vccz .LBB142_822
; %bb.805:
	s_cmp_lt_i32 s0, 27
	s_cbranch_scc1 .LBB142_808
; %bb.806:
	s_cmp_gt_i32 s0, 27
	s_cbranch_scc0 .LBB142_809
; %bb.807:
	global_load_b32 v6, v[4:5], off
	s_mov_b32 s27, 0
	s_wait_loadcnt 0x0
	v_cvt_f64_u32_e32 v[6:7], v6
	s_branch .LBB142_810
.LBB142_808:
	s_mov_b32 s27, -1
                                        ; implicit-def: $vgpr6_vgpr7
	s_branch .LBB142_813
.LBB142_809:
	s_mov_b32 s27, -1
                                        ; implicit-def: $vgpr6_vgpr7
.LBB142_810:
	s_delay_alu instid0(SALU_CYCLE_1)
	s_and_not1_b32 vcc_lo, exec_lo, s27
	s_cbranch_vccnz .LBB142_812
; %bb.811:
	global_load_u16 v6, v[4:5], off
	s_wait_loadcnt 0x0
	v_cvt_f64_u32_e32 v[6:7], v6
.LBB142_812:
	s_mov_b32 s27, 0
.LBB142_813:
	s_delay_alu instid0(SALU_CYCLE_1)
	s_and_not1_b32 vcc_lo, exec_lo, s27
	s_cbranch_vccnz .LBB142_821
; %bb.814:
	global_load_u8 v8, v[4:5], off
	s_mov_b32 s27, 0
	s_mov_b32 s30, exec_lo
	s_wait_loadcnt 0x0
	v_cmpx_lt_i16_e32 0x7f, v8
	s_xor_b32 s30, exec_lo, s30
	s_cbranch_execz .LBB142_835
; %bb.815:
	s_mov_b32 s27, -1
	s_mov_b32 s31, exec_lo
	v_cmpx_eq_u16_e32 0x80, v8
; %bb.816:
	s_xor_b32 s27, exec_lo, -1
; %bb.817:
	s_or_b32 exec_lo, exec_lo, s31
	s_delay_alu instid0(SALU_CYCLE_1)
	s_and_b32 s27, s27, exec_lo
	s_or_saveexec_b32 s30, s30
	v_mov_b64_e32 v[6:7], 0x7ff8000020000000
	s_xor_b32 exec_lo, exec_lo, s30
	s_cbranch_execnz .LBB142_836
.LBB142_818:
	s_or_b32 exec_lo, exec_lo, s30
	s_and_saveexec_b32 s30, s27
	s_cbranch_execz .LBB142_820
.LBB142_819:
	v_and_b32_e32 v6, 0xffff, v8
	s_delay_alu instid0(VALU_DEP_1) | instskip(SKIP_1) | instid1(VALU_DEP_2)
	v_and_b32_e32 v7, 7, v6
	v_bfe_u32 v11, v6, 3, 4
	v_clz_i32_u32_e32 v9, v7
	s_delay_alu instid0(VALU_DEP_2) | instskip(NEXT) | instid1(VALU_DEP_2)
	v_cmp_eq_u32_e32 vcc_lo, 0, v11
	v_min_u32_e32 v9, 32, v9
	s_delay_alu instid0(VALU_DEP_1) | instskip(NEXT) | instid1(VALU_DEP_1)
	v_subrev_nc_u32_e32 v10, 28, v9
	v_dual_lshlrev_b32 v6, v10, v6 :: v_dual_sub_nc_u32 v9, 29, v9
	s_delay_alu instid0(VALU_DEP_1) | instskip(NEXT) | instid1(VALU_DEP_2)
	v_dual_lshlrev_b32 v8, 24, v8 :: v_dual_bitop2_b32 v6, 7, v6 bitop3:0x40
	v_cndmask_b32_e32 v9, v11, v9, vcc_lo
	s_delay_alu instid0(VALU_DEP_2) | instskip(NEXT) | instid1(VALU_DEP_3)
	v_cndmask_b32_e32 v6, v7, v6, vcc_lo
	v_and_b32_e32 v7, 0x80000000, v8
	s_delay_alu instid0(VALU_DEP_3) | instskip(NEXT) | instid1(VALU_DEP_3)
	v_lshl_add_u32 v8, v9, 23, 0x3b800000
	v_lshlrev_b32_e32 v6, 20, v6
	s_delay_alu instid0(VALU_DEP_1) | instskip(NEXT) | instid1(VALU_DEP_1)
	v_or3_b32 v6, v7, v8, v6
	v_cvt_f64_f32_e32 v[6:7], v6
.LBB142_820:
	s_or_b32 exec_lo, exec_lo, s30
.LBB142_821:
	s_mov_b32 s27, -1
.LBB142_822:
	s_mov_b32 s30, 0
.LBB142_823:
	s_delay_alu instid0(SALU_CYCLE_1)
	s_and_b32 vcc_lo, exec_lo, s30
	s_cbranch_vccz .LBB142_858
; %bb.824:
	s_cmp_gt_i32 s0, 22
	s_cbranch_scc0 .LBB142_834
; %bb.825:
	s_cmp_lt_i32 s0, 24
	s_cbranch_scc1 .LBB142_837
; %bb.826:
	s_cmp_gt_i32 s0, 24
	s_cbranch_scc0 .LBB142_838
; %bb.827:
	global_load_u8 v8, v[4:5], off
	s_mov_b32 s27, 0
	s_mov_b32 s30, exec_lo
	s_wait_loadcnt 0x0
	v_cmpx_lt_i16_e32 0x7f, v8
	s_xor_b32 s30, exec_lo, s30
	s_cbranch_execz .LBB142_850
; %bb.828:
	s_mov_b32 s27, -1
	s_mov_b32 s31, exec_lo
	v_cmpx_eq_u16_e32 0x80, v8
; %bb.829:
	s_xor_b32 s27, exec_lo, -1
; %bb.830:
	s_or_b32 exec_lo, exec_lo, s31
	s_delay_alu instid0(SALU_CYCLE_1)
	s_and_b32 s27, s27, exec_lo
	s_or_saveexec_b32 s30, s30
	v_mov_b64_e32 v[6:7], 0x7ff8000020000000
	s_xor_b32 exec_lo, exec_lo, s30
	s_cbranch_execnz .LBB142_851
.LBB142_831:
	s_or_b32 exec_lo, exec_lo, s30
	s_and_saveexec_b32 s30, s27
	s_cbranch_execz .LBB142_833
.LBB142_832:
	v_and_b32_e32 v6, 0xffff, v8
	s_delay_alu instid0(VALU_DEP_1) | instskip(SKIP_1) | instid1(VALU_DEP_2)
	v_and_b32_e32 v7, 3, v6
	v_bfe_u32 v11, v6, 2, 5
	v_clz_i32_u32_e32 v9, v7
	s_delay_alu instid0(VALU_DEP_2) | instskip(NEXT) | instid1(VALU_DEP_2)
	v_cmp_eq_u32_e32 vcc_lo, 0, v11
	v_min_u32_e32 v9, 32, v9
	s_delay_alu instid0(VALU_DEP_1) | instskip(NEXT) | instid1(VALU_DEP_1)
	v_subrev_nc_u32_e32 v10, 29, v9
	v_dual_lshlrev_b32 v6, v10, v6 :: v_dual_sub_nc_u32 v9, 30, v9
	s_delay_alu instid0(VALU_DEP_1) | instskip(NEXT) | instid1(VALU_DEP_2)
	v_dual_lshlrev_b32 v8, 24, v8 :: v_dual_bitop2_b32 v6, 3, v6 bitop3:0x40
	v_cndmask_b32_e32 v9, v11, v9, vcc_lo
	s_delay_alu instid0(VALU_DEP_2) | instskip(NEXT) | instid1(VALU_DEP_3)
	v_cndmask_b32_e32 v6, v7, v6, vcc_lo
	v_and_b32_e32 v7, 0x80000000, v8
	s_delay_alu instid0(VALU_DEP_3) | instskip(NEXT) | instid1(VALU_DEP_3)
	v_lshl_add_u32 v8, v9, 23, 0x37800000
	v_lshlrev_b32_e32 v6, 21, v6
	s_delay_alu instid0(VALU_DEP_1) | instskip(NEXT) | instid1(VALU_DEP_1)
	v_or3_b32 v6, v7, v8, v6
	v_cvt_f64_f32_e32 v[6:7], v6
.LBB142_833:
	s_or_b32 exec_lo, exec_lo, s30
	s_mov_b32 s27, 0
	s_branch .LBB142_839
.LBB142_834:
	s_mov_b32 s30, -1
                                        ; implicit-def: $vgpr6_vgpr7
	s_branch .LBB142_845
.LBB142_835:
	s_or_saveexec_b32 s30, s30
	v_mov_b64_e32 v[6:7], 0x7ff8000020000000
	s_xor_b32 exec_lo, exec_lo, s30
	s_cbranch_execz .LBB142_818
.LBB142_836:
	v_cmp_ne_u16_e32 vcc_lo, 0, v8
	v_mov_b64_e32 v[6:7], 0
	s_and_not1_b32 s27, s27, exec_lo
	s_and_b32 s31, vcc_lo, exec_lo
	s_delay_alu instid0(SALU_CYCLE_1)
	s_or_b32 s27, s27, s31
	s_or_b32 exec_lo, exec_lo, s30
	s_and_saveexec_b32 s30, s27
	s_cbranch_execnz .LBB142_819
	s_branch .LBB142_820
.LBB142_837:
	s_mov_b32 s27, -1
                                        ; implicit-def: $vgpr6_vgpr7
	s_branch .LBB142_842
.LBB142_838:
	s_mov_b32 s27, -1
                                        ; implicit-def: $vgpr6_vgpr7
.LBB142_839:
	s_delay_alu instid0(SALU_CYCLE_1)
	s_and_b32 vcc_lo, exec_lo, s27
	s_cbranch_vccz .LBB142_841
; %bb.840:
	global_load_u8 v6, v[4:5], off
	s_wait_loadcnt 0x0
	v_lshlrev_b32_e32 v6, 24, v6
	s_delay_alu instid0(VALU_DEP_1) | instskip(NEXT) | instid1(VALU_DEP_1)
	v_and_b32_e32 v7, 0x7f000000, v6
	v_clz_i32_u32_e32 v8, v7
	v_cmp_ne_u32_e32 vcc_lo, 0, v7
	v_add_nc_u32_e32 v10, 0x1000000, v7
	s_delay_alu instid0(VALU_DEP_3) | instskip(NEXT) | instid1(VALU_DEP_1)
	v_min_u32_e32 v8, 32, v8
	v_sub_nc_u32_e64 v8, v8, 4 clamp
	s_delay_alu instid0(VALU_DEP_1) | instskip(NEXT) | instid1(VALU_DEP_1)
	v_dual_lshlrev_b32 v9, v8, v7 :: v_dual_lshlrev_b32 v8, 23, v8
	v_lshrrev_b32_e32 v9, 4, v9
	s_delay_alu instid0(VALU_DEP_1) | instskip(NEXT) | instid1(VALU_DEP_1)
	v_dual_sub_nc_u32 v8, v9, v8 :: v_dual_ashrrev_i32 v9, 8, v10
	v_add_nc_u32_e32 v8, 0x3c000000, v8
	s_delay_alu instid0(VALU_DEP_1) | instskip(NEXT) | instid1(VALU_DEP_1)
	v_and_or_b32 v8, 0x7f800000, v9, v8
	v_cndmask_b32_e32 v7, 0, v8, vcc_lo
	s_delay_alu instid0(VALU_DEP_1) | instskip(NEXT) | instid1(VALU_DEP_1)
	v_and_or_b32 v6, 0x80000000, v6, v7
	v_cvt_f64_f32_e32 v[6:7], v6
.LBB142_841:
	s_mov_b32 s27, 0
.LBB142_842:
	s_delay_alu instid0(SALU_CYCLE_1)
	s_and_not1_b32 vcc_lo, exec_lo, s27
	s_cbranch_vccnz .LBB142_844
; %bb.843:
	global_load_u8 v6, v[4:5], off
	s_wait_loadcnt 0x0
	v_lshlrev_b32_e32 v7, 25, v6
	v_lshlrev_b16 v6, 8, v6
	s_delay_alu instid0(VALU_DEP_1) | instskip(SKIP_1) | instid1(VALU_DEP_2)
	v_and_or_b32 v9, 0x7f00, v6, 0.5
	v_bfe_i32 v6, v6, 0, 16
	v_dual_add_f32 v9, -0.5, v9 :: v_dual_lshrrev_b32 v8, 4, v7
	v_cmp_gt_u32_e32 vcc_lo, 0x8000000, v7
	s_delay_alu instid0(VALU_DEP_2) | instskip(NEXT) | instid1(VALU_DEP_1)
	v_or_b32_e32 v8, 0x70000000, v8
	v_mul_f32_e32 v8, 0x7800000, v8
	s_delay_alu instid0(VALU_DEP_1) | instskip(NEXT) | instid1(VALU_DEP_1)
	v_cndmask_b32_e32 v7, v8, v9, vcc_lo
	v_and_or_b32 v6, 0x80000000, v6, v7
	s_delay_alu instid0(VALU_DEP_1)
	v_cvt_f64_f32_e32 v[6:7], v6
.LBB142_844:
	s_mov_b32 s30, 0
	s_mov_b32 s27, -1
.LBB142_845:
	s_and_not1_b32 vcc_lo, exec_lo, s30
	s_cbranch_vccnz .LBB142_858
; %bb.846:
	s_cmp_gt_i32 s0, 14
	s_cbranch_scc0 .LBB142_849
; %bb.847:
	s_cmp_eq_u32 s0, 15
	s_cbranch_scc0 .LBB142_852
; %bb.848:
	global_load_u16 v6, v[4:5], off
	s_mov_b32 s27, -1
	s_mov_b32 s26, 0
	s_wait_loadcnt 0x0
	v_lshlrev_b32_e32 v6, 16, v6
	s_delay_alu instid0(VALU_DEP_1)
	v_cvt_f64_f32_e32 v[6:7], v6
	s_branch .LBB142_853
.LBB142_849:
	s_mov_b32 s30, -1
                                        ; implicit-def: $vgpr6_vgpr7
	s_branch .LBB142_854
.LBB142_850:
	s_or_saveexec_b32 s30, s30
	v_mov_b64_e32 v[6:7], 0x7ff8000020000000
	s_xor_b32 exec_lo, exec_lo, s30
	s_cbranch_execz .LBB142_831
.LBB142_851:
	v_cmp_ne_u16_e32 vcc_lo, 0, v8
	v_mov_b64_e32 v[6:7], 0
	s_and_not1_b32 s27, s27, exec_lo
	s_and_b32 s31, vcc_lo, exec_lo
	s_delay_alu instid0(SALU_CYCLE_1)
	s_or_b32 s27, s27, s31
	s_or_b32 exec_lo, exec_lo, s30
	s_and_saveexec_b32 s30, s27
	s_cbranch_execnz .LBB142_832
	s_branch .LBB142_833
.LBB142_852:
	s_mov_b32 s26, -1
                                        ; implicit-def: $vgpr6_vgpr7
.LBB142_853:
	s_mov_b32 s30, 0
.LBB142_854:
	s_delay_alu instid0(SALU_CYCLE_1)
	s_and_b32 vcc_lo, exec_lo, s30
	s_cbranch_vccz .LBB142_858
; %bb.855:
	s_cmp_eq_u32 s0, 11
	s_cbranch_scc0 .LBB142_857
; %bb.856:
	global_load_u8 v6, v[4:5], off
	s_mov_b32 s26, 0
	s_mov_b32 s27, -1
	s_wait_loadcnt 0x0
	v_cmp_ne_u16_e32 vcc_lo, 0, v6
	v_mov_b32_e32 v6, 0
	v_cndmask_b32_e64 v7, 0, 0x3ff00000, vcc_lo
	s_branch .LBB142_858
.LBB142_857:
	s_mov_b32 s26, -1
                                        ; implicit-def: $vgpr6_vgpr7
.LBB142_858:
	s_mov_b32 s30, 0
.LBB142_859:
	s_delay_alu instid0(SALU_CYCLE_1)
	s_and_b32 vcc_lo, exec_lo, s30
	s_cbranch_vccz .LBB142_908
; %bb.860:
	s_cmp_lt_i32 s0, 5
	s_cbranch_scc1 .LBB142_865
; %bb.861:
	s_cmp_lt_i32 s0, 8
	s_cbranch_scc1 .LBB142_866
	;; [unrolled: 3-line block ×3, first 2 shown]
; %bb.863:
	s_cmp_gt_i32 s0, 9
	s_cbranch_scc0 .LBB142_868
; %bb.864:
	global_load_b64 v[6:7], v[4:5], off
	s_mov_b32 s27, 0
	s_branch .LBB142_869
.LBB142_865:
	s_mov_b32 s27, -1
                                        ; implicit-def: $vgpr6_vgpr7
	s_branch .LBB142_887
.LBB142_866:
	s_mov_b32 s27, -1
                                        ; implicit-def: $vgpr6_vgpr7
	s_branch .LBB142_875
.LBB142_867:
	s_mov_b32 s27, -1
                                        ; implicit-def: $vgpr6_vgpr7
	s_branch .LBB142_872
.LBB142_868:
	s_mov_b32 s27, -1
                                        ; implicit-def: $vgpr6_vgpr7
.LBB142_869:
	s_delay_alu instid0(SALU_CYCLE_1)
	s_and_not1_b32 vcc_lo, exec_lo, s27
	s_cbranch_vccnz .LBB142_871
; %bb.870:
	s_wait_loadcnt 0x0
	global_load_b32 v6, v[4:5], off
	s_wait_loadcnt 0x0
	v_cvt_f64_f32_e32 v[6:7], v6
.LBB142_871:
	s_mov_b32 s27, 0
.LBB142_872:
	s_delay_alu instid0(SALU_CYCLE_1)
	s_and_not1_b32 vcc_lo, exec_lo, s27
	s_cbranch_vccnz .LBB142_874
; %bb.873:
	s_wait_loadcnt 0x0
	global_load_b32 v6, v[4:5], off
	s_wait_loadcnt 0x0
	v_cvt_f32_f16_e32 v6, v6
	s_delay_alu instid0(VALU_DEP_1)
	v_cvt_f64_f32_e32 v[6:7], v6
.LBB142_874:
	s_mov_b32 s27, 0
.LBB142_875:
	s_delay_alu instid0(SALU_CYCLE_1)
	s_and_not1_b32 vcc_lo, exec_lo, s27
	s_cbranch_vccnz .LBB142_886
; %bb.876:
	s_cmp_lt_i32 s0, 6
	s_cbranch_scc1 .LBB142_879
; %bb.877:
	s_cmp_gt_i32 s0, 6
	s_cbranch_scc0 .LBB142_880
; %bb.878:
	s_wait_loadcnt 0x0
	global_load_b64 v[6:7], v[4:5], off
	s_mov_b32 s27, 0
	s_branch .LBB142_881
.LBB142_879:
	s_mov_b32 s27, -1
                                        ; implicit-def: $vgpr6_vgpr7
	s_branch .LBB142_884
.LBB142_880:
	s_mov_b32 s27, -1
                                        ; implicit-def: $vgpr6_vgpr7
.LBB142_881:
	s_delay_alu instid0(SALU_CYCLE_1)
	s_and_not1_b32 vcc_lo, exec_lo, s27
	s_cbranch_vccnz .LBB142_883
; %bb.882:
	s_wait_loadcnt 0x0
	global_load_b32 v6, v[4:5], off
	s_wait_loadcnt 0x0
	v_cvt_f64_f32_e32 v[6:7], v6
.LBB142_883:
	s_mov_b32 s27, 0
.LBB142_884:
	s_delay_alu instid0(SALU_CYCLE_1)
	s_and_not1_b32 vcc_lo, exec_lo, s27
	s_cbranch_vccnz .LBB142_886
; %bb.885:
	s_wait_loadcnt 0x0
	global_load_u16 v6, v[4:5], off
	s_wait_loadcnt 0x0
	v_cvt_f32_f16_e32 v6, v6
	s_delay_alu instid0(VALU_DEP_1)
	v_cvt_f64_f32_e32 v[6:7], v6
.LBB142_886:
	s_mov_b32 s27, 0
.LBB142_887:
	s_delay_alu instid0(SALU_CYCLE_1)
	s_and_not1_b32 vcc_lo, exec_lo, s27
	s_cbranch_vccnz .LBB142_907
; %bb.888:
	s_cmp_lt_i32 s0, 2
	s_cbranch_scc1 .LBB142_892
; %bb.889:
	s_cmp_lt_i32 s0, 3
	s_cbranch_scc1 .LBB142_893
; %bb.890:
	s_cmp_gt_i32 s0, 3
	s_cbranch_scc0 .LBB142_894
; %bb.891:
	s_wait_loadcnt 0x0
	global_load_b64 v[6:7], v[4:5], off
	s_mov_b32 s27, 0
	s_wait_loadcnt 0x0
	v_cvt_f64_i32_e32 v[8:9], v7
	v_cvt_f64_u32_e32 v[6:7], v6
	s_delay_alu instid0(VALU_DEP_2) | instskip(NEXT) | instid1(VALU_DEP_1)
	v_ldexp_f64 v[8:9], v[8:9], 32
	v_add_f64_e32 v[6:7], v[8:9], v[6:7]
	s_branch .LBB142_895
.LBB142_892:
	s_mov_b32 s27, -1
                                        ; implicit-def: $vgpr6_vgpr7
	s_branch .LBB142_901
.LBB142_893:
	s_mov_b32 s27, -1
                                        ; implicit-def: $vgpr6_vgpr7
	s_branch .LBB142_898
.LBB142_894:
	s_mov_b32 s27, -1
                                        ; implicit-def: $vgpr6_vgpr7
.LBB142_895:
	s_delay_alu instid0(SALU_CYCLE_1)
	s_and_not1_b32 vcc_lo, exec_lo, s27
	s_cbranch_vccnz .LBB142_897
; %bb.896:
	s_wait_loadcnt 0x0
	global_load_b32 v6, v[4:5], off
	s_wait_loadcnt 0x0
	v_cvt_f64_i32_e32 v[6:7], v6
.LBB142_897:
	s_mov_b32 s27, 0
.LBB142_898:
	s_delay_alu instid0(SALU_CYCLE_1)
	s_and_not1_b32 vcc_lo, exec_lo, s27
	s_cbranch_vccnz .LBB142_900
; %bb.899:
	s_wait_loadcnt 0x0
	global_load_i16 v6, v[4:5], off
	s_wait_loadcnt 0x0
	v_cvt_f64_i32_e32 v[6:7], v6
.LBB142_900:
	s_mov_b32 s27, 0
.LBB142_901:
	s_delay_alu instid0(SALU_CYCLE_1)
	s_and_not1_b32 vcc_lo, exec_lo, s27
	s_cbranch_vccnz .LBB142_907
; %bb.902:
	s_cmp_gt_i32 s0, 0
	s_mov_b32 s0, 0
	s_cbranch_scc0 .LBB142_904
; %bb.903:
	s_wait_loadcnt 0x0
	global_load_i8 v6, v[4:5], off
	s_wait_loadcnt 0x0
	v_cvt_f64_i32_e32 v[6:7], v6
	s_branch .LBB142_905
.LBB142_904:
	s_mov_b32 s0, -1
                                        ; implicit-def: $vgpr6_vgpr7
.LBB142_905:
	s_delay_alu instid0(SALU_CYCLE_1)
	s_and_not1_b32 vcc_lo, exec_lo, s0
	s_cbranch_vccnz .LBB142_907
; %bb.906:
	global_load_u8 v4, v[4:5], off
	s_wait_loadcnt 0x0
	v_cvt_f64_u32_e32 v[6:7], v4
.LBB142_907:
	s_mov_b32 s27, -1
.LBB142_908:
	s_delay_alu instid0(SALU_CYCLE_1)
	s_and_not1_b32 vcc_lo, exec_lo, s27
	s_cbranch_vccnz .LBB142_916
; %bb.909:
	s_wait_loadcnt 0x0
	s_delay_alu instid0(VALU_DEP_4) | instskip(SKIP_1) | instid1(VALU_DEP_3)
	v_max_num_f64_e32 v[4:5], v[2:3], v[2:3]
	v_max_num_f64_e32 v[8:9], v[0:1], v[0:1]
	;; [unrolled: 1-line block ×3, first 2 shown]
	v_cmp_u_f64_e32 vcc_lo, v[6:7], v[6:7]
	s_and_b32 s27, s2, 0xff
	s_delay_alu instid0(SALU_CYCLE_1) | instskip(NEXT) | instid1(VALU_DEP_3)
	s_cmp_lt_i32 s27, 11
	v_max_num_f64_e32 v[4:5], v[8:9], v[4:5]
	s_delay_alu instid0(VALU_DEP_1) | instskip(NEXT) | instid1(VALU_DEP_1)
	v_min_num_f64_e32 v[4:5], v[4:5], v[10:11]
	v_dual_cndmask_b32 v5, v5, v7 :: v_dual_cndmask_b32 v4, v4, v6
	v_cmp_u_f64_e32 vcc_lo, v[2:3], v[2:3]
	s_delay_alu instid0(VALU_DEP_2) | instskip(SKIP_2) | instid1(VALU_DEP_1)
	v_dual_cndmask_b32 v6, v4, v2 :: v_dual_cndmask_b32 v7, v5, v3
	v_cmp_u_f64_e32 vcc_lo, v[0:1], v[0:1]
	v_mul_lo_u32 v2, v26, s12
	v_ashrrev_i32_e32 v3, 31, v2
	s_delay_alu instid0(VALU_DEP_1)
	v_add_nc_u64_e32 v[4:5], s[4:5], v[2:3]
	v_dual_cndmask_b32 v1, v7, v1 :: v_dual_cndmask_b32 v0, v6, v0
	s_cbranch_scc1 .LBB142_917
; %bb.910:
	s_and_b32 s30, 0xffff, s27
	s_delay_alu instid0(SALU_CYCLE_1)
	s_cmp_gt_i32 s30, 25
	s_cbranch_scc0 .LBB142_918
; %bb.911:
	s_cmp_gt_i32 s30, 28
	s_cbranch_scc0 .LBB142_919
; %bb.912:
	;; [unrolled: 3-line block ×4, first 2 shown]
	s_mov_b32 s33, 0
	s_mov_b32 s0, -1
	s_cmp_eq_u32 s30, 46
	s_mov_b32 s31, 0
	s_cbranch_scc0 .LBB142_922
; %bb.915:
	v_cvt_f32_f64_e32 v2, v[0:1]
	s_mov_b32 s31, -1
	s_mov_b32 s0, 0
	s_delay_alu instid0(VALU_DEP_1) | instskip(SKIP_1) | instid1(VALU_DEP_2)
	v_bfe_u32 v3, v2, 16, 1
	v_cmp_o_f32_e32 vcc_lo, v2, v2
	v_add3_u32 v3, v2, v3, 0x7fff
	s_delay_alu instid0(VALU_DEP_1) | instskip(NEXT) | instid1(VALU_DEP_1)
	v_lshrrev_b32_e32 v3, 16, v3
	v_cndmask_b32_e32 v2, 0x7fc0, v3, vcc_lo
	global_store_b32 v[4:5], v2, off
	s_branch .LBB142_922
.LBB142_916:
	s_mov_b32 s30, 0
	s_mov_b32 s0, s19
	s_branch .LBB142_1033
.LBB142_917:
	s_mov_b32 s30, -1
	s_mov_b32 s31, 0
	s_mov_b32 s0, s19
	s_branch .LBB142_991
.LBB142_918:
	s_mov_b32 s33, -1
	s_mov_b32 s31, 0
	s_mov_b32 s0, s19
	s_branch .LBB142_949
.LBB142_919:
	s_mov_b32 s33, -1
	s_mov_b32 s31, 0
	s_mov_b32 s0, s19
	s_branch .LBB142_932
.LBB142_920:
	s_mov_b32 s33, -1
	s_mov_b32 s31, 0
	s_mov_b32 s0, s19
	s_branch .LBB142_928
.LBB142_921:
	s_mov_b32 s33, -1
	s_mov_b32 s31, 0
	s_mov_b32 s0, s19
.LBB142_922:
	s_and_b32 vcc_lo, exec_lo, s33
	s_cbranch_vccz .LBB142_927
; %bb.923:
	s_cmp_eq_u32 s30, 44
	s_mov_b32 s0, -1
	s_cbranch_scc0 .LBB142_927
; %bb.924:
	s_wait_xcnt 0x0
	v_cvt_f32_f64_e32 v2, v[0:1]
	v_mov_b32_e32 v3, 0xff
	s_mov_b32 s31, exec_lo
	s_delay_alu instid0(VALU_DEP_2) | instskip(NEXT) | instid1(VALU_DEP_1)
	v_bfe_u32 v6, v2, 23, 8
	v_cmpx_ne_u32_e32 0xff, v6
	s_cbranch_execz .LBB142_926
; %bb.925:
	v_and_b32_e32 v3, 0x400000, v2
	v_and_or_b32 v6, 0x3fffff, v2, v6
	v_lshrrev_b32_e32 v2, 23, v2
	s_delay_alu instid0(VALU_DEP_3) | instskip(NEXT) | instid1(VALU_DEP_3)
	v_cmp_ne_u32_e32 vcc_lo, 0, v3
	v_cmp_ne_u32_e64 s0, 0, v6
	s_and_b32 s0, vcc_lo, s0
	s_delay_alu instid0(SALU_CYCLE_1) | instskip(NEXT) | instid1(VALU_DEP_1)
	v_cndmask_b32_e64 v3, 0, 1, s0
	v_add_nc_u32_e32 v3, v2, v3
.LBB142_926:
	s_or_b32 exec_lo, exec_lo, s31
	s_mov_b32 s31, -1
	s_mov_b32 s0, 0
	global_store_b8 v[4:5], v3, off
.LBB142_927:
	s_mov_b32 s33, 0
.LBB142_928:
	s_delay_alu instid0(SALU_CYCLE_1)
	s_and_b32 vcc_lo, exec_lo, s33
	s_cbranch_vccz .LBB142_931
; %bb.929:
	s_cmp_eq_u32 s30, 29
	s_mov_b32 s0, -1
	s_cbranch_scc0 .LBB142_931
; %bb.930:
	s_wait_xcnt 0x0
	v_trunc_f64_e32 v[2:3], v[0:1]
	s_mov_b32 s31, -1
	s_mov_b32 s0, 0
	s_mov_b32 s33, 0
	s_delay_alu instid0(VALU_DEP_1) | instskip(NEXT) | instid1(VALU_DEP_1)
	v_ldexp_f64 v[6:7], v[2:3], 0xffffffe0
	v_floor_f64_e32 v[6:7], v[6:7]
	s_delay_alu instid0(VALU_DEP_1) | instskip(SKIP_1) | instid1(VALU_DEP_2)
	v_fmamk_f64 v[2:3], v[6:7], 0xc1f00000, v[2:3]
	v_cvt_u32_f64_e32 v7, v[6:7]
	v_cvt_u32_f64_e32 v6, v[2:3]
	global_store_b64 v[4:5], v[6:7], off
	s_branch .LBB142_932
.LBB142_931:
	s_mov_b32 s33, 0
.LBB142_932:
	s_delay_alu instid0(SALU_CYCLE_1)
	s_and_b32 vcc_lo, exec_lo, s33
	s_cbranch_vccz .LBB142_948
; %bb.933:
	s_cmp_lt_i32 s30, 27
	s_mov_b32 s31, -1
	s_cbranch_scc1 .LBB142_939
; %bb.934:
	s_wait_xcnt 0x0
	v_cvt_u32_f64_e32 v2, v[0:1]
	s_cmp_gt_i32 s30, 27
	s_cbranch_scc0 .LBB142_936
; %bb.935:
	s_mov_b32 s31, 0
	global_store_b32 v[4:5], v2, off
.LBB142_936:
	s_and_not1_b32 vcc_lo, exec_lo, s31
	s_cbranch_vccnz .LBB142_938
; %bb.937:
	global_store_b16 v[4:5], v2, off
.LBB142_938:
	s_mov_b32 s31, 0
.LBB142_939:
	s_delay_alu instid0(SALU_CYCLE_1)
	s_and_not1_b32 vcc_lo, exec_lo, s31
	s_cbranch_vccnz .LBB142_947
; %bb.940:
	s_wait_xcnt 0x0
	v_cvt_f32_f64_e32 v2, v[0:1]
	v_mov_b32_e32 v6, 0x80
	s_mov_b32 s31, exec_lo
	s_delay_alu instid0(VALU_DEP_2) | instskip(NEXT) | instid1(VALU_DEP_1)
	v_and_b32_e32 v3, 0x7fffffff, v2
	v_cmpx_gt_u32_e32 0x43800000, v3
	s_cbranch_execz .LBB142_946
; %bb.941:
	v_cmp_lt_u32_e32 vcc_lo, 0x3bffffff, v3
	s_mov_b32 s33, 0
                                        ; implicit-def: $vgpr3
	s_and_saveexec_b32 s34, vcc_lo
	s_delay_alu instid0(SALU_CYCLE_1)
	s_xor_b32 s34, exec_lo, s34
	s_cbranch_execz .LBB142_1179
; %bb.942:
	v_bfe_u32 v3, v2, 20, 1
	s_mov_b32 s33, exec_lo
	s_delay_alu instid0(VALU_DEP_1) | instskip(NEXT) | instid1(VALU_DEP_1)
	v_add3_u32 v3, v2, v3, 0x487ffff
	v_lshrrev_b32_e32 v3, 20, v3
	s_and_not1_saveexec_b32 s34, s34
	s_cbranch_execnz .LBB142_1180
.LBB142_943:
	s_or_b32 exec_lo, exec_lo, s34
	v_mov_b32_e32 v6, 0
	s_and_saveexec_b32 s34, s33
.LBB142_944:
	v_lshrrev_b32_e32 v2, 24, v2
	s_delay_alu instid0(VALU_DEP_1)
	v_and_or_b32 v6, 0x80, v2, v3
.LBB142_945:
	s_or_b32 exec_lo, exec_lo, s34
.LBB142_946:
	s_delay_alu instid0(SALU_CYCLE_1)
	s_or_b32 exec_lo, exec_lo, s31
	global_store_b8 v[4:5], v6, off
.LBB142_947:
	s_mov_b32 s31, -1
.LBB142_948:
	s_mov_b32 s33, 0
.LBB142_949:
	s_delay_alu instid0(SALU_CYCLE_1)
	s_and_b32 vcc_lo, exec_lo, s33
	s_cbranch_vccz .LBB142_990
; %bb.950:
	s_cmp_gt_i32 s30, 22
	s_mov_b32 s33, -1
	s_cbranch_scc0 .LBB142_982
; %bb.951:
	s_cmp_lt_i32 s30, 24
	s_mov_b32 s31, -1
	s_cbranch_scc1 .LBB142_971
; %bb.952:
	s_cmp_gt_i32 s30, 24
	s_cbranch_scc0 .LBB142_960
; %bb.953:
	s_wait_xcnt 0x0
	v_cvt_f32_f64_e32 v2, v[0:1]
	v_mov_b32_e32 v6, 0x80
	s_mov_b32 s31, exec_lo
	s_delay_alu instid0(VALU_DEP_2) | instskip(NEXT) | instid1(VALU_DEP_1)
	v_and_b32_e32 v3, 0x7fffffff, v2
	v_cmpx_gt_u32_e32 0x47800000, v3
	s_cbranch_execz .LBB142_959
; %bb.954:
	v_cmp_lt_u32_e32 vcc_lo, 0x37ffffff, v3
	s_mov_b32 s33, 0
                                        ; implicit-def: $vgpr3
	s_and_saveexec_b32 s34, vcc_lo
	s_delay_alu instid0(SALU_CYCLE_1)
	s_xor_b32 s34, exec_lo, s34
	s_cbranch_execz .LBB142_1311
; %bb.955:
	v_bfe_u32 v3, v2, 21, 1
	s_mov_b32 s33, exec_lo
	s_delay_alu instid0(VALU_DEP_1) | instskip(NEXT) | instid1(VALU_DEP_1)
	v_add3_u32 v3, v2, v3, 0x88fffff
	v_lshrrev_b32_e32 v3, 21, v3
	s_and_not1_saveexec_b32 s34, s34
	s_cbranch_execnz .LBB142_1312
.LBB142_956:
	s_or_b32 exec_lo, exec_lo, s34
	v_mov_b32_e32 v6, 0
	s_and_saveexec_b32 s34, s33
.LBB142_957:
	v_lshrrev_b32_e32 v2, 24, v2
	s_delay_alu instid0(VALU_DEP_1)
	v_and_or_b32 v6, 0x80, v2, v3
.LBB142_958:
	s_or_b32 exec_lo, exec_lo, s34
.LBB142_959:
	s_delay_alu instid0(SALU_CYCLE_1)
	s_or_b32 exec_lo, exec_lo, s31
	s_mov_b32 s31, 0
	global_store_b8 v[4:5], v6, off
.LBB142_960:
	s_and_b32 vcc_lo, exec_lo, s31
	s_cbranch_vccz .LBB142_970
; %bb.961:
	s_wait_xcnt 0x0
	v_cvt_f32_f64_e32 v2, v[0:1]
	s_mov_b32 s31, exec_lo
                                        ; implicit-def: $vgpr3
	s_delay_alu instid0(VALU_DEP_1) | instskip(NEXT) | instid1(VALU_DEP_1)
	v_and_b32_e32 v6, 0x7fffffff, v2
	v_cmpx_gt_u32_e32 0x43f00000, v6
	s_xor_b32 s31, exec_lo, s31
	s_cbranch_execz .LBB142_967
; %bb.962:
	s_mov_b32 s33, exec_lo
                                        ; implicit-def: $vgpr3
	v_cmpx_lt_u32_e32 0x3c7fffff, v6
	s_xor_b32 s33, exec_lo, s33
; %bb.963:
	v_bfe_u32 v3, v2, 20, 1
	s_delay_alu instid0(VALU_DEP_1) | instskip(NEXT) | instid1(VALU_DEP_1)
	v_add3_u32 v3, v2, v3, 0x407ffff
	v_and_b32_e32 v6, 0xff00000, v3
	v_lshrrev_b32_e32 v3, 20, v3
	s_delay_alu instid0(VALU_DEP_2) | instskip(NEXT) | instid1(VALU_DEP_2)
	v_cmp_ne_u32_e32 vcc_lo, 0x7f00000, v6
	v_cndmask_b32_e32 v3, 0x7e, v3, vcc_lo
; %bb.964:
	s_and_not1_saveexec_b32 s33, s33
; %bb.965:
	v_add_f32_e64 v3, 0x46800000, |v2|
; %bb.966:
	s_or_b32 exec_lo, exec_lo, s33
                                        ; implicit-def: $vgpr6
.LBB142_967:
	s_and_not1_saveexec_b32 s31, s31
; %bb.968:
	v_mov_b32_e32 v3, 0x7f
	v_cmp_lt_u32_e32 vcc_lo, 0x7f800000, v6
	s_delay_alu instid0(VALU_DEP_2)
	v_cndmask_b32_e32 v3, 0x7e, v3, vcc_lo
; %bb.969:
	s_or_b32 exec_lo, exec_lo, s31
	v_lshrrev_b32_e32 v2, 24, v2
	s_delay_alu instid0(VALU_DEP_1)
	v_and_or_b32 v2, 0x80, v2, v3
	global_store_b8 v[4:5], v2, off
.LBB142_970:
	s_mov_b32 s31, 0
.LBB142_971:
	s_delay_alu instid0(SALU_CYCLE_1)
	s_and_not1_b32 vcc_lo, exec_lo, s31
	s_cbranch_vccnz .LBB142_981
; %bb.972:
	s_wait_xcnt 0x0
	v_cvt_f32_f64_e32 v2, v[0:1]
	s_mov_b32 s31, exec_lo
                                        ; implicit-def: $vgpr3
	s_delay_alu instid0(VALU_DEP_1) | instskip(NEXT) | instid1(VALU_DEP_1)
	v_and_b32_e32 v6, 0x7fffffff, v2
	v_cmpx_gt_u32_e32 0x47800000, v6
	s_xor_b32 s31, exec_lo, s31
	s_cbranch_execz .LBB142_978
; %bb.973:
	s_mov_b32 s33, exec_lo
                                        ; implicit-def: $vgpr3
	v_cmpx_lt_u32_e32 0x387fffff, v6
	s_xor_b32 s33, exec_lo, s33
; %bb.974:
	v_bfe_u32 v3, v2, 21, 1
	s_delay_alu instid0(VALU_DEP_1) | instskip(NEXT) | instid1(VALU_DEP_1)
	v_add3_u32 v3, v2, v3, 0x80fffff
	v_lshrrev_b32_e32 v3, 21, v3
; %bb.975:
	s_and_not1_saveexec_b32 s33, s33
; %bb.976:
	v_add_f32_e64 v3, 0x43000000, |v2|
; %bb.977:
	s_or_b32 exec_lo, exec_lo, s33
                                        ; implicit-def: $vgpr6
.LBB142_978:
	s_and_not1_saveexec_b32 s31, s31
; %bb.979:
	v_mov_b32_e32 v3, 0x7f
	v_cmp_lt_u32_e32 vcc_lo, 0x7f800000, v6
	s_delay_alu instid0(VALU_DEP_2)
	v_cndmask_b32_e32 v3, 0x7c, v3, vcc_lo
; %bb.980:
	s_or_b32 exec_lo, exec_lo, s31
	v_lshrrev_b32_e32 v2, 24, v2
	s_delay_alu instid0(VALU_DEP_1)
	v_and_or_b32 v2, 0x80, v2, v3
	global_store_b8 v[4:5], v2, off
.LBB142_981:
	s_mov_b32 s33, 0
	s_mov_b32 s31, -1
.LBB142_982:
	s_and_not1_b32 vcc_lo, exec_lo, s33
	s_cbranch_vccnz .LBB142_990
; %bb.983:
	s_cmp_gt_i32 s30, 14
	s_mov_b32 s33, -1
	s_cbranch_scc0 .LBB142_987
; %bb.984:
	s_cmp_eq_u32 s30, 15
	s_mov_b32 s0, -1
	s_cbranch_scc0 .LBB142_986
; %bb.985:
	s_wait_xcnt 0x0
	v_cvt_f32_f64_e32 v2, v[0:1]
	s_mov_b32 s31, -1
	s_mov_b32 s0, 0
	s_delay_alu instid0(VALU_DEP_1) | instskip(SKIP_1) | instid1(VALU_DEP_2)
	v_bfe_u32 v3, v2, 16, 1
	v_cmp_o_f32_e32 vcc_lo, v2, v2
	v_add3_u32 v3, v2, v3, 0x7fff
	s_delay_alu instid0(VALU_DEP_1) | instskip(NEXT) | instid1(VALU_DEP_1)
	v_lshrrev_b32_e32 v3, 16, v3
	v_cndmask_b32_e32 v2, 0x7fc0, v3, vcc_lo
	global_store_b16 v[4:5], v2, off
.LBB142_986:
	s_mov_b32 s33, 0
.LBB142_987:
	s_delay_alu instid0(SALU_CYCLE_1)
	s_and_b32 vcc_lo, exec_lo, s33
	s_cbranch_vccz .LBB142_990
; %bb.988:
	s_cmp_eq_u32 s30, 11
	s_mov_b32 s0, -1
	s_cbranch_scc0 .LBB142_990
; %bb.989:
	v_cmp_neq_f64_e32 vcc_lo, 0, v[0:1]
	s_mov_b32 s31, -1
	s_mov_b32 s0, 0
	s_wait_xcnt 0x0
	v_cndmask_b32_e64 v2, 0, 1, vcc_lo
	global_store_b8 v[4:5], v2, off
.LBB142_990:
	s_mov_b32 s30, 0
.LBB142_991:
	s_delay_alu instid0(SALU_CYCLE_1)
	s_and_b32 vcc_lo, exec_lo, s30
	s_cbranch_vccz .LBB142_1030
; %bb.992:
	s_and_b32 s27, 0xffff, s27
	s_mov_b32 s30, -1
	s_cmp_lt_i32 s27, 5
	s_cbranch_scc1 .LBB142_1013
; %bb.993:
	s_cmp_lt_i32 s27, 8
	s_cbranch_scc1 .LBB142_1003
; %bb.994:
	;; [unrolled: 3-line block ×3, first 2 shown]
	s_cmp_gt_i32 s27, 9
	s_cbranch_scc0 .LBB142_997
; %bb.996:
	s_wait_xcnt 0x0
	v_mov_b32_e32 v2, 0
	s_mov_b32 s30, 0
	s_delay_alu instid0(VALU_DEP_1)
	v_mov_b32_e32 v3, v2
	global_store_b128 v[4:5], v[0:3], off
.LBB142_997:
	s_and_not1_b32 vcc_lo, exec_lo, s30
	s_cbranch_vccnz .LBB142_999
; %bb.998:
	s_wait_xcnt 0x0
	v_cvt_f32_f64_e32 v2, v[0:1]
	v_mov_b32_e32 v3, 0
	global_store_b64 v[4:5], v[2:3], off
.LBB142_999:
	s_mov_b32 s30, 0
.LBB142_1000:
	s_delay_alu instid0(SALU_CYCLE_1)
	s_and_not1_b32 vcc_lo, exec_lo, s30
	s_cbranch_vccnz .LBB142_1002
; %bb.1001:
	s_wait_xcnt 0x0
	v_and_or_b32 v2, 0x1ff, v1, v0
	v_lshrrev_b32_e32 v3, 8, v1
	v_bfe_u32 v6, v1, 20, 11
	s_delay_alu instid0(VALU_DEP_3) | instskip(NEXT) | instid1(VALU_DEP_2)
	v_cmp_ne_u32_e32 vcc_lo, 0, v2
	v_sub_nc_u32_e32 v7, 0x3f1, v6
	v_cndmask_b32_e64 v2, 0, 1, vcc_lo
	s_delay_alu instid0(VALU_DEP_1) | instskip(NEXT) | instid1(VALU_DEP_3)
	v_and_or_b32 v2, 0xffe, v3, v2
	v_med3_i32 v3, v7, 0, 13
	s_delay_alu instid0(VALU_DEP_2) | instskip(NEXT) | instid1(VALU_DEP_1)
	v_or_b32_e32 v7, 0x1000, v2
	v_lshrrev_b32_e32 v8, v3, v7
	s_delay_alu instid0(VALU_DEP_1) | instskip(NEXT) | instid1(VALU_DEP_1)
	v_lshlrev_b32_e32 v3, v3, v8
	v_cmp_ne_u32_e32 vcc_lo, v3, v7
	v_cndmask_b32_e64 v3, 0, 1, vcc_lo
	s_delay_alu instid0(VALU_DEP_1) | instskip(SKIP_1) | instid1(VALU_DEP_1)
	v_or_b32_e32 v3, v8, v3
	v_add_nc_u32_e32 v6, 0xfffffc10, v6
	v_lshl_or_b32 v7, v6, 12, v2
	v_cmp_gt_i32_e32 vcc_lo, 1, v6
	s_delay_alu instid0(VALU_DEP_2) | instskip(NEXT) | instid1(VALU_DEP_1)
	v_cndmask_b32_e32 v3, v7, v3, vcc_lo
	v_dual_lshrrev_b32 v3, 2, v3 :: v_dual_bitop2_b32 v7, 7, v3 bitop3:0x40
	s_delay_alu instid0(VALU_DEP_1) | instskip(SKIP_4) | instid1(VALU_DEP_2)
	v_cmp_lt_i32_e32 vcc_lo, 5, v7
	v_cndmask_b32_e64 v8, 0, 1, vcc_lo
	v_cmp_eq_u32_e32 vcc_lo, 3, v7
	v_cndmask_b32_e64 v7, 0, 1, vcc_lo
	v_cmp_ne_u32_e32 vcc_lo, 0, v2
	v_or_b32_e32 v7, v7, v8
	s_delay_alu instid0(VALU_DEP_1) | instskip(NEXT) | instid1(VALU_DEP_1)
	v_dual_mov_b32 v8, 0x7e00 :: v_dual_add_nc_u32 v3, v3, v7
	v_cndmask_b32_e32 v2, 0x7c00, v8, vcc_lo
	v_cmp_gt_i32_e32 vcc_lo, 31, v6
	v_lshrrev_b32_e32 v7, 16, v1
	s_delay_alu instid0(VALU_DEP_4) | instskip(SKIP_1) | instid1(VALU_DEP_2)
	v_cndmask_b32_e32 v3, 0x7c00, v3, vcc_lo
	v_cmp_eq_u32_e32 vcc_lo, 0x40f, v6
	v_cndmask_b32_e32 v2, v3, v2, vcc_lo
	s_delay_alu instid0(VALU_DEP_4) | instskip(NEXT) | instid1(VALU_DEP_1)
	v_and_b32_e32 v3, 0x8000, v7
	v_bitop3_b32 v2, v3, 0xffff, v2 bitop3:0xc8
	global_store_b32 v[4:5], v2, off
.LBB142_1002:
	s_mov_b32 s30, 0
.LBB142_1003:
	s_delay_alu instid0(SALU_CYCLE_1)
	s_and_not1_b32 vcc_lo, exec_lo, s30
	s_cbranch_vccnz .LBB142_1012
; %bb.1004:
	s_cmp_lt_i32 s27, 6
	s_mov_b32 s30, -1
	s_cbranch_scc1 .LBB142_1010
; %bb.1005:
	s_cmp_gt_i32 s27, 6
	s_cbranch_scc0 .LBB142_1007
; %bb.1006:
	s_mov_b32 s30, 0
	global_store_b64 v[4:5], v[0:1], off
.LBB142_1007:
	s_and_not1_b32 vcc_lo, exec_lo, s30
	s_cbranch_vccnz .LBB142_1009
; %bb.1008:
	s_wait_xcnt 0x0
	v_cvt_f32_f64_e32 v2, v[0:1]
	global_store_b32 v[4:5], v2, off
.LBB142_1009:
	s_mov_b32 s30, 0
.LBB142_1010:
	s_delay_alu instid0(SALU_CYCLE_1)
	s_and_not1_b32 vcc_lo, exec_lo, s30
	s_cbranch_vccnz .LBB142_1012
; %bb.1011:
	s_wait_xcnt 0x0
	v_and_or_b32 v2, 0x1ff, v1, v0
	v_lshrrev_b32_e32 v3, 8, v1
	v_bfe_u32 v6, v1, 20, 11
	s_delay_alu instid0(VALU_DEP_3) | instskip(NEXT) | instid1(VALU_DEP_2)
	v_cmp_ne_u32_e32 vcc_lo, 0, v2
	v_sub_nc_u32_e32 v7, 0x3f1, v6
	v_cndmask_b32_e64 v2, 0, 1, vcc_lo
	s_delay_alu instid0(VALU_DEP_1) | instskip(NEXT) | instid1(VALU_DEP_3)
	v_and_or_b32 v2, 0xffe, v3, v2
	v_med3_i32 v3, v7, 0, 13
	s_delay_alu instid0(VALU_DEP_2) | instskip(NEXT) | instid1(VALU_DEP_1)
	v_or_b32_e32 v7, 0x1000, v2
	v_lshrrev_b32_e32 v8, v3, v7
	s_delay_alu instid0(VALU_DEP_1) | instskip(NEXT) | instid1(VALU_DEP_1)
	v_lshlrev_b32_e32 v3, v3, v8
	v_cmp_ne_u32_e32 vcc_lo, v3, v7
	v_cndmask_b32_e64 v3, 0, 1, vcc_lo
	s_delay_alu instid0(VALU_DEP_1) | instskip(SKIP_1) | instid1(VALU_DEP_1)
	v_or_b32_e32 v3, v8, v3
	v_add_nc_u32_e32 v6, 0xfffffc10, v6
	v_lshl_or_b32 v7, v6, 12, v2
	v_cmp_gt_i32_e32 vcc_lo, 1, v6
	s_delay_alu instid0(VALU_DEP_2) | instskip(NEXT) | instid1(VALU_DEP_1)
	v_cndmask_b32_e32 v3, v7, v3, vcc_lo
	v_dual_lshrrev_b32 v3, 2, v3 :: v_dual_bitop2_b32 v7, 7, v3 bitop3:0x40
	s_delay_alu instid0(VALU_DEP_1) | instskip(SKIP_4) | instid1(VALU_DEP_2)
	v_cmp_lt_i32_e32 vcc_lo, 5, v7
	v_cndmask_b32_e64 v8, 0, 1, vcc_lo
	v_cmp_eq_u32_e32 vcc_lo, 3, v7
	v_cndmask_b32_e64 v7, 0, 1, vcc_lo
	v_cmp_ne_u32_e32 vcc_lo, 0, v2
	v_or_b32_e32 v7, v7, v8
	s_delay_alu instid0(VALU_DEP_1) | instskip(NEXT) | instid1(VALU_DEP_1)
	v_dual_mov_b32 v8, 0x7e00 :: v_dual_add_nc_u32 v3, v3, v7
	v_cndmask_b32_e32 v2, 0x7c00, v8, vcc_lo
	v_cmp_gt_i32_e32 vcc_lo, 31, v6
	s_delay_alu instid0(VALU_DEP_3) | instskip(SKIP_1) | instid1(VALU_DEP_2)
	v_cndmask_b32_e32 v3, 0x7c00, v3, vcc_lo
	v_cmp_eq_u32_e32 vcc_lo, 0x40f, v6
	v_dual_cndmask_b32 v2, v3, v2 :: v_dual_lshrrev_b32 v3, 16, v1
	s_delay_alu instid0(VALU_DEP_1)
	v_and_or_b32 v2, 0x8000, v3, v2
	global_store_b16 v[4:5], v2, off
.LBB142_1012:
	s_mov_b32 s30, 0
.LBB142_1013:
	s_delay_alu instid0(SALU_CYCLE_1)
	s_and_not1_b32 vcc_lo, exec_lo, s30
	s_cbranch_vccnz .LBB142_1029
; %bb.1014:
	s_cmp_lt_i32 s27, 2
	s_mov_b32 s30, -1
	s_cbranch_scc1 .LBB142_1024
; %bb.1015:
	s_cmp_lt_i32 s27, 3
	s_cbranch_scc1 .LBB142_1021
; %bb.1016:
	s_cmp_gt_i32 s27, 3
	s_cbranch_scc0 .LBB142_1018
; %bb.1017:
	s_wait_xcnt 0x0
	v_trunc_f64_e32 v[2:3], v[0:1]
	s_mov_b32 s30, 0
	s_delay_alu instid0(VALU_DEP_1) | instskip(NEXT) | instid1(VALU_DEP_1)
	v_ldexp_f64 v[6:7], v[2:3], 0xffffffe0
	v_floor_f64_e32 v[6:7], v[6:7]
	s_delay_alu instid0(VALU_DEP_1) | instskip(SKIP_1) | instid1(VALU_DEP_2)
	v_fmamk_f64 v[2:3], v[6:7], 0xc1f00000, v[2:3]
	v_cvt_i32_f64_e32 v7, v[6:7]
	v_cvt_u32_f64_e32 v6, v[2:3]
	global_store_b64 v[4:5], v[6:7], off
.LBB142_1018:
	s_and_not1_b32 vcc_lo, exec_lo, s30
	s_cbranch_vccnz .LBB142_1020
; %bb.1019:
	s_wait_xcnt 0x0
	v_cvt_i32_f64_e32 v2, v[0:1]
	global_store_b32 v[4:5], v2, off
.LBB142_1020:
	s_mov_b32 s30, 0
.LBB142_1021:
	s_delay_alu instid0(SALU_CYCLE_1)
	s_and_not1_b32 vcc_lo, exec_lo, s30
	s_cbranch_vccnz .LBB142_1023
; %bb.1022:
	s_wait_xcnt 0x0
	v_cvt_i32_f64_e32 v2, v[0:1]
	global_store_b16 v[4:5], v2, off
.LBB142_1023:
	s_mov_b32 s30, 0
.LBB142_1024:
	s_delay_alu instid0(SALU_CYCLE_1)
	s_and_not1_b32 vcc_lo, exec_lo, s30
	s_cbranch_vccnz .LBB142_1029
; %bb.1025:
	s_cmp_gt_i32 s27, 0
	s_mov_b32 s27, -1
	s_cbranch_scc0 .LBB142_1027
; %bb.1026:
	s_wait_xcnt 0x0
	v_cvt_i32_f64_e32 v2, v[0:1]
	s_mov_b32 s27, 0
	global_store_b8 v[4:5], v2, off
.LBB142_1027:
	s_and_not1_b32 vcc_lo, exec_lo, s27
	s_cbranch_vccnz .LBB142_1029
; %bb.1028:
	s_wait_xcnt 0x0
	v_trunc_f64_e32 v[0:1], v[0:1]
	s_delay_alu instid0(VALU_DEP_1) | instskip(NEXT) | instid1(VALU_DEP_1)
	v_ldexp_f64 v[2:3], v[0:1], 0xffffffe0
	v_floor_f64_e32 v[2:3], v[2:3]
	s_delay_alu instid0(VALU_DEP_1) | instskip(NEXT) | instid1(VALU_DEP_1)
	v_fmamk_f64 v[0:1], v[2:3], 0xc1f00000, v[0:1]
	v_cvt_u32_f64_e32 v0, v[0:1]
	global_store_b8 v[4:5], v0, off
.LBB142_1029:
	s_mov_b32 s31, -1
.LBB142_1030:
	s_delay_alu instid0(SALU_CYCLE_1)
	s_and_not1_b32 vcc_lo, exec_lo, s31
	s_cbranch_vccnz .LBB142_1032
; %bb.1031:
	v_add_nc_u32_e32 v26, 0x80, v26
	s_mov_b32 s30, -1
	s_branch .LBB142_1034
.LBB142_1032:
	s_mov_b32 s30, 0
.LBB142_1033:
                                        ; implicit-def: $vgpr26
.LBB142_1034:
	s_and_not1_b32 s27, s19, exec_lo
	s_and_b32 s0, s0, exec_lo
	s_and_not1_b32 s31, s21, exec_lo
	s_and_b32 s33, s26, exec_lo
	s_or_b32 s26, s27, s0
	s_or_b32 s27, s31, s33
	s_and_not1_b32 s0, s22, exec_lo
	s_and_b32 s28, s28, exec_lo
	s_and_not1_b32 s31, s23, exec_lo
	s_and_b32 s25, s25, exec_lo
	s_or_b32 s28, s0, s28
	s_or_b32 s25, s31, s25
	s_or_not1_b32 s31, s30, exec_lo
.LBB142_1035:
	s_wait_xcnt 0x0
	s_or_b32 exec_lo, exec_lo, s29
	s_mov_b32 s30, 0
	s_mov_b32 s33, 0
	;; [unrolled: 1-line block ×3, first 2 shown]
                                        ; implicit-def: $sgpr0
                                        ; implicit-def: $vgpr0_vgpr1
                                        ; implicit-def: $vgpr2_vgpr3
	s_and_saveexec_b32 s29, s31
	s_cbranch_execz .LBB142_1638
; %bb.1036:
	s_mov_b32 s39, -1
	s_mov_b32 s31, s25
	s_mov_b32 s33, s28
	;; [unrolled: 1-line block ×4, first 2 shown]
	s_mov_b32 s30, exec_lo
	v_cmpx_gt_i32_e64 s20, v26
	s_cbranch_execz .LBB142_1556
; %bb.1037:
	s_wait_loadcnt 0x0
	v_mul_lo_u32 v0, v26, s13
	s_and_b32 s0, s17, 0xff
	s_delay_alu instid0(SALU_CYCLE_1) | instskip(NEXT) | instid1(VALU_DEP_1)
	s_cmp_lt_i32 s0, 11
	v_ashrrev_i32_e32 v1, 31, v0
	s_delay_alu instid0(VALU_DEP_1)
	v_add_nc_u64_e32 v[2:3], s[6:7], v[0:1]
	s_cbranch_scc1 .LBB142_1044
; %bb.1038:
	s_and_b32 s33, 0xffff, s0
	s_delay_alu instid0(SALU_CYCLE_1)
	s_cmp_gt_i32 s33, 25
	s_cbranch_scc0 .LBB142_1045
; %bb.1039:
	s_cmp_gt_i32 s33, 28
	s_cbranch_scc0 .LBB142_1046
; %bb.1040:
	;; [unrolled: 3-line block ×4, first 2 shown]
	s_cmp_eq_u32 s33, 46
	s_mov_b32 s35, 0
	s_cbranch_scc0 .LBB142_1049
; %bb.1043:
	global_load_b32 v0, v[2:3], off
	s_mov_b32 s34, -1
	s_mov_b32 s31, 0
	s_wait_loadcnt 0x0
	v_lshlrev_b32_e32 v0, 16, v0
	s_delay_alu instid0(VALU_DEP_1)
	v_cvt_f64_f32_e32 v[0:1], v0
	s_branch .LBB142_1051
.LBB142_1044:
	s_mov_b32 s33, -1
	s_mov_b32 s34, 0
	s_mov_b32 s31, s25
                                        ; implicit-def: $vgpr0_vgpr1
	s_branch .LBB142_1116
.LBB142_1045:
	s_mov_b32 s35, -1
	s_mov_b32 s34, 0
	s_mov_b32 s31, s25
                                        ; implicit-def: $vgpr0_vgpr1
	s_branch .LBB142_1080
.LBB142_1046:
	s_mov_b32 s35, -1
	s_mov_b32 s34, 0
	s_mov_b32 s31, s25
                                        ; implicit-def: $vgpr0_vgpr1
	s_branch .LBB142_1061
.LBB142_1047:
	s_mov_b32 s35, -1
	s_mov_b32 s34, 0
	s_mov_b32 s31, s25
                                        ; implicit-def: $vgpr0_vgpr1
	s_branch .LBB142_1056
.LBB142_1048:
	s_mov_b32 s35, -1
	s_mov_b32 s34, 0
	s_mov_b32 s31, s25
	s_branch .LBB142_1050
.LBB142_1049:
	s_mov_b32 s31, -1
	s_mov_b32 s34, 0
.LBB142_1050:
                                        ; implicit-def: $vgpr0_vgpr1
.LBB142_1051:
	s_and_b32 vcc_lo, exec_lo, s35
	s_cbranch_vccz .LBB142_1055
; %bb.1052:
	s_cmp_eq_u32 s33, 44
	s_cbranch_scc0 .LBB142_1054
; %bb.1053:
	global_load_u8 v4, v[2:3], off
	s_mov_b32 s31, 0
	s_mov_b32 s34, -1
	s_wait_loadcnt 0x0
	v_cmp_ne_u32_e32 vcc_lo, 0xff, v4
	v_lshlrev_b32_e32 v0, 23, v4
	s_delay_alu instid0(VALU_DEP_1) | instskip(NEXT) | instid1(VALU_DEP_1)
	v_cvt_f64_f32_e32 v[0:1], v0
	v_cndmask_b32_e32 v0, 0x20000000, v0, vcc_lo
	s_delay_alu instid0(VALU_DEP_2) | instskip(SKIP_1) | instid1(VALU_DEP_2)
	v_cndmask_b32_e32 v1, 0x7ff80000, v1, vcc_lo
	v_cmp_ne_u32_e32 vcc_lo, 0, v4
	v_cndmask_b32_e32 v1, 0x38000000, v1, vcc_lo
	s_delay_alu instid0(VALU_DEP_4)
	v_cndmask_b32_e32 v0, 0, v0, vcc_lo
	s_branch .LBB142_1055
.LBB142_1054:
	s_mov_b32 s31, -1
                                        ; implicit-def: $vgpr0_vgpr1
.LBB142_1055:
	s_mov_b32 s35, 0
.LBB142_1056:
	s_delay_alu instid0(SALU_CYCLE_1)
	s_and_b32 vcc_lo, exec_lo, s35
	s_cbranch_vccz .LBB142_1060
; %bb.1057:
	s_cmp_eq_u32 s33, 29
	s_cbranch_scc0 .LBB142_1059
; %bb.1058:
	global_load_b64 v[0:1], v[2:3], off
	s_mov_b32 s34, -1
	s_mov_b32 s31, 0
	s_mov_b32 s35, 0
	s_wait_loadcnt 0x0
	v_cvt_f64_u32_e32 v[4:5], v1
	v_cvt_f64_u32_e32 v[0:1], v0
	s_delay_alu instid0(VALU_DEP_2) | instskip(NEXT) | instid1(VALU_DEP_1)
	v_ldexp_f64 v[4:5], v[4:5], 32
	v_add_f64_e32 v[0:1], v[4:5], v[0:1]
	s_branch .LBB142_1061
.LBB142_1059:
	s_mov_b32 s31, -1
                                        ; implicit-def: $vgpr0_vgpr1
.LBB142_1060:
	s_mov_b32 s35, 0
.LBB142_1061:
	s_delay_alu instid0(SALU_CYCLE_1)
	s_and_b32 vcc_lo, exec_lo, s35
	s_cbranch_vccz .LBB142_1079
; %bb.1062:
	s_cmp_lt_i32 s33, 27
	s_cbranch_scc1 .LBB142_1065
; %bb.1063:
	s_cmp_gt_i32 s33, 27
	s_cbranch_scc0 .LBB142_1066
; %bb.1064:
	global_load_b32 v0, v[2:3], off
	s_mov_b32 s34, 0
	s_wait_loadcnt 0x0
	v_cvt_f64_u32_e32 v[0:1], v0
	s_branch .LBB142_1067
.LBB142_1065:
	s_mov_b32 s34, -1
                                        ; implicit-def: $vgpr0_vgpr1
	s_branch .LBB142_1070
.LBB142_1066:
	s_mov_b32 s34, -1
                                        ; implicit-def: $vgpr0_vgpr1
.LBB142_1067:
	s_delay_alu instid0(SALU_CYCLE_1)
	s_and_not1_b32 vcc_lo, exec_lo, s34
	s_cbranch_vccnz .LBB142_1069
; %bb.1068:
	global_load_u16 v0, v[2:3], off
	s_wait_loadcnt 0x0
	v_cvt_f64_u32_e32 v[0:1], v0
.LBB142_1069:
	s_mov_b32 s34, 0
.LBB142_1070:
	s_delay_alu instid0(SALU_CYCLE_1)
	s_and_not1_b32 vcc_lo, exec_lo, s34
	s_cbranch_vccnz .LBB142_1078
; %bb.1071:
	global_load_u8 v4, v[2:3], off
	s_mov_b32 s34, 0
	s_mov_b32 s35, exec_lo
	s_wait_loadcnt 0x0
	v_cmpx_lt_i16_e32 0x7f, v4
	s_xor_b32 s35, exec_lo, s35
	s_cbranch_execz .LBB142_1092
; %bb.1072:
	s_mov_b32 s34, -1
	s_mov_b32 s36, exec_lo
	v_cmpx_eq_u16_e32 0x80, v4
; %bb.1073:
	s_xor_b32 s34, exec_lo, -1
; %bb.1074:
	s_or_b32 exec_lo, exec_lo, s36
	s_delay_alu instid0(SALU_CYCLE_1)
	s_and_b32 s34, s34, exec_lo
	s_or_saveexec_b32 s35, s35
	v_mov_b64_e32 v[0:1], 0x7ff8000020000000
	s_xor_b32 exec_lo, exec_lo, s35
	s_cbranch_execnz .LBB142_1093
.LBB142_1075:
	s_or_b32 exec_lo, exec_lo, s35
	s_and_saveexec_b32 s35, s34
	s_cbranch_execz .LBB142_1077
.LBB142_1076:
	v_and_b32_e32 v0, 0xffff, v4
	s_delay_alu instid0(VALU_DEP_1) | instskip(SKIP_1) | instid1(VALU_DEP_2)
	v_and_b32_e32 v1, 7, v0
	v_bfe_u32 v7, v0, 3, 4
	v_clz_i32_u32_e32 v5, v1
	s_delay_alu instid0(VALU_DEP_2) | instskip(NEXT) | instid1(VALU_DEP_2)
	v_cmp_eq_u32_e32 vcc_lo, 0, v7
	v_min_u32_e32 v5, 32, v5
	s_delay_alu instid0(VALU_DEP_1) | instskip(NEXT) | instid1(VALU_DEP_1)
	v_subrev_nc_u32_e32 v6, 28, v5
	v_dual_lshlrev_b32 v0, v6, v0 :: v_dual_sub_nc_u32 v5, 29, v5
	s_delay_alu instid0(VALU_DEP_1) | instskip(NEXT) | instid1(VALU_DEP_2)
	v_and_b32_e32 v0, 7, v0
	v_dual_cndmask_b32 v5, v7, v5 :: v_dual_lshlrev_b32 v4, 24, v4
	s_delay_alu instid0(VALU_DEP_2) | instskip(NEXT) | instid1(VALU_DEP_2)
	v_cndmask_b32_e32 v0, v1, v0, vcc_lo
	v_and_b32_e32 v1, 0x80000000, v4
	s_delay_alu instid0(VALU_DEP_3) | instskip(NEXT) | instid1(VALU_DEP_3)
	v_lshl_add_u32 v4, v5, 23, 0x3b800000
	v_lshlrev_b32_e32 v0, 20, v0
	s_delay_alu instid0(VALU_DEP_1) | instskip(NEXT) | instid1(VALU_DEP_1)
	v_or3_b32 v0, v1, v4, v0
	v_cvt_f64_f32_e32 v[0:1], v0
.LBB142_1077:
	s_or_b32 exec_lo, exec_lo, s35
.LBB142_1078:
	s_mov_b32 s34, -1
.LBB142_1079:
	s_mov_b32 s35, 0
.LBB142_1080:
	s_delay_alu instid0(SALU_CYCLE_1)
	s_and_b32 vcc_lo, exec_lo, s35
	s_cbranch_vccz .LBB142_1115
; %bb.1081:
	s_cmp_gt_i32 s33, 22
	s_cbranch_scc0 .LBB142_1091
; %bb.1082:
	s_cmp_lt_i32 s33, 24
	s_cbranch_scc1 .LBB142_1094
; %bb.1083:
	s_cmp_gt_i32 s33, 24
	s_cbranch_scc0 .LBB142_1095
; %bb.1084:
	global_load_u8 v4, v[2:3], off
	s_mov_b32 s34, 0
	s_mov_b32 s35, exec_lo
	s_wait_loadcnt 0x0
	v_cmpx_lt_i16_e32 0x7f, v4
	s_xor_b32 s35, exec_lo, s35
	s_cbranch_execz .LBB142_1107
; %bb.1085:
	s_mov_b32 s34, -1
	s_mov_b32 s36, exec_lo
	v_cmpx_eq_u16_e32 0x80, v4
; %bb.1086:
	s_xor_b32 s34, exec_lo, -1
; %bb.1087:
	s_or_b32 exec_lo, exec_lo, s36
	s_delay_alu instid0(SALU_CYCLE_1)
	s_and_b32 s34, s34, exec_lo
	s_or_saveexec_b32 s35, s35
	v_mov_b64_e32 v[0:1], 0x7ff8000020000000
	s_xor_b32 exec_lo, exec_lo, s35
	s_cbranch_execnz .LBB142_1108
.LBB142_1088:
	s_or_b32 exec_lo, exec_lo, s35
	s_and_saveexec_b32 s35, s34
	s_cbranch_execz .LBB142_1090
.LBB142_1089:
	v_and_b32_e32 v0, 0xffff, v4
	s_delay_alu instid0(VALU_DEP_1) | instskip(SKIP_1) | instid1(VALU_DEP_2)
	v_and_b32_e32 v1, 3, v0
	v_bfe_u32 v7, v0, 2, 5
	v_clz_i32_u32_e32 v5, v1
	s_delay_alu instid0(VALU_DEP_2) | instskip(NEXT) | instid1(VALU_DEP_2)
	v_cmp_eq_u32_e32 vcc_lo, 0, v7
	v_min_u32_e32 v5, 32, v5
	s_delay_alu instid0(VALU_DEP_1) | instskip(NEXT) | instid1(VALU_DEP_1)
	v_subrev_nc_u32_e32 v6, 29, v5
	v_dual_lshlrev_b32 v0, v6, v0 :: v_dual_sub_nc_u32 v5, 30, v5
	s_delay_alu instid0(VALU_DEP_1) | instskip(NEXT) | instid1(VALU_DEP_2)
	v_and_b32_e32 v0, 3, v0
	v_dual_cndmask_b32 v5, v7, v5 :: v_dual_lshlrev_b32 v4, 24, v4
	s_delay_alu instid0(VALU_DEP_2) | instskip(NEXT) | instid1(VALU_DEP_2)
	v_cndmask_b32_e32 v0, v1, v0, vcc_lo
	v_and_b32_e32 v1, 0x80000000, v4
	s_delay_alu instid0(VALU_DEP_3) | instskip(NEXT) | instid1(VALU_DEP_3)
	v_lshl_add_u32 v4, v5, 23, 0x37800000
	v_lshlrev_b32_e32 v0, 21, v0
	s_delay_alu instid0(VALU_DEP_1) | instskip(NEXT) | instid1(VALU_DEP_1)
	v_or3_b32 v0, v1, v4, v0
	v_cvt_f64_f32_e32 v[0:1], v0
.LBB142_1090:
	s_or_b32 exec_lo, exec_lo, s35
	s_mov_b32 s34, 0
	s_branch .LBB142_1096
.LBB142_1091:
	s_mov_b32 s35, -1
                                        ; implicit-def: $vgpr0_vgpr1
	s_branch .LBB142_1102
.LBB142_1092:
	s_or_saveexec_b32 s35, s35
	v_mov_b64_e32 v[0:1], 0x7ff8000020000000
	s_xor_b32 exec_lo, exec_lo, s35
	s_cbranch_execz .LBB142_1075
.LBB142_1093:
	v_cmp_ne_u16_e32 vcc_lo, 0, v4
	v_mov_b64_e32 v[0:1], 0
	s_and_not1_b32 s34, s34, exec_lo
	s_and_b32 s36, vcc_lo, exec_lo
	s_delay_alu instid0(SALU_CYCLE_1)
	s_or_b32 s34, s34, s36
	s_or_b32 exec_lo, exec_lo, s35
	s_and_saveexec_b32 s35, s34
	s_cbranch_execnz .LBB142_1076
	s_branch .LBB142_1077
.LBB142_1094:
	s_mov_b32 s34, -1
                                        ; implicit-def: $vgpr0_vgpr1
	s_branch .LBB142_1099
.LBB142_1095:
	s_mov_b32 s34, -1
                                        ; implicit-def: $vgpr0_vgpr1
.LBB142_1096:
	s_delay_alu instid0(SALU_CYCLE_1)
	s_and_b32 vcc_lo, exec_lo, s34
	s_cbranch_vccz .LBB142_1098
; %bb.1097:
	global_load_u8 v0, v[2:3], off
	s_wait_loadcnt 0x0
	v_lshlrev_b32_e32 v0, 24, v0
	s_delay_alu instid0(VALU_DEP_1) | instskip(NEXT) | instid1(VALU_DEP_1)
	v_and_b32_e32 v1, 0x7f000000, v0
	v_clz_i32_u32_e32 v4, v1
	v_cmp_ne_u32_e32 vcc_lo, 0, v1
	v_add_nc_u32_e32 v6, 0x1000000, v1
	s_delay_alu instid0(VALU_DEP_3) | instskip(NEXT) | instid1(VALU_DEP_1)
	v_min_u32_e32 v4, 32, v4
	v_sub_nc_u32_e64 v4, v4, 4 clamp
	s_delay_alu instid0(VALU_DEP_1) | instskip(NEXT) | instid1(VALU_DEP_1)
	v_dual_lshlrev_b32 v5, v4, v1 :: v_dual_lshlrev_b32 v4, 23, v4
	v_lshrrev_b32_e32 v5, 4, v5
	s_delay_alu instid0(VALU_DEP_1) | instskip(NEXT) | instid1(VALU_DEP_1)
	v_dual_sub_nc_u32 v4, v5, v4 :: v_dual_ashrrev_i32 v5, 8, v6
	v_add_nc_u32_e32 v4, 0x3c000000, v4
	s_delay_alu instid0(VALU_DEP_1) | instskip(NEXT) | instid1(VALU_DEP_1)
	v_and_or_b32 v4, 0x7f800000, v5, v4
	v_cndmask_b32_e32 v1, 0, v4, vcc_lo
	s_delay_alu instid0(VALU_DEP_1) | instskip(NEXT) | instid1(VALU_DEP_1)
	v_and_or_b32 v0, 0x80000000, v0, v1
	v_cvt_f64_f32_e32 v[0:1], v0
.LBB142_1098:
	s_mov_b32 s34, 0
.LBB142_1099:
	s_delay_alu instid0(SALU_CYCLE_1)
	s_and_not1_b32 vcc_lo, exec_lo, s34
	s_cbranch_vccnz .LBB142_1101
; %bb.1100:
	global_load_u8 v0, v[2:3], off
	s_wait_loadcnt 0x0
	v_lshlrev_b32_e32 v1, 25, v0
	v_lshlrev_b16 v0, 8, v0
	s_delay_alu instid0(VALU_DEP_1) | instskip(SKIP_1) | instid1(VALU_DEP_2)
	v_and_or_b32 v5, 0x7f00, v0, 0.5
	v_bfe_i32 v0, v0, 0, 16
	v_add_f32_e32 v5, -0.5, v5
	v_lshrrev_b32_e32 v4, 4, v1
	v_cmp_gt_u32_e32 vcc_lo, 0x8000000, v1
	s_delay_alu instid0(VALU_DEP_2) | instskip(NEXT) | instid1(VALU_DEP_1)
	v_or_b32_e32 v4, 0x70000000, v4
	v_mul_f32_e32 v4, 0x7800000, v4
	s_delay_alu instid0(VALU_DEP_1) | instskip(NEXT) | instid1(VALU_DEP_1)
	v_cndmask_b32_e32 v1, v4, v5, vcc_lo
	v_and_or_b32 v0, 0x80000000, v0, v1
	s_delay_alu instid0(VALU_DEP_1)
	v_cvt_f64_f32_e32 v[0:1], v0
.LBB142_1101:
	s_mov_b32 s35, 0
	s_mov_b32 s34, -1
.LBB142_1102:
	s_and_not1_b32 vcc_lo, exec_lo, s35
	s_cbranch_vccnz .LBB142_1115
; %bb.1103:
	s_cmp_gt_i32 s33, 14
	s_cbranch_scc0 .LBB142_1106
; %bb.1104:
	s_cmp_eq_u32 s33, 15
	s_cbranch_scc0 .LBB142_1109
; %bb.1105:
	global_load_u16 v0, v[2:3], off
	s_mov_b32 s34, -1
	s_mov_b32 s31, 0
	s_wait_loadcnt 0x0
	v_lshlrev_b32_e32 v0, 16, v0
	s_delay_alu instid0(VALU_DEP_1)
	v_cvt_f64_f32_e32 v[0:1], v0
	s_branch .LBB142_1110
.LBB142_1106:
	s_mov_b32 s35, -1
                                        ; implicit-def: $vgpr0_vgpr1
	s_branch .LBB142_1111
.LBB142_1107:
	s_or_saveexec_b32 s35, s35
	v_mov_b64_e32 v[0:1], 0x7ff8000020000000
	s_xor_b32 exec_lo, exec_lo, s35
	s_cbranch_execz .LBB142_1088
.LBB142_1108:
	v_cmp_ne_u16_e32 vcc_lo, 0, v4
	v_mov_b64_e32 v[0:1], 0
	s_and_not1_b32 s34, s34, exec_lo
	s_and_b32 s36, vcc_lo, exec_lo
	s_delay_alu instid0(SALU_CYCLE_1)
	s_or_b32 s34, s34, s36
	s_or_b32 exec_lo, exec_lo, s35
	s_and_saveexec_b32 s35, s34
	s_cbranch_execnz .LBB142_1089
	s_branch .LBB142_1090
.LBB142_1109:
	s_mov_b32 s31, -1
                                        ; implicit-def: $vgpr0_vgpr1
.LBB142_1110:
	s_mov_b32 s35, 0
.LBB142_1111:
	s_delay_alu instid0(SALU_CYCLE_1)
	s_and_b32 vcc_lo, exec_lo, s35
	s_cbranch_vccz .LBB142_1115
; %bb.1112:
	s_cmp_eq_u32 s33, 11
	s_cbranch_scc0 .LBB142_1114
; %bb.1113:
	global_load_u8 v0, v[2:3], off
	s_mov_b32 s31, 0
	s_mov_b32 s34, -1
	s_wait_loadcnt 0x0
	v_cmp_ne_u16_e32 vcc_lo, 0, v0
	v_mov_b32_e32 v0, 0
	v_cndmask_b32_e64 v1, 0, 0x3ff00000, vcc_lo
	s_branch .LBB142_1115
.LBB142_1114:
	s_mov_b32 s31, -1
                                        ; implicit-def: $vgpr0_vgpr1
.LBB142_1115:
	s_mov_b32 s33, 0
.LBB142_1116:
	s_delay_alu instid0(SALU_CYCLE_1)
	s_and_b32 vcc_lo, exec_lo, s33
	s_cbranch_vccz .LBB142_1165
; %bb.1117:
	s_and_b32 s0, 0xffff, s0
	s_delay_alu instid0(SALU_CYCLE_1)
	s_cmp_lt_i32 s0, 5
	s_cbranch_scc1 .LBB142_1122
; %bb.1118:
	s_cmp_lt_i32 s0, 8
	s_cbranch_scc1 .LBB142_1123
; %bb.1119:
	;; [unrolled: 3-line block ×3, first 2 shown]
	s_cmp_gt_i32 s0, 9
	s_cbranch_scc0 .LBB142_1125
; %bb.1121:
	global_load_b64 v[0:1], v[2:3], off
	s_mov_b32 s33, 0
	s_branch .LBB142_1126
.LBB142_1122:
	s_mov_b32 s33, -1
                                        ; implicit-def: $vgpr0_vgpr1
	s_branch .LBB142_1144
.LBB142_1123:
	s_mov_b32 s33, -1
                                        ; implicit-def: $vgpr0_vgpr1
	s_branch .LBB142_1132
.LBB142_1124:
	s_mov_b32 s33, -1
                                        ; implicit-def: $vgpr0_vgpr1
	s_branch .LBB142_1129
.LBB142_1125:
	s_mov_b32 s33, -1
                                        ; implicit-def: $vgpr0_vgpr1
.LBB142_1126:
	s_delay_alu instid0(SALU_CYCLE_1)
	s_and_not1_b32 vcc_lo, exec_lo, s33
	s_cbranch_vccnz .LBB142_1128
; %bb.1127:
	s_wait_loadcnt 0x0
	global_load_b32 v0, v[2:3], off
	s_wait_loadcnt 0x0
	v_cvt_f64_f32_e32 v[0:1], v0
.LBB142_1128:
	s_mov_b32 s33, 0
.LBB142_1129:
	s_delay_alu instid0(SALU_CYCLE_1)
	s_and_not1_b32 vcc_lo, exec_lo, s33
	s_cbranch_vccnz .LBB142_1131
; %bb.1130:
	s_wait_loadcnt 0x0
	global_load_b32 v0, v[2:3], off
	s_wait_loadcnt 0x0
	v_cvt_f32_f16_e32 v0, v0
	s_delay_alu instid0(VALU_DEP_1)
	v_cvt_f64_f32_e32 v[0:1], v0
.LBB142_1131:
	s_mov_b32 s33, 0
.LBB142_1132:
	s_delay_alu instid0(SALU_CYCLE_1)
	s_and_not1_b32 vcc_lo, exec_lo, s33
	s_cbranch_vccnz .LBB142_1143
; %bb.1133:
	s_cmp_lt_i32 s0, 6
	s_cbranch_scc1 .LBB142_1136
; %bb.1134:
	s_cmp_gt_i32 s0, 6
	s_cbranch_scc0 .LBB142_1137
; %bb.1135:
	s_wait_loadcnt 0x0
	global_load_b64 v[0:1], v[2:3], off
	s_mov_b32 s33, 0
	s_branch .LBB142_1138
.LBB142_1136:
	s_mov_b32 s33, -1
                                        ; implicit-def: $vgpr0_vgpr1
	s_branch .LBB142_1141
.LBB142_1137:
	s_mov_b32 s33, -1
                                        ; implicit-def: $vgpr0_vgpr1
.LBB142_1138:
	s_delay_alu instid0(SALU_CYCLE_1)
	s_and_not1_b32 vcc_lo, exec_lo, s33
	s_cbranch_vccnz .LBB142_1140
; %bb.1139:
	s_wait_loadcnt 0x0
	global_load_b32 v0, v[2:3], off
	s_wait_loadcnt 0x0
	v_cvt_f64_f32_e32 v[0:1], v0
.LBB142_1140:
	s_mov_b32 s33, 0
.LBB142_1141:
	s_delay_alu instid0(SALU_CYCLE_1)
	s_and_not1_b32 vcc_lo, exec_lo, s33
	s_cbranch_vccnz .LBB142_1143
; %bb.1142:
	s_wait_loadcnt 0x0
	global_load_u16 v0, v[2:3], off
	s_wait_loadcnt 0x0
	v_cvt_f32_f16_e32 v0, v0
	s_delay_alu instid0(VALU_DEP_1)
	v_cvt_f64_f32_e32 v[0:1], v0
.LBB142_1143:
	s_mov_b32 s33, 0
.LBB142_1144:
	s_delay_alu instid0(SALU_CYCLE_1)
	s_and_not1_b32 vcc_lo, exec_lo, s33
	s_cbranch_vccnz .LBB142_1164
; %bb.1145:
	s_cmp_lt_i32 s0, 2
	s_cbranch_scc1 .LBB142_1149
; %bb.1146:
	s_cmp_lt_i32 s0, 3
	s_cbranch_scc1 .LBB142_1150
; %bb.1147:
	s_cmp_gt_i32 s0, 3
	s_cbranch_scc0 .LBB142_1151
; %bb.1148:
	s_wait_loadcnt 0x0
	global_load_b64 v[0:1], v[2:3], off
	s_mov_b32 s33, 0
	s_wait_loadcnt 0x0
	v_cvt_f64_i32_e32 v[4:5], v1
	v_cvt_f64_u32_e32 v[0:1], v0
	s_delay_alu instid0(VALU_DEP_2) | instskip(NEXT) | instid1(VALU_DEP_1)
	v_ldexp_f64 v[4:5], v[4:5], 32
	v_add_f64_e32 v[0:1], v[4:5], v[0:1]
	s_branch .LBB142_1152
.LBB142_1149:
	s_mov_b32 s33, -1
                                        ; implicit-def: $vgpr0_vgpr1
	s_branch .LBB142_1158
.LBB142_1150:
	s_mov_b32 s33, -1
                                        ; implicit-def: $vgpr0_vgpr1
	s_branch .LBB142_1155
.LBB142_1151:
	s_mov_b32 s33, -1
                                        ; implicit-def: $vgpr0_vgpr1
.LBB142_1152:
	s_delay_alu instid0(SALU_CYCLE_1)
	s_and_not1_b32 vcc_lo, exec_lo, s33
	s_cbranch_vccnz .LBB142_1154
; %bb.1153:
	s_wait_loadcnt 0x0
	global_load_b32 v0, v[2:3], off
	s_wait_loadcnt 0x0
	v_cvt_f64_i32_e32 v[0:1], v0
.LBB142_1154:
	s_mov_b32 s33, 0
.LBB142_1155:
	s_delay_alu instid0(SALU_CYCLE_1)
	s_and_not1_b32 vcc_lo, exec_lo, s33
	s_cbranch_vccnz .LBB142_1157
; %bb.1156:
	s_wait_loadcnt 0x0
	global_load_i16 v0, v[2:3], off
	s_wait_loadcnt 0x0
	v_cvt_f64_i32_e32 v[0:1], v0
.LBB142_1157:
	s_mov_b32 s33, 0
.LBB142_1158:
	s_delay_alu instid0(SALU_CYCLE_1)
	s_and_not1_b32 vcc_lo, exec_lo, s33
	s_cbranch_vccnz .LBB142_1164
; %bb.1159:
	s_cmp_gt_i32 s0, 0
	s_mov_b32 s0, 0
	s_cbranch_scc0 .LBB142_1161
; %bb.1160:
	s_wait_loadcnt 0x0
	global_load_i8 v0, v[2:3], off
	s_wait_loadcnt 0x0
	v_cvt_f64_i32_e32 v[0:1], v0
	s_branch .LBB142_1162
.LBB142_1161:
	s_mov_b32 s0, -1
                                        ; implicit-def: $vgpr0_vgpr1
.LBB142_1162:
	s_delay_alu instid0(SALU_CYCLE_1)
	s_and_not1_b32 vcc_lo, exec_lo, s0
	s_cbranch_vccnz .LBB142_1164
; %bb.1163:
	s_wait_loadcnt 0x0
	global_load_u8 v0, v[2:3], off
	s_wait_loadcnt 0x0
	v_cvt_f64_u32_e32 v[0:1], v0
.LBB142_1164:
	s_mov_b32 s34, -1
.LBB142_1165:
	s_delay_alu instid0(SALU_CYCLE_1)
	s_and_not1_b32 vcc_lo, exec_lo, s34
	s_cbranch_vccnz .LBB142_1173
; %bb.1166:
	s_wait_xcnt 0x0
	v_mul_lo_u32 v2, v26, s14
	s_and_b32 s0, s3, 0xff
	s_delay_alu instid0(SALU_CYCLE_1) | instskip(NEXT) | instid1(VALU_DEP_1)
	s_cmp_lt_i32 s0, 11
	v_ashrrev_i32_e32 v3, 31, v2
	s_delay_alu instid0(VALU_DEP_1)
	v_add_nc_u64_e32 v[4:5], s[8:9], v[2:3]
	s_cbranch_scc1 .LBB142_1174
; %bb.1167:
	s_and_b32 s34, 0xffff, s0
	s_delay_alu instid0(SALU_CYCLE_1)
	s_cmp_gt_i32 s34, 25
	s_cbranch_scc0 .LBB142_1175
; %bb.1168:
	s_cmp_gt_i32 s34, 28
	s_cbranch_scc0 .LBB142_1176
; %bb.1169:
	;; [unrolled: 3-line block ×4, first 2 shown]
	s_cmp_eq_u32 s34, 46
	s_mov_b32 s36, 0
	s_cbranch_scc0 .LBB142_1181
; %bb.1172:
	global_load_b32 v2, v[4:5], off
	s_mov_b32 s35, -1
	s_mov_b32 s33, 0
	s_wait_loadcnt 0x0
	v_lshlrev_b32_e32 v2, 16, v2
	s_delay_alu instid0(VALU_DEP_1)
	v_cvt_f64_f32_e32 v[2:3], v2
	s_branch .LBB142_1183
.LBB142_1173:
	s_mov_b32 s36, 0
	s_mov_b32 s0, s26
	;; [unrolled: 1-line block ×4, first 2 shown]
	s_branch .LBB142_1554
.LBB142_1174:
	s_mov_b32 s34, -1
	s_mov_b32 s35, 0
	s_mov_b32 s33, s28
                                        ; implicit-def: $vgpr2_vgpr3
	s_branch .LBB142_1248
.LBB142_1175:
	s_mov_b32 s36, -1
	s_mov_b32 s35, 0
	s_mov_b32 s33, s28
                                        ; implicit-def: $vgpr2_vgpr3
	s_branch .LBB142_1212
.LBB142_1176:
	s_mov_b32 s36, -1
	s_mov_b32 s35, 0
	s_mov_b32 s33, s28
                                        ; implicit-def: $vgpr2_vgpr3
	s_branch .LBB142_1193
.LBB142_1177:
	s_mov_b32 s36, -1
	s_mov_b32 s35, 0
	s_mov_b32 s33, s28
                                        ; implicit-def: $vgpr2_vgpr3
	s_branch .LBB142_1188
.LBB142_1178:
	s_mov_b32 s36, -1
	s_mov_b32 s35, 0
	s_mov_b32 s33, s28
	s_branch .LBB142_1182
.LBB142_1179:
	s_and_not1_saveexec_b32 s34, s34
	s_cbranch_execz .LBB142_943
.LBB142_1180:
	v_add_f32_e64 v3, 0x46000000, |v2|
	s_and_not1_b32 s33, s33, exec_lo
	s_delay_alu instid0(VALU_DEP_1) | instskip(NEXT) | instid1(VALU_DEP_1)
	v_and_b32_e32 v3, 0xff, v3
	v_cmp_ne_u32_e32 vcc_lo, 0, v3
	s_and_b32 s35, vcc_lo, exec_lo
	s_delay_alu instid0(SALU_CYCLE_1)
	s_or_b32 s33, s33, s35
	s_or_b32 exec_lo, exec_lo, s34
	v_mov_b32_e32 v6, 0
	s_and_saveexec_b32 s34, s33
	s_cbranch_execnz .LBB142_944
	s_branch .LBB142_945
.LBB142_1181:
	s_mov_b32 s33, -1
	s_mov_b32 s35, 0
.LBB142_1182:
                                        ; implicit-def: $vgpr2_vgpr3
.LBB142_1183:
	s_and_b32 vcc_lo, exec_lo, s36
	s_cbranch_vccz .LBB142_1187
; %bb.1184:
	s_cmp_eq_u32 s34, 44
	s_cbranch_scc0 .LBB142_1186
; %bb.1185:
	global_load_u8 v6, v[4:5], off
	s_mov_b32 s33, 0
	s_mov_b32 s35, -1
	s_wait_loadcnt 0x0
	v_cmp_ne_u32_e32 vcc_lo, 0xff, v6
	v_lshlrev_b32_e32 v2, 23, v6
	s_delay_alu instid0(VALU_DEP_1) | instskip(NEXT) | instid1(VALU_DEP_1)
	v_cvt_f64_f32_e32 v[2:3], v2
	v_cndmask_b32_e32 v2, 0x20000000, v2, vcc_lo
	s_delay_alu instid0(VALU_DEP_2) | instskip(SKIP_1) | instid1(VALU_DEP_2)
	v_cndmask_b32_e32 v3, 0x7ff80000, v3, vcc_lo
	v_cmp_ne_u32_e32 vcc_lo, 0, v6
	v_cndmask_b32_e32 v3, 0x38000000, v3, vcc_lo
	s_delay_alu instid0(VALU_DEP_4)
	v_cndmask_b32_e32 v2, 0, v2, vcc_lo
	s_branch .LBB142_1187
.LBB142_1186:
	s_mov_b32 s33, -1
                                        ; implicit-def: $vgpr2_vgpr3
.LBB142_1187:
	s_mov_b32 s36, 0
.LBB142_1188:
	s_delay_alu instid0(SALU_CYCLE_1)
	s_and_b32 vcc_lo, exec_lo, s36
	s_cbranch_vccz .LBB142_1192
; %bb.1189:
	s_cmp_eq_u32 s34, 29
	s_cbranch_scc0 .LBB142_1191
; %bb.1190:
	global_load_b64 v[2:3], v[4:5], off
	s_mov_b32 s35, -1
	s_mov_b32 s33, 0
	s_mov_b32 s36, 0
	s_wait_loadcnt 0x0
	v_cvt_f64_u32_e32 v[6:7], v3
	v_cvt_f64_u32_e32 v[2:3], v2
	s_delay_alu instid0(VALU_DEP_2) | instskip(NEXT) | instid1(VALU_DEP_1)
	v_ldexp_f64 v[6:7], v[6:7], 32
	v_add_f64_e32 v[2:3], v[6:7], v[2:3]
	s_branch .LBB142_1193
.LBB142_1191:
	s_mov_b32 s33, -1
                                        ; implicit-def: $vgpr2_vgpr3
.LBB142_1192:
	s_mov_b32 s36, 0
.LBB142_1193:
	s_delay_alu instid0(SALU_CYCLE_1)
	s_and_b32 vcc_lo, exec_lo, s36
	s_cbranch_vccz .LBB142_1211
; %bb.1194:
	s_cmp_lt_i32 s34, 27
	s_cbranch_scc1 .LBB142_1197
; %bb.1195:
	s_cmp_gt_i32 s34, 27
	s_cbranch_scc0 .LBB142_1198
; %bb.1196:
	global_load_b32 v2, v[4:5], off
	s_mov_b32 s35, 0
	s_wait_loadcnt 0x0
	v_cvt_f64_u32_e32 v[2:3], v2
	s_branch .LBB142_1199
.LBB142_1197:
	s_mov_b32 s35, -1
                                        ; implicit-def: $vgpr2_vgpr3
	s_branch .LBB142_1202
.LBB142_1198:
	s_mov_b32 s35, -1
                                        ; implicit-def: $vgpr2_vgpr3
.LBB142_1199:
	s_delay_alu instid0(SALU_CYCLE_1)
	s_and_not1_b32 vcc_lo, exec_lo, s35
	s_cbranch_vccnz .LBB142_1201
; %bb.1200:
	global_load_u16 v2, v[4:5], off
	s_wait_loadcnt 0x0
	v_cvt_f64_u32_e32 v[2:3], v2
.LBB142_1201:
	s_mov_b32 s35, 0
.LBB142_1202:
	s_delay_alu instid0(SALU_CYCLE_1)
	s_and_not1_b32 vcc_lo, exec_lo, s35
	s_cbranch_vccnz .LBB142_1210
; %bb.1203:
	global_load_u8 v6, v[4:5], off
	s_mov_b32 s35, 0
	s_mov_b32 s36, exec_lo
	s_wait_loadcnt 0x0
	v_cmpx_lt_i16_e32 0x7f, v6
	s_xor_b32 s36, exec_lo, s36
	s_cbranch_execz .LBB142_1224
; %bb.1204:
	s_mov_b32 s35, -1
	s_mov_b32 s37, exec_lo
	v_cmpx_eq_u16_e32 0x80, v6
; %bb.1205:
	s_xor_b32 s35, exec_lo, -1
; %bb.1206:
	s_or_b32 exec_lo, exec_lo, s37
	s_delay_alu instid0(SALU_CYCLE_1)
	s_and_b32 s35, s35, exec_lo
	s_or_saveexec_b32 s36, s36
	v_mov_b64_e32 v[2:3], 0x7ff8000020000000
	s_xor_b32 exec_lo, exec_lo, s36
	s_cbranch_execnz .LBB142_1225
.LBB142_1207:
	s_or_b32 exec_lo, exec_lo, s36
	s_and_saveexec_b32 s36, s35
	s_cbranch_execz .LBB142_1209
.LBB142_1208:
	v_and_b32_e32 v2, 0xffff, v6
	s_delay_alu instid0(VALU_DEP_1) | instskip(SKIP_1) | instid1(VALU_DEP_2)
	v_and_b32_e32 v3, 7, v2
	v_bfe_u32 v9, v2, 3, 4
	v_clz_i32_u32_e32 v7, v3
	s_delay_alu instid0(VALU_DEP_2) | instskip(NEXT) | instid1(VALU_DEP_2)
	v_cmp_eq_u32_e32 vcc_lo, 0, v9
	v_min_u32_e32 v7, 32, v7
	s_delay_alu instid0(VALU_DEP_1) | instskip(NEXT) | instid1(VALU_DEP_1)
	v_subrev_nc_u32_e32 v8, 28, v7
	v_dual_lshlrev_b32 v2, v8, v2 :: v_dual_sub_nc_u32 v7, 29, v7
	s_delay_alu instid0(VALU_DEP_1) | instskip(NEXT) | instid1(VALU_DEP_2)
	v_and_b32_e32 v2, 7, v2
	v_dual_cndmask_b32 v7, v9, v7 :: v_dual_lshlrev_b32 v6, 24, v6
	s_delay_alu instid0(VALU_DEP_2) | instskip(NEXT) | instid1(VALU_DEP_2)
	v_cndmask_b32_e32 v2, v3, v2, vcc_lo
	v_and_b32_e32 v3, 0x80000000, v6
	s_delay_alu instid0(VALU_DEP_3) | instskip(NEXT) | instid1(VALU_DEP_3)
	v_lshl_add_u32 v6, v7, 23, 0x3b800000
	v_lshlrev_b32_e32 v2, 20, v2
	s_delay_alu instid0(VALU_DEP_1) | instskip(NEXT) | instid1(VALU_DEP_1)
	v_or3_b32 v2, v3, v6, v2
	v_cvt_f64_f32_e32 v[2:3], v2
.LBB142_1209:
	s_or_b32 exec_lo, exec_lo, s36
.LBB142_1210:
	s_mov_b32 s35, -1
.LBB142_1211:
	s_mov_b32 s36, 0
.LBB142_1212:
	s_delay_alu instid0(SALU_CYCLE_1)
	s_and_b32 vcc_lo, exec_lo, s36
	s_cbranch_vccz .LBB142_1247
; %bb.1213:
	s_cmp_gt_i32 s34, 22
	s_cbranch_scc0 .LBB142_1223
; %bb.1214:
	s_cmp_lt_i32 s34, 24
	s_cbranch_scc1 .LBB142_1226
; %bb.1215:
	s_cmp_gt_i32 s34, 24
	s_cbranch_scc0 .LBB142_1227
; %bb.1216:
	global_load_u8 v6, v[4:5], off
	s_mov_b32 s35, 0
	s_mov_b32 s36, exec_lo
	s_wait_loadcnt 0x0
	v_cmpx_lt_i16_e32 0x7f, v6
	s_xor_b32 s36, exec_lo, s36
	s_cbranch_execz .LBB142_1239
; %bb.1217:
	s_mov_b32 s35, -1
	s_mov_b32 s37, exec_lo
	v_cmpx_eq_u16_e32 0x80, v6
; %bb.1218:
	s_xor_b32 s35, exec_lo, -1
; %bb.1219:
	s_or_b32 exec_lo, exec_lo, s37
	s_delay_alu instid0(SALU_CYCLE_1)
	s_and_b32 s35, s35, exec_lo
	s_or_saveexec_b32 s36, s36
	v_mov_b64_e32 v[2:3], 0x7ff8000020000000
	s_xor_b32 exec_lo, exec_lo, s36
	s_cbranch_execnz .LBB142_1240
.LBB142_1220:
	s_or_b32 exec_lo, exec_lo, s36
	s_and_saveexec_b32 s36, s35
	s_cbranch_execz .LBB142_1222
.LBB142_1221:
	v_and_b32_e32 v2, 0xffff, v6
	s_delay_alu instid0(VALU_DEP_1) | instskip(SKIP_1) | instid1(VALU_DEP_2)
	v_and_b32_e32 v3, 3, v2
	v_bfe_u32 v9, v2, 2, 5
	v_clz_i32_u32_e32 v7, v3
	s_delay_alu instid0(VALU_DEP_2) | instskip(NEXT) | instid1(VALU_DEP_2)
	v_cmp_eq_u32_e32 vcc_lo, 0, v9
	v_min_u32_e32 v7, 32, v7
	s_delay_alu instid0(VALU_DEP_1) | instskip(NEXT) | instid1(VALU_DEP_1)
	v_subrev_nc_u32_e32 v8, 29, v7
	v_dual_lshlrev_b32 v2, v8, v2 :: v_dual_sub_nc_u32 v7, 30, v7
	s_delay_alu instid0(VALU_DEP_1) | instskip(NEXT) | instid1(VALU_DEP_2)
	v_and_b32_e32 v2, 3, v2
	v_dual_cndmask_b32 v7, v9, v7 :: v_dual_lshlrev_b32 v6, 24, v6
	s_delay_alu instid0(VALU_DEP_2) | instskip(NEXT) | instid1(VALU_DEP_2)
	v_cndmask_b32_e32 v2, v3, v2, vcc_lo
	v_and_b32_e32 v3, 0x80000000, v6
	s_delay_alu instid0(VALU_DEP_3) | instskip(NEXT) | instid1(VALU_DEP_3)
	v_lshl_add_u32 v6, v7, 23, 0x37800000
	v_lshlrev_b32_e32 v2, 21, v2
	s_delay_alu instid0(VALU_DEP_1) | instskip(NEXT) | instid1(VALU_DEP_1)
	v_or3_b32 v2, v3, v6, v2
	v_cvt_f64_f32_e32 v[2:3], v2
.LBB142_1222:
	s_or_b32 exec_lo, exec_lo, s36
	s_mov_b32 s35, 0
	s_branch .LBB142_1228
.LBB142_1223:
	s_mov_b32 s36, -1
                                        ; implicit-def: $vgpr2_vgpr3
	s_branch .LBB142_1234
.LBB142_1224:
	s_or_saveexec_b32 s36, s36
	v_mov_b64_e32 v[2:3], 0x7ff8000020000000
	s_xor_b32 exec_lo, exec_lo, s36
	s_cbranch_execz .LBB142_1207
.LBB142_1225:
	v_cmp_ne_u16_e32 vcc_lo, 0, v6
	v_mov_b64_e32 v[2:3], 0
	s_and_not1_b32 s35, s35, exec_lo
	s_and_b32 s37, vcc_lo, exec_lo
	s_delay_alu instid0(SALU_CYCLE_1)
	s_or_b32 s35, s35, s37
	s_or_b32 exec_lo, exec_lo, s36
	s_and_saveexec_b32 s36, s35
	s_cbranch_execnz .LBB142_1208
	s_branch .LBB142_1209
.LBB142_1226:
	s_mov_b32 s35, -1
                                        ; implicit-def: $vgpr2_vgpr3
	s_branch .LBB142_1231
.LBB142_1227:
	s_mov_b32 s35, -1
                                        ; implicit-def: $vgpr2_vgpr3
.LBB142_1228:
	s_delay_alu instid0(SALU_CYCLE_1)
	s_and_b32 vcc_lo, exec_lo, s35
	s_cbranch_vccz .LBB142_1230
; %bb.1229:
	global_load_u8 v2, v[4:5], off
	s_wait_loadcnt 0x0
	v_lshlrev_b32_e32 v2, 24, v2
	s_delay_alu instid0(VALU_DEP_1) | instskip(NEXT) | instid1(VALU_DEP_1)
	v_and_b32_e32 v3, 0x7f000000, v2
	v_clz_i32_u32_e32 v6, v3
	v_cmp_ne_u32_e32 vcc_lo, 0, v3
	v_add_nc_u32_e32 v8, 0x1000000, v3
	s_delay_alu instid0(VALU_DEP_3) | instskip(NEXT) | instid1(VALU_DEP_1)
	v_min_u32_e32 v6, 32, v6
	v_sub_nc_u32_e64 v6, v6, 4 clamp
	s_delay_alu instid0(VALU_DEP_1) | instskip(NEXT) | instid1(VALU_DEP_1)
	v_dual_lshlrev_b32 v7, v6, v3 :: v_dual_lshlrev_b32 v6, 23, v6
	v_lshrrev_b32_e32 v7, 4, v7
	s_delay_alu instid0(VALU_DEP_1) | instskip(NEXT) | instid1(VALU_DEP_1)
	v_dual_sub_nc_u32 v6, v7, v6 :: v_dual_ashrrev_i32 v7, 8, v8
	v_add_nc_u32_e32 v6, 0x3c000000, v6
	s_delay_alu instid0(VALU_DEP_1) | instskip(NEXT) | instid1(VALU_DEP_1)
	v_and_or_b32 v6, 0x7f800000, v7, v6
	v_cndmask_b32_e32 v3, 0, v6, vcc_lo
	s_delay_alu instid0(VALU_DEP_1) | instskip(NEXT) | instid1(VALU_DEP_1)
	v_and_or_b32 v2, 0x80000000, v2, v3
	v_cvt_f64_f32_e32 v[2:3], v2
.LBB142_1230:
	s_mov_b32 s35, 0
.LBB142_1231:
	s_delay_alu instid0(SALU_CYCLE_1)
	s_and_not1_b32 vcc_lo, exec_lo, s35
	s_cbranch_vccnz .LBB142_1233
; %bb.1232:
	global_load_u8 v2, v[4:5], off
	s_wait_loadcnt 0x0
	v_lshlrev_b32_e32 v3, 25, v2
	v_lshlrev_b16 v2, 8, v2
	s_delay_alu instid0(VALU_DEP_1) | instskip(SKIP_1) | instid1(VALU_DEP_2)
	v_and_or_b32 v7, 0x7f00, v2, 0.5
	v_bfe_i32 v2, v2, 0, 16
	v_add_f32_e32 v7, -0.5, v7
	v_lshrrev_b32_e32 v6, 4, v3
	v_cmp_gt_u32_e32 vcc_lo, 0x8000000, v3
	s_delay_alu instid0(VALU_DEP_2) | instskip(NEXT) | instid1(VALU_DEP_1)
	v_or_b32_e32 v6, 0x70000000, v6
	v_mul_f32_e32 v6, 0x7800000, v6
	s_delay_alu instid0(VALU_DEP_1) | instskip(NEXT) | instid1(VALU_DEP_1)
	v_cndmask_b32_e32 v3, v6, v7, vcc_lo
	v_and_or_b32 v2, 0x80000000, v2, v3
	s_delay_alu instid0(VALU_DEP_1)
	v_cvt_f64_f32_e32 v[2:3], v2
.LBB142_1233:
	s_mov_b32 s36, 0
	s_mov_b32 s35, -1
.LBB142_1234:
	s_and_not1_b32 vcc_lo, exec_lo, s36
	s_cbranch_vccnz .LBB142_1247
; %bb.1235:
	s_cmp_gt_i32 s34, 14
	s_cbranch_scc0 .LBB142_1238
; %bb.1236:
	s_cmp_eq_u32 s34, 15
	s_cbranch_scc0 .LBB142_1241
; %bb.1237:
	global_load_u16 v2, v[4:5], off
	s_mov_b32 s35, -1
	s_mov_b32 s33, 0
	s_wait_loadcnt 0x0
	v_lshlrev_b32_e32 v2, 16, v2
	s_delay_alu instid0(VALU_DEP_1)
	v_cvt_f64_f32_e32 v[2:3], v2
	s_branch .LBB142_1242
.LBB142_1238:
	s_mov_b32 s36, -1
                                        ; implicit-def: $vgpr2_vgpr3
	s_branch .LBB142_1243
.LBB142_1239:
	s_or_saveexec_b32 s36, s36
	v_mov_b64_e32 v[2:3], 0x7ff8000020000000
	s_xor_b32 exec_lo, exec_lo, s36
	s_cbranch_execz .LBB142_1220
.LBB142_1240:
	v_cmp_ne_u16_e32 vcc_lo, 0, v6
	v_mov_b64_e32 v[2:3], 0
	s_and_not1_b32 s35, s35, exec_lo
	s_and_b32 s37, vcc_lo, exec_lo
	s_delay_alu instid0(SALU_CYCLE_1)
	s_or_b32 s35, s35, s37
	s_or_b32 exec_lo, exec_lo, s36
	s_and_saveexec_b32 s36, s35
	s_cbranch_execnz .LBB142_1221
	s_branch .LBB142_1222
.LBB142_1241:
	s_mov_b32 s33, -1
                                        ; implicit-def: $vgpr2_vgpr3
.LBB142_1242:
	s_mov_b32 s36, 0
.LBB142_1243:
	s_delay_alu instid0(SALU_CYCLE_1)
	s_and_b32 vcc_lo, exec_lo, s36
	s_cbranch_vccz .LBB142_1247
; %bb.1244:
	s_cmp_eq_u32 s34, 11
	s_cbranch_scc0 .LBB142_1246
; %bb.1245:
	global_load_u8 v2, v[4:5], off
	s_mov_b32 s33, 0
	s_mov_b32 s35, -1
	s_wait_loadcnt 0x0
	v_cmp_ne_u16_e32 vcc_lo, 0, v2
	v_mov_b32_e32 v2, 0
	v_cndmask_b32_e64 v3, 0, 0x3ff00000, vcc_lo
	s_branch .LBB142_1247
.LBB142_1246:
	s_mov_b32 s33, -1
                                        ; implicit-def: $vgpr2_vgpr3
.LBB142_1247:
	s_mov_b32 s34, 0
.LBB142_1248:
	s_delay_alu instid0(SALU_CYCLE_1)
	s_and_b32 vcc_lo, exec_lo, s34
	s_cbranch_vccz .LBB142_1297
; %bb.1249:
	s_and_b32 s0, 0xffff, s0
	s_delay_alu instid0(SALU_CYCLE_1)
	s_cmp_lt_i32 s0, 5
	s_cbranch_scc1 .LBB142_1254
; %bb.1250:
	s_cmp_lt_i32 s0, 8
	s_cbranch_scc1 .LBB142_1255
; %bb.1251:
	;; [unrolled: 3-line block ×3, first 2 shown]
	s_cmp_gt_i32 s0, 9
	s_cbranch_scc0 .LBB142_1257
; %bb.1253:
	global_load_b64 v[2:3], v[4:5], off
	s_mov_b32 s34, 0
	s_branch .LBB142_1258
.LBB142_1254:
	s_mov_b32 s34, -1
                                        ; implicit-def: $vgpr2_vgpr3
	s_branch .LBB142_1276
.LBB142_1255:
	s_mov_b32 s34, -1
                                        ; implicit-def: $vgpr2_vgpr3
	s_branch .LBB142_1264
.LBB142_1256:
	s_mov_b32 s34, -1
                                        ; implicit-def: $vgpr2_vgpr3
	s_branch .LBB142_1261
.LBB142_1257:
	s_mov_b32 s34, -1
                                        ; implicit-def: $vgpr2_vgpr3
.LBB142_1258:
	s_delay_alu instid0(SALU_CYCLE_1)
	s_and_not1_b32 vcc_lo, exec_lo, s34
	s_cbranch_vccnz .LBB142_1260
; %bb.1259:
	s_wait_loadcnt 0x0
	global_load_b32 v2, v[4:5], off
	s_wait_loadcnt 0x0
	v_cvt_f64_f32_e32 v[2:3], v2
.LBB142_1260:
	s_mov_b32 s34, 0
.LBB142_1261:
	s_delay_alu instid0(SALU_CYCLE_1)
	s_and_not1_b32 vcc_lo, exec_lo, s34
	s_cbranch_vccnz .LBB142_1263
; %bb.1262:
	s_wait_loadcnt 0x0
	global_load_b32 v2, v[4:5], off
	s_wait_loadcnt 0x0
	v_cvt_f32_f16_e32 v2, v2
	s_delay_alu instid0(VALU_DEP_1)
	v_cvt_f64_f32_e32 v[2:3], v2
.LBB142_1263:
	s_mov_b32 s34, 0
.LBB142_1264:
	s_delay_alu instid0(SALU_CYCLE_1)
	s_and_not1_b32 vcc_lo, exec_lo, s34
	s_cbranch_vccnz .LBB142_1275
; %bb.1265:
	s_cmp_lt_i32 s0, 6
	s_cbranch_scc1 .LBB142_1268
; %bb.1266:
	s_cmp_gt_i32 s0, 6
	s_cbranch_scc0 .LBB142_1269
; %bb.1267:
	s_wait_loadcnt 0x0
	global_load_b64 v[2:3], v[4:5], off
	s_mov_b32 s34, 0
	s_branch .LBB142_1270
.LBB142_1268:
	s_mov_b32 s34, -1
                                        ; implicit-def: $vgpr2_vgpr3
	s_branch .LBB142_1273
.LBB142_1269:
	s_mov_b32 s34, -1
                                        ; implicit-def: $vgpr2_vgpr3
.LBB142_1270:
	s_delay_alu instid0(SALU_CYCLE_1)
	s_and_not1_b32 vcc_lo, exec_lo, s34
	s_cbranch_vccnz .LBB142_1272
; %bb.1271:
	s_wait_loadcnt 0x0
	global_load_b32 v2, v[4:5], off
	s_wait_loadcnt 0x0
	v_cvt_f64_f32_e32 v[2:3], v2
.LBB142_1272:
	s_mov_b32 s34, 0
.LBB142_1273:
	s_delay_alu instid0(SALU_CYCLE_1)
	s_and_not1_b32 vcc_lo, exec_lo, s34
	s_cbranch_vccnz .LBB142_1275
; %bb.1274:
	s_wait_loadcnt 0x0
	global_load_u16 v2, v[4:5], off
	s_wait_loadcnt 0x0
	v_cvt_f32_f16_e32 v2, v2
	s_delay_alu instid0(VALU_DEP_1)
	v_cvt_f64_f32_e32 v[2:3], v2
.LBB142_1275:
	s_mov_b32 s34, 0
.LBB142_1276:
	s_delay_alu instid0(SALU_CYCLE_1)
	s_and_not1_b32 vcc_lo, exec_lo, s34
	s_cbranch_vccnz .LBB142_1296
; %bb.1277:
	s_cmp_lt_i32 s0, 2
	s_cbranch_scc1 .LBB142_1281
; %bb.1278:
	s_cmp_lt_i32 s0, 3
	s_cbranch_scc1 .LBB142_1282
; %bb.1279:
	s_cmp_gt_i32 s0, 3
	s_cbranch_scc0 .LBB142_1283
; %bb.1280:
	s_wait_loadcnt 0x0
	global_load_b64 v[2:3], v[4:5], off
	s_mov_b32 s34, 0
	s_wait_loadcnt 0x0
	v_cvt_f64_i32_e32 v[6:7], v3
	v_cvt_f64_u32_e32 v[2:3], v2
	s_delay_alu instid0(VALU_DEP_2) | instskip(NEXT) | instid1(VALU_DEP_1)
	v_ldexp_f64 v[6:7], v[6:7], 32
	v_add_f64_e32 v[2:3], v[6:7], v[2:3]
	s_branch .LBB142_1284
.LBB142_1281:
	s_mov_b32 s34, -1
                                        ; implicit-def: $vgpr2_vgpr3
	s_branch .LBB142_1290
.LBB142_1282:
	s_mov_b32 s34, -1
                                        ; implicit-def: $vgpr2_vgpr3
	s_branch .LBB142_1287
.LBB142_1283:
	s_mov_b32 s34, -1
                                        ; implicit-def: $vgpr2_vgpr3
.LBB142_1284:
	s_delay_alu instid0(SALU_CYCLE_1)
	s_and_not1_b32 vcc_lo, exec_lo, s34
	s_cbranch_vccnz .LBB142_1286
; %bb.1285:
	s_wait_loadcnt 0x0
	global_load_b32 v2, v[4:5], off
	s_wait_loadcnt 0x0
	v_cvt_f64_i32_e32 v[2:3], v2
.LBB142_1286:
	s_mov_b32 s34, 0
.LBB142_1287:
	s_delay_alu instid0(SALU_CYCLE_1)
	s_and_not1_b32 vcc_lo, exec_lo, s34
	s_cbranch_vccnz .LBB142_1289
; %bb.1288:
	s_wait_loadcnt 0x0
	global_load_i16 v2, v[4:5], off
	s_wait_loadcnt 0x0
	v_cvt_f64_i32_e32 v[2:3], v2
.LBB142_1289:
	s_mov_b32 s34, 0
.LBB142_1290:
	s_delay_alu instid0(SALU_CYCLE_1)
	s_and_not1_b32 vcc_lo, exec_lo, s34
	s_cbranch_vccnz .LBB142_1296
; %bb.1291:
	s_cmp_gt_i32 s0, 0
	s_mov_b32 s0, 0
	s_cbranch_scc0 .LBB142_1293
; %bb.1292:
	s_wait_loadcnt 0x0
	global_load_i8 v2, v[4:5], off
	s_wait_loadcnt 0x0
	v_cvt_f64_i32_e32 v[2:3], v2
	s_branch .LBB142_1294
.LBB142_1293:
	s_mov_b32 s0, -1
                                        ; implicit-def: $vgpr2_vgpr3
.LBB142_1294:
	s_delay_alu instid0(SALU_CYCLE_1)
	s_and_not1_b32 vcc_lo, exec_lo, s0
	s_cbranch_vccnz .LBB142_1296
; %bb.1295:
	s_wait_loadcnt 0x0
	global_load_u8 v2, v[4:5], off
	s_wait_loadcnt 0x0
	v_cvt_f64_u32_e32 v[2:3], v2
.LBB142_1296:
	s_mov_b32 s35, -1
.LBB142_1297:
	s_delay_alu instid0(SALU_CYCLE_1)
	s_and_not1_b32 vcc_lo, exec_lo, s35
	s_cbranch_vccnz .LBB142_1305
; %bb.1298:
	s_wait_xcnt 0x0
	v_mul_lo_u32 v4, v26, s15
	s_and_b32 s0, 0xffff, s1
	s_delay_alu instid0(SALU_CYCLE_1) | instskip(NEXT) | instid1(VALU_DEP_1)
	s_cmp_lt_i32 s0, 11
	v_ashrrev_i32_e32 v5, 31, v4
	s_delay_alu instid0(VALU_DEP_1)
	v_add_nc_u64_e32 v[4:5], s[10:11], v[4:5]
	s_cbranch_scc1 .LBB142_1306
; %bb.1299:
	s_cmp_gt_i32 s0, 25
	s_cbranch_scc0 .LBB142_1307
; %bb.1300:
	s_cmp_gt_i32 s0, 28
	s_cbranch_scc0 .LBB142_1308
	;; [unrolled: 3-line block ×4, first 2 shown]
; %bb.1303:
	s_cmp_eq_u32 s0, 46
	s_mov_b32 s36, 0
	s_cbranch_scc0 .LBB142_1313
; %bb.1304:
	global_load_b32 v6, v[4:5], off
	s_mov_b32 s35, -1
	s_mov_b32 s34, 0
	s_wait_loadcnt 0x0
	v_lshlrev_b32_e32 v6, 16, v6
	s_delay_alu instid0(VALU_DEP_1)
	v_cvt_f64_f32_e32 v[6:7], v6
	s_branch .LBB142_1315
.LBB142_1305:
	s_mov_b32 s36, 0
	s_mov_b32 s0, s26
	;; [unrolled: 1-line block ×3, first 2 shown]
	s_branch .LBB142_1554
.LBB142_1306:
	s_mov_b32 s36, -1
	s_mov_b32 s35, 0
	s_mov_b32 s34, s27
                                        ; implicit-def: $vgpr6_vgpr7
	s_branch .LBB142_1380
.LBB142_1307:
	s_mov_b32 s36, -1
	s_mov_b32 s35, 0
	s_mov_b32 s34, s27
                                        ; implicit-def: $vgpr6_vgpr7
	s_branch .LBB142_1344
.LBB142_1308:
	s_mov_b32 s36, -1
	s_mov_b32 s35, 0
	s_mov_b32 s34, s27
                                        ; implicit-def: $vgpr6_vgpr7
	s_branch .LBB142_1325
.LBB142_1309:
	s_mov_b32 s36, -1
	s_mov_b32 s35, 0
	s_mov_b32 s34, s27
                                        ; implicit-def: $vgpr6_vgpr7
	s_branch .LBB142_1320
.LBB142_1310:
	s_mov_b32 s36, -1
	s_mov_b32 s35, 0
	s_mov_b32 s34, s27
	s_branch .LBB142_1314
.LBB142_1311:
	s_and_not1_saveexec_b32 s34, s34
	s_cbranch_execz .LBB142_956
.LBB142_1312:
	v_add_f32_e64 v3, 0x42800000, |v2|
	s_and_not1_b32 s33, s33, exec_lo
	s_delay_alu instid0(VALU_DEP_1) | instskip(NEXT) | instid1(VALU_DEP_1)
	v_and_b32_e32 v3, 0xff, v3
	v_cmp_ne_u32_e32 vcc_lo, 0, v3
	s_and_b32 s35, vcc_lo, exec_lo
	s_delay_alu instid0(SALU_CYCLE_1)
	s_or_b32 s33, s33, s35
	s_or_b32 exec_lo, exec_lo, s34
	v_mov_b32_e32 v6, 0
	s_and_saveexec_b32 s34, s33
	s_cbranch_execnz .LBB142_957
	s_branch .LBB142_958
.LBB142_1313:
	s_mov_b32 s34, -1
	s_mov_b32 s35, 0
.LBB142_1314:
                                        ; implicit-def: $vgpr6_vgpr7
.LBB142_1315:
	s_and_b32 vcc_lo, exec_lo, s36
	s_cbranch_vccz .LBB142_1319
; %bb.1316:
	s_cmp_eq_u32 s0, 44
	s_cbranch_scc0 .LBB142_1318
; %bb.1317:
	global_load_u8 v8, v[4:5], off
	s_mov_b32 s34, 0
	s_mov_b32 s35, -1
	s_wait_loadcnt 0x0
	v_cmp_ne_u32_e32 vcc_lo, 0xff, v8
	v_lshlrev_b32_e32 v6, 23, v8
	s_delay_alu instid0(VALU_DEP_1) | instskip(NEXT) | instid1(VALU_DEP_1)
	v_cvt_f64_f32_e32 v[6:7], v6
	v_cndmask_b32_e32 v6, 0x20000000, v6, vcc_lo
	s_delay_alu instid0(VALU_DEP_2) | instskip(SKIP_1) | instid1(VALU_DEP_2)
	v_cndmask_b32_e32 v7, 0x7ff80000, v7, vcc_lo
	v_cmp_ne_u32_e32 vcc_lo, 0, v8
	v_cndmask_b32_e32 v7, 0x38000000, v7, vcc_lo
	s_delay_alu instid0(VALU_DEP_4)
	v_cndmask_b32_e32 v6, 0, v6, vcc_lo
	s_branch .LBB142_1319
.LBB142_1318:
	s_mov_b32 s34, -1
                                        ; implicit-def: $vgpr6_vgpr7
.LBB142_1319:
	s_mov_b32 s36, 0
.LBB142_1320:
	s_delay_alu instid0(SALU_CYCLE_1)
	s_and_b32 vcc_lo, exec_lo, s36
	s_cbranch_vccz .LBB142_1324
; %bb.1321:
	s_cmp_eq_u32 s0, 29
	s_cbranch_scc0 .LBB142_1323
; %bb.1322:
	global_load_b64 v[6:7], v[4:5], off
	s_mov_b32 s35, -1
	s_mov_b32 s34, 0
	s_mov_b32 s36, 0
	s_wait_loadcnt 0x0
	v_cvt_f64_u32_e32 v[8:9], v7
	v_cvt_f64_u32_e32 v[6:7], v6
	s_delay_alu instid0(VALU_DEP_2) | instskip(NEXT) | instid1(VALU_DEP_1)
	v_ldexp_f64 v[8:9], v[8:9], 32
	v_add_f64_e32 v[6:7], v[8:9], v[6:7]
	s_branch .LBB142_1325
.LBB142_1323:
	s_mov_b32 s34, -1
                                        ; implicit-def: $vgpr6_vgpr7
.LBB142_1324:
	s_mov_b32 s36, 0
.LBB142_1325:
	s_delay_alu instid0(SALU_CYCLE_1)
	s_and_b32 vcc_lo, exec_lo, s36
	s_cbranch_vccz .LBB142_1343
; %bb.1326:
	s_cmp_lt_i32 s0, 27
	s_cbranch_scc1 .LBB142_1329
; %bb.1327:
	s_cmp_gt_i32 s0, 27
	s_cbranch_scc0 .LBB142_1330
; %bb.1328:
	global_load_b32 v6, v[4:5], off
	s_mov_b32 s35, 0
	s_wait_loadcnt 0x0
	v_cvt_f64_u32_e32 v[6:7], v6
	s_branch .LBB142_1331
.LBB142_1329:
	s_mov_b32 s35, -1
                                        ; implicit-def: $vgpr6_vgpr7
	s_branch .LBB142_1334
.LBB142_1330:
	s_mov_b32 s35, -1
                                        ; implicit-def: $vgpr6_vgpr7
.LBB142_1331:
	s_delay_alu instid0(SALU_CYCLE_1)
	s_and_not1_b32 vcc_lo, exec_lo, s35
	s_cbranch_vccnz .LBB142_1333
; %bb.1332:
	global_load_u16 v6, v[4:5], off
	s_wait_loadcnt 0x0
	v_cvt_f64_u32_e32 v[6:7], v6
.LBB142_1333:
	s_mov_b32 s35, 0
.LBB142_1334:
	s_delay_alu instid0(SALU_CYCLE_1)
	s_and_not1_b32 vcc_lo, exec_lo, s35
	s_cbranch_vccnz .LBB142_1342
; %bb.1335:
	global_load_u8 v8, v[4:5], off
	s_mov_b32 s35, 0
	s_mov_b32 s36, exec_lo
	s_wait_loadcnt 0x0
	v_cmpx_lt_i16_e32 0x7f, v8
	s_xor_b32 s36, exec_lo, s36
	s_cbranch_execz .LBB142_1356
; %bb.1336:
	s_mov_b32 s35, -1
	s_mov_b32 s37, exec_lo
	v_cmpx_eq_u16_e32 0x80, v8
; %bb.1337:
	s_xor_b32 s35, exec_lo, -1
; %bb.1338:
	s_or_b32 exec_lo, exec_lo, s37
	s_delay_alu instid0(SALU_CYCLE_1)
	s_and_b32 s35, s35, exec_lo
	s_or_saveexec_b32 s36, s36
	v_mov_b64_e32 v[6:7], 0x7ff8000020000000
	s_xor_b32 exec_lo, exec_lo, s36
	s_cbranch_execnz .LBB142_1357
.LBB142_1339:
	s_or_b32 exec_lo, exec_lo, s36
	s_and_saveexec_b32 s36, s35
	s_cbranch_execz .LBB142_1341
.LBB142_1340:
	v_and_b32_e32 v6, 0xffff, v8
	s_delay_alu instid0(VALU_DEP_1) | instskip(SKIP_1) | instid1(VALU_DEP_2)
	v_and_b32_e32 v7, 7, v6
	v_bfe_u32 v11, v6, 3, 4
	v_clz_i32_u32_e32 v9, v7
	s_delay_alu instid0(VALU_DEP_2) | instskip(NEXT) | instid1(VALU_DEP_2)
	v_cmp_eq_u32_e32 vcc_lo, 0, v11
	v_min_u32_e32 v9, 32, v9
	s_delay_alu instid0(VALU_DEP_1) | instskip(NEXT) | instid1(VALU_DEP_1)
	v_subrev_nc_u32_e32 v10, 28, v9
	v_dual_lshlrev_b32 v6, v10, v6 :: v_dual_sub_nc_u32 v9, 29, v9
	s_delay_alu instid0(VALU_DEP_1) | instskip(NEXT) | instid1(VALU_DEP_2)
	v_dual_lshlrev_b32 v8, 24, v8 :: v_dual_bitop2_b32 v6, 7, v6 bitop3:0x40
	v_cndmask_b32_e32 v9, v11, v9, vcc_lo
	s_delay_alu instid0(VALU_DEP_2) | instskip(NEXT) | instid1(VALU_DEP_3)
	v_cndmask_b32_e32 v6, v7, v6, vcc_lo
	v_and_b32_e32 v7, 0x80000000, v8
	s_delay_alu instid0(VALU_DEP_3) | instskip(NEXT) | instid1(VALU_DEP_3)
	v_lshl_add_u32 v8, v9, 23, 0x3b800000
	v_lshlrev_b32_e32 v6, 20, v6
	s_delay_alu instid0(VALU_DEP_1) | instskip(NEXT) | instid1(VALU_DEP_1)
	v_or3_b32 v6, v7, v8, v6
	v_cvt_f64_f32_e32 v[6:7], v6
.LBB142_1341:
	s_or_b32 exec_lo, exec_lo, s36
.LBB142_1342:
	s_mov_b32 s35, -1
.LBB142_1343:
	s_mov_b32 s36, 0
.LBB142_1344:
	s_delay_alu instid0(SALU_CYCLE_1)
	s_and_b32 vcc_lo, exec_lo, s36
	s_cbranch_vccz .LBB142_1379
; %bb.1345:
	s_cmp_gt_i32 s0, 22
	s_cbranch_scc0 .LBB142_1355
; %bb.1346:
	s_cmp_lt_i32 s0, 24
	s_cbranch_scc1 .LBB142_1358
; %bb.1347:
	s_cmp_gt_i32 s0, 24
	s_cbranch_scc0 .LBB142_1359
; %bb.1348:
	global_load_u8 v8, v[4:5], off
	s_mov_b32 s35, 0
	s_mov_b32 s36, exec_lo
	s_wait_loadcnt 0x0
	v_cmpx_lt_i16_e32 0x7f, v8
	s_xor_b32 s36, exec_lo, s36
	s_cbranch_execz .LBB142_1371
; %bb.1349:
	s_mov_b32 s35, -1
	s_mov_b32 s37, exec_lo
	v_cmpx_eq_u16_e32 0x80, v8
; %bb.1350:
	s_xor_b32 s35, exec_lo, -1
; %bb.1351:
	s_or_b32 exec_lo, exec_lo, s37
	s_delay_alu instid0(SALU_CYCLE_1)
	s_and_b32 s35, s35, exec_lo
	s_or_saveexec_b32 s36, s36
	v_mov_b64_e32 v[6:7], 0x7ff8000020000000
	s_xor_b32 exec_lo, exec_lo, s36
	s_cbranch_execnz .LBB142_1372
.LBB142_1352:
	s_or_b32 exec_lo, exec_lo, s36
	s_and_saveexec_b32 s36, s35
	s_cbranch_execz .LBB142_1354
.LBB142_1353:
	v_and_b32_e32 v6, 0xffff, v8
	s_delay_alu instid0(VALU_DEP_1) | instskip(SKIP_1) | instid1(VALU_DEP_2)
	v_and_b32_e32 v7, 3, v6
	v_bfe_u32 v11, v6, 2, 5
	v_clz_i32_u32_e32 v9, v7
	s_delay_alu instid0(VALU_DEP_2) | instskip(NEXT) | instid1(VALU_DEP_2)
	v_cmp_eq_u32_e32 vcc_lo, 0, v11
	v_min_u32_e32 v9, 32, v9
	s_delay_alu instid0(VALU_DEP_1) | instskip(NEXT) | instid1(VALU_DEP_1)
	v_subrev_nc_u32_e32 v10, 29, v9
	v_dual_lshlrev_b32 v6, v10, v6 :: v_dual_sub_nc_u32 v9, 30, v9
	s_delay_alu instid0(VALU_DEP_1) | instskip(NEXT) | instid1(VALU_DEP_2)
	v_dual_lshlrev_b32 v8, 24, v8 :: v_dual_bitop2_b32 v6, 3, v6 bitop3:0x40
	v_cndmask_b32_e32 v9, v11, v9, vcc_lo
	s_delay_alu instid0(VALU_DEP_2) | instskip(NEXT) | instid1(VALU_DEP_3)
	v_cndmask_b32_e32 v6, v7, v6, vcc_lo
	v_and_b32_e32 v7, 0x80000000, v8
	s_delay_alu instid0(VALU_DEP_3) | instskip(NEXT) | instid1(VALU_DEP_3)
	v_lshl_add_u32 v8, v9, 23, 0x37800000
	v_lshlrev_b32_e32 v6, 21, v6
	s_delay_alu instid0(VALU_DEP_1) | instskip(NEXT) | instid1(VALU_DEP_1)
	v_or3_b32 v6, v7, v8, v6
	v_cvt_f64_f32_e32 v[6:7], v6
.LBB142_1354:
	s_or_b32 exec_lo, exec_lo, s36
	s_mov_b32 s35, 0
	s_branch .LBB142_1360
.LBB142_1355:
	s_mov_b32 s36, -1
                                        ; implicit-def: $vgpr6_vgpr7
	s_branch .LBB142_1366
.LBB142_1356:
	s_or_saveexec_b32 s36, s36
	v_mov_b64_e32 v[6:7], 0x7ff8000020000000
	s_xor_b32 exec_lo, exec_lo, s36
	s_cbranch_execz .LBB142_1339
.LBB142_1357:
	v_cmp_ne_u16_e32 vcc_lo, 0, v8
	v_mov_b64_e32 v[6:7], 0
	s_and_not1_b32 s35, s35, exec_lo
	s_and_b32 s37, vcc_lo, exec_lo
	s_delay_alu instid0(SALU_CYCLE_1)
	s_or_b32 s35, s35, s37
	s_or_b32 exec_lo, exec_lo, s36
	s_and_saveexec_b32 s36, s35
	s_cbranch_execnz .LBB142_1340
	s_branch .LBB142_1341
.LBB142_1358:
	s_mov_b32 s35, -1
                                        ; implicit-def: $vgpr6_vgpr7
	s_branch .LBB142_1363
.LBB142_1359:
	s_mov_b32 s35, -1
                                        ; implicit-def: $vgpr6_vgpr7
.LBB142_1360:
	s_delay_alu instid0(SALU_CYCLE_1)
	s_and_b32 vcc_lo, exec_lo, s35
	s_cbranch_vccz .LBB142_1362
; %bb.1361:
	global_load_u8 v6, v[4:5], off
	s_wait_loadcnt 0x0
	v_lshlrev_b32_e32 v6, 24, v6
	s_delay_alu instid0(VALU_DEP_1) | instskip(NEXT) | instid1(VALU_DEP_1)
	v_and_b32_e32 v7, 0x7f000000, v6
	v_clz_i32_u32_e32 v8, v7
	v_cmp_ne_u32_e32 vcc_lo, 0, v7
	v_add_nc_u32_e32 v10, 0x1000000, v7
	s_delay_alu instid0(VALU_DEP_3) | instskip(NEXT) | instid1(VALU_DEP_1)
	v_min_u32_e32 v8, 32, v8
	v_sub_nc_u32_e64 v8, v8, 4 clamp
	s_delay_alu instid0(VALU_DEP_1) | instskip(NEXT) | instid1(VALU_DEP_1)
	v_dual_lshlrev_b32 v9, v8, v7 :: v_dual_lshlrev_b32 v8, 23, v8
	v_lshrrev_b32_e32 v9, 4, v9
	s_delay_alu instid0(VALU_DEP_1) | instskip(NEXT) | instid1(VALU_DEP_1)
	v_dual_sub_nc_u32 v8, v9, v8 :: v_dual_ashrrev_i32 v9, 8, v10
	v_add_nc_u32_e32 v8, 0x3c000000, v8
	s_delay_alu instid0(VALU_DEP_1) | instskip(NEXT) | instid1(VALU_DEP_1)
	v_and_or_b32 v8, 0x7f800000, v9, v8
	v_cndmask_b32_e32 v7, 0, v8, vcc_lo
	s_delay_alu instid0(VALU_DEP_1) | instskip(NEXT) | instid1(VALU_DEP_1)
	v_and_or_b32 v6, 0x80000000, v6, v7
	v_cvt_f64_f32_e32 v[6:7], v6
.LBB142_1362:
	s_mov_b32 s35, 0
.LBB142_1363:
	s_delay_alu instid0(SALU_CYCLE_1)
	s_and_not1_b32 vcc_lo, exec_lo, s35
	s_cbranch_vccnz .LBB142_1365
; %bb.1364:
	global_load_u8 v6, v[4:5], off
	s_wait_loadcnt 0x0
	v_lshlrev_b32_e32 v7, 25, v6
	v_lshlrev_b16 v6, 8, v6
	s_delay_alu instid0(VALU_DEP_1) | instskip(SKIP_1) | instid1(VALU_DEP_2)
	v_and_or_b32 v9, 0x7f00, v6, 0.5
	v_bfe_i32 v6, v6, 0, 16
	v_dual_add_f32 v9, -0.5, v9 :: v_dual_lshrrev_b32 v8, 4, v7
	v_cmp_gt_u32_e32 vcc_lo, 0x8000000, v7
	s_delay_alu instid0(VALU_DEP_2) | instskip(NEXT) | instid1(VALU_DEP_1)
	v_or_b32_e32 v8, 0x70000000, v8
	v_mul_f32_e32 v8, 0x7800000, v8
	s_delay_alu instid0(VALU_DEP_1) | instskip(NEXT) | instid1(VALU_DEP_1)
	v_cndmask_b32_e32 v7, v8, v9, vcc_lo
	v_and_or_b32 v6, 0x80000000, v6, v7
	s_delay_alu instid0(VALU_DEP_1)
	v_cvt_f64_f32_e32 v[6:7], v6
.LBB142_1365:
	s_mov_b32 s36, 0
	s_mov_b32 s35, -1
.LBB142_1366:
	s_and_not1_b32 vcc_lo, exec_lo, s36
	s_cbranch_vccnz .LBB142_1379
; %bb.1367:
	s_cmp_gt_i32 s0, 14
	s_cbranch_scc0 .LBB142_1370
; %bb.1368:
	s_cmp_eq_u32 s0, 15
	s_cbranch_scc0 .LBB142_1373
; %bb.1369:
	global_load_u16 v6, v[4:5], off
	s_mov_b32 s35, -1
	s_mov_b32 s34, 0
	s_wait_loadcnt 0x0
	v_lshlrev_b32_e32 v6, 16, v6
	s_delay_alu instid0(VALU_DEP_1)
	v_cvt_f64_f32_e32 v[6:7], v6
	s_branch .LBB142_1374
.LBB142_1370:
	s_mov_b32 s36, -1
                                        ; implicit-def: $vgpr6_vgpr7
	s_branch .LBB142_1375
.LBB142_1371:
	s_or_saveexec_b32 s36, s36
	v_mov_b64_e32 v[6:7], 0x7ff8000020000000
	s_xor_b32 exec_lo, exec_lo, s36
	s_cbranch_execz .LBB142_1352
.LBB142_1372:
	v_cmp_ne_u16_e32 vcc_lo, 0, v8
	v_mov_b64_e32 v[6:7], 0
	s_and_not1_b32 s35, s35, exec_lo
	s_and_b32 s37, vcc_lo, exec_lo
	s_delay_alu instid0(SALU_CYCLE_1)
	s_or_b32 s35, s35, s37
	s_or_b32 exec_lo, exec_lo, s36
	s_and_saveexec_b32 s36, s35
	s_cbranch_execnz .LBB142_1353
	s_branch .LBB142_1354
.LBB142_1373:
	s_mov_b32 s34, -1
                                        ; implicit-def: $vgpr6_vgpr7
.LBB142_1374:
	s_mov_b32 s36, 0
.LBB142_1375:
	s_delay_alu instid0(SALU_CYCLE_1)
	s_and_b32 vcc_lo, exec_lo, s36
	s_cbranch_vccz .LBB142_1379
; %bb.1376:
	s_cmp_eq_u32 s0, 11
	s_cbranch_scc0 .LBB142_1378
; %bb.1377:
	global_load_u8 v6, v[4:5], off
	s_mov_b32 s34, 0
	s_mov_b32 s35, -1
	s_wait_loadcnt 0x0
	v_cmp_ne_u16_e32 vcc_lo, 0, v6
	v_mov_b32_e32 v6, 0
	v_cndmask_b32_e64 v7, 0, 0x3ff00000, vcc_lo
	s_branch .LBB142_1379
.LBB142_1378:
	s_mov_b32 s34, -1
                                        ; implicit-def: $vgpr6_vgpr7
.LBB142_1379:
	s_mov_b32 s36, 0
.LBB142_1380:
	s_delay_alu instid0(SALU_CYCLE_1)
	s_and_b32 vcc_lo, exec_lo, s36
	s_cbranch_vccz .LBB142_1429
; %bb.1381:
	s_cmp_lt_i32 s0, 5
	s_cbranch_scc1 .LBB142_1386
; %bb.1382:
	s_cmp_lt_i32 s0, 8
	s_cbranch_scc1 .LBB142_1387
	;; [unrolled: 3-line block ×3, first 2 shown]
; %bb.1384:
	s_cmp_gt_i32 s0, 9
	s_cbranch_scc0 .LBB142_1389
; %bb.1385:
	global_load_b64 v[6:7], v[4:5], off
	s_mov_b32 s35, 0
	s_branch .LBB142_1390
.LBB142_1386:
	s_mov_b32 s35, -1
                                        ; implicit-def: $vgpr6_vgpr7
	s_branch .LBB142_1408
.LBB142_1387:
	s_mov_b32 s35, -1
                                        ; implicit-def: $vgpr6_vgpr7
	s_branch .LBB142_1396
.LBB142_1388:
	s_mov_b32 s35, -1
                                        ; implicit-def: $vgpr6_vgpr7
	s_branch .LBB142_1393
.LBB142_1389:
	s_mov_b32 s35, -1
                                        ; implicit-def: $vgpr6_vgpr7
.LBB142_1390:
	s_delay_alu instid0(SALU_CYCLE_1)
	s_and_not1_b32 vcc_lo, exec_lo, s35
	s_cbranch_vccnz .LBB142_1392
; %bb.1391:
	s_wait_loadcnt 0x0
	global_load_b32 v6, v[4:5], off
	s_wait_loadcnt 0x0
	v_cvt_f64_f32_e32 v[6:7], v6
.LBB142_1392:
	s_mov_b32 s35, 0
.LBB142_1393:
	s_delay_alu instid0(SALU_CYCLE_1)
	s_and_not1_b32 vcc_lo, exec_lo, s35
	s_cbranch_vccnz .LBB142_1395
; %bb.1394:
	s_wait_loadcnt 0x0
	global_load_b32 v6, v[4:5], off
	s_wait_loadcnt 0x0
	v_cvt_f32_f16_e32 v6, v6
	s_delay_alu instid0(VALU_DEP_1)
	v_cvt_f64_f32_e32 v[6:7], v6
.LBB142_1395:
	s_mov_b32 s35, 0
.LBB142_1396:
	s_delay_alu instid0(SALU_CYCLE_1)
	s_and_not1_b32 vcc_lo, exec_lo, s35
	s_cbranch_vccnz .LBB142_1407
; %bb.1397:
	s_cmp_lt_i32 s0, 6
	s_cbranch_scc1 .LBB142_1400
; %bb.1398:
	s_cmp_gt_i32 s0, 6
	s_cbranch_scc0 .LBB142_1401
; %bb.1399:
	s_wait_loadcnt 0x0
	global_load_b64 v[6:7], v[4:5], off
	s_mov_b32 s35, 0
	s_branch .LBB142_1402
.LBB142_1400:
	s_mov_b32 s35, -1
                                        ; implicit-def: $vgpr6_vgpr7
	s_branch .LBB142_1405
.LBB142_1401:
	s_mov_b32 s35, -1
                                        ; implicit-def: $vgpr6_vgpr7
.LBB142_1402:
	s_delay_alu instid0(SALU_CYCLE_1)
	s_and_not1_b32 vcc_lo, exec_lo, s35
	s_cbranch_vccnz .LBB142_1404
; %bb.1403:
	s_wait_loadcnt 0x0
	global_load_b32 v6, v[4:5], off
	s_wait_loadcnt 0x0
	v_cvt_f64_f32_e32 v[6:7], v6
.LBB142_1404:
	s_mov_b32 s35, 0
.LBB142_1405:
	s_delay_alu instid0(SALU_CYCLE_1)
	s_and_not1_b32 vcc_lo, exec_lo, s35
	s_cbranch_vccnz .LBB142_1407
; %bb.1406:
	s_wait_loadcnt 0x0
	global_load_u16 v6, v[4:5], off
	s_wait_loadcnt 0x0
	v_cvt_f32_f16_e32 v6, v6
	s_delay_alu instid0(VALU_DEP_1)
	v_cvt_f64_f32_e32 v[6:7], v6
.LBB142_1407:
	s_mov_b32 s35, 0
.LBB142_1408:
	s_delay_alu instid0(SALU_CYCLE_1)
	s_and_not1_b32 vcc_lo, exec_lo, s35
	s_cbranch_vccnz .LBB142_1428
; %bb.1409:
	s_cmp_lt_i32 s0, 2
	s_cbranch_scc1 .LBB142_1413
; %bb.1410:
	s_cmp_lt_i32 s0, 3
	s_cbranch_scc1 .LBB142_1414
; %bb.1411:
	s_cmp_gt_i32 s0, 3
	s_cbranch_scc0 .LBB142_1415
; %bb.1412:
	s_wait_loadcnt 0x0
	global_load_b64 v[6:7], v[4:5], off
	s_mov_b32 s35, 0
	s_wait_loadcnt 0x0
	v_cvt_f64_i32_e32 v[8:9], v7
	v_cvt_f64_u32_e32 v[6:7], v6
	s_delay_alu instid0(VALU_DEP_2) | instskip(NEXT) | instid1(VALU_DEP_1)
	v_ldexp_f64 v[8:9], v[8:9], 32
	v_add_f64_e32 v[6:7], v[8:9], v[6:7]
	s_branch .LBB142_1416
.LBB142_1413:
	s_mov_b32 s35, -1
                                        ; implicit-def: $vgpr6_vgpr7
	s_branch .LBB142_1422
.LBB142_1414:
	s_mov_b32 s35, -1
                                        ; implicit-def: $vgpr6_vgpr7
	s_branch .LBB142_1419
.LBB142_1415:
	s_mov_b32 s35, -1
                                        ; implicit-def: $vgpr6_vgpr7
.LBB142_1416:
	s_delay_alu instid0(SALU_CYCLE_1)
	s_and_not1_b32 vcc_lo, exec_lo, s35
	s_cbranch_vccnz .LBB142_1418
; %bb.1417:
	s_wait_loadcnt 0x0
	global_load_b32 v6, v[4:5], off
	s_wait_loadcnt 0x0
	v_cvt_f64_i32_e32 v[6:7], v6
.LBB142_1418:
	s_mov_b32 s35, 0
.LBB142_1419:
	s_delay_alu instid0(SALU_CYCLE_1)
	s_and_not1_b32 vcc_lo, exec_lo, s35
	s_cbranch_vccnz .LBB142_1421
; %bb.1420:
	s_wait_loadcnt 0x0
	global_load_i16 v6, v[4:5], off
	s_wait_loadcnt 0x0
	v_cvt_f64_i32_e32 v[6:7], v6
.LBB142_1421:
	s_mov_b32 s35, 0
.LBB142_1422:
	s_delay_alu instid0(SALU_CYCLE_1)
	s_and_not1_b32 vcc_lo, exec_lo, s35
	s_cbranch_vccnz .LBB142_1428
; %bb.1423:
	s_cmp_gt_i32 s0, 0
	s_mov_b32 s0, 0
	s_cbranch_scc0 .LBB142_1425
; %bb.1424:
	s_wait_loadcnt 0x0
	global_load_i8 v6, v[4:5], off
	s_wait_loadcnt 0x0
	v_cvt_f64_i32_e32 v[6:7], v6
	s_branch .LBB142_1426
.LBB142_1425:
	s_mov_b32 s0, -1
                                        ; implicit-def: $vgpr6_vgpr7
.LBB142_1426:
	s_delay_alu instid0(SALU_CYCLE_1)
	s_and_not1_b32 vcc_lo, exec_lo, s0
	s_cbranch_vccnz .LBB142_1428
; %bb.1427:
	global_load_u8 v4, v[4:5], off
	s_wait_loadcnt 0x0
	v_cvt_f64_u32_e32 v[6:7], v4
.LBB142_1428:
	s_mov_b32 s35, -1
.LBB142_1429:
	s_delay_alu instid0(SALU_CYCLE_1)
	s_and_not1_b32 vcc_lo, exec_lo, s35
	s_cbranch_vccnz .LBB142_1437
; %bb.1430:
	s_wait_loadcnt 0x0
	s_delay_alu instid0(VALU_DEP_4) | instskip(SKIP_1) | instid1(VALU_DEP_3)
	v_max_num_f64_e32 v[4:5], v[2:3], v[2:3]
	v_max_num_f64_e32 v[8:9], v[0:1], v[0:1]
	;; [unrolled: 1-line block ×3, first 2 shown]
	v_cmp_u_f64_e32 vcc_lo, v[6:7], v[6:7]
	s_and_b32 s35, s2, 0xff
	s_delay_alu instid0(SALU_CYCLE_1) | instskip(NEXT) | instid1(VALU_DEP_3)
	s_cmp_lt_i32 s35, 11
	v_max_num_f64_e32 v[4:5], v[8:9], v[4:5]
	s_delay_alu instid0(VALU_DEP_1) | instskip(NEXT) | instid1(VALU_DEP_1)
	v_min_num_f64_e32 v[4:5], v[4:5], v[10:11]
	v_dual_cndmask_b32 v5, v5, v7 :: v_dual_cndmask_b32 v4, v4, v6
	v_cmp_u_f64_e32 vcc_lo, v[2:3], v[2:3]
	s_delay_alu instid0(VALU_DEP_2) | instskip(SKIP_2) | instid1(VALU_DEP_1)
	v_dual_cndmask_b32 v6, v4, v2 :: v_dual_cndmask_b32 v7, v5, v3
	v_cmp_u_f64_e32 vcc_lo, v[0:1], v[0:1]
	v_mul_lo_u32 v2, v26, s12
	v_ashrrev_i32_e32 v3, 31, v2
	s_delay_alu instid0(VALU_DEP_1)
	v_add_nc_u64_e32 v[4:5], s[4:5], v[2:3]
	v_dual_cndmask_b32 v1, v7, v1 :: v_dual_cndmask_b32 v0, v6, v0
	s_cbranch_scc1 .LBB142_1438
; %bb.1431:
	s_and_b32 s36, 0xffff, s35
	s_delay_alu instid0(SALU_CYCLE_1)
	s_cmp_gt_i32 s36, 25
	s_cbranch_scc0 .LBB142_1439
; %bb.1432:
	s_cmp_gt_i32 s36, 28
	s_cbranch_scc0 .LBB142_1440
; %bb.1433:
	;; [unrolled: 3-line block ×4, first 2 shown]
	s_mov_b32 s38, 0
	s_mov_b32 s0, -1
	s_cmp_eq_u32 s36, 46
	s_mov_b32 s37, 0
	s_cbranch_scc0 .LBB142_1443
; %bb.1436:
	v_cvt_f32_f64_e32 v2, v[0:1]
	s_mov_b32 s37, -1
	s_mov_b32 s0, 0
	s_delay_alu instid0(VALU_DEP_1) | instskip(SKIP_1) | instid1(VALU_DEP_2)
	v_bfe_u32 v3, v2, 16, 1
	v_cmp_o_f32_e32 vcc_lo, v2, v2
	v_add3_u32 v3, v2, v3, 0x7fff
	s_delay_alu instid0(VALU_DEP_1) | instskip(NEXT) | instid1(VALU_DEP_1)
	v_lshrrev_b32_e32 v3, 16, v3
	v_cndmask_b32_e32 v2, 0x7fc0, v3, vcc_lo
	global_store_b32 v[4:5], v2, off
	s_branch .LBB142_1443
.LBB142_1437:
	s_mov_b32 s36, 0
	s_mov_b32 s0, s26
	s_branch .LBB142_1554
.LBB142_1438:
	s_mov_b32 s36, -1
	s_mov_b32 s37, 0
	s_mov_b32 s0, s26
	s_branch .LBB142_1512
.LBB142_1439:
	s_mov_b32 s38, -1
	s_mov_b32 s37, 0
	s_mov_b32 s0, s26
	s_branch .LBB142_1470
.LBB142_1440:
	s_mov_b32 s38, -1
	s_mov_b32 s37, 0
	s_mov_b32 s0, s26
	s_branch .LBB142_1453
.LBB142_1441:
	s_mov_b32 s38, -1
	s_mov_b32 s37, 0
	s_mov_b32 s0, s26
	s_branch .LBB142_1449
.LBB142_1442:
	s_mov_b32 s38, -1
	s_mov_b32 s37, 0
	s_mov_b32 s0, s26
.LBB142_1443:
	s_and_b32 vcc_lo, exec_lo, s38
	s_cbranch_vccz .LBB142_1448
; %bb.1444:
	s_cmp_eq_u32 s36, 44
	s_mov_b32 s0, -1
	s_cbranch_scc0 .LBB142_1448
; %bb.1445:
	s_wait_xcnt 0x0
	v_cvt_f32_f64_e32 v2, v[0:1]
	v_mov_b32_e32 v3, 0xff
	s_mov_b32 s37, exec_lo
	s_delay_alu instid0(VALU_DEP_2) | instskip(NEXT) | instid1(VALU_DEP_1)
	v_bfe_u32 v6, v2, 23, 8
	v_cmpx_ne_u32_e32 0xff, v6
	s_cbranch_execz .LBB142_1447
; %bb.1446:
	v_and_b32_e32 v3, 0x400000, v2
	v_and_or_b32 v6, 0x3fffff, v2, v6
	v_lshrrev_b32_e32 v2, 23, v2
	s_delay_alu instid0(VALU_DEP_3) | instskip(NEXT) | instid1(VALU_DEP_3)
	v_cmp_ne_u32_e32 vcc_lo, 0, v3
	v_cmp_ne_u32_e64 s0, 0, v6
	s_and_b32 s0, vcc_lo, s0
	s_delay_alu instid0(SALU_CYCLE_1) | instskip(NEXT) | instid1(VALU_DEP_1)
	v_cndmask_b32_e64 v3, 0, 1, s0
	v_add_nc_u32_e32 v3, v2, v3
.LBB142_1447:
	s_or_b32 exec_lo, exec_lo, s37
	s_mov_b32 s37, -1
	s_mov_b32 s0, 0
	global_store_b8 v[4:5], v3, off
.LBB142_1448:
	s_mov_b32 s38, 0
.LBB142_1449:
	s_delay_alu instid0(SALU_CYCLE_1)
	s_and_b32 vcc_lo, exec_lo, s38
	s_cbranch_vccz .LBB142_1452
; %bb.1450:
	s_cmp_eq_u32 s36, 29
	s_mov_b32 s0, -1
	s_cbranch_scc0 .LBB142_1452
; %bb.1451:
	s_wait_xcnt 0x0
	v_trunc_f64_e32 v[2:3], v[0:1]
	s_mov_b32 s37, -1
	s_mov_b32 s0, 0
	s_mov_b32 s38, 0
	s_delay_alu instid0(VALU_DEP_1) | instskip(NEXT) | instid1(VALU_DEP_1)
	v_ldexp_f64 v[6:7], v[2:3], 0xffffffe0
	v_floor_f64_e32 v[6:7], v[6:7]
	s_delay_alu instid0(VALU_DEP_1) | instskip(SKIP_1) | instid1(VALU_DEP_2)
	v_fmamk_f64 v[2:3], v[6:7], 0xc1f00000, v[2:3]
	v_cvt_u32_f64_e32 v7, v[6:7]
	v_cvt_u32_f64_e32 v6, v[2:3]
	global_store_b64 v[4:5], v[6:7], off
	s_branch .LBB142_1453
.LBB142_1452:
	s_mov_b32 s38, 0
.LBB142_1453:
	s_delay_alu instid0(SALU_CYCLE_1)
	s_and_b32 vcc_lo, exec_lo, s38
	s_cbranch_vccz .LBB142_1469
; %bb.1454:
	s_cmp_lt_i32 s36, 27
	s_mov_b32 s37, -1
	s_cbranch_scc1 .LBB142_1460
; %bb.1455:
	s_wait_xcnt 0x0
	v_cvt_u32_f64_e32 v2, v[0:1]
	s_cmp_gt_i32 s36, 27
	s_cbranch_scc0 .LBB142_1457
; %bb.1456:
	s_mov_b32 s37, 0
	global_store_b32 v[4:5], v2, off
.LBB142_1457:
	s_and_not1_b32 vcc_lo, exec_lo, s37
	s_cbranch_vccnz .LBB142_1459
; %bb.1458:
	global_store_b16 v[4:5], v2, off
.LBB142_1459:
	s_mov_b32 s37, 0
.LBB142_1460:
	s_delay_alu instid0(SALU_CYCLE_1)
	s_and_not1_b32 vcc_lo, exec_lo, s37
	s_cbranch_vccnz .LBB142_1468
; %bb.1461:
	s_wait_xcnt 0x0
	v_cvt_f32_f64_e32 v2, v[0:1]
	v_mov_b32_e32 v6, 0x80
	s_mov_b32 s37, exec_lo
	s_delay_alu instid0(VALU_DEP_2) | instskip(NEXT) | instid1(VALU_DEP_1)
	v_and_b32_e32 v3, 0x7fffffff, v2
	v_cmpx_gt_u32_e32 0x43800000, v3
	s_cbranch_execz .LBB142_1467
; %bb.1462:
	v_cmp_lt_u32_e32 vcc_lo, 0x3bffffff, v3
	s_mov_b32 s38, 0
                                        ; implicit-def: $vgpr3
	s_and_saveexec_b32 s39, vcc_lo
	s_delay_alu instid0(SALU_CYCLE_1)
	s_xor_b32 s39, exec_lo, s39
	s_cbranch_execz .LBB142_2724
; %bb.1463:
	v_bfe_u32 v3, v2, 20, 1
	s_mov_b32 s38, exec_lo
	s_delay_alu instid0(VALU_DEP_1) | instskip(NEXT) | instid1(VALU_DEP_1)
	v_add3_u32 v3, v2, v3, 0x487ffff
	v_lshrrev_b32_e32 v3, 20, v3
	s_and_not1_saveexec_b32 s39, s39
	s_cbranch_execnz .LBB142_2725
.LBB142_1464:
	s_or_b32 exec_lo, exec_lo, s39
	v_mov_b32_e32 v6, 0
	s_and_saveexec_b32 s39, s38
.LBB142_1465:
	v_lshrrev_b32_e32 v2, 24, v2
	s_delay_alu instid0(VALU_DEP_1)
	v_and_or_b32 v6, 0x80, v2, v3
.LBB142_1466:
	s_or_b32 exec_lo, exec_lo, s39
.LBB142_1467:
	s_delay_alu instid0(SALU_CYCLE_1)
	s_or_b32 exec_lo, exec_lo, s37
	global_store_b8 v[4:5], v6, off
.LBB142_1468:
	s_mov_b32 s37, -1
.LBB142_1469:
	s_mov_b32 s38, 0
.LBB142_1470:
	s_delay_alu instid0(SALU_CYCLE_1)
	s_and_b32 vcc_lo, exec_lo, s38
	s_cbranch_vccz .LBB142_1511
; %bb.1471:
	s_cmp_gt_i32 s36, 22
	s_mov_b32 s38, -1
	s_cbranch_scc0 .LBB142_1503
; %bb.1472:
	s_cmp_lt_i32 s36, 24
	s_mov_b32 s37, -1
	s_cbranch_scc1 .LBB142_1492
; %bb.1473:
	s_cmp_gt_i32 s36, 24
	s_cbranch_scc0 .LBB142_1481
; %bb.1474:
	s_wait_xcnt 0x0
	v_cvt_f32_f64_e32 v2, v[0:1]
	v_mov_b32_e32 v6, 0x80
	s_mov_b32 s37, exec_lo
	s_delay_alu instid0(VALU_DEP_2) | instskip(NEXT) | instid1(VALU_DEP_1)
	v_and_b32_e32 v3, 0x7fffffff, v2
	v_cmpx_gt_u32_e32 0x47800000, v3
	s_cbranch_execz .LBB142_1480
; %bb.1475:
	v_cmp_lt_u32_e32 vcc_lo, 0x37ffffff, v3
	s_mov_b32 s38, 0
                                        ; implicit-def: $vgpr3
	s_and_saveexec_b32 s39, vcc_lo
	s_delay_alu instid0(SALU_CYCLE_1)
	s_xor_b32 s39, exec_lo, s39
	s_cbranch_execz .LBB142_2857
; %bb.1476:
	v_bfe_u32 v3, v2, 21, 1
	s_mov_b32 s38, exec_lo
	s_delay_alu instid0(VALU_DEP_1) | instskip(NEXT) | instid1(VALU_DEP_1)
	v_add3_u32 v3, v2, v3, 0x88fffff
	v_lshrrev_b32_e32 v3, 21, v3
	s_and_not1_saveexec_b32 s39, s39
	s_cbranch_execnz .LBB142_2858
.LBB142_1477:
	s_or_b32 exec_lo, exec_lo, s39
	v_mov_b32_e32 v6, 0
	s_and_saveexec_b32 s39, s38
.LBB142_1478:
	v_lshrrev_b32_e32 v2, 24, v2
	s_delay_alu instid0(VALU_DEP_1)
	v_and_or_b32 v6, 0x80, v2, v3
.LBB142_1479:
	s_or_b32 exec_lo, exec_lo, s39
.LBB142_1480:
	s_delay_alu instid0(SALU_CYCLE_1)
	s_or_b32 exec_lo, exec_lo, s37
	s_mov_b32 s37, 0
	global_store_b8 v[4:5], v6, off
.LBB142_1481:
	s_and_b32 vcc_lo, exec_lo, s37
	s_cbranch_vccz .LBB142_1491
; %bb.1482:
	s_wait_xcnt 0x0
	v_cvt_f32_f64_e32 v2, v[0:1]
	s_mov_b32 s37, exec_lo
                                        ; implicit-def: $vgpr3
	s_delay_alu instid0(VALU_DEP_1) | instskip(NEXT) | instid1(VALU_DEP_1)
	v_and_b32_e32 v6, 0x7fffffff, v2
	v_cmpx_gt_u32_e32 0x43f00000, v6
	s_xor_b32 s37, exec_lo, s37
	s_cbranch_execz .LBB142_1488
; %bb.1483:
	s_mov_b32 s38, exec_lo
                                        ; implicit-def: $vgpr3
	v_cmpx_lt_u32_e32 0x3c7fffff, v6
	s_xor_b32 s38, exec_lo, s38
; %bb.1484:
	v_bfe_u32 v3, v2, 20, 1
	s_delay_alu instid0(VALU_DEP_1) | instskip(NEXT) | instid1(VALU_DEP_1)
	v_add3_u32 v3, v2, v3, 0x407ffff
	v_and_b32_e32 v6, 0xff00000, v3
	v_lshrrev_b32_e32 v3, 20, v3
	s_delay_alu instid0(VALU_DEP_2) | instskip(NEXT) | instid1(VALU_DEP_2)
	v_cmp_ne_u32_e32 vcc_lo, 0x7f00000, v6
	v_cndmask_b32_e32 v3, 0x7e, v3, vcc_lo
; %bb.1485:
	s_and_not1_saveexec_b32 s38, s38
; %bb.1486:
	v_add_f32_e64 v3, 0x46800000, |v2|
; %bb.1487:
	s_or_b32 exec_lo, exec_lo, s38
                                        ; implicit-def: $vgpr6
.LBB142_1488:
	s_and_not1_saveexec_b32 s37, s37
; %bb.1489:
	v_mov_b32_e32 v3, 0x7f
	v_cmp_lt_u32_e32 vcc_lo, 0x7f800000, v6
	s_delay_alu instid0(VALU_DEP_2)
	v_cndmask_b32_e32 v3, 0x7e, v3, vcc_lo
; %bb.1490:
	s_or_b32 exec_lo, exec_lo, s37
	v_lshrrev_b32_e32 v2, 24, v2
	s_delay_alu instid0(VALU_DEP_1)
	v_and_or_b32 v2, 0x80, v2, v3
	global_store_b8 v[4:5], v2, off
.LBB142_1491:
	s_mov_b32 s37, 0
.LBB142_1492:
	s_delay_alu instid0(SALU_CYCLE_1)
	s_and_not1_b32 vcc_lo, exec_lo, s37
	s_cbranch_vccnz .LBB142_1502
; %bb.1493:
	s_wait_xcnt 0x0
	v_cvt_f32_f64_e32 v2, v[0:1]
	s_mov_b32 s37, exec_lo
                                        ; implicit-def: $vgpr3
	s_delay_alu instid0(VALU_DEP_1) | instskip(NEXT) | instid1(VALU_DEP_1)
	v_and_b32_e32 v6, 0x7fffffff, v2
	v_cmpx_gt_u32_e32 0x47800000, v6
	s_xor_b32 s37, exec_lo, s37
	s_cbranch_execz .LBB142_1499
; %bb.1494:
	s_mov_b32 s38, exec_lo
                                        ; implicit-def: $vgpr3
	v_cmpx_lt_u32_e32 0x387fffff, v6
	s_xor_b32 s38, exec_lo, s38
; %bb.1495:
	v_bfe_u32 v3, v2, 21, 1
	s_delay_alu instid0(VALU_DEP_1) | instskip(NEXT) | instid1(VALU_DEP_1)
	v_add3_u32 v3, v2, v3, 0x80fffff
	v_lshrrev_b32_e32 v3, 21, v3
; %bb.1496:
	s_and_not1_saveexec_b32 s38, s38
; %bb.1497:
	v_add_f32_e64 v3, 0x43000000, |v2|
; %bb.1498:
	s_or_b32 exec_lo, exec_lo, s38
                                        ; implicit-def: $vgpr6
.LBB142_1499:
	s_and_not1_saveexec_b32 s37, s37
; %bb.1500:
	v_mov_b32_e32 v3, 0x7f
	v_cmp_lt_u32_e32 vcc_lo, 0x7f800000, v6
	s_delay_alu instid0(VALU_DEP_2)
	v_cndmask_b32_e32 v3, 0x7c, v3, vcc_lo
; %bb.1501:
	s_or_b32 exec_lo, exec_lo, s37
	v_lshrrev_b32_e32 v2, 24, v2
	s_delay_alu instid0(VALU_DEP_1)
	v_and_or_b32 v2, 0x80, v2, v3
	global_store_b8 v[4:5], v2, off
.LBB142_1502:
	s_mov_b32 s38, 0
	s_mov_b32 s37, -1
.LBB142_1503:
	s_and_not1_b32 vcc_lo, exec_lo, s38
	s_cbranch_vccnz .LBB142_1511
; %bb.1504:
	s_cmp_gt_i32 s36, 14
	s_mov_b32 s38, -1
	s_cbranch_scc0 .LBB142_1508
; %bb.1505:
	s_cmp_eq_u32 s36, 15
	s_mov_b32 s0, -1
	s_cbranch_scc0 .LBB142_1507
; %bb.1506:
	s_wait_xcnt 0x0
	v_cvt_f32_f64_e32 v2, v[0:1]
	s_mov_b32 s37, -1
	s_mov_b32 s0, 0
	s_delay_alu instid0(VALU_DEP_1) | instskip(SKIP_1) | instid1(VALU_DEP_2)
	v_bfe_u32 v3, v2, 16, 1
	v_cmp_o_f32_e32 vcc_lo, v2, v2
	v_add3_u32 v3, v2, v3, 0x7fff
	s_delay_alu instid0(VALU_DEP_1) | instskip(NEXT) | instid1(VALU_DEP_1)
	v_lshrrev_b32_e32 v3, 16, v3
	v_cndmask_b32_e32 v2, 0x7fc0, v3, vcc_lo
	global_store_b16 v[4:5], v2, off
.LBB142_1507:
	s_mov_b32 s38, 0
.LBB142_1508:
	s_delay_alu instid0(SALU_CYCLE_1)
	s_and_b32 vcc_lo, exec_lo, s38
	s_cbranch_vccz .LBB142_1511
; %bb.1509:
	s_cmp_eq_u32 s36, 11
	s_mov_b32 s0, -1
	s_cbranch_scc0 .LBB142_1511
; %bb.1510:
	v_cmp_neq_f64_e32 vcc_lo, 0, v[0:1]
	s_mov_b32 s37, -1
	s_mov_b32 s0, 0
	s_wait_xcnt 0x0
	v_cndmask_b32_e64 v2, 0, 1, vcc_lo
	global_store_b8 v[4:5], v2, off
.LBB142_1511:
	s_mov_b32 s36, 0
.LBB142_1512:
	s_delay_alu instid0(SALU_CYCLE_1)
	s_and_b32 vcc_lo, exec_lo, s36
	s_cbranch_vccz .LBB142_1551
; %bb.1513:
	s_and_b32 s35, 0xffff, s35
	s_mov_b32 s36, -1
	s_cmp_lt_i32 s35, 5
	s_cbranch_scc1 .LBB142_1534
; %bb.1514:
	s_cmp_lt_i32 s35, 8
	s_cbranch_scc1 .LBB142_1524
; %bb.1515:
	;; [unrolled: 3-line block ×3, first 2 shown]
	s_cmp_gt_i32 s35, 9
	s_cbranch_scc0 .LBB142_1518
; %bb.1517:
	s_wait_xcnt 0x0
	v_mov_b32_e32 v2, 0
	s_mov_b32 s36, 0
	s_delay_alu instid0(VALU_DEP_1)
	v_mov_b32_e32 v3, v2
	global_store_b128 v[4:5], v[0:3], off
.LBB142_1518:
	s_and_not1_b32 vcc_lo, exec_lo, s36
	s_cbranch_vccnz .LBB142_1520
; %bb.1519:
	s_wait_xcnt 0x0
	v_cvt_f32_f64_e32 v2, v[0:1]
	v_mov_b32_e32 v3, 0
	global_store_b64 v[4:5], v[2:3], off
.LBB142_1520:
	s_mov_b32 s36, 0
.LBB142_1521:
	s_delay_alu instid0(SALU_CYCLE_1)
	s_and_not1_b32 vcc_lo, exec_lo, s36
	s_cbranch_vccnz .LBB142_1523
; %bb.1522:
	s_wait_xcnt 0x0
	v_and_or_b32 v2, 0x1ff, v1, v0
	v_lshrrev_b32_e32 v3, 8, v1
	v_bfe_u32 v6, v1, 20, 11
	s_delay_alu instid0(VALU_DEP_3) | instskip(NEXT) | instid1(VALU_DEP_2)
	v_cmp_ne_u32_e32 vcc_lo, 0, v2
	v_sub_nc_u32_e32 v7, 0x3f1, v6
	v_cndmask_b32_e64 v2, 0, 1, vcc_lo
	s_delay_alu instid0(VALU_DEP_1) | instskip(NEXT) | instid1(VALU_DEP_3)
	v_and_or_b32 v2, 0xffe, v3, v2
	v_med3_i32 v3, v7, 0, 13
	s_delay_alu instid0(VALU_DEP_2) | instskip(NEXT) | instid1(VALU_DEP_1)
	v_or_b32_e32 v7, 0x1000, v2
	v_lshrrev_b32_e32 v8, v3, v7
	s_delay_alu instid0(VALU_DEP_1) | instskip(NEXT) | instid1(VALU_DEP_1)
	v_lshlrev_b32_e32 v3, v3, v8
	v_cmp_ne_u32_e32 vcc_lo, v3, v7
	v_cndmask_b32_e64 v3, 0, 1, vcc_lo
	s_delay_alu instid0(VALU_DEP_1) | instskip(SKIP_1) | instid1(VALU_DEP_1)
	v_or_b32_e32 v3, v8, v3
	v_add_nc_u32_e32 v6, 0xfffffc10, v6
	v_lshl_or_b32 v7, v6, 12, v2
	v_cmp_gt_i32_e32 vcc_lo, 1, v6
	s_delay_alu instid0(VALU_DEP_2) | instskip(NEXT) | instid1(VALU_DEP_1)
	v_cndmask_b32_e32 v3, v7, v3, vcc_lo
	v_dual_lshrrev_b32 v3, 2, v3 :: v_dual_bitop2_b32 v7, 7, v3 bitop3:0x40
	s_delay_alu instid0(VALU_DEP_1) | instskip(SKIP_4) | instid1(VALU_DEP_2)
	v_cmp_lt_i32_e32 vcc_lo, 5, v7
	v_cndmask_b32_e64 v8, 0, 1, vcc_lo
	v_cmp_eq_u32_e32 vcc_lo, 3, v7
	v_cndmask_b32_e64 v7, 0, 1, vcc_lo
	v_cmp_ne_u32_e32 vcc_lo, 0, v2
	v_or_b32_e32 v7, v7, v8
	s_delay_alu instid0(VALU_DEP_1) | instskip(NEXT) | instid1(VALU_DEP_1)
	v_dual_mov_b32 v8, 0x7e00 :: v_dual_add_nc_u32 v3, v3, v7
	v_cndmask_b32_e32 v2, 0x7c00, v8, vcc_lo
	v_cmp_gt_i32_e32 vcc_lo, 31, v6
	v_lshrrev_b32_e32 v7, 16, v1
	s_delay_alu instid0(VALU_DEP_4) | instskip(SKIP_1) | instid1(VALU_DEP_2)
	v_cndmask_b32_e32 v3, 0x7c00, v3, vcc_lo
	v_cmp_eq_u32_e32 vcc_lo, 0x40f, v6
	v_cndmask_b32_e32 v2, v3, v2, vcc_lo
	s_delay_alu instid0(VALU_DEP_4) | instskip(NEXT) | instid1(VALU_DEP_1)
	v_and_b32_e32 v3, 0x8000, v7
	v_bitop3_b32 v2, v3, 0xffff, v2 bitop3:0xc8
	global_store_b32 v[4:5], v2, off
.LBB142_1523:
	s_mov_b32 s36, 0
.LBB142_1524:
	s_delay_alu instid0(SALU_CYCLE_1)
	s_and_not1_b32 vcc_lo, exec_lo, s36
	s_cbranch_vccnz .LBB142_1533
; %bb.1525:
	s_cmp_lt_i32 s35, 6
	s_mov_b32 s36, -1
	s_cbranch_scc1 .LBB142_1531
; %bb.1526:
	s_cmp_gt_i32 s35, 6
	s_cbranch_scc0 .LBB142_1528
; %bb.1527:
	s_mov_b32 s36, 0
	global_store_b64 v[4:5], v[0:1], off
.LBB142_1528:
	s_and_not1_b32 vcc_lo, exec_lo, s36
	s_cbranch_vccnz .LBB142_1530
; %bb.1529:
	s_wait_xcnt 0x0
	v_cvt_f32_f64_e32 v2, v[0:1]
	global_store_b32 v[4:5], v2, off
.LBB142_1530:
	s_mov_b32 s36, 0
.LBB142_1531:
	s_delay_alu instid0(SALU_CYCLE_1)
	s_and_not1_b32 vcc_lo, exec_lo, s36
	s_cbranch_vccnz .LBB142_1533
; %bb.1532:
	s_wait_xcnt 0x0
	v_and_or_b32 v2, 0x1ff, v1, v0
	v_lshrrev_b32_e32 v3, 8, v1
	v_bfe_u32 v6, v1, 20, 11
	s_delay_alu instid0(VALU_DEP_3) | instskip(NEXT) | instid1(VALU_DEP_2)
	v_cmp_ne_u32_e32 vcc_lo, 0, v2
	v_sub_nc_u32_e32 v7, 0x3f1, v6
	v_cndmask_b32_e64 v2, 0, 1, vcc_lo
	s_delay_alu instid0(VALU_DEP_1) | instskip(NEXT) | instid1(VALU_DEP_3)
	v_and_or_b32 v2, 0xffe, v3, v2
	v_med3_i32 v3, v7, 0, 13
	s_delay_alu instid0(VALU_DEP_2) | instskip(NEXT) | instid1(VALU_DEP_1)
	v_or_b32_e32 v7, 0x1000, v2
	v_lshrrev_b32_e32 v8, v3, v7
	s_delay_alu instid0(VALU_DEP_1) | instskip(NEXT) | instid1(VALU_DEP_1)
	v_lshlrev_b32_e32 v3, v3, v8
	v_cmp_ne_u32_e32 vcc_lo, v3, v7
	v_cndmask_b32_e64 v3, 0, 1, vcc_lo
	s_delay_alu instid0(VALU_DEP_1) | instskip(SKIP_1) | instid1(VALU_DEP_1)
	v_or_b32_e32 v3, v8, v3
	v_add_nc_u32_e32 v6, 0xfffffc10, v6
	v_lshl_or_b32 v7, v6, 12, v2
	v_cmp_gt_i32_e32 vcc_lo, 1, v6
	s_delay_alu instid0(VALU_DEP_2) | instskip(NEXT) | instid1(VALU_DEP_1)
	v_cndmask_b32_e32 v3, v7, v3, vcc_lo
	v_dual_lshrrev_b32 v3, 2, v3 :: v_dual_bitop2_b32 v7, 7, v3 bitop3:0x40
	s_delay_alu instid0(VALU_DEP_1) | instskip(SKIP_4) | instid1(VALU_DEP_2)
	v_cmp_lt_i32_e32 vcc_lo, 5, v7
	v_cndmask_b32_e64 v8, 0, 1, vcc_lo
	v_cmp_eq_u32_e32 vcc_lo, 3, v7
	v_cndmask_b32_e64 v7, 0, 1, vcc_lo
	v_cmp_ne_u32_e32 vcc_lo, 0, v2
	v_or_b32_e32 v7, v7, v8
	s_delay_alu instid0(VALU_DEP_1) | instskip(NEXT) | instid1(VALU_DEP_1)
	v_dual_mov_b32 v8, 0x7e00 :: v_dual_add_nc_u32 v3, v3, v7
	v_cndmask_b32_e32 v2, 0x7c00, v8, vcc_lo
	v_cmp_gt_i32_e32 vcc_lo, 31, v6
	s_delay_alu instid0(VALU_DEP_3) | instskip(SKIP_1) | instid1(VALU_DEP_2)
	v_cndmask_b32_e32 v3, 0x7c00, v3, vcc_lo
	v_cmp_eq_u32_e32 vcc_lo, 0x40f, v6
	v_dual_cndmask_b32 v2, v3, v2 :: v_dual_lshrrev_b32 v3, 16, v1
	s_delay_alu instid0(VALU_DEP_1)
	v_and_or_b32 v2, 0x8000, v3, v2
	global_store_b16 v[4:5], v2, off
.LBB142_1533:
	s_mov_b32 s36, 0
.LBB142_1534:
	s_delay_alu instid0(SALU_CYCLE_1)
	s_and_not1_b32 vcc_lo, exec_lo, s36
	s_cbranch_vccnz .LBB142_1550
; %bb.1535:
	s_cmp_lt_i32 s35, 2
	s_mov_b32 s36, -1
	s_cbranch_scc1 .LBB142_1545
; %bb.1536:
	s_cmp_lt_i32 s35, 3
	s_cbranch_scc1 .LBB142_1542
; %bb.1537:
	s_cmp_gt_i32 s35, 3
	s_cbranch_scc0 .LBB142_1539
; %bb.1538:
	s_wait_xcnt 0x0
	v_trunc_f64_e32 v[2:3], v[0:1]
	s_mov_b32 s36, 0
	s_delay_alu instid0(VALU_DEP_1) | instskip(NEXT) | instid1(VALU_DEP_1)
	v_ldexp_f64 v[6:7], v[2:3], 0xffffffe0
	v_floor_f64_e32 v[6:7], v[6:7]
	s_delay_alu instid0(VALU_DEP_1) | instskip(SKIP_1) | instid1(VALU_DEP_2)
	v_fmamk_f64 v[2:3], v[6:7], 0xc1f00000, v[2:3]
	v_cvt_i32_f64_e32 v7, v[6:7]
	v_cvt_u32_f64_e32 v6, v[2:3]
	global_store_b64 v[4:5], v[6:7], off
.LBB142_1539:
	s_and_not1_b32 vcc_lo, exec_lo, s36
	s_cbranch_vccnz .LBB142_1541
; %bb.1540:
	s_wait_xcnt 0x0
	v_cvt_i32_f64_e32 v2, v[0:1]
	global_store_b32 v[4:5], v2, off
.LBB142_1541:
	s_mov_b32 s36, 0
.LBB142_1542:
	s_delay_alu instid0(SALU_CYCLE_1)
	s_and_not1_b32 vcc_lo, exec_lo, s36
	s_cbranch_vccnz .LBB142_1544
; %bb.1543:
	s_wait_xcnt 0x0
	v_cvt_i32_f64_e32 v2, v[0:1]
	global_store_b16 v[4:5], v2, off
.LBB142_1544:
	s_mov_b32 s36, 0
.LBB142_1545:
	s_delay_alu instid0(SALU_CYCLE_1)
	s_and_not1_b32 vcc_lo, exec_lo, s36
	s_cbranch_vccnz .LBB142_1550
; %bb.1546:
	s_cmp_gt_i32 s35, 0
	s_mov_b32 s35, -1
	s_cbranch_scc0 .LBB142_1548
; %bb.1547:
	s_wait_xcnt 0x0
	v_cvt_i32_f64_e32 v2, v[0:1]
	s_mov_b32 s35, 0
	global_store_b8 v[4:5], v2, off
.LBB142_1548:
	s_and_not1_b32 vcc_lo, exec_lo, s35
	s_cbranch_vccnz .LBB142_1550
; %bb.1549:
	s_wait_xcnt 0x0
	v_trunc_f64_e32 v[0:1], v[0:1]
	s_delay_alu instid0(VALU_DEP_1) | instskip(NEXT) | instid1(VALU_DEP_1)
	v_ldexp_f64 v[2:3], v[0:1], 0xffffffe0
	v_floor_f64_e32 v[2:3], v[2:3]
	s_delay_alu instid0(VALU_DEP_1) | instskip(NEXT) | instid1(VALU_DEP_1)
	v_fmamk_f64 v[0:1], v[2:3], 0xc1f00000, v[0:1]
	v_cvt_u32_f64_e32 v0, v[0:1]
	global_store_b8 v[4:5], v0, off
.LBB142_1550:
	s_mov_b32 s37, -1
.LBB142_1551:
	s_delay_alu instid0(SALU_CYCLE_1)
	s_and_not1_b32 vcc_lo, exec_lo, s37
	s_cbranch_vccnz .LBB142_1553
; %bb.1552:
	v_add_nc_u32_e32 v26, 0x80, v26
	s_mov_b32 s36, -1
	s_branch .LBB142_1555
.LBB142_1553:
	s_mov_b32 s36, 0
.LBB142_1554:
                                        ; implicit-def: $vgpr26
.LBB142_1555:
	s_and_not1_b32 s35, s26, exec_lo
	s_and_b32 s0, s0, exec_lo
	s_and_not1_b32 s37, s27, exec_lo
	s_and_b32 s34, s34, exec_lo
	s_or_b32 s35, s35, s0
	s_or_b32 s34, s37, s34
	s_and_not1_b32 s0, s28, exec_lo
	s_and_b32 s33, s33, exec_lo
	s_and_not1_b32 s37, s25, exec_lo
	s_and_b32 s31, s31, exec_lo
	s_or_b32 s33, s0, s33
	s_or_b32 s31, s37, s31
	s_or_not1_b32 s39, s36, exec_lo
.LBB142_1556:
	s_wait_xcnt 0x0
	s_or_b32 exec_lo, exec_lo, s30
	s_mov_b32 s36, 0
	s_mov_b32 s37, 0
	;; [unrolled: 1-line block ×3, first 2 shown]
                                        ; implicit-def: $sgpr0
                                        ; implicit-def: $vgpr0_vgpr1
                                        ; implicit-def: $vgpr2_vgpr3
	s_and_saveexec_b32 s30, s39
	s_cbranch_execz .LBB142_1637
; %bb.1557:
	v_cmp_gt_i32_e32 vcc_lo, s20, v26
	s_mov_b32 s40, s31
	s_mov_b32 s39, 0
	;; [unrolled: 1-line block ×3, first 2 shown]
                                        ; implicit-def: $sgpr0
                                        ; implicit-def: $vgpr0_vgpr1
                                        ; implicit-def: $vgpr2_vgpr3
	s_and_saveexec_b32 s20, vcc_lo
	s_cbranch_execz .LBB142_1636
; %bb.1558:
	s_wait_loadcnt 0x0
	v_mul_lo_u32 v0, v26, s13
	s_and_b32 s0, s17, 0xff
	s_delay_alu instid0(SALU_CYCLE_1) | instskip(NEXT) | instid1(VALU_DEP_1)
	s_cmp_lt_i32 s0, 11
	v_ashrrev_i32_e32 v1, 31, v0
	s_delay_alu instid0(VALU_DEP_1)
	v_add_nc_u64_e32 v[0:1], s[6:7], v[0:1]
	s_cbranch_scc1 .LBB142_1565
; %bb.1559:
	s_and_b32 s36, 0xffff, s0
	s_delay_alu instid0(SALU_CYCLE_1)
	s_cmp_gt_i32 s36, 25
	s_cbranch_scc0 .LBB142_1566
; %bb.1560:
	s_cmp_gt_i32 s36, 28
	s_cbranch_scc0 .LBB142_1567
; %bb.1561:
	;; [unrolled: 3-line block ×4, first 2 shown]
	s_cmp_eq_u32 s36, 46
	s_mov_b32 s40, 0
	s_cbranch_scc0 .LBB142_1570
; %bb.1564:
	global_load_b32 v2, v[0:1], off
	s_mov_b32 s39, -1
	s_wait_loadcnt 0x0
	v_lshlrev_b32_e32 v2, 16, v2
	s_delay_alu instid0(VALU_DEP_1)
	v_cvt_f64_f32_e32 v[2:3], v2
	s_branch .LBB142_1572
.LBB142_1565:
	s_mov_b32 s36, -1
	s_mov_b32 s37, s31
                                        ; implicit-def: $vgpr2_vgpr3
	s_branch .LBB142_1635
.LBB142_1566:
	s_mov_b32 s40, -1
	s_mov_b32 s37, s31
                                        ; implicit-def: $vgpr2_vgpr3
	s_branch .LBB142_1601
.LBB142_1567:
	s_mov_b32 s40, -1
	s_mov_b32 s37, s31
                                        ; implicit-def: $vgpr2_vgpr3
	s_branch .LBB142_1582
.LBB142_1568:
	s_mov_b32 s40, -1
	s_mov_b32 s37, s31
                                        ; implicit-def: $vgpr2_vgpr3
	s_branch .LBB142_1577
.LBB142_1569:
	s_mov_b32 s40, -1
	s_mov_b32 s37, s31
	s_branch .LBB142_1571
.LBB142_1570:
	s_mov_b32 s37, -1
.LBB142_1571:
                                        ; implicit-def: $vgpr2_vgpr3
.LBB142_1572:
	s_and_b32 vcc_lo, exec_lo, s40
	s_cbranch_vccz .LBB142_1576
; %bb.1573:
	s_cmp_eq_u32 s36, 44
	s_cbranch_scc0 .LBB142_1575
; %bb.1574:
	global_load_u8 v4, v[0:1], off
	s_mov_b32 s37, 0
	s_mov_b32 s39, -1
	s_wait_loadcnt 0x0
	v_cmp_ne_u32_e32 vcc_lo, 0xff, v4
	v_lshlrev_b32_e32 v2, 23, v4
	s_delay_alu instid0(VALU_DEP_1) | instskip(NEXT) | instid1(VALU_DEP_1)
	v_cvt_f64_f32_e32 v[2:3], v2
	v_cndmask_b32_e32 v2, 0x20000000, v2, vcc_lo
	s_delay_alu instid0(VALU_DEP_2) | instskip(SKIP_1) | instid1(VALU_DEP_2)
	v_cndmask_b32_e32 v3, 0x7ff80000, v3, vcc_lo
	v_cmp_ne_u32_e32 vcc_lo, 0, v4
	v_cndmask_b32_e32 v3, 0x38000000, v3, vcc_lo
	s_delay_alu instid0(VALU_DEP_4)
	v_cndmask_b32_e32 v2, 0, v2, vcc_lo
	s_branch .LBB142_1576
.LBB142_1575:
	s_mov_b32 s37, -1
                                        ; implicit-def: $vgpr2_vgpr3
.LBB142_1576:
	s_mov_b32 s40, 0
.LBB142_1577:
	s_delay_alu instid0(SALU_CYCLE_1)
	s_and_b32 vcc_lo, exec_lo, s40
	s_cbranch_vccz .LBB142_1581
; %bb.1578:
	s_cmp_eq_u32 s36, 29
	s_cbranch_scc0 .LBB142_1580
; %bb.1579:
	global_load_b64 v[2:3], v[0:1], off
	s_mov_b32 s37, 0
	s_mov_b32 s39, -1
	s_mov_b32 s40, 0
	s_wait_loadcnt 0x0
	v_cvt_f64_u32_e32 v[4:5], v3
	v_cvt_f64_u32_e32 v[2:3], v2
	s_delay_alu instid0(VALU_DEP_2) | instskip(NEXT) | instid1(VALU_DEP_1)
	v_ldexp_f64 v[4:5], v[4:5], 32
	v_add_f64_e32 v[2:3], v[4:5], v[2:3]
	s_branch .LBB142_1582
.LBB142_1580:
	s_mov_b32 s37, -1
                                        ; implicit-def: $vgpr2_vgpr3
.LBB142_1581:
	s_mov_b32 s40, 0
.LBB142_1582:
	s_delay_alu instid0(SALU_CYCLE_1)
	s_and_b32 vcc_lo, exec_lo, s40
	s_cbranch_vccz .LBB142_1600
; %bb.1583:
	s_cmp_lt_i32 s36, 27
	s_cbranch_scc1 .LBB142_1586
; %bb.1584:
	s_cmp_gt_i32 s36, 27
	s_cbranch_scc0 .LBB142_1587
; %bb.1585:
	global_load_b32 v2, v[0:1], off
	s_mov_b32 s39, 0
	s_wait_loadcnt 0x0
	v_cvt_f64_u32_e32 v[2:3], v2
	s_branch .LBB142_1588
.LBB142_1586:
	s_mov_b32 s39, -1
                                        ; implicit-def: $vgpr2_vgpr3
	s_branch .LBB142_1591
.LBB142_1587:
	s_mov_b32 s39, -1
                                        ; implicit-def: $vgpr2_vgpr3
.LBB142_1588:
	s_delay_alu instid0(SALU_CYCLE_1)
	s_and_not1_b32 vcc_lo, exec_lo, s39
	s_cbranch_vccnz .LBB142_1590
; %bb.1589:
	global_load_u16 v2, v[0:1], off
	s_wait_loadcnt 0x0
	v_cvt_f64_u32_e32 v[2:3], v2
.LBB142_1590:
	s_mov_b32 s39, 0
.LBB142_1591:
	s_delay_alu instid0(SALU_CYCLE_1)
	s_and_not1_b32 vcc_lo, exec_lo, s39
	s_cbranch_vccnz .LBB142_1599
; %bb.1592:
	global_load_u8 v4, v[0:1], off
	s_mov_b32 s39, 0
	s_mov_b32 s40, exec_lo
	s_wait_loadcnt 0x0
	v_cmpx_lt_i16_e32 0x7f, v4
	s_xor_b32 s40, exec_lo, s40
	s_cbranch_execz .LBB142_1613
; %bb.1593:
	s_mov_b32 s39, -1
	s_mov_b32 s41, exec_lo
	v_cmpx_eq_u16_e32 0x80, v4
; %bb.1594:
	s_xor_b32 s39, exec_lo, -1
; %bb.1595:
	s_or_b32 exec_lo, exec_lo, s41
	s_delay_alu instid0(SALU_CYCLE_1)
	s_and_b32 s39, s39, exec_lo
	s_or_saveexec_b32 s40, s40
	v_mov_b64_e32 v[2:3], 0x7ff8000020000000
	s_xor_b32 exec_lo, exec_lo, s40
	s_cbranch_execnz .LBB142_1614
.LBB142_1596:
	s_or_b32 exec_lo, exec_lo, s40
	s_and_saveexec_b32 s40, s39
	s_cbranch_execz .LBB142_1598
.LBB142_1597:
	v_and_b32_e32 v2, 0xffff, v4
	s_delay_alu instid0(VALU_DEP_1) | instskip(SKIP_1) | instid1(VALU_DEP_2)
	v_and_b32_e32 v3, 7, v2
	v_bfe_u32 v7, v2, 3, 4
	v_clz_i32_u32_e32 v5, v3
	s_delay_alu instid0(VALU_DEP_2) | instskip(NEXT) | instid1(VALU_DEP_2)
	v_cmp_eq_u32_e32 vcc_lo, 0, v7
	v_min_u32_e32 v5, 32, v5
	s_delay_alu instid0(VALU_DEP_1) | instskip(NEXT) | instid1(VALU_DEP_1)
	v_subrev_nc_u32_e32 v6, 28, v5
	v_dual_lshlrev_b32 v2, v6, v2 :: v_dual_sub_nc_u32 v5, 29, v5
	s_delay_alu instid0(VALU_DEP_1) | instskip(NEXT) | instid1(VALU_DEP_2)
	v_dual_lshlrev_b32 v4, 24, v4 :: v_dual_bitop2_b32 v2, 7, v2 bitop3:0x40
	v_cndmask_b32_e32 v5, v7, v5, vcc_lo
	s_delay_alu instid0(VALU_DEP_2) | instskip(NEXT) | instid1(VALU_DEP_3)
	v_cndmask_b32_e32 v2, v3, v2, vcc_lo
	v_and_b32_e32 v3, 0x80000000, v4
	s_delay_alu instid0(VALU_DEP_3) | instskip(NEXT) | instid1(VALU_DEP_3)
	v_lshl_add_u32 v4, v5, 23, 0x3b800000
	v_lshlrev_b32_e32 v2, 20, v2
	s_delay_alu instid0(VALU_DEP_1) | instskip(NEXT) | instid1(VALU_DEP_1)
	v_or3_b32 v2, v3, v4, v2
	v_cvt_f64_f32_e32 v[2:3], v2
.LBB142_1598:
	s_or_b32 exec_lo, exec_lo, s40
.LBB142_1599:
	s_mov_b32 s39, -1
.LBB142_1600:
	s_mov_b32 s40, 0
.LBB142_1601:
	s_delay_alu instid0(SALU_CYCLE_1)
	s_and_b32 vcc_lo, exec_lo, s40
	s_cbranch_vccz .LBB142_1634
; %bb.1602:
	s_cmp_gt_i32 s36, 22
	s_cbranch_scc0 .LBB142_1612
; %bb.1603:
	s_cmp_lt_i32 s36, 24
	s_cbranch_scc1 .LBB142_1615
; %bb.1604:
	s_cmp_gt_i32 s36, 24
	s_cbranch_scc0 .LBB142_1616
; %bb.1605:
	global_load_u8 v4, v[0:1], off
	s_mov_b32 s39, exec_lo
	s_wait_loadcnt 0x0
	v_cmpx_lt_i16_e32 0x7f, v4
	s_xor_b32 s39, exec_lo, s39
	s_cbranch_execz .LBB142_1628
; %bb.1606:
	s_mov_b32 s38, -1
	s_mov_b32 s40, exec_lo
	v_cmpx_eq_u16_e32 0x80, v4
; %bb.1607:
	s_xor_b32 s38, exec_lo, -1
; %bb.1608:
	s_or_b32 exec_lo, exec_lo, s40
	s_delay_alu instid0(SALU_CYCLE_1)
	s_and_b32 s38, s38, exec_lo
	s_or_saveexec_b32 s39, s39
	v_mov_b64_e32 v[2:3], 0x7ff8000020000000
	s_xor_b32 exec_lo, exec_lo, s39
	s_cbranch_execnz .LBB142_1629
.LBB142_1609:
	s_or_b32 exec_lo, exec_lo, s39
	s_and_saveexec_b32 s39, s38
	s_cbranch_execz .LBB142_1611
.LBB142_1610:
	v_and_b32_e32 v2, 0xffff, v4
	s_delay_alu instid0(VALU_DEP_1) | instskip(SKIP_1) | instid1(VALU_DEP_2)
	v_and_b32_e32 v3, 3, v2
	v_bfe_u32 v7, v2, 2, 5
	v_clz_i32_u32_e32 v5, v3
	s_delay_alu instid0(VALU_DEP_2) | instskip(NEXT) | instid1(VALU_DEP_2)
	v_cmp_eq_u32_e32 vcc_lo, 0, v7
	v_min_u32_e32 v5, 32, v5
	s_delay_alu instid0(VALU_DEP_1) | instskip(NEXT) | instid1(VALU_DEP_1)
	v_subrev_nc_u32_e32 v6, 29, v5
	v_dual_lshlrev_b32 v2, v6, v2 :: v_dual_sub_nc_u32 v5, 30, v5
	s_delay_alu instid0(VALU_DEP_1) | instskip(NEXT) | instid1(VALU_DEP_2)
	v_dual_lshlrev_b32 v4, 24, v4 :: v_dual_bitop2_b32 v2, 3, v2 bitop3:0x40
	v_cndmask_b32_e32 v5, v7, v5, vcc_lo
	s_delay_alu instid0(VALU_DEP_2) | instskip(NEXT) | instid1(VALU_DEP_3)
	v_cndmask_b32_e32 v2, v3, v2, vcc_lo
	v_and_b32_e32 v3, 0x80000000, v4
	s_delay_alu instid0(VALU_DEP_3) | instskip(NEXT) | instid1(VALU_DEP_3)
	v_lshl_add_u32 v4, v5, 23, 0x37800000
	v_lshlrev_b32_e32 v2, 21, v2
	s_delay_alu instid0(VALU_DEP_1) | instskip(NEXT) | instid1(VALU_DEP_1)
	v_or3_b32 v2, v3, v4, v2
	v_cvt_f64_f32_e32 v[2:3], v2
.LBB142_1611:
	s_or_b32 exec_lo, exec_lo, s39
	s_mov_b32 s38, 0
	s_branch .LBB142_1617
.LBB142_1612:
	s_mov_b32 s38, -1
                                        ; implicit-def: $vgpr2_vgpr3
	s_branch .LBB142_1623
.LBB142_1613:
	s_or_saveexec_b32 s40, s40
	v_mov_b64_e32 v[2:3], 0x7ff8000020000000
	s_xor_b32 exec_lo, exec_lo, s40
	s_cbranch_execz .LBB142_1596
.LBB142_1614:
	v_cmp_ne_u16_e32 vcc_lo, 0, v4
	v_mov_b64_e32 v[2:3], 0
	s_and_not1_b32 s39, s39, exec_lo
	s_and_b32 s41, vcc_lo, exec_lo
	s_delay_alu instid0(SALU_CYCLE_1)
	s_or_b32 s39, s39, s41
	s_or_b32 exec_lo, exec_lo, s40
	s_and_saveexec_b32 s40, s39
	s_cbranch_execnz .LBB142_1597
	s_branch .LBB142_1598
.LBB142_1615:
	s_mov_b32 s38, -1
                                        ; implicit-def: $vgpr2_vgpr3
	s_branch .LBB142_1620
.LBB142_1616:
	s_mov_b32 s38, -1
                                        ; implicit-def: $vgpr2_vgpr3
.LBB142_1617:
	s_delay_alu instid0(SALU_CYCLE_1)
	s_and_b32 vcc_lo, exec_lo, s38
	s_cbranch_vccz .LBB142_1619
; %bb.1618:
	global_load_u8 v2, v[0:1], off
	s_wait_loadcnt 0x0
	v_lshlrev_b32_e32 v2, 24, v2
	s_delay_alu instid0(VALU_DEP_1) | instskip(NEXT) | instid1(VALU_DEP_1)
	v_and_b32_e32 v3, 0x7f000000, v2
	v_clz_i32_u32_e32 v4, v3
	v_cmp_ne_u32_e32 vcc_lo, 0, v3
	v_add_nc_u32_e32 v6, 0x1000000, v3
	s_delay_alu instid0(VALU_DEP_3) | instskip(NEXT) | instid1(VALU_DEP_1)
	v_min_u32_e32 v4, 32, v4
	v_sub_nc_u32_e64 v4, v4, 4 clamp
	s_delay_alu instid0(VALU_DEP_1) | instskip(NEXT) | instid1(VALU_DEP_1)
	v_dual_lshlrev_b32 v5, v4, v3 :: v_dual_lshlrev_b32 v4, 23, v4
	v_lshrrev_b32_e32 v5, 4, v5
	s_delay_alu instid0(VALU_DEP_1) | instskip(NEXT) | instid1(VALU_DEP_1)
	v_dual_sub_nc_u32 v4, v5, v4 :: v_dual_ashrrev_i32 v5, 8, v6
	v_add_nc_u32_e32 v4, 0x3c000000, v4
	s_delay_alu instid0(VALU_DEP_1) | instskip(NEXT) | instid1(VALU_DEP_1)
	v_and_or_b32 v4, 0x7f800000, v5, v4
	v_cndmask_b32_e32 v3, 0, v4, vcc_lo
	s_delay_alu instid0(VALU_DEP_1) | instskip(NEXT) | instid1(VALU_DEP_1)
	v_and_or_b32 v2, 0x80000000, v2, v3
	v_cvt_f64_f32_e32 v[2:3], v2
.LBB142_1619:
	s_mov_b32 s38, 0
.LBB142_1620:
	s_delay_alu instid0(SALU_CYCLE_1)
	s_and_not1_b32 vcc_lo, exec_lo, s38
	s_cbranch_vccnz .LBB142_1622
; %bb.1621:
	global_load_u8 v2, v[0:1], off
	s_wait_loadcnt 0x0
	v_lshlrev_b32_e32 v3, 25, v2
	v_lshlrev_b16 v2, 8, v2
	s_delay_alu instid0(VALU_DEP_1) | instskip(SKIP_1) | instid1(VALU_DEP_2)
	v_and_or_b32 v5, 0x7f00, v2, 0.5
	v_bfe_i32 v2, v2, 0, 16
	v_dual_add_f32 v5, -0.5, v5 :: v_dual_lshrrev_b32 v4, 4, v3
	v_cmp_gt_u32_e32 vcc_lo, 0x8000000, v3
	s_delay_alu instid0(VALU_DEP_2) | instskip(NEXT) | instid1(VALU_DEP_1)
	v_or_b32_e32 v4, 0x70000000, v4
	v_mul_f32_e32 v4, 0x7800000, v4
	s_delay_alu instid0(VALU_DEP_1) | instskip(NEXT) | instid1(VALU_DEP_1)
	v_cndmask_b32_e32 v3, v4, v5, vcc_lo
	v_and_or_b32 v2, 0x80000000, v2, v3
	s_delay_alu instid0(VALU_DEP_1)
	v_cvt_f64_f32_e32 v[2:3], v2
.LBB142_1622:
	s_mov_b32 s38, 0
	s_mov_b32 s39, -1
.LBB142_1623:
	s_and_not1_b32 vcc_lo, exec_lo, s38
	s_mov_b32 s38, 0
	s_cbranch_vccnz .LBB142_1634
; %bb.1624:
	s_cmp_gt_i32 s36, 14
	s_cbranch_scc0 .LBB142_1627
; %bb.1625:
	s_cmp_eq_u32 s36, 15
	s_cbranch_scc0 .LBB142_1630
; %bb.1626:
	global_load_u16 v2, v[0:1], off
	s_mov_b32 s37, 0
	s_mov_b32 s39, -1
	s_wait_loadcnt 0x0
	v_lshlrev_b32_e32 v2, 16, v2
	s_delay_alu instid0(VALU_DEP_1)
	v_cvt_f64_f32_e32 v[2:3], v2
	s_branch .LBB142_1632
.LBB142_1627:
	s_mov_b32 s38, -1
	s_branch .LBB142_1631
.LBB142_1628:
	s_or_saveexec_b32 s39, s39
	v_mov_b64_e32 v[2:3], 0x7ff8000020000000
	s_xor_b32 exec_lo, exec_lo, s39
	s_cbranch_execz .LBB142_1609
.LBB142_1629:
	v_cmp_ne_u16_e32 vcc_lo, 0, v4
	v_mov_b64_e32 v[2:3], 0
	s_and_not1_b32 s38, s38, exec_lo
	s_and_b32 s40, vcc_lo, exec_lo
	s_delay_alu instid0(SALU_CYCLE_1)
	s_or_b32 s38, s38, s40
	s_or_b32 exec_lo, exec_lo, s39
	s_and_saveexec_b32 s39, s38
	s_cbranch_execnz .LBB142_1610
	s_branch .LBB142_1611
.LBB142_1630:
	s_mov_b32 s37, -1
.LBB142_1631:
                                        ; implicit-def: $vgpr2_vgpr3
.LBB142_1632:
	s_and_b32 vcc_lo, exec_lo, s38
	s_mov_b32 s38, 0
	s_cbranch_vccz .LBB142_1634
; %bb.1633:
	s_cmp_lg_u32 s36, 11
	s_mov_b32 s38, -1
	s_cselect_b32 s36, -1, 0
	s_and_not1_b32 s37, s37, exec_lo
	s_and_b32 s36, s36, exec_lo
	s_delay_alu instid0(SALU_CYCLE_1)
	s_or_b32 s37, s37, s36
.LBB142_1634:
	s_mov_b32 s36, 0
.LBB142_1635:
	s_and_not1_b32 s40, s31, exec_lo
	s_and_b32 s37, s37, exec_lo
	s_and_b32 s41, s39, exec_lo
	;; [unrolled: 1-line block ×4, first 2 shown]
	s_or_b32 s40, s40, s37
.LBB142_1636:
	s_wait_xcnt 0x0
	s_or_b32 exec_lo, exec_lo, s20
	s_delay_alu instid0(SALU_CYCLE_1)
	s_and_not1_b32 s20, s31, exec_lo
	s_and_b32 s31, s40, exec_lo
	s_and_b32 s38, s41, exec_lo
	;; [unrolled: 1-line block ×4, first 2 shown]
	s_or_b32 s31, s20, s31
.LBB142_1637:
	s_or_b32 exec_lo, exec_lo, s30
	s_delay_alu instid0(SALU_CYCLE_1)
	s_and_not1_b32 s20, s26, exec_lo
	s_and_b32 s26, s35, exec_lo
	s_and_not1_b32 s28, s28, exec_lo
	s_or_b32 s26, s20, s26
	s_and_not1_b32 s20, s27, exec_lo
	s_and_b32 s27, s34, exec_lo
	s_and_b32 s30, s33, exec_lo
	s_or_b32 s27, s20, s27
	s_and_not1_b32 s20, s25, exec_lo
	s_and_b32 s25, s31, exec_lo
	s_or_b32 s28, s28, s30
	s_and_b32 s34, s38, exec_lo
	s_and_b32 s33, s37, exec_lo
	;; [unrolled: 1-line block ×3, first 2 shown]
	s_or_b32 s25, s20, s25
.LBB142_1638:
	s_or_b32 exec_lo, exec_lo, s29
	s_delay_alu instid0(SALU_CYCLE_1)
	s_and_not1_b32 s19, s19, exec_lo
	s_and_b32 s20, s26, exec_lo
	s_and_not1_b32 s22, s22, exec_lo
	s_or_b32 s19, s19, s20
	s_and_not1_b32 s20, s21, exec_lo
	s_and_b32 s21, s27, exec_lo
	s_and_b32 s26, s28, exec_lo
	s_or_b32 s21, s20, s21
	s_and_not1_b32 s20, s23, exec_lo
	s_and_b32 s23, s25, exec_lo
	s_or_b32 s22, s22, s26
	s_and_b32 s26, s34, exec_lo
	s_and_b32 s27, s33, exec_lo
	s_and_b32 s25, s30, exec_lo
	s_or_b32 s23, s20, s23
	s_or_b32 exec_lo, exec_lo, s24
	s_mov_b32 s20, 0
	s_and_saveexec_b32 s24, s23
	s_cbranch_execz .LBB142_522
.LBB142_1639:
	s_mov_b32 s20, exec_lo
	s_and_not1_b32 s25, s25, exec_lo
	s_trap 2
	s_or_b32 exec_lo, exec_lo, s24
	s_and_saveexec_b32 s23, s25
	s_delay_alu instid0(SALU_CYCLE_1)
	s_xor_b32 s23, exec_lo, s23
	s_cbranch_execnz .LBB142_523
.LBB142_1640:
	s_or_b32 exec_lo, exec_lo, s23
	s_and_saveexec_b32 s23, s27
	s_cbranch_execz .LBB142_1686
.LBB142_1641:
	s_sext_i32_i16 s24, s0
	s_delay_alu instid0(SALU_CYCLE_1)
	s_cmp_lt_i32 s24, 5
	s_cbranch_scc1 .LBB142_1646
; %bb.1642:
	s_cmp_lt_i32 s24, 8
	s_cbranch_scc1 .LBB142_1647
; %bb.1643:
	;; [unrolled: 3-line block ×3, first 2 shown]
	s_cmp_gt_i32 s24, 9
	s_cbranch_scc0 .LBB142_1649
; %bb.1645:
	s_wait_loadcnt 0x0
	global_load_b64 v[2:3], v[0:1], off
	s_mov_b32 s24, 0
	s_branch .LBB142_1650
.LBB142_1646:
                                        ; implicit-def: $vgpr2_vgpr3
	s_branch .LBB142_1667
.LBB142_1647:
                                        ; implicit-def: $vgpr2_vgpr3
	s_branch .LBB142_1656
.LBB142_1648:
	s_mov_b32 s24, -1
                                        ; implicit-def: $vgpr2_vgpr3
	s_branch .LBB142_1653
.LBB142_1649:
	s_mov_b32 s24, -1
                                        ; implicit-def: $vgpr2_vgpr3
.LBB142_1650:
	s_delay_alu instid0(SALU_CYCLE_1)
	s_and_not1_b32 vcc_lo, exec_lo, s24
	s_cbranch_vccnz .LBB142_1652
; %bb.1651:
	s_wait_loadcnt 0x0
	global_load_b32 v2, v[0:1], off
	s_wait_loadcnt 0x0
	v_cvt_f64_f32_e32 v[2:3], v2
.LBB142_1652:
	s_mov_b32 s24, 0
.LBB142_1653:
	s_delay_alu instid0(SALU_CYCLE_1)
	s_and_not1_b32 vcc_lo, exec_lo, s24
	s_cbranch_vccnz .LBB142_1655
; %bb.1654:
	s_wait_loadcnt 0x0
	global_load_b32 v2, v[0:1], off
	s_wait_loadcnt 0x0
	v_cvt_f32_f16_e32 v2, v2
	s_delay_alu instid0(VALU_DEP_1)
	v_cvt_f64_f32_e32 v[2:3], v2
.LBB142_1655:
	s_cbranch_execnz .LBB142_1666
.LBB142_1656:
	s_sext_i32_i16 s24, s0
	s_delay_alu instid0(SALU_CYCLE_1)
	s_cmp_lt_i32 s24, 6
	s_cbranch_scc1 .LBB142_1659
; %bb.1657:
	s_cmp_gt_i32 s24, 6
	s_cbranch_scc0 .LBB142_1660
; %bb.1658:
	s_wait_loadcnt 0x0
	global_load_b64 v[2:3], v[0:1], off
	s_mov_b32 s24, 0
	s_branch .LBB142_1661
.LBB142_1659:
	s_mov_b32 s24, -1
                                        ; implicit-def: $vgpr2_vgpr3
	s_branch .LBB142_1664
.LBB142_1660:
	s_mov_b32 s24, -1
                                        ; implicit-def: $vgpr2_vgpr3
.LBB142_1661:
	s_delay_alu instid0(SALU_CYCLE_1)
	s_and_not1_b32 vcc_lo, exec_lo, s24
	s_cbranch_vccnz .LBB142_1663
; %bb.1662:
	s_wait_loadcnt 0x0
	global_load_b32 v2, v[0:1], off
	s_wait_loadcnt 0x0
	v_cvt_f64_f32_e32 v[2:3], v2
.LBB142_1663:
	s_mov_b32 s24, 0
.LBB142_1664:
	s_delay_alu instid0(SALU_CYCLE_1)
	s_and_not1_b32 vcc_lo, exec_lo, s24
	s_cbranch_vccnz .LBB142_1666
; %bb.1665:
	s_wait_loadcnt 0x0
	global_load_u16 v2, v[0:1], off
	s_wait_loadcnt 0x0
	v_cvt_f32_f16_e32 v2, v2
	s_delay_alu instid0(VALU_DEP_1)
	v_cvt_f64_f32_e32 v[2:3], v2
.LBB142_1666:
	s_cbranch_execnz .LBB142_1685
.LBB142_1667:
	s_sext_i32_i16 s24, s0
	s_delay_alu instid0(SALU_CYCLE_1)
	s_cmp_lt_i32 s24, 2
	s_cbranch_scc1 .LBB142_1671
; %bb.1668:
	s_cmp_lt_i32 s24, 3
	s_cbranch_scc1 .LBB142_1672
; %bb.1669:
	s_cmp_gt_i32 s24, 3
	s_cbranch_scc0 .LBB142_1673
; %bb.1670:
	s_wait_loadcnt 0x0
	global_load_b64 v[2:3], v[0:1], off
	s_mov_b32 s24, 0
	s_wait_loadcnt 0x0
	v_cvt_f64_i32_e32 v[4:5], v3
	v_cvt_f64_u32_e32 v[2:3], v2
	s_delay_alu instid0(VALU_DEP_2) | instskip(NEXT) | instid1(VALU_DEP_1)
	v_ldexp_f64 v[4:5], v[4:5], 32
	v_add_f64_e32 v[2:3], v[4:5], v[2:3]
	s_branch .LBB142_1674
.LBB142_1671:
                                        ; implicit-def: $vgpr2_vgpr3
	s_branch .LBB142_1680
.LBB142_1672:
	s_mov_b32 s24, -1
                                        ; implicit-def: $vgpr2_vgpr3
	s_branch .LBB142_1677
.LBB142_1673:
	s_mov_b32 s24, -1
                                        ; implicit-def: $vgpr2_vgpr3
.LBB142_1674:
	s_delay_alu instid0(SALU_CYCLE_1)
	s_and_not1_b32 vcc_lo, exec_lo, s24
	s_cbranch_vccnz .LBB142_1676
; %bb.1675:
	s_wait_loadcnt 0x0
	global_load_b32 v2, v[0:1], off
	s_wait_loadcnt 0x0
	v_cvt_f64_i32_e32 v[2:3], v2
.LBB142_1676:
	s_mov_b32 s24, 0
.LBB142_1677:
	s_delay_alu instid0(SALU_CYCLE_1)
	s_and_not1_b32 vcc_lo, exec_lo, s24
	s_cbranch_vccnz .LBB142_1679
; %bb.1678:
	s_wait_loadcnt 0x0
	global_load_i16 v2, v[0:1], off
	s_wait_loadcnt 0x0
	v_cvt_f64_i32_e32 v[2:3], v2
.LBB142_1679:
	s_cbranch_execnz .LBB142_1685
.LBB142_1680:
	s_sext_i32_i16 s0, s0
	s_delay_alu instid0(SALU_CYCLE_1)
	s_cmp_gt_i32 s0, 0
	s_mov_b32 s0, 0
	s_cbranch_scc0 .LBB142_1682
; %bb.1681:
	s_wait_loadcnt 0x0
	global_load_i8 v2, v[0:1], off
	s_wait_loadcnt 0x0
	v_cvt_f64_i32_e32 v[2:3], v2
	s_branch .LBB142_1683
.LBB142_1682:
	s_mov_b32 s0, -1
                                        ; implicit-def: $vgpr2_vgpr3
.LBB142_1683:
	s_delay_alu instid0(SALU_CYCLE_1)
	s_and_not1_b32 vcc_lo, exec_lo, s0
	s_cbranch_vccnz .LBB142_1685
; %bb.1684:
	s_wait_loadcnt 0x0
	global_load_u8 v0, v[0:1], off
	s_wait_loadcnt 0x0
	v_cvt_f64_u32_e32 v[2:3], v0
.LBB142_1685:
	s_or_b32 s26, s26, exec_lo
.LBB142_1686:
	s_wait_xcnt 0x0
	s_or_b32 exec_lo, exec_lo, s23
	s_mov_b32 s25, 0
	s_mov_b32 s27, 0
	s_mov_b32 s24, 0
                                        ; implicit-def: $sgpr0
                                        ; implicit-def: $vgpr0_vgpr1
                                        ; implicit-def: $vgpr4_vgpr5
	s_and_saveexec_b32 s23, s26
	s_cbranch_execz .LBB142_1694
; %bb.1687:
	s_wait_loadcnt 0x0
	v_mul_lo_u32 v0, v26, s14
	s_and_b32 s0, s3, 0xff
	s_delay_alu instid0(SALU_CYCLE_1) | instskip(NEXT) | instid1(VALU_DEP_1)
	s_cmp_lt_i32 s0, 11
	v_ashrrev_i32_e32 v1, 31, v0
	s_delay_alu instid0(VALU_DEP_1)
	v_add_nc_u64_e32 v[0:1], s[8:9], v[0:1]
	s_cbranch_scc1 .LBB142_1697
; %bb.1688:
	s_and_b32 s24, 0xffff, s0
	s_mov_b32 s26, 0
	s_cmp_gt_i32 s24, 25
	s_cbranch_scc0 .LBB142_1698
; %bb.1689:
	s_cmp_gt_i32 s24, 28
	s_cbranch_scc0 .LBB142_1699
; %bb.1690:
	s_cmp_gt_i32 s24, 43
	s_cbranch_scc0 .LBB142_1700
; %bb.1691:
	s_cmp_gt_i32 s24, 45
	s_cbranch_scc0 .LBB142_1701
; %bb.1692:
	s_cmp_eq_u32 s24, 46
	s_mov_b32 s28, 0
	s_cbranch_scc0 .LBB142_1702
; %bb.1693:
	global_load_b32 v4, v[0:1], off
	s_mov_b32 s27, -1
	s_wait_loadcnt 0x0
	v_lshlrev_b32_e32 v4, 16, v4
	s_delay_alu instid0(VALU_DEP_1)
	v_cvt_f64_f32_e32 v[4:5], v4
	s_branch .LBB142_1704
.LBB142_1694:
	s_or_b32 exec_lo, exec_lo, s23
	s_and_saveexec_b32 s23, s22
	s_cbranch_execnz .LBB142_1767
.LBB142_1695:
	s_or_b32 exec_lo, exec_lo, s23
	s_and_saveexec_b32 s22, s25
	s_delay_alu instid0(SALU_CYCLE_1)
	s_xor_b32 s22, exec_lo, s22
	s_cbranch_execz .LBB142_1768
.LBB142_1696:
	s_wait_loadcnt 0x0
	global_load_u8 v4, v[0:1], off
	s_or_b32 s24, s24, exec_lo
	s_wait_loadcnt 0x0
	v_cmp_ne_u16_e32 vcc_lo, 0, v4
	v_mov_b32_e32 v4, 0
	v_cndmask_b32_e64 v5, 0, 0x3ff00000, vcc_lo
	s_wait_xcnt 0x0
	s_or_b32 exec_lo, exec_lo, s22
	s_and_saveexec_b32 s22, s27
	s_cbranch_execz .LBB142_1814
	s_branch .LBB142_1769
.LBB142_1697:
	s_mov_b32 s28, -1
	s_mov_b32 s26, 0
	s_mov_b32 s25, s22
                                        ; implicit-def: $vgpr4_vgpr5
	s_branch .LBB142_1766
.LBB142_1698:
	s_mov_b32 s25, s22
                                        ; implicit-def: $vgpr4_vgpr5
	s_cbranch_execnz .LBB142_1733
	s_branch .LBB142_1765
.LBB142_1699:
	s_mov_b32 s28, -1
	s_mov_b32 s25, s22
                                        ; implicit-def: $vgpr4_vgpr5
	s_branch .LBB142_1714
.LBB142_1700:
	s_mov_b32 s28, -1
	s_mov_b32 s25, s22
                                        ; implicit-def: $vgpr4_vgpr5
	s_branch .LBB142_1709
.LBB142_1701:
	s_mov_b32 s28, -1
	s_mov_b32 s25, s22
	s_branch .LBB142_1703
.LBB142_1702:
	s_mov_b32 s25, -1
.LBB142_1703:
                                        ; implicit-def: $vgpr4_vgpr5
.LBB142_1704:
	s_and_b32 vcc_lo, exec_lo, s28
	s_cbranch_vccz .LBB142_1708
; %bb.1705:
	s_cmp_eq_u32 s24, 44
	s_cbranch_scc0 .LBB142_1707
; %bb.1706:
	global_load_u8 v6, v[0:1], off
	s_mov_b32 s25, 0
	s_mov_b32 s27, -1
	s_wait_loadcnt 0x0
	v_cmp_ne_u32_e32 vcc_lo, 0xff, v6
	v_lshlrev_b32_e32 v4, 23, v6
	s_delay_alu instid0(VALU_DEP_1) | instskip(NEXT) | instid1(VALU_DEP_1)
	v_cvt_f64_f32_e32 v[4:5], v4
	v_cndmask_b32_e32 v4, 0x20000000, v4, vcc_lo
	s_delay_alu instid0(VALU_DEP_2) | instskip(SKIP_1) | instid1(VALU_DEP_2)
	v_cndmask_b32_e32 v5, 0x7ff80000, v5, vcc_lo
	v_cmp_ne_u32_e32 vcc_lo, 0, v6
	v_cndmask_b32_e32 v5, 0x38000000, v5, vcc_lo
	s_delay_alu instid0(VALU_DEP_4)
	v_cndmask_b32_e32 v4, 0, v4, vcc_lo
	s_branch .LBB142_1708
.LBB142_1707:
	s_mov_b32 s25, -1
                                        ; implicit-def: $vgpr4_vgpr5
.LBB142_1708:
	s_mov_b32 s28, 0
.LBB142_1709:
	s_delay_alu instid0(SALU_CYCLE_1)
	s_and_b32 vcc_lo, exec_lo, s28
	s_cbranch_vccz .LBB142_1713
; %bb.1710:
	s_cmp_eq_u32 s24, 29
	s_cbranch_scc0 .LBB142_1712
; %bb.1711:
	global_load_b64 v[4:5], v[0:1], off
	s_mov_b32 s25, 0
	s_mov_b32 s27, -1
	s_mov_b32 s28, 0
	s_wait_loadcnt 0x0
	v_cvt_f64_u32_e32 v[6:7], v5
	v_cvt_f64_u32_e32 v[4:5], v4
	s_delay_alu instid0(VALU_DEP_2) | instskip(NEXT) | instid1(VALU_DEP_1)
	v_ldexp_f64 v[6:7], v[6:7], 32
	v_add_f64_e32 v[4:5], v[6:7], v[4:5]
	s_branch .LBB142_1714
.LBB142_1712:
	s_mov_b32 s25, -1
                                        ; implicit-def: $vgpr4_vgpr5
.LBB142_1713:
	s_mov_b32 s28, 0
.LBB142_1714:
	s_delay_alu instid0(SALU_CYCLE_1)
	s_and_b32 vcc_lo, exec_lo, s28
	s_cbranch_vccz .LBB142_1732
; %bb.1715:
	s_cmp_lt_i32 s24, 27
	s_cbranch_scc1 .LBB142_1718
; %bb.1716:
	s_cmp_gt_i32 s24, 27
	s_cbranch_scc0 .LBB142_1719
; %bb.1717:
	global_load_b32 v4, v[0:1], off
	s_mov_b32 s27, 0
	s_wait_loadcnt 0x0
	v_cvt_f64_u32_e32 v[4:5], v4
	s_branch .LBB142_1720
.LBB142_1718:
	s_mov_b32 s27, -1
                                        ; implicit-def: $vgpr4_vgpr5
	s_branch .LBB142_1723
.LBB142_1719:
	s_mov_b32 s27, -1
                                        ; implicit-def: $vgpr4_vgpr5
.LBB142_1720:
	s_delay_alu instid0(SALU_CYCLE_1)
	s_and_not1_b32 vcc_lo, exec_lo, s27
	s_cbranch_vccnz .LBB142_1722
; %bb.1721:
	global_load_u16 v4, v[0:1], off
	s_wait_loadcnt 0x0
	v_cvt_f64_u32_e32 v[4:5], v4
.LBB142_1722:
	s_mov_b32 s27, 0
.LBB142_1723:
	s_delay_alu instid0(SALU_CYCLE_1)
	s_and_not1_b32 vcc_lo, exec_lo, s27
	s_cbranch_vccnz .LBB142_1731
; %bb.1724:
	global_load_u8 v6, v[0:1], off
	s_mov_b32 s27, 0
	s_mov_b32 s28, exec_lo
	s_wait_loadcnt 0x0
	v_cmpx_lt_i16_e32 0x7f, v6
	s_xor_b32 s28, exec_lo, s28
	s_cbranch_execz .LBB142_1744
; %bb.1725:
	s_mov_b32 s27, -1
	s_mov_b32 s29, exec_lo
	v_cmpx_eq_u16_e32 0x80, v6
; %bb.1726:
	s_xor_b32 s27, exec_lo, -1
; %bb.1727:
	s_or_b32 exec_lo, exec_lo, s29
	s_delay_alu instid0(SALU_CYCLE_1)
	s_and_b32 s27, s27, exec_lo
	s_or_saveexec_b32 s28, s28
	v_mov_b64_e32 v[4:5], 0x7ff8000020000000
	s_xor_b32 exec_lo, exec_lo, s28
	s_cbranch_execnz .LBB142_1745
.LBB142_1728:
	s_or_b32 exec_lo, exec_lo, s28
	s_and_saveexec_b32 s28, s27
	s_cbranch_execz .LBB142_1730
.LBB142_1729:
	v_and_b32_e32 v4, 0xffff, v6
	s_delay_alu instid0(VALU_DEP_1) | instskip(SKIP_1) | instid1(VALU_DEP_2)
	v_and_b32_e32 v5, 7, v4
	v_bfe_u32 v9, v4, 3, 4
	v_clz_i32_u32_e32 v7, v5
	s_delay_alu instid0(VALU_DEP_2) | instskip(NEXT) | instid1(VALU_DEP_2)
	v_cmp_eq_u32_e32 vcc_lo, 0, v9
	v_min_u32_e32 v7, 32, v7
	s_delay_alu instid0(VALU_DEP_1) | instskip(NEXT) | instid1(VALU_DEP_1)
	v_subrev_nc_u32_e32 v8, 28, v7
	v_dual_lshlrev_b32 v4, v8, v4 :: v_dual_sub_nc_u32 v7, 29, v7
	s_delay_alu instid0(VALU_DEP_1) | instskip(NEXT) | instid1(VALU_DEP_2)
	v_dual_lshlrev_b32 v6, 24, v6 :: v_dual_bitop2_b32 v4, 7, v4 bitop3:0x40
	v_cndmask_b32_e32 v7, v9, v7, vcc_lo
	s_delay_alu instid0(VALU_DEP_2) | instskip(NEXT) | instid1(VALU_DEP_3)
	v_cndmask_b32_e32 v4, v5, v4, vcc_lo
	v_and_b32_e32 v5, 0x80000000, v6
	s_delay_alu instid0(VALU_DEP_3) | instskip(NEXT) | instid1(VALU_DEP_3)
	v_lshl_add_u32 v6, v7, 23, 0x3b800000
	v_lshlrev_b32_e32 v4, 20, v4
	s_delay_alu instid0(VALU_DEP_1) | instskip(NEXT) | instid1(VALU_DEP_1)
	v_or3_b32 v4, v5, v6, v4
	v_cvt_f64_f32_e32 v[4:5], v4
.LBB142_1730:
	s_or_b32 exec_lo, exec_lo, s28
.LBB142_1731:
	s_mov_b32 s27, -1
.LBB142_1732:
	s_branch .LBB142_1765
.LBB142_1733:
	s_cmp_gt_i32 s24, 22
	s_cbranch_scc0 .LBB142_1743
; %bb.1734:
	s_cmp_lt_i32 s24, 24
	s_cbranch_scc1 .LBB142_1746
; %bb.1735:
	s_cmp_gt_i32 s24, 24
	s_cbranch_scc0 .LBB142_1747
; %bb.1736:
	global_load_u8 v6, v[0:1], off
	s_mov_b32 s27, exec_lo
	s_wait_loadcnt 0x0
	v_cmpx_lt_i16_e32 0x7f, v6
	s_xor_b32 s27, exec_lo, s27
	s_cbranch_execz .LBB142_1759
; %bb.1737:
	s_mov_b32 s26, -1
	s_mov_b32 s28, exec_lo
	v_cmpx_eq_u16_e32 0x80, v6
; %bb.1738:
	s_xor_b32 s26, exec_lo, -1
; %bb.1739:
	s_or_b32 exec_lo, exec_lo, s28
	s_delay_alu instid0(SALU_CYCLE_1)
	s_and_b32 s26, s26, exec_lo
	s_or_saveexec_b32 s27, s27
	v_mov_b64_e32 v[4:5], 0x7ff8000020000000
	s_xor_b32 exec_lo, exec_lo, s27
	s_cbranch_execnz .LBB142_1760
.LBB142_1740:
	s_or_b32 exec_lo, exec_lo, s27
	s_and_saveexec_b32 s27, s26
	s_cbranch_execz .LBB142_1742
.LBB142_1741:
	v_and_b32_e32 v4, 0xffff, v6
	s_delay_alu instid0(VALU_DEP_1) | instskip(SKIP_1) | instid1(VALU_DEP_2)
	v_and_b32_e32 v5, 3, v4
	v_bfe_u32 v9, v4, 2, 5
	v_clz_i32_u32_e32 v7, v5
	s_delay_alu instid0(VALU_DEP_2) | instskip(NEXT) | instid1(VALU_DEP_2)
	v_cmp_eq_u32_e32 vcc_lo, 0, v9
	v_min_u32_e32 v7, 32, v7
	s_delay_alu instid0(VALU_DEP_1) | instskip(NEXT) | instid1(VALU_DEP_1)
	v_subrev_nc_u32_e32 v8, 29, v7
	v_dual_lshlrev_b32 v4, v8, v4 :: v_dual_sub_nc_u32 v7, 30, v7
	s_delay_alu instid0(VALU_DEP_1) | instskip(NEXT) | instid1(VALU_DEP_2)
	v_dual_lshlrev_b32 v6, 24, v6 :: v_dual_bitop2_b32 v4, 3, v4 bitop3:0x40
	v_cndmask_b32_e32 v7, v9, v7, vcc_lo
	s_delay_alu instid0(VALU_DEP_2) | instskip(NEXT) | instid1(VALU_DEP_3)
	v_cndmask_b32_e32 v4, v5, v4, vcc_lo
	v_and_b32_e32 v5, 0x80000000, v6
	s_delay_alu instid0(VALU_DEP_3) | instskip(NEXT) | instid1(VALU_DEP_3)
	v_lshl_add_u32 v6, v7, 23, 0x37800000
	v_lshlrev_b32_e32 v4, 21, v4
	s_delay_alu instid0(VALU_DEP_1) | instskip(NEXT) | instid1(VALU_DEP_1)
	v_or3_b32 v4, v5, v6, v4
	v_cvt_f64_f32_e32 v[4:5], v4
.LBB142_1742:
	s_or_b32 exec_lo, exec_lo, s27
	s_mov_b32 s26, 0
	s_branch .LBB142_1748
.LBB142_1743:
	s_mov_b32 s26, -1
                                        ; implicit-def: $vgpr4_vgpr5
	s_branch .LBB142_1754
.LBB142_1744:
	s_or_saveexec_b32 s28, s28
	v_mov_b64_e32 v[4:5], 0x7ff8000020000000
	s_xor_b32 exec_lo, exec_lo, s28
	s_cbranch_execz .LBB142_1728
.LBB142_1745:
	v_cmp_ne_u16_e32 vcc_lo, 0, v6
	v_mov_b64_e32 v[4:5], 0
	s_and_not1_b32 s27, s27, exec_lo
	s_and_b32 s29, vcc_lo, exec_lo
	s_delay_alu instid0(SALU_CYCLE_1)
	s_or_b32 s27, s27, s29
	s_or_b32 exec_lo, exec_lo, s28
	s_and_saveexec_b32 s28, s27
	s_cbranch_execnz .LBB142_1729
	s_branch .LBB142_1730
.LBB142_1746:
	s_mov_b32 s26, -1
                                        ; implicit-def: $vgpr4_vgpr5
	s_branch .LBB142_1751
.LBB142_1747:
	s_mov_b32 s26, -1
                                        ; implicit-def: $vgpr4_vgpr5
.LBB142_1748:
	s_delay_alu instid0(SALU_CYCLE_1)
	s_and_b32 vcc_lo, exec_lo, s26
	s_cbranch_vccz .LBB142_1750
; %bb.1749:
	global_load_u8 v4, v[0:1], off
	s_wait_loadcnt 0x0
	v_lshlrev_b32_e32 v4, 24, v4
	s_delay_alu instid0(VALU_DEP_1) | instskip(NEXT) | instid1(VALU_DEP_1)
	v_and_b32_e32 v5, 0x7f000000, v4
	v_clz_i32_u32_e32 v6, v5
	v_cmp_ne_u32_e32 vcc_lo, 0, v5
	v_add_nc_u32_e32 v8, 0x1000000, v5
	s_delay_alu instid0(VALU_DEP_3) | instskip(NEXT) | instid1(VALU_DEP_1)
	v_min_u32_e32 v6, 32, v6
	v_sub_nc_u32_e64 v6, v6, 4 clamp
	s_delay_alu instid0(VALU_DEP_1) | instskip(NEXT) | instid1(VALU_DEP_1)
	v_dual_lshlrev_b32 v7, v6, v5 :: v_dual_lshlrev_b32 v6, 23, v6
	v_lshrrev_b32_e32 v7, 4, v7
	s_delay_alu instid0(VALU_DEP_1) | instskip(NEXT) | instid1(VALU_DEP_1)
	v_dual_sub_nc_u32 v6, v7, v6 :: v_dual_ashrrev_i32 v7, 8, v8
	v_add_nc_u32_e32 v6, 0x3c000000, v6
	s_delay_alu instid0(VALU_DEP_1) | instskip(NEXT) | instid1(VALU_DEP_1)
	v_and_or_b32 v6, 0x7f800000, v7, v6
	v_cndmask_b32_e32 v5, 0, v6, vcc_lo
	s_delay_alu instid0(VALU_DEP_1) | instskip(NEXT) | instid1(VALU_DEP_1)
	v_and_or_b32 v4, 0x80000000, v4, v5
	v_cvt_f64_f32_e32 v[4:5], v4
.LBB142_1750:
	s_mov_b32 s26, 0
.LBB142_1751:
	s_delay_alu instid0(SALU_CYCLE_1)
	s_and_not1_b32 vcc_lo, exec_lo, s26
	s_cbranch_vccnz .LBB142_1753
; %bb.1752:
	global_load_u8 v4, v[0:1], off
	s_wait_loadcnt 0x0
	v_lshlrev_b32_e32 v5, 25, v4
	v_lshlrev_b16 v4, 8, v4
	s_delay_alu instid0(VALU_DEP_1) | instskip(SKIP_1) | instid1(VALU_DEP_2)
	v_and_or_b32 v7, 0x7f00, v4, 0.5
	v_bfe_i32 v4, v4, 0, 16
	v_dual_add_f32 v7, -0.5, v7 :: v_dual_lshrrev_b32 v6, 4, v5
	v_cmp_gt_u32_e32 vcc_lo, 0x8000000, v5
	s_delay_alu instid0(VALU_DEP_2) | instskip(NEXT) | instid1(VALU_DEP_1)
	v_or_b32_e32 v6, 0x70000000, v6
	v_mul_f32_e32 v6, 0x7800000, v6
	s_delay_alu instid0(VALU_DEP_1) | instskip(NEXT) | instid1(VALU_DEP_1)
	v_cndmask_b32_e32 v5, v6, v7, vcc_lo
	v_and_or_b32 v4, 0x80000000, v4, v5
	s_delay_alu instid0(VALU_DEP_1)
	v_cvt_f64_f32_e32 v[4:5], v4
.LBB142_1753:
	s_mov_b32 s26, 0
	s_mov_b32 s27, -1
.LBB142_1754:
	s_and_not1_b32 vcc_lo, exec_lo, s26
	s_mov_b32 s26, 0
	s_cbranch_vccnz .LBB142_1765
; %bb.1755:
	s_cmp_gt_i32 s24, 14
	s_cbranch_scc0 .LBB142_1758
; %bb.1756:
	s_cmp_eq_u32 s24, 15
	s_cbranch_scc0 .LBB142_1761
; %bb.1757:
	global_load_u16 v4, v[0:1], off
	s_mov_b32 s25, 0
	s_mov_b32 s27, -1
	s_wait_loadcnt 0x0
	v_lshlrev_b32_e32 v4, 16, v4
	s_delay_alu instid0(VALU_DEP_1)
	v_cvt_f64_f32_e32 v[4:5], v4
	s_branch .LBB142_1763
.LBB142_1758:
	s_mov_b32 s26, -1
	s_branch .LBB142_1762
.LBB142_1759:
	s_or_saveexec_b32 s27, s27
	v_mov_b64_e32 v[4:5], 0x7ff8000020000000
	s_xor_b32 exec_lo, exec_lo, s27
	s_cbranch_execz .LBB142_1740
.LBB142_1760:
	v_cmp_ne_u16_e32 vcc_lo, 0, v6
	v_mov_b64_e32 v[4:5], 0
	s_and_not1_b32 s26, s26, exec_lo
	s_and_b32 s28, vcc_lo, exec_lo
	s_delay_alu instid0(SALU_CYCLE_1)
	s_or_b32 s26, s26, s28
	s_or_b32 exec_lo, exec_lo, s27
	s_and_saveexec_b32 s27, s26
	s_cbranch_execnz .LBB142_1741
	s_branch .LBB142_1742
.LBB142_1761:
	s_mov_b32 s25, -1
.LBB142_1762:
                                        ; implicit-def: $vgpr4_vgpr5
.LBB142_1763:
	s_and_b32 vcc_lo, exec_lo, s26
	s_mov_b32 s26, 0
	s_cbranch_vccz .LBB142_1765
; %bb.1764:
	s_cmp_lg_u32 s24, 11
	s_mov_b32 s26, -1
	s_cselect_b32 s24, -1, 0
	s_and_not1_b32 s25, s25, exec_lo
	s_and_b32 s24, s24, exec_lo
	s_delay_alu instid0(SALU_CYCLE_1)
	s_or_b32 s25, s25, s24
.LBB142_1765:
	s_mov_b32 s28, 0
.LBB142_1766:
	s_and_b32 s24, s27, exec_lo
	s_and_b32 s27, s28, exec_lo
	s_and_not1_b32 s22, s22, exec_lo
	s_and_b32 s28, s25, exec_lo
	s_and_b32 s25, s26, exec_lo
	s_or_b32 s22, s22, s28
	s_wait_xcnt 0x0
	s_or_b32 exec_lo, exec_lo, s23
	s_and_saveexec_b32 s23, s22
	s_cbranch_execz .LBB142_1695
.LBB142_1767:
	s_or_b32 s20, s20, exec_lo
	s_and_not1_b32 s25, s25, exec_lo
	s_trap 2
	s_or_b32 exec_lo, exec_lo, s23
	s_and_saveexec_b32 s22, s25
	s_delay_alu instid0(SALU_CYCLE_1)
	s_xor_b32 s22, exec_lo, s22
	s_cbranch_execnz .LBB142_1696
.LBB142_1768:
	s_or_b32 exec_lo, exec_lo, s22
	s_and_saveexec_b32 s22, s27
	s_cbranch_execz .LBB142_1814
.LBB142_1769:
	s_sext_i32_i16 s23, s0
	s_delay_alu instid0(SALU_CYCLE_1)
	s_cmp_lt_i32 s23, 5
	s_cbranch_scc1 .LBB142_1774
; %bb.1770:
	s_cmp_lt_i32 s23, 8
	s_cbranch_scc1 .LBB142_1775
; %bb.1771:
	;; [unrolled: 3-line block ×3, first 2 shown]
	s_cmp_gt_i32 s23, 9
	s_cbranch_scc0 .LBB142_1777
; %bb.1773:
	s_wait_loadcnt 0x0
	global_load_b64 v[4:5], v[0:1], off
	s_mov_b32 s23, 0
	s_branch .LBB142_1778
.LBB142_1774:
                                        ; implicit-def: $vgpr4_vgpr5
	s_branch .LBB142_1795
.LBB142_1775:
                                        ; implicit-def: $vgpr4_vgpr5
	s_branch .LBB142_1784
.LBB142_1776:
	s_mov_b32 s23, -1
                                        ; implicit-def: $vgpr4_vgpr5
	s_branch .LBB142_1781
.LBB142_1777:
	s_mov_b32 s23, -1
                                        ; implicit-def: $vgpr4_vgpr5
.LBB142_1778:
	s_delay_alu instid0(SALU_CYCLE_1)
	s_and_not1_b32 vcc_lo, exec_lo, s23
	s_cbranch_vccnz .LBB142_1780
; %bb.1779:
	s_wait_loadcnt 0x0
	global_load_b32 v4, v[0:1], off
	s_wait_loadcnt 0x0
	v_cvt_f64_f32_e32 v[4:5], v4
.LBB142_1780:
	s_mov_b32 s23, 0
.LBB142_1781:
	s_delay_alu instid0(SALU_CYCLE_1)
	s_and_not1_b32 vcc_lo, exec_lo, s23
	s_cbranch_vccnz .LBB142_1783
; %bb.1782:
	s_wait_loadcnt 0x0
	global_load_b32 v4, v[0:1], off
	s_wait_loadcnt 0x0
	v_cvt_f32_f16_e32 v4, v4
	s_delay_alu instid0(VALU_DEP_1)
	v_cvt_f64_f32_e32 v[4:5], v4
.LBB142_1783:
	s_cbranch_execnz .LBB142_1794
.LBB142_1784:
	s_sext_i32_i16 s23, s0
	s_delay_alu instid0(SALU_CYCLE_1)
	s_cmp_lt_i32 s23, 6
	s_cbranch_scc1 .LBB142_1787
; %bb.1785:
	s_cmp_gt_i32 s23, 6
	s_cbranch_scc0 .LBB142_1788
; %bb.1786:
	s_wait_loadcnt 0x0
	global_load_b64 v[4:5], v[0:1], off
	s_mov_b32 s23, 0
	s_branch .LBB142_1789
.LBB142_1787:
	s_mov_b32 s23, -1
                                        ; implicit-def: $vgpr4_vgpr5
	s_branch .LBB142_1792
.LBB142_1788:
	s_mov_b32 s23, -1
                                        ; implicit-def: $vgpr4_vgpr5
.LBB142_1789:
	s_delay_alu instid0(SALU_CYCLE_1)
	s_and_not1_b32 vcc_lo, exec_lo, s23
	s_cbranch_vccnz .LBB142_1791
; %bb.1790:
	s_wait_loadcnt 0x0
	global_load_b32 v4, v[0:1], off
	s_wait_loadcnt 0x0
	v_cvt_f64_f32_e32 v[4:5], v4
.LBB142_1791:
	s_mov_b32 s23, 0
.LBB142_1792:
	s_delay_alu instid0(SALU_CYCLE_1)
	s_and_not1_b32 vcc_lo, exec_lo, s23
	s_cbranch_vccnz .LBB142_1794
; %bb.1793:
	s_wait_loadcnt 0x0
	global_load_u16 v4, v[0:1], off
	s_wait_loadcnt 0x0
	v_cvt_f32_f16_e32 v4, v4
	s_delay_alu instid0(VALU_DEP_1)
	v_cvt_f64_f32_e32 v[4:5], v4
.LBB142_1794:
	s_cbranch_execnz .LBB142_1813
.LBB142_1795:
	s_sext_i32_i16 s23, s0
	s_delay_alu instid0(SALU_CYCLE_1)
	s_cmp_lt_i32 s23, 2
	s_cbranch_scc1 .LBB142_1799
; %bb.1796:
	s_cmp_lt_i32 s23, 3
	s_cbranch_scc1 .LBB142_1800
; %bb.1797:
	s_cmp_gt_i32 s23, 3
	s_cbranch_scc0 .LBB142_1801
; %bb.1798:
	s_wait_loadcnt 0x0
	global_load_b64 v[4:5], v[0:1], off
	s_mov_b32 s23, 0
	s_wait_loadcnt 0x0
	v_cvt_f64_i32_e32 v[6:7], v5
	v_cvt_f64_u32_e32 v[4:5], v4
	s_delay_alu instid0(VALU_DEP_2) | instskip(NEXT) | instid1(VALU_DEP_1)
	v_ldexp_f64 v[6:7], v[6:7], 32
	v_add_f64_e32 v[4:5], v[6:7], v[4:5]
	s_branch .LBB142_1802
.LBB142_1799:
                                        ; implicit-def: $vgpr4_vgpr5
	s_branch .LBB142_1808
.LBB142_1800:
	s_mov_b32 s23, -1
                                        ; implicit-def: $vgpr4_vgpr5
	s_branch .LBB142_1805
.LBB142_1801:
	s_mov_b32 s23, -1
                                        ; implicit-def: $vgpr4_vgpr5
.LBB142_1802:
	s_delay_alu instid0(SALU_CYCLE_1)
	s_and_not1_b32 vcc_lo, exec_lo, s23
	s_cbranch_vccnz .LBB142_1804
; %bb.1803:
	s_wait_loadcnt 0x0
	global_load_b32 v4, v[0:1], off
	s_wait_loadcnt 0x0
	v_cvt_f64_i32_e32 v[4:5], v4
.LBB142_1804:
	s_mov_b32 s23, 0
.LBB142_1805:
	s_delay_alu instid0(SALU_CYCLE_1)
	s_and_not1_b32 vcc_lo, exec_lo, s23
	s_cbranch_vccnz .LBB142_1807
; %bb.1806:
	s_wait_loadcnt 0x0
	global_load_i16 v4, v[0:1], off
	s_wait_loadcnt 0x0
	v_cvt_f64_i32_e32 v[4:5], v4
.LBB142_1807:
	s_cbranch_execnz .LBB142_1813
.LBB142_1808:
	s_sext_i32_i16 s0, s0
	s_delay_alu instid0(SALU_CYCLE_1)
	s_cmp_gt_i32 s0, 0
	s_mov_b32 s0, 0
	s_cbranch_scc0 .LBB142_1810
; %bb.1809:
	s_wait_loadcnt 0x0
	global_load_i8 v4, v[0:1], off
	s_wait_loadcnt 0x0
	v_cvt_f64_i32_e32 v[4:5], v4
	s_branch .LBB142_1811
.LBB142_1810:
	s_mov_b32 s0, -1
                                        ; implicit-def: $vgpr4_vgpr5
.LBB142_1811:
	s_delay_alu instid0(SALU_CYCLE_1)
	s_and_not1_b32 vcc_lo, exec_lo, s0
	s_cbranch_vccnz .LBB142_1813
; %bb.1812:
	s_wait_loadcnt 0x0
	global_load_u8 v0, v[0:1], off
	s_wait_loadcnt 0x0
	v_cvt_f64_u32_e32 v[4:5], v0
.LBB142_1813:
	s_or_b32 s24, s24, exec_lo
.LBB142_1814:
	s_wait_xcnt 0x0
	s_or_b32 exec_lo, exec_lo, s22
	s_mov_b32 s23, 0
	s_mov_b32 s22, 0
	;; [unrolled: 1-line block ×3, first 2 shown]
                                        ; implicit-def: $vgpr0_vgpr1
                                        ; implicit-def: $vgpr8_vgpr9
	s_and_saveexec_b32 s0, s24
	s_cbranch_execz .LBB142_1822
; %bb.1815:
	s_wait_loadcnt 0x0
	v_mul_lo_u32 v0, v26, s15
	s_and_b32 s22, 0xffff, s1
	s_delay_alu instid0(SALU_CYCLE_1) | instskip(NEXT) | instid1(VALU_DEP_1)
	s_cmp_lt_i32 s22, 11
	v_ashrrev_i32_e32 v1, 31, v0
	s_delay_alu instid0(VALU_DEP_1)
	v_add_nc_u64_e32 v[0:1], s[10:11], v[0:1]
	s_cbranch_scc1 .LBB142_1825
; %bb.1816:
	s_cmp_gt_i32 s22, 25
	s_mov_b32 s24, 0
	s_cbranch_scc0 .LBB142_1826
; %bb.1817:
	s_cmp_gt_i32 s22, 28
	s_cbranch_scc0 .LBB142_1827
; %bb.1818:
	s_cmp_gt_i32 s22, 43
	;; [unrolled: 3-line block ×3, first 2 shown]
	s_cbranch_scc0 .LBB142_1829
; %bb.1820:
	s_cmp_eq_u32 s22, 46
	s_mov_b32 s26, 0
	s_cbranch_scc0 .LBB142_1830
; %bb.1821:
	global_load_b32 v6, v[0:1], off
	s_mov_b32 s25, -1
	s_wait_loadcnt 0x0
	v_lshlrev_b32_e32 v6, 16, v6
	s_delay_alu instid0(VALU_DEP_1)
	v_cvt_f64_f32_e32 v[8:9], v6
	s_branch .LBB142_1832
.LBB142_1822:
	s_or_b32 exec_lo, exec_lo, s0
	s_and_saveexec_b32 s0, s21
	s_cbranch_execnz .LBB142_1895
.LBB142_1823:
	s_or_b32 exec_lo, exec_lo, s0
	s_and_saveexec_b32 s0, s23
	s_delay_alu instid0(SALU_CYCLE_1)
	s_xor_b32 s0, exec_lo, s0
	s_cbranch_execz .LBB142_1896
.LBB142_1824:
	s_wait_loadcnt 0x0
	global_load_u8 v6, v[0:1], off
	v_mov_b32_e32 v8, 0
	s_or_b32 s25, s25, exec_lo
	s_wait_loadcnt 0x0
	v_cmp_ne_u16_e32 vcc_lo, 0, v6
	v_cndmask_b32_e64 v9, 0, 0x3ff00000, vcc_lo
	s_wait_xcnt 0x0
	s_or_b32 exec_lo, exec_lo, s0
	s_and_saveexec_b32 s0, s22
	s_cbranch_execz .LBB142_1942
	s_branch .LBB142_1897
.LBB142_1825:
	s_mov_b32 s22, -1
	s_mov_b32 s24, 0
	s_mov_b32 s23, s21
                                        ; implicit-def: $vgpr8_vgpr9
	s_branch .LBB142_1894
.LBB142_1826:
	s_mov_b32 s23, s21
                                        ; implicit-def: $vgpr8_vgpr9
	s_cbranch_execnz .LBB142_1861
	s_branch .LBB142_1893
.LBB142_1827:
	s_mov_b32 s26, -1
	s_mov_b32 s23, s21
                                        ; implicit-def: $vgpr8_vgpr9
	s_branch .LBB142_1842
.LBB142_1828:
	s_mov_b32 s26, -1
	s_mov_b32 s23, s21
                                        ; implicit-def: $vgpr8_vgpr9
	s_branch .LBB142_1837
.LBB142_1829:
	s_mov_b32 s26, -1
	s_mov_b32 s23, s21
	s_branch .LBB142_1831
.LBB142_1830:
	s_mov_b32 s23, -1
.LBB142_1831:
                                        ; implicit-def: $vgpr8_vgpr9
.LBB142_1832:
	s_and_b32 vcc_lo, exec_lo, s26
	s_cbranch_vccz .LBB142_1836
; %bb.1833:
	s_cmp_eq_u32 s22, 44
	s_cbranch_scc0 .LBB142_1835
; %bb.1834:
	global_load_u8 v8, v[0:1], off
	s_mov_b32 s23, 0
	s_mov_b32 s25, -1
	s_wait_loadcnt 0x0
	v_cmp_ne_u32_e32 vcc_lo, 0xff, v8
	v_lshlrev_b32_e32 v6, 23, v8
	s_delay_alu instid0(VALU_DEP_1) | instskip(NEXT) | instid1(VALU_DEP_1)
	v_cvt_f64_f32_e32 v[6:7], v6
	v_cndmask_b32_e32 v6, 0x20000000, v6, vcc_lo
	s_delay_alu instid0(VALU_DEP_2) | instskip(SKIP_1) | instid1(VALU_DEP_2)
	v_cndmask_b32_e32 v7, 0x7ff80000, v7, vcc_lo
	v_cmp_ne_u32_e32 vcc_lo, 0, v8
	v_cndmask_b32_e32 v9, 0x38000000, v7, vcc_lo
	s_delay_alu instid0(VALU_DEP_4)
	v_cndmask_b32_e32 v8, 0, v6, vcc_lo
	s_branch .LBB142_1836
.LBB142_1835:
	s_mov_b32 s23, -1
                                        ; implicit-def: $vgpr8_vgpr9
.LBB142_1836:
	s_mov_b32 s26, 0
.LBB142_1837:
	s_delay_alu instid0(SALU_CYCLE_1)
	s_and_b32 vcc_lo, exec_lo, s26
	s_cbranch_vccz .LBB142_1841
; %bb.1838:
	s_cmp_eq_u32 s22, 29
	s_cbranch_scc0 .LBB142_1840
; %bb.1839:
	global_load_b64 v[6:7], v[0:1], off
	s_mov_b32 s23, 0
	s_mov_b32 s25, -1
	s_mov_b32 s26, 0
	s_wait_loadcnt 0x0
	v_cvt_f64_u32_e32 v[8:9], v7
	v_cvt_f64_u32_e32 v[6:7], v6
	s_delay_alu instid0(VALU_DEP_2) | instskip(NEXT) | instid1(VALU_DEP_1)
	v_ldexp_f64 v[8:9], v[8:9], 32
	v_add_f64_e32 v[8:9], v[8:9], v[6:7]
	s_branch .LBB142_1842
.LBB142_1840:
	s_mov_b32 s23, -1
                                        ; implicit-def: $vgpr8_vgpr9
.LBB142_1841:
	s_mov_b32 s26, 0
.LBB142_1842:
	s_delay_alu instid0(SALU_CYCLE_1)
	s_and_b32 vcc_lo, exec_lo, s26
	s_cbranch_vccz .LBB142_1860
; %bb.1843:
	s_cmp_lt_i32 s22, 27
	s_cbranch_scc1 .LBB142_1846
; %bb.1844:
	s_cmp_gt_i32 s22, 27
	s_cbranch_scc0 .LBB142_1847
; %bb.1845:
	global_load_b32 v6, v[0:1], off
	s_mov_b32 s25, 0
	s_wait_loadcnt 0x0
	v_cvt_f64_u32_e32 v[8:9], v6
	s_branch .LBB142_1848
.LBB142_1846:
	s_mov_b32 s25, -1
                                        ; implicit-def: $vgpr8_vgpr9
	s_branch .LBB142_1851
.LBB142_1847:
	s_mov_b32 s25, -1
                                        ; implicit-def: $vgpr8_vgpr9
.LBB142_1848:
	s_delay_alu instid0(SALU_CYCLE_1)
	s_and_not1_b32 vcc_lo, exec_lo, s25
	s_cbranch_vccnz .LBB142_1850
; %bb.1849:
	global_load_u16 v6, v[0:1], off
	s_wait_loadcnt 0x0
	v_cvt_f64_u32_e32 v[8:9], v6
.LBB142_1850:
	s_mov_b32 s25, 0
.LBB142_1851:
	s_delay_alu instid0(SALU_CYCLE_1)
	s_and_not1_b32 vcc_lo, exec_lo, s25
	s_cbranch_vccnz .LBB142_1859
; %bb.1852:
	global_load_u8 v6, v[0:1], off
	s_mov_b32 s25, 0
	s_mov_b32 s26, exec_lo
	s_wait_loadcnt 0x0
	v_cmpx_lt_i16_e32 0x7f, v6
	s_xor_b32 s26, exec_lo, s26
	s_cbranch_execz .LBB142_1872
; %bb.1853:
	s_mov_b32 s25, -1
	s_mov_b32 s27, exec_lo
	v_cmpx_eq_u16_e32 0x80, v6
; %bb.1854:
	s_xor_b32 s25, exec_lo, -1
; %bb.1855:
	s_or_b32 exec_lo, exec_lo, s27
	s_delay_alu instid0(SALU_CYCLE_1)
	s_and_b32 s25, s25, exec_lo
	s_or_saveexec_b32 s26, s26
	v_mov_b64_e32 v[8:9], 0x7ff8000020000000
	s_xor_b32 exec_lo, exec_lo, s26
	s_cbranch_execnz .LBB142_1873
.LBB142_1856:
	s_or_b32 exec_lo, exec_lo, s26
	s_and_saveexec_b32 s26, s25
	s_cbranch_execz .LBB142_1858
.LBB142_1857:
	v_and_b32_e32 v7, 0xffff, v6
	s_delay_alu instid0(VALU_DEP_1) | instskip(SKIP_1) | instid1(VALU_DEP_2)
	v_and_b32_e32 v8, 7, v7
	v_bfe_u32 v11, v7, 3, 4
	v_clz_i32_u32_e32 v9, v8
	s_delay_alu instid0(VALU_DEP_2) | instskip(NEXT) | instid1(VALU_DEP_2)
	v_cmp_eq_u32_e32 vcc_lo, 0, v11
	v_min_u32_e32 v9, 32, v9
	s_delay_alu instid0(VALU_DEP_1) | instskip(NEXT) | instid1(VALU_DEP_1)
	v_subrev_nc_u32_e32 v10, 28, v9
	v_dual_lshlrev_b32 v7, v10, v7 :: v_dual_sub_nc_u32 v9, 29, v9
	s_delay_alu instid0(VALU_DEP_1) | instskip(NEXT) | instid1(VALU_DEP_1)
	v_dual_lshlrev_b32 v6, 24, v6 :: v_dual_bitop2_b32 v7, 7, v7 bitop3:0x40
	v_dual_cndmask_b32 v9, v11, v9, vcc_lo :: v_dual_cndmask_b32 v7, v8, v7, vcc_lo
	s_delay_alu instid0(VALU_DEP_2) | instskip(NEXT) | instid1(VALU_DEP_2)
	v_and_b32_e32 v6, 0x80000000, v6
	v_lshl_add_u32 v8, v9, 23, 0x3b800000
	s_delay_alu instid0(VALU_DEP_3) | instskip(NEXT) | instid1(VALU_DEP_1)
	v_lshlrev_b32_e32 v7, 20, v7
	v_or3_b32 v6, v6, v8, v7
	s_delay_alu instid0(VALU_DEP_1)
	v_cvt_f64_f32_e32 v[8:9], v6
.LBB142_1858:
	s_or_b32 exec_lo, exec_lo, s26
.LBB142_1859:
	s_mov_b32 s25, -1
.LBB142_1860:
	s_branch .LBB142_1893
.LBB142_1861:
	s_cmp_gt_i32 s22, 22
	s_cbranch_scc0 .LBB142_1871
; %bb.1862:
	s_cmp_lt_i32 s22, 24
	s_cbranch_scc1 .LBB142_1874
; %bb.1863:
	s_cmp_gt_i32 s22, 24
	s_cbranch_scc0 .LBB142_1875
; %bb.1864:
	global_load_u8 v6, v[0:1], off
	s_mov_b32 s25, exec_lo
	s_wait_loadcnt 0x0
	v_cmpx_lt_i16_e32 0x7f, v6
	s_xor_b32 s25, exec_lo, s25
	s_cbranch_execz .LBB142_1887
; %bb.1865:
	s_mov_b32 s24, -1
	s_mov_b32 s26, exec_lo
	v_cmpx_eq_u16_e32 0x80, v6
; %bb.1866:
	s_xor_b32 s24, exec_lo, -1
; %bb.1867:
	s_or_b32 exec_lo, exec_lo, s26
	s_delay_alu instid0(SALU_CYCLE_1)
	s_and_b32 s24, s24, exec_lo
	s_or_saveexec_b32 s25, s25
	v_mov_b64_e32 v[8:9], 0x7ff8000020000000
	s_xor_b32 exec_lo, exec_lo, s25
	s_cbranch_execnz .LBB142_1888
.LBB142_1868:
	s_or_b32 exec_lo, exec_lo, s25
	s_and_saveexec_b32 s25, s24
	s_cbranch_execz .LBB142_1870
.LBB142_1869:
	v_and_b32_e32 v7, 0xffff, v6
	s_delay_alu instid0(VALU_DEP_1) | instskip(SKIP_1) | instid1(VALU_DEP_2)
	v_and_b32_e32 v8, 3, v7
	v_bfe_u32 v11, v7, 2, 5
	v_clz_i32_u32_e32 v9, v8
	s_delay_alu instid0(VALU_DEP_2) | instskip(NEXT) | instid1(VALU_DEP_2)
	v_cmp_eq_u32_e32 vcc_lo, 0, v11
	v_min_u32_e32 v9, 32, v9
	s_delay_alu instid0(VALU_DEP_1) | instskip(NEXT) | instid1(VALU_DEP_1)
	v_subrev_nc_u32_e32 v10, 29, v9
	v_dual_lshlrev_b32 v7, v10, v7 :: v_dual_sub_nc_u32 v9, 30, v9
	s_delay_alu instid0(VALU_DEP_1) | instskip(NEXT) | instid1(VALU_DEP_1)
	v_dual_lshlrev_b32 v6, 24, v6 :: v_dual_bitop2_b32 v7, 3, v7 bitop3:0x40
	v_dual_cndmask_b32 v9, v11, v9, vcc_lo :: v_dual_cndmask_b32 v7, v8, v7, vcc_lo
	s_delay_alu instid0(VALU_DEP_2) | instskip(NEXT) | instid1(VALU_DEP_2)
	v_and_b32_e32 v6, 0x80000000, v6
	v_lshl_add_u32 v8, v9, 23, 0x37800000
	s_delay_alu instid0(VALU_DEP_3) | instskip(NEXT) | instid1(VALU_DEP_1)
	v_lshlrev_b32_e32 v7, 21, v7
	v_or3_b32 v6, v6, v8, v7
	s_delay_alu instid0(VALU_DEP_1)
	v_cvt_f64_f32_e32 v[8:9], v6
.LBB142_1870:
	s_or_b32 exec_lo, exec_lo, s25
	s_mov_b32 s24, 0
	s_branch .LBB142_1876
.LBB142_1871:
	s_mov_b32 s24, -1
                                        ; implicit-def: $vgpr8_vgpr9
	s_branch .LBB142_1882
.LBB142_1872:
	s_or_saveexec_b32 s26, s26
	v_mov_b64_e32 v[8:9], 0x7ff8000020000000
	s_xor_b32 exec_lo, exec_lo, s26
	s_cbranch_execz .LBB142_1856
.LBB142_1873:
	v_cmp_ne_u16_e32 vcc_lo, 0, v6
	v_mov_b64_e32 v[8:9], 0
	s_and_not1_b32 s25, s25, exec_lo
	s_and_b32 s27, vcc_lo, exec_lo
	s_delay_alu instid0(SALU_CYCLE_1)
	s_or_b32 s25, s25, s27
	s_or_b32 exec_lo, exec_lo, s26
	s_and_saveexec_b32 s26, s25
	s_cbranch_execnz .LBB142_1857
	s_branch .LBB142_1858
.LBB142_1874:
	s_mov_b32 s24, -1
                                        ; implicit-def: $vgpr8_vgpr9
	s_branch .LBB142_1879
.LBB142_1875:
	s_mov_b32 s24, -1
                                        ; implicit-def: $vgpr8_vgpr9
.LBB142_1876:
	s_delay_alu instid0(SALU_CYCLE_1)
	s_and_b32 vcc_lo, exec_lo, s24
	s_cbranch_vccz .LBB142_1878
; %bb.1877:
	global_load_u8 v6, v[0:1], off
	s_wait_loadcnt 0x0
	v_lshlrev_b32_e32 v6, 24, v6
	s_delay_alu instid0(VALU_DEP_1) | instskip(NEXT) | instid1(VALU_DEP_1)
	v_and_b32_e32 v7, 0x7f000000, v6
	v_clz_i32_u32_e32 v8, v7
	v_cmp_ne_u32_e32 vcc_lo, 0, v7
	v_add_nc_u32_e32 v10, 0x1000000, v7
	s_delay_alu instid0(VALU_DEP_3) | instskip(NEXT) | instid1(VALU_DEP_1)
	v_min_u32_e32 v8, 32, v8
	v_sub_nc_u32_e64 v8, v8, 4 clamp
	s_delay_alu instid0(VALU_DEP_1) | instskip(NEXT) | instid1(VALU_DEP_1)
	v_dual_lshlrev_b32 v9, v8, v7 :: v_dual_lshlrev_b32 v8, 23, v8
	v_lshrrev_b32_e32 v9, 4, v9
	s_delay_alu instid0(VALU_DEP_1) | instskip(NEXT) | instid1(VALU_DEP_1)
	v_dual_sub_nc_u32 v8, v9, v8 :: v_dual_ashrrev_i32 v9, 8, v10
	v_add_nc_u32_e32 v8, 0x3c000000, v8
	s_delay_alu instid0(VALU_DEP_1) | instskip(NEXT) | instid1(VALU_DEP_1)
	v_and_or_b32 v8, 0x7f800000, v9, v8
	v_cndmask_b32_e32 v7, 0, v8, vcc_lo
	s_delay_alu instid0(VALU_DEP_1) | instskip(NEXT) | instid1(VALU_DEP_1)
	v_and_or_b32 v6, 0x80000000, v6, v7
	v_cvt_f64_f32_e32 v[8:9], v6
.LBB142_1878:
	s_mov_b32 s24, 0
.LBB142_1879:
	s_delay_alu instid0(SALU_CYCLE_1)
	s_and_not1_b32 vcc_lo, exec_lo, s24
	s_cbranch_vccnz .LBB142_1881
; %bb.1880:
	global_load_u8 v6, v[0:1], off
	s_wait_loadcnt 0x0
	v_lshlrev_b32_e32 v7, 25, v6
	v_lshlrev_b16 v6, 8, v6
	s_delay_alu instid0(VALU_DEP_1) | instskip(SKIP_1) | instid1(VALU_DEP_2)
	v_and_or_b32 v9, 0x7f00, v6, 0.5
	v_bfe_i32 v6, v6, 0, 16
	v_dual_add_f32 v9, -0.5, v9 :: v_dual_lshrrev_b32 v8, 4, v7
	v_cmp_gt_u32_e32 vcc_lo, 0x8000000, v7
	s_delay_alu instid0(VALU_DEP_2) | instskip(NEXT) | instid1(VALU_DEP_1)
	v_or_b32_e32 v8, 0x70000000, v8
	v_mul_f32_e32 v8, 0x7800000, v8
	s_delay_alu instid0(VALU_DEP_1) | instskip(NEXT) | instid1(VALU_DEP_1)
	v_cndmask_b32_e32 v7, v8, v9, vcc_lo
	v_and_or_b32 v6, 0x80000000, v6, v7
	s_delay_alu instid0(VALU_DEP_1)
	v_cvt_f64_f32_e32 v[8:9], v6
.LBB142_1881:
	s_mov_b32 s24, 0
	s_mov_b32 s25, -1
.LBB142_1882:
	s_and_not1_b32 vcc_lo, exec_lo, s24
	s_mov_b32 s24, 0
	s_cbranch_vccnz .LBB142_1893
; %bb.1883:
	s_cmp_gt_i32 s22, 14
	s_cbranch_scc0 .LBB142_1886
; %bb.1884:
	s_cmp_eq_u32 s22, 15
	s_cbranch_scc0 .LBB142_1889
; %bb.1885:
	global_load_u16 v6, v[0:1], off
	s_mov_b32 s23, 0
	s_mov_b32 s25, -1
	s_wait_loadcnt 0x0
	v_lshlrev_b32_e32 v6, 16, v6
	s_delay_alu instid0(VALU_DEP_1)
	v_cvt_f64_f32_e32 v[8:9], v6
	s_branch .LBB142_1891
.LBB142_1886:
	s_mov_b32 s24, -1
	s_branch .LBB142_1890
.LBB142_1887:
	s_or_saveexec_b32 s25, s25
	v_mov_b64_e32 v[8:9], 0x7ff8000020000000
	s_xor_b32 exec_lo, exec_lo, s25
	s_cbranch_execz .LBB142_1868
.LBB142_1888:
	v_cmp_ne_u16_e32 vcc_lo, 0, v6
	v_mov_b64_e32 v[8:9], 0
	s_and_not1_b32 s24, s24, exec_lo
	s_and_b32 s26, vcc_lo, exec_lo
	s_delay_alu instid0(SALU_CYCLE_1)
	s_or_b32 s24, s24, s26
	s_or_b32 exec_lo, exec_lo, s25
	s_and_saveexec_b32 s25, s24
	s_cbranch_execnz .LBB142_1869
	s_branch .LBB142_1870
.LBB142_1889:
	s_mov_b32 s23, -1
.LBB142_1890:
                                        ; implicit-def: $vgpr8_vgpr9
.LBB142_1891:
	s_and_b32 vcc_lo, exec_lo, s24
	s_mov_b32 s24, 0
	s_cbranch_vccz .LBB142_1893
; %bb.1892:
	s_cmp_lg_u32 s22, 11
	s_mov_b32 s24, -1
	s_cselect_b32 s22, -1, 0
	s_and_not1_b32 s23, s23, exec_lo
	s_and_b32 s22, s22, exec_lo
	s_delay_alu instid0(SALU_CYCLE_1)
	s_or_b32 s23, s23, s22
.LBB142_1893:
	s_mov_b32 s22, 0
.LBB142_1894:
	s_and_not1_b32 s21, s21, exec_lo
	s_and_b32 s26, s23, exec_lo
	s_and_b32 s25, s25, exec_lo
	;; [unrolled: 1-line block ×4, first 2 shown]
	s_or_b32 s21, s21, s26
	s_wait_xcnt 0x0
	s_or_b32 exec_lo, exec_lo, s0
	s_and_saveexec_b32 s0, s21
	s_cbranch_execz .LBB142_1823
.LBB142_1895:
	s_or_b32 s20, s20, exec_lo
	s_and_not1_b32 s23, s23, exec_lo
	s_trap 2
	s_or_b32 exec_lo, exec_lo, s0
	s_and_saveexec_b32 s0, s23
	s_delay_alu instid0(SALU_CYCLE_1)
	s_xor_b32 s0, exec_lo, s0
	s_cbranch_execnz .LBB142_1824
.LBB142_1896:
	s_or_b32 exec_lo, exec_lo, s0
	s_and_saveexec_b32 s0, s22
	s_cbranch_execz .LBB142_1942
.LBB142_1897:
	s_sext_i32_i16 s21, s1
	s_delay_alu instid0(SALU_CYCLE_1)
	s_cmp_lt_i32 s21, 5
	s_cbranch_scc1 .LBB142_1902
; %bb.1898:
	s_cmp_lt_i32 s21, 8
	s_cbranch_scc1 .LBB142_1903
; %bb.1899:
	;; [unrolled: 3-line block ×3, first 2 shown]
	s_cmp_gt_i32 s21, 9
	s_cbranch_scc0 .LBB142_1905
; %bb.1901:
	s_wait_loadcnt 0x0
	global_load_b64 v[8:9], v[0:1], off
	s_mov_b32 s21, 0
	s_branch .LBB142_1906
.LBB142_1902:
                                        ; implicit-def: $vgpr8_vgpr9
	s_branch .LBB142_1923
.LBB142_1903:
                                        ; implicit-def: $vgpr8_vgpr9
	s_branch .LBB142_1912
.LBB142_1904:
	s_mov_b32 s21, -1
                                        ; implicit-def: $vgpr8_vgpr9
	s_branch .LBB142_1909
.LBB142_1905:
	s_mov_b32 s21, -1
                                        ; implicit-def: $vgpr8_vgpr9
.LBB142_1906:
	s_delay_alu instid0(SALU_CYCLE_1)
	s_and_not1_b32 vcc_lo, exec_lo, s21
	s_cbranch_vccnz .LBB142_1908
; %bb.1907:
	s_wait_loadcnt 0x0
	global_load_b32 v6, v[0:1], off
	s_wait_loadcnt 0x0
	v_cvt_f64_f32_e32 v[8:9], v6
.LBB142_1908:
	s_mov_b32 s21, 0
.LBB142_1909:
	s_delay_alu instid0(SALU_CYCLE_1)
	s_and_not1_b32 vcc_lo, exec_lo, s21
	s_cbranch_vccnz .LBB142_1911
; %bb.1910:
	s_wait_loadcnt 0x0
	global_load_b32 v6, v[0:1], off
	s_wait_loadcnt 0x0
	v_cvt_f32_f16_e32 v6, v6
	s_delay_alu instid0(VALU_DEP_1)
	v_cvt_f64_f32_e32 v[8:9], v6
.LBB142_1911:
	s_cbranch_execnz .LBB142_1922
.LBB142_1912:
	s_sext_i32_i16 s21, s1
	s_delay_alu instid0(SALU_CYCLE_1)
	s_cmp_lt_i32 s21, 6
	s_cbranch_scc1 .LBB142_1915
; %bb.1913:
	s_cmp_gt_i32 s21, 6
	s_cbranch_scc0 .LBB142_1916
; %bb.1914:
	s_wait_loadcnt 0x0
	global_load_b64 v[8:9], v[0:1], off
	s_mov_b32 s21, 0
	s_branch .LBB142_1917
.LBB142_1915:
	s_mov_b32 s21, -1
                                        ; implicit-def: $vgpr8_vgpr9
	s_branch .LBB142_1920
.LBB142_1916:
	s_mov_b32 s21, -1
                                        ; implicit-def: $vgpr8_vgpr9
.LBB142_1917:
	s_delay_alu instid0(SALU_CYCLE_1)
	s_and_not1_b32 vcc_lo, exec_lo, s21
	s_cbranch_vccnz .LBB142_1919
; %bb.1918:
	s_wait_loadcnt 0x0
	global_load_b32 v6, v[0:1], off
	s_wait_loadcnt 0x0
	v_cvt_f64_f32_e32 v[8:9], v6
.LBB142_1919:
	s_mov_b32 s21, 0
.LBB142_1920:
	s_delay_alu instid0(SALU_CYCLE_1)
	s_and_not1_b32 vcc_lo, exec_lo, s21
	s_cbranch_vccnz .LBB142_1922
; %bb.1921:
	s_wait_loadcnt 0x0
	global_load_u16 v6, v[0:1], off
	s_wait_loadcnt 0x0
	v_cvt_f32_f16_e32 v6, v6
	s_delay_alu instid0(VALU_DEP_1)
	v_cvt_f64_f32_e32 v[8:9], v6
.LBB142_1922:
	s_cbranch_execnz .LBB142_1941
.LBB142_1923:
	s_sext_i32_i16 s21, s1
	s_delay_alu instid0(SALU_CYCLE_1)
	s_cmp_lt_i32 s21, 2
	s_cbranch_scc1 .LBB142_1927
; %bb.1924:
	s_cmp_lt_i32 s21, 3
	s_cbranch_scc1 .LBB142_1928
; %bb.1925:
	s_cmp_gt_i32 s21, 3
	s_cbranch_scc0 .LBB142_1929
; %bb.1926:
	s_wait_loadcnt 0x0
	global_load_b64 v[6:7], v[0:1], off
	s_mov_b32 s21, 0
	s_wait_loadcnt 0x0
	v_cvt_f64_i32_e32 v[8:9], v7
	v_cvt_f64_u32_e32 v[6:7], v6
	s_delay_alu instid0(VALU_DEP_2) | instskip(NEXT) | instid1(VALU_DEP_1)
	v_ldexp_f64 v[8:9], v[8:9], 32
	v_add_f64_e32 v[8:9], v[8:9], v[6:7]
	s_branch .LBB142_1930
.LBB142_1927:
                                        ; implicit-def: $vgpr8_vgpr9
	s_branch .LBB142_1936
.LBB142_1928:
	s_mov_b32 s21, -1
                                        ; implicit-def: $vgpr8_vgpr9
	s_branch .LBB142_1933
.LBB142_1929:
	s_mov_b32 s21, -1
                                        ; implicit-def: $vgpr8_vgpr9
.LBB142_1930:
	s_delay_alu instid0(SALU_CYCLE_1)
	s_and_not1_b32 vcc_lo, exec_lo, s21
	s_cbranch_vccnz .LBB142_1932
; %bb.1931:
	s_wait_loadcnt 0x0
	global_load_b32 v6, v[0:1], off
	s_wait_loadcnt 0x0
	v_cvt_f64_i32_e32 v[8:9], v6
.LBB142_1932:
	s_mov_b32 s21, 0
.LBB142_1933:
	s_delay_alu instid0(SALU_CYCLE_1)
	s_and_not1_b32 vcc_lo, exec_lo, s21
	s_cbranch_vccnz .LBB142_1935
; %bb.1934:
	s_wait_loadcnt 0x0
	global_load_i16 v6, v[0:1], off
	s_wait_loadcnt 0x0
	v_cvt_f64_i32_e32 v[8:9], v6
.LBB142_1935:
	s_cbranch_execnz .LBB142_1941
.LBB142_1936:
	s_sext_i32_i16 s21, s1
	s_delay_alu instid0(SALU_CYCLE_1)
	s_cmp_gt_i32 s21, 0
	s_mov_b32 s21, 0
	s_cbranch_scc0 .LBB142_1938
; %bb.1937:
	s_wait_loadcnt 0x0
	global_load_i8 v6, v[0:1], off
	s_wait_loadcnt 0x0
	v_cvt_f64_i32_e32 v[8:9], v6
	s_branch .LBB142_1939
.LBB142_1938:
	s_mov_b32 s21, -1
                                        ; implicit-def: $vgpr8_vgpr9
.LBB142_1939:
	s_delay_alu instid0(SALU_CYCLE_1)
	s_and_not1_b32 vcc_lo, exec_lo, s21
	s_cbranch_vccnz .LBB142_1941
; %bb.1940:
	s_wait_loadcnt 0x0
	global_load_u8 v0, v[0:1], off
	s_wait_loadcnt 0x0
	v_cvt_f64_u32_e32 v[8:9], v0
.LBB142_1941:
	s_or_b32 s25, s25, exec_lo
.LBB142_1942:
	s_wait_xcnt 0x0
	s_or_b32 exec_lo, exec_lo, s0
	s_mov_b32 s0, 0
	s_mov_b32 s23, 0
                                        ; implicit-def: $sgpr21
                                        ; implicit-def: $vgpr6_vgpr7
                                        ; implicit-def: $vgpr0_vgpr1
	s_and_saveexec_b32 s22, s25
	s_cbranch_execz .LBB142_1950
; %bb.1943:
	s_wait_loadcnt 0x0
	s_delay_alu instid0(VALU_DEP_1) | instskip(NEXT) | instid1(VALU_DEP_2)
	v_max_num_f64_e32 v[0:1], v[4:5], v[4:5]
	v_cmp_u_f64_e32 vcc_lo, v[8:9], v[8:9]
	v_max_num_f64_e32 v[6:7], v[2:3], v[2:3]
	v_max_num_f64_e32 v[10:11], v[8:9], v[8:9]
	s_and_b32 s21, s2, 0xff
	s_delay_alu instid0(SALU_CYCLE_1) | instskip(NEXT) | instid1(VALU_DEP_2)
	s_cmp_lt_i32 s21, 11
	v_max_num_f64_e32 v[0:1], v[6:7], v[0:1]
	s_delay_alu instid0(VALU_DEP_1) | instskip(NEXT) | instid1(VALU_DEP_1)
	v_min_num_f64_e32 v[0:1], v[0:1], v[10:11]
	v_dual_cndmask_b32 v1, v1, v9 :: v_dual_cndmask_b32 v0, v0, v8
	v_cmp_u_f64_e32 vcc_lo, v[4:5], v[4:5]
	s_delay_alu instid0(VALU_DEP_2) | instskip(SKIP_2) | instid1(VALU_DEP_1)
	v_dual_cndmask_b32 v5, v1, v5 :: v_dual_cndmask_b32 v4, v0, v4
	v_cmp_u_f64_e32 vcc_lo, v[2:3], v[2:3]
	v_mul_lo_u32 v0, v26, s12
	v_ashrrev_i32_e32 v1, 31, v0
	s_delay_alu instid0(VALU_DEP_1)
	v_add_nc_u64_e32 v[6:7], s[4:5], v[0:1]
	v_dual_cndmask_b32 v1, v5, v3 :: v_dual_cndmask_b32 v0, v4, v2
	s_cbranch_scc1 .LBB142_1953
; %bb.1944:
	s_and_b32 s23, 0xffff, s21
	s_mov_b32 s24, -1
	s_cmp_gt_i32 s23, 25
	s_mov_b32 s0, s19
	s_cbranch_scc0 .LBB142_1981
; %bb.1945:
	s_cmp_gt_i32 s23, 28
	s_mov_b32 s0, s19
	s_cbranch_scc0 .LBB142_1965
; %bb.1946:
	;; [unrolled: 4-line block ×4, first 2 shown]
	s_cmp_eq_u32 s23, 46
	s_mov_b32 s0, -1
	s_cbranch_scc0 .LBB142_1954
; %bb.1949:
	v_cvt_f32_f64_e32 v2, v[0:1]
	s_mov_b32 s0, 0
	s_mov_b32 s24, 0
	s_delay_alu instid0(VALU_DEP_1) | instskip(SKIP_1) | instid1(VALU_DEP_2)
	v_bfe_u32 v3, v2, 16, 1
	v_cmp_o_f32_e32 vcc_lo, v2, v2
	v_add3_u32 v3, v2, v3, 0x7fff
	s_delay_alu instid0(VALU_DEP_1) | instskip(NEXT) | instid1(VALU_DEP_1)
	v_lshrrev_b32_e32 v3, 16, v3
	v_cndmask_b32_e32 v2, 0x7fc0, v3, vcc_lo
	global_store_b32 v[6:7], v2, off
	s_branch .LBB142_1955
.LBB142_1950:
	s_or_b32 exec_lo, exec_lo, s22
	s_and_saveexec_b32 s22, s19
	s_cbranch_execnz .LBB142_2023
.LBB142_1951:
	s_or_b32 exec_lo, exec_lo, s22
	s_and_saveexec_b32 s19, s0
	s_delay_alu instid0(SALU_CYCLE_1)
	s_xor_b32 s0, exec_lo, s19
	s_cbranch_execz .LBB142_2024
.LBB142_1952:
	s_wait_loadcnt 0x0
	v_cmp_neq_f64_e32 vcc_lo, 0, v[0:1]
	v_cndmask_b32_e64 v2, 0, 1, vcc_lo
	global_store_b8 v[6:7], v2, off
	s_wait_xcnt 0x0
	s_or_b32 exec_lo, exec_lo, s0
	s_and_saveexec_b32 s0, s23
	s_delay_alu instid0(SALU_CYCLE_1)
	s_xor_b32 s0, exec_lo, s0
	s_cbranch_execz .LBB142_2062
	s_branch .LBB142_2025
.LBB142_1953:
	s_mov_b32 s25, 0
	s_mov_b32 s24, -1
	s_mov_b32 s0, s19
	s_branch .LBB142_2022
.LBB142_1954:
	s_mov_b32 s24, 0
.LBB142_1955:
	s_delay_alu instid0(SALU_CYCLE_1)
	s_and_b32 vcc_lo, exec_lo, s24
	s_cbranch_vccz .LBB142_1960
; %bb.1956:
	s_cmp_eq_u32 s23, 44
	s_mov_b32 s0, -1
	s_cbranch_scc0 .LBB142_1960
; %bb.1957:
	s_wait_xcnt 0x0
	v_cvt_f32_f64_e32 v2, v[0:1]
	v_mov_b32_e32 v3, 0xff
	s_mov_b32 s24, exec_lo
	s_delay_alu instid0(VALU_DEP_2) | instskip(NEXT) | instid1(VALU_DEP_1)
	v_bfe_u32 v4, v2, 23, 8
	v_cmpx_ne_u32_e32 0xff, v4
	s_cbranch_execz .LBB142_1959
; %bb.1958:
	v_and_b32_e32 v3, 0x400000, v2
	v_and_or_b32 v4, 0x3fffff, v2, v4
	v_lshrrev_b32_e32 v2, 23, v2
	s_delay_alu instid0(VALU_DEP_3) | instskip(NEXT) | instid1(VALU_DEP_3)
	v_cmp_ne_u32_e32 vcc_lo, 0, v3
	v_cmp_ne_u32_e64 s0, 0, v4
	s_and_b32 s0, vcc_lo, s0
	s_delay_alu instid0(SALU_CYCLE_1) | instskip(NEXT) | instid1(VALU_DEP_1)
	v_cndmask_b32_e64 v3, 0, 1, s0
	v_add_nc_u32_e32 v3, v2, v3
.LBB142_1959:
	s_or_b32 exec_lo, exec_lo, s24
	s_mov_b32 s0, 0
	global_store_b8 v[6:7], v3, off
.LBB142_1960:
	s_mov_b32 s24, 0
.LBB142_1961:
	s_delay_alu instid0(SALU_CYCLE_1)
	s_and_b32 vcc_lo, exec_lo, s24
	s_cbranch_vccz .LBB142_1964
; %bb.1962:
	s_cmp_eq_u32 s23, 29
	s_mov_b32 s0, -1
	s_cbranch_scc0 .LBB142_1964
; %bb.1963:
	s_wait_xcnt 0x0
	v_trunc_f64_e32 v[2:3], v[0:1]
	s_mov_b32 s0, 0
	s_mov_b32 s24, 0
	s_delay_alu instid0(VALU_DEP_1) | instskip(NEXT) | instid1(VALU_DEP_1)
	v_ldexp_f64 v[4:5], v[2:3], 0xffffffe0
	v_floor_f64_e32 v[4:5], v[4:5]
	s_delay_alu instid0(VALU_DEP_1) | instskip(SKIP_1) | instid1(VALU_DEP_2)
	v_fmamk_f64 v[2:3], v[4:5], 0xc1f00000, v[2:3]
	v_cvt_u32_f64_e32 v5, v[4:5]
	v_cvt_u32_f64_e32 v4, v[2:3]
	global_store_b64 v[6:7], v[4:5], off
	s_branch .LBB142_1965
.LBB142_1964:
	s_mov_b32 s24, 0
.LBB142_1965:
	s_delay_alu instid0(SALU_CYCLE_1)
	s_and_b32 vcc_lo, exec_lo, s24
	s_cbranch_vccz .LBB142_1980
; %bb.1966:
	s_cmp_lt_i32 s23, 27
	s_mov_b32 s24, -1
	s_cbranch_scc1 .LBB142_1972
; %bb.1967:
	s_wait_xcnt 0x0
	v_cvt_u32_f64_e32 v2, v[0:1]
	s_cmp_gt_i32 s23, 27
	s_cbranch_scc0 .LBB142_1969
; %bb.1968:
	s_mov_b32 s24, 0
	global_store_b32 v[6:7], v2, off
.LBB142_1969:
	s_and_not1_b32 vcc_lo, exec_lo, s24
	s_cbranch_vccnz .LBB142_1971
; %bb.1970:
	global_store_b16 v[6:7], v2, off
.LBB142_1971:
	s_mov_b32 s24, 0
.LBB142_1972:
	s_delay_alu instid0(SALU_CYCLE_1)
	s_and_not1_b32 vcc_lo, exec_lo, s24
	s_cbranch_vccnz .LBB142_1980
; %bb.1973:
	s_wait_xcnt 0x0
	v_cvt_f32_f64_e32 v2, v[0:1]
	v_mov_b32_e32 v4, 0x80
	s_mov_b32 s24, exec_lo
	s_delay_alu instid0(VALU_DEP_2) | instskip(NEXT) | instid1(VALU_DEP_1)
	v_and_b32_e32 v3, 0x7fffffff, v2
	v_cmpx_gt_u32_e32 0x43800000, v3
	s_cbranch_execz .LBB142_1979
; %bb.1974:
	v_cmp_lt_u32_e32 vcc_lo, 0x3bffffff, v3
	s_mov_b32 s25, 0
                                        ; implicit-def: $vgpr3
	s_and_saveexec_b32 s26, vcc_lo
	s_delay_alu instid0(SALU_CYCLE_1)
	s_xor_b32 s26, exec_lo, s26
	s_cbranch_execz .LBB142_2077
; %bb.1975:
	v_bfe_u32 v3, v2, 20, 1
	s_mov_b32 s25, exec_lo
	s_delay_alu instid0(VALU_DEP_1) | instskip(NEXT) | instid1(VALU_DEP_1)
	v_add3_u32 v3, v2, v3, 0x487ffff
	v_lshrrev_b32_e32 v3, 20, v3
	s_and_not1_saveexec_b32 s26, s26
	s_cbranch_execnz .LBB142_2078
.LBB142_1976:
	s_or_b32 exec_lo, exec_lo, s26
	v_mov_b32_e32 v4, 0
	s_and_saveexec_b32 s26, s25
.LBB142_1977:
	v_lshrrev_b32_e32 v2, 24, v2
	s_delay_alu instid0(VALU_DEP_1)
	v_and_or_b32 v4, 0x80, v2, v3
.LBB142_1978:
	s_or_b32 exec_lo, exec_lo, s26
.LBB142_1979:
	s_delay_alu instid0(SALU_CYCLE_1)
	s_or_b32 exec_lo, exec_lo, s24
	global_store_b8 v[6:7], v4, off
.LBB142_1980:
	s_mov_b32 s24, 0
.LBB142_1981:
	s_delay_alu instid0(SALU_CYCLE_1)
	s_and_b32 vcc_lo, exec_lo, s24
	s_mov_b32 s24, 0
	s_cbranch_vccz .LBB142_2021
; %bb.1982:
	s_cmp_gt_i32 s23, 22
	s_mov_b32 s25, -1
	s_cbranch_scc0 .LBB142_2014
; %bb.1983:
	s_cmp_lt_i32 s23, 24
	s_cbranch_scc1 .LBB142_2003
; %bb.1984:
	s_cmp_gt_i32 s23, 24
	s_cbranch_scc0 .LBB142_1992
; %bb.1985:
	s_wait_xcnt 0x0
	v_cvt_f32_f64_e32 v2, v[0:1]
	v_mov_b32_e32 v4, 0x80
	s_mov_b32 s25, exec_lo
	s_delay_alu instid0(VALU_DEP_2) | instskip(NEXT) | instid1(VALU_DEP_1)
	v_and_b32_e32 v3, 0x7fffffff, v2
	v_cmpx_gt_u32_e32 0x47800000, v3
	s_cbranch_execz .LBB142_1991
; %bb.1986:
	v_cmp_lt_u32_e32 vcc_lo, 0x37ffffff, v3
	s_mov_b32 s26, 0
                                        ; implicit-def: $vgpr3
	s_and_saveexec_b32 s27, vcc_lo
	s_delay_alu instid0(SALU_CYCLE_1)
	s_xor_b32 s27, exec_lo, s27
	s_cbranch_execz .LBB142_2203
; %bb.1987:
	v_bfe_u32 v3, v2, 21, 1
	s_mov_b32 s26, exec_lo
	s_delay_alu instid0(VALU_DEP_1) | instskip(NEXT) | instid1(VALU_DEP_1)
	v_add3_u32 v3, v2, v3, 0x88fffff
	v_lshrrev_b32_e32 v3, 21, v3
	s_and_not1_saveexec_b32 s27, s27
	s_cbranch_execnz .LBB142_2204
.LBB142_1988:
	s_or_b32 exec_lo, exec_lo, s27
	v_mov_b32_e32 v4, 0
	s_and_saveexec_b32 s27, s26
.LBB142_1989:
	v_lshrrev_b32_e32 v2, 24, v2
	s_delay_alu instid0(VALU_DEP_1)
	v_and_or_b32 v4, 0x80, v2, v3
.LBB142_1990:
	s_or_b32 exec_lo, exec_lo, s27
.LBB142_1991:
	s_delay_alu instid0(SALU_CYCLE_1)
	s_or_b32 exec_lo, exec_lo, s25
	s_mov_b32 s25, 0
	global_store_b8 v[6:7], v4, off
.LBB142_1992:
	s_and_b32 vcc_lo, exec_lo, s25
	s_cbranch_vccz .LBB142_2002
; %bb.1993:
	s_wait_xcnt 0x0
	v_cvt_f32_f64_e32 v2, v[0:1]
	s_mov_b32 s25, exec_lo
                                        ; implicit-def: $vgpr3
	s_delay_alu instid0(VALU_DEP_1) | instskip(NEXT) | instid1(VALU_DEP_1)
	v_and_b32_e32 v4, 0x7fffffff, v2
	v_cmpx_gt_u32_e32 0x43f00000, v4
	s_xor_b32 s25, exec_lo, s25
	s_cbranch_execz .LBB142_1999
; %bb.1994:
	s_mov_b32 s26, exec_lo
                                        ; implicit-def: $vgpr3
	v_cmpx_lt_u32_e32 0x3c7fffff, v4
	s_xor_b32 s26, exec_lo, s26
; %bb.1995:
	v_bfe_u32 v3, v2, 20, 1
	s_delay_alu instid0(VALU_DEP_1) | instskip(NEXT) | instid1(VALU_DEP_1)
	v_add3_u32 v3, v2, v3, 0x407ffff
	v_and_b32_e32 v4, 0xff00000, v3
	v_lshrrev_b32_e32 v3, 20, v3
	s_delay_alu instid0(VALU_DEP_2) | instskip(NEXT) | instid1(VALU_DEP_2)
	v_cmp_ne_u32_e32 vcc_lo, 0x7f00000, v4
	v_cndmask_b32_e32 v3, 0x7e, v3, vcc_lo
; %bb.1996:
	s_and_not1_saveexec_b32 s26, s26
; %bb.1997:
	v_add_f32_e64 v3, 0x46800000, |v2|
; %bb.1998:
	s_or_b32 exec_lo, exec_lo, s26
                                        ; implicit-def: $vgpr4
.LBB142_1999:
	s_and_not1_saveexec_b32 s25, s25
; %bb.2000:
	v_mov_b32_e32 v3, 0x7f
	v_cmp_lt_u32_e32 vcc_lo, 0x7f800000, v4
	s_delay_alu instid0(VALU_DEP_2)
	v_cndmask_b32_e32 v3, 0x7e, v3, vcc_lo
; %bb.2001:
	s_or_b32 exec_lo, exec_lo, s25
	v_lshrrev_b32_e32 v2, 24, v2
	s_delay_alu instid0(VALU_DEP_1)
	v_and_or_b32 v2, 0x80, v2, v3
	global_store_b8 v[6:7], v2, off
.LBB142_2002:
	s_mov_b32 s25, 0
.LBB142_2003:
	s_delay_alu instid0(SALU_CYCLE_1)
	s_and_not1_b32 vcc_lo, exec_lo, s25
	s_cbranch_vccnz .LBB142_2013
; %bb.2004:
	s_wait_xcnt 0x0
	v_cvt_f32_f64_e32 v2, v[0:1]
	s_mov_b32 s25, exec_lo
                                        ; implicit-def: $vgpr3
	s_delay_alu instid0(VALU_DEP_1) | instskip(NEXT) | instid1(VALU_DEP_1)
	v_and_b32_e32 v4, 0x7fffffff, v2
	v_cmpx_gt_u32_e32 0x47800000, v4
	s_xor_b32 s25, exec_lo, s25
	s_cbranch_execz .LBB142_2010
; %bb.2005:
	s_mov_b32 s26, exec_lo
                                        ; implicit-def: $vgpr3
	v_cmpx_lt_u32_e32 0x387fffff, v4
	s_xor_b32 s26, exec_lo, s26
; %bb.2006:
	v_bfe_u32 v3, v2, 21, 1
	s_delay_alu instid0(VALU_DEP_1) | instskip(NEXT) | instid1(VALU_DEP_1)
	v_add3_u32 v3, v2, v3, 0x80fffff
	v_lshrrev_b32_e32 v3, 21, v3
; %bb.2007:
	s_and_not1_saveexec_b32 s26, s26
; %bb.2008:
	v_add_f32_e64 v3, 0x43000000, |v2|
; %bb.2009:
	s_or_b32 exec_lo, exec_lo, s26
                                        ; implicit-def: $vgpr4
.LBB142_2010:
	s_and_not1_saveexec_b32 s25, s25
; %bb.2011:
	v_mov_b32_e32 v3, 0x7f
	v_cmp_lt_u32_e32 vcc_lo, 0x7f800000, v4
	s_delay_alu instid0(VALU_DEP_2)
	v_cndmask_b32_e32 v3, 0x7c, v3, vcc_lo
; %bb.2012:
	s_or_b32 exec_lo, exec_lo, s25
	v_lshrrev_b32_e32 v2, 24, v2
	s_delay_alu instid0(VALU_DEP_1)
	v_and_or_b32 v2, 0x80, v2, v3
	global_store_b8 v[6:7], v2, off
.LBB142_2013:
	s_mov_b32 s25, 0
.LBB142_2014:
	s_delay_alu instid0(SALU_CYCLE_1)
	s_and_not1_b32 vcc_lo, exec_lo, s25
	s_mov_b32 s25, 0
	s_cbranch_vccnz .LBB142_2022
; %bb.2015:
	s_cmp_gt_i32 s23, 14
	s_mov_b32 s25, -1
	s_cbranch_scc0 .LBB142_2019
; %bb.2016:
	s_cmp_eq_u32 s23, 15
	s_mov_b32 s0, -1
	s_cbranch_scc0 .LBB142_2018
; %bb.2017:
	s_wait_xcnt 0x0
	v_cvt_f32_f64_e32 v2, v[0:1]
	s_mov_b32 s0, 0
	s_delay_alu instid0(VALU_DEP_1) | instskip(SKIP_1) | instid1(VALU_DEP_2)
	v_bfe_u32 v3, v2, 16, 1
	v_cmp_o_f32_e32 vcc_lo, v2, v2
	v_add3_u32 v3, v2, v3, 0x7fff
	s_delay_alu instid0(VALU_DEP_1) | instskip(NEXT) | instid1(VALU_DEP_1)
	v_lshrrev_b32_e32 v3, 16, v3
	v_cndmask_b32_e32 v2, 0x7fc0, v3, vcc_lo
	global_store_b16 v[6:7], v2, off
.LBB142_2018:
	s_mov_b32 s25, 0
.LBB142_2019:
	s_delay_alu instid0(SALU_CYCLE_1)
	s_and_b32 vcc_lo, exec_lo, s25
	s_mov_b32 s25, 0
	s_cbranch_vccz .LBB142_2022
; %bb.2020:
	s_cmp_lg_u32 s23, 11
	s_mov_b32 s25, -1
	s_cselect_b32 s23, -1, 0
	s_and_not1_b32 s0, s0, exec_lo
	s_and_b32 s23, s23, exec_lo
	s_delay_alu instid0(SALU_CYCLE_1)
	s_or_b32 s0, s0, s23
	s_branch .LBB142_2022
.LBB142_2021:
	s_mov_b32 s25, 0
.LBB142_2022:
	s_and_b32 s23, s24, exec_lo
	s_and_not1_b32 s19, s19, exec_lo
	s_and_b32 s24, s0, exec_lo
	s_and_b32 s0, s25, exec_lo
	s_or_b32 s19, s19, s24
	s_wait_xcnt 0x0
	s_or_b32 exec_lo, exec_lo, s22
	s_and_saveexec_b32 s22, s19
	s_cbranch_execz .LBB142_1951
.LBB142_2023:
	s_or_b32 s20, s20, exec_lo
	s_and_not1_b32 s0, s0, exec_lo
	s_trap 2
	s_or_b32 exec_lo, exec_lo, s22
	s_and_saveexec_b32 s19, s0
	s_delay_alu instid0(SALU_CYCLE_1)
	s_xor_b32 s0, exec_lo, s19
	s_cbranch_execnz .LBB142_1952
.LBB142_2024:
	s_or_b32 exec_lo, exec_lo, s0
	s_and_saveexec_b32 s0, s23
	s_delay_alu instid0(SALU_CYCLE_1)
	s_xor_b32 s0, exec_lo, s0
	s_cbranch_execz .LBB142_2062
.LBB142_2025:
	s_sext_i32_i16 s22, s21
	s_mov_b32 s19, -1
	s_cmp_lt_i32 s22, 5
	s_cbranch_scc1 .LBB142_2046
; %bb.2026:
	s_cmp_lt_i32 s22, 8
	s_cbranch_scc1 .LBB142_2036
; %bb.2027:
	;; [unrolled: 3-line block ×3, first 2 shown]
	s_cmp_gt_i32 s22, 9
	s_cbranch_scc0 .LBB142_2030
; %bb.2029:
	s_wait_loadcnt 0x0
	v_mov_b32_e32 v2, 0
	s_mov_b32 s19, 0
	s_delay_alu instid0(VALU_DEP_1)
	v_mov_b32_e32 v3, v2
	global_store_b128 v[6:7], v[0:3], off
.LBB142_2030:
	s_and_not1_b32 vcc_lo, exec_lo, s19
	s_cbranch_vccnz .LBB142_2032
; %bb.2031:
	s_wait_loadcnt 0x0
	v_cvt_f32_f64_e32 v2, v[0:1]
	v_mov_b32_e32 v3, 0
	global_store_b64 v[6:7], v[2:3], off
.LBB142_2032:
	s_mov_b32 s19, 0
.LBB142_2033:
	s_delay_alu instid0(SALU_CYCLE_1)
	s_and_not1_b32 vcc_lo, exec_lo, s19
	s_cbranch_vccnz .LBB142_2035
; %bb.2034:
	s_wait_loadcnt 0x0
	v_and_or_b32 v2, 0x1ff, v1, v0
	v_lshrrev_b32_e32 v3, 8, v1
	v_bfe_u32 v4, v1, 20, 11
	s_delay_alu instid0(VALU_DEP_3) | instskip(NEXT) | instid1(VALU_DEP_2)
	v_cmp_ne_u32_e32 vcc_lo, 0, v2
	v_sub_nc_u32_e32 v5, 0x3f1, v4
	v_add_nc_u32_e32 v4, 0xfffffc10, v4
	v_cndmask_b32_e64 v2, 0, 1, vcc_lo
	s_delay_alu instid0(VALU_DEP_1) | instskip(NEXT) | instid1(VALU_DEP_4)
	v_and_or_b32 v2, 0xffe, v3, v2
	v_med3_i32 v3, v5, 0, 13
	s_delay_alu instid0(VALU_DEP_2) | instskip(NEXT) | instid1(VALU_DEP_1)
	v_or_b32_e32 v5, 0x1000, v2
	v_lshrrev_b32_e32 v8, v3, v5
	s_delay_alu instid0(VALU_DEP_1) | instskip(NEXT) | instid1(VALU_DEP_1)
	v_lshlrev_b32_e32 v3, v3, v8
	v_cmp_ne_u32_e32 vcc_lo, v3, v5
	v_lshl_or_b32 v5, v4, 12, v2
	v_cndmask_b32_e64 v3, 0, 1, vcc_lo
	v_cmp_gt_i32_e32 vcc_lo, 1, v4
	s_delay_alu instid0(VALU_DEP_2) | instskip(NEXT) | instid1(VALU_DEP_1)
	v_or_b32_e32 v3, v8, v3
	v_cndmask_b32_e32 v3, v5, v3, vcc_lo
	s_delay_alu instid0(VALU_DEP_1) | instskip(NEXT) | instid1(VALU_DEP_1)
	v_dual_lshrrev_b32 v3, 2, v3 :: v_dual_bitop2_b32 v5, 7, v3 bitop3:0x40
	v_cmp_lt_i32_e32 vcc_lo, 5, v5
	v_cndmask_b32_e64 v8, 0, 1, vcc_lo
	v_cmp_eq_u32_e32 vcc_lo, 3, v5
	v_cndmask_b32_e64 v5, 0, 1, vcc_lo
	v_cmp_ne_u32_e32 vcc_lo, 0, v2
	s_delay_alu instid0(VALU_DEP_2) | instskip(NEXT) | instid1(VALU_DEP_1)
	v_or_b32_e32 v5, v5, v8
	v_dual_mov_b32 v8, 0x7e00 :: v_dual_add_nc_u32 v3, v3, v5
	s_delay_alu instid0(VALU_DEP_1) | instskip(SKIP_2) | instid1(VALU_DEP_4)
	v_cndmask_b32_e32 v2, 0x7c00, v8, vcc_lo
	v_cmp_gt_i32_e32 vcc_lo, 31, v4
	v_lshrrev_b32_e32 v5, 16, v1
	v_cndmask_b32_e32 v3, 0x7c00, v3, vcc_lo
	v_cmp_eq_u32_e32 vcc_lo, 0x40f, v4
	s_delay_alu instid0(VALU_DEP_2) | instskip(NEXT) | instid1(VALU_DEP_4)
	v_cndmask_b32_e32 v2, v3, v2, vcc_lo
	v_and_b32_e32 v3, 0x8000, v5
	s_delay_alu instid0(VALU_DEP_1)
	v_bitop3_b32 v2, v3, 0xffff, v2 bitop3:0xc8
	global_store_b32 v[6:7], v2, off
.LBB142_2035:
	s_mov_b32 s19, 0
.LBB142_2036:
	s_delay_alu instid0(SALU_CYCLE_1)
	s_and_not1_b32 vcc_lo, exec_lo, s19
	s_cbranch_vccnz .LBB142_2045
; %bb.2037:
	s_sext_i32_i16 s22, s21
	s_mov_b32 s19, -1
	s_cmp_lt_i32 s22, 6
	s_cbranch_scc1 .LBB142_2043
; %bb.2038:
	s_cmp_gt_i32 s22, 6
	s_cbranch_scc0 .LBB142_2040
; %bb.2039:
	s_mov_b32 s19, 0
	s_wait_loadcnt 0x0
	global_store_b64 v[6:7], v[0:1], off
.LBB142_2040:
	s_and_not1_b32 vcc_lo, exec_lo, s19
	s_cbranch_vccnz .LBB142_2042
; %bb.2041:
	s_wait_loadcnt 0x0
	v_cvt_f32_f64_e32 v2, v[0:1]
	global_store_b32 v[6:7], v2, off
.LBB142_2042:
	s_mov_b32 s19, 0
.LBB142_2043:
	s_delay_alu instid0(SALU_CYCLE_1)
	s_and_not1_b32 vcc_lo, exec_lo, s19
	s_cbranch_vccnz .LBB142_2045
; %bb.2044:
	s_wait_loadcnt 0x0
	v_and_or_b32 v2, 0x1ff, v1, v0
	v_lshrrev_b32_e32 v3, 8, v1
	v_bfe_u32 v4, v1, 20, 11
	s_delay_alu instid0(VALU_DEP_3) | instskip(NEXT) | instid1(VALU_DEP_2)
	v_cmp_ne_u32_e32 vcc_lo, 0, v2
	v_sub_nc_u32_e32 v5, 0x3f1, v4
	v_add_nc_u32_e32 v4, 0xfffffc10, v4
	v_cndmask_b32_e64 v2, 0, 1, vcc_lo
	s_delay_alu instid0(VALU_DEP_1) | instskip(NEXT) | instid1(VALU_DEP_4)
	v_and_or_b32 v2, 0xffe, v3, v2
	v_med3_i32 v3, v5, 0, 13
	s_delay_alu instid0(VALU_DEP_2) | instskip(NEXT) | instid1(VALU_DEP_1)
	v_or_b32_e32 v5, 0x1000, v2
	v_lshrrev_b32_e32 v8, v3, v5
	s_delay_alu instid0(VALU_DEP_1) | instskip(NEXT) | instid1(VALU_DEP_1)
	v_lshlrev_b32_e32 v3, v3, v8
	v_cmp_ne_u32_e32 vcc_lo, v3, v5
	v_lshl_or_b32 v5, v4, 12, v2
	v_cndmask_b32_e64 v3, 0, 1, vcc_lo
	v_cmp_gt_i32_e32 vcc_lo, 1, v4
	s_delay_alu instid0(VALU_DEP_2) | instskip(NEXT) | instid1(VALU_DEP_1)
	v_or_b32_e32 v3, v8, v3
	v_cndmask_b32_e32 v3, v5, v3, vcc_lo
	s_delay_alu instid0(VALU_DEP_1) | instskip(NEXT) | instid1(VALU_DEP_1)
	v_dual_lshrrev_b32 v3, 2, v3 :: v_dual_bitop2_b32 v5, 7, v3 bitop3:0x40
	v_cmp_lt_i32_e32 vcc_lo, 5, v5
	v_cndmask_b32_e64 v8, 0, 1, vcc_lo
	v_cmp_eq_u32_e32 vcc_lo, 3, v5
	v_cndmask_b32_e64 v5, 0, 1, vcc_lo
	v_cmp_ne_u32_e32 vcc_lo, 0, v2
	s_delay_alu instid0(VALU_DEP_2) | instskip(NEXT) | instid1(VALU_DEP_1)
	v_or_b32_e32 v5, v5, v8
	v_dual_mov_b32 v8, 0x7e00 :: v_dual_add_nc_u32 v3, v3, v5
	s_delay_alu instid0(VALU_DEP_1) | instskip(SKIP_1) | instid1(VALU_DEP_3)
	v_cndmask_b32_e32 v2, 0x7c00, v8, vcc_lo
	v_cmp_gt_i32_e32 vcc_lo, 31, v4
	v_cndmask_b32_e32 v3, 0x7c00, v3, vcc_lo
	v_cmp_eq_u32_e32 vcc_lo, 0x40f, v4
	s_delay_alu instid0(VALU_DEP_2) | instskip(NEXT) | instid1(VALU_DEP_1)
	v_dual_cndmask_b32 v2, v3, v2 :: v_dual_lshrrev_b32 v3, 16, v1
	v_and_or_b32 v2, 0x8000, v3, v2
	global_store_b16 v[6:7], v2, off
.LBB142_2045:
	s_mov_b32 s19, 0
.LBB142_2046:
	s_delay_alu instid0(SALU_CYCLE_1)
	s_and_not1_b32 vcc_lo, exec_lo, s19
	s_cbranch_vccnz .LBB142_2062
; %bb.2047:
	s_sext_i32_i16 s22, s21
	s_mov_b32 s19, -1
	s_cmp_lt_i32 s22, 2
	s_cbranch_scc1 .LBB142_2057
; %bb.2048:
	s_cmp_lt_i32 s22, 3
	s_cbranch_scc1 .LBB142_2054
; %bb.2049:
	s_cmp_gt_i32 s22, 3
	s_cbranch_scc0 .LBB142_2051
; %bb.2050:
	s_wait_loadcnt 0x0
	v_trunc_f64_e32 v[2:3], v[0:1]
	s_mov_b32 s19, 0
	s_delay_alu instid0(VALU_DEP_1) | instskip(NEXT) | instid1(VALU_DEP_1)
	v_ldexp_f64 v[4:5], v[2:3], 0xffffffe0
	v_floor_f64_e32 v[4:5], v[4:5]
	s_delay_alu instid0(VALU_DEP_1) | instskip(SKIP_1) | instid1(VALU_DEP_2)
	v_fmamk_f64 v[2:3], v[4:5], 0xc1f00000, v[2:3]
	v_cvt_i32_f64_e32 v5, v[4:5]
	v_cvt_u32_f64_e32 v4, v[2:3]
	global_store_b64 v[6:7], v[4:5], off
.LBB142_2051:
	s_and_not1_b32 vcc_lo, exec_lo, s19
	s_cbranch_vccnz .LBB142_2053
; %bb.2052:
	s_wait_loadcnt 0x0
	v_cvt_i32_f64_e32 v2, v[0:1]
	global_store_b32 v[6:7], v2, off
.LBB142_2053:
	s_mov_b32 s19, 0
.LBB142_2054:
	s_delay_alu instid0(SALU_CYCLE_1)
	s_and_not1_b32 vcc_lo, exec_lo, s19
	s_cbranch_vccnz .LBB142_2056
; %bb.2055:
	s_wait_loadcnt 0x0
	v_cvt_i32_f64_e32 v2, v[0:1]
	global_store_b16 v[6:7], v2, off
.LBB142_2056:
	s_mov_b32 s19, 0
.LBB142_2057:
	s_delay_alu instid0(SALU_CYCLE_1)
	s_and_not1_b32 vcc_lo, exec_lo, s19
	s_cbranch_vccnz .LBB142_2062
; %bb.2058:
	s_sext_i32_i16 s19, s21
	s_delay_alu instid0(SALU_CYCLE_1)
	s_cmp_gt_i32 s19, 0
	s_mov_b32 s19, -1
	s_cbranch_scc0 .LBB142_2060
; %bb.2059:
	s_wait_loadcnt 0x0
	v_cvt_i32_f64_e32 v2, v[0:1]
	s_mov_b32 s19, 0
	global_store_b8 v[6:7], v2, off
.LBB142_2060:
	s_and_not1_b32 vcc_lo, exec_lo, s19
	s_cbranch_vccnz .LBB142_2062
; %bb.2061:
	s_wait_loadcnt 0x0
	v_trunc_f64_e32 v[0:1], v[0:1]
	s_delay_alu instid0(VALU_DEP_1) | instskip(NEXT) | instid1(VALU_DEP_1)
	v_ldexp_f64 v[2:3], v[0:1], 0xffffffe0
	v_floor_f64_e32 v[2:3], v[2:3]
	s_delay_alu instid0(VALU_DEP_1) | instskip(NEXT) | instid1(VALU_DEP_1)
	v_fmamk_f64 v[0:1], v[2:3], 0xc1f00000, v[0:1]
	v_cvt_u32_f64_e32 v0, v[0:1]
	global_store_b8 v[6:7], v0, off
.LBB142_2062:
	s_wait_xcnt 0x0
	s_or_b32 exec_lo, exec_lo, s0
	s_delay_alu instid0(SALU_CYCLE_1)
	s_and_b32 s19, s20, exec_lo
                                        ; implicit-def: $vgpr26
.LBB142_2063:
	s_or_saveexec_b32 s18, s18
	s_mov_b32 s0, 0
                                        ; implicit-def: $sgpr20
                                        ; implicit-def: $vgpr4_vgpr5
                                        ; implicit-def: $vgpr0_vgpr1
	s_xor_b32 exec_lo, exec_lo, s18
	s_cbranch_execz .LBB142_4067
; %bb.2064:
	s_wait_loadcnt 0x0
	v_mul_lo_u32 v4, s13, v26
	s_and_b32 s17, s17, 0xff
	s_delay_alu instid0(SALU_CYCLE_1) | instskip(NEXT) | instid1(VALU_DEP_1)
	s_cmp_lt_i32 s17, 11
	v_ashrrev_i32_e32 v5, 31, v4
	s_delay_alu instid0(VALU_DEP_1)
	v_add_nc_u64_e32 v[2:3], s[6:7], v[4:5]
	s_cbranch_scc1 .LBB142_2071
; %bb.2065:
	s_and_b32 s0, 0xffff, s17
	s_mov_b32 s20, 0
	s_cmp_gt_i32 s0, 25
	s_cbranch_scc0 .LBB142_2073
; %bb.2066:
	s_cmp_gt_i32 s0, 28
	s_cbranch_scc0 .LBB142_2074
; %bb.2067:
	;; [unrolled: 3-line block ×4, first 2 shown]
	s_cmp_eq_u32 s0, 46
	s_mov_b32 s22, 0
	s_cbranch_scc0 .LBB142_2079
; %bb.2070:
	global_load_b32 v0, v[2:3], off
	s_mov_b32 s21, -1
	s_wait_loadcnt 0x0
	v_lshlrev_b32_e32 v0, 16, v0
	s_delay_alu instid0(VALU_DEP_1)
	v_cvt_f64_f32_e32 v[0:1], v0
	s_branch .LBB142_2081
.LBB142_2071:
	s_mov_b32 s21, 0
	s_mov_b32 s16, s19
                                        ; implicit-def: $vgpr0_vgpr1
	s_cbranch_execnz .LBB142_2144
.LBB142_2072:
	s_and_not1_b32 vcc_lo, exec_lo, s21
                                        ; implicit-def: $vgpr2_vgpr3
	s_cbranch_vccz .LBB142_2189
	s_branch .LBB142_4065
.LBB142_2073:
	s_mov_b32 s21, 0
                                        ; implicit-def: $vgpr0_vgpr1
	s_cbranch_execnz .LBB142_2109
	s_branch .LBB142_2140
.LBB142_2074:
	s_mov_b32 s22, -1
	s_mov_b32 s21, 0
                                        ; implicit-def: $vgpr0_vgpr1
	s_branch .LBB142_2090
.LBB142_2075:
	s_mov_b32 s21, 0
                                        ; implicit-def: $vgpr0_vgpr1
	s_cbranch_execnz .LBB142_2086
	s_branch .LBB142_2089
.LBB142_2076:
	s_mov_b32 s22, -1
	s_branch .LBB142_2080
.LBB142_2077:
	s_and_not1_saveexec_b32 s26, s26
	s_cbranch_execz .LBB142_1976
.LBB142_2078:
	v_add_f32_e64 v3, 0x46000000, |v2|
	s_and_not1_b32 s25, s25, exec_lo
	s_delay_alu instid0(VALU_DEP_1) | instskip(NEXT) | instid1(VALU_DEP_1)
	v_and_b32_e32 v3, 0xff, v3
	v_cmp_ne_u32_e32 vcc_lo, 0, v3
	s_and_b32 s27, vcc_lo, exec_lo
	s_delay_alu instid0(SALU_CYCLE_1)
	s_or_b32 s25, s25, s27
	s_or_b32 exec_lo, exec_lo, s26
	v_mov_b32_e32 v4, 0
	s_and_saveexec_b32 s26, s25
	s_cbranch_execnz .LBB142_1977
	s_branch .LBB142_1978
.LBB142_2079:
	s_mov_b32 s16, -1
.LBB142_2080:
	s_mov_b32 s21, 0
                                        ; implicit-def: $vgpr0_vgpr1
.LBB142_2081:
	s_and_b32 vcc_lo, exec_lo, s22
	s_cbranch_vccz .LBB142_2084
; %bb.2082:
	s_cmp_eq_u32 s0, 44
	s_cbranch_scc0 .LBB142_2085
; %bb.2083:
	global_load_u8 v5, v[2:3], off
	s_mov_b32 s16, 0
	s_mov_b32 s21, -1
	s_wait_loadcnt 0x0
	v_lshlrev_b32_e32 v0, 23, v5
	v_cmp_ne_u32_e32 vcc_lo, 0xff, v5
	s_delay_alu instid0(VALU_DEP_2) | instskip(NEXT) | instid1(VALU_DEP_1)
	v_cvt_f64_f32_e32 v[0:1], v0
	v_cndmask_b32_e32 v0, 0x20000000, v0, vcc_lo
	s_delay_alu instid0(VALU_DEP_2) | instskip(SKIP_1) | instid1(VALU_DEP_2)
	v_cndmask_b32_e32 v1, 0x7ff80000, v1, vcc_lo
	v_cmp_ne_u32_e32 vcc_lo, 0, v5
	v_cndmask_b32_e32 v1, 0x38000000, v1, vcc_lo
	s_delay_alu instid0(VALU_DEP_4)
	v_cndmask_b32_e32 v0, 0, v0, vcc_lo
.LBB142_2084:
	s_branch .LBB142_2089
.LBB142_2085:
	s_mov_b32 s16, -1
                                        ; implicit-def: $vgpr0_vgpr1
	s_branch .LBB142_2089
.LBB142_2086:
	s_cmp_eq_u32 s0, 29
	s_cbranch_scc0 .LBB142_2088
; %bb.2087:
	global_load_b64 v[0:1], v[2:3], off
	s_mov_b32 s16, 0
	s_mov_b32 s21, -1
	s_mov_b32 s22, 0
	s_wait_loadcnt 0x0
	v_cvt_f64_u32_e32 v[6:7], v1
	v_cvt_f64_u32_e32 v[0:1], v0
	s_delay_alu instid0(VALU_DEP_2) | instskip(NEXT) | instid1(VALU_DEP_1)
	v_ldexp_f64 v[6:7], v[6:7], 32
	v_add_f64_e32 v[0:1], v[6:7], v[0:1]
	s_branch .LBB142_2090
.LBB142_2088:
	s_mov_b32 s16, -1
                                        ; implicit-def: $vgpr0_vgpr1
.LBB142_2089:
	s_mov_b32 s22, 0
.LBB142_2090:
	s_delay_alu instid0(SALU_CYCLE_1)
	s_and_b32 vcc_lo, exec_lo, s22
	s_cbranch_vccz .LBB142_2108
; %bb.2091:
	s_cmp_lt_i32 s0, 27
	s_cbranch_scc1 .LBB142_2094
; %bb.2092:
	s_cmp_gt_i32 s0, 27
	s_cbranch_scc0 .LBB142_2095
; %bb.2093:
	global_load_b32 v0, v[2:3], off
	s_mov_b32 s21, 0
	s_wait_loadcnt 0x0
	v_cvt_f64_u32_e32 v[0:1], v0
	s_branch .LBB142_2096
.LBB142_2094:
	s_mov_b32 s21, -1
                                        ; implicit-def: $vgpr0_vgpr1
	s_branch .LBB142_2099
.LBB142_2095:
	s_mov_b32 s21, -1
                                        ; implicit-def: $vgpr0_vgpr1
.LBB142_2096:
	s_delay_alu instid0(SALU_CYCLE_1)
	s_and_not1_b32 vcc_lo, exec_lo, s21
	s_cbranch_vccnz .LBB142_2098
; %bb.2097:
	global_load_u16 v0, v[2:3], off
	s_wait_loadcnt 0x0
	v_cvt_f64_u32_e32 v[0:1], v0
.LBB142_2098:
	s_mov_b32 s21, 0
.LBB142_2099:
	s_delay_alu instid0(SALU_CYCLE_1)
	s_and_not1_b32 vcc_lo, exec_lo, s21
	s_cbranch_vccnz .LBB142_2107
; %bb.2100:
	global_load_u8 v5, v[2:3], off
	s_mov_b32 s21, 0
	s_mov_b32 s22, exec_lo
	s_wait_loadcnt 0x0
	v_cmpx_lt_i16_e32 0x7f, v5
	s_xor_b32 s22, exec_lo, s22
	s_cbranch_execz .LBB142_2120
; %bb.2101:
	s_mov_b32 s21, -1
	s_mov_b32 s23, exec_lo
	v_cmpx_eq_u16_e32 0x80, v5
; %bb.2102:
	s_xor_b32 s21, exec_lo, -1
; %bb.2103:
	s_or_b32 exec_lo, exec_lo, s23
	s_delay_alu instid0(SALU_CYCLE_1)
	s_and_b32 s21, s21, exec_lo
	s_or_saveexec_b32 s22, s22
	v_mov_b64_e32 v[0:1], 0x7ff8000020000000
	s_xor_b32 exec_lo, exec_lo, s22
	s_cbranch_execnz .LBB142_2121
.LBB142_2104:
	s_or_b32 exec_lo, exec_lo, s22
	s_and_saveexec_b32 s22, s21
	s_cbranch_execz .LBB142_2106
.LBB142_2105:
	v_and_b32_e32 v0, 0xffff, v5
	s_delay_alu instid0(VALU_DEP_1) | instskip(SKIP_1) | instid1(VALU_DEP_2)
	v_and_b32_e32 v1, 7, v0
	v_bfe_u32 v8, v0, 3, 4
	v_clz_i32_u32_e32 v6, v1
	s_delay_alu instid0(VALU_DEP_2) | instskip(NEXT) | instid1(VALU_DEP_2)
	v_cmp_eq_u32_e32 vcc_lo, 0, v8
	v_min_u32_e32 v6, 32, v6
	s_delay_alu instid0(VALU_DEP_1) | instskip(NEXT) | instid1(VALU_DEP_1)
	v_subrev_nc_u32_e32 v7, 28, v6
	v_dual_lshlrev_b32 v0, v7, v0 :: v_dual_sub_nc_u32 v6, 29, v6
	s_delay_alu instid0(VALU_DEP_1) | instskip(NEXT) | instid1(VALU_DEP_1)
	v_dual_lshlrev_b32 v5, 24, v5 :: v_dual_bitop2_b32 v0, 7, v0 bitop3:0x40
	v_dual_cndmask_b32 v6, v8, v6, vcc_lo :: v_dual_cndmask_b32 v0, v1, v0, vcc_lo
	s_delay_alu instid0(VALU_DEP_2) | instskip(NEXT) | instid1(VALU_DEP_2)
	v_and_b32_e32 v1, 0x80000000, v5
	v_lshl_add_u32 v5, v6, 23, 0x3b800000
	s_delay_alu instid0(VALU_DEP_3) | instskip(NEXT) | instid1(VALU_DEP_1)
	v_lshlrev_b32_e32 v0, 20, v0
	v_or3_b32 v0, v1, v5, v0
	s_delay_alu instid0(VALU_DEP_1)
	v_cvt_f64_f32_e32 v[0:1], v0
.LBB142_2106:
	s_or_b32 exec_lo, exec_lo, s22
.LBB142_2107:
	s_mov_b32 s21, -1
.LBB142_2108:
	s_branch .LBB142_2140
.LBB142_2109:
	s_cmp_gt_i32 s0, 22
	s_cbranch_scc0 .LBB142_2119
; %bb.2110:
	s_cmp_lt_i32 s0, 24
	s_cbranch_scc1 .LBB142_2122
; %bb.2111:
	s_cmp_gt_i32 s0, 24
	s_cbranch_scc0 .LBB142_2123
; %bb.2112:
	global_load_u8 v5, v[2:3], off
	s_mov_b32 s21, exec_lo
	s_wait_loadcnt 0x0
	v_cmpx_lt_i16_e32 0x7f, v5
	s_xor_b32 s21, exec_lo, s21
	s_cbranch_execz .LBB142_2134
; %bb.2113:
	s_mov_b32 s20, -1
	s_mov_b32 s22, exec_lo
	v_cmpx_eq_u16_e32 0x80, v5
; %bb.2114:
	s_xor_b32 s20, exec_lo, -1
; %bb.2115:
	s_or_b32 exec_lo, exec_lo, s22
	s_delay_alu instid0(SALU_CYCLE_1)
	s_and_b32 s20, s20, exec_lo
	s_or_saveexec_b32 s21, s21
	v_mov_b64_e32 v[0:1], 0x7ff8000020000000
	s_xor_b32 exec_lo, exec_lo, s21
	s_cbranch_execnz .LBB142_2135
.LBB142_2116:
	s_or_b32 exec_lo, exec_lo, s21
	s_and_saveexec_b32 s21, s20
	s_cbranch_execz .LBB142_2118
.LBB142_2117:
	v_and_b32_e32 v0, 0xffff, v5
	s_delay_alu instid0(VALU_DEP_1) | instskip(SKIP_1) | instid1(VALU_DEP_2)
	v_and_b32_e32 v1, 3, v0
	v_bfe_u32 v8, v0, 2, 5
	v_clz_i32_u32_e32 v6, v1
	s_delay_alu instid0(VALU_DEP_2) | instskip(NEXT) | instid1(VALU_DEP_2)
	v_cmp_eq_u32_e32 vcc_lo, 0, v8
	v_min_u32_e32 v6, 32, v6
	s_delay_alu instid0(VALU_DEP_1) | instskip(NEXT) | instid1(VALU_DEP_1)
	v_subrev_nc_u32_e32 v7, 29, v6
	v_dual_lshlrev_b32 v0, v7, v0 :: v_dual_sub_nc_u32 v6, 30, v6
	s_delay_alu instid0(VALU_DEP_1) | instskip(NEXT) | instid1(VALU_DEP_1)
	v_dual_lshlrev_b32 v5, 24, v5 :: v_dual_bitop2_b32 v0, 3, v0 bitop3:0x40
	v_dual_cndmask_b32 v6, v8, v6, vcc_lo :: v_dual_cndmask_b32 v0, v1, v0, vcc_lo
	s_delay_alu instid0(VALU_DEP_2) | instskip(NEXT) | instid1(VALU_DEP_2)
	v_and_b32_e32 v1, 0x80000000, v5
	v_lshl_add_u32 v5, v6, 23, 0x37800000
	s_delay_alu instid0(VALU_DEP_3) | instskip(NEXT) | instid1(VALU_DEP_1)
	v_lshlrev_b32_e32 v0, 21, v0
	v_or3_b32 v0, v1, v5, v0
	s_delay_alu instid0(VALU_DEP_1)
	v_cvt_f64_f32_e32 v[0:1], v0
.LBB142_2118:
	s_or_b32 exec_lo, exec_lo, s21
	s_mov_b32 s20, 0
	s_branch .LBB142_2124
.LBB142_2119:
                                        ; implicit-def: $vgpr0_vgpr1
	s_mov_b32 s20, 0
	s_branch .LBB142_2130
.LBB142_2120:
	s_or_saveexec_b32 s22, s22
	v_mov_b64_e32 v[0:1], 0x7ff8000020000000
	s_xor_b32 exec_lo, exec_lo, s22
	s_cbranch_execz .LBB142_2104
.LBB142_2121:
	v_cmp_ne_u16_e32 vcc_lo, 0, v5
	v_mov_b64_e32 v[0:1], 0
	s_and_not1_b32 s21, s21, exec_lo
	s_and_b32 s23, vcc_lo, exec_lo
	s_delay_alu instid0(SALU_CYCLE_1)
	s_or_b32 s21, s21, s23
	s_or_b32 exec_lo, exec_lo, s22
	s_and_saveexec_b32 s22, s21
	s_cbranch_execnz .LBB142_2105
	s_branch .LBB142_2106
.LBB142_2122:
	s_mov_b32 s20, -1
                                        ; implicit-def: $vgpr0_vgpr1
	s_branch .LBB142_2127
.LBB142_2123:
	s_mov_b32 s20, -1
                                        ; implicit-def: $vgpr0_vgpr1
.LBB142_2124:
	s_delay_alu instid0(SALU_CYCLE_1)
	s_and_b32 vcc_lo, exec_lo, s20
	s_cbranch_vccz .LBB142_2126
; %bb.2125:
	global_load_u8 v0, v[2:3], off
	s_wait_loadcnt 0x0
	v_lshlrev_b32_e32 v0, 24, v0
	s_delay_alu instid0(VALU_DEP_1) | instskip(NEXT) | instid1(VALU_DEP_1)
	v_and_b32_e32 v1, 0x7f000000, v0
	v_clz_i32_u32_e32 v5, v1
	v_add_nc_u32_e32 v7, 0x1000000, v1
	v_cmp_ne_u32_e32 vcc_lo, 0, v1
	s_delay_alu instid0(VALU_DEP_3) | instskip(NEXT) | instid1(VALU_DEP_1)
	v_min_u32_e32 v5, 32, v5
	v_sub_nc_u32_e64 v5, v5, 4 clamp
	s_delay_alu instid0(VALU_DEP_1) | instskip(NEXT) | instid1(VALU_DEP_1)
	v_lshlrev_b32_e32 v6, v5, v1
	v_dual_lshlrev_b32 v5, 23, v5 :: v_dual_lshrrev_b32 v6, 4, v6
	s_delay_alu instid0(VALU_DEP_1) | instskip(NEXT) | instid1(VALU_DEP_1)
	v_dual_sub_nc_u32 v5, v6, v5 :: v_dual_ashrrev_i32 v6, 8, v7
	v_add_nc_u32_e32 v5, 0x3c000000, v5
	s_delay_alu instid0(VALU_DEP_1) | instskip(NEXT) | instid1(VALU_DEP_1)
	v_and_or_b32 v5, 0x7f800000, v6, v5
	v_cndmask_b32_e32 v1, 0, v5, vcc_lo
	s_delay_alu instid0(VALU_DEP_1) | instskip(NEXT) | instid1(VALU_DEP_1)
	v_and_or_b32 v0, 0x80000000, v0, v1
	v_cvt_f64_f32_e32 v[0:1], v0
.LBB142_2126:
	s_mov_b32 s20, 0
.LBB142_2127:
	s_delay_alu instid0(SALU_CYCLE_1)
	s_and_not1_b32 vcc_lo, exec_lo, s20
	s_cbranch_vccnz .LBB142_2129
; %bb.2128:
	global_load_u8 v0, v[2:3], off
	s_wait_loadcnt 0x0
	v_lshlrev_b32_e32 v1, 25, v0
	v_lshlrev_b16 v0, 8, v0
	s_delay_alu instid0(VALU_DEP_1) | instskip(SKIP_1) | instid1(VALU_DEP_2)
	v_and_or_b32 v6, 0x7f00, v0, 0.5
	v_bfe_i32 v0, v0, 0, 16
	v_dual_add_f32 v6, -0.5, v6 :: v_dual_lshrrev_b32 v5, 4, v1
	v_cmp_gt_u32_e32 vcc_lo, 0x8000000, v1
	s_delay_alu instid0(VALU_DEP_2) | instskip(NEXT) | instid1(VALU_DEP_1)
	v_or_b32_e32 v5, 0x70000000, v5
	v_mul_f32_e32 v5, 0x7800000, v5
	s_delay_alu instid0(VALU_DEP_1) | instskip(NEXT) | instid1(VALU_DEP_1)
	v_cndmask_b32_e32 v1, v5, v6, vcc_lo
	v_and_or_b32 v0, 0x80000000, v0, v1
	s_delay_alu instid0(VALU_DEP_1)
	v_cvt_f64_f32_e32 v[0:1], v0
.LBB142_2129:
	s_mov_b32 s21, -1
	s_mov_b32 s20, 0
	s_cbranch_execnz .LBB142_2140
.LBB142_2130:
	s_cmp_gt_i32 s0, 14
	s_cbranch_scc0 .LBB142_2133
; %bb.2131:
	s_cmp_eq_u32 s0, 15
	s_cbranch_scc0 .LBB142_2136
; %bb.2132:
	global_load_u16 v0, v[2:3], off
	s_mov_b32 s16, 0
	s_mov_b32 s21, -1
	s_wait_loadcnt 0x0
	v_lshlrev_b32_e32 v0, 16, v0
	s_delay_alu instid0(VALU_DEP_1)
	v_cvt_f64_f32_e32 v[0:1], v0
	s_branch .LBB142_2138
.LBB142_2133:
	s_mov_b32 s20, -1
	s_branch .LBB142_2137
.LBB142_2134:
	s_or_saveexec_b32 s21, s21
	v_mov_b64_e32 v[0:1], 0x7ff8000020000000
	s_xor_b32 exec_lo, exec_lo, s21
	s_cbranch_execz .LBB142_2116
.LBB142_2135:
	v_cmp_ne_u16_e32 vcc_lo, 0, v5
	v_mov_b64_e32 v[0:1], 0
	s_and_not1_b32 s20, s20, exec_lo
	s_and_b32 s22, vcc_lo, exec_lo
	s_delay_alu instid0(SALU_CYCLE_1)
	s_or_b32 s20, s20, s22
	s_or_b32 exec_lo, exec_lo, s21
	s_and_saveexec_b32 s21, s20
	s_cbranch_execnz .LBB142_2117
	s_branch .LBB142_2118
.LBB142_2136:
	s_mov_b32 s16, -1
.LBB142_2137:
                                        ; implicit-def: $vgpr0_vgpr1
.LBB142_2138:
	s_and_b32 vcc_lo, exec_lo, s20
	s_mov_b32 s20, 0
	s_cbranch_vccz .LBB142_2140
; %bb.2139:
	s_cmp_lg_u32 s0, 11
	s_mov_b32 s20, -1
	s_cselect_b32 s16, -1, 0
.LBB142_2140:
	s_delay_alu instid0(SALU_CYCLE_1)
	s_and_b32 vcc_lo, exec_lo, s16
	s_mov_b32 s16, s19
	s_cbranch_vccnz .LBB142_2201
; %bb.2141:
	s_and_not1_b32 vcc_lo, exec_lo, s20
	s_cbranch_vccnz .LBB142_2143
.LBB142_2142:
	global_load_u8 v0, v[2:3], off
	s_mov_b32 s21, -1
	s_wait_loadcnt 0x0
	v_cmp_ne_u16_e32 vcc_lo, 0, v0
	v_mov_b32_e32 v0, 0
	v_cndmask_b32_e64 v1, 0, 0x3ff00000, vcc_lo
.LBB142_2143:
	s_branch .LBB142_2072
.LBB142_2144:
	s_and_b32 s0, 0xffff, s17
	s_delay_alu instid0(SALU_CYCLE_1)
	s_cmp_lt_i32 s0, 5
	s_cbranch_scc1 .LBB142_2149
; %bb.2145:
	s_cmp_lt_i32 s0, 8
	s_cbranch_scc1 .LBB142_2150
; %bb.2146:
	;; [unrolled: 3-line block ×3, first 2 shown]
	s_cmp_gt_i32 s0, 9
	s_cbranch_scc0 .LBB142_2152
; %bb.2148:
	global_load_b64 v[0:1], v[2:3], off
	s_mov_b32 s20, 0
	s_branch .LBB142_2153
.LBB142_2149:
                                        ; implicit-def: $vgpr0_vgpr1
	s_branch .LBB142_2170
.LBB142_2150:
                                        ; implicit-def: $vgpr0_vgpr1
	s_branch .LBB142_2159
.LBB142_2151:
	s_mov_b32 s20, -1
                                        ; implicit-def: $vgpr0_vgpr1
	s_branch .LBB142_2156
.LBB142_2152:
	s_mov_b32 s20, -1
                                        ; implicit-def: $vgpr0_vgpr1
.LBB142_2153:
	s_delay_alu instid0(SALU_CYCLE_1)
	s_and_not1_b32 vcc_lo, exec_lo, s20
	s_cbranch_vccnz .LBB142_2155
; %bb.2154:
	s_wait_loadcnt 0x0
	global_load_b32 v0, v[2:3], off
	s_wait_loadcnt 0x0
	v_cvt_f64_f32_e32 v[0:1], v0
.LBB142_2155:
	s_mov_b32 s20, 0
.LBB142_2156:
	s_delay_alu instid0(SALU_CYCLE_1)
	s_and_not1_b32 vcc_lo, exec_lo, s20
	s_cbranch_vccnz .LBB142_2158
; %bb.2157:
	s_wait_loadcnt 0x0
	global_load_b32 v0, v[2:3], off
	s_wait_loadcnt 0x0
	v_cvt_f32_f16_e32 v0, v0
	s_delay_alu instid0(VALU_DEP_1)
	v_cvt_f64_f32_e32 v[0:1], v0
.LBB142_2158:
	s_cbranch_execnz .LBB142_2169
.LBB142_2159:
	s_cmp_lt_i32 s0, 6
	s_cbranch_scc1 .LBB142_2162
; %bb.2160:
	s_cmp_gt_i32 s0, 6
	s_cbranch_scc0 .LBB142_2163
; %bb.2161:
	s_wait_loadcnt 0x0
	global_load_b64 v[0:1], v[2:3], off
	s_mov_b32 s20, 0
	s_branch .LBB142_2164
.LBB142_2162:
	s_mov_b32 s20, -1
                                        ; implicit-def: $vgpr0_vgpr1
	s_branch .LBB142_2167
.LBB142_2163:
	s_mov_b32 s20, -1
                                        ; implicit-def: $vgpr0_vgpr1
.LBB142_2164:
	s_delay_alu instid0(SALU_CYCLE_1)
	s_and_not1_b32 vcc_lo, exec_lo, s20
	s_cbranch_vccnz .LBB142_2166
; %bb.2165:
	s_wait_loadcnt 0x0
	global_load_b32 v0, v[2:3], off
	s_wait_loadcnt 0x0
	v_cvt_f64_f32_e32 v[0:1], v0
.LBB142_2166:
	s_mov_b32 s20, 0
.LBB142_2167:
	s_delay_alu instid0(SALU_CYCLE_1)
	s_and_not1_b32 vcc_lo, exec_lo, s20
	s_cbranch_vccnz .LBB142_2169
; %bb.2168:
	s_wait_loadcnt 0x0
	global_load_u16 v0, v[2:3], off
	s_wait_loadcnt 0x0
	v_cvt_f32_f16_e32 v0, v0
	s_delay_alu instid0(VALU_DEP_1)
	v_cvt_f64_f32_e32 v[0:1], v0
.LBB142_2169:
	s_cbranch_execnz .LBB142_2188
.LBB142_2170:
	s_cmp_lt_i32 s0, 2
	s_cbranch_scc1 .LBB142_2174
; %bb.2171:
	s_cmp_lt_i32 s0, 3
	s_cbranch_scc1 .LBB142_2175
; %bb.2172:
	s_cmp_gt_i32 s0, 3
	s_cbranch_scc0 .LBB142_2176
; %bb.2173:
	s_wait_loadcnt 0x0
	global_load_b64 v[0:1], v[2:3], off
	s_mov_b32 s20, 0
	s_wait_loadcnt 0x0
	v_cvt_f64_i32_e32 v[6:7], v1
	v_cvt_f64_u32_e32 v[0:1], v0
	s_delay_alu instid0(VALU_DEP_2) | instskip(NEXT) | instid1(VALU_DEP_1)
	v_ldexp_f64 v[6:7], v[6:7], 32
	v_add_f64_e32 v[0:1], v[6:7], v[0:1]
	s_branch .LBB142_2177
.LBB142_2174:
                                        ; implicit-def: $vgpr0_vgpr1
	s_branch .LBB142_2183
.LBB142_2175:
	s_mov_b32 s20, -1
                                        ; implicit-def: $vgpr0_vgpr1
	s_branch .LBB142_2180
.LBB142_2176:
	s_mov_b32 s20, -1
                                        ; implicit-def: $vgpr0_vgpr1
.LBB142_2177:
	s_delay_alu instid0(SALU_CYCLE_1)
	s_and_not1_b32 vcc_lo, exec_lo, s20
	s_cbranch_vccnz .LBB142_2179
; %bb.2178:
	s_wait_loadcnt 0x0
	global_load_b32 v0, v[2:3], off
	s_wait_loadcnt 0x0
	v_cvt_f64_i32_e32 v[0:1], v0
.LBB142_2179:
	s_mov_b32 s20, 0
.LBB142_2180:
	s_delay_alu instid0(SALU_CYCLE_1)
	s_and_not1_b32 vcc_lo, exec_lo, s20
	s_cbranch_vccnz .LBB142_2182
; %bb.2181:
	s_wait_loadcnt 0x0
	global_load_i16 v0, v[2:3], off
	s_wait_loadcnt 0x0
	v_cvt_f64_i32_e32 v[0:1], v0
.LBB142_2182:
	s_cbranch_execnz .LBB142_2188
.LBB142_2183:
	s_cmp_gt_i32 s0, 0
	s_mov_b32 s0, 0
	s_cbranch_scc0 .LBB142_2185
; %bb.2184:
	s_wait_loadcnt 0x0
	global_load_i8 v0, v[2:3], off
	s_wait_loadcnt 0x0
	v_cvt_f64_i32_e32 v[0:1], v0
	s_branch .LBB142_2186
.LBB142_2185:
	s_mov_b32 s0, -1
                                        ; implicit-def: $vgpr0_vgpr1
.LBB142_2186:
	s_delay_alu instid0(SALU_CYCLE_1)
	s_and_not1_b32 vcc_lo, exec_lo, s0
	s_cbranch_vccnz .LBB142_2188
; %bb.2187:
	s_wait_loadcnt 0x0
	global_load_u8 v0, v[2:3], off
	s_wait_loadcnt 0x0
	v_cvt_f64_u32_e32 v[0:1], v0
.LBB142_2188:
                                        ; implicit-def: $vgpr2_vgpr3
.LBB142_2189:
	v_mul_lo_u32 v8, s14, v26
	s_and_b32 s3, s3, 0xff
	s_delay_alu instid0(SALU_CYCLE_1) | instskip(NEXT) | instid1(VALU_DEP_1)
	s_cmp_lt_i32 s3, 11
	v_ashrrev_i32_e32 v9, 31, v8
	s_delay_alu instid0(VALU_DEP_1)
	v_add_nc_u64_e32 v[6:7], s[8:9], v[8:9]
	s_cbranch_scc1 .LBB142_2196
; %bb.2190:
	s_and_b32 s0, 0xffff, s3
	s_mov_b32 s21, 0
	s_cmp_gt_i32 s0, 25
	s_cbranch_scc0 .LBB142_2198
; %bb.2191:
	s_cmp_gt_i32 s0, 28
	s_cbranch_scc0 .LBB142_2199
; %bb.2192:
	s_cmp_gt_i32 s0, 43
	s_cbranch_scc0 .LBB142_2200
; %bb.2193:
	s_cmp_gt_i32 s0, 45
	s_cbranch_scc0 .LBB142_2202
; %bb.2194:
	s_cmp_eq_u32 s0, 46
	s_mov_b32 s23, 0
	s_cbranch_scc0 .LBB142_2205
; %bb.2195:
	global_load_b32 v2, v[6:7], off
	s_mov_b32 s20, 0
	s_mov_b32 s22, -1
	s_wait_loadcnt 0x0
	v_lshlrev_b32_e32 v2, 16, v2
	s_delay_alu instid0(VALU_DEP_1)
	v_cvt_f64_f32_e32 v[2:3], v2
	s_branch .LBB142_2207
.LBB142_2196:
	s_mov_b32 s22, 0
                                        ; implicit-def: $vgpr2_vgpr3
	s_cbranch_execnz .LBB142_2272
.LBB142_2197:
	s_and_not1_b32 vcc_lo, exec_lo, s22
	s_cbranch_vccnz .LBB142_4065
	s_branch .LBB142_2319
.LBB142_2198:
	s_mov_b32 s22, 0
	s_mov_b32 s20, 0
                                        ; implicit-def: $vgpr2_vgpr3
	s_cbranch_execnz .LBB142_2236
	s_branch .LBB142_2268
.LBB142_2199:
	s_mov_b32 s23, -1
	s_mov_b32 s22, 0
	s_mov_b32 s20, 0
                                        ; implicit-def: $vgpr2_vgpr3
	s_branch .LBB142_2217
.LBB142_2200:
	s_mov_b32 s23, -1
	s_mov_b32 s22, 0
	s_mov_b32 s20, 0
                                        ; implicit-def: $vgpr2_vgpr3
	s_branch .LBB142_2212
.LBB142_2201:
	s_or_b32 s16, s19, exec_lo
	s_trap 2
	s_cbranch_execz .LBB142_2142
	s_branch .LBB142_2143
.LBB142_2202:
	s_mov_b32 s23, -1
	s_mov_b32 s22, 0
	s_mov_b32 s20, 0
	s_branch .LBB142_2206
.LBB142_2203:
	s_and_not1_saveexec_b32 s27, s27
	s_cbranch_execz .LBB142_1988
.LBB142_2204:
	v_add_f32_e64 v3, 0x42800000, |v2|
	s_and_not1_b32 s26, s26, exec_lo
	s_delay_alu instid0(VALU_DEP_1) | instskip(NEXT) | instid1(VALU_DEP_1)
	v_and_b32_e32 v3, 0xff, v3
	v_cmp_ne_u32_e32 vcc_lo, 0, v3
	s_and_b32 s28, vcc_lo, exec_lo
	s_delay_alu instid0(SALU_CYCLE_1)
	s_or_b32 s26, s26, s28
	s_or_b32 exec_lo, exec_lo, s27
	v_mov_b32_e32 v4, 0
	s_and_saveexec_b32 s27, s26
	s_cbranch_execnz .LBB142_1989
	s_branch .LBB142_1990
.LBB142_2205:
	s_mov_b32 s20, -1
	s_mov_b32 s22, 0
.LBB142_2206:
                                        ; implicit-def: $vgpr2_vgpr3
.LBB142_2207:
	s_and_b32 vcc_lo, exec_lo, s23
	s_cbranch_vccz .LBB142_2211
; %bb.2208:
	s_cmp_eq_u32 s0, 44
	s_cbranch_scc0 .LBB142_2210
; %bb.2209:
	global_load_u8 v5, v[6:7], off
	s_mov_b32 s20, 0
	s_mov_b32 s22, -1
	s_wait_loadcnt 0x0
	v_cmp_ne_u32_e32 vcc_lo, 0xff, v5
	s_wait_xcnt 0x1
	v_lshlrev_b32_e32 v2, 23, v5
	s_delay_alu instid0(VALU_DEP_1) | instskip(NEXT) | instid1(VALU_DEP_1)
	v_cvt_f64_f32_e32 v[2:3], v2
	v_cndmask_b32_e32 v2, 0x20000000, v2, vcc_lo
	s_delay_alu instid0(VALU_DEP_2) | instskip(SKIP_1) | instid1(VALU_DEP_2)
	v_cndmask_b32_e32 v3, 0x7ff80000, v3, vcc_lo
	v_cmp_ne_u32_e32 vcc_lo, 0, v5
	v_cndmask_b32_e32 v3, 0x38000000, v3, vcc_lo
	s_delay_alu instid0(VALU_DEP_4)
	v_cndmask_b32_e32 v2, 0, v2, vcc_lo
	s_branch .LBB142_2211
.LBB142_2210:
	s_mov_b32 s20, -1
                                        ; implicit-def: $vgpr2_vgpr3
.LBB142_2211:
	s_mov_b32 s23, 0
.LBB142_2212:
	s_delay_alu instid0(SALU_CYCLE_1)
	s_and_b32 vcc_lo, exec_lo, s23
	s_cbranch_vccz .LBB142_2216
; %bb.2213:
	s_cmp_eq_u32 s0, 29
	s_cbranch_scc0 .LBB142_2215
; %bb.2214:
	global_load_b64 v[2:3], v[6:7], off
	s_mov_b32 s20, 0
	s_mov_b32 s22, -1
	s_mov_b32 s23, 0
	s_wait_loadcnt 0x0
	v_cvt_f64_u32_e32 v[10:11], v3
	v_cvt_f64_u32_e32 v[2:3], v2
	s_delay_alu instid0(VALU_DEP_2) | instskip(NEXT) | instid1(VALU_DEP_1)
	v_ldexp_f64 v[10:11], v[10:11], 32
	v_add_f64_e32 v[2:3], v[10:11], v[2:3]
	s_branch .LBB142_2217
.LBB142_2215:
	s_mov_b32 s20, -1
                                        ; implicit-def: $vgpr2_vgpr3
.LBB142_2216:
	s_mov_b32 s23, 0
.LBB142_2217:
	s_delay_alu instid0(SALU_CYCLE_1)
	s_and_b32 vcc_lo, exec_lo, s23
	s_cbranch_vccz .LBB142_2235
; %bb.2218:
	s_cmp_lt_i32 s0, 27
	s_cbranch_scc1 .LBB142_2221
; %bb.2219:
	s_cmp_gt_i32 s0, 27
	s_cbranch_scc0 .LBB142_2222
; %bb.2220:
	global_load_b32 v2, v[6:7], off
	s_mov_b32 s22, 0
	s_wait_loadcnt 0x0
	v_cvt_f64_u32_e32 v[2:3], v2
	s_branch .LBB142_2223
.LBB142_2221:
	s_mov_b32 s22, -1
                                        ; implicit-def: $vgpr2_vgpr3
	s_branch .LBB142_2226
.LBB142_2222:
	s_mov_b32 s22, -1
                                        ; implicit-def: $vgpr2_vgpr3
.LBB142_2223:
	s_delay_alu instid0(SALU_CYCLE_1)
	s_and_not1_b32 vcc_lo, exec_lo, s22
	s_cbranch_vccnz .LBB142_2225
; %bb.2224:
	global_load_u16 v2, v[6:7], off
	s_wait_loadcnt 0x0
	v_cvt_f64_u32_e32 v[2:3], v2
.LBB142_2225:
	s_mov_b32 s22, 0
.LBB142_2226:
	s_delay_alu instid0(SALU_CYCLE_1)
	s_and_not1_b32 vcc_lo, exec_lo, s22
	s_cbranch_vccnz .LBB142_2234
; %bb.2227:
	global_load_u8 v5, v[6:7], off
	s_mov_b32 s22, 0
	s_mov_b32 s23, exec_lo
	s_wait_loadcnt 0x0
	v_cmpx_lt_i16_e32 0x7f, v5
	s_xor_b32 s23, exec_lo, s23
	s_cbranch_execz .LBB142_2247
; %bb.2228:
	s_mov_b32 s22, -1
	s_mov_b32 s24, exec_lo
	v_cmpx_eq_u16_e32 0x80, v5
; %bb.2229:
	s_xor_b32 s22, exec_lo, -1
; %bb.2230:
	s_or_b32 exec_lo, exec_lo, s24
	s_delay_alu instid0(SALU_CYCLE_1)
	s_and_b32 s22, s22, exec_lo
	s_or_saveexec_b32 s23, s23
	v_mov_b64_e32 v[2:3], 0x7ff8000020000000
	s_xor_b32 exec_lo, exec_lo, s23
	s_cbranch_execnz .LBB142_2248
.LBB142_2231:
	s_or_b32 exec_lo, exec_lo, s23
	s_and_saveexec_b32 s23, s22
	s_cbranch_execz .LBB142_2233
.LBB142_2232:
	v_and_b32_e32 v2, 0xffff, v5
	s_delay_alu instid0(VALU_DEP_1) | instskip(SKIP_1) | instid1(VALU_DEP_2)
	v_and_b32_e32 v3, 7, v2
	v_bfe_u32 v11, v2, 3, 4
	v_clz_i32_u32_e32 v9, v3
	s_delay_alu instid0(VALU_DEP_2) | instskip(NEXT) | instid1(VALU_DEP_2)
	v_cmp_eq_u32_e32 vcc_lo, 0, v11
	v_min_u32_e32 v9, 32, v9
	s_delay_alu instid0(VALU_DEP_1) | instskip(NEXT) | instid1(VALU_DEP_1)
	v_subrev_nc_u32_e32 v10, 28, v9
	v_dual_lshlrev_b32 v2, v10, v2 :: v_dual_sub_nc_u32 v9, 29, v9
	s_delay_alu instid0(VALU_DEP_1) | instskip(NEXT) | instid1(VALU_DEP_1)
	v_dual_lshlrev_b32 v5, 24, v5 :: v_dual_bitop2_b32 v2, 7, v2 bitop3:0x40
	v_cndmask_b32_e32 v2, v3, v2, vcc_lo
	s_delay_alu instid0(VALU_DEP_3) | instskip(NEXT) | instid1(VALU_DEP_3)
	v_cndmask_b32_e32 v9, v11, v9, vcc_lo
	v_and_b32_e32 v3, 0x80000000, v5
	s_delay_alu instid0(VALU_DEP_3) | instskip(NEXT) | instid1(VALU_DEP_3)
	v_lshlrev_b32_e32 v2, 20, v2
	v_lshl_add_u32 v5, v9, 23, 0x3b800000
	s_delay_alu instid0(VALU_DEP_1) | instskip(NEXT) | instid1(VALU_DEP_1)
	v_or3_b32 v2, v3, v5, v2
	v_cvt_f64_f32_e32 v[2:3], v2
.LBB142_2233:
	s_or_b32 exec_lo, exec_lo, s23
.LBB142_2234:
	s_mov_b32 s22, -1
.LBB142_2235:
	s_branch .LBB142_2268
.LBB142_2236:
	s_cmp_gt_i32 s0, 22
	s_cbranch_scc0 .LBB142_2246
; %bb.2237:
	s_cmp_lt_i32 s0, 24
	s_cbranch_scc1 .LBB142_2249
; %bb.2238:
	s_cmp_gt_i32 s0, 24
	s_cbranch_scc0 .LBB142_2250
; %bb.2239:
	global_load_u8 v5, v[6:7], off
	s_mov_b32 s22, exec_lo
	s_wait_loadcnt 0x0
	v_cmpx_lt_i16_e32 0x7f, v5
	s_xor_b32 s22, exec_lo, s22
	s_cbranch_execz .LBB142_2262
; %bb.2240:
	s_mov_b32 s21, -1
	s_mov_b32 s23, exec_lo
	v_cmpx_eq_u16_e32 0x80, v5
; %bb.2241:
	s_xor_b32 s21, exec_lo, -1
; %bb.2242:
	s_or_b32 exec_lo, exec_lo, s23
	s_delay_alu instid0(SALU_CYCLE_1)
	s_and_b32 s21, s21, exec_lo
	s_or_saveexec_b32 s22, s22
	v_mov_b64_e32 v[2:3], 0x7ff8000020000000
	s_xor_b32 exec_lo, exec_lo, s22
	s_cbranch_execnz .LBB142_2263
.LBB142_2243:
	s_or_b32 exec_lo, exec_lo, s22
	s_and_saveexec_b32 s22, s21
	s_cbranch_execz .LBB142_2245
.LBB142_2244:
	v_and_b32_e32 v2, 0xffff, v5
	s_delay_alu instid0(VALU_DEP_1) | instskip(SKIP_1) | instid1(VALU_DEP_2)
	v_and_b32_e32 v3, 3, v2
	v_bfe_u32 v11, v2, 2, 5
	v_clz_i32_u32_e32 v9, v3
	s_delay_alu instid0(VALU_DEP_2) | instskip(NEXT) | instid1(VALU_DEP_2)
	v_cmp_eq_u32_e32 vcc_lo, 0, v11
	v_min_u32_e32 v9, 32, v9
	s_delay_alu instid0(VALU_DEP_1) | instskip(NEXT) | instid1(VALU_DEP_1)
	v_subrev_nc_u32_e32 v10, 29, v9
	v_dual_lshlrev_b32 v2, v10, v2 :: v_dual_sub_nc_u32 v9, 30, v9
	s_delay_alu instid0(VALU_DEP_1) | instskip(NEXT) | instid1(VALU_DEP_1)
	v_dual_lshlrev_b32 v5, 24, v5 :: v_dual_bitop2_b32 v2, 3, v2 bitop3:0x40
	v_cndmask_b32_e32 v2, v3, v2, vcc_lo
	s_delay_alu instid0(VALU_DEP_3) | instskip(NEXT) | instid1(VALU_DEP_3)
	v_cndmask_b32_e32 v9, v11, v9, vcc_lo
	v_and_b32_e32 v3, 0x80000000, v5
	s_delay_alu instid0(VALU_DEP_3) | instskip(NEXT) | instid1(VALU_DEP_3)
	v_lshlrev_b32_e32 v2, 21, v2
	v_lshl_add_u32 v5, v9, 23, 0x37800000
	s_delay_alu instid0(VALU_DEP_1) | instskip(NEXT) | instid1(VALU_DEP_1)
	v_or3_b32 v2, v3, v5, v2
	v_cvt_f64_f32_e32 v[2:3], v2
.LBB142_2245:
	s_or_b32 exec_lo, exec_lo, s22
	s_mov_b32 s21, 0
	s_branch .LBB142_2251
.LBB142_2246:
	s_mov_b32 s21, -1
                                        ; implicit-def: $vgpr2_vgpr3
	s_branch .LBB142_2257
.LBB142_2247:
	s_or_saveexec_b32 s23, s23
	v_mov_b64_e32 v[2:3], 0x7ff8000020000000
	s_xor_b32 exec_lo, exec_lo, s23
	s_cbranch_execz .LBB142_2231
.LBB142_2248:
	v_cmp_ne_u16_e32 vcc_lo, 0, v5
	v_mov_b64_e32 v[2:3], 0
	s_and_not1_b32 s22, s22, exec_lo
	s_and_b32 s24, vcc_lo, exec_lo
	s_delay_alu instid0(SALU_CYCLE_1)
	s_or_b32 s22, s22, s24
	s_or_b32 exec_lo, exec_lo, s23
	s_and_saveexec_b32 s23, s22
	s_cbranch_execnz .LBB142_2232
	s_branch .LBB142_2233
.LBB142_2249:
	s_mov_b32 s21, -1
                                        ; implicit-def: $vgpr2_vgpr3
	s_branch .LBB142_2254
.LBB142_2250:
	s_mov_b32 s21, -1
                                        ; implicit-def: $vgpr2_vgpr3
.LBB142_2251:
	s_delay_alu instid0(SALU_CYCLE_1)
	s_and_b32 vcc_lo, exec_lo, s21
	s_cbranch_vccz .LBB142_2253
; %bb.2252:
	global_load_u8 v2, v[6:7], off
	s_wait_loadcnt 0x0
	v_lshlrev_b32_e32 v2, 24, v2
	s_delay_alu instid0(VALU_DEP_1) | instskip(NEXT) | instid1(VALU_DEP_1)
	v_and_b32_e32 v3, 0x7f000000, v2
	v_clz_i32_u32_e32 v5, v3
	v_cmp_ne_u32_e32 vcc_lo, 0, v3
	v_add_nc_u32_e32 v10, 0x1000000, v3
	s_delay_alu instid0(VALU_DEP_3) | instskip(NEXT) | instid1(VALU_DEP_1)
	v_min_u32_e32 v5, 32, v5
	v_sub_nc_u32_e64 v5, v5, 4 clamp
	s_delay_alu instid0(VALU_DEP_1) | instskip(NEXT) | instid1(VALU_DEP_1)
	v_dual_lshlrev_b32 v9, v5, v3 :: v_dual_lshlrev_b32 v5, 23, v5
	v_lshrrev_b32_e32 v9, 4, v9
	s_delay_alu instid0(VALU_DEP_1) | instskip(NEXT) | instid1(VALU_DEP_1)
	v_dual_sub_nc_u32 v5, v9, v5 :: v_dual_ashrrev_i32 v9, 8, v10
	v_add_nc_u32_e32 v5, 0x3c000000, v5
	s_delay_alu instid0(VALU_DEP_1) | instskip(NEXT) | instid1(VALU_DEP_1)
	v_and_or_b32 v5, 0x7f800000, v9, v5
	v_cndmask_b32_e32 v3, 0, v5, vcc_lo
	s_delay_alu instid0(VALU_DEP_1) | instskip(NEXT) | instid1(VALU_DEP_1)
	v_and_or_b32 v2, 0x80000000, v2, v3
	v_cvt_f64_f32_e32 v[2:3], v2
.LBB142_2253:
	s_mov_b32 s21, 0
.LBB142_2254:
	s_delay_alu instid0(SALU_CYCLE_1)
	s_and_not1_b32 vcc_lo, exec_lo, s21
	s_cbranch_vccnz .LBB142_2256
; %bb.2255:
	global_load_u8 v2, v[6:7], off
	s_wait_loadcnt 0x0
	v_lshlrev_b32_e32 v3, 25, v2
	v_lshlrev_b16 v2, 8, v2
	s_delay_alu instid0(VALU_DEP_1) | instskip(SKIP_1) | instid1(VALU_DEP_2)
	v_and_or_b32 v9, 0x7f00, v2, 0.5
	v_bfe_i32 v2, v2, 0, 16
	v_dual_add_f32 v9, -0.5, v9 :: v_dual_lshrrev_b32 v5, 4, v3
	v_cmp_gt_u32_e32 vcc_lo, 0x8000000, v3
	s_delay_alu instid0(VALU_DEP_2) | instskip(NEXT) | instid1(VALU_DEP_1)
	v_or_b32_e32 v5, 0x70000000, v5
	v_mul_f32_e32 v5, 0x7800000, v5
	s_delay_alu instid0(VALU_DEP_1) | instskip(NEXT) | instid1(VALU_DEP_1)
	v_cndmask_b32_e32 v3, v5, v9, vcc_lo
	v_and_or_b32 v2, 0x80000000, v2, v3
	s_delay_alu instid0(VALU_DEP_1)
	v_cvt_f64_f32_e32 v[2:3], v2
.LBB142_2256:
	s_mov_b32 s21, 0
	s_mov_b32 s22, -1
.LBB142_2257:
	s_and_not1_b32 vcc_lo, exec_lo, s21
	s_mov_b32 s21, 0
	s_cbranch_vccnz .LBB142_2268
; %bb.2258:
	s_cmp_gt_i32 s0, 14
	s_cbranch_scc0 .LBB142_2261
; %bb.2259:
	s_cmp_eq_u32 s0, 15
	s_cbranch_scc0 .LBB142_2264
; %bb.2260:
	global_load_u16 v2, v[6:7], off
	s_mov_b32 s20, 0
	s_mov_b32 s22, -1
	s_wait_loadcnt 0x0
	v_lshlrev_b32_e32 v2, 16, v2
	s_delay_alu instid0(VALU_DEP_1)
	v_cvt_f64_f32_e32 v[2:3], v2
	s_branch .LBB142_2266
.LBB142_2261:
	s_mov_b32 s21, -1
	s_branch .LBB142_2265
.LBB142_2262:
	s_or_saveexec_b32 s22, s22
	v_mov_b64_e32 v[2:3], 0x7ff8000020000000
	s_xor_b32 exec_lo, exec_lo, s22
	s_cbranch_execz .LBB142_2243
.LBB142_2263:
	v_cmp_ne_u16_e32 vcc_lo, 0, v5
	v_mov_b64_e32 v[2:3], 0
	s_and_not1_b32 s21, s21, exec_lo
	s_and_b32 s23, vcc_lo, exec_lo
	s_delay_alu instid0(SALU_CYCLE_1)
	s_or_b32 s21, s21, s23
	s_or_b32 exec_lo, exec_lo, s22
	s_and_saveexec_b32 s22, s21
	s_cbranch_execnz .LBB142_2244
	s_branch .LBB142_2245
.LBB142_2264:
	s_mov_b32 s20, -1
.LBB142_2265:
                                        ; implicit-def: $vgpr2_vgpr3
.LBB142_2266:
	s_and_b32 vcc_lo, exec_lo, s21
	s_mov_b32 s21, 0
	s_cbranch_vccz .LBB142_2268
; %bb.2267:
	s_cmp_lg_u32 s0, 11
	s_mov_b32 s21, -1
	s_cselect_b32 s20, -1, 0
.LBB142_2268:
	s_delay_alu instid0(SALU_CYCLE_1)
	s_and_b32 vcc_lo, exec_lo, s20
	s_cbranch_vccnz .LBB142_2331
; %bb.2269:
	s_and_not1_b32 vcc_lo, exec_lo, s21
	s_cbranch_vccnz .LBB142_2271
.LBB142_2270:
	global_load_u8 v2, v[6:7], off
	s_mov_b32 s22, -1
	s_wait_loadcnt 0x0
	v_cmp_ne_u16_e32 vcc_lo, 0, v2
	v_mov_b32_e32 v2, 0
	v_cndmask_b32_e64 v3, 0, 0x3ff00000, vcc_lo
.LBB142_2271:
	s_branch .LBB142_2197
.LBB142_2272:
	s_and_b32 s0, 0xffff, s3
	s_delay_alu instid0(SALU_CYCLE_1)
	s_cmp_lt_i32 s0, 5
	s_cbranch_scc1 .LBB142_2277
; %bb.2273:
	s_cmp_lt_i32 s0, 8
	s_cbranch_scc1 .LBB142_2278
; %bb.2274:
	;; [unrolled: 3-line block ×3, first 2 shown]
	s_cmp_gt_i32 s0, 9
	s_cbranch_scc0 .LBB142_2280
; %bb.2276:
	global_load_b64 v[2:3], v[6:7], off
	s_mov_b32 s20, 0
	s_branch .LBB142_2281
.LBB142_2277:
                                        ; implicit-def: $vgpr2_vgpr3
	s_branch .LBB142_2299
.LBB142_2278:
	s_mov_b32 s20, -1
                                        ; implicit-def: $vgpr2_vgpr3
	s_branch .LBB142_2287
.LBB142_2279:
	s_mov_b32 s20, -1
                                        ; implicit-def: $vgpr2_vgpr3
	s_branch .LBB142_2284
.LBB142_2280:
	s_mov_b32 s20, -1
                                        ; implicit-def: $vgpr2_vgpr3
.LBB142_2281:
	s_delay_alu instid0(SALU_CYCLE_1)
	s_and_not1_b32 vcc_lo, exec_lo, s20
	s_cbranch_vccnz .LBB142_2283
; %bb.2282:
	s_wait_loadcnt 0x0
	global_load_b32 v2, v[6:7], off
	s_wait_loadcnt 0x0
	v_cvt_f64_f32_e32 v[2:3], v2
.LBB142_2283:
	s_mov_b32 s20, 0
.LBB142_2284:
	s_delay_alu instid0(SALU_CYCLE_1)
	s_and_not1_b32 vcc_lo, exec_lo, s20
	s_cbranch_vccnz .LBB142_2286
; %bb.2285:
	s_wait_loadcnt 0x0
	global_load_b32 v2, v[6:7], off
	s_wait_loadcnt 0x0
	v_cvt_f32_f16_e32 v2, v2
	s_delay_alu instid0(VALU_DEP_1)
	v_cvt_f64_f32_e32 v[2:3], v2
.LBB142_2286:
	s_mov_b32 s20, 0
.LBB142_2287:
	s_delay_alu instid0(SALU_CYCLE_1)
	s_and_not1_b32 vcc_lo, exec_lo, s20
	s_cbranch_vccnz .LBB142_2298
; %bb.2288:
	s_cmp_lt_i32 s0, 6
	s_cbranch_scc1 .LBB142_2291
; %bb.2289:
	s_cmp_gt_i32 s0, 6
	s_cbranch_scc0 .LBB142_2292
; %bb.2290:
	s_wait_loadcnt 0x0
	global_load_b64 v[2:3], v[6:7], off
	s_mov_b32 s20, 0
	s_branch .LBB142_2293
.LBB142_2291:
	s_mov_b32 s20, -1
                                        ; implicit-def: $vgpr2_vgpr3
	s_branch .LBB142_2296
.LBB142_2292:
	s_mov_b32 s20, -1
                                        ; implicit-def: $vgpr2_vgpr3
.LBB142_2293:
	s_delay_alu instid0(SALU_CYCLE_1)
	s_and_not1_b32 vcc_lo, exec_lo, s20
	s_cbranch_vccnz .LBB142_2295
; %bb.2294:
	s_wait_loadcnt 0x0
	global_load_b32 v2, v[6:7], off
	s_wait_loadcnt 0x0
	v_cvt_f64_f32_e32 v[2:3], v2
.LBB142_2295:
	s_mov_b32 s20, 0
.LBB142_2296:
	s_delay_alu instid0(SALU_CYCLE_1)
	s_and_not1_b32 vcc_lo, exec_lo, s20
	s_cbranch_vccnz .LBB142_2298
; %bb.2297:
	s_wait_loadcnt 0x0
	global_load_u16 v2, v[6:7], off
	s_wait_loadcnt 0x0
	v_cvt_f32_f16_e32 v2, v2
	s_delay_alu instid0(VALU_DEP_1)
	v_cvt_f64_f32_e32 v[2:3], v2
.LBB142_2298:
	s_cbranch_execnz .LBB142_2318
.LBB142_2299:
	s_cmp_lt_i32 s0, 2
	s_cbranch_scc1 .LBB142_2303
; %bb.2300:
	s_cmp_lt_i32 s0, 3
	s_cbranch_scc1 .LBB142_2304
; %bb.2301:
	s_cmp_gt_i32 s0, 3
	s_cbranch_scc0 .LBB142_2305
; %bb.2302:
	s_wait_loadcnt 0x0
	global_load_b64 v[2:3], v[6:7], off
	s_mov_b32 s20, 0
	s_wait_loadcnt 0x0
	v_cvt_f64_i32_e32 v[10:11], v3
	v_cvt_f64_u32_e32 v[2:3], v2
	s_delay_alu instid0(VALU_DEP_2) | instskip(NEXT) | instid1(VALU_DEP_1)
	v_ldexp_f64 v[10:11], v[10:11], 32
	v_add_f64_e32 v[2:3], v[10:11], v[2:3]
	s_branch .LBB142_2306
.LBB142_2303:
	s_mov_b32 s20, -1
                                        ; implicit-def: $vgpr2_vgpr3
	s_branch .LBB142_2312
.LBB142_2304:
	s_mov_b32 s20, -1
                                        ; implicit-def: $vgpr2_vgpr3
	s_branch .LBB142_2309
.LBB142_2305:
	s_mov_b32 s20, -1
                                        ; implicit-def: $vgpr2_vgpr3
.LBB142_2306:
	s_delay_alu instid0(SALU_CYCLE_1)
	s_and_not1_b32 vcc_lo, exec_lo, s20
	s_cbranch_vccnz .LBB142_2308
; %bb.2307:
	s_wait_loadcnt 0x0
	global_load_b32 v2, v[6:7], off
	s_wait_loadcnt 0x0
	v_cvt_f64_i32_e32 v[2:3], v2
.LBB142_2308:
	s_mov_b32 s20, 0
.LBB142_2309:
	s_delay_alu instid0(SALU_CYCLE_1)
	s_and_not1_b32 vcc_lo, exec_lo, s20
	s_cbranch_vccnz .LBB142_2311
; %bb.2310:
	s_wait_loadcnt 0x0
	global_load_i16 v2, v[6:7], off
	s_wait_loadcnt 0x0
	v_cvt_f64_i32_e32 v[2:3], v2
.LBB142_2311:
	s_mov_b32 s20, 0
.LBB142_2312:
	s_delay_alu instid0(SALU_CYCLE_1)
	s_and_not1_b32 vcc_lo, exec_lo, s20
	s_cbranch_vccnz .LBB142_2318
; %bb.2313:
	s_cmp_gt_i32 s0, 0
	s_mov_b32 s0, 0
	s_cbranch_scc0 .LBB142_2315
; %bb.2314:
	s_wait_loadcnt 0x0
	global_load_i8 v2, v[6:7], off
	s_wait_loadcnt 0x0
	v_cvt_f64_i32_e32 v[2:3], v2
	s_branch .LBB142_2316
.LBB142_2315:
	s_mov_b32 s0, -1
                                        ; implicit-def: $vgpr2_vgpr3
.LBB142_2316:
	s_delay_alu instid0(SALU_CYCLE_1)
	s_and_not1_b32 vcc_lo, exec_lo, s0
	s_cbranch_vccnz .LBB142_2318
; %bb.2317:
	s_wait_loadcnt 0x0
	global_load_u8 v2, v[6:7], off
	s_wait_loadcnt 0x0
	v_cvt_f64_u32_e32 v[2:3], v2
.LBB142_2318:
.LBB142_2319:
	v_mul_lo_u32 v10, s15, v26
	s_and_b32 s0, 0xffff, s1
	s_delay_alu instid0(SALU_CYCLE_1) | instskip(NEXT) | instid1(VALU_DEP_1)
	s_cmp_lt_i32 s0, 11
	v_ashrrev_i32_e32 v11, 31, v10
	s_delay_alu instid0(VALU_DEP_1)
	v_add_nc_u64_e32 v[12:13], s[10:11], v[10:11]
	s_cbranch_scc1 .LBB142_2326
; %bb.2320:
	s_cmp_gt_i32 s0, 25
	s_mov_b32 s20, 0
	s_cbranch_scc0 .LBB142_2328
; %bb.2321:
	s_cmp_gt_i32 s0, 28
	s_cbranch_scc0 .LBB142_2329
; %bb.2322:
	s_cmp_gt_i32 s0, 43
	;; [unrolled: 3-line block ×3, first 2 shown]
	s_cbranch_scc0 .LBB142_2332
; %bb.2324:
	s_cmp_eq_u32 s0, 46
	s_mov_b32 s22, 0
	s_cbranch_scc0 .LBB142_2333
; %bb.2325:
	global_load_b32 v5, v[12:13], off
	s_mov_b32 s1, 0
	s_mov_b32 s21, -1
	s_wait_loadcnt 0x0
	v_lshlrev_b32_e32 v5, 16, v5
	s_wait_xcnt 0x1
	s_delay_alu instid0(VALU_DEP_1)
	v_cvt_f64_f32_e32 v[6:7], v5
	s_branch .LBB142_2335
.LBB142_2326:
	s_mov_b32 s21, 0
                                        ; implicit-def: $vgpr6_vgpr7
	s_cbranch_execnz .LBB142_2401
.LBB142_2327:
	s_and_not1_b32 vcc_lo, exec_lo, s21
	s_cbranch_vccnz .LBB142_4065
	s_branch .LBB142_2449
.LBB142_2328:
	s_mov_b32 s22, -1
	s_mov_b32 s21, 0
	s_mov_b32 s1, 0
                                        ; implicit-def: $vgpr6_vgpr7
	s_branch .LBB142_2364
.LBB142_2329:
	s_mov_b32 s22, -1
	s_mov_b32 s21, 0
	s_mov_b32 s1, 0
                                        ; implicit-def: $vgpr6_vgpr7
	s_branch .LBB142_2345
.LBB142_2330:
	s_mov_b32 s22, -1
	s_mov_b32 s21, 0
	s_mov_b32 s1, 0
                                        ; implicit-def: $vgpr6_vgpr7
	s_branch .LBB142_2340
.LBB142_2331:
	s_or_b32 s16, s16, exec_lo
	s_trap 2
	s_cbranch_execz .LBB142_2270
	s_branch .LBB142_2271
.LBB142_2332:
	s_mov_b32 s22, -1
	s_mov_b32 s21, 0
	s_mov_b32 s1, 0
	s_branch .LBB142_2334
.LBB142_2333:
	s_mov_b32 s1, -1
	s_mov_b32 s21, 0
.LBB142_2334:
                                        ; implicit-def: $vgpr6_vgpr7
.LBB142_2335:
	s_and_b32 vcc_lo, exec_lo, s22
	s_cbranch_vccz .LBB142_2339
; %bb.2336:
	s_cmp_eq_u32 s0, 44
	s_cbranch_scc0 .LBB142_2338
; %bb.2337:
	global_load_u8 v5, v[12:13], off
	s_mov_b32 s1, 0
	s_mov_b32 s21, -1
	s_wait_loadcnt 0x0
	v_cmp_ne_u32_e32 vcc_lo, 0xff, v5
	s_wait_xcnt 0x1
	v_lshlrev_b32_e32 v6, 23, v5
	s_delay_alu instid0(VALU_DEP_1) | instskip(NEXT) | instid1(VALU_DEP_1)
	v_cvt_f64_f32_e32 v[6:7], v6
	v_cndmask_b32_e32 v6, 0x20000000, v6, vcc_lo
	s_delay_alu instid0(VALU_DEP_2) | instskip(SKIP_1) | instid1(VALU_DEP_2)
	v_cndmask_b32_e32 v7, 0x7ff80000, v7, vcc_lo
	v_cmp_ne_u32_e32 vcc_lo, 0, v5
	v_cndmask_b32_e32 v7, 0x38000000, v7, vcc_lo
	s_delay_alu instid0(VALU_DEP_4)
	v_cndmask_b32_e32 v6, 0, v6, vcc_lo
	s_branch .LBB142_2339
.LBB142_2338:
	s_mov_b32 s1, -1
                                        ; implicit-def: $vgpr6_vgpr7
.LBB142_2339:
	s_mov_b32 s22, 0
.LBB142_2340:
	s_delay_alu instid0(SALU_CYCLE_1)
	s_and_b32 vcc_lo, exec_lo, s22
	s_cbranch_vccz .LBB142_2344
; %bb.2341:
	s_cmp_eq_u32 s0, 29
	s_cbranch_scc0 .LBB142_2343
; %bb.2342:
	global_load_b64 v[6:7], v[12:13], off
	s_mov_b32 s1, 0
	s_mov_b32 s21, -1
	s_mov_b32 s22, 0
	s_wait_loadcnt 0x0
	v_cvt_f64_u32_e32 v[14:15], v7
	v_cvt_f64_u32_e32 v[6:7], v6
	s_delay_alu instid0(VALU_DEP_2) | instskip(NEXT) | instid1(VALU_DEP_1)
	v_ldexp_f64 v[14:15], v[14:15], 32
	v_add_f64_e32 v[6:7], v[14:15], v[6:7]
	s_branch .LBB142_2345
.LBB142_2343:
	s_mov_b32 s1, -1
                                        ; implicit-def: $vgpr6_vgpr7
.LBB142_2344:
	s_mov_b32 s22, 0
.LBB142_2345:
	s_delay_alu instid0(SALU_CYCLE_1)
	s_and_b32 vcc_lo, exec_lo, s22
	s_cbranch_vccz .LBB142_2363
; %bb.2346:
	s_cmp_lt_i32 s0, 27
	s_cbranch_scc1 .LBB142_2349
; %bb.2347:
	s_cmp_gt_i32 s0, 27
	s_cbranch_scc0 .LBB142_2350
; %bb.2348:
	global_load_b32 v5, v[12:13], off
	s_mov_b32 s21, 0
	s_wait_loadcnt 0x0
	s_wait_xcnt 0x1
	v_cvt_f64_u32_e32 v[6:7], v5
	s_branch .LBB142_2351
.LBB142_2349:
	s_mov_b32 s21, -1
                                        ; implicit-def: $vgpr6_vgpr7
	s_branch .LBB142_2354
.LBB142_2350:
	s_mov_b32 s21, -1
                                        ; implicit-def: $vgpr6_vgpr7
.LBB142_2351:
	s_delay_alu instid0(SALU_CYCLE_1)
	s_and_not1_b32 vcc_lo, exec_lo, s21
	s_cbranch_vccnz .LBB142_2353
; %bb.2352:
	global_load_u16 v5, v[12:13], off
	s_wait_loadcnt 0x0
	s_wait_xcnt 0x1
	v_cvt_f64_u32_e32 v[6:7], v5
.LBB142_2353:
	s_mov_b32 s21, 0
.LBB142_2354:
	s_delay_alu instid0(SALU_CYCLE_1)
	s_and_not1_b32 vcc_lo, exec_lo, s21
	s_cbranch_vccnz .LBB142_2362
; %bb.2355:
	global_load_u8 v5, v[12:13], off
	s_mov_b32 s21, 0
	s_mov_b32 s22, exec_lo
	s_wait_loadcnt 0x0
	v_cmpx_lt_i16_e32 0x7f, v5
	s_xor_b32 s22, exec_lo, s22
	s_cbranch_execz .LBB142_2376
; %bb.2356:
	s_mov_b32 s21, -1
	s_mov_b32 s23, exec_lo
	v_cmpx_eq_u16_e32 0x80, v5
; %bb.2357:
	s_xor_b32 s21, exec_lo, -1
; %bb.2358:
	s_or_b32 exec_lo, exec_lo, s23
	s_delay_alu instid0(SALU_CYCLE_1)
	s_and_b32 s21, s21, exec_lo
	s_or_saveexec_b32 s22, s22
	v_mov_b64_e32 v[6:7], 0x7ff8000020000000
	s_xor_b32 exec_lo, exec_lo, s22
	s_cbranch_execnz .LBB142_2377
.LBB142_2359:
	s_or_b32 exec_lo, exec_lo, s22
	s_and_saveexec_b32 s22, s21
	s_cbranch_execz .LBB142_2361
.LBB142_2360:
	v_and_b32_e32 v6, 0xffff, v5
	s_delay_alu instid0(VALU_DEP_1) | instskip(SKIP_1) | instid1(VALU_DEP_2)
	v_and_b32_e32 v7, 7, v6
	v_bfe_u32 v14, v6, 3, 4
	v_clz_i32_u32_e32 v9, v7
	s_delay_alu instid0(VALU_DEP_2) | instskip(NEXT) | instid1(VALU_DEP_2)
	v_cmp_eq_u32_e32 vcc_lo, 0, v14
	v_min_u32_e32 v9, 32, v9
	s_delay_alu instid0(VALU_DEP_1) | instskip(NEXT) | instid1(VALU_DEP_1)
	v_subrev_nc_u32_e32 v11, 28, v9
	v_dual_lshlrev_b32 v6, v11, v6 :: v_dual_sub_nc_u32 v9, 29, v9
	s_delay_alu instid0(VALU_DEP_1) | instskip(NEXT) | instid1(VALU_DEP_1)
	v_dual_lshlrev_b32 v5, 24, v5 :: v_dual_bitop2_b32 v6, 7, v6 bitop3:0x40
	v_dual_cndmask_b32 v6, v7, v6 :: v_dual_cndmask_b32 v9, v14, v9
	s_delay_alu instid0(VALU_DEP_2) | instskip(NEXT) | instid1(VALU_DEP_2)
	v_and_b32_e32 v5, 0x80000000, v5
	v_lshlrev_b32_e32 v6, 20, v6
	s_delay_alu instid0(VALU_DEP_3) | instskip(NEXT) | instid1(VALU_DEP_1)
	v_lshl_add_u32 v7, v9, 23, 0x3b800000
	v_or3_b32 v5, v5, v7, v6
	s_delay_alu instid0(VALU_DEP_1)
	v_cvt_f64_f32_e32 v[6:7], v5
.LBB142_2361:
	s_or_b32 exec_lo, exec_lo, s22
.LBB142_2362:
	s_mov_b32 s21, -1
.LBB142_2363:
	s_mov_b32 s22, 0
.LBB142_2364:
	s_delay_alu instid0(SALU_CYCLE_1)
	s_and_b32 vcc_lo, exec_lo, s22
	s_cbranch_vccz .LBB142_2397
; %bb.2365:
	s_cmp_gt_i32 s0, 22
	s_cbranch_scc0 .LBB142_2375
; %bb.2366:
	s_cmp_lt_i32 s0, 24
	s_cbranch_scc1 .LBB142_2378
; %bb.2367:
	s_cmp_gt_i32 s0, 24
	s_cbranch_scc0 .LBB142_2379
; %bb.2368:
	global_load_u8 v5, v[12:13], off
	s_mov_b32 s21, exec_lo
	s_wait_loadcnt 0x0
	v_cmpx_lt_i16_e32 0x7f, v5
	s_xor_b32 s21, exec_lo, s21
	s_cbranch_execz .LBB142_2391
; %bb.2369:
	s_mov_b32 s20, -1
	s_mov_b32 s22, exec_lo
	v_cmpx_eq_u16_e32 0x80, v5
; %bb.2370:
	s_xor_b32 s20, exec_lo, -1
; %bb.2371:
	s_or_b32 exec_lo, exec_lo, s22
	s_delay_alu instid0(SALU_CYCLE_1)
	s_and_b32 s20, s20, exec_lo
	s_or_saveexec_b32 s21, s21
	v_mov_b64_e32 v[6:7], 0x7ff8000020000000
	s_xor_b32 exec_lo, exec_lo, s21
	s_cbranch_execnz .LBB142_2392
.LBB142_2372:
	s_or_b32 exec_lo, exec_lo, s21
	s_and_saveexec_b32 s21, s20
	s_cbranch_execz .LBB142_2374
.LBB142_2373:
	v_and_b32_e32 v6, 0xffff, v5
	s_delay_alu instid0(VALU_DEP_1) | instskip(SKIP_1) | instid1(VALU_DEP_2)
	v_and_b32_e32 v7, 3, v6
	v_bfe_u32 v14, v6, 2, 5
	v_clz_i32_u32_e32 v9, v7
	s_delay_alu instid0(VALU_DEP_2) | instskip(NEXT) | instid1(VALU_DEP_2)
	v_cmp_eq_u32_e32 vcc_lo, 0, v14
	v_min_u32_e32 v9, 32, v9
	s_delay_alu instid0(VALU_DEP_1) | instskip(NEXT) | instid1(VALU_DEP_1)
	v_subrev_nc_u32_e32 v11, 29, v9
	v_dual_lshlrev_b32 v6, v11, v6 :: v_dual_sub_nc_u32 v9, 30, v9
	s_delay_alu instid0(VALU_DEP_1) | instskip(NEXT) | instid1(VALU_DEP_1)
	v_dual_lshlrev_b32 v5, 24, v5 :: v_dual_bitop2_b32 v6, 3, v6 bitop3:0x40
	v_dual_cndmask_b32 v6, v7, v6 :: v_dual_cndmask_b32 v9, v14, v9
	s_delay_alu instid0(VALU_DEP_2) | instskip(NEXT) | instid1(VALU_DEP_2)
	v_and_b32_e32 v5, 0x80000000, v5
	v_lshlrev_b32_e32 v6, 21, v6
	s_delay_alu instid0(VALU_DEP_3) | instskip(NEXT) | instid1(VALU_DEP_1)
	v_lshl_add_u32 v7, v9, 23, 0x37800000
	v_or3_b32 v5, v5, v7, v6
	s_delay_alu instid0(VALU_DEP_1)
	v_cvt_f64_f32_e32 v[6:7], v5
.LBB142_2374:
	s_or_b32 exec_lo, exec_lo, s21
	s_mov_b32 s20, 0
	s_branch .LBB142_2380
.LBB142_2375:
	s_mov_b32 s20, -1
                                        ; implicit-def: $vgpr6_vgpr7
	s_branch .LBB142_2386
.LBB142_2376:
	s_or_saveexec_b32 s22, s22
	v_mov_b64_e32 v[6:7], 0x7ff8000020000000
	s_xor_b32 exec_lo, exec_lo, s22
	s_cbranch_execz .LBB142_2359
.LBB142_2377:
	v_cmp_ne_u16_e32 vcc_lo, 0, v5
	v_mov_b64_e32 v[6:7], 0
	s_and_not1_b32 s21, s21, exec_lo
	s_and_b32 s23, vcc_lo, exec_lo
	s_delay_alu instid0(SALU_CYCLE_1)
	s_or_b32 s21, s21, s23
	s_or_b32 exec_lo, exec_lo, s22
	s_and_saveexec_b32 s22, s21
	s_cbranch_execnz .LBB142_2360
	s_branch .LBB142_2361
.LBB142_2378:
	s_mov_b32 s20, -1
                                        ; implicit-def: $vgpr6_vgpr7
	s_branch .LBB142_2383
.LBB142_2379:
	s_mov_b32 s20, -1
                                        ; implicit-def: $vgpr6_vgpr7
.LBB142_2380:
	s_delay_alu instid0(SALU_CYCLE_1)
	s_and_b32 vcc_lo, exec_lo, s20
	s_cbranch_vccz .LBB142_2382
; %bb.2381:
	global_load_u8 v5, v[12:13], off
	s_wait_loadcnt 0x0
	v_lshlrev_b32_e32 v5, 24, v5
	s_wait_xcnt 0x1
	s_delay_alu instid0(VALU_DEP_1) | instskip(NEXT) | instid1(VALU_DEP_1)
	v_and_b32_e32 v6, 0x7f000000, v5
	v_clz_i32_u32_e32 v7, v6
	v_cmp_ne_u32_e32 vcc_lo, 0, v6
	v_add_nc_u32_e32 v11, 0x1000000, v6
	s_delay_alu instid0(VALU_DEP_3) | instskip(NEXT) | instid1(VALU_DEP_1)
	v_min_u32_e32 v7, 32, v7
	v_sub_nc_u32_e64 v7, v7, 4 clamp
	s_delay_alu instid0(VALU_DEP_1) | instskip(NEXT) | instid1(VALU_DEP_1)
	v_dual_lshlrev_b32 v9, v7, v6 :: v_dual_lshlrev_b32 v7, 23, v7
	v_lshrrev_b32_e32 v9, 4, v9
	s_delay_alu instid0(VALU_DEP_1) | instskip(SKIP_1) | instid1(VALU_DEP_2)
	v_sub_nc_u32_e32 v7, v9, v7
	v_ashrrev_i32_e32 v9, 8, v11
	v_add_nc_u32_e32 v7, 0x3c000000, v7
	s_delay_alu instid0(VALU_DEP_1) | instskip(NEXT) | instid1(VALU_DEP_1)
	v_and_or_b32 v7, 0x7f800000, v9, v7
	v_cndmask_b32_e32 v6, 0, v7, vcc_lo
	s_delay_alu instid0(VALU_DEP_1) | instskip(NEXT) | instid1(VALU_DEP_1)
	v_and_or_b32 v5, 0x80000000, v5, v6
	v_cvt_f64_f32_e32 v[6:7], v5
.LBB142_2382:
	s_mov_b32 s20, 0
.LBB142_2383:
	s_delay_alu instid0(SALU_CYCLE_1)
	s_and_not1_b32 vcc_lo, exec_lo, s20
	s_cbranch_vccnz .LBB142_2385
; %bb.2384:
	global_load_u8 v5, v[12:13], off
	s_wait_loadcnt 0x0
	s_wait_xcnt 0x1
	v_lshlrev_b32_e32 v6, 25, v5
	v_lshlrev_b16 v5, 8, v5
	s_delay_alu instid0(VALU_DEP_1) | instskip(NEXT) | instid1(VALU_DEP_3)
	v_and_or_b32 v9, 0x7f00, v5, 0.5
	v_lshrrev_b32_e32 v7, 4, v6
	v_bfe_i32 v5, v5, 0, 16
	s_delay_alu instid0(VALU_DEP_3) | instskip(NEXT) | instid1(VALU_DEP_3)
	v_add_f32_e32 v9, -0.5, v9
	v_or_b32_e32 v7, 0x70000000, v7
	s_delay_alu instid0(VALU_DEP_1) | instskip(SKIP_1) | instid1(VALU_DEP_2)
	v_mul_f32_e32 v7, 0x7800000, v7
	v_cmp_gt_u32_e32 vcc_lo, 0x8000000, v6
	v_cndmask_b32_e32 v6, v7, v9, vcc_lo
	s_delay_alu instid0(VALU_DEP_1) | instskip(NEXT) | instid1(VALU_DEP_1)
	v_and_or_b32 v5, 0x80000000, v5, v6
	v_cvt_f64_f32_e32 v[6:7], v5
.LBB142_2385:
	s_mov_b32 s20, 0
	s_mov_b32 s21, -1
.LBB142_2386:
	s_and_not1_b32 vcc_lo, exec_lo, s20
	s_mov_b32 s20, 0
	s_cbranch_vccnz .LBB142_2397
; %bb.2387:
	s_cmp_gt_i32 s0, 14
	s_cbranch_scc0 .LBB142_2390
; %bb.2388:
	s_cmp_eq_u32 s0, 15
	s_cbranch_scc0 .LBB142_2393
; %bb.2389:
	global_load_u16 v5, v[12:13], off
	s_mov_b32 s1, 0
	s_mov_b32 s21, -1
	s_wait_loadcnt 0x0
	v_lshlrev_b32_e32 v5, 16, v5
	s_wait_xcnt 0x1
	s_delay_alu instid0(VALU_DEP_1)
	v_cvt_f64_f32_e32 v[6:7], v5
	s_branch .LBB142_2395
.LBB142_2390:
	s_mov_b32 s20, -1
	s_branch .LBB142_2394
.LBB142_2391:
	s_or_saveexec_b32 s21, s21
	v_mov_b64_e32 v[6:7], 0x7ff8000020000000
	s_xor_b32 exec_lo, exec_lo, s21
	s_cbranch_execz .LBB142_2372
.LBB142_2392:
	v_cmp_ne_u16_e32 vcc_lo, 0, v5
	v_mov_b64_e32 v[6:7], 0
	s_and_not1_b32 s20, s20, exec_lo
	s_and_b32 s22, vcc_lo, exec_lo
	s_delay_alu instid0(SALU_CYCLE_1)
	s_or_b32 s20, s20, s22
	s_or_b32 exec_lo, exec_lo, s21
	s_and_saveexec_b32 s21, s20
	s_cbranch_execnz .LBB142_2373
	s_branch .LBB142_2374
.LBB142_2393:
	s_mov_b32 s1, -1
.LBB142_2394:
                                        ; implicit-def: $vgpr6_vgpr7
.LBB142_2395:
	s_and_b32 vcc_lo, exec_lo, s20
	s_mov_b32 s20, 0
	s_cbranch_vccz .LBB142_2397
; %bb.2396:
	s_cmp_lg_u32 s0, 11
	s_mov_b32 s20, -1
	s_cselect_b32 s1, -1, 0
.LBB142_2397:
	s_delay_alu instid0(SALU_CYCLE_1)
	s_and_b32 vcc_lo, exec_lo, s1
	s_cbranch_vccnz .LBB142_2460
; %bb.2398:
	s_and_not1_b32 vcc_lo, exec_lo, s20
	s_cbranch_vccnz .LBB142_2400
.LBB142_2399:
	global_load_u8 v5, v[12:13], off
	s_wait_xcnt 0x1
	v_mov_b32_e32 v6, 0
	s_mov_b32 s21, -1
	s_wait_loadcnt 0x0
	v_cmp_ne_u16_e32 vcc_lo, 0, v5
	v_cndmask_b32_e64 v7, 0, 0x3ff00000, vcc_lo
.LBB142_2400:
	s_branch .LBB142_2327
.LBB142_2401:
	s_cmp_lt_i32 s0, 5
	s_cbranch_scc1 .LBB142_2406
; %bb.2402:
	s_cmp_lt_i32 s0, 8
	s_cbranch_scc1 .LBB142_2407
; %bb.2403:
	;; [unrolled: 3-line block ×3, first 2 shown]
	s_cmp_gt_i32 s0, 9
	s_cbranch_scc0 .LBB142_2409
; %bb.2405:
	global_load_b64 v[6:7], v[12:13], off
	s_mov_b32 s1, 0
	s_branch .LBB142_2410
.LBB142_2406:
	s_mov_b32 s1, -1
                                        ; implicit-def: $vgpr6_vgpr7
	s_branch .LBB142_2428
.LBB142_2407:
	s_mov_b32 s1, -1
                                        ; implicit-def: $vgpr6_vgpr7
	s_branch .LBB142_2416
.LBB142_2408:
	s_mov_b32 s1, -1
                                        ; implicit-def: $vgpr6_vgpr7
	s_branch .LBB142_2413
.LBB142_2409:
	s_mov_b32 s1, -1
                                        ; implicit-def: $vgpr6_vgpr7
.LBB142_2410:
	s_delay_alu instid0(SALU_CYCLE_1)
	s_and_not1_b32 vcc_lo, exec_lo, s1
	s_cbranch_vccnz .LBB142_2412
; %bb.2411:
	global_load_b32 v5, v[12:13], off
	s_wait_loadcnt 0x0
	s_wait_xcnt 0x1
	v_cvt_f64_f32_e32 v[6:7], v5
.LBB142_2412:
	s_mov_b32 s1, 0
.LBB142_2413:
	s_delay_alu instid0(SALU_CYCLE_1)
	s_and_not1_b32 vcc_lo, exec_lo, s1
	s_cbranch_vccnz .LBB142_2415
; %bb.2414:
	global_load_b32 v5, v[12:13], off
	s_wait_loadcnt 0x0
	v_cvt_f32_f16_e32 v5, v5
	s_wait_xcnt 0x1
	s_delay_alu instid0(VALU_DEP_1)
	v_cvt_f64_f32_e32 v[6:7], v5
.LBB142_2415:
	s_mov_b32 s1, 0
.LBB142_2416:
	s_delay_alu instid0(SALU_CYCLE_1)
	s_and_not1_b32 vcc_lo, exec_lo, s1
	s_cbranch_vccnz .LBB142_2427
; %bb.2417:
	s_cmp_lt_i32 s0, 6
	s_cbranch_scc1 .LBB142_2420
; %bb.2418:
	s_cmp_gt_i32 s0, 6
	s_cbranch_scc0 .LBB142_2421
; %bb.2419:
	s_wait_loadcnt 0x0
	global_load_b64 v[6:7], v[12:13], off
	s_mov_b32 s1, 0
	s_branch .LBB142_2422
.LBB142_2420:
	s_mov_b32 s1, -1
                                        ; implicit-def: $vgpr6_vgpr7
	s_branch .LBB142_2425
.LBB142_2421:
	s_mov_b32 s1, -1
                                        ; implicit-def: $vgpr6_vgpr7
.LBB142_2422:
	s_delay_alu instid0(SALU_CYCLE_1)
	s_and_not1_b32 vcc_lo, exec_lo, s1
	s_cbranch_vccnz .LBB142_2424
; %bb.2423:
	global_load_b32 v5, v[12:13], off
	s_wait_loadcnt 0x0
	s_wait_xcnt 0x1
	v_cvt_f64_f32_e32 v[6:7], v5
.LBB142_2424:
	s_mov_b32 s1, 0
.LBB142_2425:
	s_delay_alu instid0(SALU_CYCLE_1)
	s_and_not1_b32 vcc_lo, exec_lo, s1
	s_cbranch_vccnz .LBB142_2427
; %bb.2426:
	global_load_u16 v5, v[12:13], off
	s_wait_loadcnt 0x0
	v_cvt_f32_f16_e32 v5, v5
	s_wait_xcnt 0x1
	s_delay_alu instid0(VALU_DEP_1)
	v_cvt_f64_f32_e32 v[6:7], v5
.LBB142_2427:
	s_mov_b32 s1, 0
.LBB142_2428:
	s_delay_alu instid0(SALU_CYCLE_1)
	s_and_not1_b32 vcc_lo, exec_lo, s1
	s_cbranch_vccnz .LBB142_2448
; %bb.2429:
	s_cmp_lt_i32 s0, 2
	s_cbranch_scc1 .LBB142_2433
; %bb.2430:
	s_cmp_lt_i32 s0, 3
	s_cbranch_scc1 .LBB142_2434
; %bb.2431:
	s_cmp_gt_i32 s0, 3
	s_cbranch_scc0 .LBB142_2435
; %bb.2432:
	s_wait_loadcnt 0x0
	global_load_b64 v[6:7], v[12:13], off
	s_mov_b32 s1, 0
	s_wait_loadcnt 0x0
	v_cvt_f64_i32_e32 v[14:15], v7
	v_cvt_f64_u32_e32 v[6:7], v6
	s_delay_alu instid0(VALU_DEP_2) | instskip(NEXT) | instid1(VALU_DEP_1)
	v_ldexp_f64 v[14:15], v[14:15], 32
	v_add_f64_e32 v[6:7], v[14:15], v[6:7]
	s_branch .LBB142_2436
.LBB142_2433:
	s_mov_b32 s1, -1
                                        ; implicit-def: $vgpr6_vgpr7
	s_branch .LBB142_2442
.LBB142_2434:
	s_mov_b32 s1, -1
                                        ; implicit-def: $vgpr6_vgpr7
	s_branch .LBB142_2439
.LBB142_2435:
	s_mov_b32 s1, -1
                                        ; implicit-def: $vgpr6_vgpr7
.LBB142_2436:
	s_delay_alu instid0(SALU_CYCLE_1)
	s_and_not1_b32 vcc_lo, exec_lo, s1
	s_cbranch_vccnz .LBB142_2438
; %bb.2437:
	global_load_b32 v5, v[12:13], off
	s_wait_loadcnt 0x0
	s_wait_xcnt 0x1
	v_cvt_f64_i32_e32 v[6:7], v5
.LBB142_2438:
	s_mov_b32 s1, 0
.LBB142_2439:
	s_delay_alu instid0(SALU_CYCLE_1)
	s_and_not1_b32 vcc_lo, exec_lo, s1
	s_cbranch_vccnz .LBB142_2441
; %bb.2440:
	global_load_i16 v5, v[12:13], off
	s_wait_loadcnt 0x0
	s_wait_xcnt 0x1
	v_cvt_f64_i32_e32 v[6:7], v5
.LBB142_2441:
	s_mov_b32 s1, 0
.LBB142_2442:
	s_delay_alu instid0(SALU_CYCLE_1)
	s_and_not1_b32 vcc_lo, exec_lo, s1
	s_cbranch_vccnz .LBB142_2448
; %bb.2443:
	s_cmp_gt_i32 s0, 0
	s_mov_b32 s1, 0
	s_cbranch_scc0 .LBB142_2445
; %bb.2444:
	global_load_i8 v5, v[12:13], off
	s_wait_loadcnt 0x0
	s_wait_xcnt 0x1
	v_cvt_f64_i32_e32 v[6:7], v5
	s_branch .LBB142_2446
.LBB142_2445:
	s_mov_b32 s1, -1
                                        ; implicit-def: $vgpr6_vgpr7
.LBB142_2446:
	s_delay_alu instid0(SALU_CYCLE_1)
	s_and_not1_b32 vcc_lo, exec_lo, s1
	s_cbranch_vccnz .LBB142_2448
; %bb.2447:
	global_load_u8 v5, v[12:13], off
	s_wait_loadcnt 0x0
	s_wait_xcnt 0x1
	v_cvt_f64_u32_e32 v[6:7], v5
.LBB142_2448:
.LBB142_2449:
	s_lshl_b32 s1, s13, 7
	s_cmp_lt_i32 s17, 11
	v_add_nc_u32_e32 v14, s1, v4
	s_delay_alu instid0(VALU_DEP_1) | instskip(SKIP_1) | instid1(VALU_DEP_1)
	v_ashrrev_i32_e32 v15, 31, v14
	s_wait_xcnt 0x0
	v_add_nc_u64_e32 v[12:13], s[6:7], v[14:15]
	s_cbranch_scc1 .LBB142_2456
; %bb.2450:
	s_and_b32 s13, 0xffff, s17
	s_mov_b32 s21, 0
	s_cmp_gt_i32 s13, 25
	s_cbranch_scc0 .LBB142_2457
; %bb.2451:
	s_cmp_gt_i32 s13, 28
	s_cbranch_scc0 .LBB142_2458
; %bb.2452:
	;; [unrolled: 3-line block ×4, first 2 shown]
	s_cmp_eq_u32 s13, 46
	s_mov_b32 s23, 0
	s_cbranch_scc0 .LBB142_2462
; %bb.2455:
	global_load_b32 v4, v[12:13], off
	s_mov_b32 s20, 0
	s_mov_b32 s22, -1
	s_wait_loadcnt 0x0
	v_lshlrev_b32_e32 v4, 16, v4
	s_delay_alu instid0(VALU_DEP_1)
	v_cvt_f64_f32_e32 v[4:5], v4
	s_branch .LBB142_2464
.LBB142_2456:
	s_mov_b32 s13, -1
	s_mov_b32 s22, 0
                                        ; implicit-def: $vgpr4_vgpr5
	s_branch .LBB142_2530
.LBB142_2457:
	s_mov_b32 s23, -1
	s_mov_b32 s22, 0
	s_mov_b32 s20, 0
                                        ; implicit-def: $vgpr4_vgpr5
	s_branch .LBB142_2493
.LBB142_2458:
	s_mov_b32 s23, -1
	s_mov_b32 s22, 0
	s_mov_b32 s20, 0
                                        ; implicit-def: $vgpr4_vgpr5
	s_branch .LBB142_2474
.LBB142_2459:
	s_mov_b32 s23, -1
	s_mov_b32 s22, 0
	s_mov_b32 s20, 0
                                        ; implicit-def: $vgpr4_vgpr5
	s_branch .LBB142_2469
.LBB142_2460:
	s_or_b32 s16, s16, exec_lo
	s_trap 2
	s_cbranch_execz .LBB142_2399
	s_branch .LBB142_2400
.LBB142_2461:
	s_mov_b32 s23, -1
	s_mov_b32 s22, 0
	s_mov_b32 s20, 0
	s_branch .LBB142_2463
.LBB142_2462:
	s_mov_b32 s20, -1
	s_mov_b32 s22, 0
.LBB142_2463:
                                        ; implicit-def: $vgpr4_vgpr5
.LBB142_2464:
	s_and_b32 vcc_lo, exec_lo, s23
	s_cbranch_vccz .LBB142_2468
; %bb.2465:
	s_cmp_eq_u32 s13, 44
	s_cbranch_scc0 .LBB142_2467
; %bb.2466:
	global_load_u8 v9, v[12:13], off
	s_mov_b32 s20, 0
	s_mov_b32 s22, -1
	s_wait_loadcnt 0x0
	v_lshlrev_b32_e32 v4, 23, v9
	v_cmp_ne_u32_e32 vcc_lo, 0xff, v9
	s_delay_alu instid0(VALU_DEP_2) | instskip(NEXT) | instid1(VALU_DEP_1)
	v_cvt_f64_f32_e32 v[4:5], v4
	v_cndmask_b32_e32 v4, 0x20000000, v4, vcc_lo
	s_delay_alu instid0(VALU_DEP_2) | instskip(SKIP_1) | instid1(VALU_DEP_2)
	v_cndmask_b32_e32 v5, 0x7ff80000, v5, vcc_lo
	v_cmp_ne_u32_e32 vcc_lo, 0, v9
	v_cndmask_b32_e32 v5, 0x38000000, v5, vcc_lo
	s_delay_alu instid0(VALU_DEP_4)
	v_cndmask_b32_e32 v4, 0, v4, vcc_lo
	s_branch .LBB142_2468
.LBB142_2467:
	s_mov_b32 s20, -1
                                        ; implicit-def: $vgpr4_vgpr5
.LBB142_2468:
	s_mov_b32 s23, 0
.LBB142_2469:
	s_delay_alu instid0(SALU_CYCLE_1)
	s_and_b32 vcc_lo, exec_lo, s23
	s_cbranch_vccz .LBB142_2473
; %bb.2470:
	s_cmp_eq_u32 s13, 29
	s_cbranch_scc0 .LBB142_2472
; %bb.2471:
	global_load_b64 v[4:5], v[12:13], off
	s_mov_b32 s20, 0
	s_mov_b32 s22, -1
	s_mov_b32 s23, 0
	s_wait_loadcnt 0x0
	v_cvt_f64_u32_e32 v[16:17], v5
	v_cvt_f64_u32_e32 v[4:5], v4
	s_delay_alu instid0(VALU_DEP_2) | instskip(NEXT) | instid1(VALU_DEP_1)
	v_ldexp_f64 v[16:17], v[16:17], 32
	v_add_f64_e32 v[4:5], v[16:17], v[4:5]
	s_branch .LBB142_2474
.LBB142_2472:
	s_mov_b32 s20, -1
                                        ; implicit-def: $vgpr4_vgpr5
.LBB142_2473:
	s_mov_b32 s23, 0
.LBB142_2474:
	s_delay_alu instid0(SALU_CYCLE_1)
	s_and_b32 vcc_lo, exec_lo, s23
	s_cbranch_vccz .LBB142_2492
; %bb.2475:
	s_cmp_lt_i32 s13, 27
	s_cbranch_scc1 .LBB142_2478
; %bb.2476:
	s_cmp_gt_i32 s13, 27
	s_cbranch_scc0 .LBB142_2479
; %bb.2477:
	global_load_b32 v4, v[12:13], off
	s_mov_b32 s22, 0
	s_wait_loadcnt 0x0
	v_cvt_f64_u32_e32 v[4:5], v4
	s_branch .LBB142_2480
.LBB142_2478:
	s_mov_b32 s22, -1
                                        ; implicit-def: $vgpr4_vgpr5
	s_branch .LBB142_2483
.LBB142_2479:
	s_mov_b32 s22, -1
                                        ; implicit-def: $vgpr4_vgpr5
.LBB142_2480:
	s_delay_alu instid0(SALU_CYCLE_1)
	s_and_not1_b32 vcc_lo, exec_lo, s22
	s_cbranch_vccnz .LBB142_2482
; %bb.2481:
	global_load_u16 v4, v[12:13], off
	s_wait_loadcnt 0x0
	v_cvt_f64_u32_e32 v[4:5], v4
.LBB142_2482:
	s_mov_b32 s22, 0
.LBB142_2483:
	s_delay_alu instid0(SALU_CYCLE_1)
	s_and_not1_b32 vcc_lo, exec_lo, s22
	s_cbranch_vccnz .LBB142_2491
; %bb.2484:
	global_load_u8 v9, v[12:13], off
	s_mov_b32 s22, 0
	s_mov_b32 s23, exec_lo
	s_wait_loadcnt 0x0
	v_cmpx_lt_i16_e32 0x7f, v9
	s_xor_b32 s23, exec_lo, s23
	s_cbranch_execz .LBB142_2505
; %bb.2485:
	s_mov_b32 s22, -1
	s_mov_b32 s24, exec_lo
	v_cmpx_eq_u16_e32 0x80, v9
; %bb.2486:
	s_xor_b32 s22, exec_lo, -1
; %bb.2487:
	s_or_b32 exec_lo, exec_lo, s24
	s_delay_alu instid0(SALU_CYCLE_1)
	s_and_b32 s22, s22, exec_lo
	s_or_saveexec_b32 s23, s23
	v_mov_b64_e32 v[4:5], 0x7ff8000020000000
	s_xor_b32 exec_lo, exec_lo, s23
	s_cbranch_execnz .LBB142_2506
.LBB142_2488:
	s_or_b32 exec_lo, exec_lo, s23
	s_and_saveexec_b32 s23, s22
	s_cbranch_execz .LBB142_2490
.LBB142_2489:
	v_and_b32_e32 v4, 0xffff, v9
	s_delay_alu instid0(VALU_DEP_1) | instskip(SKIP_1) | instid1(VALU_DEP_2)
	v_and_b32_e32 v5, 7, v4
	v_bfe_u32 v16, v4, 3, 4
	v_clz_i32_u32_e32 v11, v5
	s_delay_alu instid0(VALU_DEP_2) | instskip(NEXT) | instid1(VALU_DEP_2)
	v_cmp_eq_u32_e32 vcc_lo, 0, v16
	v_min_u32_e32 v11, 32, v11
	s_delay_alu instid0(VALU_DEP_1) | instskip(NEXT) | instid1(VALU_DEP_1)
	v_subrev_nc_u32_e32 v15, 28, v11
	v_dual_lshlrev_b32 v4, v15, v4 :: v_dual_sub_nc_u32 v11, 29, v11
	s_delay_alu instid0(VALU_DEP_1) | instskip(NEXT) | instid1(VALU_DEP_1)
	v_dual_lshlrev_b32 v9, 24, v9 :: v_dual_bitop2_b32 v4, 7, v4 bitop3:0x40
	v_dual_cndmask_b32 v11, v16, v11 :: v_dual_cndmask_b32 v4, v5, v4
	s_delay_alu instid0(VALU_DEP_2) | instskip(NEXT) | instid1(VALU_DEP_2)
	v_and_b32_e32 v5, 0x80000000, v9
	v_lshl_add_u32 v9, v11, 23, 0x3b800000
	s_delay_alu instid0(VALU_DEP_3) | instskip(NEXT) | instid1(VALU_DEP_1)
	v_lshlrev_b32_e32 v4, 20, v4
	v_or3_b32 v4, v5, v9, v4
	s_delay_alu instid0(VALU_DEP_1)
	v_cvt_f64_f32_e32 v[4:5], v4
.LBB142_2490:
	s_or_b32 exec_lo, exec_lo, s23
.LBB142_2491:
	s_mov_b32 s22, -1
.LBB142_2492:
	s_mov_b32 s23, 0
.LBB142_2493:
	s_delay_alu instid0(SALU_CYCLE_1)
	s_and_b32 vcc_lo, exec_lo, s23
	s_cbranch_vccz .LBB142_2526
; %bb.2494:
	s_cmp_gt_i32 s13, 22
	s_cbranch_scc0 .LBB142_2504
; %bb.2495:
	s_cmp_lt_i32 s13, 24
	s_cbranch_scc1 .LBB142_2507
; %bb.2496:
	s_cmp_gt_i32 s13, 24
	s_cbranch_scc0 .LBB142_2508
; %bb.2497:
	global_load_u8 v9, v[12:13], off
	s_mov_b32 s22, exec_lo
	s_wait_loadcnt 0x0
	v_cmpx_lt_i16_e32 0x7f, v9
	s_xor_b32 s22, exec_lo, s22
	s_cbranch_execz .LBB142_2520
; %bb.2498:
	s_mov_b32 s21, -1
	s_mov_b32 s23, exec_lo
	v_cmpx_eq_u16_e32 0x80, v9
; %bb.2499:
	s_xor_b32 s21, exec_lo, -1
; %bb.2500:
	s_or_b32 exec_lo, exec_lo, s23
	s_delay_alu instid0(SALU_CYCLE_1)
	s_and_b32 s21, s21, exec_lo
	s_or_saveexec_b32 s22, s22
	v_mov_b64_e32 v[4:5], 0x7ff8000020000000
	s_xor_b32 exec_lo, exec_lo, s22
	s_cbranch_execnz .LBB142_2521
.LBB142_2501:
	s_or_b32 exec_lo, exec_lo, s22
	s_and_saveexec_b32 s22, s21
	s_cbranch_execz .LBB142_2503
.LBB142_2502:
	v_and_b32_e32 v4, 0xffff, v9
	s_delay_alu instid0(VALU_DEP_1) | instskip(SKIP_1) | instid1(VALU_DEP_2)
	v_and_b32_e32 v5, 3, v4
	v_bfe_u32 v16, v4, 2, 5
	v_clz_i32_u32_e32 v11, v5
	s_delay_alu instid0(VALU_DEP_2) | instskip(NEXT) | instid1(VALU_DEP_2)
	v_cmp_eq_u32_e32 vcc_lo, 0, v16
	v_min_u32_e32 v11, 32, v11
	s_delay_alu instid0(VALU_DEP_1) | instskip(NEXT) | instid1(VALU_DEP_1)
	v_subrev_nc_u32_e32 v15, 29, v11
	v_dual_lshlrev_b32 v4, v15, v4 :: v_dual_sub_nc_u32 v11, 30, v11
	s_delay_alu instid0(VALU_DEP_1) | instskip(NEXT) | instid1(VALU_DEP_1)
	v_dual_lshlrev_b32 v9, 24, v9 :: v_dual_bitop2_b32 v4, 3, v4 bitop3:0x40
	v_dual_cndmask_b32 v11, v16, v11 :: v_dual_cndmask_b32 v4, v5, v4
	s_delay_alu instid0(VALU_DEP_2) | instskip(NEXT) | instid1(VALU_DEP_2)
	v_and_b32_e32 v5, 0x80000000, v9
	v_lshl_add_u32 v9, v11, 23, 0x37800000
	s_delay_alu instid0(VALU_DEP_3) | instskip(NEXT) | instid1(VALU_DEP_1)
	v_lshlrev_b32_e32 v4, 21, v4
	v_or3_b32 v4, v5, v9, v4
	s_delay_alu instid0(VALU_DEP_1)
	v_cvt_f64_f32_e32 v[4:5], v4
.LBB142_2503:
	s_or_b32 exec_lo, exec_lo, s22
	s_mov_b32 s21, 0
	s_branch .LBB142_2509
.LBB142_2504:
	s_mov_b32 s21, -1
                                        ; implicit-def: $vgpr4_vgpr5
	s_branch .LBB142_2515
.LBB142_2505:
	s_or_saveexec_b32 s23, s23
	v_mov_b64_e32 v[4:5], 0x7ff8000020000000
	s_xor_b32 exec_lo, exec_lo, s23
	s_cbranch_execz .LBB142_2488
.LBB142_2506:
	v_cmp_ne_u16_e32 vcc_lo, 0, v9
	v_mov_b64_e32 v[4:5], 0
	s_and_not1_b32 s22, s22, exec_lo
	s_and_b32 s24, vcc_lo, exec_lo
	s_delay_alu instid0(SALU_CYCLE_1)
	s_or_b32 s22, s22, s24
	s_or_b32 exec_lo, exec_lo, s23
	s_and_saveexec_b32 s23, s22
	s_cbranch_execnz .LBB142_2489
	s_branch .LBB142_2490
.LBB142_2507:
	s_mov_b32 s21, -1
                                        ; implicit-def: $vgpr4_vgpr5
	s_branch .LBB142_2512
.LBB142_2508:
	s_mov_b32 s21, -1
                                        ; implicit-def: $vgpr4_vgpr5
.LBB142_2509:
	s_delay_alu instid0(SALU_CYCLE_1)
	s_and_b32 vcc_lo, exec_lo, s21
	s_cbranch_vccz .LBB142_2511
; %bb.2510:
	global_load_u8 v4, v[12:13], off
	s_wait_loadcnt 0x0
	v_lshlrev_b32_e32 v4, 24, v4
	s_delay_alu instid0(VALU_DEP_1) | instskip(NEXT) | instid1(VALU_DEP_1)
	v_and_b32_e32 v5, 0x7f000000, v4
	v_clz_i32_u32_e32 v9, v5
	v_add_nc_u32_e32 v15, 0x1000000, v5
	v_cmp_ne_u32_e32 vcc_lo, 0, v5
	s_delay_alu instid0(VALU_DEP_3) | instskip(NEXT) | instid1(VALU_DEP_1)
	v_min_u32_e32 v9, 32, v9
	v_sub_nc_u32_e64 v9, v9, 4 clamp
	s_delay_alu instid0(VALU_DEP_1) | instskip(NEXT) | instid1(VALU_DEP_1)
	v_lshlrev_b32_e32 v11, v9, v5
	v_dual_lshlrev_b32 v9, 23, v9 :: v_dual_lshrrev_b32 v11, 4, v11
	s_delay_alu instid0(VALU_DEP_1) | instskip(NEXT) | instid1(VALU_DEP_1)
	v_dual_sub_nc_u32 v9, v11, v9 :: v_dual_ashrrev_i32 v11, 8, v15
	v_add_nc_u32_e32 v9, 0x3c000000, v9
	s_delay_alu instid0(VALU_DEP_1) | instskip(NEXT) | instid1(VALU_DEP_1)
	v_and_or_b32 v9, 0x7f800000, v11, v9
	v_cndmask_b32_e32 v5, 0, v9, vcc_lo
	s_delay_alu instid0(VALU_DEP_1) | instskip(NEXT) | instid1(VALU_DEP_1)
	v_and_or_b32 v4, 0x80000000, v4, v5
	v_cvt_f64_f32_e32 v[4:5], v4
.LBB142_2511:
	s_mov_b32 s21, 0
.LBB142_2512:
	s_delay_alu instid0(SALU_CYCLE_1)
	s_and_not1_b32 vcc_lo, exec_lo, s21
	s_cbranch_vccnz .LBB142_2514
; %bb.2513:
	global_load_u8 v4, v[12:13], off
	s_wait_loadcnt 0x0
	v_lshlrev_b32_e32 v5, 25, v4
	v_lshlrev_b16 v4, 8, v4
	s_delay_alu instid0(VALU_DEP_1) | instskip(SKIP_1) | instid1(VALU_DEP_2)
	v_and_or_b32 v11, 0x7f00, v4, 0.5
	v_bfe_i32 v4, v4, 0, 16
	v_dual_add_f32 v11, -0.5, v11 :: v_dual_lshrrev_b32 v9, 4, v5
	v_cmp_gt_u32_e32 vcc_lo, 0x8000000, v5
	s_delay_alu instid0(VALU_DEP_2) | instskip(NEXT) | instid1(VALU_DEP_1)
	v_or_b32_e32 v9, 0x70000000, v9
	v_mul_f32_e32 v9, 0x7800000, v9
	s_delay_alu instid0(VALU_DEP_1) | instskip(NEXT) | instid1(VALU_DEP_1)
	v_cndmask_b32_e32 v5, v9, v11, vcc_lo
	v_and_or_b32 v4, 0x80000000, v4, v5
	s_delay_alu instid0(VALU_DEP_1)
	v_cvt_f64_f32_e32 v[4:5], v4
.LBB142_2514:
	s_mov_b32 s21, 0
	s_mov_b32 s22, -1
.LBB142_2515:
	s_and_not1_b32 vcc_lo, exec_lo, s21
	s_mov_b32 s21, 0
	s_cbranch_vccnz .LBB142_2526
; %bb.2516:
	s_cmp_gt_i32 s13, 14
	s_cbranch_scc0 .LBB142_2519
; %bb.2517:
	s_cmp_eq_u32 s13, 15
	s_cbranch_scc0 .LBB142_2522
; %bb.2518:
	global_load_u16 v4, v[12:13], off
	s_mov_b32 s20, 0
	s_mov_b32 s22, -1
	s_wait_loadcnt 0x0
	v_lshlrev_b32_e32 v4, 16, v4
	s_delay_alu instid0(VALU_DEP_1)
	v_cvt_f64_f32_e32 v[4:5], v4
	s_branch .LBB142_2524
.LBB142_2519:
	s_mov_b32 s21, -1
	s_branch .LBB142_2523
.LBB142_2520:
	s_or_saveexec_b32 s22, s22
	v_mov_b64_e32 v[4:5], 0x7ff8000020000000
	s_xor_b32 exec_lo, exec_lo, s22
	s_cbranch_execz .LBB142_2501
.LBB142_2521:
	v_cmp_ne_u16_e32 vcc_lo, 0, v9
	v_mov_b64_e32 v[4:5], 0
	s_and_not1_b32 s21, s21, exec_lo
	s_and_b32 s23, vcc_lo, exec_lo
	s_delay_alu instid0(SALU_CYCLE_1)
	s_or_b32 s21, s21, s23
	s_or_b32 exec_lo, exec_lo, s22
	s_and_saveexec_b32 s22, s21
	s_cbranch_execnz .LBB142_2502
	s_branch .LBB142_2503
.LBB142_2522:
	s_mov_b32 s20, -1
.LBB142_2523:
                                        ; implicit-def: $vgpr4_vgpr5
.LBB142_2524:
	s_and_b32 vcc_lo, exec_lo, s21
	s_mov_b32 s21, 0
	s_cbranch_vccz .LBB142_2526
; %bb.2525:
	s_cmp_lg_u32 s13, 11
	s_mov_b32 s21, -1
	s_cselect_b32 s20, -1, 0
.LBB142_2526:
	s_delay_alu instid0(SALU_CYCLE_1)
	s_and_b32 vcc_lo, exec_lo, s20
	s_cbranch_vccnz .LBB142_2591
; %bb.2527:
	s_and_not1_b32 vcc_lo, exec_lo, s21
	s_cbranch_vccnz .LBB142_2529
.LBB142_2528:
	global_load_u8 v4, v[12:13], off
	s_mov_b32 s22, -1
	s_wait_loadcnt 0x0
	v_cmp_ne_u16_e32 vcc_lo, 0, v4
	v_mov_b32_e32 v4, 0
	v_cndmask_b32_e64 v5, 0, 0x3ff00000, vcc_lo
.LBB142_2529:
	s_mov_b32 s13, 0
.LBB142_2530:
	s_delay_alu instid0(SALU_CYCLE_1)
	s_and_b32 vcc_lo, exec_lo, s13
	s_cbranch_vccz .LBB142_2579
; %bb.2531:
	s_and_b32 s13, 0xffff, s17
	s_delay_alu instid0(SALU_CYCLE_1)
	s_cmp_lt_i32 s13, 5
	s_cbranch_scc1 .LBB142_2536
; %bb.2532:
	s_cmp_lt_i32 s13, 8
	s_cbranch_scc1 .LBB142_2537
; %bb.2533:
	;; [unrolled: 3-line block ×3, first 2 shown]
	s_cmp_gt_i32 s13, 9
	s_cbranch_scc0 .LBB142_2539
; %bb.2535:
	global_load_b64 v[4:5], v[12:13], off
	s_mov_b32 s20, 0
	s_branch .LBB142_2540
.LBB142_2536:
	s_mov_b32 s20, -1
                                        ; implicit-def: $vgpr4_vgpr5
	s_branch .LBB142_2558
.LBB142_2537:
	s_mov_b32 s20, -1
                                        ; implicit-def: $vgpr4_vgpr5
	s_branch .LBB142_2546
.LBB142_2538:
	s_mov_b32 s20, -1
                                        ; implicit-def: $vgpr4_vgpr5
	s_branch .LBB142_2543
.LBB142_2539:
	s_mov_b32 s20, -1
                                        ; implicit-def: $vgpr4_vgpr5
.LBB142_2540:
	s_delay_alu instid0(SALU_CYCLE_1)
	s_and_not1_b32 vcc_lo, exec_lo, s20
	s_cbranch_vccnz .LBB142_2542
; %bb.2541:
	s_wait_loadcnt 0x0
	global_load_b32 v4, v[12:13], off
	s_wait_loadcnt 0x0
	v_cvt_f64_f32_e32 v[4:5], v4
.LBB142_2542:
	s_mov_b32 s20, 0
.LBB142_2543:
	s_delay_alu instid0(SALU_CYCLE_1)
	s_and_not1_b32 vcc_lo, exec_lo, s20
	s_cbranch_vccnz .LBB142_2545
; %bb.2544:
	s_wait_loadcnt 0x0
	global_load_b32 v4, v[12:13], off
	s_wait_loadcnt 0x0
	v_cvt_f32_f16_e32 v4, v4
	s_delay_alu instid0(VALU_DEP_1)
	v_cvt_f64_f32_e32 v[4:5], v4
.LBB142_2545:
	s_mov_b32 s20, 0
.LBB142_2546:
	s_delay_alu instid0(SALU_CYCLE_1)
	s_and_not1_b32 vcc_lo, exec_lo, s20
	s_cbranch_vccnz .LBB142_2557
; %bb.2547:
	s_cmp_lt_i32 s13, 6
	s_cbranch_scc1 .LBB142_2550
; %bb.2548:
	s_cmp_gt_i32 s13, 6
	s_cbranch_scc0 .LBB142_2551
; %bb.2549:
	s_wait_loadcnt 0x0
	global_load_b64 v[4:5], v[12:13], off
	s_mov_b32 s20, 0
	s_branch .LBB142_2552
.LBB142_2550:
	s_mov_b32 s20, -1
                                        ; implicit-def: $vgpr4_vgpr5
	s_branch .LBB142_2555
.LBB142_2551:
	s_mov_b32 s20, -1
                                        ; implicit-def: $vgpr4_vgpr5
.LBB142_2552:
	s_delay_alu instid0(SALU_CYCLE_1)
	s_and_not1_b32 vcc_lo, exec_lo, s20
	s_cbranch_vccnz .LBB142_2554
; %bb.2553:
	s_wait_loadcnt 0x0
	global_load_b32 v4, v[12:13], off
	s_wait_loadcnt 0x0
	v_cvt_f64_f32_e32 v[4:5], v4
.LBB142_2554:
	s_mov_b32 s20, 0
.LBB142_2555:
	s_delay_alu instid0(SALU_CYCLE_1)
	s_and_not1_b32 vcc_lo, exec_lo, s20
	s_cbranch_vccnz .LBB142_2557
; %bb.2556:
	s_wait_loadcnt 0x0
	global_load_u16 v4, v[12:13], off
	s_wait_loadcnt 0x0
	v_cvt_f32_f16_e32 v4, v4
	s_delay_alu instid0(VALU_DEP_1)
	v_cvt_f64_f32_e32 v[4:5], v4
.LBB142_2557:
	s_mov_b32 s20, 0
.LBB142_2558:
	s_delay_alu instid0(SALU_CYCLE_1)
	s_and_not1_b32 vcc_lo, exec_lo, s20
	s_cbranch_vccnz .LBB142_2578
; %bb.2559:
	s_cmp_lt_i32 s13, 2
	s_cbranch_scc1 .LBB142_2563
; %bb.2560:
	s_cmp_lt_i32 s13, 3
	s_cbranch_scc1 .LBB142_2564
; %bb.2561:
	s_cmp_gt_i32 s13, 3
	s_cbranch_scc0 .LBB142_2565
; %bb.2562:
	s_wait_loadcnt 0x0
	global_load_b64 v[4:5], v[12:13], off
	s_mov_b32 s20, 0
	s_wait_loadcnt 0x0
	v_cvt_f64_i32_e32 v[16:17], v5
	v_cvt_f64_u32_e32 v[4:5], v4
	s_delay_alu instid0(VALU_DEP_2) | instskip(NEXT) | instid1(VALU_DEP_1)
	v_ldexp_f64 v[16:17], v[16:17], 32
	v_add_f64_e32 v[4:5], v[16:17], v[4:5]
	s_branch .LBB142_2566
.LBB142_2563:
	s_mov_b32 s20, -1
                                        ; implicit-def: $vgpr4_vgpr5
	s_branch .LBB142_2572
.LBB142_2564:
	s_mov_b32 s20, -1
                                        ; implicit-def: $vgpr4_vgpr5
	s_branch .LBB142_2569
.LBB142_2565:
	s_mov_b32 s20, -1
                                        ; implicit-def: $vgpr4_vgpr5
.LBB142_2566:
	s_delay_alu instid0(SALU_CYCLE_1)
	s_and_not1_b32 vcc_lo, exec_lo, s20
	s_cbranch_vccnz .LBB142_2568
; %bb.2567:
	s_wait_loadcnt 0x0
	global_load_b32 v4, v[12:13], off
	s_wait_loadcnt 0x0
	v_cvt_f64_i32_e32 v[4:5], v4
.LBB142_2568:
	s_mov_b32 s20, 0
.LBB142_2569:
	s_delay_alu instid0(SALU_CYCLE_1)
	s_and_not1_b32 vcc_lo, exec_lo, s20
	s_cbranch_vccnz .LBB142_2571
; %bb.2570:
	s_wait_loadcnt 0x0
	global_load_i16 v4, v[12:13], off
	s_wait_loadcnt 0x0
	v_cvt_f64_i32_e32 v[4:5], v4
.LBB142_2571:
	s_mov_b32 s20, 0
.LBB142_2572:
	s_delay_alu instid0(SALU_CYCLE_1)
	s_and_not1_b32 vcc_lo, exec_lo, s20
	s_cbranch_vccnz .LBB142_2578
; %bb.2573:
	s_cmp_gt_i32 s13, 0
	s_mov_b32 s13, 0
	s_cbranch_scc0 .LBB142_2575
; %bb.2574:
	s_wait_loadcnt 0x0
	global_load_i8 v4, v[12:13], off
	s_wait_loadcnt 0x0
	v_cvt_f64_i32_e32 v[4:5], v4
	s_branch .LBB142_2576
.LBB142_2575:
	s_mov_b32 s13, -1
                                        ; implicit-def: $vgpr4_vgpr5
.LBB142_2576:
	s_delay_alu instid0(SALU_CYCLE_1)
	s_and_not1_b32 vcc_lo, exec_lo, s13
	s_cbranch_vccnz .LBB142_2578
; %bb.2577:
	s_wait_loadcnt 0x0
	global_load_u8 v4, v[12:13], off
	s_wait_loadcnt 0x0
	v_cvt_f64_u32_e32 v[4:5], v4
.LBB142_2578:
	s_mov_b32 s22, -1
.LBB142_2579:
	s_delay_alu instid0(SALU_CYCLE_1)
	s_and_not1_b32 vcc_lo, exec_lo, s22
	s_cbranch_vccnz .LBB142_4065
; %bb.2580:
	s_lshl_b32 s13, s14, 7
	s_cmp_lt_i32 s3, 11
	v_add_nc_u32_e32 v16, s13, v8
	s_delay_alu instid0(VALU_DEP_1) | instskip(SKIP_1) | instid1(VALU_DEP_1)
	v_ashrrev_i32_e32 v17, 31, v16
	s_wait_xcnt 0x0
	v_add_nc_u64_e32 v[12:13], s[8:9], v[16:17]
	s_cbranch_scc1 .LBB142_2587
; %bb.2581:
	s_and_b32 s14, 0xffff, s3
	s_mov_b32 s21, 0
	s_cmp_gt_i32 s14, 25
	s_cbranch_scc0 .LBB142_2588
; %bb.2582:
	s_cmp_gt_i32 s14, 28
	s_cbranch_scc0 .LBB142_2589
; %bb.2583:
	;; [unrolled: 3-line block ×4, first 2 shown]
	s_cmp_eq_u32 s14, 46
	s_mov_b32 s23, 0
	s_cbranch_scc0 .LBB142_2593
; %bb.2586:
	global_load_b32 v8, v[12:13], off
	s_mov_b32 s20, 0
	s_mov_b32 s22, -1
	s_wait_loadcnt 0x0
	v_lshlrev_b32_e32 v8, 16, v8
	s_delay_alu instid0(VALU_DEP_1)
	v_cvt_f64_f32_e32 v[8:9], v8
	s_branch .LBB142_2595
.LBB142_2587:
	s_mov_b32 s14, -1
	s_mov_b32 s22, 0
                                        ; implicit-def: $vgpr8_vgpr9
	s_branch .LBB142_2661
.LBB142_2588:
	s_mov_b32 s23, -1
	s_mov_b32 s22, 0
	s_mov_b32 s20, 0
                                        ; implicit-def: $vgpr8_vgpr9
	s_branch .LBB142_2624
.LBB142_2589:
	s_mov_b32 s23, -1
	s_mov_b32 s22, 0
	s_mov_b32 s20, 0
                                        ; implicit-def: $vgpr8_vgpr9
	s_branch .LBB142_2605
.LBB142_2590:
	s_mov_b32 s23, -1
	s_mov_b32 s22, 0
	s_mov_b32 s20, 0
                                        ; implicit-def: $vgpr8_vgpr9
	s_branch .LBB142_2600
.LBB142_2591:
	s_or_b32 s16, s16, exec_lo
	s_trap 2
	s_cbranch_execz .LBB142_2528
	s_branch .LBB142_2529
.LBB142_2592:
	s_mov_b32 s23, -1
	s_mov_b32 s22, 0
	s_mov_b32 s20, 0
	s_branch .LBB142_2594
.LBB142_2593:
	s_mov_b32 s20, -1
	s_mov_b32 s22, 0
.LBB142_2594:
                                        ; implicit-def: $vgpr8_vgpr9
.LBB142_2595:
	s_and_b32 vcc_lo, exec_lo, s23
	s_cbranch_vccz .LBB142_2599
; %bb.2596:
	s_cmp_eq_u32 s14, 44
	s_cbranch_scc0 .LBB142_2598
; %bb.2597:
	global_load_u8 v11, v[12:13], off
	s_mov_b32 s20, 0
	s_mov_b32 s22, -1
	s_wait_loadcnt 0x0
	v_cmp_ne_u32_e32 vcc_lo, 0xff, v11
	v_lshlrev_b32_e32 v8, 23, v11
	s_delay_alu instid0(VALU_DEP_1) | instskip(NEXT) | instid1(VALU_DEP_1)
	v_cvt_f64_f32_e32 v[8:9], v8
	v_cndmask_b32_e32 v8, 0x20000000, v8, vcc_lo
	s_delay_alu instid0(VALU_DEP_2) | instskip(SKIP_1) | instid1(VALU_DEP_2)
	v_cndmask_b32_e32 v9, 0x7ff80000, v9, vcc_lo
	v_cmp_ne_u32_e32 vcc_lo, 0, v11
	v_cndmask_b32_e32 v9, 0x38000000, v9, vcc_lo
	s_delay_alu instid0(VALU_DEP_4)
	v_cndmask_b32_e32 v8, 0, v8, vcc_lo
	s_branch .LBB142_2599
.LBB142_2598:
	s_mov_b32 s20, -1
                                        ; implicit-def: $vgpr8_vgpr9
.LBB142_2599:
	s_mov_b32 s23, 0
.LBB142_2600:
	s_delay_alu instid0(SALU_CYCLE_1)
	s_and_b32 vcc_lo, exec_lo, s23
	s_cbranch_vccz .LBB142_2604
; %bb.2601:
	s_cmp_eq_u32 s14, 29
	s_cbranch_scc0 .LBB142_2603
; %bb.2602:
	global_load_b64 v[8:9], v[12:13], off
	s_mov_b32 s20, 0
	s_mov_b32 s22, -1
	s_mov_b32 s23, 0
	s_wait_loadcnt 0x0
	v_cvt_f64_u32_e32 v[18:19], v9
	v_cvt_f64_u32_e32 v[8:9], v8
	s_delay_alu instid0(VALU_DEP_2) | instskip(NEXT) | instid1(VALU_DEP_1)
	v_ldexp_f64 v[18:19], v[18:19], 32
	v_add_f64_e32 v[8:9], v[18:19], v[8:9]
	s_branch .LBB142_2605
.LBB142_2603:
	s_mov_b32 s20, -1
                                        ; implicit-def: $vgpr8_vgpr9
.LBB142_2604:
	s_mov_b32 s23, 0
.LBB142_2605:
	s_delay_alu instid0(SALU_CYCLE_1)
	s_and_b32 vcc_lo, exec_lo, s23
	s_cbranch_vccz .LBB142_2623
; %bb.2606:
	s_cmp_lt_i32 s14, 27
	s_cbranch_scc1 .LBB142_2609
; %bb.2607:
	s_cmp_gt_i32 s14, 27
	s_cbranch_scc0 .LBB142_2610
; %bb.2608:
	global_load_b32 v8, v[12:13], off
	s_mov_b32 s22, 0
	s_wait_loadcnt 0x0
	v_cvt_f64_u32_e32 v[8:9], v8
	s_branch .LBB142_2611
.LBB142_2609:
	s_mov_b32 s22, -1
                                        ; implicit-def: $vgpr8_vgpr9
	s_branch .LBB142_2614
.LBB142_2610:
	s_mov_b32 s22, -1
                                        ; implicit-def: $vgpr8_vgpr9
.LBB142_2611:
	s_delay_alu instid0(SALU_CYCLE_1)
	s_and_not1_b32 vcc_lo, exec_lo, s22
	s_cbranch_vccnz .LBB142_2613
; %bb.2612:
	global_load_u16 v8, v[12:13], off
	s_wait_loadcnt 0x0
	v_cvt_f64_u32_e32 v[8:9], v8
.LBB142_2613:
	s_mov_b32 s22, 0
.LBB142_2614:
	s_delay_alu instid0(SALU_CYCLE_1)
	s_and_not1_b32 vcc_lo, exec_lo, s22
	s_cbranch_vccnz .LBB142_2622
; %bb.2615:
	global_load_u8 v11, v[12:13], off
	s_mov_b32 s22, 0
	s_mov_b32 s23, exec_lo
	s_wait_loadcnt 0x0
	v_cmpx_lt_i16_e32 0x7f, v11
	s_xor_b32 s23, exec_lo, s23
	s_cbranch_execz .LBB142_2636
; %bb.2616:
	s_mov_b32 s22, -1
	s_mov_b32 s24, exec_lo
	v_cmpx_eq_u16_e32 0x80, v11
; %bb.2617:
	s_xor_b32 s22, exec_lo, -1
; %bb.2618:
	s_or_b32 exec_lo, exec_lo, s24
	s_delay_alu instid0(SALU_CYCLE_1)
	s_and_b32 s22, s22, exec_lo
	s_or_saveexec_b32 s23, s23
	v_mov_b64_e32 v[8:9], 0x7ff8000020000000
	s_xor_b32 exec_lo, exec_lo, s23
	s_cbranch_execnz .LBB142_2637
.LBB142_2619:
	s_or_b32 exec_lo, exec_lo, s23
	s_and_saveexec_b32 s23, s22
	s_cbranch_execz .LBB142_2621
.LBB142_2620:
	v_and_b32_e32 v8, 0xffff, v11
	s_delay_alu instid0(VALU_DEP_1) | instskip(SKIP_1) | instid1(VALU_DEP_2)
	v_and_b32_e32 v9, 7, v8
	v_bfe_u32 v18, v8, 3, 4
	v_clz_i32_u32_e32 v15, v9
	s_delay_alu instid0(VALU_DEP_2) | instskip(NEXT) | instid1(VALU_DEP_2)
	v_cmp_eq_u32_e32 vcc_lo, 0, v18
	v_min_u32_e32 v15, 32, v15
	s_delay_alu instid0(VALU_DEP_1) | instskip(NEXT) | instid1(VALU_DEP_1)
	v_subrev_nc_u32_e32 v17, 28, v15
	v_dual_lshlrev_b32 v8, v17, v8 :: v_dual_sub_nc_u32 v15, 29, v15
	s_delay_alu instid0(VALU_DEP_1) | instskip(NEXT) | instid1(VALU_DEP_1)
	v_dual_lshlrev_b32 v11, 24, v11 :: v_dual_bitop2_b32 v8, 7, v8 bitop3:0x40
	v_dual_cndmask_b32 v8, v9, v8 :: v_dual_cndmask_b32 v15, v18, v15
	s_delay_alu instid0(VALU_DEP_2) | instskip(NEXT) | instid1(VALU_DEP_2)
	v_and_b32_e32 v9, 0x80000000, v11
	v_lshlrev_b32_e32 v8, 20, v8
	s_delay_alu instid0(VALU_DEP_3) | instskip(NEXT) | instid1(VALU_DEP_1)
	v_lshl_add_u32 v11, v15, 23, 0x3b800000
	v_or3_b32 v8, v9, v11, v8
	s_delay_alu instid0(VALU_DEP_1)
	v_cvt_f64_f32_e32 v[8:9], v8
.LBB142_2621:
	s_or_b32 exec_lo, exec_lo, s23
.LBB142_2622:
	s_mov_b32 s22, -1
.LBB142_2623:
	s_mov_b32 s23, 0
.LBB142_2624:
	s_delay_alu instid0(SALU_CYCLE_1)
	s_and_b32 vcc_lo, exec_lo, s23
	s_cbranch_vccz .LBB142_2657
; %bb.2625:
	s_cmp_gt_i32 s14, 22
	s_cbranch_scc0 .LBB142_2635
; %bb.2626:
	s_cmp_lt_i32 s14, 24
	s_cbranch_scc1 .LBB142_2638
; %bb.2627:
	s_cmp_gt_i32 s14, 24
	s_cbranch_scc0 .LBB142_2639
; %bb.2628:
	global_load_u8 v11, v[12:13], off
	s_mov_b32 s22, exec_lo
	s_wait_loadcnt 0x0
	v_cmpx_lt_i16_e32 0x7f, v11
	s_xor_b32 s22, exec_lo, s22
	s_cbranch_execz .LBB142_2651
; %bb.2629:
	s_mov_b32 s21, -1
	s_mov_b32 s23, exec_lo
	v_cmpx_eq_u16_e32 0x80, v11
; %bb.2630:
	s_xor_b32 s21, exec_lo, -1
; %bb.2631:
	s_or_b32 exec_lo, exec_lo, s23
	s_delay_alu instid0(SALU_CYCLE_1)
	s_and_b32 s21, s21, exec_lo
	s_or_saveexec_b32 s22, s22
	v_mov_b64_e32 v[8:9], 0x7ff8000020000000
	s_xor_b32 exec_lo, exec_lo, s22
	s_cbranch_execnz .LBB142_2652
.LBB142_2632:
	s_or_b32 exec_lo, exec_lo, s22
	s_and_saveexec_b32 s22, s21
	s_cbranch_execz .LBB142_2634
.LBB142_2633:
	v_and_b32_e32 v8, 0xffff, v11
	s_delay_alu instid0(VALU_DEP_1) | instskip(SKIP_1) | instid1(VALU_DEP_2)
	v_and_b32_e32 v9, 3, v8
	v_bfe_u32 v18, v8, 2, 5
	v_clz_i32_u32_e32 v15, v9
	s_delay_alu instid0(VALU_DEP_2) | instskip(NEXT) | instid1(VALU_DEP_2)
	v_cmp_eq_u32_e32 vcc_lo, 0, v18
	v_min_u32_e32 v15, 32, v15
	s_delay_alu instid0(VALU_DEP_1) | instskip(NEXT) | instid1(VALU_DEP_1)
	v_subrev_nc_u32_e32 v17, 29, v15
	v_dual_lshlrev_b32 v8, v17, v8 :: v_dual_sub_nc_u32 v15, 30, v15
	s_delay_alu instid0(VALU_DEP_1) | instskip(NEXT) | instid1(VALU_DEP_1)
	v_dual_lshlrev_b32 v11, 24, v11 :: v_dual_bitop2_b32 v8, 3, v8 bitop3:0x40
	v_dual_cndmask_b32 v8, v9, v8 :: v_dual_cndmask_b32 v15, v18, v15
	s_delay_alu instid0(VALU_DEP_2) | instskip(NEXT) | instid1(VALU_DEP_2)
	v_and_b32_e32 v9, 0x80000000, v11
	v_lshlrev_b32_e32 v8, 21, v8
	s_delay_alu instid0(VALU_DEP_3) | instskip(NEXT) | instid1(VALU_DEP_1)
	v_lshl_add_u32 v11, v15, 23, 0x37800000
	v_or3_b32 v8, v9, v11, v8
	s_delay_alu instid0(VALU_DEP_1)
	v_cvt_f64_f32_e32 v[8:9], v8
.LBB142_2634:
	s_or_b32 exec_lo, exec_lo, s22
	s_mov_b32 s21, 0
	s_branch .LBB142_2640
.LBB142_2635:
	s_mov_b32 s21, -1
                                        ; implicit-def: $vgpr8_vgpr9
	s_branch .LBB142_2646
.LBB142_2636:
	s_or_saveexec_b32 s23, s23
	v_mov_b64_e32 v[8:9], 0x7ff8000020000000
	s_xor_b32 exec_lo, exec_lo, s23
	s_cbranch_execz .LBB142_2619
.LBB142_2637:
	v_cmp_ne_u16_e32 vcc_lo, 0, v11
	v_mov_b64_e32 v[8:9], 0
	s_and_not1_b32 s22, s22, exec_lo
	s_and_b32 s24, vcc_lo, exec_lo
	s_delay_alu instid0(SALU_CYCLE_1)
	s_or_b32 s22, s22, s24
	s_or_b32 exec_lo, exec_lo, s23
	s_and_saveexec_b32 s23, s22
	s_cbranch_execnz .LBB142_2620
	s_branch .LBB142_2621
.LBB142_2638:
	s_mov_b32 s21, -1
                                        ; implicit-def: $vgpr8_vgpr9
	s_branch .LBB142_2643
.LBB142_2639:
	s_mov_b32 s21, -1
                                        ; implicit-def: $vgpr8_vgpr9
.LBB142_2640:
	s_delay_alu instid0(SALU_CYCLE_1)
	s_and_b32 vcc_lo, exec_lo, s21
	s_cbranch_vccz .LBB142_2642
; %bb.2641:
	global_load_u8 v8, v[12:13], off
	s_wait_loadcnt 0x0
	v_lshlrev_b32_e32 v8, 24, v8
	s_delay_alu instid0(VALU_DEP_1) | instskip(NEXT) | instid1(VALU_DEP_1)
	v_and_b32_e32 v9, 0x7f000000, v8
	v_clz_i32_u32_e32 v11, v9
	v_add_nc_u32_e32 v17, 0x1000000, v9
	v_cmp_ne_u32_e32 vcc_lo, 0, v9
	s_delay_alu instid0(VALU_DEP_3) | instskip(NEXT) | instid1(VALU_DEP_1)
	v_min_u32_e32 v11, 32, v11
	v_sub_nc_u32_e64 v11, v11, 4 clamp
	s_delay_alu instid0(VALU_DEP_1) | instskip(NEXT) | instid1(VALU_DEP_1)
	v_dual_lshlrev_b32 v15, v11, v9 :: v_dual_lshlrev_b32 v11, 23, v11
	v_lshrrev_b32_e32 v15, 4, v15
	s_delay_alu instid0(VALU_DEP_1) | instskip(NEXT) | instid1(VALU_DEP_1)
	v_dual_sub_nc_u32 v11, v15, v11 :: v_dual_ashrrev_i32 v15, 8, v17
	v_add_nc_u32_e32 v11, 0x3c000000, v11
	s_delay_alu instid0(VALU_DEP_1) | instskip(NEXT) | instid1(VALU_DEP_1)
	v_and_or_b32 v11, 0x7f800000, v15, v11
	v_cndmask_b32_e32 v9, 0, v11, vcc_lo
	s_delay_alu instid0(VALU_DEP_1) | instskip(NEXT) | instid1(VALU_DEP_1)
	v_and_or_b32 v8, 0x80000000, v8, v9
	v_cvt_f64_f32_e32 v[8:9], v8
.LBB142_2642:
	s_mov_b32 s21, 0
.LBB142_2643:
	s_delay_alu instid0(SALU_CYCLE_1)
	s_and_not1_b32 vcc_lo, exec_lo, s21
	s_cbranch_vccnz .LBB142_2645
; %bb.2644:
	global_load_u8 v8, v[12:13], off
	s_wait_loadcnt 0x0
	v_lshlrev_b32_e32 v9, 25, v8
	v_lshlrev_b16 v8, 8, v8
	s_delay_alu instid0(VALU_DEP_1) | instskip(SKIP_1) | instid1(VALU_DEP_2)
	v_and_or_b32 v15, 0x7f00, v8, 0.5
	v_bfe_i32 v8, v8, 0, 16
	v_dual_add_f32 v15, -0.5, v15 :: v_dual_lshrrev_b32 v11, 4, v9
	v_cmp_gt_u32_e32 vcc_lo, 0x8000000, v9
	s_delay_alu instid0(VALU_DEP_2) | instskip(NEXT) | instid1(VALU_DEP_1)
	v_or_b32_e32 v11, 0x70000000, v11
	v_mul_f32_e32 v11, 0x7800000, v11
	s_delay_alu instid0(VALU_DEP_1) | instskip(NEXT) | instid1(VALU_DEP_1)
	v_cndmask_b32_e32 v9, v11, v15, vcc_lo
	v_and_or_b32 v8, 0x80000000, v8, v9
	s_delay_alu instid0(VALU_DEP_1)
	v_cvt_f64_f32_e32 v[8:9], v8
.LBB142_2645:
	s_mov_b32 s21, 0
	s_mov_b32 s22, -1
.LBB142_2646:
	s_and_not1_b32 vcc_lo, exec_lo, s21
	s_mov_b32 s21, 0
	s_cbranch_vccnz .LBB142_2657
; %bb.2647:
	s_cmp_gt_i32 s14, 14
	s_cbranch_scc0 .LBB142_2650
; %bb.2648:
	s_cmp_eq_u32 s14, 15
	s_cbranch_scc0 .LBB142_2653
; %bb.2649:
	global_load_u16 v8, v[12:13], off
	s_mov_b32 s20, 0
	s_mov_b32 s22, -1
	s_wait_loadcnt 0x0
	v_lshlrev_b32_e32 v8, 16, v8
	s_delay_alu instid0(VALU_DEP_1)
	v_cvt_f64_f32_e32 v[8:9], v8
	s_branch .LBB142_2655
.LBB142_2650:
	s_mov_b32 s21, -1
	s_branch .LBB142_2654
.LBB142_2651:
	s_or_saveexec_b32 s22, s22
	v_mov_b64_e32 v[8:9], 0x7ff8000020000000
	s_xor_b32 exec_lo, exec_lo, s22
	s_cbranch_execz .LBB142_2632
.LBB142_2652:
	v_cmp_ne_u16_e32 vcc_lo, 0, v11
	v_mov_b64_e32 v[8:9], 0
	s_and_not1_b32 s21, s21, exec_lo
	s_and_b32 s23, vcc_lo, exec_lo
	s_delay_alu instid0(SALU_CYCLE_1)
	s_or_b32 s21, s21, s23
	s_or_b32 exec_lo, exec_lo, s22
	s_and_saveexec_b32 s22, s21
	s_cbranch_execnz .LBB142_2633
	s_branch .LBB142_2634
.LBB142_2653:
	s_mov_b32 s20, -1
.LBB142_2654:
                                        ; implicit-def: $vgpr8_vgpr9
.LBB142_2655:
	s_and_b32 vcc_lo, exec_lo, s21
	s_mov_b32 s21, 0
	s_cbranch_vccz .LBB142_2657
; %bb.2656:
	s_cmp_lg_u32 s14, 11
	s_mov_b32 s21, -1
	s_cselect_b32 s20, -1, 0
.LBB142_2657:
	s_delay_alu instid0(SALU_CYCLE_1)
	s_and_b32 vcc_lo, exec_lo, s20
	s_cbranch_vccnz .LBB142_2722
; %bb.2658:
	s_and_not1_b32 vcc_lo, exec_lo, s21
	s_cbranch_vccnz .LBB142_2660
.LBB142_2659:
	global_load_u8 v8, v[12:13], off
	s_mov_b32 s22, -1
	s_wait_loadcnt 0x0
	v_cmp_ne_u16_e32 vcc_lo, 0, v8
	v_mov_b32_e32 v8, 0
	v_cndmask_b32_e64 v9, 0, 0x3ff00000, vcc_lo
.LBB142_2660:
	s_mov_b32 s14, 0
.LBB142_2661:
	s_delay_alu instid0(SALU_CYCLE_1)
	s_and_b32 vcc_lo, exec_lo, s14
	s_cbranch_vccz .LBB142_2710
; %bb.2662:
	s_and_b32 s14, 0xffff, s3
	s_delay_alu instid0(SALU_CYCLE_1)
	s_cmp_lt_i32 s14, 5
	s_cbranch_scc1 .LBB142_2667
; %bb.2663:
	s_cmp_lt_i32 s14, 8
	s_cbranch_scc1 .LBB142_2668
; %bb.2664:
	;; [unrolled: 3-line block ×3, first 2 shown]
	s_cmp_gt_i32 s14, 9
	s_cbranch_scc0 .LBB142_2670
; %bb.2666:
	global_load_b64 v[8:9], v[12:13], off
	s_mov_b32 s20, 0
	s_branch .LBB142_2671
.LBB142_2667:
	s_mov_b32 s20, -1
                                        ; implicit-def: $vgpr8_vgpr9
	s_branch .LBB142_2689
.LBB142_2668:
	s_mov_b32 s20, -1
                                        ; implicit-def: $vgpr8_vgpr9
	s_branch .LBB142_2677
.LBB142_2669:
	s_mov_b32 s20, -1
                                        ; implicit-def: $vgpr8_vgpr9
	s_branch .LBB142_2674
.LBB142_2670:
	s_mov_b32 s20, -1
                                        ; implicit-def: $vgpr8_vgpr9
.LBB142_2671:
	s_delay_alu instid0(SALU_CYCLE_1)
	s_and_not1_b32 vcc_lo, exec_lo, s20
	s_cbranch_vccnz .LBB142_2673
; %bb.2672:
	s_wait_loadcnt 0x0
	global_load_b32 v8, v[12:13], off
	s_wait_loadcnt 0x0
	v_cvt_f64_f32_e32 v[8:9], v8
.LBB142_2673:
	s_mov_b32 s20, 0
.LBB142_2674:
	s_delay_alu instid0(SALU_CYCLE_1)
	s_and_not1_b32 vcc_lo, exec_lo, s20
	s_cbranch_vccnz .LBB142_2676
; %bb.2675:
	s_wait_loadcnt 0x0
	global_load_b32 v8, v[12:13], off
	s_wait_loadcnt 0x0
	v_cvt_f32_f16_e32 v8, v8
	s_delay_alu instid0(VALU_DEP_1)
	v_cvt_f64_f32_e32 v[8:9], v8
.LBB142_2676:
	s_mov_b32 s20, 0
.LBB142_2677:
	s_delay_alu instid0(SALU_CYCLE_1)
	s_and_not1_b32 vcc_lo, exec_lo, s20
	s_cbranch_vccnz .LBB142_2688
; %bb.2678:
	s_cmp_lt_i32 s14, 6
	s_cbranch_scc1 .LBB142_2681
; %bb.2679:
	s_cmp_gt_i32 s14, 6
	s_cbranch_scc0 .LBB142_2682
; %bb.2680:
	s_wait_loadcnt 0x0
	global_load_b64 v[8:9], v[12:13], off
	s_mov_b32 s20, 0
	s_branch .LBB142_2683
.LBB142_2681:
	s_mov_b32 s20, -1
                                        ; implicit-def: $vgpr8_vgpr9
	s_branch .LBB142_2686
.LBB142_2682:
	s_mov_b32 s20, -1
                                        ; implicit-def: $vgpr8_vgpr9
.LBB142_2683:
	s_delay_alu instid0(SALU_CYCLE_1)
	s_and_not1_b32 vcc_lo, exec_lo, s20
	s_cbranch_vccnz .LBB142_2685
; %bb.2684:
	s_wait_loadcnt 0x0
	global_load_b32 v8, v[12:13], off
	s_wait_loadcnt 0x0
	v_cvt_f64_f32_e32 v[8:9], v8
.LBB142_2685:
	s_mov_b32 s20, 0
.LBB142_2686:
	s_delay_alu instid0(SALU_CYCLE_1)
	s_and_not1_b32 vcc_lo, exec_lo, s20
	s_cbranch_vccnz .LBB142_2688
; %bb.2687:
	s_wait_loadcnt 0x0
	global_load_u16 v8, v[12:13], off
	s_wait_loadcnt 0x0
	v_cvt_f32_f16_e32 v8, v8
	s_delay_alu instid0(VALU_DEP_1)
	v_cvt_f64_f32_e32 v[8:9], v8
.LBB142_2688:
	s_mov_b32 s20, 0
.LBB142_2689:
	s_delay_alu instid0(SALU_CYCLE_1)
	s_and_not1_b32 vcc_lo, exec_lo, s20
	s_cbranch_vccnz .LBB142_2709
; %bb.2690:
	s_cmp_lt_i32 s14, 2
	s_cbranch_scc1 .LBB142_2694
; %bb.2691:
	s_cmp_lt_i32 s14, 3
	s_cbranch_scc1 .LBB142_2695
; %bb.2692:
	s_cmp_gt_i32 s14, 3
	s_cbranch_scc0 .LBB142_2696
; %bb.2693:
	s_wait_loadcnt 0x0
	global_load_b64 v[8:9], v[12:13], off
	s_mov_b32 s20, 0
	s_wait_loadcnt 0x0
	v_cvt_f64_i32_e32 v[18:19], v9
	v_cvt_f64_u32_e32 v[8:9], v8
	s_delay_alu instid0(VALU_DEP_2) | instskip(NEXT) | instid1(VALU_DEP_1)
	v_ldexp_f64 v[18:19], v[18:19], 32
	v_add_f64_e32 v[8:9], v[18:19], v[8:9]
	s_branch .LBB142_2697
.LBB142_2694:
	s_mov_b32 s20, -1
                                        ; implicit-def: $vgpr8_vgpr9
	s_branch .LBB142_2703
.LBB142_2695:
	s_mov_b32 s20, -1
                                        ; implicit-def: $vgpr8_vgpr9
	s_branch .LBB142_2700
.LBB142_2696:
	s_mov_b32 s20, -1
                                        ; implicit-def: $vgpr8_vgpr9
.LBB142_2697:
	s_delay_alu instid0(SALU_CYCLE_1)
	s_and_not1_b32 vcc_lo, exec_lo, s20
	s_cbranch_vccnz .LBB142_2699
; %bb.2698:
	s_wait_loadcnt 0x0
	global_load_b32 v8, v[12:13], off
	s_wait_loadcnt 0x0
	v_cvt_f64_i32_e32 v[8:9], v8
.LBB142_2699:
	s_mov_b32 s20, 0
.LBB142_2700:
	s_delay_alu instid0(SALU_CYCLE_1)
	s_and_not1_b32 vcc_lo, exec_lo, s20
	s_cbranch_vccnz .LBB142_2702
; %bb.2701:
	s_wait_loadcnt 0x0
	global_load_i16 v8, v[12:13], off
	s_wait_loadcnt 0x0
	v_cvt_f64_i32_e32 v[8:9], v8
.LBB142_2702:
	s_mov_b32 s20, 0
.LBB142_2703:
	s_delay_alu instid0(SALU_CYCLE_1)
	s_and_not1_b32 vcc_lo, exec_lo, s20
	s_cbranch_vccnz .LBB142_2709
; %bb.2704:
	s_cmp_gt_i32 s14, 0
	s_mov_b32 s14, 0
	s_cbranch_scc0 .LBB142_2706
; %bb.2705:
	s_wait_loadcnt 0x0
	global_load_i8 v8, v[12:13], off
	s_wait_loadcnt 0x0
	v_cvt_f64_i32_e32 v[8:9], v8
	s_branch .LBB142_2707
.LBB142_2706:
	s_mov_b32 s14, -1
                                        ; implicit-def: $vgpr8_vgpr9
.LBB142_2707:
	s_delay_alu instid0(SALU_CYCLE_1)
	s_and_not1_b32 vcc_lo, exec_lo, s14
	s_cbranch_vccnz .LBB142_2709
; %bb.2708:
	s_wait_loadcnt 0x0
	global_load_u8 v8, v[12:13], off
	s_wait_loadcnt 0x0
	v_cvt_f64_u32_e32 v[8:9], v8
.LBB142_2709:
	s_mov_b32 s22, -1
.LBB142_2710:
	s_delay_alu instid0(SALU_CYCLE_1)
	s_and_not1_b32 vcc_lo, exec_lo, s22
	s_cbranch_vccnz .LBB142_4065
; %bb.2711:
	s_lshl_b32 s14, s15, 7
	s_cmp_lt_i32 s0, 11
	v_add_nc_u32_e32 v18, s14, v10
	s_delay_alu instid0(VALU_DEP_1) | instskip(NEXT) | instid1(VALU_DEP_1)
	v_ashrrev_i32_e32 v19, 31, v18
	v_add_nc_u64_e32 v[10:11], s[10:11], v[18:19]
	s_cbranch_scc1 .LBB142_2718
; %bb.2712:
	s_cmp_gt_i32 s0, 25
	s_mov_b32 s20, 0
	s_cbranch_scc0 .LBB142_2719
; %bb.2713:
	s_cmp_gt_i32 s0, 28
	s_cbranch_scc0 .LBB142_2720
; %bb.2714:
	s_cmp_gt_i32 s0, 43
	;; [unrolled: 3-line block ×3, first 2 shown]
	s_cbranch_scc0 .LBB142_2723
; %bb.2716:
	s_cmp_eq_u32 s0, 46
	s_mov_b32 s22, 0
	s_cbranch_scc0 .LBB142_2726
; %bb.2717:
	global_load_b32 v12, v[10:11], off
	s_mov_b32 s15, 0
	s_mov_b32 s21, -1
	s_wait_loadcnt 0x0
	v_lshlrev_b32_e32 v12, 16, v12
	s_delay_alu instid0(VALU_DEP_1)
	v_cvt_f64_f32_e32 v[12:13], v12
	s_branch .LBB142_2728
.LBB142_2718:
	s_mov_b32 s15, -1
	s_mov_b32 s21, 0
                                        ; implicit-def: $vgpr12_vgpr13
	s_branch .LBB142_2794
.LBB142_2719:
	s_mov_b32 s22, -1
	s_mov_b32 s21, 0
	s_mov_b32 s15, 0
                                        ; implicit-def: $vgpr12_vgpr13
	s_branch .LBB142_2757
.LBB142_2720:
	s_mov_b32 s22, -1
	s_mov_b32 s21, 0
	s_mov_b32 s15, 0
                                        ; implicit-def: $vgpr12_vgpr13
	s_branch .LBB142_2738
.LBB142_2721:
	s_mov_b32 s22, -1
	s_mov_b32 s21, 0
	s_mov_b32 s15, 0
                                        ; implicit-def: $vgpr12_vgpr13
	s_branch .LBB142_2733
.LBB142_2722:
	s_or_b32 s16, s16, exec_lo
	s_trap 2
	s_cbranch_execz .LBB142_2659
	s_branch .LBB142_2660
.LBB142_2723:
	s_mov_b32 s22, -1
	s_mov_b32 s21, 0
	s_mov_b32 s15, 0
	s_branch .LBB142_2727
.LBB142_2724:
	s_and_not1_saveexec_b32 s39, s39
	s_cbranch_execz .LBB142_1464
.LBB142_2725:
	v_add_f32_e64 v3, 0x46000000, |v2|
	s_and_not1_b32 s38, s38, exec_lo
	s_delay_alu instid0(VALU_DEP_1) | instskip(NEXT) | instid1(VALU_DEP_1)
	v_and_b32_e32 v3, 0xff, v3
	v_cmp_ne_u32_e32 vcc_lo, 0, v3
	s_and_b32 s40, vcc_lo, exec_lo
	s_delay_alu instid0(SALU_CYCLE_1)
	s_or_b32 s38, s38, s40
	s_or_b32 exec_lo, exec_lo, s39
	v_mov_b32_e32 v6, 0
	s_and_saveexec_b32 s39, s38
	s_cbranch_execnz .LBB142_1465
	s_branch .LBB142_1466
.LBB142_2726:
	s_mov_b32 s15, -1
	s_mov_b32 s21, 0
.LBB142_2727:
                                        ; implicit-def: $vgpr12_vgpr13
.LBB142_2728:
	s_and_b32 vcc_lo, exec_lo, s22
	s_cbranch_vccz .LBB142_2732
; %bb.2729:
	s_cmp_eq_u32 s0, 44
	s_cbranch_scc0 .LBB142_2731
; %bb.2730:
	global_load_u8 v15, v[10:11], off
	s_mov_b32 s15, 0
	s_mov_b32 s21, -1
	s_wait_loadcnt 0x0
	v_cmp_ne_u32_e32 vcc_lo, 0xff, v15
	s_wait_xcnt 0x1
	v_lshlrev_b32_e32 v12, 23, v15
	s_delay_alu instid0(VALU_DEP_1) | instskip(NEXT) | instid1(VALU_DEP_1)
	v_cvt_f64_f32_e32 v[12:13], v12
	v_cndmask_b32_e32 v12, 0x20000000, v12, vcc_lo
	s_delay_alu instid0(VALU_DEP_2) | instskip(SKIP_1) | instid1(VALU_DEP_2)
	v_cndmask_b32_e32 v13, 0x7ff80000, v13, vcc_lo
	v_cmp_ne_u32_e32 vcc_lo, 0, v15
	v_cndmask_b32_e32 v13, 0x38000000, v13, vcc_lo
	s_delay_alu instid0(VALU_DEP_4)
	v_cndmask_b32_e32 v12, 0, v12, vcc_lo
	s_branch .LBB142_2732
.LBB142_2731:
	s_mov_b32 s15, -1
                                        ; implicit-def: $vgpr12_vgpr13
.LBB142_2732:
	s_mov_b32 s22, 0
.LBB142_2733:
	s_delay_alu instid0(SALU_CYCLE_1)
	s_and_b32 vcc_lo, exec_lo, s22
	s_cbranch_vccz .LBB142_2737
; %bb.2734:
	s_cmp_eq_u32 s0, 29
	s_cbranch_scc0 .LBB142_2736
; %bb.2735:
	global_load_b64 v[12:13], v[10:11], off
	s_mov_b32 s15, 0
	s_mov_b32 s21, -1
	s_mov_b32 s22, 0
	s_wait_loadcnt 0x0
	v_cvt_f64_u32_e32 v[20:21], v13
	v_cvt_f64_u32_e32 v[12:13], v12
	s_delay_alu instid0(VALU_DEP_2) | instskip(NEXT) | instid1(VALU_DEP_1)
	v_ldexp_f64 v[20:21], v[20:21], 32
	v_add_f64_e32 v[12:13], v[20:21], v[12:13]
	s_branch .LBB142_2738
.LBB142_2736:
	s_mov_b32 s15, -1
                                        ; implicit-def: $vgpr12_vgpr13
.LBB142_2737:
	s_mov_b32 s22, 0
.LBB142_2738:
	s_delay_alu instid0(SALU_CYCLE_1)
	s_and_b32 vcc_lo, exec_lo, s22
	s_cbranch_vccz .LBB142_2756
; %bb.2739:
	s_cmp_lt_i32 s0, 27
	s_cbranch_scc1 .LBB142_2742
; %bb.2740:
	s_cmp_gt_i32 s0, 27
	s_cbranch_scc0 .LBB142_2743
; %bb.2741:
	global_load_b32 v12, v[10:11], off
	s_mov_b32 s21, 0
	s_wait_loadcnt 0x0
	v_cvt_f64_u32_e32 v[12:13], v12
	s_branch .LBB142_2744
.LBB142_2742:
	s_mov_b32 s21, -1
                                        ; implicit-def: $vgpr12_vgpr13
	s_branch .LBB142_2747
.LBB142_2743:
	s_mov_b32 s21, -1
                                        ; implicit-def: $vgpr12_vgpr13
.LBB142_2744:
	s_delay_alu instid0(SALU_CYCLE_1)
	s_and_not1_b32 vcc_lo, exec_lo, s21
	s_cbranch_vccnz .LBB142_2746
; %bb.2745:
	global_load_u16 v12, v[10:11], off
	s_wait_loadcnt 0x0
	v_cvt_f64_u32_e32 v[12:13], v12
.LBB142_2746:
	s_mov_b32 s21, 0
.LBB142_2747:
	s_delay_alu instid0(SALU_CYCLE_1)
	s_and_not1_b32 vcc_lo, exec_lo, s21
	s_cbranch_vccnz .LBB142_2755
; %bb.2748:
	global_load_u8 v15, v[10:11], off
	s_mov_b32 s21, 0
	s_mov_b32 s22, exec_lo
	s_wait_loadcnt 0x0
	v_cmpx_lt_i16_e32 0x7f, v15
	s_xor_b32 s22, exec_lo, s22
	s_cbranch_execz .LBB142_2769
; %bb.2749:
	s_mov_b32 s21, -1
	s_mov_b32 s23, exec_lo
	v_cmpx_eq_u16_e32 0x80, v15
; %bb.2750:
	s_xor_b32 s21, exec_lo, -1
; %bb.2751:
	s_or_b32 exec_lo, exec_lo, s23
	s_delay_alu instid0(SALU_CYCLE_1)
	s_and_b32 s21, s21, exec_lo
	s_or_saveexec_b32 s22, s22
	v_mov_b64_e32 v[12:13], 0x7ff8000020000000
	s_xor_b32 exec_lo, exec_lo, s22
	s_cbranch_execnz .LBB142_2770
.LBB142_2752:
	s_or_b32 exec_lo, exec_lo, s22
	s_and_saveexec_b32 s22, s21
	s_cbranch_execz .LBB142_2754
.LBB142_2753:
	v_and_b32_e32 v12, 0xffff, v15
	s_delay_alu instid0(VALU_DEP_1) | instskip(SKIP_1) | instid1(VALU_DEP_2)
	v_and_b32_e32 v13, 7, v12
	v_bfe_u32 v20, v12, 3, 4
	v_clz_i32_u32_e32 v17, v13
	s_delay_alu instid0(VALU_DEP_2) | instskip(NEXT) | instid1(VALU_DEP_2)
	v_cmp_eq_u32_e32 vcc_lo, 0, v20
	v_min_u32_e32 v17, 32, v17
	s_delay_alu instid0(VALU_DEP_1) | instskip(NEXT) | instid1(VALU_DEP_1)
	v_subrev_nc_u32_e32 v19, 28, v17
	v_dual_lshlrev_b32 v12, v19, v12 :: v_dual_sub_nc_u32 v17, 29, v17
	s_delay_alu instid0(VALU_DEP_1) | instskip(NEXT) | instid1(VALU_DEP_1)
	v_dual_lshlrev_b32 v15, 24, v15 :: v_dual_bitop2_b32 v12, 7, v12 bitop3:0x40
	v_dual_cndmask_b32 v17, v20, v17 :: v_dual_cndmask_b32 v12, v13, v12
	s_delay_alu instid0(VALU_DEP_2) | instskip(NEXT) | instid1(VALU_DEP_2)
	v_and_b32_e32 v13, 0x80000000, v15
	v_lshl_add_u32 v15, v17, 23, 0x3b800000
	s_delay_alu instid0(VALU_DEP_3) | instskip(NEXT) | instid1(VALU_DEP_1)
	v_lshlrev_b32_e32 v12, 20, v12
	v_or3_b32 v12, v13, v15, v12
	s_delay_alu instid0(VALU_DEP_1)
	v_cvt_f64_f32_e32 v[12:13], v12
.LBB142_2754:
	s_or_b32 exec_lo, exec_lo, s22
.LBB142_2755:
	s_mov_b32 s21, -1
.LBB142_2756:
	s_mov_b32 s22, 0
.LBB142_2757:
	s_delay_alu instid0(SALU_CYCLE_1)
	s_and_b32 vcc_lo, exec_lo, s22
	s_cbranch_vccz .LBB142_2790
; %bb.2758:
	s_cmp_gt_i32 s0, 22
	s_cbranch_scc0 .LBB142_2768
; %bb.2759:
	s_cmp_lt_i32 s0, 24
	s_cbranch_scc1 .LBB142_2771
; %bb.2760:
	s_cmp_gt_i32 s0, 24
	s_cbranch_scc0 .LBB142_2772
; %bb.2761:
	global_load_u8 v15, v[10:11], off
	s_mov_b32 s21, exec_lo
	s_wait_loadcnt 0x0
	v_cmpx_lt_i16_e32 0x7f, v15
	s_xor_b32 s21, exec_lo, s21
	s_cbranch_execz .LBB142_2784
; %bb.2762:
	s_mov_b32 s20, -1
	s_mov_b32 s22, exec_lo
	v_cmpx_eq_u16_e32 0x80, v15
; %bb.2763:
	s_xor_b32 s20, exec_lo, -1
; %bb.2764:
	s_or_b32 exec_lo, exec_lo, s22
	s_delay_alu instid0(SALU_CYCLE_1)
	s_and_b32 s20, s20, exec_lo
	s_or_saveexec_b32 s21, s21
	v_mov_b64_e32 v[12:13], 0x7ff8000020000000
	s_xor_b32 exec_lo, exec_lo, s21
	s_cbranch_execnz .LBB142_2785
.LBB142_2765:
	s_or_b32 exec_lo, exec_lo, s21
	s_and_saveexec_b32 s21, s20
	s_cbranch_execz .LBB142_2767
.LBB142_2766:
	v_and_b32_e32 v12, 0xffff, v15
	s_delay_alu instid0(VALU_DEP_1) | instskip(SKIP_1) | instid1(VALU_DEP_2)
	v_and_b32_e32 v13, 3, v12
	v_bfe_u32 v20, v12, 2, 5
	v_clz_i32_u32_e32 v17, v13
	s_delay_alu instid0(VALU_DEP_2) | instskip(NEXT) | instid1(VALU_DEP_2)
	v_cmp_eq_u32_e32 vcc_lo, 0, v20
	v_min_u32_e32 v17, 32, v17
	s_delay_alu instid0(VALU_DEP_1) | instskip(NEXT) | instid1(VALU_DEP_1)
	v_subrev_nc_u32_e32 v19, 29, v17
	v_dual_lshlrev_b32 v12, v19, v12 :: v_dual_sub_nc_u32 v17, 30, v17
	s_delay_alu instid0(VALU_DEP_1) | instskip(NEXT) | instid1(VALU_DEP_1)
	v_dual_lshlrev_b32 v15, 24, v15 :: v_dual_bitop2_b32 v12, 3, v12 bitop3:0x40
	v_dual_cndmask_b32 v17, v20, v17 :: v_dual_cndmask_b32 v12, v13, v12
	s_delay_alu instid0(VALU_DEP_2) | instskip(NEXT) | instid1(VALU_DEP_2)
	v_and_b32_e32 v13, 0x80000000, v15
	v_lshl_add_u32 v15, v17, 23, 0x37800000
	s_delay_alu instid0(VALU_DEP_3) | instskip(NEXT) | instid1(VALU_DEP_1)
	v_lshlrev_b32_e32 v12, 21, v12
	v_or3_b32 v12, v13, v15, v12
	s_delay_alu instid0(VALU_DEP_1)
	v_cvt_f64_f32_e32 v[12:13], v12
.LBB142_2767:
	s_or_b32 exec_lo, exec_lo, s21
	s_mov_b32 s20, 0
	s_branch .LBB142_2773
.LBB142_2768:
	s_mov_b32 s20, -1
                                        ; implicit-def: $vgpr12_vgpr13
	s_branch .LBB142_2779
.LBB142_2769:
	s_or_saveexec_b32 s22, s22
	v_mov_b64_e32 v[12:13], 0x7ff8000020000000
	s_xor_b32 exec_lo, exec_lo, s22
	s_cbranch_execz .LBB142_2752
.LBB142_2770:
	v_cmp_ne_u16_e32 vcc_lo, 0, v15
	v_mov_b64_e32 v[12:13], 0
	s_and_not1_b32 s21, s21, exec_lo
	s_and_b32 s23, vcc_lo, exec_lo
	s_delay_alu instid0(SALU_CYCLE_1)
	s_or_b32 s21, s21, s23
	s_or_b32 exec_lo, exec_lo, s22
	s_and_saveexec_b32 s22, s21
	s_cbranch_execnz .LBB142_2753
	s_branch .LBB142_2754
.LBB142_2771:
	s_mov_b32 s20, -1
                                        ; implicit-def: $vgpr12_vgpr13
	s_branch .LBB142_2776
.LBB142_2772:
	s_mov_b32 s20, -1
                                        ; implicit-def: $vgpr12_vgpr13
.LBB142_2773:
	s_delay_alu instid0(SALU_CYCLE_1)
	s_and_b32 vcc_lo, exec_lo, s20
	s_cbranch_vccz .LBB142_2775
; %bb.2774:
	global_load_u8 v12, v[10:11], off
	s_wait_loadcnt 0x0
	v_lshlrev_b32_e32 v12, 24, v12
	s_delay_alu instid0(VALU_DEP_1) | instskip(NEXT) | instid1(VALU_DEP_1)
	v_and_b32_e32 v13, 0x7f000000, v12
	v_clz_i32_u32_e32 v15, v13
	v_add_nc_u32_e32 v19, 0x1000000, v13
	v_cmp_ne_u32_e32 vcc_lo, 0, v13
	s_delay_alu instid0(VALU_DEP_3) | instskip(NEXT) | instid1(VALU_DEP_1)
	v_min_u32_e32 v15, 32, v15
	v_sub_nc_u32_e64 v15, v15, 4 clamp
	s_delay_alu instid0(VALU_DEP_1) | instskip(NEXT) | instid1(VALU_DEP_1)
	v_dual_lshlrev_b32 v17, v15, v13 :: v_dual_lshlrev_b32 v15, 23, v15
	v_lshrrev_b32_e32 v17, 4, v17
	s_delay_alu instid0(VALU_DEP_1) | instskip(SKIP_1) | instid1(VALU_DEP_2)
	v_sub_nc_u32_e32 v15, v17, v15
	v_ashrrev_i32_e32 v17, 8, v19
	v_add_nc_u32_e32 v15, 0x3c000000, v15
	s_delay_alu instid0(VALU_DEP_1) | instskip(NEXT) | instid1(VALU_DEP_1)
	v_and_or_b32 v15, 0x7f800000, v17, v15
	v_cndmask_b32_e32 v13, 0, v15, vcc_lo
	s_delay_alu instid0(VALU_DEP_1) | instskip(NEXT) | instid1(VALU_DEP_1)
	v_and_or_b32 v12, 0x80000000, v12, v13
	v_cvt_f64_f32_e32 v[12:13], v12
.LBB142_2775:
	s_mov_b32 s20, 0
.LBB142_2776:
	s_delay_alu instid0(SALU_CYCLE_1)
	s_and_not1_b32 vcc_lo, exec_lo, s20
	s_cbranch_vccnz .LBB142_2778
; %bb.2777:
	global_load_u8 v12, v[10:11], off
	s_wait_loadcnt 0x0
	v_lshlrev_b32_e32 v13, 25, v12
	v_lshlrev_b16 v12, 8, v12
	s_delay_alu instid0(VALU_DEP_1) | instskip(SKIP_1) | instid1(VALU_DEP_2)
	v_and_or_b32 v17, 0x7f00, v12, 0.5
	v_bfe_i32 v12, v12, 0, 16
	v_add_f32_e32 v17, -0.5, v17
	v_lshrrev_b32_e32 v15, 4, v13
	v_cmp_gt_u32_e32 vcc_lo, 0x8000000, v13
	s_delay_alu instid0(VALU_DEP_2) | instskip(NEXT) | instid1(VALU_DEP_1)
	v_or_b32_e32 v15, 0x70000000, v15
	v_mul_f32_e32 v15, 0x7800000, v15
	s_delay_alu instid0(VALU_DEP_1) | instskip(NEXT) | instid1(VALU_DEP_1)
	v_cndmask_b32_e32 v13, v15, v17, vcc_lo
	v_and_or_b32 v12, 0x80000000, v12, v13
	s_delay_alu instid0(VALU_DEP_1)
	v_cvt_f64_f32_e32 v[12:13], v12
.LBB142_2778:
	s_mov_b32 s20, 0
	s_mov_b32 s21, -1
.LBB142_2779:
	s_and_not1_b32 vcc_lo, exec_lo, s20
	s_mov_b32 s20, 0
	s_cbranch_vccnz .LBB142_2790
; %bb.2780:
	s_cmp_gt_i32 s0, 14
	s_cbranch_scc0 .LBB142_2783
; %bb.2781:
	s_cmp_eq_u32 s0, 15
	s_cbranch_scc0 .LBB142_2786
; %bb.2782:
	global_load_u16 v12, v[10:11], off
	s_mov_b32 s15, 0
	s_mov_b32 s21, -1
	s_wait_loadcnt 0x0
	v_lshlrev_b32_e32 v12, 16, v12
	s_delay_alu instid0(VALU_DEP_1)
	v_cvt_f64_f32_e32 v[12:13], v12
	s_branch .LBB142_2788
.LBB142_2783:
	s_mov_b32 s20, -1
	s_branch .LBB142_2787
.LBB142_2784:
	s_or_saveexec_b32 s21, s21
	v_mov_b64_e32 v[12:13], 0x7ff8000020000000
	s_xor_b32 exec_lo, exec_lo, s21
	s_cbranch_execz .LBB142_2765
.LBB142_2785:
	v_cmp_ne_u16_e32 vcc_lo, 0, v15
	v_mov_b64_e32 v[12:13], 0
	s_and_not1_b32 s20, s20, exec_lo
	s_and_b32 s22, vcc_lo, exec_lo
	s_delay_alu instid0(SALU_CYCLE_1)
	s_or_b32 s20, s20, s22
	s_or_b32 exec_lo, exec_lo, s21
	s_and_saveexec_b32 s21, s20
	s_cbranch_execnz .LBB142_2766
	s_branch .LBB142_2767
.LBB142_2786:
	s_mov_b32 s15, -1
.LBB142_2787:
                                        ; implicit-def: $vgpr12_vgpr13
.LBB142_2788:
	s_and_b32 vcc_lo, exec_lo, s20
	s_mov_b32 s20, 0
	s_cbranch_vccz .LBB142_2790
; %bb.2789:
	s_cmp_lg_u32 s0, 11
	s_mov_b32 s20, -1
	s_cselect_b32 s15, -1, 0
.LBB142_2790:
	s_delay_alu instid0(SALU_CYCLE_1)
	s_and_b32 vcc_lo, exec_lo, s15
	s_cbranch_vccnz .LBB142_2855
; %bb.2791:
	s_and_not1_b32 vcc_lo, exec_lo, s20
	s_cbranch_vccnz .LBB142_2793
.LBB142_2792:
	global_load_u8 v12, v[10:11], off
	s_mov_b32 s21, -1
	s_wait_loadcnt 0x0
	v_cmp_ne_u16_e32 vcc_lo, 0, v12
	v_mov_b32_e32 v12, 0
	v_cndmask_b32_e64 v13, 0, 0x3ff00000, vcc_lo
.LBB142_2793:
	s_mov_b32 s15, 0
.LBB142_2794:
	s_delay_alu instid0(SALU_CYCLE_1)
	s_and_b32 vcc_lo, exec_lo, s15
	s_cbranch_vccz .LBB142_2843
; %bb.2795:
	s_cmp_lt_i32 s0, 5
	s_cbranch_scc1 .LBB142_2800
; %bb.2796:
	s_cmp_lt_i32 s0, 8
	s_cbranch_scc1 .LBB142_2801
	;; [unrolled: 3-line block ×3, first 2 shown]
; %bb.2798:
	s_cmp_gt_i32 s0, 9
	s_cbranch_scc0 .LBB142_2803
; %bb.2799:
	global_load_b64 v[12:13], v[10:11], off
	s_mov_b32 s15, 0
	s_branch .LBB142_2804
.LBB142_2800:
	s_mov_b32 s15, -1
                                        ; implicit-def: $vgpr12_vgpr13
	s_branch .LBB142_2822
.LBB142_2801:
	s_mov_b32 s15, -1
                                        ; implicit-def: $vgpr12_vgpr13
	s_branch .LBB142_2810
.LBB142_2802:
	s_mov_b32 s15, -1
                                        ; implicit-def: $vgpr12_vgpr13
	s_branch .LBB142_2807
.LBB142_2803:
	s_mov_b32 s15, -1
                                        ; implicit-def: $vgpr12_vgpr13
.LBB142_2804:
	s_delay_alu instid0(SALU_CYCLE_1)
	s_and_not1_b32 vcc_lo, exec_lo, s15
	s_cbranch_vccnz .LBB142_2806
; %bb.2805:
	s_wait_loadcnt 0x0
	global_load_b32 v12, v[10:11], off
	s_wait_loadcnt 0x0
	v_cvt_f64_f32_e32 v[12:13], v12
.LBB142_2806:
	s_mov_b32 s15, 0
.LBB142_2807:
	s_delay_alu instid0(SALU_CYCLE_1)
	s_and_not1_b32 vcc_lo, exec_lo, s15
	s_cbranch_vccnz .LBB142_2809
; %bb.2808:
	s_wait_loadcnt 0x0
	global_load_b32 v12, v[10:11], off
	s_wait_loadcnt 0x0
	v_cvt_f32_f16_e32 v12, v12
	s_delay_alu instid0(VALU_DEP_1)
	v_cvt_f64_f32_e32 v[12:13], v12
.LBB142_2809:
	s_mov_b32 s15, 0
.LBB142_2810:
	s_delay_alu instid0(SALU_CYCLE_1)
	s_and_not1_b32 vcc_lo, exec_lo, s15
	s_cbranch_vccnz .LBB142_2821
; %bb.2811:
	s_cmp_lt_i32 s0, 6
	s_cbranch_scc1 .LBB142_2814
; %bb.2812:
	s_cmp_gt_i32 s0, 6
	s_cbranch_scc0 .LBB142_2815
; %bb.2813:
	s_wait_loadcnt 0x0
	global_load_b64 v[12:13], v[10:11], off
	s_mov_b32 s15, 0
	s_branch .LBB142_2816
.LBB142_2814:
	s_mov_b32 s15, -1
                                        ; implicit-def: $vgpr12_vgpr13
	s_branch .LBB142_2819
.LBB142_2815:
	s_mov_b32 s15, -1
                                        ; implicit-def: $vgpr12_vgpr13
.LBB142_2816:
	s_delay_alu instid0(SALU_CYCLE_1)
	s_and_not1_b32 vcc_lo, exec_lo, s15
	s_cbranch_vccnz .LBB142_2818
; %bb.2817:
	s_wait_loadcnt 0x0
	global_load_b32 v12, v[10:11], off
	s_wait_loadcnt 0x0
	v_cvt_f64_f32_e32 v[12:13], v12
.LBB142_2818:
	s_mov_b32 s15, 0
.LBB142_2819:
	s_delay_alu instid0(SALU_CYCLE_1)
	s_and_not1_b32 vcc_lo, exec_lo, s15
	s_cbranch_vccnz .LBB142_2821
; %bb.2820:
	s_wait_loadcnt 0x0
	global_load_u16 v12, v[10:11], off
	s_wait_loadcnt 0x0
	v_cvt_f32_f16_e32 v12, v12
	s_delay_alu instid0(VALU_DEP_1)
	v_cvt_f64_f32_e32 v[12:13], v12
.LBB142_2821:
	s_mov_b32 s15, 0
.LBB142_2822:
	s_delay_alu instid0(SALU_CYCLE_1)
	s_and_not1_b32 vcc_lo, exec_lo, s15
	s_cbranch_vccnz .LBB142_2842
; %bb.2823:
	s_cmp_lt_i32 s0, 2
	s_cbranch_scc1 .LBB142_2827
; %bb.2824:
	s_cmp_lt_i32 s0, 3
	s_cbranch_scc1 .LBB142_2828
; %bb.2825:
	s_cmp_gt_i32 s0, 3
	s_cbranch_scc0 .LBB142_2829
; %bb.2826:
	s_wait_loadcnt 0x0
	global_load_b64 v[12:13], v[10:11], off
	s_mov_b32 s15, 0
	s_wait_loadcnt 0x0
	v_cvt_f64_i32_e32 v[20:21], v13
	v_cvt_f64_u32_e32 v[12:13], v12
	s_delay_alu instid0(VALU_DEP_2) | instskip(NEXT) | instid1(VALU_DEP_1)
	v_ldexp_f64 v[20:21], v[20:21], 32
	v_add_f64_e32 v[12:13], v[20:21], v[12:13]
	s_branch .LBB142_2830
.LBB142_2827:
	s_mov_b32 s15, -1
                                        ; implicit-def: $vgpr12_vgpr13
	s_branch .LBB142_2836
.LBB142_2828:
	s_mov_b32 s15, -1
                                        ; implicit-def: $vgpr12_vgpr13
	s_branch .LBB142_2833
.LBB142_2829:
	s_mov_b32 s15, -1
                                        ; implicit-def: $vgpr12_vgpr13
.LBB142_2830:
	s_delay_alu instid0(SALU_CYCLE_1)
	s_and_not1_b32 vcc_lo, exec_lo, s15
	s_cbranch_vccnz .LBB142_2832
; %bb.2831:
	s_wait_loadcnt 0x0
	global_load_b32 v12, v[10:11], off
	s_wait_loadcnt 0x0
	v_cvt_f64_i32_e32 v[12:13], v12
.LBB142_2832:
	s_mov_b32 s15, 0
.LBB142_2833:
	s_delay_alu instid0(SALU_CYCLE_1)
	s_and_not1_b32 vcc_lo, exec_lo, s15
	s_cbranch_vccnz .LBB142_2835
; %bb.2834:
	s_wait_loadcnt 0x0
	global_load_i16 v12, v[10:11], off
	s_wait_loadcnt 0x0
	v_cvt_f64_i32_e32 v[12:13], v12
.LBB142_2835:
	s_mov_b32 s15, 0
.LBB142_2836:
	s_delay_alu instid0(SALU_CYCLE_1)
	s_and_not1_b32 vcc_lo, exec_lo, s15
	s_cbranch_vccnz .LBB142_2842
; %bb.2837:
	s_cmp_gt_i32 s0, 0
	s_mov_b32 s15, 0
	s_cbranch_scc0 .LBB142_2839
; %bb.2838:
	s_wait_loadcnt 0x0
	global_load_i8 v12, v[10:11], off
	s_wait_loadcnt 0x0
	v_cvt_f64_i32_e32 v[12:13], v12
	s_branch .LBB142_2840
.LBB142_2839:
	s_mov_b32 s15, -1
                                        ; implicit-def: $vgpr12_vgpr13
.LBB142_2840:
	s_delay_alu instid0(SALU_CYCLE_1)
	s_and_not1_b32 vcc_lo, exec_lo, s15
	s_cbranch_vccnz .LBB142_2842
; %bb.2841:
	global_load_u8 v10, v[10:11], off
	s_wait_loadcnt 0x0
	v_cvt_f64_u32_e32 v[12:13], v10
.LBB142_2842:
	s_mov_b32 s21, -1
.LBB142_2843:
	s_delay_alu instid0(SALU_CYCLE_1)
	s_and_not1_b32 vcc_lo, exec_lo, s21
	s_cbranch_vccnz .LBB142_4065
; %bb.2844:
	v_add_nc_u32_e32 v20, s1, v14
	s_cmp_lt_i32 s17, 11
	s_delay_alu instid0(VALU_DEP_1) | instskip(NEXT) | instid1(VALU_DEP_1)
	v_ashrrev_i32_e32 v21, 31, v20
	v_add_nc_u64_e32 v[14:15], s[6:7], v[20:21]
	s_cbranch_scc1 .LBB142_2851
; %bb.2845:
	s_and_b32 s15, 0xffff, s17
	s_mov_b32 s21, 0
	s_cmp_gt_i32 s15, 25
	s_cbranch_scc0 .LBB142_2852
; %bb.2846:
	s_cmp_gt_i32 s15, 28
	s_cbranch_scc0 .LBB142_2853
; %bb.2847:
	;; [unrolled: 3-line block ×4, first 2 shown]
	s_cmp_eq_u32 s15, 46
	s_mov_b32 s23, 0
	s_cbranch_scc0 .LBB142_2859
; %bb.2850:
	global_load_b32 v10, v[14:15], off
	s_mov_b32 s20, 0
	s_mov_b32 s22, -1
	s_wait_loadcnt 0x0
	v_lshlrev_b32_e32 v10, 16, v10
	s_delay_alu instid0(VALU_DEP_1)
	v_cvt_f64_f32_e32 v[10:11], v10
	s_branch .LBB142_2861
.LBB142_2851:
	s_mov_b32 s15, -1
	s_mov_b32 s22, 0
                                        ; implicit-def: $vgpr10_vgpr11
	s_branch .LBB142_2927
.LBB142_2852:
	s_mov_b32 s23, -1
	s_mov_b32 s22, 0
	s_mov_b32 s20, 0
                                        ; implicit-def: $vgpr10_vgpr11
	s_branch .LBB142_2890
.LBB142_2853:
	s_mov_b32 s23, -1
	s_mov_b32 s22, 0
	s_mov_b32 s20, 0
                                        ; implicit-def: $vgpr10_vgpr11
	s_branch .LBB142_2871
.LBB142_2854:
	s_mov_b32 s23, -1
	s_mov_b32 s22, 0
	s_mov_b32 s20, 0
                                        ; implicit-def: $vgpr10_vgpr11
	s_branch .LBB142_2866
.LBB142_2855:
	s_or_b32 s16, s16, exec_lo
	s_trap 2
	s_cbranch_execz .LBB142_2792
	s_branch .LBB142_2793
.LBB142_2856:
	s_mov_b32 s23, -1
	s_mov_b32 s22, 0
	s_mov_b32 s20, 0
	s_branch .LBB142_2860
.LBB142_2857:
	s_and_not1_saveexec_b32 s39, s39
	s_cbranch_execz .LBB142_1477
.LBB142_2858:
	v_add_f32_e64 v3, 0x42800000, |v2|
	s_and_not1_b32 s38, s38, exec_lo
	s_delay_alu instid0(VALU_DEP_1) | instskip(NEXT) | instid1(VALU_DEP_1)
	v_and_b32_e32 v3, 0xff, v3
	v_cmp_ne_u32_e32 vcc_lo, 0, v3
	s_and_b32 s40, vcc_lo, exec_lo
	s_delay_alu instid0(SALU_CYCLE_1)
	s_or_b32 s38, s38, s40
	s_or_b32 exec_lo, exec_lo, s39
	v_mov_b32_e32 v6, 0
	s_and_saveexec_b32 s39, s38
	s_cbranch_execnz .LBB142_1478
	s_branch .LBB142_1479
.LBB142_2859:
	s_mov_b32 s20, -1
	s_mov_b32 s22, 0
.LBB142_2860:
                                        ; implicit-def: $vgpr10_vgpr11
.LBB142_2861:
	s_and_b32 vcc_lo, exec_lo, s23
	s_cbranch_vccz .LBB142_2865
; %bb.2862:
	s_cmp_eq_u32 s15, 44
	s_cbranch_scc0 .LBB142_2864
; %bb.2863:
	global_load_u8 v17, v[14:15], off
	s_mov_b32 s20, 0
	s_mov_b32 s22, -1
	s_wait_loadcnt 0x0
	v_cmp_ne_u32_e32 vcc_lo, 0xff, v17
	s_wait_xcnt 0x1
	v_lshlrev_b32_e32 v10, 23, v17
	s_delay_alu instid0(VALU_DEP_1) | instskip(NEXT) | instid1(VALU_DEP_1)
	v_cvt_f64_f32_e32 v[10:11], v10
	v_cndmask_b32_e32 v10, 0x20000000, v10, vcc_lo
	s_delay_alu instid0(VALU_DEP_2) | instskip(SKIP_1) | instid1(VALU_DEP_2)
	v_cndmask_b32_e32 v11, 0x7ff80000, v11, vcc_lo
	v_cmp_ne_u32_e32 vcc_lo, 0, v17
	v_cndmask_b32_e32 v11, 0x38000000, v11, vcc_lo
	s_delay_alu instid0(VALU_DEP_4)
	v_cndmask_b32_e32 v10, 0, v10, vcc_lo
	s_branch .LBB142_2865
.LBB142_2864:
	s_mov_b32 s20, -1
                                        ; implicit-def: $vgpr10_vgpr11
.LBB142_2865:
	s_mov_b32 s23, 0
.LBB142_2866:
	s_delay_alu instid0(SALU_CYCLE_1)
	s_and_b32 vcc_lo, exec_lo, s23
	s_cbranch_vccz .LBB142_2870
; %bb.2867:
	s_cmp_eq_u32 s15, 29
	s_cbranch_scc0 .LBB142_2869
; %bb.2868:
	global_load_b64 v[10:11], v[14:15], off
	s_mov_b32 s20, 0
	s_mov_b32 s22, -1
	s_mov_b32 s23, 0
	s_wait_loadcnt 0x0
	v_cvt_f64_u32_e32 v[22:23], v11
	v_cvt_f64_u32_e32 v[10:11], v10
	s_delay_alu instid0(VALU_DEP_2) | instskip(NEXT) | instid1(VALU_DEP_1)
	v_ldexp_f64 v[22:23], v[22:23], 32
	v_add_f64_e32 v[10:11], v[22:23], v[10:11]
	s_branch .LBB142_2871
.LBB142_2869:
	s_mov_b32 s20, -1
                                        ; implicit-def: $vgpr10_vgpr11
.LBB142_2870:
	s_mov_b32 s23, 0
.LBB142_2871:
	s_delay_alu instid0(SALU_CYCLE_1)
	s_and_b32 vcc_lo, exec_lo, s23
	s_cbranch_vccz .LBB142_2889
; %bb.2872:
	s_cmp_lt_i32 s15, 27
	s_cbranch_scc1 .LBB142_2875
; %bb.2873:
	s_cmp_gt_i32 s15, 27
	s_cbranch_scc0 .LBB142_2876
; %bb.2874:
	global_load_b32 v10, v[14:15], off
	s_mov_b32 s22, 0
	s_wait_loadcnt 0x0
	v_cvt_f64_u32_e32 v[10:11], v10
	s_branch .LBB142_2877
.LBB142_2875:
	s_mov_b32 s22, -1
                                        ; implicit-def: $vgpr10_vgpr11
	s_branch .LBB142_2880
.LBB142_2876:
	s_mov_b32 s22, -1
                                        ; implicit-def: $vgpr10_vgpr11
.LBB142_2877:
	s_delay_alu instid0(SALU_CYCLE_1)
	s_and_not1_b32 vcc_lo, exec_lo, s22
	s_cbranch_vccnz .LBB142_2879
; %bb.2878:
	global_load_u16 v10, v[14:15], off
	s_wait_loadcnt 0x0
	v_cvt_f64_u32_e32 v[10:11], v10
.LBB142_2879:
	s_mov_b32 s22, 0
.LBB142_2880:
	s_delay_alu instid0(SALU_CYCLE_1)
	s_and_not1_b32 vcc_lo, exec_lo, s22
	s_cbranch_vccnz .LBB142_2888
; %bb.2881:
	global_load_u8 v17, v[14:15], off
	s_mov_b32 s22, 0
	s_mov_b32 s23, exec_lo
	s_wait_loadcnt 0x0
	v_cmpx_lt_i16_e32 0x7f, v17
	s_xor_b32 s23, exec_lo, s23
	s_cbranch_execz .LBB142_2902
; %bb.2882:
	s_mov_b32 s22, -1
	s_mov_b32 s24, exec_lo
	v_cmpx_eq_u16_e32 0x80, v17
; %bb.2883:
	s_xor_b32 s22, exec_lo, -1
; %bb.2884:
	s_or_b32 exec_lo, exec_lo, s24
	s_delay_alu instid0(SALU_CYCLE_1)
	s_and_b32 s22, s22, exec_lo
	s_or_saveexec_b32 s23, s23
	v_mov_b64_e32 v[10:11], 0x7ff8000020000000
	s_xor_b32 exec_lo, exec_lo, s23
	s_cbranch_execnz .LBB142_2903
.LBB142_2885:
	s_or_b32 exec_lo, exec_lo, s23
	s_and_saveexec_b32 s23, s22
	s_cbranch_execz .LBB142_2887
.LBB142_2886:
	v_and_b32_e32 v10, 0xffff, v17
	s_delay_alu instid0(VALU_DEP_1) | instskip(SKIP_1) | instid1(VALU_DEP_2)
	v_and_b32_e32 v11, 7, v10
	v_bfe_u32 v22, v10, 3, 4
	v_clz_i32_u32_e32 v19, v11
	s_delay_alu instid0(VALU_DEP_2) | instskip(NEXT) | instid1(VALU_DEP_2)
	v_cmp_eq_u32_e32 vcc_lo, 0, v22
	v_min_u32_e32 v19, 32, v19
	s_delay_alu instid0(VALU_DEP_1) | instskip(NEXT) | instid1(VALU_DEP_1)
	v_subrev_nc_u32_e32 v21, 28, v19
	v_dual_lshlrev_b32 v10, v21, v10 :: v_dual_sub_nc_u32 v19, 29, v19
	s_delay_alu instid0(VALU_DEP_1) | instskip(NEXT) | instid1(VALU_DEP_1)
	v_dual_lshlrev_b32 v17, 24, v17 :: v_dual_bitop2_b32 v10, 7, v10 bitop3:0x40
	v_dual_cndmask_b32 v19, v22, v19 :: v_dual_cndmask_b32 v10, v11, v10
	s_delay_alu instid0(VALU_DEP_2) | instskip(NEXT) | instid1(VALU_DEP_2)
	v_and_b32_e32 v11, 0x80000000, v17
	v_lshl_add_u32 v17, v19, 23, 0x3b800000
	s_delay_alu instid0(VALU_DEP_3) | instskip(NEXT) | instid1(VALU_DEP_1)
	v_lshlrev_b32_e32 v10, 20, v10
	v_or3_b32 v10, v11, v17, v10
	s_delay_alu instid0(VALU_DEP_1)
	v_cvt_f64_f32_e32 v[10:11], v10
.LBB142_2887:
	s_or_b32 exec_lo, exec_lo, s23
.LBB142_2888:
	s_mov_b32 s22, -1
.LBB142_2889:
	s_mov_b32 s23, 0
.LBB142_2890:
	s_delay_alu instid0(SALU_CYCLE_1)
	s_and_b32 vcc_lo, exec_lo, s23
	s_cbranch_vccz .LBB142_2923
; %bb.2891:
	s_cmp_gt_i32 s15, 22
	s_cbranch_scc0 .LBB142_2901
; %bb.2892:
	s_cmp_lt_i32 s15, 24
	s_cbranch_scc1 .LBB142_2904
; %bb.2893:
	s_cmp_gt_i32 s15, 24
	s_cbranch_scc0 .LBB142_2905
; %bb.2894:
	global_load_u8 v17, v[14:15], off
	s_mov_b32 s22, exec_lo
	s_wait_loadcnt 0x0
	v_cmpx_lt_i16_e32 0x7f, v17
	s_xor_b32 s22, exec_lo, s22
	s_cbranch_execz .LBB142_2917
; %bb.2895:
	s_mov_b32 s21, -1
	s_mov_b32 s23, exec_lo
	v_cmpx_eq_u16_e32 0x80, v17
; %bb.2896:
	s_xor_b32 s21, exec_lo, -1
; %bb.2897:
	s_or_b32 exec_lo, exec_lo, s23
	s_delay_alu instid0(SALU_CYCLE_1)
	s_and_b32 s21, s21, exec_lo
	s_or_saveexec_b32 s22, s22
	v_mov_b64_e32 v[10:11], 0x7ff8000020000000
	s_xor_b32 exec_lo, exec_lo, s22
	s_cbranch_execnz .LBB142_2918
.LBB142_2898:
	s_or_b32 exec_lo, exec_lo, s22
	s_and_saveexec_b32 s22, s21
	s_cbranch_execz .LBB142_2900
.LBB142_2899:
	v_and_b32_e32 v10, 0xffff, v17
	s_delay_alu instid0(VALU_DEP_1) | instskip(SKIP_1) | instid1(VALU_DEP_2)
	v_and_b32_e32 v11, 3, v10
	v_bfe_u32 v22, v10, 2, 5
	v_clz_i32_u32_e32 v19, v11
	s_delay_alu instid0(VALU_DEP_2) | instskip(NEXT) | instid1(VALU_DEP_2)
	v_cmp_eq_u32_e32 vcc_lo, 0, v22
	v_min_u32_e32 v19, 32, v19
	s_delay_alu instid0(VALU_DEP_1) | instskip(NEXT) | instid1(VALU_DEP_1)
	v_subrev_nc_u32_e32 v21, 29, v19
	v_dual_lshlrev_b32 v10, v21, v10 :: v_dual_sub_nc_u32 v19, 30, v19
	s_delay_alu instid0(VALU_DEP_1) | instskip(NEXT) | instid1(VALU_DEP_1)
	v_dual_lshlrev_b32 v17, 24, v17 :: v_dual_bitop2_b32 v10, 3, v10 bitop3:0x40
	v_dual_cndmask_b32 v19, v22, v19 :: v_dual_cndmask_b32 v10, v11, v10
	s_delay_alu instid0(VALU_DEP_2) | instskip(NEXT) | instid1(VALU_DEP_2)
	v_and_b32_e32 v11, 0x80000000, v17
	v_lshl_add_u32 v17, v19, 23, 0x37800000
	s_delay_alu instid0(VALU_DEP_3) | instskip(NEXT) | instid1(VALU_DEP_1)
	v_lshlrev_b32_e32 v10, 21, v10
	v_or3_b32 v10, v11, v17, v10
	s_delay_alu instid0(VALU_DEP_1)
	v_cvt_f64_f32_e32 v[10:11], v10
.LBB142_2900:
	s_or_b32 exec_lo, exec_lo, s22
	s_mov_b32 s21, 0
	s_branch .LBB142_2906
.LBB142_2901:
	s_mov_b32 s21, -1
                                        ; implicit-def: $vgpr10_vgpr11
	s_branch .LBB142_2912
.LBB142_2902:
	s_or_saveexec_b32 s23, s23
	v_mov_b64_e32 v[10:11], 0x7ff8000020000000
	s_xor_b32 exec_lo, exec_lo, s23
	s_cbranch_execz .LBB142_2885
.LBB142_2903:
	v_cmp_ne_u16_e32 vcc_lo, 0, v17
	v_mov_b64_e32 v[10:11], 0
	s_and_not1_b32 s22, s22, exec_lo
	s_and_b32 s24, vcc_lo, exec_lo
	s_delay_alu instid0(SALU_CYCLE_1)
	s_or_b32 s22, s22, s24
	s_or_b32 exec_lo, exec_lo, s23
	s_and_saveexec_b32 s23, s22
	s_cbranch_execnz .LBB142_2886
	s_branch .LBB142_2887
.LBB142_2904:
	s_mov_b32 s21, -1
                                        ; implicit-def: $vgpr10_vgpr11
	s_branch .LBB142_2909
.LBB142_2905:
	s_mov_b32 s21, -1
                                        ; implicit-def: $vgpr10_vgpr11
.LBB142_2906:
	s_delay_alu instid0(SALU_CYCLE_1)
	s_and_b32 vcc_lo, exec_lo, s21
	s_cbranch_vccz .LBB142_2908
; %bb.2907:
	global_load_u8 v10, v[14:15], off
	s_wait_loadcnt 0x0
	v_lshlrev_b32_e32 v10, 24, v10
	s_delay_alu instid0(VALU_DEP_1) | instskip(NEXT) | instid1(VALU_DEP_1)
	v_and_b32_e32 v11, 0x7f000000, v10
	v_clz_i32_u32_e32 v17, v11
	v_add_nc_u32_e32 v21, 0x1000000, v11
	v_cmp_ne_u32_e32 vcc_lo, 0, v11
	s_delay_alu instid0(VALU_DEP_3) | instskip(NEXT) | instid1(VALU_DEP_1)
	v_min_u32_e32 v17, 32, v17
	v_sub_nc_u32_e64 v17, v17, 4 clamp
	s_delay_alu instid0(VALU_DEP_1) | instskip(NEXT) | instid1(VALU_DEP_1)
	v_dual_lshlrev_b32 v19, v17, v11 :: v_dual_lshlrev_b32 v17, 23, v17
	v_lshrrev_b32_e32 v19, 4, v19
	s_delay_alu instid0(VALU_DEP_1) | instskip(SKIP_1) | instid1(VALU_DEP_2)
	v_sub_nc_u32_e32 v17, v19, v17
	v_ashrrev_i32_e32 v19, 8, v21
	v_add_nc_u32_e32 v17, 0x3c000000, v17
	s_delay_alu instid0(VALU_DEP_1) | instskip(NEXT) | instid1(VALU_DEP_1)
	v_and_or_b32 v17, 0x7f800000, v19, v17
	v_cndmask_b32_e32 v11, 0, v17, vcc_lo
	s_delay_alu instid0(VALU_DEP_1) | instskip(NEXT) | instid1(VALU_DEP_1)
	v_and_or_b32 v10, 0x80000000, v10, v11
	v_cvt_f64_f32_e32 v[10:11], v10
.LBB142_2908:
	s_mov_b32 s21, 0
.LBB142_2909:
	s_delay_alu instid0(SALU_CYCLE_1)
	s_and_not1_b32 vcc_lo, exec_lo, s21
	s_cbranch_vccnz .LBB142_2911
; %bb.2910:
	global_load_u8 v10, v[14:15], off
	s_wait_loadcnt 0x0
	v_lshlrev_b32_e32 v11, 25, v10
	v_lshlrev_b16 v10, 8, v10
	s_delay_alu instid0(VALU_DEP_1) | instskip(SKIP_1) | instid1(VALU_DEP_2)
	v_and_or_b32 v19, 0x7f00, v10, 0.5
	v_bfe_i32 v10, v10, 0, 16
	v_add_f32_e32 v19, -0.5, v19
	v_lshrrev_b32_e32 v17, 4, v11
	v_cmp_gt_u32_e32 vcc_lo, 0x8000000, v11
	s_delay_alu instid0(VALU_DEP_2) | instskip(NEXT) | instid1(VALU_DEP_1)
	v_or_b32_e32 v17, 0x70000000, v17
	v_mul_f32_e32 v17, 0x7800000, v17
	s_delay_alu instid0(VALU_DEP_1) | instskip(NEXT) | instid1(VALU_DEP_1)
	v_cndmask_b32_e32 v11, v17, v19, vcc_lo
	v_and_or_b32 v10, 0x80000000, v10, v11
	s_delay_alu instid0(VALU_DEP_1)
	v_cvt_f64_f32_e32 v[10:11], v10
.LBB142_2911:
	s_mov_b32 s21, 0
	s_mov_b32 s22, -1
.LBB142_2912:
	s_and_not1_b32 vcc_lo, exec_lo, s21
	s_mov_b32 s21, 0
	s_cbranch_vccnz .LBB142_2923
; %bb.2913:
	s_cmp_gt_i32 s15, 14
	s_cbranch_scc0 .LBB142_2916
; %bb.2914:
	s_cmp_eq_u32 s15, 15
	s_cbranch_scc0 .LBB142_2919
; %bb.2915:
	global_load_u16 v10, v[14:15], off
	s_mov_b32 s20, 0
	s_mov_b32 s22, -1
	s_wait_loadcnt 0x0
	v_lshlrev_b32_e32 v10, 16, v10
	s_delay_alu instid0(VALU_DEP_1)
	v_cvt_f64_f32_e32 v[10:11], v10
	s_branch .LBB142_2921
.LBB142_2916:
	s_mov_b32 s21, -1
	s_branch .LBB142_2920
.LBB142_2917:
	s_or_saveexec_b32 s22, s22
	v_mov_b64_e32 v[10:11], 0x7ff8000020000000
	s_xor_b32 exec_lo, exec_lo, s22
	s_cbranch_execz .LBB142_2898
.LBB142_2918:
	v_cmp_ne_u16_e32 vcc_lo, 0, v17
	v_mov_b64_e32 v[10:11], 0
	s_and_not1_b32 s21, s21, exec_lo
	s_and_b32 s23, vcc_lo, exec_lo
	s_delay_alu instid0(SALU_CYCLE_1)
	s_or_b32 s21, s21, s23
	s_or_b32 exec_lo, exec_lo, s22
	s_and_saveexec_b32 s22, s21
	s_cbranch_execnz .LBB142_2899
	s_branch .LBB142_2900
.LBB142_2919:
	s_mov_b32 s20, -1
.LBB142_2920:
                                        ; implicit-def: $vgpr10_vgpr11
.LBB142_2921:
	s_and_b32 vcc_lo, exec_lo, s21
	s_mov_b32 s21, 0
	s_cbranch_vccz .LBB142_2923
; %bb.2922:
	s_cmp_lg_u32 s15, 11
	s_mov_b32 s21, -1
	s_cselect_b32 s20, -1, 0
.LBB142_2923:
	s_delay_alu instid0(SALU_CYCLE_1)
	s_and_b32 vcc_lo, exec_lo, s20
	s_cbranch_vccnz .LBB142_2988
; %bb.2924:
	s_and_not1_b32 vcc_lo, exec_lo, s21
	s_cbranch_vccnz .LBB142_2926
.LBB142_2925:
	global_load_u8 v10, v[14:15], off
	s_mov_b32 s22, -1
	s_wait_loadcnt 0x0
	v_cmp_ne_u16_e32 vcc_lo, 0, v10
	v_mov_b32_e32 v10, 0
	v_cndmask_b32_e64 v11, 0, 0x3ff00000, vcc_lo
.LBB142_2926:
	s_mov_b32 s15, 0
.LBB142_2927:
	s_delay_alu instid0(SALU_CYCLE_1)
	s_and_b32 vcc_lo, exec_lo, s15
	s_cbranch_vccz .LBB142_2976
; %bb.2928:
	s_and_b32 s15, 0xffff, s17
	s_delay_alu instid0(SALU_CYCLE_1)
	s_cmp_lt_i32 s15, 5
	s_cbranch_scc1 .LBB142_2933
; %bb.2929:
	s_cmp_lt_i32 s15, 8
	s_cbranch_scc1 .LBB142_2934
; %bb.2930:
	;; [unrolled: 3-line block ×3, first 2 shown]
	s_cmp_gt_i32 s15, 9
	s_cbranch_scc0 .LBB142_2936
; %bb.2932:
	global_load_b64 v[10:11], v[14:15], off
	s_mov_b32 s20, 0
	s_branch .LBB142_2937
.LBB142_2933:
	s_mov_b32 s20, -1
                                        ; implicit-def: $vgpr10_vgpr11
	s_branch .LBB142_2955
.LBB142_2934:
	s_mov_b32 s20, -1
                                        ; implicit-def: $vgpr10_vgpr11
	s_branch .LBB142_2943
.LBB142_2935:
	s_mov_b32 s20, -1
                                        ; implicit-def: $vgpr10_vgpr11
	s_branch .LBB142_2940
.LBB142_2936:
	s_mov_b32 s20, -1
                                        ; implicit-def: $vgpr10_vgpr11
.LBB142_2937:
	s_delay_alu instid0(SALU_CYCLE_1)
	s_and_not1_b32 vcc_lo, exec_lo, s20
	s_cbranch_vccnz .LBB142_2939
; %bb.2938:
	s_wait_loadcnt 0x0
	global_load_b32 v10, v[14:15], off
	s_wait_loadcnt 0x0
	v_cvt_f64_f32_e32 v[10:11], v10
.LBB142_2939:
	s_mov_b32 s20, 0
.LBB142_2940:
	s_delay_alu instid0(SALU_CYCLE_1)
	s_and_not1_b32 vcc_lo, exec_lo, s20
	s_cbranch_vccnz .LBB142_2942
; %bb.2941:
	s_wait_loadcnt 0x0
	global_load_b32 v10, v[14:15], off
	s_wait_loadcnt 0x0
	v_cvt_f32_f16_e32 v10, v10
	s_delay_alu instid0(VALU_DEP_1)
	v_cvt_f64_f32_e32 v[10:11], v10
.LBB142_2942:
	s_mov_b32 s20, 0
.LBB142_2943:
	s_delay_alu instid0(SALU_CYCLE_1)
	s_and_not1_b32 vcc_lo, exec_lo, s20
	s_cbranch_vccnz .LBB142_2954
; %bb.2944:
	s_cmp_lt_i32 s15, 6
	s_cbranch_scc1 .LBB142_2947
; %bb.2945:
	s_cmp_gt_i32 s15, 6
	s_cbranch_scc0 .LBB142_2948
; %bb.2946:
	s_wait_loadcnt 0x0
	global_load_b64 v[10:11], v[14:15], off
	s_mov_b32 s20, 0
	s_branch .LBB142_2949
.LBB142_2947:
	s_mov_b32 s20, -1
                                        ; implicit-def: $vgpr10_vgpr11
	s_branch .LBB142_2952
.LBB142_2948:
	s_mov_b32 s20, -1
                                        ; implicit-def: $vgpr10_vgpr11
.LBB142_2949:
	s_delay_alu instid0(SALU_CYCLE_1)
	s_and_not1_b32 vcc_lo, exec_lo, s20
	s_cbranch_vccnz .LBB142_2951
; %bb.2950:
	s_wait_loadcnt 0x0
	global_load_b32 v10, v[14:15], off
	s_wait_loadcnt 0x0
	v_cvt_f64_f32_e32 v[10:11], v10
.LBB142_2951:
	s_mov_b32 s20, 0
.LBB142_2952:
	s_delay_alu instid0(SALU_CYCLE_1)
	s_and_not1_b32 vcc_lo, exec_lo, s20
	s_cbranch_vccnz .LBB142_2954
; %bb.2953:
	s_wait_loadcnt 0x0
	global_load_u16 v10, v[14:15], off
	s_wait_loadcnt 0x0
	v_cvt_f32_f16_e32 v10, v10
	s_delay_alu instid0(VALU_DEP_1)
	v_cvt_f64_f32_e32 v[10:11], v10
.LBB142_2954:
	s_mov_b32 s20, 0
.LBB142_2955:
	s_delay_alu instid0(SALU_CYCLE_1)
	s_and_not1_b32 vcc_lo, exec_lo, s20
	s_cbranch_vccnz .LBB142_2975
; %bb.2956:
	s_cmp_lt_i32 s15, 2
	s_cbranch_scc1 .LBB142_2960
; %bb.2957:
	s_cmp_lt_i32 s15, 3
	s_cbranch_scc1 .LBB142_2961
; %bb.2958:
	s_cmp_gt_i32 s15, 3
	s_cbranch_scc0 .LBB142_2962
; %bb.2959:
	s_wait_loadcnt 0x0
	global_load_b64 v[10:11], v[14:15], off
	s_mov_b32 s20, 0
	s_wait_loadcnt 0x0
	v_cvt_f64_i32_e32 v[22:23], v11
	v_cvt_f64_u32_e32 v[10:11], v10
	s_delay_alu instid0(VALU_DEP_2) | instskip(NEXT) | instid1(VALU_DEP_1)
	v_ldexp_f64 v[22:23], v[22:23], 32
	v_add_f64_e32 v[10:11], v[22:23], v[10:11]
	s_branch .LBB142_2963
.LBB142_2960:
	s_mov_b32 s20, -1
                                        ; implicit-def: $vgpr10_vgpr11
	s_branch .LBB142_2969
.LBB142_2961:
	s_mov_b32 s20, -1
                                        ; implicit-def: $vgpr10_vgpr11
	s_branch .LBB142_2966
.LBB142_2962:
	s_mov_b32 s20, -1
                                        ; implicit-def: $vgpr10_vgpr11
.LBB142_2963:
	s_delay_alu instid0(SALU_CYCLE_1)
	s_and_not1_b32 vcc_lo, exec_lo, s20
	s_cbranch_vccnz .LBB142_2965
; %bb.2964:
	s_wait_loadcnt 0x0
	global_load_b32 v10, v[14:15], off
	s_wait_loadcnt 0x0
	v_cvt_f64_i32_e32 v[10:11], v10
.LBB142_2965:
	s_mov_b32 s20, 0
.LBB142_2966:
	s_delay_alu instid0(SALU_CYCLE_1)
	s_and_not1_b32 vcc_lo, exec_lo, s20
	s_cbranch_vccnz .LBB142_2968
; %bb.2967:
	s_wait_loadcnt 0x0
	global_load_i16 v10, v[14:15], off
	s_wait_loadcnt 0x0
	v_cvt_f64_i32_e32 v[10:11], v10
.LBB142_2968:
	s_mov_b32 s20, 0
.LBB142_2969:
	s_delay_alu instid0(SALU_CYCLE_1)
	s_and_not1_b32 vcc_lo, exec_lo, s20
	s_cbranch_vccnz .LBB142_2975
; %bb.2970:
	s_cmp_gt_i32 s15, 0
	s_mov_b32 s15, 0
	s_cbranch_scc0 .LBB142_2972
; %bb.2971:
	s_wait_loadcnt 0x0
	global_load_i8 v10, v[14:15], off
	s_wait_loadcnt 0x0
	v_cvt_f64_i32_e32 v[10:11], v10
	s_branch .LBB142_2973
.LBB142_2972:
	s_mov_b32 s15, -1
                                        ; implicit-def: $vgpr10_vgpr11
.LBB142_2973:
	s_delay_alu instid0(SALU_CYCLE_1)
	s_and_not1_b32 vcc_lo, exec_lo, s15
	s_cbranch_vccnz .LBB142_2975
; %bb.2974:
	s_wait_loadcnt 0x0
	global_load_u8 v10, v[14:15], off
	s_wait_loadcnt 0x0
	v_cvt_f64_u32_e32 v[10:11], v10
.LBB142_2975:
	s_mov_b32 s22, -1
.LBB142_2976:
	s_delay_alu instid0(SALU_CYCLE_1)
	s_and_not1_b32 vcc_lo, exec_lo, s22
	s_cbranch_vccnz .LBB142_4065
; %bb.2977:
	v_add_nc_u32_e32 v22, s13, v16
	s_cmp_lt_i32 s3, 11
	s_delay_alu instid0(VALU_DEP_1) | instskip(NEXT) | instid1(VALU_DEP_1)
	v_ashrrev_i32_e32 v23, 31, v22
	v_add_nc_u64_e32 v[16:17], s[8:9], v[22:23]
	s_cbranch_scc1 .LBB142_2984
; %bb.2978:
	s_and_b32 s15, 0xffff, s3
	s_mov_b32 s21, 0
	s_cmp_gt_i32 s15, 25
	s_cbranch_scc0 .LBB142_2985
; %bb.2979:
	s_cmp_gt_i32 s15, 28
	s_cbranch_scc0 .LBB142_2986
; %bb.2980:
	;; [unrolled: 3-line block ×4, first 2 shown]
	s_cmp_eq_u32 s15, 46
	s_mov_b32 s23, 0
	s_cbranch_scc0 .LBB142_2990
; %bb.2983:
	global_load_b32 v14, v[16:17], off
	s_mov_b32 s20, 0
	s_mov_b32 s22, -1
	s_wait_loadcnt 0x0
	v_lshlrev_b32_e32 v14, 16, v14
	s_delay_alu instid0(VALU_DEP_1)
	v_cvt_f64_f32_e32 v[14:15], v14
	s_branch .LBB142_2992
.LBB142_2984:
	s_mov_b32 s15, -1
	s_mov_b32 s22, 0
                                        ; implicit-def: $vgpr14_vgpr15
	s_branch .LBB142_3058
.LBB142_2985:
	s_mov_b32 s23, -1
	s_mov_b32 s22, 0
	s_mov_b32 s20, 0
                                        ; implicit-def: $vgpr14_vgpr15
	s_branch .LBB142_3021
.LBB142_2986:
	s_mov_b32 s23, -1
	s_mov_b32 s22, 0
	s_mov_b32 s20, 0
                                        ; implicit-def: $vgpr14_vgpr15
	s_branch .LBB142_3002
.LBB142_2987:
	s_mov_b32 s23, -1
	s_mov_b32 s22, 0
	s_mov_b32 s20, 0
                                        ; implicit-def: $vgpr14_vgpr15
	s_branch .LBB142_2997
.LBB142_2988:
	s_or_b32 s16, s16, exec_lo
	s_trap 2
	s_cbranch_execz .LBB142_2925
	s_branch .LBB142_2926
.LBB142_2989:
	s_mov_b32 s23, -1
	s_mov_b32 s22, 0
	s_mov_b32 s20, 0
	s_branch .LBB142_2991
.LBB142_2990:
	s_mov_b32 s20, -1
	s_mov_b32 s22, 0
.LBB142_2991:
                                        ; implicit-def: $vgpr14_vgpr15
.LBB142_2992:
	s_and_b32 vcc_lo, exec_lo, s23
	s_cbranch_vccz .LBB142_2996
; %bb.2993:
	s_cmp_eq_u32 s15, 44
	s_cbranch_scc0 .LBB142_2995
; %bb.2994:
	global_load_u8 v19, v[16:17], off
	s_mov_b32 s20, 0
	s_mov_b32 s22, -1
	s_wait_loadcnt 0x0
	s_wait_xcnt 0x1
	v_lshlrev_b32_e32 v14, 23, v19
	v_cmp_ne_u32_e32 vcc_lo, 0xff, v19
	s_delay_alu instid0(VALU_DEP_2) | instskip(NEXT) | instid1(VALU_DEP_1)
	v_cvt_f64_f32_e32 v[14:15], v14
	v_cndmask_b32_e32 v14, 0x20000000, v14, vcc_lo
	s_delay_alu instid0(VALU_DEP_2) | instskip(SKIP_1) | instid1(VALU_DEP_2)
	v_cndmask_b32_e32 v15, 0x7ff80000, v15, vcc_lo
	v_cmp_ne_u32_e32 vcc_lo, 0, v19
	v_cndmask_b32_e32 v15, 0x38000000, v15, vcc_lo
	s_delay_alu instid0(VALU_DEP_4)
	v_cndmask_b32_e32 v14, 0, v14, vcc_lo
	s_branch .LBB142_2996
.LBB142_2995:
	s_mov_b32 s20, -1
                                        ; implicit-def: $vgpr14_vgpr15
.LBB142_2996:
	s_mov_b32 s23, 0
.LBB142_2997:
	s_delay_alu instid0(SALU_CYCLE_1)
	s_and_b32 vcc_lo, exec_lo, s23
	s_cbranch_vccz .LBB142_3001
; %bb.2998:
	s_cmp_eq_u32 s15, 29
	s_cbranch_scc0 .LBB142_3000
; %bb.2999:
	global_load_b64 v[14:15], v[16:17], off
	s_mov_b32 s20, 0
	s_mov_b32 s22, -1
	s_mov_b32 s23, 0
	s_wait_loadcnt 0x0
	v_cvt_f64_u32_e32 v[24:25], v15
	v_cvt_f64_u32_e32 v[14:15], v14
	s_delay_alu instid0(VALU_DEP_2) | instskip(NEXT) | instid1(VALU_DEP_1)
	v_ldexp_f64 v[24:25], v[24:25], 32
	v_add_f64_e32 v[14:15], v[24:25], v[14:15]
	s_branch .LBB142_3002
.LBB142_3000:
	s_mov_b32 s20, -1
                                        ; implicit-def: $vgpr14_vgpr15
.LBB142_3001:
	s_mov_b32 s23, 0
.LBB142_3002:
	s_delay_alu instid0(SALU_CYCLE_1)
	s_and_b32 vcc_lo, exec_lo, s23
	s_cbranch_vccz .LBB142_3020
; %bb.3003:
	s_cmp_lt_i32 s15, 27
	s_cbranch_scc1 .LBB142_3006
; %bb.3004:
	s_cmp_gt_i32 s15, 27
	s_cbranch_scc0 .LBB142_3007
; %bb.3005:
	global_load_b32 v14, v[16:17], off
	s_mov_b32 s22, 0
	s_wait_loadcnt 0x0
	v_cvt_f64_u32_e32 v[14:15], v14
	s_branch .LBB142_3008
.LBB142_3006:
	s_mov_b32 s22, -1
                                        ; implicit-def: $vgpr14_vgpr15
	s_branch .LBB142_3011
.LBB142_3007:
	s_mov_b32 s22, -1
                                        ; implicit-def: $vgpr14_vgpr15
.LBB142_3008:
	s_delay_alu instid0(SALU_CYCLE_1)
	s_and_not1_b32 vcc_lo, exec_lo, s22
	s_cbranch_vccnz .LBB142_3010
; %bb.3009:
	global_load_u16 v14, v[16:17], off
	s_wait_loadcnt 0x0
	v_cvt_f64_u32_e32 v[14:15], v14
.LBB142_3010:
	s_mov_b32 s22, 0
.LBB142_3011:
	s_delay_alu instid0(SALU_CYCLE_1)
	s_and_not1_b32 vcc_lo, exec_lo, s22
	s_cbranch_vccnz .LBB142_3019
; %bb.3012:
	global_load_u8 v19, v[16:17], off
	s_mov_b32 s22, 0
	s_mov_b32 s23, exec_lo
	s_wait_loadcnt 0x0
	v_cmpx_lt_i16_e32 0x7f, v19
	s_xor_b32 s23, exec_lo, s23
	s_cbranch_execz .LBB142_3033
; %bb.3013:
	s_mov_b32 s22, -1
	s_mov_b32 s24, exec_lo
	v_cmpx_eq_u16_e32 0x80, v19
; %bb.3014:
	s_xor_b32 s22, exec_lo, -1
; %bb.3015:
	s_or_b32 exec_lo, exec_lo, s24
	s_delay_alu instid0(SALU_CYCLE_1)
	s_and_b32 s22, s22, exec_lo
	s_or_saveexec_b32 s23, s23
	v_mov_b64_e32 v[14:15], 0x7ff8000020000000
	s_xor_b32 exec_lo, exec_lo, s23
	s_cbranch_execnz .LBB142_3034
.LBB142_3016:
	s_or_b32 exec_lo, exec_lo, s23
	s_and_saveexec_b32 s23, s22
	s_cbranch_execz .LBB142_3018
.LBB142_3017:
	v_and_b32_e32 v14, 0xffff, v19
	s_delay_alu instid0(VALU_DEP_1) | instskip(SKIP_1) | instid1(VALU_DEP_2)
	v_and_b32_e32 v15, 7, v14
	v_bfe_u32 v24, v14, 3, 4
	v_clz_i32_u32_e32 v21, v15
	s_delay_alu instid0(VALU_DEP_2) | instskip(NEXT) | instid1(VALU_DEP_2)
	v_cmp_eq_u32_e32 vcc_lo, 0, v24
	v_min_u32_e32 v21, 32, v21
	s_delay_alu instid0(VALU_DEP_1) | instskip(NEXT) | instid1(VALU_DEP_1)
	v_subrev_nc_u32_e32 v23, 28, v21
	v_dual_lshlrev_b32 v14, v23, v14 :: v_dual_sub_nc_u32 v21, 29, v21
	s_delay_alu instid0(VALU_DEP_1) | instskip(NEXT) | instid1(VALU_DEP_1)
	v_dual_lshlrev_b32 v19, 24, v19 :: v_dual_bitop2_b32 v14, 7, v14 bitop3:0x40
	v_dual_cndmask_b32 v21, v24, v21 :: v_dual_cndmask_b32 v14, v15, v14
	s_delay_alu instid0(VALU_DEP_2) | instskip(NEXT) | instid1(VALU_DEP_2)
	v_and_b32_e32 v15, 0x80000000, v19
	v_lshl_add_u32 v19, v21, 23, 0x3b800000
	s_delay_alu instid0(VALU_DEP_3) | instskip(NEXT) | instid1(VALU_DEP_1)
	v_lshlrev_b32_e32 v14, 20, v14
	v_or3_b32 v14, v15, v19, v14
	s_delay_alu instid0(VALU_DEP_1)
	v_cvt_f64_f32_e32 v[14:15], v14
.LBB142_3018:
	s_or_b32 exec_lo, exec_lo, s23
.LBB142_3019:
	s_mov_b32 s22, -1
.LBB142_3020:
	s_mov_b32 s23, 0
.LBB142_3021:
	s_delay_alu instid0(SALU_CYCLE_1)
	s_and_b32 vcc_lo, exec_lo, s23
	s_cbranch_vccz .LBB142_3054
; %bb.3022:
	s_cmp_gt_i32 s15, 22
	s_cbranch_scc0 .LBB142_3032
; %bb.3023:
	s_cmp_lt_i32 s15, 24
	s_cbranch_scc1 .LBB142_3035
; %bb.3024:
	s_cmp_gt_i32 s15, 24
	s_cbranch_scc0 .LBB142_3036
; %bb.3025:
	global_load_u8 v19, v[16:17], off
	s_mov_b32 s22, exec_lo
	s_wait_loadcnt 0x0
	v_cmpx_lt_i16_e32 0x7f, v19
	s_xor_b32 s22, exec_lo, s22
	s_cbranch_execz .LBB142_3048
; %bb.3026:
	s_mov_b32 s21, -1
	s_mov_b32 s23, exec_lo
	v_cmpx_eq_u16_e32 0x80, v19
; %bb.3027:
	s_xor_b32 s21, exec_lo, -1
; %bb.3028:
	s_or_b32 exec_lo, exec_lo, s23
	s_delay_alu instid0(SALU_CYCLE_1)
	s_and_b32 s21, s21, exec_lo
	s_or_saveexec_b32 s22, s22
	v_mov_b64_e32 v[14:15], 0x7ff8000020000000
	s_xor_b32 exec_lo, exec_lo, s22
	s_cbranch_execnz .LBB142_3049
.LBB142_3029:
	s_or_b32 exec_lo, exec_lo, s22
	s_and_saveexec_b32 s22, s21
	s_cbranch_execz .LBB142_3031
.LBB142_3030:
	v_and_b32_e32 v14, 0xffff, v19
	s_delay_alu instid0(VALU_DEP_1) | instskip(SKIP_1) | instid1(VALU_DEP_2)
	v_and_b32_e32 v15, 3, v14
	v_bfe_u32 v24, v14, 2, 5
	v_clz_i32_u32_e32 v21, v15
	s_delay_alu instid0(VALU_DEP_2) | instskip(NEXT) | instid1(VALU_DEP_2)
	v_cmp_eq_u32_e32 vcc_lo, 0, v24
	v_min_u32_e32 v21, 32, v21
	s_delay_alu instid0(VALU_DEP_1) | instskip(NEXT) | instid1(VALU_DEP_1)
	v_subrev_nc_u32_e32 v23, 29, v21
	v_dual_lshlrev_b32 v14, v23, v14 :: v_dual_sub_nc_u32 v21, 30, v21
	s_delay_alu instid0(VALU_DEP_1) | instskip(NEXT) | instid1(VALU_DEP_1)
	v_dual_lshlrev_b32 v19, 24, v19 :: v_dual_bitop2_b32 v14, 3, v14 bitop3:0x40
	v_dual_cndmask_b32 v21, v24, v21 :: v_dual_cndmask_b32 v14, v15, v14
	s_delay_alu instid0(VALU_DEP_2) | instskip(NEXT) | instid1(VALU_DEP_2)
	v_and_b32_e32 v15, 0x80000000, v19
	v_lshl_add_u32 v19, v21, 23, 0x37800000
	s_delay_alu instid0(VALU_DEP_3) | instskip(NEXT) | instid1(VALU_DEP_1)
	v_lshlrev_b32_e32 v14, 21, v14
	v_or3_b32 v14, v15, v19, v14
	s_delay_alu instid0(VALU_DEP_1)
	v_cvt_f64_f32_e32 v[14:15], v14
.LBB142_3031:
	s_or_b32 exec_lo, exec_lo, s22
	s_mov_b32 s21, 0
	s_branch .LBB142_3037
.LBB142_3032:
	s_mov_b32 s21, -1
                                        ; implicit-def: $vgpr14_vgpr15
	s_branch .LBB142_3043
.LBB142_3033:
	s_or_saveexec_b32 s23, s23
	v_mov_b64_e32 v[14:15], 0x7ff8000020000000
	s_xor_b32 exec_lo, exec_lo, s23
	s_cbranch_execz .LBB142_3016
.LBB142_3034:
	v_cmp_ne_u16_e32 vcc_lo, 0, v19
	v_mov_b64_e32 v[14:15], 0
	s_and_not1_b32 s22, s22, exec_lo
	s_and_b32 s24, vcc_lo, exec_lo
	s_delay_alu instid0(SALU_CYCLE_1)
	s_or_b32 s22, s22, s24
	s_or_b32 exec_lo, exec_lo, s23
	s_and_saveexec_b32 s23, s22
	s_cbranch_execnz .LBB142_3017
	s_branch .LBB142_3018
.LBB142_3035:
	s_mov_b32 s21, -1
                                        ; implicit-def: $vgpr14_vgpr15
	s_branch .LBB142_3040
.LBB142_3036:
	s_mov_b32 s21, -1
                                        ; implicit-def: $vgpr14_vgpr15
.LBB142_3037:
	s_delay_alu instid0(SALU_CYCLE_1)
	s_and_b32 vcc_lo, exec_lo, s21
	s_cbranch_vccz .LBB142_3039
; %bb.3038:
	global_load_u8 v14, v[16:17], off
	s_wait_loadcnt 0x0
	v_lshlrev_b32_e32 v14, 24, v14
	s_delay_alu instid0(VALU_DEP_1) | instskip(NEXT) | instid1(VALU_DEP_1)
	v_and_b32_e32 v15, 0x7f000000, v14
	v_clz_i32_u32_e32 v19, v15
	v_add_nc_u32_e32 v23, 0x1000000, v15
	v_cmp_ne_u32_e32 vcc_lo, 0, v15
	s_delay_alu instid0(VALU_DEP_3) | instskip(NEXT) | instid1(VALU_DEP_1)
	v_min_u32_e32 v19, 32, v19
	v_sub_nc_u32_e64 v19, v19, 4 clamp
	s_delay_alu instid0(VALU_DEP_1) | instskip(NEXT) | instid1(VALU_DEP_1)
	v_lshlrev_b32_e32 v21, v19, v15
	v_dual_lshlrev_b32 v19, 23, v19 :: v_dual_lshrrev_b32 v21, 4, v21
	s_delay_alu instid0(VALU_DEP_1) | instskip(SKIP_1) | instid1(VALU_DEP_2)
	v_sub_nc_u32_e32 v19, v21, v19
	v_ashrrev_i32_e32 v21, 8, v23
	v_add_nc_u32_e32 v19, 0x3c000000, v19
	s_delay_alu instid0(VALU_DEP_1) | instskip(NEXT) | instid1(VALU_DEP_1)
	v_and_or_b32 v19, 0x7f800000, v21, v19
	v_cndmask_b32_e32 v15, 0, v19, vcc_lo
	s_delay_alu instid0(VALU_DEP_1) | instskip(NEXT) | instid1(VALU_DEP_1)
	v_and_or_b32 v14, 0x80000000, v14, v15
	v_cvt_f64_f32_e32 v[14:15], v14
.LBB142_3039:
	s_mov_b32 s21, 0
.LBB142_3040:
	s_delay_alu instid0(SALU_CYCLE_1)
	s_and_not1_b32 vcc_lo, exec_lo, s21
	s_cbranch_vccnz .LBB142_3042
; %bb.3041:
	global_load_u8 v14, v[16:17], off
	s_wait_loadcnt 0x0
	v_lshlrev_b32_e32 v15, 25, v14
	v_lshlrev_b16 v14, 8, v14
	s_delay_alu instid0(VALU_DEP_1) | instskip(SKIP_1) | instid1(VALU_DEP_2)
	v_and_or_b32 v21, 0x7f00, v14, 0.5
	v_bfe_i32 v14, v14, 0, 16
	v_dual_add_f32 v21, -0.5, v21 :: v_dual_lshrrev_b32 v19, 4, v15
	v_cmp_gt_u32_e32 vcc_lo, 0x8000000, v15
	s_delay_alu instid0(VALU_DEP_2) | instskip(NEXT) | instid1(VALU_DEP_1)
	v_or_b32_e32 v19, 0x70000000, v19
	v_mul_f32_e32 v19, 0x7800000, v19
	s_delay_alu instid0(VALU_DEP_1) | instskip(NEXT) | instid1(VALU_DEP_1)
	v_cndmask_b32_e32 v15, v19, v21, vcc_lo
	v_and_or_b32 v14, 0x80000000, v14, v15
	s_delay_alu instid0(VALU_DEP_1)
	v_cvt_f64_f32_e32 v[14:15], v14
.LBB142_3042:
	s_mov_b32 s21, 0
	s_mov_b32 s22, -1
.LBB142_3043:
	s_and_not1_b32 vcc_lo, exec_lo, s21
	s_mov_b32 s21, 0
	s_cbranch_vccnz .LBB142_3054
; %bb.3044:
	s_cmp_gt_i32 s15, 14
	s_cbranch_scc0 .LBB142_3047
; %bb.3045:
	s_cmp_eq_u32 s15, 15
	s_cbranch_scc0 .LBB142_3050
; %bb.3046:
	global_load_u16 v14, v[16:17], off
	s_mov_b32 s20, 0
	s_mov_b32 s22, -1
	s_wait_loadcnt 0x0
	v_lshlrev_b32_e32 v14, 16, v14
	s_delay_alu instid0(VALU_DEP_1)
	v_cvt_f64_f32_e32 v[14:15], v14
	s_branch .LBB142_3052
.LBB142_3047:
	s_mov_b32 s21, -1
	s_branch .LBB142_3051
.LBB142_3048:
	s_or_saveexec_b32 s22, s22
	v_mov_b64_e32 v[14:15], 0x7ff8000020000000
	s_xor_b32 exec_lo, exec_lo, s22
	s_cbranch_execz .LBB142_3029
.LBB142_3049:
	v_cmp_ne_u16_e32 vcc_lo, 0, v19
	v_mov_b64_e32 v[14:15], 0
	s_and_not1_b32 s21, s21, exec_lo
	s_and_b32 s23, vcc_lo, exec_lo
	s_delay_alu instid0(SALU_CYCLE_1)
	s_or_b32 s21, s21, s23
	s_or_b32 exec_lo, exec_lo, s22
	s_and_saveexec_b32 s22, s21
	s_cbranch_execnz .LBB142_3030
	s_branch .LBB142_3031
.LBB142_3050:
	s_mov_b32 s20, -1
.LBB142_3051:
                                        ; implicit-def: $vgpr14_vgpr15
.LBB142_3052:
	s_and_b32 vcc_lo, exec_lo, s21
	s_mov_b32 s21, 0
	s_cbranch_vccz .LBB142_3054
; %bb.3053:
	s_cmp_lg_u32 s15, 11
	s_mov_b32 s21, -1
	s_cselect_b32 s20, -1, 0
.LBB142_3054:
	s_delay_alu instid0(SALU_CYCLE_1)
	s_and_b32 vcc_lo, exec_lo, s20
	s_cbranch_vccnz .LBB142_3119
; %bb.3055:
	s_and_not1_b32 vcc_lo, exec_lo, s21
	s_cbranch_vccnz .LBB142_3057
.LBB142_3056:
	global_load_u8 v14, v[16:17], off
	s_mov_b32 s22, -1
	s_wait_loadcnt 0x0
	v_cmp_ne_u16_e32 vcc_lo, 0, v14
	v_mov_b32_e32 v14, 0
	v_cndmask_b32_e64 v15, 0, 0x3ff00000, vcc_lo
.LBB142_3057:
	s_mov_b32 s15, 0
.LBB142_3058:
	s_delay_alu instid0(SALU_CYCLE_1)
	s_and_b32 vcc_lo, exec_lo, s15
	s_cbranch_vccz .LBB142_3107
; %bb.3059:
	s_and_b32 s15, 0xffff, s3
	s_delay_alu instid0(SALU_CYCLE_1)
	s_cmp_lt_i32 s15, 5
	s_cbranch_scc1 .LBB142_3064
; %bb.3060:
	s_cmp_lt_i32 s15, 8
	s_cbranch_scc1 .LBB142_3065
; %bb.3061:
	;; [unrolled: 3-line block ×3, first 2 shown]
	s_cmp_gt_i32 s15, 9
	s_cbranch_scc0 .LBB142_3067
; %bb.3063:
	global_load_b64 v[14:15], v[16:17], off
	s_mov_b32 s20, 0
	s_branch .LBB142_3068
.LBB142_3064:
	s_mov_b32 s20, -1
                                        ; implicit-def: $vgpr14_vgpr15
	s_branch .LBB142_3086
.LBB142_3065:
	s_mov_b32 s20, -1
                                        ; implicit-def: $vgpr14_vgpr15
	s_branch .LBB142_3074
.LBB142_3066:
	s_mov_b32 s20, -1
                                        ; implicit-def: $vgpr14_vgpr15
	s_branch .LBB142_3071
.LBB142_3067:
	s_mov_b32 s20, -1
                                        ; implicit-def: $vgpr14_vgpr15
.LBB142_3068:
	s_delay_alu instid0(SALU_CYCLE_1)
	s_and_not1_b32 vcc_lo, exec_lo, s20
	s_cbranch_vccnz .LBB142_3070
; %bb.3069:
	s_wait_loadcnt 0x0
	global_load_b32 v14, v[16:17], off
	s_wait_loadcnt 0x0
	v_cvt_f64_f32_e32 v[14:15], v14
.LBB142_3070:
	s_mov_b32 s20, 0
.LBB142_3071:
	s_delay_alu instid0(SALU_CYCLE_1)
	s_and_not1_b32 vcc_lo, exec_lo, s20
	s_cbranch_vccnz .LBB142_3073
; %bb.3072:
	s_wait_loadcnt 0x0
	global_load_b32 v14, v[16:17], off
	s_wait_loadcnt 0x0
	v_cvt_f32_f16_e32 v14, v14
	s_delay_alu instid0(VALU_DEP_1)
	v_cvt_f64_f32_e32 v[14:15], v14
.LBB142_3073:
	s_mov_b32 s20, 0
.LBB142_3074:
	s_delay_alu instid0(SALU_CYCLE_1)
	s_and_not1_b32 vcc_lo, exec_lo, s20
	s_cbranch_vccnz .LBB142_3085
; %bb.3075:
	s_cmp_lt_i32 s15, 6
	s_cbranch_scc1 .LBB142_3078
; %bb.3076:
	s_cmp_gt_i32 s15, 6
	s_cbranch_scc0 .LBB142_3079
; %bb.3077:
	s_wait_loadcnt 0x0
	global_load_b64 v[14:15], v[16:17], off
	s_mov_b32 s20, 0
	s_branch .LBB142_3080
.LBB142_3078:
	s_mov_b32 s20, -1
                                        ; implicit-def: $vgpr14_vgpr15
	s_branch .LBB142_3083
.LBB142_3079:
	s_mov_b32 s20, -1
                                        ; implicit-def: $vgpr14_vgpr15
.LBB142_3080:
	s_delay_alu instid0(SALU_CYCLE_1)
	s_and_not1_b32 vcc_lo, exec_lo, s20
	s_cbranch_vccnz .LBB142_3082
; %bb.3081:
	s_wait_loadcnt 0x0
	global_load_b32 v14, v[16:17], off
	s_wait_loadcnt 0x0
	v_cvt_f64_f32_e32 v[14:15], v14
.LBB142_3082:
	s_mov_b32 s20, 0
.LBB142_3083:
	s_delay_alu instid0(SALU_CYCLE_1)
	s_and_not1_b32 vcc_lo, exec_lo, s20
	s_cbranch_vccnz .LBB142_3085
; %bb.3084:
	s_wait_loadcnt 0x0
	global_load_u16 v14, v[16:17], off
	s_wait_loadcnt 0x0
	v_cvt_f32_f16_e32 v14, v14
	s_delay_alu instid0(VALU_DEP_1)
	v_cvt_f64_f32_e32 v[14:15], v14
.LBB142_3085:
	s_mov_b32 s20, 0
.LBB142_3086:
	s_delay_alu instid0(SALU_CYCLE_1)
	s_and_not1_b32 vcc_lo, exec_lo, s20
	s_cbranch_vccnz .LBB142_3106
; %bb.3087:
	s_cmp_lt_i32 s15, 2
	s_cbranch_scc1 .LBB142_3091
; %bb.3088:
	s_cmp_lt_i32 s15, 3
	s_cbranch_scc1 .LBB142_3092
; %bb.3089:
	s_cmp_gt_i32 s15, 3
	s_cbranch_scc0 .LBB142_3093
; %bb.3090:
	s_wait_loadcnt 0x0
	global_load_b64 v[14:15], v[16:17], off
	s_mov_b32 s20, 0
	s_wait_loadcnt 0x0
	v_cvt_f64_i32_e32 v[24:25], v15
	v_cvt_f64_u32_e32 v[14:15], v14
	s_delay_alu instid0(VALU_DEP_2) | instskip(NEXT) | instid1(VALU_DEP_1)
	v_ldexp_f64 v[24:25], v[24:25], 32
	v_add_f64_e32 v[14:15], v[24:25], v[14:15]
	s_branch .LBB142_3094
.LBB142_3091:
	s_mov_b32 s20, -1
                                        ; implicit-def: $vgpr14_vgpr15
	s_branch .LBB142_3100
.LBB142_3092:
	s_mov_b32 s20, -1
                                        ; implicit-def: $vgpr14_vgpr15
	s_branch .LBB142_3097
.LBB142_3093:
	s_mov_b32 s20, -1
                                        ; implicit-def: $vgpr14_vgpr15
.LBB142_3094:
	s_delay_alu instid0(SALU_CYCLE_1)
	s_and_not1_b32 vcc_lo, exec_lo, s20
	s_cbranch_vccnz .LBB142_3096
; %bb.3095:
	s_wait_loadcnt 0x0
	global_load_b32 v14, v[16:17], off
	s_wait_loadcnt 0x0
	v_cvt_f64_i32_e32 v[14:15], v14
.LBB142_3096:
	s_mov_b32 s20, 0
.LBB142_3097:
	s_delay_alu instid0(SALU_CYCLE_1)
	s_and_not1_b32 vcc_lo, exec_lo, s20
	s_cbranch_vccnz .LBB142_3099
; %bb.3098:
	s_wait_loadcnt 0x0
	global_load_i16 v14, v[16:17], off
	s_wait_loadcnt 0x0
	v_cvt_f64_i32_e32 v[14:15], v14
.LBB142_3099:
	s_mov_b32 s20, 0
.LBB142_3100:
	s_delay_alu instid0(SALU_CYCLE_1)
	s_and_not1_b32 vcc_lo, exec_lo, s20
	s_cbranch_vccnz .LBB142_3106
; %bb.3101:
	s_cmp_gt_i32 s15, 0
	s_mov_b32 s15, 0
	s_cbranch_scc0 .LBB142_3103
; %bb.3102:
	s_wait_loadcnt 0x0
	global_load_i8 v14, v[16:17], off
	s_wait_loadcnt 0x0
	v_cvt_f64_i32_e32 v[14:15], v14
	s_branch .LBB142_3104
.LBB142_3103:
	s_mov_b32 s15, -1
                                        ; implicit-def: $vgpr14_vgpr15
.LBB142_3104:
	s_delay_alu instid0(SALU_CYCLE_1)
	s_and_not1_b32 vcc_lo, exec_lo, s15
	s_cbranch_vccnz .LBB142_3106
; %bb.3105:
	s_wait_loadcnt 0x0
	global_load_u8 v14, v[16:17], off
	s_wait_loadcnt 0x0
	v_cvt_f64_u32_e32 v[14:15], v14
.LBB142_3106:
	s_mov_b32 s22, -1
.LBB142_3107:
	s_delay_alu instid0(SALU_CYCLE_1)
	s_and_not1_b32 vcc_lo, exec_lo, s22
	s_cbranch_vccnz .LBB142_4065
; %bb.3108:
	v_add_nc_u32_e32 v24, s14, v18
	s_cmp_lt_i32 s0, 11
	s_delay_alu instid0(VALU_DEP_1) | instskip(SKIP_1) | instid1(VALU_DEP_1)
	v_ashrrev_i32_e32 v25, 31, v24
	s_wait_xcnt 0x0
	v_add_nc_u64_e32 v[16:17], s[10:11], v[24:25]
	s_cbranch_scc1 .LBB142_3115
; %bb.3109:
	s_cmp_gt_i32 s0, 25
	s_mov_b32 s20, 0
	s_cbranch_scc0 .LBB142_3116
; %bb.3110:
	s_cmp_gt_i32 s0, 28
	s_cbranch_scc0 .LBB142_3117
; %bb.3111:
	s_cmp_gt_i32 s0, 43
	s_cbranch_scc0 .LBB142_3118
; %bb.3112:
	s_cmp_gt_i32 s0, 45
	s_cbranch_scc0 .LBB142_3120
; %bb.3113:
	s_cmp_eq_u32 s0, 46
	s_mov_b32 s22, 0
	s_cbranch_scc0 .LBB142_3121
; %bb.3114:
	global_load_b32 v18, v[16:17], off
	s_mov_b32 s15, 0
	s_mov_b32 s21, -1
	s_wait_loadcnt 0x0
	v_lshlrev_b32_e32 v18, 16, v18
	s_delay_alu instid0(VALU_DEP_1)
	v_cvt_f64_f32_e32 v[18:19], v18
	s_branch .LBB142_3123
.LBB142_3115:
	s_mov_b32 s15, -1
	s_mov_b32 s21, 0
                                        ; implicit-def: $vgpr18_vgpr19
	s_branch .LBB142_3189
.LBB142_3116:
	s_mov_b32 s22, -1
	s_mov_b32 s21, 0
	s_mov_b32 s15, 0
                                        ; implicit-def: $vgpr18_vgpr19
	s_branch .LBB142_3152
.LBB142_3117:
	s_mov_b32 s22, -1
	s_mov_b32 s21, 0
	s_mov_b32 s15, 0
                                        ; implicit-def: $vgpr18_vgpr19
	s_branch .LBB142_3133
.LBB142_3118:
	s_mov_b32 s22, -1
	s_mov_b32 s21, 0
	s_mov_b32 s15, 0
                                        ; implicit-def: $vgpr18_vgpr19
	s_branch .LBB142_3128
.LBB142_3119:
	s_or_b32 s16, s16, exec_lo
	s_trap 2
	s_cbranch_execz .LBB142_3056
	s_branch .LBB142_3057
.LBB142_3120:
	s_mov_b32 s22, -1
	s_mov_b32 s21, 0
	s_mov_b32 s15, 0
	s_branch .LBB142_3122
.LBB142_3121:
	s_mov_b32 s15, -1
	s_mov_b32 s21, 0
.LBB142_3122:
                                        ; implicit-def: $vgpr18_vgpr19
.LBB142_3123:
	s_and_b32 vcc_lo, exec_lo, s22
	s_cbranch_vccz .LBB142_3127
; %bb.3124:
	s_cmp_eq_u32 s0, 44
	s_cbranch_scc0 .LBB142_3126
; %bb.3125:
	global_load_u8 v21, v[16:17], off
	s_mov_b32 s15, 0
	s_mov_b32 s21, -1
	s_wait_loadcnt 0x0
	v_cmp_ne_u32_e32 vcc_lo, 0xff, v21
	v_lshlrev_b32_e32 v18, 23, v21
	s_delay_alu instid0(VALU_DEP_1) | instskip(NEXT) | instid1(VALU_DEP_1)
	v_cvt_f64_f32_e32 v[18:19], v18
	v_cndmask_b32_e32 v18, 0x20000000, v18, vcc_lo
	s_delay_alu instid0(VALU_DEP_2) | instskip(SKIP_1) | instid1(VALU_DEP_2)
	v_cndmask_b32_e32 v19, 0x7ff80000, v19, vcc_lo
	v_cmp_ne_u32_e32 vcc_lo, 0, v21
	v_cndmask_b32_e32 v19, 0x38000000, v19, vcc_lo
	s_delay_alu instid0(VALU_DEP_4)
	v_cndmask_b32_e32 v18, 0, v18, vcc_lo
	s_branch .LBB142_3127
.LBB142_3126:
	s_mov_b32 s15, -1
                                        ; implicit-def: $vgpr18_vgpr19
.LBB142_3127:
	s_mov_b32 s22, 0
.LBB142_3128:
	s_delay_alu instid0(SALU_CYCLE_1)
	s_and_b32 vcc_lo, exec_lo, s22
	s_cbranch_vccz .LBB142_3132
; %bb.3129:
	s_cmp_eq_u32 s0, 29
	s_cbranch_scc0 .LBB142_3131
; %bb.3130:
	global_load_b64 v[18:19], v[16:17], off
	s_mov_b32 s15, 0
	s_mov_b32 s21, -1
	s_mov_b32 s22, 0
	s_wait_loadcnt 0x0
	v_cvt_f64_u32_e32 v[28:29], v19
	v_cvt_f64_u32_e32 v[18:19], v18
	s_delay_alu instid0(VALU_DEP_2) | instskip(NEXT) | instid1(VALU_DEP_1)
	v_ldexp_f64 v[28:29], v[28:29], 32
	v_add_f64_e32 v[18:19], v[28:29], v[18:19]
	s_branch .LBB142_3133
.LBB142_3131:
	s_mov_b32 s15, -1
                                        ; implicit-def: $vgpr18_vgpr19
.LBB142_3132:
	s_mov_b32 s22, 0
.LBB142_3133:
	s_delay_alu instid0(SALU_CYCLE_1)
	s_and_b32 vcc_lo, exec_lo, s22
	s_cbranch_vccz .LBB142_3151
; %bb.3134:
	s_cmp_lt_i32 s0, 27
	s_cbranch_scc1 .LBB142_3137
; %bb.3135:
	s_cmp_gt_i32 s0, 27
	s_cbranch_scc0 .LBB142_3138
; %bb.3136:
	global_load_b32 v18, v[16:17], off
	s_mov_b32 s21, 0
	s_wait_loadcnt 0x0
	v_cvt_f64_u32_e32 v[18:19], v18
	s_branch .LBB142_3139
.LBB142_3137:
	s_mov_b32 s21, -1
                                        ; implicit-def: $vgpr18_vgpr19
	s_branch .LBB142_3142
.LBB142_3138:
	s_mov_b32 s21, -1
                                        ; implicit-def: $vgpr18_vgpr19
.LBB142_3139:
	s_delay_alu instid0(SALU_CYCLE_1)
	s_and_not1_b32 vcc_lo, exec_lo, s21
	s_cbranch_vccnz .LBB142_3141
; %bb.3140:
	global_load_u16 v18, v[16:17], off
	s_wait_loadcnt 0x0
	v_cvt_f64_u32_e32 v[18:19], v18
.LBB142_3141:
	s_mov_b32 s21, 0
.LBB142_3142:
	s_delay_alu instid0(SALU_CYCLE_1)
	s_and_not1_b32 vcc_lo, exec_lo, s21
	s_cbranch_vccnz .LBB142_3150
; %bb.3143:
	global_load_u8 v21, v[16:17], off
	s_mov_b32 s21, 0
	s_mov_b32 s22, exec_lo
	s_wait_loadcnt 0x0
	v_cmpx_lt_i16_e32 0x7f, v21
	s_xor_b32 s22, exec_lo, s22
	s_cbranch_execz .LBB142_3164
; %bb.3144:
	s_mov_b32 s21, -1
	s_mov_b32 s23, exec_lo
	v_cmpx_eq_u16_e32 0x80, v21
; %bb.3145:
	s_xor_b32 s21, exec_lo, -1
; %bb.3146:
	s_or_b32 exec_lo, exec_lo, s23
	s_delay_alu instid0(SALU_CYCLE_1)
	s_and_b32 s21, s21, exec_lo
	s_or_saveexec_b32 s22, s22
	v_mov_b64_e32 v[18:19], 0x7ff8000020000000
	s_xor_b32 exec_lo, exec_lo, s22
	s_cbranch_execnz .LBB142_3165
.LBB142_3147:
	s_or_b32 exec_lo, exec_lo, s22
	s_and_saveexec_b32 s22, s21
	s_cbranch_execz .LBB142_3149
.LBB142_3148:
	v_and_b32_e32 v18, 0xffff, v21
	s_delay_alu instid0(VALU_DEP_1) | instskip(SKIP_1) | instid1(VALU_DEP_2)
	v_and_b32_e32 v19, 7, v18
	v_bfe_u32 v27, v18, 3, 4
	v_clz_i32_u32_e32 v23, v19
	s_delay_alu instid0(VALU_DEP_2) | instskip(NEXT) | instid1(VALU_DEP_2)
	v_cmp_eq_u32_e32 vcc_lo, 0, v27
	v_min_u32_e32 v23, 32, v23
	s_delay_alu instid0(VALU_DEP_1) | instskip(NEXT) | instid1(VALU_DEP_1)
	v_subrev_nc_u32_e32 v25, 28, v23
	v_dual_lshlrev_b32 v18, v25, v18 :: v_dual_sub_nc_u32 v23, 29, v23
	s_delay_alu instid0(VALU_DEP_1) | instskip(NEXT) | instid1(VALU_DEP_2)
	v_dual_lshlrev_b32 v21, 24, v21 :: v_dual_bitop2_b32 v18, 7, v18 bitop3:0x40
	v_cndmask_b32_e32 v23, v27, v23, vcc_lo
	s_delay_alu instid0(VALU_DEP_2) | instskip(NEXT) | instid1(VALU_DEP_3)
	v_cndmask_b32_e32 v18, v19, v18, vcc_lo
	v_and_b32_e32 v19, 0x80000000, v21
	s_delay_alu instid0(VALU_DEP_3) | instskip(NEXT) | instid1(VALU_DEP_3)
	v_lshl_add_u32 v21, v23, 23, 0x3b800000
	v_lshlrev_b32_e32 v18, 20, v18
	s_delay_alu instid0(VALU_DEP_1) | instskip(NEXT) | instid1(VALU_DEP_1)
	v_or3_b32 v18, v19, v21, v18
	v_cvt_f64_f32_e32 v[18:19], v18
.LBB142_3149:
	s_or_b32 exec_lo, exec_lo, s22
.LBB142_3150:
	s_mov_b32 s21, -1
.LBB142_3151:
	s_mov_b32 s22, 0
.LBB142_3152:
	s_delay_alu instid0(SALU_CYCLE_1)
	s_and_b32 vcc_lo, exec_lo, s22
	s_cbranch_vccz .LBB142_3185
; %bb.3153:
	s_cmp_gt_i32 s0, 22
	s_cbranch_scc0 .LBB142_3163
; %bb.3154:
	s_cmp_lt_i32 s0, 24
	s_cbranch_scc1 .LBB142_3166
; %bb.3155:
	s_cmp_gt_i32 s0, 24
	s_cbranch_scc0 .LBB142_3167
; %bb.3156:
	global_load_u8 v21, v[16:17], off
	s_mov_b32 s21, exec_lo
	s_wait_loadcnt 0x0
	v_cmpx_lt_i16_e32 0x7f, v21
	s_xor_b32 s21, exec_lo, s21
	s_cbranch_execz .LBB142_3179
; %bb.3157:
	s_mov_b32 s20, -1
	s_mov_b32 s22, exec_lo
	v_cmpx_eq_u16_e32 0x80, v21
; %bb.3158:
	s_xor_b32 s20, exec_lo, -1
; %bb.3159:
	s_or_b32 exec_lo, exec_lo, s22
	s_delay_alu instid0(SALU_CYCLE_1)
	s_and_b32 s20, s20, exec_lo
	s_or_saveexec_b32 s21, s21
	v_mov_b64_e32 v[18:19], 0x7ff8000020000000
	s_xor_b32 exec_lo, exec_lo, s21
	s_cbranch_execnz .LBB142_3180
.LBB142_3160:
	s_or_b32 exec_lo, exec_lo, s21
	s_and_saveexec_b32 s21, s20
	s_cbranch_execz .LBB142_3162
.LBB142_3161:
	v_and_b32_e32 v18, 0xffff, v21
	s_delay_alu instid0(VALU_DEP_1) | instskip(SKIP_1) | instid1(VALU_DEP_2)
	v_and_b32_e32 v19, 3, v18
	v_bfe_u32 v27, v18, 2, 5
	v_clz_i32_u32_e32 v23, v19
	s_delay_alu instid0(VALU_DEP_2) | instskip(NEXT) | instid1(VALU_DEP_2)
	v_cmp_eq_u32_e32 vcc_lo, 0, v27
	v_min_u32_e32 v23, 32, v23
	s_delay_alu instid0(VALU_DEP_1) | instskip(NEXT) | instid1(VALU_DEP_1)
	v_subrev_nc_u32_e32 v25, 29, v23
	v_dual_lshlrev_b32 v18, v25, v18 :: v_dual_sub_nc_u32 v23, 30, v23
	s_delay_alu instid0(VALU_DEP_1) | instskip(NEXT) | instid1(VALU_DEP_2)
	v_dual_lshlrev_b32 v21, 24, v21 :: v_dual_bitop2_b32 v18, 3, v18 bitop3:0x40
	v_cndmask_b32_e32 v23, v27, v23, vcc_lo
	s_delay_alu instid0(VALU_DEP_2) | instskip(NEXT) | instid1(VALU_DEP_3)
	v_cndmask_b32_e32 v18, v19, v18, vcc_lo
	v_and_b32_e32 v19, 0x80000000, v21
	s_delay_alu instid0(VALU_DEP_3) | instskip(NEXT) | instid1(VALU_DEP_3)
	v_lshl_add_u32 v21, v23, 23, 0x37800000
	v_lshlrev_b32_e32 v18, 21, v18
	s_delay_alu instid0(VALU_DEP_1) | instskip(NEXT) | instid1(VALU_DEP_1)
	v_or3_b32 v18, v19, v21, v18
	v_cvt_f64_f32_e32 v[18:19], v18
.LBB142_3162:
	s_or_b32 exec_lo, exec_lo, s21
	s_mov_b32 s20, 0
	s_branch .LBB142_3168
.LBB142_3163:
	s_mov_b32 s20, -1
                                        ; implicit-def: $vgpr18_vgpr19
	s_branch .LBB142_3174
.LBB142_3164:
	s_or_saveexec_b32 s22, s22
	v_mov_b64_e32 v[18:19], 0x7ff8000020000000
	s_xor_b32 exec_lo, exec_lo, s22
	s_cbranch_execz .LBB142_3147
.LBB142_3165:
	v_cmp_ne_u16_e32 vcc_lo, 0, v21
	v_mov_b64_e32 v[18:19], 0
	s_and_not1_b32 s21, s21, exec_lo
	s_and_b32 s23, vcc_lo, exec_lo
	s_delay_alu instid0(SALU_CYCLE_1)
	s_or_b32 s21, s21, s23
	s_or_b32 exec_lo, exec_lo, s22
	s_and_saveexec_b32 s22, s21
	s_cbranch_execnz .LBB142_3148
	s_branch .LBB142_3149
.LBB142_3166:
	s_mov_b32 s20, -1
                                        ; implicit-def: $vgpr18_vgpr19
	s_branch .LBB142_3171
.LBB142_3167:
	s_mov_b32 s20, -1
                                        ; implicit-def: $vgpr18_vgpr19
.LBB142_3168:
	s_delay_alu instid0(SALU_CYCLE_1)
	s_and_b32 vcc_lo, exec_lo, s20
	s_cbranch_vccz .LBB142_3170
; %bb.3169:
	global_load_u8 v18, v[16:17], off
	s_wait_loadcnt 0x0
	v_lshlrev_b32_e32 v18, 24, v18
	s_delay_alu instid0(VALU_DEP_1) | instskip(NEXT) | instid1(VALU_DEP_1)
	v_and_b32_e32 v19, 0x7f000000, v18
	v_clz_i32_u32_e32 v21, v19
	v_add_nc_u32_e32 v25, 0x1000000, v19
	v_cmp_ne_u32_e32 vcc_lo, 0, v19
	s_delay_alu instid0(VALU_DEP_3) | instskip(NEXT) | instid1(VALU_DEP_1)
	v_min_u32_e32 v21, 32, v21
	v_sub_nc_u32_e64 v21, v21, 4 clamp
	s_delay_alu instid0(VALU_DEP_1) | instskip(NEXT) | instid1(VALU_DEP_1)
	v_dual_lshlrev_b32 v23, v21, v19 :: v_dual_lshlrev_b32 v21, 23, v21
	v_lshrrev_b32_e32 v23, 4, v23
	s_delay_alu instid0(VALU_DEP_1) | instskip(SKIP_1) | instid1(VALU_DEP_2)
	v_sub_nc_u32_e32 v21, v23, v21
	v_ashrrev_i32_e32 v23, 8, v25
	v_add_nc_u32_e32 v21, 0x3c000000, v21
	s_delay_alu instid0(VALU_DEP_1) | instskip(NEXT) | instid1(VALU_DEP_1)
	v_and_or_b32 v21, 0x7f800000, v23, v21
	v_cndmask_b32_e32 v19, 0, v21, vcc_lo
	s_delay_alu instid0(VALU_DEP_1) | instskip(NEXT) | instid1(VALU_DEP_1)
	v_and_or_b32 v18, 0x80000000, v18, v19
	v_cvt_f64_f32_e32 v[18:19], v18
.LBB142_3170:
	s_mov_b32 s20, 0
.LBB142_3171:
	s_delay_alu instid0(SALU_CYCLE_1)
	s_and_not1_b32 vcc_lo, exec_lo, s20
	s_cbranch_vccnz .LBB142_3173
; %bb.3172:
	global_load_u8 v18, v[16:17], off
	s_wait_loadcnt 0x0
	v_lshlrev_b32_e32 v19, 25, v18
	v_lshlrev_b16 v18, 8, v18
	s_delay_alu instid0(VALU_DEP_1) | instskip(SKIP_1) | instid1(VALU_DEP_2)
	v_and_or_b32 v23, 0x7f00, v18, 0.5
	v_bfe_i32 v18, v18, 0, 16
	v_add_f32_e32 v23, -0.5, v23
	v_lshrrev_b32_e32 v21, 4, v19
	v_cmp_gt_u32_e32 vcc_lo, 0x8000000, v19
	s_delay_alu instid0(VALU_DEP_2) | instskip(NEXT) | instid1(VALU_DEP_1)
	v_or_b32_e32 v21, 0x70000000, v21
	v_mul_f32_e32 v21, 0x7800000, v21
	s_delay_alu instid0(VALU_DEP_1) | instskip(NEXT) | instid1(VALU_DEP_1)
	v_cndmask_b32_e32 v19, v21, v23, vcc_lo
	v_and_or_b32 v18, 0x80000000, v18, v19
	s_delay_alu instid0(VALU_DEP_1)
	v_cvt_f64_f32_e32 v[18:19], v18
.LBB142_3173:
	s_mov_b32 s20, 0
	s_mov_b32 s21, -1
.LBB142_3174:
	s_and_not1_b32 vcc_lo, exec_lo, s20
	s_mov_b32 s20, 0
	s_cbranch_vccnz .LBB142_3185
; %bb.3175:
	s_cmp_gt_i32 s0, 14
	s_cbranch_scc0 .LBB142_3178
; %bb.3176:
	s_cmp_eq_u32 s0, 15
	s_cbranch_scc0 .LBB142_3181
; %bb.3177:
	global_load_u16 v18, v[16:17], off
	s_mov_b32 s15, 0
	s_mov_b32 s21, -1
	s_wait_loadcnt 0x0
	v_lshlrev_b32_e32 v18, 16, v18
	s_delay_alu instid0(VALU_DEP_1)
	v_cvt_f64_f32_e32 v[18:19], v18
	s_branch .LBB142_3183
.LBB142_3178:
	s_mov_b32 s20, -1
	s_branch .LBB142_3182
.LBB142_3179:
	s_or_saveexec_b32 s21, s21
	v_mov_b64_e32 v[18:19], 0x7ff8000020000000
	s_xor_b32 exec_lo, exec_lo, s21
	s_cbranch_execz .LBB142_3160
.LBB142_3180:
	v_cmp_ne_u16_e32 vcc_lo, 0, v21
	v_mov_b64_e32 v[18:19], 0
	s_and_not1_b32 s20, s20, exec_lo
	s_and_b32 s22, vcc_lo, exec_lo
	s_delay_alu instid0(SALU_CYCLE_1)
	s_or_b32 s20, s20, s22
	s_or_b32 exec_lo, exec_lo, s21
	s_and_saveexec_b32 s21, s20
	s_cbranch_execnz .LBB142_3161
	s_branch .LBB142_3162
.LBB142_3181:
	s_mov_b32 s15, -1
.LBB142_3182:
                                        ; implicit-def: $vgpr18_vgpr19
.LBB142_3183:
	s_and_b32 vcc_lo, exec_lo, s20
	s_mov_b32 s20, 0
	s_cbranch_vccz .LBB142_3185
; %bb.3184:
	s_cmp_lg_u32 s0, 11
	s_mov_b32 s20, -1
	s_cselect_b32 s15, -1, 0
.LBB142_3185:
	s_delay_alu instid0(SALU_CYCLE_1)
	s_and_b32 vcc_lo, exec_lo, s15
	s_cbranch_vccnz .LBB142_3250
; %bb.3186:
	s_and_not1_b32 vcc_lo, exec_lo, s20
	s_cbranch_vccnz .LBB142_3188
.LBB142_3187:
	global_load_u8 v18, v[16:17], off
	s_mov_b32 s21, -1
	s_wait_loadcnt 0x0
	v_cmp_ne_u16_e32 vcc_lo, 0, v18
	v_mov_b32_e32 v18, 0
	v_cndmask_b32_e64 v19, 0, 0x3ff00000, vcc_lo
.LBB142_3188:
	s_mov_b32 s15, 0
.LBB142_3189:
	s_delay_alu instid0(SALU_CYCLE_1)
	s_and_b32 vcc_lo, exec_lo, s15
	s_cbranch_vccz .LBB142_3238
; %bb.3190:
	s_cmp_lt_i32 s0, 5
	s_cbranch_scc1 .LBB142_3195
; %bb.3191:
	s_cmp_lt_i32 s0, 8
	s_cbranch_scc1 .LBB142_3196
	;; [unrolled: 3-line block ×3, first 2 shown]
; %bb.3193:
	s_cmp_gt_i32 s0, 9
	s_cbranch_scc0 .LBB142_3198
; %bb.3194:
	global_load_b64 v[18:19], v[16:17], off
	s_mov_b32 s15, 0
	s_branch .LBB142_3199
.LBB142_3195:
	s_mov_b32 s15, -1
                                        ; implicit-def: $vgpr18_vgpr19
	s_branch .LBB142_3217
.LBB142_3196:
	s_mov_b32 s15, -1
                                        ; implicit-def: $vgpr18_vgpr19
	s_branch .LBB142_3205
.LBB142_3197:
	s_mov_b32 s15, -1
                                        ; implicit-def: $vgpr18_vgpr19
	s_branch .LBB142_3202
.LBB142_3198:
	s_mov_b32 s15, -1
                                        ; implicit-def: $vgpr18_vgpr19
.LBB142_3199:
	s_delay_alu instid0(SALU_CYCLE_1)
	s_and_not1_b32 vcc_lo, exec_lo, s15
	s_cbranch_vccnz .LBB142_3201
; %bb.3200:
	s_wait_loadcnt 0x0
	global_load_b32 v18, v[16:17], off
	s_wait_loadcnt 0x0
	v_cvt_f64_f32_e32 v[18:19], v18
.LBB142_3201:
	s_mov_b32 s15, 0
.LBB142_3202:
	s_delay_alu instid0(SALU_CYCLE_1)
	s_and_not1_b32 vcc_lo, exec_lo, s15
	s_cbranch_vccnz .LBB142_3204
; %bb.3203:
	s_wait_loadcnt 0x0
	global_load_b32 v18, v[16:17], off
	s_wait_loadcnt 0x0
	v_cvt_f32_f16_e32 v18, v18
	s_delay_alu instid0(VALU_DEP_1)
	v_cvt_f64_f32_e32 v[18:19], v18
.LBB142_3204:
	s_mov_b32 s15, 0
.LBB142_3205:
	s_delay_alu instid0(SALU_CYCLE_1)
	s_and_not1_b32 vcc_lo, exec_lo, s15
	s_cbranch_vccnz .LBB142_3216
; %bb.3206:
	s_cmp_lt_i32 s0, 6
	s_cbranch_scc1 .LBB142_3209
; %bb.3207:
	s_cmp_gt_i32 s0, 6
	s_cbranch_scc0 .LBB142_3210
; %bb.3208:
	s_wait_loadcnt 0x0
	global_load_b64 v[18:19], v[16:17], off
	s_mov_b32 s15, 0
	s_branch .LBB142_3211
.LBB142_3209:
	s_mov_b32 s15, -1
                                        ; implicit-def: $vgpr18_vgpr19
	s_branch .LBB142_3214
.LBB142_3210:
	s_mov_b32 s15, -1
                                        ; implicit-def: $vgpr18_vgpr19
.LBB142_3211:
	s_delay_alu instid0(SALU_CYCLE_1)
	s_and_not1_b32 vcc_lo, exec_lo, s15
	s_cbranch_vccnz .LBB142_3213
; %bb.3212:
	s_wait_loadcnt 0x0
	global_load_b32 v18, v[16:17], off
	s_wait_loadcnt 0x0
	v_cvt_f64_f32_e32 v[18:19], v18
.LBB142_3213:
	s_mov_b32 s15, 0
.LBB142_3214:
	s_delay_alu instid0(SALU_CYCLE_1)
	s_and_not1_b32 vcc_lo, exec_lo, s15
	s_cbranch_vccnz .LBB142_3216
; %bb.3215:
	s_wait_loadcnt 0x0
	global_load_u16 v18, v[16:17], off
	s_wait_loadcnt 0x0
	v_cvt_f32_f16_e32 v18, v18
	s_delay_alu instid0(VALU_DEP_1)
	v_cvt_f64_f32_e32 v[18:19], v18
.LBB142_3216:
	s_mov_b32 s15, 0
.LBB142_3217:
	s_delay_alu instid0(SALU_CYCLE_1)
	s_and_not1_b32 vcc_lo, exec_lo, s15
	s_cbranch_vccnz .LBB142_3237
; %bb.3218:
	s_cmp_lt_i32 s0, 2
	s_cbranch_scc1 .LBB142_3222
; %bb.3219:
	s_cmp_lt_i32 s0, 3
	s_cbranch_scc1 .LBB142_3223
; %bb.3220:
	s_cmp_gt_i32 s0, 3
	s_cbranch_scc0 .LBB142_3224
; %bb.3221:
	s_wait_loadcnt 0x0
	global_load_b64 v[18:19], v[16:17], off
	s_mov_b32 s15, 0
	s_wait_loadcnt 0x0
	v_cvt_f64_i32_e32 v[28:29], v19
	v_cvt_f64_u32_e32 v[18:19], v18
	s_delay_alu instid0(VALU_DEP_2) | instskip(NEXT) | instid1(VALU_DEP_1)
	v_ldexp_f64 v[28:29], v[28:29], 32
	v_add_f64_e32 v[18:19], v[28:29], v[18:19]
	s_branch .LBB142_3225
.LBB142_3222:
	s_mov_b32 s15, -1
                                        ; implicit-def: $vgpr18_vgpr19
	s_branch .LBB142_3231
.LBB142_3223:
	s_mov_b32 s15, -1
                                        ; implicit-def: $vgpr18_vgpr19
	s_branch .LBB142_3228
.LBB142_3224:
	s_mov_b32 s15, -1
                                        ; implicit-def: $vgpr18_vgpr19
.LBB142_3225:
	s_delay_alu instid0(SALU_CYCLE_1)
	s_and_not1_b32 vcc_lo, exec_lo, s15
	s_cbranch_vccnz .LBB142_3227
; %bb.3226:
	s_wait_loadcnt 0x0
	global_load_b32 v18, v[16:17], off
	s_wait_loadcnt 0x0
	v_cvt_f64_i32_e32 v[18:19], v18
.LBB142_3227:
	s_mov_b32 s15, 0
.LBB142_3228:
	s_delay_alu instid0(SALU_CYCLE_1)
	s_and_not1_b32 vcc_lo, exec_lo, s15
	s_cbranch_vccnz .LBB142_3230
; %bb.3229:
	s_wait_loadcnt 0x0
	global_load_i16 v18, v[16:17], off
	s_wait_loadcnt 0x0
	v_cvt_f64_i32_e32 v[18:19], v18
.LBB142_3230:
	s_mov_b32 s15, 0
.LBB142_3231:
	s_delay_alu instid0(SALU_CYCLE_1)
	s_and_not1_b32 vcc_lo, exec_lo, s15
	s_cbranch_vccnz .LBB142_3237
; %bb.3232:
	s_cmp_gt_i32 s0, 0
	s_mov_b32 s15, 0
	s_cbranch_scc0 .LBB142_3234
; %bb.3233:
	s_wait_loadcnt 0x0
	global_load_i8 v18, v[16:17], off
	s_wait_loadcnt 0x0
	v_cvt_f64_i32_e32 v[18:19], v18
	s_branch .LBB142_3235
.LBB142_3234:
	s_mov_b32 s15, -1
                                        ; implicit-def: $vgpr18_vgpr19
.LBB142_3235:
	s_delay_alu instid0(SALU_CYCLE_1)
	s_and_not1_b32 vcc_lo, exec_lo, s15
	s_cbranch_vccnz .LBB142_3237
; %bb.3236:
	global_load_u8 v16, v[16:17], off
	s_wait_loadcnt 0x0
	v_cvt_f64_u32_e32 v[18:19], v16
.LBB142_3237:
	s_mov_b32 s21, -1
.LBB142_3238:
	s_delay_alu instid0(SALU_CYCLE_1)
	s_and_not1_b32 vcc_lo, exec_lo, s21
	s_cbranch_vccnz .LBB142_4065
; %bb.3239:
	s_wait_xcnt 0x0
	v_add_nc_u32_e32 v16, s1, v20
	s_cmp_lt_i32 s17, 11
	s_delay_alu instid0(VALU_DEP_1) | instskip(NEXT) | instid1(VALU_DEP_1)
	v_ashrrev_i32_e32 v17, 31, v16
	v_add_nc_u64_e32 v[20:21], s[6:7], v[16:17]
	s_cbranch_scc1 .LBB142_3246
; %bb.3240:
	s_and_b32 s1, 0xffff, s17
	s_mov_b32 s7, 0
	s_cmp_gt_i32 s1, 25
	s_cbranch_scc0 .LBB142_3247
; %bb.3241:
	s_cmp_gt_i32 s1, 28
	s_cbranch_scc0 .LBB142_3248
; %bb.3242:
	;; [unrolled: 3-line block ×4, first 2 shown]
	s_cmp_eq_u32 s1, 46
	s_mov_b32 s20, 0
	s_cbranch_scc0 .LBB142_3252
; %bb.3245:
	global_load_b32 v16, v[20:21], off
	s_mov_b32 s6, 0
	s_mov_b32 s15, -1
	s_wait_loadcnt 0x0
	v_lshlrev_b32_e32 v16, 16, v16
	s_delay_alu instid0(VALU_DEP_1)
	v_cvt_f64_f32_e32 v[16:17], v16
	s_branch .LBB142_3254
.LBB142_3246:
	s_mov_b32 s1, -1
	s_mov_b32 s15, 0
                                        ; implicit-def: $vgpr16_vgpr17
	s_branch .LBB142_3320
.LBB142_3247:
	s_mov_b32 s20, -1
	s_mov_b32 s15, 0
	s_mov_b32 s6, 0
                                        ; implicit-def: $vgpr16_vgpr17
	s_branch .LBB142_3283
.LBB142_3248:
	s_mov_b32 s20, -1
	s_mov_b32 s15, 0
	s_mov_b32 s6, 0
                                        ; implicit-def: $vgpr16_vgpr17
	s_branch .LBB142_3264
.LBB142_3249:
	s_mov_b32 s20, -1
	s_mov_b32 s15, 0
	s_mov_b32 s6, 0
                                        ; implicit-def: $vgpr16_vgpr17
	s_branch .LBB142_3259
.LBB142_3250:
	s_or_b32 s16, s16, exec_lo
	s_trap 2
	s_cbranch_execz .LBB142_3187
	s_branch .LBB142_3188
.LBB142_3251:
	s_mov_b32 s20, -1
	s_mov_b32 s15, 0
	s_mov_b32 s6, 0
	s_branch .LBB142_3253
.LBB142_3252:
	s_mov_b32 s6, -1
	s_mov_b32 s15, 0
.LBB142_3253:
                                        ; implicit-def: $vgpr16_vgpr17
.LBB142_3254:
	s_and_b32 vcc_lo, exec_lo, s20
	s_cbranch_vccz .LBB142_3258
; %bb.3255:
	s_cmp_eq_u32 s1, 44
	s_cbranch_scc0 .LBB142_3257
; %bb.3256:
	global_load_u8 v23, v[20:21], off
	s_mov_b32 s6, 0
	s_mov_b32 s15, -1
	s_wait_loadcnt 0x0
	v_cmp_ne_u32_e32 vcc_lo, 0xff, v23
	v_lshlrev_b32_e32 v16, 23, v23
	s_delay_alu instid0(VALU_DEP_1) | instskip(NEXT) | instid1(VALU_DEP_1)
	v_cvt_f64_f32_e32 v[16:17], v16
	v_cndmask_b32_e32 v16, 0x20000000, v16, vcc_lo
	s_delay_alu instid0(VALU_DEP_2) | instskip(SKIP_1) | instid1(VALU_DEP_2)
	v_cndmask_b32_e32 v17, 0x7ff80000, v17, vcc_lo
	v_cmp_ne_u32_e32 vcc_lo, 0, v23
	v_cndmask_b32_e32 v17, 0x38000000, v17, vcc_lo
	s_delay_alu instid0(VALU_DEP_4)
	v_cndmask_b32_e32 v16, 0, v16, vcc_lo
	s_branch .LBB142_3258
.LBB142_3257:
	s_mov_b32 s6, -1
                                        ; implicit-def: $vgpr16_vgpr17
.LBB142_3258:
	s_mov_b32 s20, 0
.LBB142_3259:
	s_delay_alu instid0(SALU_CYCLE_1)
	s_and_b32 vcc_lo, exec_lo, s20
	s_cbranch_vccz .LBB142_3263
; %bb.3260:
	s_cmp_eq_u32 s1, 29
	s_cbranch_scc0 .LBB142_3262
; %bb.3261:
	global_load_b64 v[16:17], v[20:21], off
	s_mov_b32 s6, 0
	s_mov_b32 s15, -1
	s_mov_b32 s20, 0
	s_wait_loadcnt 0x0
	v_cvt_f64_u32_e32 v[28:29], v17
	v_cvt_f64_u32_e32 v[16:17], v16
	s_delay_alu instid0(VALU_DEP_2) | instskip(NEXT) | instid1(VALU_DEP_1)
	v_ldexp_f64 v[28:29], v[28:29], 32
	v_add_f64_e32 v[16:17], v[28:29], v[16:17]
	s_branch .LBB142_3264
.LBB142_3262:
	s_mov_b32 s6, -1
                                        ; implicit-def: $vgpr16_vgpr17
.LBB142_3263:
	s_mov_b32 s20, 0
.LBB142_3264:
	s_delay_alu instid0(SALU_CYCLE_1)
	s_and_b32 vcc_lo, exec_lo, s20
	s_cbranch_vccz .LBB142_3282
; %bb.3265:
	s_cmp_lt_i32 s1, 27
	s_cbranch_scc1 .LBB142_3268
; %bb.3266:
	s_cmp_gt_i32 s1, 27
	s_cbranch_scc0 .LBB142_3269
; %bb.3267:
	global_load_b32 v16, v[20:21], off
	s_mov_b32 s15, 0
	s_wait_loadcnt 0x0
	v_cvt_f64_u32_e32 v[16:17], v16
	s_branch .LBB142_3270
.LBB142_3268:
	s_mov_b32 s15, -1
                                        ; implicit-def: $vgpr16_vgpr17
	s_branch .LBB142_3273
.LBB142_3269:
	s_mov_b32 s15, -1
                                        ; implicit-def: $vgpr16_vgpr17
.LBB142_3270:
	s_delay_alu instid0(SALU_CYCLE_1)
	s_and_not1_b32 vcc_lo, exec_lo, s15
	s_cbranch_vccnz .LBB142_3272
; %bb.3271:
	global_load_u16 v16, v[20:21], off
	s_wait_loadcnt 0x0
	v_cvt_f64_u32_e32 v[16:17], v16
.LBB142_3272:
	s_mov_b32 s15, 0
.LBB142_3273:
	s_delay_alu instid0(SALU_CYCLE_1)
	s_and_not1_b32 vcc_lo, exec_lo, s15
	s_cbranch_vccnz .LBB142_3281
; %bb.3274:
	global_load_u8 v23, v[20:21], off
	s_mov_b32 s15, 0
	s_mov_b32 s20, exec_lo
	s_wait_loadcnt 0x0
	v_cmpx_lt_i16_e32 0x7f, v23
	s_xor_b32 s20, exec_lo, s20
	s_cbranch_execz .LBB142_3295
; %bb.3275:
	s_mov_b32 s15, -1
	s_mov_b32 s21, exec_lo
	v_cmpx_eq_u16_e32 0x80, v23
; %bb.3276:
	s_xor_b32 s15, exec_lo, -1
; %bb.3277:
	s_or_b32 exec_lo, exec_lo, s21
	s_delay_alu instid0(SALU_CYCLE_1)
	s_and_b32 s15, s15, exec_lo
	s_or_saveexec_b32 s20, s20
	v_mov_b64_e32 v[16:17], 0x7ff8000020000000
	s_xor_b32 exec_lo, exec_lo, s20
	s_cbranch_execnz .LBB142_3296
.LBB142_3278:
	s_or_b32 exec_lo, exec_lo, s20
	s_and_saveexec_b32 s20, s15
	s_cbranch_execz .LBB142_3280
.LBB142_3279:
	v_and_b32_e32 v16, 0xffff, v23
	s_delay_alu instid0(VALU_DEP_1) | instskip(SKIP_1) | instid1(VALU_DEP_2)
	v_and_b32_e32 v17, 7, v16
	v_bfe_u32 v28, v16, 3, 4
	v_clz_i32_u32_e32 v25, v17
	s_delay_alu instid0(VALU_DEP_2) | instskip(NEXT) | instid1(VALU_DEP_2)
	v_cmp_eq_u32_e32 vcc_lo, 0, v28
	v_min_u32_e32 v25, 32, v25
	s_delay_alu instid0(VALU_DEP_1) | instskip(NEXT) | instid1(VALU_DEP_1)
	v_subrev_nc_u32_e32 v27, 28, v25
	v_dual_lshlrev_b32 v16, v27, v16 :: v_dual_sub_nc_u32 v25, 29, v25
	s_delay_alu instid0(VALU_DEP_1) | instskip(NEXT) | instid1(VALU_DEP_1)
	v_dual_lshlrev_b32 v23, 24, v23 :: v_dual_bitop2_b32 v16, 7, v16 bitop3:0x40
	v_dual_cndmask_b32 v25, v28, v25 :: v_dual_cndmask_b32 v16, v17, v16
	s_delay_alu instid0(VALU_DEP_2) | instskip(NEXT) | instid1(VALU_DEP_2)
	v_and_b32_e32 v17, 0x80000000, v23
	v_lshl_add_u32 v23, v25, 23, 0x3b800000
	s_delay_alu instid0(VALU_DEP_3) | instskip(NEXT) | instid1(VALU_DEP_1)
	v_lshlrev_b32_e32 v16, 20, v16
	v_or3_b32 v16, v17, v23, v16
	s_delay_alu instid0(VALU_DEP_1)
	v_cvt_f64_f32_e32 v[16:17], v16
.LBB142_3280:
	s_or_b32 exec_lo, exec_lo, s20
.LBB142_3281:
	s_mov_b32 s15, -1
.LBB142_3282:
	s_mov_b32 s20, 0
.LBB142_3283:
	s_delay_alu instid0(SALU_CYCLE_1)
	s_and_b32 vcc_lo, exec_lo, s20
	s_cbranch_vccz .LBB142_3316
; %bb.3284:
	s_cmp_gt_i32 s1, 22
	s_cbranch_scc0 .LBB142_3294
; %bb.3285:
	s_cmp_lt_i32 s1, 24
	s_cbranch_scc1 .LBB142_3297
; %bb.3286:
	s_cmp_gt_i32 s1, 24
	s_cbranch_scc0 .LBB142_3298
; %bb.3287:
	global_load_u8 v23, v[20:21], off
	s_mov_b32 s15, exec_lo
	s_wait_loadcnt 0x0
	v_cmpx_lt_i16_e32 0x7f, v23
	s_xor_b32 s15, exec_lo, s15
	s_cbranch_execz .LBB142_3310
; %bb.3288:
	s_mov_b32 s7, -1
	s_mov_b32 s20, exec_lo
	v_cmpx_eq_u16_e32 0x80, v23
; %bb.3289:
	s_xor_b32 s7, exec_lo, -1
; %bb.3290:
	s_or_b32 exec_lo, exec_lo, s20
	s_delay_alu instid0(SALU_CYCLE_1)
	s_and_b32 s7, s7, exec_lo
	s_or_saveexec_b32 s15, s15
	v_mov_b64_e32 v[16:17], 0x7ff8000020000000
	s_xor_b32 exec_lo, exec_lo, s15
	s_cbranch_execnz .LBB142_3311
.LBB142_3291:
	s_or_b32 exec_lo, exec_lo, s15
	s_and_saveexec_b32 s15, s7
	s_cbranch_execz .LBB142_3293
.LBB142_3292:
	v_and_b32_e32 v16, 0xffff, v23
	s_delay_alu instid0(VALU_DEP_1) | instskip(SKIP_1) | instid1(VALU_DEP_2)
	v_and_b32_e32 v17, 3, v16
	v_bfe_u32 v28, v16, 2, 5
	v_clz_i32_u32_e32 v25, v17
	s_delay_alu instid0(VALU_DEP_2) | instskip(NEXT) | instid1(VALU_DEP_2)
	v_cmp_eq_u32_e32 vcc_lo, 0, v28
	v_min_u32_e32 v25, 32, v25
	s_delay_alu instid0(VALU_DEP_1) | instskip(NEXT) | instid1(VALU_DEP_1)
	v_subrev_nc_u32_e32 v27, 29, v25
	v_dual_lshlrev_b32 v16, v27, v16 :: v_dual_sub_nc_u32 v25, 30, v25
	s_delay_alu instid0(VALU_DEP_1) | instskip(NEXT) | instid1(VALU_DEP_1)
	v_dual_lshlrev_b32 v23, 24, v23 :: v_dual_bitop2_b32 v16, 3, v16 bitop3:0x40
	v_dual_cndmask_b32 v25, v28, v25 :: v_dual_cndmask_b32 v16, v17, v16
	s_delay_alu instid0(VALU_DEP_2) | instskip(NEXT) | instid1(VALU_DEP_2)
	v_and_b32_e32 v17, 0x80000000, v23
	v_lshl_add_u32 v23, v25, 23, 0x37800000
	s_delay_alu instid0(VALU_DEP_3) | instskip(NEXT) | instid1(VALU_DEP_1)
	v_lshlrev_b32_e32 v16, 21, v16
	v_or3_b32 v16, v17, v23, v16
	s_delay_alu instid0(VALU_DEP_1)
	v_cvt_f64_f32_e32 v[16:17], v16
.LBB142_3293:
	s_or_b32 exec_lo, exec_lo, s15
	s_mov_b32 s7, 0
	s_branch .LBB142_3299
.LBB142_3294:
	s_mov_b32 s7, -1
                                        ; implicit-def: $vgpr16_vgpr17
	s_branch .LBB142_3305
.LBB142_3295:
	s_or_saveexec_b32 s20, s20
	v_mov_b64_e32 v[16:17], 0x7ff8000020000000
	s_xor_b32 exec_lo, exec_lo, s20
	s_cbranch_execz .LBB142_3278
.LBB142_3296:
	v_cmp_ne_u16_e32 vcc_lo, 0, v23
	v_mov_b64_e32 v[16:17], 0
	s_and_not1_b32 s15, s15, exec_lo
	s_and_b32 s21, vcc_lo, exec_lo
	s_delay_alu instid0(SALU_CYCLE_1)
	s_or_b32 s15, s15, s21
	s_or_b32 exec_lo, exec_lo, s20
	s_and_saveexec_b32 s20, s15
	s_cbranch_execnz .LBB142_3279
	s_branch .LBB142_3280
.LBB142_3297:
	s_mov_b32 s7, -1
                                        ; implicit-def: $vgpr16_vgpr17
	s_branch .LBB142_3302
.LBB142_3298:
	s_mov_b32 s7, -1
                                        ; implicit-def: $vgpr16_vgpr17
.LBB142_3299:
	s_delay_alu instid0(SALU_CYCLE_1)
	s_and_b32 vcc_lo, exec_lo, s7
	s_cbranch_vccz .LBB142_3301
; %bb.3300:
	global_load_u8 v16, v[20:21], off
	s_wait_loadcnt 0x0
	v_lshlrev_b32_e32 v16, 24, v16
	s_delay_alu instid0(VALU_DEP_1) | instskip(NEXT) | instid1(VALU_DEP_1)
	v_and_b32_e32 v17, 0x7f000000, v16
	v_clz_i32_u32_e32 v23, v17
	v_add_nc_u32_e32 v27, 0x1000000, v17
	v_cmp_ne_u32_e32 vcc_lo, 0, v17
	s_delay_alu instid0(VALU_DEP_3) | instskip(NEXT) | instid1(VALU_DEP_1)
	v_min_u32_e32 v23, 32, v23
	v_sub_nc_u32_e64 v23, v23, 4 clamp
	s_delay_alu instid0(VALU_DEP_1) | instskip(NEXT) | instid1(VALU_DEP_1)
	v_dual_lshlrev_b32 v25, v23, v17 :: v_dual_lshlrev_b32 v23, 23, v23
	v_lshrrev_b32_e32 v25, 4, v25
	s_delay_alu instid0(VALU_DEP_1) | instskip(SKIP_1) | instid1(VALU_DEP_2)
	v_sub_nc_u32_e32 v23, v25, v23
	v_ashrrev_i32_e32 v25, 8, v27
	v_add_nc_u32_e32 v23, 0x3c000000, v23
	s_delay_alu instid0(VALU_DEP_1) | instskip(NEXT) | instid1(VALU_DEP_1)
	v_and_or_b32 v23, 0x7f800000, v25, v23
	v_cndmask_b32_e32 v17, 0, v23, vcc_lo
	s_delay_alu instid0(VALU_DEP_1) | instskip(NEXT) | instid1(VALU_DEP_1)
	v_and_or_b32 v16, 0x80000000, v16, v17
	v_cvt_f64_f32_e32 v[16:17], v16
.LBB142_3301:
	s_mov_b32 s7, 0
.LBB142_3302:
	s_delay_alu instid0(SALU_CYCLE_1)
	s_and_not1_b32 vcc_lo, exec_lo, s7
	s_cbranch_vccnz .LBB142_3304
; %bb.3303:
	global_load_u8 v16, v[20:21], off
	s_wait_loadcnt 0x0
	v_lshlrev_b32_e32 v17, 25, v16
	v_lshlrev_b16 v16, 8, v16
	s_delay_alu instid0(VALU_DEP_1) | instskip(SKIP_1) | instid1(VALU_DEP_2)
	v_and_or_b32 v25, 0x7f00, v16, 0.5
	v_bfe_i32 v16, v16, 0, 16
	v_add_f32_e32 v25, -0.5, v25
	v_lshrrev_b32_e32 v23, 4, v17
	v_cmp_gt_u32_e32 vcc_lo, 0x8000000, v17
	s_delay_alu instid0(VALU_DEP_2) | instskip(NEXT) | instid1(VALU_DEP_1)
	v_or_b32_e32 v23, 0x70000000, v23
	v_mul_f32_e32 v23, 0x7800000, v23
	s_delay_alu instid0(VALU_DEP_1) | instskip(NEXT) | instid1(VALU_DEP_1)
	v_cndmask_b32_e32 v17, v23, v25, vcc_lo
	v_and_or_b32 v16, 0x80000000, v16, v17
	s_delay_alu instid0(VALU_DEP_1)
	v_cvt_f64_f32_e32 v[16:17], v16
.LBB142_3304:
	s_mov_b32 s7, 0
	s_mov_b32 s15, -1
.LBB142_3305:
	s_and_not1_b32 vcc_lo, exec_lo, s7
	s_mov_b32 s7, 0
	s_cbranch_vccnz .LBB142_3316
; %bb.3306:
	s_cmp_gt_i32 s1, 14
	s_cbranch_scc0 .LBB142_3309
; %bb.3307:
	s_cmp_eq_u32 s1, 15
	s_cbranch_scc0 .LBB142_3312
; %bb.3308:
	global_load_u16 v16, v[20:21], off
	s_mov_b32 s6, 0
	s_mov_b32 s15, -1
	s_wait_loadcnt 0x0
	v_lshlrev_b32_e32 v16, 16, v16
	s_delay_alu instid0(VALU_DEP_1)
	v_cvt_f64_f32_e32 v[16:17], v16
	s_branch .LBB142_3314
.LBB142_3309:
	s_mov_b32 s7, -1
	s_branch .LBB142_3313
.LBB142_3310:
	s_or_saveexec_b32 s15, s15
	v_mov_b64_e32 v[16:17], 0x7ff8000020000000
	s_xor_b32 exec_lo, exec_lo, s15
	s_cbranch_execz .LBB142_3291
.LBB142_3311:
	v_cmp_ne_u16_e32 vcc_lo, 0, v23
	v_mov_b64_e32 v[16:17], 0
	s_and_not1_b32 s7, s7, exec_lo
	s_and_b32 s20, vcc_lo, exec_lo
	s_delay_alu instid0(SALU_CYCLE_1)
	s_or_b32 s7, s7, s20
	s_or_b32 exec_lo, exec_lo, s15
	s_and_saveexec_b32 s15, s7
	s_cbranch_execnz .LBB142_3292
	s_branch .LBB142_3293
.LBB142_3312:
	s_mov_b32 s6, -1
.LBB142_3313:
                                        ; implicit-def: $vgpr16_vgpr17
.LBB142_3314:
	s_and_b32 vcc_lo, exec_lo, s7
	s_mov_b32 s7, 0
	s_cbranch_vccz .LBB142_3316
; %bb.3315:
	s_cmp_lg_u32 s1, 11
	s_mov_b32 s7, -1
	s_cselect_b32 s6, -1, 0
.LBB142_3316:
	s_delay_alu instid0(SALU_CYCLE_1)
	s_and_b32 vcc_lo, exec_lo, s6
	s_cbranch_vccnz .LBB142_3381
; %bb.3317:
	s_and_not1_b32 vcc_lo, exec_lo, s7
	s_cbranch_vccnz .LBB142_3319
.LBB142_3318:
	global_load_u8 v16, v[20:21], off
	s_mov_b32 s15, -1
	s_wait_loadcnt 0x0
	v_cmp_ne_u16_e32 vcc_lo, 0, v16
	v_mov_b32_e32 v16, 0
	v_cndmask_b32_e64 v17, 0, 0x3ff00000, vcc_lo
.LBB142_3319:
	s_mov_b32 s1, 0
.LBB142_3320:
	s_delay_alu instid0(SALU_CYCLE_1)
	s_and_b32 vcc_lo, exec_lo, s1
	s_cbranch_vccz .LBB142_3369
; %bb.3321:
	s_and_b32 s1, 0xffff, s17
	s_delay_alu instid0(SALU_CYCLE_1)
	s_cmp_lt_i32 s1, 5
	s_cbranch_scc1 .LBB142_3326
; %bb.3322:
	s_cmp_lt_i32 s1, 8
	s_cbranch_scc1 .LBB142_3327
; %bb.3323:
	;; [unrolled: 3-line block ×3, first 2 shown]
	s_cmp_gt_i32 s1, 9
	s_cbranch_scc0 .LBB142_3329
; %bb.3325:
	global_load_b64 v[16:17], v[20:21], off
	s_mov_b32 s6, 0
	s_branch .LBB142_3330
.LBB142_3326:
	s_mov_b32 s6, -1
                                        ; implicit-def: $vgpr16_vgpr17
	s_branch .LBB142_3348
.LBB142_3327:
	s_mov_b32 s6, -1
                                        ; implicit-def: $vgpr16_vgpr17
	s_branch .LBB142_3336
.LBB142_3328:
	s_mov_b32 s6, -1
                                        ; implicit-def: $vgpr16_vgpr17
	s_branch .LBB142_3333
.LBB142_3329:
	s_mov_b32 s6, -1
                                        ; implicit-def: $vgpr16_vgpr17
.LBB142_3330:
	s_delay_alu instid0(SALU_CYCLE_1)
	s_and_not1_b32 vcc_lo, exec_lo, s6
	s_cbranch_vccnz .LBB142_3332
; %bb.3331:
	s_wait_loadcnt 0x0
	global_load_b32 v16, v[20:21], off
	s_wait_loadcnt 0x0
	v_cvt_f64_f32_e32 v[16:17], v16
.LBB142_3332:
	s_mov_b32 s6, 0
.LBB142_3333:
	s_delay_alu instid0(SALU_CYCLE_1)
	s_and_not1_b32 vcc_lo, exec_lo, s6
	s_cbranch_vccnz .LBB142_3335
; %bb.3334:
	s_wait_loadcnt 0x0
	global_load_b32 v16, v[20:21], off
	s_wait_loadcnt 0x0
	v_cvt_f32_f16_e32 v16, v16
	s_delay_alu instid0(VALU_DEP_1)
	v_cvt_f64_f32_e32 v[16:17], v16
.LBB142_3335:
	s_mov_b32 s6, 0
.LBB142_3336:
	s_delay_alu instid0(SALU_CYCLE_1)
	s_and_not1_b32 vcc_lo, exec_lo, s6
	s_cbranch_vccnz .LBB142_3347
; %bb.3337:
	s_cmp_lt_i32 s1, 6
	s_cbranch_scc1 .LBB142_3340
; %bb.3338:
	s_cmp_gt_i32 s1, 6
	s_cbranch_scc0 .LBB142_3341
; %bb.3339:
	s_wait_loadcnt 0x0
	global_load_b64 v[16:17], v[20:21], off
	s_mov_b32 s6, 0
	s_branch .LBB142_3342
.LBB142_3340:
	s_mov_b32 s6, -1
                                        ; implicit-def: $vgpr16_vgpr17
	s_branch .LBB142_3345
.LBB142_3341:
	s_mov_b32 s6, -1
                                        ; implicit-def: $vgpr16_vgpr17
.LBB142_3342:
	s_delay_alu instid0(SALU_CYCLE_1)
	s_and_not1_b32 vcc_lo, exec_lo, s6
	s_cbranch_vccnz .LBB142_3344
; %bb.3343:
	s_wait_loadcnt 0x0
	global_load_b32 v16, v[20:21], off
	s_wait_loadcnt 0x0
	v_cvt_f64_f32_e32 v[16:17], v16
.LBB142_3344:
	s_mov_b32 s6, 0
.LBB142_3345:
	s_delay_alu instid0(SALU_CYCLE_1)
	s_and_not1_b32 vcc_lo, exec_lo, s6
	s_cbranch_vccnz .LBB142_3347
; %bb.3346:
	s_wait_loadcnt 0x0
	global_load_u16 v16, v[20:21], off
	s_wait_loadcnt 0x0
	v_cvt_f32_f16_e32 v16, v16
	s_delay_alu instid0(VALU_DEP_1)
	v_cvt_f64_f32_e32 v[16:17], v16
.LBB142_3347:
	s_mov_b32 s6, 0
.LBB142_3348:
	s_delay_alu instid0(SALU_CYCLE_1)
	s_and_not1_b32 vcc_lo, exec_lo, s6
	s_cbranch_vccnz .LBB142_3368
; %bb.3349:
	s_cmp_lt_i32 s1, 2
	s_cbranch_scc1 .LBB142_3353
; %bb.3350:
	s_cmp_lt_i32 s1, 3
	s_cbranch_scc1 .LBB142_3354
; %bb.3351:
	s_cmp_gt_i32 s1, 3
	s_cbranch_scc0 .LBB142_3355
; %bb.3352:
	s_wait_loadcnt 0x0
	global_load_b64 v[16:17], v[20:21], off
	s_mov_b32 s6, 0
	s_wait_loadcnt 0x0
	v_cvt_f64_i32_e32 v[28:29], v17
	v_cvt_f64_u32_e32 v[16:17], v16
	s_delay_alu instid0(VALU_DEP_2) | instskip(NEXT) | instid1(VALU_DEP_1)
	v_ldexp_f64 v[28:29], v[28:29], 32
	v_add_f64_e32 v[16:17], v[28:29], v[16:17]
	s_branch .LBB142_3356
.LBB142_3353:
	s_mov_b32 s6, -1
                                        ; implicit-def: $vgpr16_vgpr17
	s_branch .LBB142_3362
.LBB142_3354:
	s_mov_b32 s6, -1
                                        ; implicit-def: $vgpr16_vgpr17
	s_branch .LBB142_3359
.LBB142_3355:
	s_mov_b32 s6, -1
                                        ; implicit-def: $vgpr16_vgpr17
.LBB142_3356:
	s_delay_alu instid0(SALU_CYCLE_1)
	s_and_not1_b32 vcc_lo, exec_lo, s6
	s_cbranch_vccnz .LBB142_3358
; %bb.3357:
	s_wait_loadcnt 0x0
	global_load_b32 v16, v[20:21], off
	s_wait_loadcnt 0x0
	v_cvt_f64_i32_e32 v[16:17], v16
.LBB142_3358:
	s_mov_b32 s6, 0
.LBB142_3359:
	s_delay_alu instid0(SALU_CYCLE_1)
	s_and_not1_b32 vcc_lo, exec_lo, s6
	s_cbranch_vccnz .LBB142_3361
; %bb.3360:
	s_wait_loadcnt 0x0
	global_load_i16 v16, v[20:21], off
	s_wait_loadcnt 0x0
	v_cvt_f64_i32_e32 v[16:17], v16
.LBB142_3361:
	s_mov_b32 s6, 0
.LBB142_3362:
	s_delay_alu instid0(SALU_CYCLE_1)
	s_and_not1_b32 vcc_lo, exec_lo, s6
	s_cbranch_vccnz .LBB142_3368
; %bb.3363:
	s_cmp_gt_i32 s1, 0
	s_mov_b32 s1, 0
	s_cbranch_scc0 .LBB142_3365
; %bb.3364:
	s_wait_loadcnt 0x0
	global_load_i8 v16, v[20:21], off
	s_wait_loadcnt 0x0
	v_cvt_f64_i32_e32 v[16:17], v16
	s_branch .LBB142_3366
.LBB142_3365:
	s_mov_b32 s1, -1
                                        ; implicit-def: $vgpr16_vgpr17
.LBB142_3366:
	s_delay_alu instid0(SALU_CYCLE_1)
	s_and_not1_b32 vcc_lo, exec_lo, s1
	s_cbranch_vccnz .LBB142_3368
; %bb.3367:
	s_wait_loadcnt 0x0
	global_load_u8 v16, v[20:21], off
	s_wait_loadcnt 0x0
	v_cvt_f64_u32_e32 v[16:17], v16
.LBB142_3368:
	s_mov_b32 s15, -1
.LBB142_3369:
	s_delay_alu instid0(SALU_CYCLE_1)
	s_and_not1_b32 vcc_lo, exec_lo, s15
	s_cbranch_vccnz .LBB142_4065
; %bb.3370:
	s_wait_xcnt 0x0
	v_add_nc_u32_e32 v20, s13, v22
	s_cmp_lt_i32 s3, 11
	s_delay_alu instid0(VALU_DEP_1) | instskip(NEXT) | instid1(VALU_DEP_1)
	v_ashrrev_i32_e32 v21, 31, v20
	v_add_nc_u64_e32 v[22:23], s[8:9], v[20:21]
	s_cbranch_scc1 .LBB142_3377
; %bb.3371:
	s_and_b32 s1, 0xffff, s3
	s_mov_b32 s7, 0
	s_cmp_gt_i32 s1, 25
	s_cbranch_scc0 .LBB142_3378
; %bb.3372:
	s_cmp_gt_i32 s1, 28
	s_cbranch_scc0 .LBB142_3379
; %bb.3373:
	;; [unrolled: 3-line block ×4, first 2 shown]
	s_cmp_eq_u32 s1, 46
	s_mov_b32 s9, 0
	s_cbranch_scc0 .LBB142_3383
; %bb.3376:
	global_load_b32 v20, v[22:23], off
	s_mov_b32 s6, 0
	s_mov_b32 s8, -1
	s_wait_loadcnt 0x0
	v_lshlrev_b32_e32 v20, 16, v20
	s_delay_alu instid0(VALU_DEP_1)
	v_cvt_f64_f32_e32 v[20:21], v20
	s_branch .LBB142_3385
.LBB142_3377:
	s_mov_b32 s1, -1
	s_mov_b32 s8, 0
                                        ; implicit-def: $vgpr20_vgpr21
	s_branch .LBB142_3451
.LBB142_3378:
	s_mov_b32 s9, -1
	s_mov_b32 s8, 0
	s_mov_b32 s6, 0
                                        ; implicit-def: $vgpr20_vgpr21
	s_branch .LBB142_3414
.LBB142_3379:
	s_mov_b32 s9, -1
	s_mov_b32 s8, 0
	s_mov_b32 s6, 0
                                        ; implicit-def: $vgpr20_vgpr21
	s_branch .LBB142_3395
.LBB142_3380:
	s_mov_b32 s9, -1
	s_mov_b32 s8, 0
	s_mov_b32 s6, 0
                                        ; implicit-def: $vgpr20_vgpr21
	s_branch .LBB142_3390
.LBB142_3381:
	s_or_b32 s16, s16, exec_lo
	s_trap 2
	s_cbranch_execz .LBB142_3318
	s_branch .LBB142_3319
.LBB142_3382:
	s_mov_b32 s9, -1
	s_mov_b32 s8, 0
	s_mov_b32 s6, 0
	s_branch .LBB142_3384
.LBB142_3383:
	s_mov_b32 s6, -1
	s_mov_b32 s8, 0
.LBB142_3384:
                                        ; implicit-def: $vgpr20_vgpr21
.LBB142_3385:
	s_and_b32 vcc_lo, exec_lo, s9
	s_cbranch_vccz .LBB142_3389
; %bb.3386:
	s_cmp_eq_u32 s1, 44
	s_cbranch_scc0 .LBB142_3388
; %bb.3387:
	global_load_u8 v25, v[22:23], off
	s_mov_b32 s6, 0
	s_mov_b32 s8, -1
	s_wait_loadcnt 0x0
	v_lshlrev_b32_e32 v20, 23, v25
	v_cmp_ne_u32_e32 vcc_lo, 0xff, v25
	s_delay_alu instid0(VALU_DEP_2) | instskip(NEXT) | instid1(VALU_DEP_1)
	v_cvt_f64_f32_e32 v[20:21], v20
	v_cndmask_b32_e32 v20, 0x20000000, v20, vcc_lo
	s_delay_alu instid0(VALU_DEP_2) | instskip(SKIP_1) | instid1(VALU_DEP_2)
	v_cndmask_b32_e32 v21, 0x7ff80000, v21, vcc_lo
	v_cmp_ne_u32_e32 vcc_lo, 0, v25
	v_cndmask_b32_e32 v21, 0x38000000, v21, vcc_lo
	s_delay_alu instid0(VALU_DEP_4)
	v_cndmask_b32_e32 v20, 0, v20, vcc_lo
	s_branch .LBB142_3389
.LBB142_3388:
	s_mov_b32 s6, -1
                                        ; implicit-def: $vgpr20_vgpr21
.LBB142_3389:
	s_mov_b32 s9, 0
.LBB142_3390:
	s_delay_alu instid0(SALU_CYCLE_1)
	s_and_b32 vcc_lo, exec_lo, s9
	s_cbranch_vccz .LBB142_3394
; %bb.3391:
	s_cmp_eq_u32 s1, 29
	s_cbranch_scc0 .LBB142_3393
; %bb.3392:
	global_load_b64 v[20:21], v[22:23], off
	s_mov_b32 s6, 0
	s_mov_b32 s8, -1
	s_mov_b32 s9, 0
	s_wait_loadcnt 0x0
	v_cvt_f64_u32_e32 v[28:29], v21
	v_cvt_f64_u32_e32 v[20:21], v20
	s_delay_alu instid0(VALU_DEP_2) | instskip(NEXT) | instid1(VALU_DEP_1)
	v_ldexp_f64 v[28:29], v[28:29], 32
	v_add_f64_e32 v[20:21], v[28:29], v[20:21]
	s_branch .LBB142_3395
.LBB142_3393:
	s_mov_b32 s6, -1
                                        ; implicit-def: $vgpr20_vgpr21
.LBB142_3394:
	s_mov_b32 s9, 0
.LBB142_3395:
	s_delay_alu instid0(SALU_CYCLE_1)
	s_and_b32 vcc_lo, exec_lo, s9
	s_cbranch_vccz .LBB142_3413
; %bb.3396:
	s_cmp_lt_i32 s1, 27
	s_cbranch_scc1 .LBB142_3399
; %bb.3397:
	s_cmp_gt_i32 s1, 27
	s_cbranch_scc0 .LBB142_3400
; %bb.3398:
	global_load_b32 v20, v[22:23], off
	s_mov_b32 s8, 0
	s_wait_loadcnt 0x0
	v_cvt_f64_u32_e32 v[20:21], v20
	s_branch .LBB142_3401
.LBB142_3399:
	s_mov_b32 s8, -1
                                        ; implicit-def: $vgpr20_vgpr21
	s_branch .LBB142_3404
.LBB142_3400:
	s_mov_b32 s8, -1
                                        ; implicit-def: $vgpr20_vgpr21
.LBB142_3401:
	s_delay_alu instid0(SALU_CYCLE_1)
	s_and_not1_b32 vcc_lo, exec_lo, s8
	s_cbranch_vccnz .LBB142_3403
; %bb.3402:
	global_load_u16 v20, v[22:23], off
	s_wait_loadcnt 0x0
	v_cvt_f64_u32_e32 v[20:21], v20
.LBB142_3403:
	s_mov_b32 s8, 0
.LBB142_3404:
	s_delay_alu instid0(SALU_CYCLE_1)
	s_and_not1_b32 vcc_lo, exec_lo, s8
	s_cbranch_vccnz .LBB142_3412
; %bb.3405:
	global_load_u8 v25, v[22:23], off
	s_mov_b32 s8, 0
	s_mov_b32 s9, exec_lo
	s_wait_loadcnt 0x0
	v_cmpx_lt_i16_e32 0x7f, v25
	s_xor_b32 s9, exec_lo, s9
	s_cbranch_execz .LBB142_3426
; %bb.3406:
	s_mov_b32 s8, -1
	s_mov_b32 s13, exec_lo
	v_cmpx_eq_u16_e32 0x80, v25
; %bb.3407:
	s_xor_b32 s8, exec_lo, -1
; %bb.3408:
	s_or_b32 exec_lo, exec_lo, s13
	s_delay_alu instid0(SALU_CYCLE_1)
	s_and_b32 s8, s8, exec_lo
	s_or_saveexec_b32 s9, s9
	v_mov_b64_e32 v[20:21], 0x7ff8000020000000
	s_xor_b32 exec_lo, exec_lo, s9
	s_cbranch_execnz .LBB142_3427
.LBB142_3409:
	s_or_b32 exec_lo, exec_lo, s9
	s_and_saveexec_b32 s9, s8
	s_cbranch_execz .LBB142_3411
.LBB142_3410:
	v_and_b32_e32 v20, 0xffff, v25
	s_delay_alu instid0(VALU_DEP_1) | instskip(SKIP_1) | instid1(VALU_DEP_2)
	v_and_b32_e32 v21, 7, v20
	v_bfe_u32 v29, v20, 3, 4
	v_clz_i32_u32_e32 v27, v21
	s_delay_alu instid0(VALU_DEP_2) | instskip(NEXT) | instid1(VALU_DEP_2)
	v_cmp_eq_u32_e32 vcc_lo, 0, v29
	v_min_u32_e32 v27, 32, v27
	s_delay_alu instid0(VALU_DEP_1) | instskip(NEXT) | instid1(VALU_DEP_1)
	v_subrev_nc_u32_e32 v28, 28, v27
	v_dual_lshlrev_b32 v20, v28, v20 :: v_dual_sub_nc_u32 v27, 29, v27
	s_delay_alu instid0(VALU_DEP_1) | instskip(NEXT) | instid1(VALU_DEP_2)
	v_dual_lshlrev_b32 v25, 24, v25 :: v_dual_bitop2_b32 v20, 7, v20 bitop3:0x40
	v_cndmask_b32_e32 v27, v29, v27, vcc_lo
	s_delay_alu instid0(VALU_DEP_2) | instskip(NEXT) | instid1(VALU_DEP_3)
	v_cndmask_b32_e32 v20, v21, v20, vcc_lo
	v_and_b32_e32 v21, 0x80000000, v25
	s_delay_alu instid0(VALU_DEP_3) | instskip(NEXT) | instid1(VALU_DEP_3)
	v_lshl_add_u32 v25, v27, 23, 0x3b800000
	v_lshlrev_b32_e32 v20, 20, v20
	s_delay_alu instid0(VALU_DEP_1) | instskip(NEXT) | instid1(VALU_DEP_1)
	v_or3_b32 v20, v21, v25, v20
	v_cvt_f64_f32_e32 v[20:21], v20
.LBB142_3411:
	s_or_b32 exec_lo, exec_lo, s9
.LBB142_3412:
	s_mov_b32 s8, -1
.LBB142_3413:
	s_mov_b32 s9, 0
.LBB142_3414:
	s_delay_alu instid0(SALU_CYCLE_1)
	s_and_b32 vcc_lo, exec_lo, s9
	s_cbranch_vccz .LBB142_3447
; %bb.3415:
	s_cmp_gt_i32 s1, 22
	s_cbranch_scc0 .LBB142_3425
; %bb.3416:
	s_cmp_lt_i32 s1, 24
	s_cbranch_scc1 .LBB142_3428
; %bb.3417:
	s_cmp_gt_i32 s1, 24
	s_cbranch_scc0 .LBB142_3429
; %bb.3418:
	global_load_u8 v25, v[22:23], off
	s_mov_b32 s8, exec_lo
	s_wait_loadcnt 0x0
	v_cmpx_lt_i16_e32 0x7f, v25
	s_xor_b32 s8, exec_lo, s8
	s_cbranch_execz .LBB142_3441
; %bb.3419:
	s_mov_b32 s7, -1
	s_mov_b32 s9, exec_lo
	v_cmpx_eq_u16_e32 0x80, v25
; %bb.3420:
	s_xor_b32 s7, exec_lo, -1
; %bb.3421:
	s_or_b32 exec_lo, exec_lo, s9
	s_delay_alu instid0(SALU_CYCLE_1)
	s_and_b32 s7, s7, exec_lo
	s_or_saveexec_b32 s8, s8
	v_mov_b64_e32 v[20:21], 0x7ff8000020000000
	s_xor_b32 exec_lo, exec_lo, s8
	s_cbranch_execnz .LBB142_3442
.LBB142_3422:
	s_or_b32 exec_lo, exec_lo, s8
	s_and_saveexec_b32 s8, s7
	s_cbranch_execz .LBB142_3424
.LBB142_3423:
	v_and_b32_e32 v20, 0xffff, v25
	s_delay_alu instid0(VALU_DEP_1) | instskip(SKIP_1) | instid1(VALU_DEP_2)
	v_and_b32_e32 v21, 3, v20
	v_bfe_u32 v29, v20, 2, 5
	v_clz_i32_u32_e32 v27, v21
	s_delay_alu instid0(VALU_DEP_2) | instskip(NEXT) | instid1(VALU_DEP_2)
	v_cmp_eq_u32_e32 vcc_lo, 0, v29
	v_min_u32_e32 v27, 32, v27
	s_delay_alu instid0(VALU_DEP_1) | instskip(NEXT) | instid1(VALU_DEP_1)
	v_subrev_nc_u32_e32 v28, 29, v27
	v_dual_lshlrev_b32 v20, v28, v20 :: v_dual_sub_nc_u32 v27, 30, v27
	s_delay_alu instid0(VALU_DEP_1) | instskip(NEXT) | instid1(VALU_DEP_2)
	v_dual_lshlrev_b32 v25, 24, v25 :: v_dual_bitop2_b32 v20, 3, v20 bitop3:0x40
	v_cndmask_b32_e32 v27, v29, v27, vcc_lo
	s_delay_alu instid0(VALU_DEP_2) | instskip(NEXT) | instid1(VALU_DEP_3)
	v_cndmask_b32_e32 v20, v21, v20, vcc_lo
	v_and_b32_e32 v21, 0x80000000, v25
	s_delay_alu instid0(VALU_DEP_3) | instskip(NEXT) | instid1(VALU_DEP_3)
	v_lshl_add_u32 v25, v27, 23, 0x37800000
	v_lshlrev_b32_e32 v20, 21, v20
	s_delay_alu instid0(VALU_DEP_1) | instskip(NEXT) | instid1(VALU_DEP_1)
	v_or3_b32 v20, v21, v25, v20
	v_cvt_f64_f32_e32 v[20:21], v20
.LBB142_3424:
	s_or_b32 exec_lo, exec_lo, s8
	s_mov_b32 s7, 0
	s_branch .LBB142_3430
.LBB142_3425:
	s_mov_b32 s7, -1
                                        ; implicit-def: $vgpr20_vgpr21
	s_branch .LBB142_3436
.LBB142_3426:
	s_or_saveexec_b32 s9, s9
	v_mov_b64_e32 v[20:21], 0x7ff8000020000000
	s_xor_b32 exec_lo, exec_lo, s9
	s_cbranch_execz .LBB142_3409
.LBB142_3427:
	v_cmp_ne_u16_e32 vcc_lo, 0, v25
	v_mov_b64_e32 v[20:21], 0
	s_and_not1_b32 s8, s8, exec_lo
	s_and_b32 s13, vcc_lo, exec_lo
	s_delay_alu instid0(SALU_CYCLE_1)
	s_or_b32 s8, s8, s13
	s_or_b32 exec_lo, exec_lo, s9
	s_and_saveexec_b32 s9, s8
	s_cbranch_execnz .LBB142_3410
	s_branch .LBB142_3411
.LBB142_3428:
	s_mov_b32 s7, -1
                                        ; implicit-def: $vgpr20_vgpr21
	s_branch .LBB142_3433
.LBB142_3429:
	s_mov_b32 s7, -1
                                        ; implicit-def: $vgpr20_vgpr21
.LBB142_3430:
	s_delay_alu instid0(SALU_CYCLE_1)
	s_and_b32 vcc_lo, exec_lo, s7
	s_cbranch_vccz .LBB142_3432
; %bb.3431:
	global_load_u8 v20, v[22:23], off
	s_wait_loadcnt 0x0
	v_lshlrev_b32_e32 v20, 24, v20
	s_delay_alu instid0(VALU_DEP_1) | instskip(NEXT) | instid1(VALU_DEP_1)
	v_and_b32_e32 v21, 0x7f000000, v20
	v_clz_i32_u32_e32 v25, v21
	v_add_nc_u32_e32 v28, 0x1000000, v21
	v_cmp_ne_u32_e32 vcc_lo, 0, v21
	s_delay_alu instid0(VALU_DEP_3) | instskip(NEXT) | instid1(VALU_DEP_1)
	v_min_u32_e32 v25, 32, v25
	v_sub_nc_u32_e64 v25, v25, 4 clamp
	s_delay_alu instid0(VALU_DEP_1) | instskip(NEXT) | instid1(VALU_DEP_1)
	v_lshlrev_b32_e32 v27, v25, v21
	v_dual_lshlrev_b32 v25, 23, v25 :: v_dual_lshrrev_b32 v27, 4, v27
	s_delay_alu instid0(VALU_DEP_1) | instskip(NEXT) | instid1(VALU_DEP_1)
	v_dual_sub_nc_u32 v25, v27, v25 :: v_dual_ashrrev_i32 v27, 8, v28
	v_add_nc_u32_e32 v25, 0x3c000000, v25
	s_delay_alu instid0(VALU_DEP_1) | instskip(NEXT) | instid1(VALU_DEP_1)
	v_and_or_b32 v25, 0x7f800000, v27, v25
	v_cndmask_b32_e32 v21, 0, v25, vcc_lo
	s_delay_alu instid0(VALU_DEP_1) | instskip(NEXT) | instid1(VALU_DEP_1)
	v_and_or_b32 v20, 0x80000000, v20, v21
	v_cvt_f64_f32_e32 v[20:21], v20
.LBB142_3432:
	s_mov_b32 s7, 0
.LBB142_3433:
	s_delay_alu instid0(SALU_CYCLE_1)
	s_and_not1_b32 vcc_lo, exec_lo, s7
	s_cbranch_vccnz .LBB142_3435
; %bb.3434:
	global_load_u8 v20, v[22:23], off
	s_wait_loadcnt 0x0
	v_lshlrev_b32_e32 v21, 25, v20
	v_lshlrev_b16 v20, 8, v20
	s_delay_alu instid0(VALU_DEP_1) | instskip(SKIP_1) | instid1(VALU_DEP_2)
	v_and_or_b32 v27, 0x7f00, v20, 0.5
	v_bfe_i32 v20, v20, 0, 16
	v_dual_add_f32 v27, -0.5, v27 :: v_dual_lshrrev_b32 v25, 4, v21
	v_cmp_gt_u32_e32 vcc_lo, 0x8000000, v21
	s_delay_alu instid0(VALU_DEP_2) | instskip(NEXT) | instid1(VALU_DEP_1)
	v_or_b32_e32 v25, 0x70000000, v25
	v_mul_f32_e32 v25, 0x7800000, v25
	s_delay_alu instid0(VALU_DEP_1) | instskip(NEXT) | instid1(VALU_DEP_1)
	v_cndmask_b32_e32 v21, v25, v27, vcc_lo
	v_and_or_b32 v20, 0x80000000, v20, v21
	s_delay_alu instid0(VALU_DEP_1)
	v_cvt_f64_f32_e32 v[20:21], v20
.LBB142_3435:
	s_mov_b32 s7, 0
	s_mov_b32 s8, -1
.LBB142_3436:
	s_and_not1_b32 vcc_lo, exec_lo, s7
	s_mov_b32 s7, 0
	s_cbranch_vccnz .LBB142_3447
; %bb.3437:
	s_cmp_gt_i32 s1, 14
	s_cbranch_scc0 .LBB142_3440
; %bb.3438:
	s_cmp_eq_u32 s1, 15
	s_cbranch_scc0 .LBB142_3443
; %bb.3439:
	global_load_u16 v20, v[22:23], off
	s_mov_b32 s6, 0
	s_mov_b32 s8, -1
	s_wait_loadcnt 0x0
	v_lshlrev_b32_e32 v20, 16, v20
	s_delay_alu instid0(VALU_DEP_1)
	v_cvt_f64_f32_e32 v[20:21], v20
	s_branch .LBB142_3445
.LBB142_3440:
	s_mov_b32 s7, -1
	s_branch .LBB142_3444
.LBB142_3441:
	s_or_saveexec_b32 s8, s8
	v_mov_b64_e32 v[20:21], 0x7ff8000020000000
	s_xor_b32 exec_lo, exec_lo, s8
	s_cbranch_execz .LBB142_3422
.LBB142_3442:
	v_cmp_ne_u16_e32 vcc_lo, 0, v25
	v_mov_b64_e32 v[20:21], 0
	s_and_not1_b32 s7, s7, exec_lo
	s_and_b32 s9, vcc_lo, exec_lo
	s_delay_alu instid0(SALU_CYCLE_1)
	s_or_b32 s7, s7, s9
	s_or_b32 exec_lo, exec_lo, s8
	s_and_saveexec_b32 s8, s7
	s_cbranch_execnz .LBB142_3423
	s_branch .LBB142_3424
.LBB142_3443:
	s_mov_b32 s6, -1
.LBB142_3444:
                                        ; implicit-def: $vgpr20_vgpr21
.LBB142_3445:
	s_and_b32 vcc_lo, exec_lo, s7
	s_mov_b32 s7, 0
	s_cbranch_vccz .LBB142_3447
; %bb.3446:
	s_cmp_lg_u32 s1, 11
	s_mov_b32 s7, -1
	s_cselect_b32 s6, -1, 0
.LBB142_3447:
	s_delay_alu instid0(SALU_CYCLE_1)
	s_and_b32 vcc_lo, exec_lo, s6
	s_cbranch_vccnz .LBB142_3512
; %bb.3448:
	s_and_not1_b32 vcc_lo, exec_lo, s7
	s_cbranch_vccnz .LBB142_3450
.LBB142_3449:
	global_load_u8 v20, v[22:23], off
	s_mov_b32 s8, -1
	s_wait_loadcnt 0x0
	v_cmp_ne_u16_e32 vcc_lo, 0, v20
	v_mov_b32_e32 v20, 0
	v_cndmask_b32_e64 v21, 0, 0x3ff00000, vcc_lo
.LBB142_3450:
	s_mov_b32 s1, 0
.LBB142_3451:
	s_delay_alu instid0(SALU_CYCLE_1)
	s_and_b32 vcc_lo, exec_lo, s1
	s_cbranch_vccz .LBB142_3500
; %bb.3452:
	s_and_b32 s1, 0xffff, s3
	s_delay_alu instid0(SALU_CYCLE_1)
	s_cmp_lt_i32 s1, 5
	s_cbranch_scc1 .LBB142_3457
; %bb.3453:
	s_cmp_lt_i32 s1, 8
	s_cbranch_scc1 .LBB142_3458
; %bb.3454:
	;; [unrolled: 3-line block ×3, first 2 shown]
	s_cmp_gt_i32 s1, 9
	s_cbranch_scc0 .LBB142_3460
; %bb.3456:
	global_load_b64 v[20:21], v[22:23], off
	s_mov_b32 s3, 0
	s_branch .LBB142_3461
.LBB142_3457:
	s_mov_b32 s3, -1
                                        ; implicit-def: $vgpr20_vgpr21
	s_branch .LBB142_3479
.LBB142_3458:
	s_mov_b32 s3, -1
                                        ; implicit-def: $vgpr20_vgpr21
	s_branch .LBB142_3467
.LBB142_3459:
	s_mov_b32 s3, -1
                                        ; implicit-def: $vgpr20_vgpr21
	s_branch .LBB142_3464
.LBB142_3460:
	s_mov_b32 s3, -1
                                        ; implicit-def: $vgpr20_vgpr21
.LBB142_3461:
	s_delay_alu instid0(SALU_CYCLE_1)
	s_and_not1_b32 vcc_lo, exec_lo, s3
	s_cbranch_vccnz .LBB142_3463
; %bb.3462:
	s_wait_loadcnt 0x0
	global_load_b32 v20, v[22:23], off
	s_wait_loadcnt 0x0
	v_cvt_f64_f32_e32 v[20:21], v20
.LBB142_3463:
	s_mov_b32 s3, 0
.LBB142_3464:
	s_delay_alu instid0(SALU_CYCLE_1)
	s_and_not1_b32 vcc_lo, exec_lo, s3
	s_cbranch_vccnz .LBB142_3466
; %bb.3465:
	s_wait_loadcnt 0x0
	global_load_b32 v20, v[22:23], off
	s_wait_loadcnt 0x0
	v_cvt_f32_f16_e32 v20, v20
	s_delay_alu instid0(VALU_DEP_1)
	v_cvt_f64_f32_e32 v[20:21], v20
.LBB142_3466:
	s_mov_b32 s3, 0
.LBB142_3467:
	s_delay_alu instid0(SALU_CYCLE_1)
	s_and_not1_b32 vcc_lo, exec_lo, s3
	s_cbranch_vccnz .LBB142_3478
; %bb.3468:
	s_cmp_lt_i32 s1, 6
	s_cbranch_scc1 .LBB142_3471
; %bb.3469:
	s_cmp_gt_i32 s1, 6
	s_cbranch_scc0 .LBB142_3472
; %bb.3470:
	s_wait_loadcnt 0x0
	global_load_b64 v[20:21], v[22:23], off
	s_mov_b32 s3, 0
	s_branch .LBB142_3473
.LBB142_3471:
	s_mov_b32 s3, -1
                                        ; implicit-def: $vgpr20_vgpr21
	s_branch .LBB142_3476
.LBB142_3472:
	s_mov_b32 s3, -1
                                        ; implicit-def: $vgpr20_vgpr21
.LBB142_3473:
	s_delay_alu instid0(SALU_CYCLE_1)
	s_and_not1_b32 vcc_lo, exec_lo, s3
	s_cbranch_vccnz .LBB142_3475
; %bb.3474:
	s_wait_loadcnt 0x0
	global_load_b32 v20, v[22:23], off
	s_wait_loadcnt 0x0
	v_cvt_f64_f32_e32 v[20:21], v20
.LBB142_3475:
	s_mov_b32 s3, 0
.LBB142_3476:
	s_delay_alu instid0(SALU_CYCLE_1)
	s_and_not1_b32 vcc_lo, exec_lo, s3
	s_cbranch_vccnz .LBB142_3478
; %bb.3477:
	s_wait_loadcnt 0x0
	global_load_u16 v20, v[22:23], off
	s_wait_loadcnt 0x0
	v_cvt_f32_f16_e32 v20, v20
	s_delay_alu instid0(VALU_DEP_1)
	v_cvt_f64_f32_e32 v[20:21], v20
.LBB142_3478:
	s_mov_b32 s3, 0
.LBB142_3479:
	s_delay_alu instid0(SALU_CYCLE_1)
	s_and_not1_b32 vcc_lo, exec_lo, s3
	s_cbranch_vccnz .LBB142_3499
; %bb.3480:
	s_cmp_lt_i32 s1, 2
	s_cbranch_scc1 .LBB142_3484
; %bb.3481:
	s_cmp_lt_i32 s1, 3
	s_cbranch_scc1 .LBB142_3485
; %bb.3482:
	s_cmp_gt_i32 s1, 3
	s_cbranch_scc0 .LBB142_3486
; %bb.3483:
	s_wait_loadcnt 0x0
	global_load_b64 v[20:21], v[22:23], off
	s_mov_b32 s3, 0
	s_wait_loadcnt 0x0
	v_cvt_f64_i32_e32 v[28:29], v21
	v_cvt_f64_u32_e32 v[20:21], v20
	s_delay_alu instid0(VALU_DEP_2) | instskip(NEXT) | instid1(VALU_DEP_1)
	v_ldexp_f64 v[28:29], v[28:29], 32
	v_add_f64_e32 v[20:21], v[28:29], v[20:21]
	s_branch .LBB142_3487
.LBB142_3484:
	s_mov_b32 s3, -1
                                        ; implicit-def: $vgpr20_vgpr21
	s_branch .LBB142_3493
.LBB142_3485:
	s_mov_b32 s3, -1
                                        ; implicit-def: $vgpr20_vgpr21
	s_branch .LBB142_3490
.LBB142_3486:
	s_mov_b32 s3, -1
                                        ; implicit-def: $vgpr20_vgpr21
.LBB142_3487:
	s_delay_alu instid0(SALU_CYCLE_1)
	s_and_not1_b32 vcc_lo, exec_lo, s3
	s_cbranch_vccnz .LBB142_3489
; %bb.3488:
	s_wait_loadcnt 0x0
	global_load_b32 v20, v[22:23], off
	s_wait_loadcnt 0x0
	v_cvt_f64_i32_e32 v[20:21], v20
.LBB142_3489:
	s_mov_b32 s3, 0
.LBB142_3490:
	s_delay_alu instid0(SALU_CYCLE_1)
	s_and_not1_b32 vcc_lo, exec_lo, s3
	s_cbranch_vccnz .LBB142_3492
; %bb.3491:
	s_wait_loadcnt 0x0
	global_load_i16 v20, v[22:23], off
	s_wait_loadcnt 0x0
	v_cvt_f64_i32_e32 v[20:21], v20
.LBB142_3492:
	s_mov_b32 s3, 0
.LBB142_3493:
	s_delay_alu instid0(SALU_CYCLE_1)
	s_and_not1_b32 vcc_lo, exec_lo, s3
	s_cbranch_vccnz .LBB142_3499
; %bb.3494:
	s_cmp_gt_i32 s1, 0
	s_mov_b32 s1, 0
	s_cbranch_scc0 .LBB142_3496
; %bb.3495:
	s_wait_loadcnt 0x0
	global_load_i8 v20, v[22:23], off
	s_wait_loadcnt 0x0
	v_cvt_f64_i32_e32 v[20:21], v20
	s_branch .LBB142_3497
.LBB142_3496:
	s_mov_b32 s1, -1
                                        ; implicit-def: $vgpr20_vgpr21
.LBB142_3497:
	s_delay_alu instid0(SALU_CYCLE_1)
	s_and_not1_b32 vcc_lo, exec_lo, s1
	s_cbranch_vccnz .LBB142_3499
; %bb.3498:
	s_wait_loadcnt 0x0
	global_load_u8 v20, v[22:23], off
	s_wait_loadcnt 0x0
	v_cvt_f64_u32_e32 v[20:21], v20
.LBB142_3499:
	s_mov_b32 s8, -1
.LBB142_3500:
	s_delay_alu instid0(SALU_CYCLE_1)
	s_and_not1_b32 vcc_lo, exec_lo, s8
	s_cbranch_vccnz .LBB142_4065
; %bb.3501:
	s_wait_xcnt 0x0
	v_add_nc_u32_e32 v22, s14, v24
	s_cmp_lt_i32 s0, 11
	s_delay_alu instid0(VALU_DEP_1) | instskip(NEXT) | instid1(VALU_DEP_1)
	v_ashrrev_i32_e32 v23, 31, v22
	v_add_nc_u64_e32 v[24:25], s[10:11], v[22:23]
	s_cbranch_scc1 .LBB142_3508
; %bb.3502:
	s_cmp_gt_i32 s0, 25
	s_mov_b32 s3, 0
	s_cbranch_scc0 .LBB142_3509
; %bb.3503:
	s_cmp_gt_i32 s0, 28
	s_cbranch_scc0 .LBB142_3510
; %bb.3504:
	s_cmp_gt_i32 s0, 43
	;; [unrolled: 3-line block ×3, first 2 shown]
	s_cbranch_scc0 .LBB142_3513
; %bb.3506:
	s_cmp_eq_u32 s0, 46
	s_mov_b32 s7, 0
	s_cbranch_scc0 .LBB142_3514
; %bb.3507:
	global_load_b32 v22, v[24:25], off
	s_mov_b32 s1, 0
	s_mov_b32 s6, -1
	s_wait_loadcnt 0x0
	v_lshlrev_b32_e32 v22, 16, v22
	s_delay_alu instid0(VALU_DEP_1)
	v_cvt_f64_f32_e32 v[22:23], v22
	s_branch .LBB142_3516
.LBB142_3508:
	s_mov_b32 s1, -1
	s_mov_b32 s6, 0
                                        ; implicit-def: $vgpr22_vgpr23
	s_branch .LBB142_3582
.LBB142_3509:
	s_mov_b32 s7, -1
	s_mov_b32 s6, 0
	s_mov_b32 s1, 0
                                        ; implicit-def: $vgpr22_vgpr23
	s_branch .LBB142_3545
.LBB142_3510:
	s_mov_b32 s7, -1
	s_mov_b32 s6, 0
	s_mov_b32 s1, 0
                                        ; implicit-def: $vgpr22_vgpr23
	s_branch .LBB142_3526
.LBB142_3511:
	s_mov_b32 s7, -1
	s_mov_b32 s6, 0
	s_mov_b32 s1, 0
                                        ; implicit-def: $vgpr22_vgpr23
	s_branch .LBB142_3521
.LBB142_3512:
	s_or_b32 s16, s16, exec_lo
	s_trap 2
	s_cbranch_execz .LBB142_3449
	s_branch .LBB142_3450
.LBB142_3513:
	s_mov_b32 s7, -1
	s_mov_b32 s6, 0
	s_mov_b32 s1, 0
	s_branch .LBB142_3515
.LBB142_3514:
	s_mov_b32 s1, -1
	s_mov_b32 s6, 0
.LBB142_3515:
                                        ; implicit-def: $vgpr22_vgpr23
.LBB142_3516:
	s_and_b32 vcc_lo, exec_lo, s7
	s_cbranch_vccz .LBB142_3520
; %bb.3517:
	s_cmp_eq_u32 s0, 44
	s_cbranch_scc0 .LBB142_3519
; %bb.3518:
	global_load_u8 v27, v[24:25], off
	s_mov_b32 s1, 0
	s_mov_b32 s6, -1
	s_wait_loadcnt 0x0
	v_lshlrev_b32_e32 v22, 23, v27
	v_cmp_ne_u32_e32 vcc_lo, 0xff, v27
	s_delay_alu instid0(VALU_DEP_2) | instskip(NEXT) | instid1(VALU_DEP_1)
	v_cvt_f64_f32_e32 v[22:23], v22
	v_cndmask_b32_e32 v22, 0x20000000, v22, vcc_lo
	s_delay_alu instid0(VALU_DEP_2) | instskip(SKIP_1) | instid1(VALU_DEP_2)
	v_cndmask_b32_e32 v23, 0x7ff80000, v23, vcc_lo
	v_cmp_ne_u32_e32 vcc_lo, 0, v27
	v_cndmask_b32_e32 v23, 0x38000000, v23, vcc_lo
	s_delay_alu instid0(VALU_DEP_4)
	v_cndmask_b32_e32 v22, 0, v22, vcc_lo
	s_branch .LBB142_3520
.LBB142_3519:
	s_mov_b32 s1, -1
                                        ; implicit-def: $vgpr22_vgpr23
.LBB142_3520:
	s_mov_b32 s7, 0
.LBB142_3521:
	s_delay_alu instid0(SALU_CYCLE_1)
	s_and_b32 vcc_lo, exec_lo, s7
	s_cbranch_vccz .LBB142_3525
; %bb.3522:
	s_cmp_eq_u32 s0, 29
	s_cbranch_scc0 .LBB142_3524
; %bb.3523:
	global_load_b64 v[22:23], v[24:25], off
	s_mov_b32 s1, 0
	s_mov_b32 s6, -1
	s_mov_b32 s7, 0
	s_wait_loadcnt 0x0
	v_cvt_f64_u32_e32 v[28:29], v23
	v_cvt_f64_u32_e32 v[22:23], v22
	s_delay_alu instid0(VALU_DEP_2) | instskip(NEXT) | instid1(VALU_DEP_1)
	v_ldexp_f64 v[28:29], v[28:29], 32
	v_add_f64_e32 v[22:23], v[28:29], v[22:23]
	s_branch .LBB142_3526
.LBB142_3524:
	s_mov_b32 s1, -1
                                        ; implicit-def: $vgpr22_vgpr23
.LBB142_3525:
	s_mov_b32 s7, 0
.LBB142_3526:
	s_delay_alu instid0(SALU_CYCLE_1)
	s_and_b32 vcc_lo, exec_lo, s7
	s_cbranch_vccz .LBB142_3544
; %bb.3527:
	s_cmp_lt_i32 s0, 27
	s_cbranch_scc1 .LBB142_3530
; %bb.3528:
	s_cmp_gt_i32 s0, 27
	s_cbranch_scc0 .LBB142_3531
; %bb.3529:
	global_load_b32 v22, v[24:25], off
	s_mov_b32 s6, 0
	s_wait_loadcnt 0x0
	v_cvt_f64_u32_e32 v[22:23], v22
	s_branch .LBB142_3532
.LBB142_3530:
	s_mov_b32 s6, -1
                                        ; implicit-def: $vgpr22_vgpr23
	s_branch .LBB142_3535
.LBB142_3531:
	s_mov_b32 s6, -1
                                        ; implicit-def: $vgpr22_vgpr23
.LBB142_3532:
	s_delay_alu instid0(SALU_CYCLE_1)
	s_and_not1_b32 vcc_lo, exec_lo, s6
	s_cbranch_vccnz .LBB142_3534
; %bb.3533:
	global_load_u16 v22, v[24:25], off
	s_wait_loadcnt 0x0
	v_cvt_f64_u32_e32 v[22:23], v22
.LBB142_3534:
	s_mov_b32 s6, 0
.LBB142_3535:
	s_delay_alu instid0(SALU_CYCLE_1)
	s_and_not1_b32 vcc_lo, exec_lo, s6
	s_cbranch_vccnz .LBB142_3543
; %bb.3536:
	global_load_u8 v27, v[24:25], off
	s_mov_b32 s6, 0
	s_mov_b32 s7, exec_lo
	s_wait_loadcnt 0x0
	v_cmpx_lt_i16_e32 0x7f, v27
	s_xor_b32 s7, exec_lo, s7
	s_cbranch_execz .LBB142_3557
; %bb.3537:
	s_mov_b32 s6, -1
	s_mov_b32 s8, exec_lo
	v_cmpx_eq_u16_e32 0x80, v27
; %bb.3538:
	s_xor_b32 s6, exec_lo, -1
; %bb.3539:
	s_or_b32 exec_lo, exec_lo, s8
	s_delay_alu instid0(SALU_CYCLE_1)
	s_and_b32 s6, s6, exec_lo
	s_or_saveexec_b32 s7, s7
	v_mov_b64_e32 v[22:23], 0x7ff8000020000000
	s_xor_b32 exec_lo, exec_lo, s7
	s_cbranch_execnz .LBB142_3558
.LBB142_3540:
	s_or_b32 exec_lo, exec_lo, s7
	s_and_saveexec_b32 s7, s6
	s_cbranch_execz .LBB142_3542
.LBB142_3541:
	v_and_b32_e32 v22, 0xffff, v27
	s_delay_alu instid0(VALU_DEP_1) | instskip(SKIP_1) | instid1(VALU_DEP_2)
	v_and_b32_e32 v23, 7, v22
	v_bfe_u32 v30, v22, 3, 4
	v_clz_i32_u32_e32 v28, v23
	s_delay_alu instid0(VALU_DEP_2) | instskip(NEXT) | instid1(VALU_DEP_2)
	v_cmp_eq_u32_e32 vcc_lo, 0, v30
	v_min_u32_e32 v28, 32, v28
	s_delay_alu instid0(VALU_DEP_1) | instskip(NEXT) | instid1(VALU_DEP_1)
	v_subrev_nc_u32_e32 v29, 28, v28
	v_dual_lshlrev_b32 v22, v29, v22 :: v_dual_sub_nc_u32 v28, 29, v28
	s_delay_alu instid0(VALU_DEP_1) | instskip(NEXT) | instid1(VALU_DEP_1)
	v_dual_lshlrev_b32 v27, 24, v27 :: v_dual_bitop2_b32 v22, 7, v22 bitop3:0x40
	v_dual_cndmask_b32 v28, v30, v28, vcc_lo :: v_dual_cndmask_b32 v22, v23, v22, vcc_lo
	s_delay_alu instid0(VALU_DEP_2) | instskip(NEXT) | instid1(VALU_DEP_2)
	v_and_b32_e32 v23, 0x80000000, v27
	v_lshl_add_u32 v27, v28, 23, 0x3b800000
	s_delay_alu instid0(VALU_DEP_3) | instskip(NEXT) | instid1(VALU_DEP_1)
	v_lshlrev_b32_e32 v22, 20, v22
	v_or3_b32 v22, v23, v27, v22
	s_delay_alu instid0(VALU_DEP_1)
	v_cvt_f64_f32_e32 v[22:23], v22
.LBB142_3542:
	s_or_b32 exec_lo, exec_lo, s7
.LBB142_3543:
	s_mov_b32 s6, -1
.LBB142_3544:
	s_mov_b32 s7, 0
.LBB142_3545:
	s_delay_alu instid0(SALU_CYCLE_1)
	s_and_b32 vcc_lo, exec_lo, s7
	s_cbranch_vccz .LBB142_3578
; %bb.3546:
	s_cmp_gt_i32 s0, 22
	s_cbranch_scc0 .LBB142_3556
; %bb.3547:
	s_cmp_lt_i32 s0, 24
	s_cbranch_scc1 .LBB142_3559
; %bb.3548:
	s_cmp_gt_i32 s0, 24
	s_cbranch_scc0 .LBB142_3560
; %bb.3549:
	global_load_u8 v27, v[24:25], off
	s_mov_b32 s6, exec_lo
	s_wait_loadcnt 0x0
	v_cmpx_lt_i16_e32 0x7f, v27
	s_xor_b32 s6, exec_lo, s6
	s_cbranch_execz .LBB142_3572
; %bb.3550:
	s_mov_b32 s3, -1
	s_mov_b32 s7, exec_lo
	v_cmpx_eq_u16_e32 0x80, v27
; %bb.3551:
	s_xor_b32 s3, exec_lo, -1
; %bb.3552:
	s_or_b32 exec_lo, exec_lo, s7
	s_delay_alu instid0(SALU_CYCLE_1)
	s_and_b32 s3, s3, exec_lo
	s_or_saveexec_b32 s6, s6
	v_mov_b64_e32 v[22:23], 0x7ff8000020000000
	s_xor_b32 exec_lo, exec_lo, s6
	s_cbranch_execnz .LBB142_3573
.LBB142_3553:
	s_or_b32 exec_lo, exec_lo, s6
	s_and_saveexec_b32 s6, s3
	s_cbranch_execz .LBB142_3555
.LBB142_3554:
	v_and_b32_e32 v22, 0xffff, v27
	s_delay_alu instid0(VALU_DEP_1) | instskip(SKIP_1) | instid1(VALU_DEP_2)
	v_and_b32_e32 v23, 3, v22
	v_bfe_u32 v30, v22, 2, 5
	v_clz_i32_u32_e32 v28, v23
	s_delay_alu instid0(VALU_DEP_2) | instskip(NEXT) | instid1(VALU_DEP_2)
	v_cmp_eq_u32_e32 vcc_lo, 0, v30
	v_min_u32_e32 v28, 32, v28
	s_delay_alu instid0(VALU_DEP_1) | instskip(NEXT) | instid1(VALU_DEP_1)
	v_subrev_nc_u32_e32 v29, 29, v28
	v_dual_lshlrev_b32 v22, v29, v22 :: v_dual_sub_nc_u32 v28, 30, v28
	s_delay_alu instid0(VALU_DEP_1) | instskip(NEXT) | instid1(VALU_DEP_1)
	v_dual_lshlrev_b32 v27, 24, v27 :: v_dual_bitop2_b32 v22, 3, v22 bitop3:0x40
	v_dual_cndmask_b32 v28, v30, v28, vcc_lo :: v_dual_cndmask_b32 v22, v23, v22, vcc_lo
	s_delay_alu instid0(VALU_DEP_2) | instskip(NEXT) | instid1(VALU_DEP_2)
	v_and_b32_e32 v23, 0x80000000, v27
	v_lshl_add_u32 v27, v28, 23, 0x37800000
	s_delay_alu instid0(VALU_DEP_3) | instskip(NEXT) | instid1(VALU_DEP_1)
	v_lshlrev_b32_e32 v22, 21, v22
	v_or3_b32 v22, v23, v27, v22
	s_delay_alu instid0(VALU_DEP_1)
	v_cvt_f64_f32_e32 v[22:23], v22
.LBB142_3555:
	s_or_b32 exec_lo, exec_lo, s6
	s_mov_b32 s3, 0
	s_branch .LBB142_3561
.LBB142_3556:
	s_mov_b32 s3, -1
                                        ; implicit-def: $vgpr22_vgpr23
	s_branch .LBB142_3567
.LBB142_3557:
	s_or_saveexec_b32 s7, s7
	v_mov_b64_e32 v[22:23], 0x7ff8000020000000
	s_xor_b32 exec_lo, exec_lo, s7
	s_cbranch_execz .LBB142_3540
.LBB142_3558:
	v_cmp_ne_u16_e32 vcc_lo, 0, v27
	v_mov_b64_e32 v[22:23], 0
	s_and_not1_b32 s6, s6, exec_lo
	s_and_b32 s8, vcc_lo, exec_lo
	s_delay_alu instid0(SALU_CYCLE_1)
	s_or_b32 s6, s6, s8
	s_or_b32 exec_lo, exec_lo, s7
	s_and_saveexec_b32 s7, s6
	s_cbranch_execnz .LBB142_3541
	s_branch .LBB142_3542
.LBB142_3559:
	s_mov_b32 s3, -1
                                        ; implicit-def: $vgpr22_vgpr23
	s_branch .LBB142_3564
.LBB142_3560:
	s_mov_b32 s3, -1
                                        ; implicit-def: $vgpr22_vgpr23
.LBB142_3561:
	s_delay_alu instid0(SALU_CYCLE_1)
	s_and_b32 vcc_lo, exec_lo, s3
	s_cbranch_vccz .LBB142_3563
; %bb.3562:
	global_load_u8 v22, v[24:25], off
	s_wait_loadcnt 0x0
	v_lshlrev_b32_e32 v22, 24, v22
	s_delay_alu instid0(VALU_DEP_1) | instskip(NEXT) | instid1(VALU_DEP_1)
	v_and_b32_e32 v23, 0x7f000000, v22
	v_clz_i32_u32_e32 v27, v23
	v_add_nc_u32_e32 v29, 0x1000000, v23
	v_cmp_ne_u32_e32 vcc_lo, 0, v23
	s_delay_alu instid0(VALU_DEP_3) | instskip(NEXT) | instid1(VALU_DEP_1)
	v_min_u32_e32 v27, 32, v27
	v_sub_nc_u32_e64 v27, v27, 4 clamp
	s_delay_alu instid0(VALU_DEP_1) | instskip(NEXT) | instid1(VALU_DEP_1)
	v_lshlrev_b32_e32 v28, v27, v23
	v_dual_lshlrev_b32 v27, 23, v27 :: v_dual_lshrrev_b32 v28, 4, v28
	s_delay_alu instid0(VALU_DEP_1) | instskip(NEXT) | instid1(VALU_DEP_1)
	v_dual_sub_nc_u32 v27, v28, v27 :: v_dual_ashrrev_i32 v28, 8, v29
	v_add_nc_u32_e32 v27, 0x3c000000, v27
	s_delay_alu instid0(VALU_DEP_1) | instskip(NEXT) | instid1(VALU_DEP_1)
	v_and_or_b32 v27, 0x7f800000, v28, v27
	v_cndmask_b32_e32 v23, 0, v27, vcc_lo
	s_delay_alu instid0(VALU_DEP_1) | instskip(NEXT) | instid1(VALU_DEP_1)
	v_and_or_b32 v22, 0x80000000, v22, v23
	v_cvt_f64_f32_e32 v[22:23], v22
.LBB142_3563:
	s_mov_b32 s3, 0
.LBB142_3564:
	s_delay_alu instid0(SALU_CYCLE_1)
	s_and_not1_b32 vcc_lo, exec_lo, s3
	s_cbranch_vccnz .LBB142_3566
; %bb.3565:
	global_load_u8 v22, v[24:25], off
	s_wait_loadcnt 0x0
	v_lshlrev_b32_e32 v23, 25, v22
	v_lshlrev_b16 v22, 8, v22
	s_delay_alu instid0(VALU_DEP_1) | instskip(SKIP_1) | instid1(VALU_DEP_2)
	v_and_or_b32 v28, 0x7f00, v22, 0.5
	v_bfe_i32 v22, v22, 0, 16
	v_dual_add_f32 v28, -0.5, v28 :: v_dual_lshrrev_b32 v27, 4, v23
	v_cmp_gt_u32_e32 vcc_lo, 0x8000000, v23
	s_delay_alu instid0(VALU_DEP_2) | instskip(NEXT) | instid1(VALU_DEP_1)
	v_or_b32_e32 v27, 0x70000000, v27
	v_mul_f32_e32 v27, 0x7800000, v27
	s_delay_alu instid0(VALU_DEP_1) | instskip(NEXT) | instid1(VALU_DEP_1)
	v_cndmask_b32_e32 v23, v27, v28, vcc_lo
	v_and_or_b32 v22, 0x80000000, v22, v23
	s_delay_alu instid0(VALU_DEP_1)
	v_cvt_f64_f32_e32 v[22:23], v22
.LBB142_3566:
	s_mov_b32 s3, 0
	s_mov_b32 s6, -1
.LBB142_3567:
	s_and_not1_b32 vcc_lo, exec_lo, s3
	s_mov_b32 s3, 0
	s_cbranch_vccnz .LBB142_3578
; %bb.3568:
	s_cmp_gt_i32 s0, 14
	s_cbranch_scc0 .LBB142_3571
; %bb.3569:
	s_cmp_eq_u32 s0, 15
	s_cbranch_scc0 .LBB142_3574
; %bb.3570:
	global_load_u16 v22, v[24:25], off
	s_mov_b32 s1, 0
	s_mov_b32 s6, -1
	s_wait_loadcnt 0x0
	v_lshlrev_b32_e32 v22, 16, v22
	s_delay_alu instid0(VALU_DEP_1)
	v_cvt_f64_f32_e32 v[22:23], v22
	s_branch .LBB142_3576
.LBB142_3571:
	s_mov_b32 s3, -1
	s_branch .LBB142_3575
.LBB142_3572:
	s_or_saveexec_b32 s6, s6
	v_mov_b64_e32 v[22:23], 0x7ff8000020000000
	s_xor_b32 exec_lo, exec_lo, s6
	s_cbranch_execz .LBB142_3553
.LBB142_3573:
	v_cmp_ne_u16_e32 vcc_lo, 0, v27
	v_mov_b64_e32 v[22:23], 0
	s_and_not1_b32 s3, s3, exec_lo
	s_and_b32 s7, vcc_lo, exec_lo
	s_delay_alu instid0(SALU_CYCLE_1)
	s_or_b32 s3, s3, s7
	s_or_b32 exec_lo, exec_lo, s6
	s_and_saveexec_b32 s6, s3
	s_cbranch_execnz .LBB142_3554
	s_branch .LBB142_3555
.LBB142_3574:
	s_mov_b32 s1, -1
.LBB142_3575:
                                        ; implicit-def: $vgpr22_vgpr23
.LBB142_3576:
	s_and_b32 vcc_lo, exec_lo, s3
	s_mov_b32 s3, 0
	s_cbranch_vccz .LBB142_3578
; %bb.3577:
	s_cmp_lg_u32 s0, 11
	s_mov_b32 s3, -1
	s_cselect_b32 s1, -1, 0
.LBB142_3578:
	s_delay_alu instid0(SALU_CYCLE_1)
	s_and_b32 vcc_lo, exec_lo, s1
	s_cbranch_vccnz .LBB142_4111
; %bb.3579:
	s_and_not1_b32 vcc_lo, exec_lo, s3
	s_cbranch_vccnz .LBB142_3581
.LBB142_3580:
	global_load_u8 v22, v[24:25], off
	s_mov_b32 s6, -1
	s_wait_loadcnt 0x0
	v_cmp_ne_u16_e32 vcc_lo, 0, v22
	v_mov_b32_e32 v22, 0
	v_cndmask_b32_e64 v23, 0, 0x3ff00000, vcc_lo
.LBB142_3581:
	s_mov_b32 s1, 0
.LBB142_3582:
	s_delay_alu instid0(SALU_CYCLE_1)
	s_and_b32 vcc_lo, exec_lo, s1
	s_cbranch_vccz .LBB142_3631
; %bb.3583:
	s_cmp_lt_i32 s0, 5
	s_cbranch_scc1 .LBB142_3588
; %bb.3584:
	s_cmp_lt_i32 s0, 8
	s_cbranch_scc1 .LBB142_3589
	;; [unrolled: 3-line block ×3, first 2 shown]
; %bb.3586:
	s_cmp_gt_i32 s0, 9
	s_cbranch_scc0 .LBB142_3591
; %bb.3587:
	global_load_b64 v[22:23], v[24:25], off
	s_mov_b32 s1, 0
	s_branch .LBB142_3592
.LBB142_3588:
	s_mov_b32 s1, -1
                                        ; implicit-def: $vgpr22_vgpr23
	s_branch .LBB142_3610
.LBB142_3589:
	s_mov_b32 s1, -1
                                        ; implicit-def: $vgpr22_vgpr23
	s_branch .LBB142_3598
.LBB142_3590:
	s_mov_b32 s1, -1
                                        ; implicit-def: $vgpr22_vgpr23
	s_branch .LBB142_3595
.LBB142_3591:
	s_mov_b32 s1, -1
                                        ; implicit-def: $vgpr22_vgpr23
.LBB142_3592:
	s_delay_alu instid0(SALU_CYCLE_1)
	s_and_not1_b32 vcc_lo, exec_lo, s1
	s_cbranch_vccnz .LBB142_3594
; %bb.3593:
	s_wait_loadcnt 0x0
	global_load_b32 v22, v[24:25], off
	s_wait_loadcnt 0x0
	v_cvt_f64_f32_e32 v[22:23], v22
.LBB142_3594:
	s_mov_b32 s1, 0
.LBB142_3595:
	s_delay_alu instid0(SALU_CYCLE_1)
	s_and_not1_b32 vcc_lo, exec_lo, s1
	s_cbranch_vccnz .LBB142_3597
; %bb.3596:
	s_wait_loadcnt 0x0
	global_load_b32 v22, v[24:25], off
	s_wait_loadcnt 0x0
	v_cvt_f32_f16_e32 v22, v22
	s_delay_alu instid0(VALU_DEP_1)
	v_cvt_f64_f32_e32 v[22:23], v22
.LBB142_3597:
	s_mov_b32 s1, 0
.LBB142_3598:
	s_delay_alu instid0(SALU_CYCLE_1)
	s_and_not1_b32 vcc_lo, exec_lo, s1
	s_cbranch_vccnz .LBB142_3609
; %bb.3599:
	s_cmp_lt_i32 s0, 6
	s_cbranch_scc1 .LBB142_3602
; %bb.3600:
	s_cmp_gt_i32 s0, 6
	s_cbranch_scc0 .LBB142_3603
; %bb.3601:
	s_wait_loadcnt 0x0
	global_load_b64 v[22:23], v[24:25], off
	s_mov_b32 s1, 0
	s_branch .LBB142_3604
.LBB142_3602:
	s_mov_b32 s1, -1
                                        ; implicit-def: $vgpr22_vgpr23
	s_branch .LBB142_3607
.LBB142_3603:
	s_mov_b32 s1, -1
                                        ; implicit-def: $vgpr22_vgpr23
.LBB142_3604:
	s_delay_alu instid0(SALU_CYCLE_1)
	s_and_not1_b32 vcc_lo, exec_lo, s1
	s_cbranch_vccnz .LBB142_3606
; %bb.3605:
	s_wait_loadcnt 0x0
	global_load_b32 v22, v[24:25], off
	s_wait_loadcnt 0x0
	v_cvt_f64_f32_e32 v[22:23], v22
.LBB142_3606:
	s_mov_b32 s1, 0
.LBB142_3607:
	s_delay_alu instid0(SALU_CYCLE_1)
	s_and_not1_b32 vcc_lo, exec_lo, s1
	s_cbranch_vccnz .LBB142_3609
; %bb.3608:
	s_wait_loadcnt 0x0
	global_load_u16 v22, v[24:25], off
	s_wait_loadcnt 0x0
	v_cvt_f32_f16_e32 v22, v22
	s_delay_alu instid0(VALU_DEP_1)
	v_cvt_f64_f32_e32 v[22:23], v22
.LBB142_3609:
	s_mov_b32 s1, 0
.LBB142_3610:
	s_delay_alu instid0(SALU_CYCLE_1)
	s_and_not1_b32 vcc_lo, exec_lo, s1
	s_cbranch_vccnz .LBB142_3630
; %bb.3611:
	s_cmp_lt_i32 s0, 2
	s_cbranch_scc1 .LBB142_3615
; %bb.3612:
	s_cmp_lt_i32 s0, 3
	s_cbranch_scc1 .LBB142_3616
; %bb.3613:
	s_cmp_gt_i32 s0, 3
	s_cbranch_scc0 .LBB142_3617
; %bb.3614:
	s_wait_loadcnt 0x0
	global_load_b64 v[22:23], v[24:25], off
	s_mov_b32 s1, 0
	s_wait_loadcnt 0x0
	v_cvt_f64_i32_e32 v[28:29], v23
	v_cvt_f64_u32_e32 v[22:23], v22
	s_delay_alu instid0(VALU_DEP_2) | instskip(NEXT) | instid1(VALU_DEP_1)
	v_ldexp_f64 v[28:29], v[28:29], 32
	v_add_f64_e32 v[22:23], v[28:29], v[22:23]
	s_branch .LBB142_3618
.LBB142_3615:
	s_mov_b32 s1, -1
                                        ; implicit-def: $vgpr22_vgpr23
	s_branch .LBB142_3624
.LBB142_3616:
	s_mov_b32 s1, -1
                                        ; implicit-def: $vgpr22_vgpr23
	s_branch .LBB142_3621
.LBB142_3617:
	s_mov_b32 s1, -1
                                        ; implicit-def: $vgpr22_vgpr23
.LBB142_3618:
	s_delay_alu instid0(SALU_CYCLE_1)
	s_and_not1_b32 vcc_lo, exec_lo, s1
	s_cbranch_vccnz .LBB142_3620
; %bb.3619:
	s_wait_loadcnt 0x0
	global_load_b32 v22, v[24:25], off
	s_wait_loadcnt 0x0
	v_cvt_f64_i32_e32 v[22:23], v22
.LBB142_3620:
	s_mov_b32 s1, 0
.LBB142_3621:
	s_delay_alu instid0(SALU_CYCLE_1)
	s_and_not1_b32 vcc_lo, exec_lo, s1
	s_cbranch_vccnz .LBB142_3623
; %bb.3622:
	s_wait_loadcnt 0x0
	global_load_i16 v22, v[24:25], off
	s_wait_loadcnt 0x0
	v_cvt_f64_i32_e32 v[22:23], v22
.LBB142_3623:
	s_mov_b32 s1, 0
.LBB142_3624:
	s_delay_alu instid0(SALU_CYCLE_1)
	s_and_not1_b32 vcc_lo, exec_lo, s1
	s_cbranch_vccnz .LBB142_3630
; %bb.3625:
	s_cmp_gt_i32 s0, 0
	s_mov_b32 s0, 0
	s_cbranch_scc0 .LBB142_3627
; %bb.3626:
	s_wait_loadcnt 0x0
	global_load_i8 v22, v[24:25], off
	s_wait_loadcnt 0x0
	v_cvt_f64_i32_e32 v[22:23], v22
	s_branch .LBB142_3628
.LBB142_3627:
	s_mov_b32 s0, -1
                                        ; implicit-def: $vgpr22_vgpr23
.LBB142_3628:
	s_delay_alu instid0(SALU_CYCLE_1)
	s_and_not1_b32 vcc_lo, exec_lo, s0
	s_cbranch_vccnz .LBB142_3630
; %bb.3629:
	s_wait_loadcnt 0x0
	global_load_u8 v22, v[24:25], off
	s_wait_loadcnt 0x0
	v_cvt_f64_u32_e32 v[22:23], v22
.LBB142_3630:
	s_mov_b32 s6, -1
.LBB142_3631:
	s_delay_alu instid0(SALU_CYCLE_1)
	s_and_not1_b32 vcc_lo, exec_lo, s6
	s_cbranch_vccnz .LBB142_4065
; %bb.3632:
	s_wait_loadcnt 0x0
	v_max_num_f64_e32 v[24:25], v[2:3], v[2:3]
	v_max_num_f64_e32 v[28:29], v[0:1], v[0:1]
	;; [unrolled: 1-line block ×3, first 2 shown]
	v_cmp_u_f64_e32 vcc_lo, v[6:7], v[6:7]
	s_and_b32 s20, s2, 0xff
	s_delay_alu instid0(SALU_CYCLE_1) | instskip(NEXT) | instid1(VALU_DEP_3)
	s_cmp_lt_i32 s20, 11
	v_max_num_f64_e32 v[24:25], v[28:29], v[24:25]
	s_delay_alu instid0(VALU_DEP_1) | instskip(NEXT) | instid1(VALU_DEP_1)
	v_min_num_f64_e32 v[24:25], v[24:25], v[30:31]
	v_dual_cndmask_b32 v7, v25, v7 :: v_dual_cndmask_b32 v6, v24, v6
	v_cmp_u_f64_e32 vcc_lo, v[2:3], v[2:3]
	s_delay_alu instid0(VALU_DEP_2) | instskip(SKIP_2) | instid1(VALU_DEP_1)
	v_dual_cndmask_b32 v2, v6, v2 :: v_dual_cndmask_b32 v3, v7, v3
	v_cmp_u_f64_e32 vcc_lo, v[0:1], v[0:1]
	v_mul_lo_u32 v6, s12, v26
	v_dual_cndmask_b32 v0, v2, v0 :: v_dual_ashrrev_i32 v7, 31, v6
	s_delay_alu instid0(VALU_DEP_1)
	v_add_nc_u64_e32 v[24:25], s[4:5], v[6:7]
	v_cndmask_b32_e32 v1, v3, v1, vcc_lo
	s_cbranch_scc1 .LBB142_3710
; %bb.3633:
	s_and_b32 s1, 0xffff, s20
	s_mov_b32 s6, -1
	s_mov_b32 s2, 0
	s_cmp_gt_i32 s1, 25
	s_mov_b32 s3, 0
	s_mov_b32 s0, 0
	s_cbranch_scc0 .LBB142_3666
; %bb.3634:
	s_cmp_gt_i32 s1, 28
	s_cbranch_scc0 .LBB142_3649
; %bb.3635:
	s_cmp_gt_i32 s1, 43
	;; [unrolled: 3-line block ×3, first 2 shown]
	s_cbranch_scc0 .LBB142_3639
; %bb.3637:
	s_mov_b32 s0, -1
	s_mov_b32 s6, 0
	s_cmp_eq_u32 s1, 46
	s_cbranch_scc0 .LBB142_3639
; %bb.3638:
	v_cvt_f32_f64_e32 v2, v[0:1]
	s_mov_b32 s0, 0
	s_mov_b32 s3, -1
	s_delay_alu instid0(VALU_DEP_1) | instskip(SKIP_1) | instid1(VALU_DEP_2)
	v_bfe_u32 v3, v2, 16, 1
	v_cmp_o_f32_e32 vcc_lo, v2, v2
	v_add3_u32 v3, v2, v3, 0x7fff
	s_delay_alu instid0(VALU_DEP_1) | instskip(NEXT) | instid1(VALU_DEP_1)
	v_lshrrev_b32_e32 v3, 16, v3
	v_cndmask_b32_e32 v2, 0x7fc0, v3, vcc_lo
	global_store_b32 v[24:25], v2, off
.LBB142_3639:
	s_and_b32 vcc_lo, exec_lo, s6
	s_cbranch_vccz .LBB142_3644
; %bb.3640:
	s_cmp_eq_u32 s1, 44
	s_mov_b32 s0, -1
	s_cbranch_scc0 .LBB142_3644
; %bb.3641:
	s_wait_xcnt 0x0
	v_cvt_f32_f64_e32 v2, v[0:1]
	v_mov_b32_e32 v3, 0xff
	s_mov_b32 s3, exec_lo
	s_delay_alu instid0(VALU_DEP_2) | instskip(NEXT) | instid1(VALU_DEP_1)
	v_bfe_u32 v7, v2, 23, 8
	v_cmpx_ne_u32_e32 0xff, v7
	s_cbranch_execz .LBB142_3643
; %bb.3642:
	v_and_b32_e32 v3, 0x400000, v2
	v_and_or_b32 v7, 0x3fffff, v2, v7
	v_lshrrev_b32_e32 v2, 23, v2
	s_delay_alu instid0(VALU_DEP_3) | instskip(NEXT) | instid1(VALU_DEP_3)
	v_cmp_ne_u32_e32 vcc_lo, 0, v3
	v_cmp_ne_u32_e64 s0, 0, v7
	s_and_b32 s0, vcc_lo, s0
	s_delay_alu instid0(SALU_CYCLE_1) | instskip(NEXT) | instid1(VALU_DEP_1)
	v_cndmask_b32_e64 v3, 0, 1, s0
	v_add_nc_u32_e32 v3, v2, v3
.LBB142_3643:
	s_or_b32 exec_lo, exec_lo, s3
	s_mov_b32 s0, 0
	s_mov_b32 s3, -1
	global_store_b8 v[24:25], v3, off
.LBB142_3644:
	s_mov_b32 s6, 0
.LBB142_3645:
	s_delay_alu instid0(SALU_CYCLE_1)
	s_and_b32 vcc_lo, exec_lo, s6
	s_cbranch_vccz .LBB142_3648
; %bb.3646:
	s_cmp_eq_u32 s1, 29
	s_mov_b32 s0, -1
	s_cbranch_scc0 .LBB142_3648
; %bb.3647:
	s_wait_xcnt 0x0
	v_trunc_f64_e32 v[2:3], v[0:1]
	s_mov_b32 s0, 0
	s_mov_b32 s3, -1
	s_delay_alu instid0(VALU_DEP_1) | instskip(NEXT) | instid1(VALU_DEP_1)
	v_ldexp_f64 v[26:27], v[2:3], 0xffffffe0
	v_floor_f64_e32 v[26:27], v[26:27]
	s_delay_alu instid0(VALU_DEP_1) | instskip(SKIP_1) | instid1(VALU_DEP_2)
	v_fmamk_f64 v[2:3], v[26:27], 0xc1f00000, v[2:3]
	v_cvt_u32_f64_e32 v27, v[26:27]
	v_cvt_u32_f64_e32 v26, v[2:3]
	global_store_b64 v[24:25], v[26:27], off
.LBB142_3648:
	s_mov_b32 s6, 0
.LBB142_3649:
	s_delay_alu instid0(SALU_CYCLE_1)
	s_and_b32 vcc_lo, exec_lo, s6
	s_cbranch_vccz .LBB142_3665
; %bb.3650:
	s_cmp_lt_i32 s1, 27
	s_mov_b32 s3, -1
	s_cbranch_scc1 .LBB142_3656
; %bb.3651:
	s_wait_xcnt 0x0
	v_cvt_u32_f64_e32 v2, v[0:1]
	s_cmp_gt_i32 s1, 27
	s_cbranch_scc0 .LBB142_3653
; %bb.3652:
	s_mov_b32 s3, 0
	global_store_b32 v[24:25], v2, off
.LBB142_3653:
	s_and_not1_b32 vcc_lo, exec_lo, s3
	s_cbranch_vccnz .LBB142_3655
; %bb.3654:
	global_store_b16 v[24:25], v2, off
.LBB142_3655:
	s_mov_b32 s3, 0
.LBB142_3656:
	s_delay_alu instid0(SALU_CYCLE_1)
	s_and_not1_b32 vcc_lo, exec_lo, s3
	s_cbranch_vccnz .LBB142_3664
; %bb.3657:
	s_wait_xcnt 0x0
	v_cvt_f32_f64_e32 v2, v[0:1]
	v_mov_b32_e32 v7, 0x80
	s_mov_b32 s3, exec_lo
	s_delay_alu instid0(VALU_DEP_2) | instskip(NEXT) | instid1(VALU_DEP_1)
	v_and_b32_e32 v3, 0x7fffffff, v2
	v_cmpx_gt_u32_e32 0x43800000, v3
	s_cbranch_execz .LBB142_3663
; %bb.3658:
	v_cmp_lt_u32_e32 vcc_lo, 0x3bffffff, v3
	s_mov_b32 s6, 0
                                        ; implicit-def: $vgpr3
	s_and_saveexec_b32 s7, vcc_lo
	s_delay_alu instid0(SALU_CYCLE_1)
	s_xor_b32 s7, exec_lo, s7
	s_cbranch_execz .LBB142_4112
; %bb.3659:
	v_bfe_u32 v3, v2, 20, 1
	s_mov_b32 s6, exec_lo
	s_delay_alu instid0(VALU_DEP_1) | instskip(NEXT) | instid1(VALU_DEP_1)
	v_add3_u32 v3, v2, v3, 0x487ffff
	v_lshrrev_b32_e32 v3, 20, v3
	s_and_not1_saveexec_b32 s7, s7
	s_cbranch_execnz .LBB142_4113
.LBB142_3660:
	s_or_b32 exec_lo, exec_lo, s7
	v_mov_b32_e32 v7, 0
	s_and_saveexec_b32 s7, s6
.LBB142_3661:
	v_lshrrev_b32_e32 v2, 24, v2
	s_delay_alu instid0(VALU_DEP_1)
	v_and_or_b32 v7, 0x80, v2, v3
.LBB142_3662:
	s_or_b32 exec_lo, exec_lo, s7
.LBB142_3663:
	s_delay_alu instid0(SALU_CYCLE_1)
	s_or_b32 exec_lo, exec_lo, s3
	global_store_b8 v[24:25], v7, off
.LBB142_3664:
	s_mov_b32 s3, -1
.LBB142_3665:
	s_mov_b32 s6, 0
.LBB142_3666:
	s_delay_alu instid0(SALU_CYCLE_1)
	s_and_b32 vcc_lo, exec_lo, s6
	s_cbranch_vccz .LBB142_3706
; %bb.3667:
	s_cmp_gt_i32 s1, 22
	s_mov_b32 s2, -1
	s_cbranch_scc0 .LBB142_3699
; %bb.3668:
	s_cmp_lt_i32 s1, 24
	s_cbranch_scc1 .LBB142_3688
; %bb.3669:
	s_cmp_gt_i32 s1, 24
	s_cbranch_scc0 .LBB142_3677
; %bb.3670:
	s_wait_xcnt 0x0
	v_cvt_f32_f64_e32 v2, v[0:1]
	v_mov_b32_e32 v7, 0x80
	s_mov_b32 s2, exec_lo
	s_delay_alu instid0(VALU_DEP_2) | instskip(NEXT) | instid1(VALU_DEP_1)
	v_and_b32_e32 v3, 0x7fffffff, v2
	v_cmpx_gt_u32_e32 0x47800000, v3
	s_cbranch_execz .LBB142_3676
; %bb.3671:
	v_cmp_lt_u32_e32 vcc_lo, 0x37ffffff, v3
	s_mov_b32 s3, 0
                                        ; implicit-def: $vgpr3
	s_and_saveexec_b32 s6, vcc_lo
	s_delay_alu instid0(SALU_CYCLE_1)
	s_xor_b32 s6, exec_lo, s6
	s_cbranch_execz .LBB142_4115
; %bb.3672:
	v_bfe_u32 v3, v2, 21, 1
	s_mov_b32 s3, exec_lo
	s_delay_alu instid0(VALU_DEP_1) | instskip(NEXT) | instid1(VALU_DEP_1)
	v_add3_u32 v3, v2, v3, 0x88fffff
	v_lshrrev_b32_e32 v3, 21, v3
	s_and_not1_saveexec_b32 s6, s6
	s_cbranch_execnz .LBB142_4116
.LBB142_3673:
	s_or_b32 exec_lo, exec_lo, s6
	v_mov_b32_e32 v7, 0
	s_and_saveexec_b32 s6, s3
.LBB142_3674:
	v_lshrrev_b32_e32 v2, 24, v2
	s_delay_alu instid0(VALU_DEP_1)
	v_and_or_b32 v7, 0x80, v2, v3
.LBB142_3675:
	s_or_b32 exec_lo, exec_lo, s6
.LBB142_3676:
	s_delay_alu instid0(SALU_CYCLE_1)
	s_or_b32 exec_lo, exec_lo, s2
	s_mov_b32 s2, 0
	global_store_b8 v[24:25], v7, off
.LBB142_3677:
	s_and_b32 vcc_lo, exec_lo, s2
	s_cbranch_vccz .LBB142_3687
; %bb.3678:
	s_wait_xcnt 0x0
	v_cvt_f32_f64_e32 v2, v[0:1]
	s_mov_b32 s2, exec_lo
                                        ; implicit-def: $vgpr3
	s_delay_alu instid0(VALU_DEP_1) | instskip(NEXT) | instid1(VALU_DEP_1)
	v_and_b32_e32 v7, 0x7fffffff, v2
	v_cmpx_gt_u32_e32 0x43f00000, v7
	s_xor_b32 s2, exec_lo, s2
	s_cbranch_execz .LBB142_3684
; %bb.3679:
	s_mov_b32 s3, exec_lo
                                        ; implicit-def: $vgpr3
	v_cmpx_lt_u32_e32 0x3c7fffff, v7
	s_xor_b32 s3, exec_lo, s3
; %bb.3680:
	v_bfe_u32 v3, v2, 20, 1
	s_delay_alu instid0(VALU_DEP_1) | instskip(NEXT) | instid1(VALU_DEP_1)
	v_add3_u32 v3, v2, v3, 0x407ffff
	v_and_b32_e32 v7, 0xff00000, v3
	v_lshrrev_b32_e32 v3, 20, v3
	s_delay_alu instid0(VALU_DEP_2) | instskip(NEXT) | instid1(VALU_DEP_2)
	v_cmp_ne_u32_e32 vcc_lo, 0x7f00000, v7
	v_cndmask_b32_e32 v3, 0x7e, v3, vcc_lo
; %bb.3681:
	s_and_not1_saveexec_b32 s3, s3
; %bb.3682:
	v_add_f32_e64 v3, 0x46800000, |v2|
; %bb.3683:
	s_or_b32 exec_lo, exec_lo, s3
                                        ; implicit-def: $vgpr7
.LBB142_3684:
	s_and_not1_saveexec_b32 s2, s2
; %bb.3685:
	v_mov_b32_e32 v3, 0x7f
	v_cmp_lt_u32_e32 vcc_lo, 0x7f800000, v7
	s_delay_alu instid0(VALU_DEP_2)
	v_cndmask_b32_e32 v3, 0x7e, v3, vcc_lo
; %bb.3686:
	s_or_b32 exec_lo, exec_lo, s2
	v_lshrrev_b32_e32 v2, 24, v2
	s_delay_alu instid0(VALU_DEP_1)
	v_and_or_b32 v2, 0x80, v2, v3
	global_store_b8 v[24:25], v2, off
.LBB142_3687:
	s_mov_b32 s2, 0
.LBB142_3688:
	s_delay_alu instid0(SALU_CYCLE_1)
	s_and_not1_b32 vcc_lo, exec_lo, s2
	s_cbranch_vccnz .LBB142_3698
; %bb.3689:
	s_wait_xcnt 0x0
	v_cvt_f32_f64_e32 v2, v[0:1]
	s_mov_b32 s2, exec_lo
                                        ; implicit-def: $vgpr3
	s_delay_alu instid0(VALU_DEP_1) | instskip(NEXT) | instid1(VALU_DEP_1)
	v_and_b32_e32 v7, 0x7fffffff, v2
	v_cmpx_gt_u32_e32 0x47800000, v7
	s_xor_b32 s2, exec_lo, s2
	s_cbranch_execz .LBB142_3695
; %bb.3690:
	s_mov_b32 s3, exec_lo
                                        ; implicit-def: $vgpr3
	v_cmpx_lt_u32_e32 0x387fffff, v7
	s_xor_b32 s3, exec_lo, s3
; %bb.3691:
	v_bfe_u32 v3, v2, 21, 1
	s_delay_alu instid0(VALU_DEP_1) | instskip(NEXT) | instid1(VALU_DEP_1)
	v_add3_u32 v3, v2, v3, 0x80fffff
	v_lshrrev_b32_e32 v3, 21, v3
; %bb.3692:
	s_and_not1_saveexec_b32 s3, s3
; %bb.3693:
	v_add_f32_e64 v3, 0x43000000, |v2|
; %bb.3694:
	s_or_b32 exec_lo, exec_lo, s3
                                        ; implicit-def: $vgpr7
.LBB142_3695:
	s_and_not1_saveexec_b32 s2, s2
; %bb.3696:
	v_mov_b32_e32 v3, 0x7f
	v_cmp_lt_u32_e32 vcc_lo, 0x7f800000, v7
	s_delay_alu instid0(VALU_DEP_2)
	v_cndmask_b32_e32 v3, 0x7c, v3, vcc_lo
; %bb.3697:
	s_or_b32 exec_lo, exec_lo, s2
	v_lshrrev_b32_e32 v2, 24, v2
	s_delay_alu instid0(VALU_DEP_1)
	v_and_or_b32 v2, 0x80, v2, v3
	global_store_b8 v[24:25], v2, off
.LBB142_3698:
	s_mov_b32 s2, 0
	s_mov_b32 s3, -1
.LBB142_3699:
	s_and_not1_b32 vcc_lo, exec_lo, s2
	s_mov_b32 s2, 0
	s_cbranch_vccnz .LBB142_3706
; %bb.3700:
	s_cmp_gt_i32 s1, 14
	s_mov_b32 s2, -1
	s_cbranch_scc0 .LBB142_3704
; %bb.3701:
	s_cmp_eq_u32 s1, 15
	s_mov_b32 s0, -1
	s_cbranch_scc0 .LBB142_3703
; %bb.3702:
	s_wait_xcnt 0x0
	v_cvt_f32_f64_e32 v2, v[0:1]
	s_mov_b32 s0, 0
	s_mov_b32 s3, -1
	s_delay_alu instid0(VALU_DEP_1) | instskip(SKIP_1) | instid1(VALU_DEP_2)
	v_bfe_u32 v3, v2, 16, 1
	v_cmp_o_f32_e32 vcc_lo, v2, v2
	v_add3_u32 v3, v2, v3, 0x7fff
	s_delay_alu instid0(VALU_DEP_1) | instskip(NEXT) | instid1(VALU_DEP_1)
	v_lshrrev_b32_e32 v3, 16, v3
	v_cndmask_b32_e32 v2, 0x7fc0, v3, vcc_lo
	global_store_b16 v[24:25], v2, off
.LBB142_3703:
	s_mov_b32 s2, 0
.LBB142_3704:
	s_delay_alu instid0(SALU_CYCLE_1)
	s_and_b32 vcc_lo, exec_lo, s2
	s_mov_b32 s2, 0
	s_cbranch_vccz .LBB142_3706
; %bb.3705:
	s_cmp_lg_u32 s1, 11
	s_mov_b32 s2, -1
	s_cselect_b32 s0, -1, 0
.LBB142_3706:
	s_delay_alu instid0(SALU_CYCLE_1)
	s_and_b32 vcc_lo, exec_lo, s0
	s_cbranch_vccnz .LBB142_4114
; %bb.3707:
	s_and_not1_b32 vcc_lo, exec_lo, s2
	s_cbranch_vccnz .LBB142_3709
.LBB142_3708:
	v_cmp_neq_f64_e32 vcc_lo, 0, v[0:1]
	s_mov_b32 s3, -1
	s_wait_xcnt 0x0
	v_cndmask_b32_e64 v2, 0, 1, vcc_lo
	global_store_b8 v[24:25], v2, off
.LBB142_3709:
	s_mov_b32 s0, 0
	s_branch .LBB142_3711
.LBB142_3710:
	s_mov_b32 s0, -1
	s_mov_b32 s3, 0
.LBB142_3711:
	s_and_b32 vcc_lo, exec_lo, s0
	s_cbranch_vccz .LBB142_3750
; %bb.3712:
	s_and_b32 s0, 0xffff, s20
	s_mov_b32 s1, -1
	s_cmp_lt_i32 s0, 5
	s_cbranch_scc1 .LBB142_3733
; %bb.3713:
	s_cmp_lt_i32 s0, 8
	s_cbranch_scc1 .LBB142_3723
; %bb.3714:
	;; [unrolled: 3-line block ×3, first 2 shown]
	s_cmp_gt_i32 s0, 9
	s_cbranch_scc0 .LBB142_3717
; %bb.3716:
	s_wait_xcnt 0x0
	v_mov_b32_e32 v2, 0
	s_mov_b32 s1, 0
	s_delay_alu instid0(VALU_DEP_1)
	v_mov_b32_e32 v3, v2
	global_store_b128 v[24:25], v[0:3], off
.LBB142_3717:
	s_and_not1_b32 vcc_lo, exec_lo, s1
	s_cbranch_vccnz .LBB142_3719
; %bb.3718:
	s_wait_xcnt 0x0
	v_cvt_f32_f64_e32 v2, v[0:1]
	v_mov_b32_e32 v3, 0
	global_store_b64 v[24:25], v[2:3], off
.LBB142_3719:
	s_mov_b32 s1, 0
.LBB142_3720:
	s_delay_alu instid0(SALU_CYCLE_1)
	s_and_not1_b32 vcc_lo, exec_lo, s1
	s_cbranch_vccnz .LBB142_3722
; %bb.3721:
	s_wait_xcnt 0x0
	v_and_or_b32 v2, 0x1ff, v1, v0
	v_lshrrev_b32_e32 v3, 8, v1
	v_bfe_u32 v7, v1, 20, 11
	s_delay_alu instid0(VALU_DEP_3) | instskip(NEXT) | instid1(VALU_DEP_2)
	v_cmp_ne_u32_e32 vcc_lo, 0, v2
	v_sub_nc_u32_e32 v26, 0x3f1, v7
	v_add_nc_u32_e32 v7, 0xfffffc10, v7
	v_cndmask_b32_e64 v2, 0, 1, vcc_lo
	s_delay_alu instid0(VALU_DEP_1) | instskip(NEXT) | instid1(VALU_DEP_4)
	v_and_or_b32 v2, 0xffe, v3, v2
	v_med3_i32 v3, v26, 0, 13
	s_delay_alu instid0(VALU_DEP_2) | instskip(NEXT) | instid1(VALU_DEP_1)
	v_or_b32_e32 v26, 0x1000, v2
	v_lshrrev_b32_e32 v27, v3, v26
	s_delay_alu instid0(VALU_DEP_1) | instskip(NEXT) | instid1(VALU_DEP_1)
	v_lshlrev_b32_e32 v3, v3, v27
	v_cmp_ne_u32_e32 vcc_lo, v3, v26
	v_lshl_or_b32 v26, v7, 12, v2
	v_cndmask_b32_e64 v3, 0, 1, vcc_lo
	v_cmp_gt_i32_e32 vcc_lo, 1, v7
	s_delay_alu instid0(VALU_DEP_2) | instskip(NEXT) | instid1(VALU_DEP_1)
	v_or_b32_e32 v3, v27, v3
	v_cndmask_b32_e32 v3, v26, v3, vcc_lo
	s_delay_alu instid0(VALU_DEP_1) | instskip(NEXT) | instid1(VALU_DEP_1)
	v_dual_lshrrev_b32 v3, 2, v3 :: v_dual_bitop2_b32 v26, 7, v3 bitop3:0x40
	v_cmp_lt_i32_e32 vcc_lo, 5, v26
	v_cndmask_b32_e64 v27, 0, 1, vcc_lo
	v_cmp_eq_u32_e32 vcc_lo, 3, v26
	v_cndmask_b32_e64 v26, 0, 1, vcc_lo
	v_cmp_ne_u32_e32 vcc_lo, 0, v2
	s_delay_alu instid0(VALU_DEP_2) | instskip(SKIP_1) | instid1(VALU_DEP_1)
	v_or_b32_e32 v26, v26, v27
	v_mov_b32_e32 v27, 0x7e00
	v_dual_cndmask_b32 v2, 0x7c00, v27 :: v_dual_add_nc_u32 v3, v3, v26
	v_cmp_gt_i32_e32 vcc_lo, 31, v7
	s_delay_alu instid0(VALU_DEP_2) | instskip(SKIP_1) | instid1(VALU_DEP_2)
	v_dual_cndmask_b32 v3, 0x7c00, v3 :: v_dual_lshrrev_b32 v26, 16, v1
	v_cmp_eq_u32_e32 vcc_lo, 0x40f, v7
	v_cndmask_b32_e32 v2, v3, v2, vcc_lo
	s_delay_alu instid0(VALU_DEP_3) | instskip(NEXT) | instid1(VALU_DEP_1)
	v_and_b32_e32 v3, 0x8000, v26
	v_bitop3_b32 v2, v3, 0xffff, v2 bitop3:0xc8
	global_store_b32 v[24:25], v2, off
.LBB142_3722:
	s_mov_b32 s1, 0
.LBB142_3723:
	s_delay_alu instid0(SALU_CYCLE_1)
	s_and_not1_b32 vcc_lo, exec_lo, s1
	s_cbranch_vccnz .LBB142_3732
; %bb.3724:
	s_cmp_lt_i32 s0, 6
	s_mov_b32 s1, -1
	s_cbranch_scc1 .LBB142_3730
; %bb.3725:
	s_cmp_gt_i32 s0, 6
	s_cbranch_scc0 .LBB142_3727
; %bb.3726:
	s_mov_b32 s1, 0
	global_store_b64 v[24:25], v[0:1], off
.LBB142_3727:
	s_and_not1_b32 vcc_lo, exec_lo, s1
	s_cbranch_vccnz .LBB142_3729
; %bb.3728:
	s_wait_xcnt 0x0
	v_cvt_f32_f64_e32 v2, v[0:1]
	global_store_b32 v[24:25], v2, off
.LBB142_3729:
	s_mov_b32 s1, 0
.LBB142_3730:
	s_delay_alu instid0(SALU_CYCLE_1)
	s_and_not1_b32 vcc_lo, exec_lo, s1
	s_cbranch_vccnz .LBB142_3732
; %bb.3731:
	s_wait_xcnt 0x0
	v_and_or_b32 v2, 0x1ff, v1, v0
	v_lshrrev_b32_e32 v3, 8, v1
	v_bfe_u32 v7, v1, 20, 11
	s_delay_alu instid0(VALU_DEP_3) | instskip(NEXT) | instid1(VALU_DEP_2)
	v_cmp_ne_u32_e32 vcc_lo, 0, v2
	v_sub_nc_u32_e32 v26, 0x3f1, v7
	v_add_nc_u32_e32 v7, 0xfffffc10, v7
	v_cndmask_b32_e64 v2, 0, 1, vcc_lo
	s_delay_alu instid0(VALU_DEP_1) | instskip(NEXT) | instid1(VALU_DEP_4)
	v_and_or_b32 v2, 0xffe, v3, v2
	v_med3_i32 v3, v26, 0, 13
	s_delay_alu instid0(VALU_DEP_2) | instskip(NEXT) | instid1(VALU_DEP_1)
	v_or_b32_e32 v26, 0x1000, v2
	v_lshrrev_b32_e32 v27, v3, v26
	s_delay_alu instid0(VALU_DEP_1) | instskip(NEXT) | instid1(VALU_DEP_1)
	v_lshlrev_b32_e32 v3, v3, v27
	v_cmp_ne_u32_e32 vcc_lo, v3, v26
	v_lshl_or_b32 v26, v7, 12, v2
	v_cndmask_b32_e64 v3, 0, 1, vcc_lo
	v_cmp_gt_i32_e32 vcc_lo, 1, v7
	s_delay_alu instid0(VALU_DEP_2) | instskip(NEXT) | instid1(VALU_DEP_1)
	v_or_b32_e32 v3, v27, v3
	v_cndmask_b32_e32 v3, v26, v3, vcc_lo
	s_delay_alu instid0(VALU_DEP_1) | instskip(NEXT) | instid1(VALU_DEP_1)
	v_dual_lshrrev_b32 v3, 2, v3 :: v_dual_bitop2_b32 v26, 7, v3 bitop3:0x40
	v_cmp_lt_i32_e32 vcc_lo, 5, v26
	v_cndmask_b32_e64 v27, 0, 1, vcc_lo
	v_cmp_eq_u32_e32 vcc_lo, 3, v26
	v_cndmask_b32_e64 v26, 0, 1, vcc_lo
	v_cmp_ne_u32_e32 vcc_lo, 0, v2
	s_delay_alu instid0(VALU_DEP_2) | instskip(SKIP_1) | instid1(VALU_DEP_1)
	v_or_b32_e32 v26, v26, v27
	v_mov_b32_e32 v27, 0x7e00
	v_dual_cndmask_b32 v2, 0x7c00, v27 :: v_dual_add_nc_u32 v3, v3, v26
	v_cmp_gt_i32_e32 vcc_lo, 31, v7
	s_delay_alu instid0(VALU_DEP_2) | instskip(SKIP_1) | instid1(VALU_DEP_2)
	v_cndmask_b32_e32 v3, 0x7c00, v3, vcc_lo
	v_cmp_eq_u32_e32 vcc_lo, 0x40f, v7
	v_dual_cndmask_b32 v2, v3, v2 :: v_dual_lshrrev_b32 v3, 16, v1
	s_delay_alu instid0(VALU_DEP_1)
	v_and_or_b32 v2, 0x8000, v3, v2
	global_store_b16 v[24:25], v2, off
.LBB142_3732:
	s_mov_b32 s1, 0
.LBB142_3733:
	s_delay_alu instid0(SALU_CYCLE_1)
	s_and_not1_b32 vcc_lo, exec_lo, s1
	s_cbranch_vccnz .LBB142_3749
; %bb.3734:
	s_cmp_lt_i32 s0, 2
	s_mov_b32 s1, -1
	s_cbranch_scc1 .LBB142_3744
; %bb.3735:
	s_cmp_lt_i32 s0, 3
	s_cbranch_scc1 .LBB142_3741
; %bb.3736:
	s_cmp_gt_i32 s0, 3
	s_cbranch_scc0 .LBB142_3738
; %bb.3737:
	s_wait_xcnt 0x0
	v_trunc_f64_e32 v[2:3], v[0:1]
	s_mov_b32 s1, 0
	s_delay_alu instid0(VALU_DEP_1) | instskip(NEXT) | instid1(VALU_DEP_1)
	v_ldexp_f64 v[26:27], v[2:3], 0xffffffe0
	v_floor_f64_e32 v[26:27], v[26:27]
	s_delay_alu instid0(VALU_DEP_1) | instskip(SKIP_1) | instid1(VALU_DEP_2)
	v_fmamk_f64 v[2:3], v[26:27], 0xc1f00000, v[2:3]
	v_cvt_i32_f64_e32 v27, v[26:27]
	v_cvt_u32_f64_e32 v26, v[2:3]
	global_store_b64 v[24:25], v[26:27], off
.LBB142_3738:
	s_and_not1_b32 vcc_lo, exec_lo, s1
	s_cbranch_vccnz .LBB142_3740
; %bb.3739:
	s_wait_xcnt 0x0
	v_cvt_i32_f64_e32 v2, v[0:1]
	global_store_b32 v[24:25], v2, off
.LBB142_3740:
	s_mov_b32 s1, 0
.LBB142_3741:
	s_delay_alu instid0(SALU_CYCLE_1)
	s_and_not1_b32 vcc_lo, exec_lo, s1
	s_cbranch_vccnz .LBB142_3743
; %bb.3742:
	s_wait_xcnt 0x0
	v_cvt_i32_f64_e32 v2, v[0:1]
	global_store_b16 v[24:25], v2, off
.LBB142_3743:
	s_mov_b32 s1, 0
.LBB142_3744:
	s_delay_alu instid0(SALU_CYCLE_1)
	s_and_not1_b32 vcc_lo, exec_lo, s1
	s_cbranch_vccnz .LBB142_3749
; %bb.3745:
	s_cmp_gt_i32 s0, 0
	s_mov_b32 s0, -1
	s_cbranch_scc0 .LBB142_3747
; %bb.3746:
	s_wait_xcnt 0x0
	v_cvt_i32_f64_e32 v2, v[0:1]
	s_mov_b32 s0, 0
	global_store_b8 v[24:25], v2, off
.LBB142_3747:
	s_and_not1_b32 vcc_lo, exec_lo, s0
	s_cbranch_vccnz .LBB142_3749
; %bb.3748:
	s_wait_xcnt 0x0
	v_trunc_f64_e32 v[0:1], v[0:1]
	s_delay_alu instid0(VALU_DEP_1) | instskip(NEXT) | instid1(VALU_DEP_1)
	v_ldexp_f64 v[2:3], v[0:1], 0xffffffe0
	v_floor_f64_e32 v[2:3], v[2:3]
	s_delay_alu instid0(VALU_DEP_1) | instskip(NEXT) | instid1(VALU_DEP_1)
	v_fmamk_f64 v[0:1], v[2:3], 0xc1f00000, v[0:1]
	v_cvt_u32_f64_e32 v0, v[0:1]
	global_store_b8 v[24:25], v0, off
.LBB142_3749:
	s_mov_b32 s3, -1
.LBB142_3750:
	s_delay_alu instid0(SALU_CYCLE_1)
	s_and_not1_b32 vcc_lo, exec_lo, s3
	s_cbranch_vccnz .LBB142_4065
; %bb.3751:
	s_lshl_b32 s1, s12, 7
	s_wait_xcnt 0x0
	v_dual_max_num_f64 v[0:1], v[8:9], v[8:9] :: v_dual_add_nc_u32 v6, s1, v6
	v_max_num_f64_e32 v[2:3], v[4:5], v[4:5]
	v_max_num_f64_e32 v[24:25], v[12:13], v[12:13]
	v_cmp_u_f64_e32 vcc_lo, v[12:13], v[12:13]
	s_cmp_lt_i32 s20, 11
	s_delay_alu instid0(VALU_DEP_3) | instskip(NEXT) | instid1(VALU_DEP_1)
	v_dual_max_num_f64 v[0:1], v[2:3], v[0:1] :: v_dual_ashrrev_i32 v7, 31, v6
	v_min_num_f64_e32 v[0:1], v[0:1], v[24:25]
	s_delay_alu instid0(VALU_DEP_1) | instskip(SKIP_1) | instid1(VALU_DEP_2)
	v_dual_cndmask_b32 v1, v1, v13 :: v_dual_cndmask_b32 v0, v0, v12
	v_cmp_u_f64_e32 vcc_lo, v[8:9], v[8:9]
	v_dual_cndmask_b32 v0, v0, v8 :: v_dual_cndmask_b32 v1, v1, v9
	v_cmp_u_f64_e32 vcc_lo, v[4:5], v[4:5]
	v_add_nc_u64_e32 v[8:9], s[4:5], v[6:7]
	s_delay_alu instid0(VALU_DEP_3)
	v_dual_cndmask_b32 v1, v1, v5 :: v_dual_cndmask_b32 v0, v0, v4
	s_cbranch_scc1 .LBB142_3829
; %bb.3752:
	s_and_b32 s2, 0xffff, s20
	s_mov_b32 s7, -1
	s_mov_b32 s3, 0
	s_cmp_gt_i32 s2, 25
	s_mov_b32 s6, 0
	s_mov_b32 s0, 0
	s_cbranch_scc0 .LBB142_3785
; %bb.3753:
	s_cmp_gt_i32 s2, 28
	s_cbranch_scc0 .LBB142_3768
; %bb.3754:
	s_cmp_gt_i32 s2, 43
	;; [unrolled: 3-line block ×3, first 2 shown]
	s_cbranch_scc0 .LBB142_3758
; %bb.3756:
	s_mov_b32 s0, -1
	s_mov_b32 s7, 0
	s_cmp_eq_u32 s2, 46
	s_cbranch_scc0 .LBB142_3758
; %bb.3757:
	v_cvt_f32_f64_e32 v2, v[0:1]
	s_mov_b32 s0, 0
	s_mov_b32 s6, -1
	s_delay_alu instid0(VALU_DEP_1) | instskip(SKIP_1) | instid1(VALU_DEP_2)
	v_bfe_u32 v3, v2, 16, 1
	v_cmp_o_f32_e32 vcc_lo, v2, v2
	v_add3_u32 v3, v2, v3, 0x7fff
	s_delay_alu instid0(VALU_DEP_1) | instskip(NEXT) | instid1(VALU_DEP_1)
	v_lshrrev_b32_e32 v3, 16, v3
	v_cndmask_b32_e32 v2, 0x7fc0, v3, vcc_lo
	global_store_b32 v[8:9], v2, off
.LBB142_3758:
	s_and_b32 vcc_lo, exec_lo, s7
	s_cbranch_vccz .LBB142_3763
; %bb.3759:
	s_cmp_eq_u32 s2, 44
	s_mov_b32 s0, -1
	s_cbranch_scc0 .LBB142_3763
; %bb.3760:
	s_wait_xcnt 0x0
	v_cvt_f32_f64_e32 v2, v[0:1]
	v_mov_b32_e32 v3, 0xff
	s_mov_b32 s6, exec_lo
	s_delay_alu instid0(VALU_DEP_2) | instskip(NEXT) | instid1(VALU_DEP_1)
	v_bfe_u32 v4, v2, 23, 8
	v_cmpx_ne_u32_e32 0xff, v4
	s_cbranch_execz .LBB142_3762
; %bb.3761:
	v_and_b32_e32 v3, 0x400000, v2
	v_and_or_b32 v4, 0x3fffff, v2, v4
	v_lshrrev_b32_e32 v2, 23, v2
	s_delay_alu instid0(VALU_DEP_3) | instskip(NEXT) | instid1(VALU_DEP_3)
	v_cmp_ne_u32_e32 vcc_lo, 0, v3
	v_cmp_ne_u32_e64 s0, 0, v4
	s_and_b32 s0, vcc_lo, s0
	s_delay_alu instid0(SALU_CYCLE_1) | instskip(NEXT) | instid1(VALU_DEP_1)
	v_cndmask_b32_e64 v3, 0, 1, s0
	v_add_nc_u32_e32 v3, v2, v3
.LBB142_3762:
	s_or_b32 exec_lo, exec_lo, s6
	s_mov_b32 s0, 0
	s_mov_b32 s6, -1
	global_store_b8 v[8:9], v3, off
.LBB142_3763:
	s_mov_b32 s7, 0
.LBB142_3764:
	s_delay_alu instid0(SALU_CYCLE_1)
	s_and_b32 vcc_lo, exec_lo, s7
	s_cbranch_vccz .LBB142_3767
; %bb.3765:
	s_cmp_eq_u32 s2, 29
	s_mov_b32 s0, -1
	s_cbranch_scc0 .LBB142_3767
; %bb.3766:
	s_wait_xcnt 0x0
	v_trunc_f64_e32 v[2:3], v[0:1]
	s_mov_b32 s0, 0
	s_mov_b32 s6, -1
	s_delay_alu instid0(VALU_DEP_1) | instskip(NEXT) | instid1(VALU_DEP_1)
	v_ldexp_f64 v[4:5], v[2:3], 0xffffffe0
	v_floor_f64_e32 v[4:5], v[4:5]
	s_delay_alu instid0(VALU_DEP_1) | instskip(SKIP_1) | instid1(VALU_DEP_2)
	v_fmamk_f64 v[2:3], v[4:5], 0xc1f00000, v[2:3]
	v_cvt_u32_f64_e32 v5, v[4:5]
	v_cvt_u32_f64_e32 v4, v[2:3]
	global_store_b64 v[8:9], v[4:5], off
.LBB142_3767:
	s_mov_b32 s7, 0
.LBB142_3768:
	s_delay_alu instid0(SALU_CYCLE_1)
	s_and_b32 vcc_lo, exec_lo, s7
	s_cbranch_vccz .LBB142_3784
; %bb.3769:
	s_cmp_lt_i32 s2, 27
	s_mov_b32 s6, -1
	s_cbranch_scc1 .LBB142_3775
; %bb.3770:
	s_wait_xcnt 0x0
	v_cvt_u32_f64_e32 v2, v[0:1]
	s_cmp_gt_i32 s2, 27
	s_cbranch_scc0 .LBB142_3772
; %bb.3771:
	s_mov_b32 s6, 0
	global_store_b32 v[8:9], v2, off
.LBB142_3772:
	s_and_not1_b32 vcc_lo, exec_lo, s6
	s_cbranch_vccnz .LBB142_3774
; %bb.3773:
	global_store_b16 v[8:9], v2, off
.LBB142_3774:
	s_mov_b32 s6, 0
.LBB142_3775:
	s_delay_alu instid0(SALU_CYCLE_1)
	s_and_not1_b32 vcc_lo, exec_lo, s6
	s_cbranch_vccnz .LBB142_3783
; %bb.3776:
	s_wait_xcnt 0x0
	v_cvt_f32_f64_e32 v2, v[0:1]
	v_mov_b32_e32 v4, 0x80
	s_mov_b32 s6, exec_lo
	s_delay_alu instid0(VALU_DEP_2) | instskip(NEXT) | instid1(VALU_DEP_1)
	v_and_b32_e32 v3, 0x7fffffff, v2
	v_cmpx_gt_u32_e32 0x43800000, v3
	s_cbranch_execz .LBB142_3782
; %bb.3777:
	v_cmp_lt_u32_e32 vcc_lo, 0x3bffffff, v3
	s_mov_b32 s7, 0
                                        ; implicit-def: $vgpr3
	s_and_saveexec_b32 s8, vcc_lo
	s_delay_alu instid0(SALU_CYCLE_1)
	s_xor_b32 s8, exec_lo, s8
	s_cbranch_execz .LBB142_4117
; %bb.3778:
	v_bfe_u32 v3, v2, 20, 1
	s_mov_b32 s7, exec_lo
	s_delay_alu instid0(VALU_DEP_1) | instskip(NEXT) | instid1(VALU_DEP_1)
	v_add3_u32 v3, v2, v3, 0x487ffff
	v_lshrrev_b32_e32 v3, 20, v3
	s_and_not1_saveexec_b32 s8, s8
	s_cbranch_execnz .LBB142_4118
.LBB142_3779:
	s_or_b32 exec_lo, exec_lo, s8
	v_mov_b32_e32 v4, 0
	s_and_saveexec_b32 s8, s7
.LBB142_3780:
	v_lshrrev_b32_e32 v2, 24, v2
	s_delay_alu instid0(VALU_DEP_1)
	v_and_or_b32 v4, 0x80, v2, v3
.LBB142_3781:
	s_or_b32 exec_lo, exec_lo, s8
.LBB142_3782:
	s_delay_alu instid0(SALU_CYCLE_1)
	s_or_b32 exec_lo, exec_lo, s6
	global_store_b8 v[8:9], v4, off
.LBB142_3783:
	s_mov_b32 s6, -1
.LBB142_3784:
	s_mov_b32 s7, 0
.LBB142_3785:
	s_delay_alu instid0(SALU_CYCLE_1)
	s_and_b32 vcc_lo, exec_lo, s7
	s_cbranch_vccz .LBB142_3825
; %bb.3786:
	s_cmp_gt_i32 s2, 22
	s_mov_b32 s3, -1
	s_cbranch_scc0 .LBB142_3818
; %bb.3787:
	s_cmp_lt_i32 s2, 24
	s_cbranch_scc1 .LBB142_3807
; %bb.3788:
	s_cmp_gt_i32 s2, 24
	s_cbranch_scc0 .LBB142_3796
; %bb.3789:
	s_wait_xcnt 0x0
	v_cvt_f32_f64_e32 v2, v[0:1]
	v_mov_b32_e32 v4, 0x80
	s_mov_b32 s3, exec_lo
	s_delay_alu instid0(VALU_DEP_2) | instskip(NEXT) | instid1(VALU_DEP_1)
	v_and_b32_e32 v3, 0x7fffffff, v2
	v_cmpx_gt_u32_e32 0x47800000, v3
	s_cbranch_execz .LBB142_3795
; %bb.3790:
	v_cmp_lt_u32_e32 vcc_lo, 0x37ffffff, v3
	s_mov_b32 s6, 0
                                        ; implicit-def: $vgpr3
	s_and_saveexec_b32 s7, vcc_lo
	s_delay_alu instid0(SALU_CYCLE_1)
	s_xor_b32 s7, exec_lo, s7
	s_cbranch_execz .LBB142_4120
; %bb.3791:
	v_bfe_u32 v3, v2, 21, 1
	s_mov_b32 s6, exec_lo
	s_delay_alu instid0(VALU_DEP_1) | instskip(NEXT) | instid1(VALU_DEP_1)
	v_add3_u32 v3, v2, v3, 0x88fffff
	v_lshrrev_b32_e32 v3, 21, v3
	s_and_not1_saveexec_b32 s7, s7
	s_cbranch_execnz .LBB142_4121
.LBB142_3792:
	s_or_b32 exec_lo, exec_lo, s7
	v_mov_b32_e32 v4, 0
	s_and_saveexec_b32 s7, s6
.LBB142_3793:
	v_lshrrev_b32_e32 v2, 24, v2
	s_delay_alu instid0(VALU_DEP_1)
	v_and_or_b32 v4, 0x80, v2, v3
.LBB142_3794:
	s_or_b32 exec_lo, exec_lo, s7
.LBB142_3795:
	s_delay_alu instid0(SALU_CYCLE_1)
	s_or_b32 exec_lo, exec_lo, s3
	s_mov_b32 s3, 0
	global_store_b8 v[8:9], v4, off
.LBB142_3796:
	s_and_b32 vcc_lo, exec_lo, s3
	s_cbranch_vccz .LBB142_3806
; %bb.3797:
	s_wait_xcnt 0x0
	v_cvt_f32_f64_e32 v2, v[0:1]
	s_mov_b32 s3, exec_lo
                                        ; implicit-def: $vgpr3
	s_delay_alu instid0(VALU_DEP_1) | instskip(NEXT) | instid1(VALU_DEP_1)
	v_and_b32_e32 v4, 0x7fffffff, v2
	v_cmpx_gt_u32_e32 0x43f00000, v4
	s_xor_b32 s3, exec_lo, s3
	s_cbranch_execz .LBB142_3803
; %bb.3798:
	s_mov_b32 s6, exec_lo
                                        ; implicit-def: $vgpr3
	v_cmpx_lt_u32_e32 0x3c7fffff, v4
	s_xor_b32 s6, exec_lo, s6
; %bb.3799:
	v_bfe_u32 v3, v2, 20, 1
	s_delay_alu instid0(VALU_DEP_1) | instskip(NEXT) | instid1(VALU_DEP_1)
	v_add3_u32 v3, v2, v3, 0x407ffff
	v_and_b32_e32 v4, 0xff00000, v3
	v_lshrrev_b32_e32 v3, 20, v3
	s_delay_alu instid0(VALU_DEP_2) | instskip(NEXT) | instid1(VALU_DEP_2)
	v_cmp_ne_u32_e32 vcc_lo, 0x7f00000, v4
	v_cndmask_b32_e32 v3, 0x7e, v3, vcc_lo
; %bb.3800:
	s_and_not1_saveexec_b32 s6, s6
; %bb.3801:
	v_add_f32_e64 v3, 0x46800000, |v2|
; %bb.3802:
	s_or_b32 exec_lo, exec_lo, s6
                                        ; implicit-def: $vgpr4
.LBB142_3803:
	s_and_not1_saveexec_b32 s3, s3
; %bb.3804:
	v_mov_b32_e32 v3, 0x7f
	v_cmp_lt_u32_e32 vcc_lo, 0x7f800000, v4
	s_delay_alu instid0(VALU_DEP_2)
	v_cndmask_b32_e32 v3, 0x7e, v3, vcc_lo
; %bb.3805:
	s_or_b32 exec_lo, exec_lo, s3
	v_lshrrev_b32_e32 v2, 24, v2
	s_delay_alu instid0(VALU_DEP_1)
	v_and_or_b32 v2, 0x80, v2, v3
	global_store_b8 v[8:9], v2, off
.LBB142_3806:
	s_mov_b32 s3, 0
.LBB142_3807:
	s_delay_alu instid0(SALU_CYCLE_1)
	s_and_not1_b32 vcc_lo, exec_lo, s3
	s_cbranch_vccnz .LBB142_3817
; %bb.3808:
	s_wait_xcnt 0x0
	v_cvt_f32_f64_e32 v2, v[0:1]
	s_mov_b32 s3, exec_lo
                                        ; implicit-def: $vgpr3
	s_delay_alu instid0(VALU_DEP_1) | instskip(NEXT) | instid1(VALU_DEP_1)
	v_and_b32_e32 v4, 0x7fffffff, v2
	v_cmpx_gt_u32_e32 0x47800000, v4
	s_xor_b32 s3, exec_lo, s3
	s_cbranch_execz .LBB142_3814
; %bb.3809:
	s_mov_b32 s6, exec_lo
                                        ; implicit-def: $vgpr3
	v_cmpx_lt_u32_e32 0x387fffff, v4
	s_xor_b32 s6, exec_lo, s6
; %bb.3810:
	v_bfe_u32 v3, v2, 21, 1
	s_delay_alu instid0(VALU_DEP_1) | instskip(NEXT) | instid1(VALU_DEP_1)
	v_add3_u32 v3, v2, v3, 0x80fffff
	v_lshrrev_b32_e32 v3, 21, v3
; %bb.3811:
	s_and_not1_saveexec_b32 s6, s6
; %bb.3812:
	v_add_f32_e64 v3, 0x43000000, |v2|
; %bb.3813:
	s_or_b32 exec_lo, exec_lo, s6
                                        ; implicit-def: $vgpr4
.LBB142_3814:
	s_and_not1_saveexec_b32 s3, s3
; %bb.3815:
	v_mov_b32_e32 v3, 0x7f
	v_cmp_lt_u32_e32 vcc_lo, 0x7f800000, v4
	s_delay_alu instid0(VALU_DEP_2)
	v_cndmask_b32_e32 v3, 0x7c, v3, vcc_lo
; %bb.3816:
	s_or_b32 exec_lo, exec_lo, s3
	v_lshrrev_b32_e32 v2, 24, v2
	s_delay_alu instid0(VALU_DEP_1)
	v_and_or_b32 v2, 0x80, v2, v3
	global_store_b8 v[8:9], v2, off
.LBB142_3817:
	s_mov_b32 s3, 0
	s_mov_b32 s6, -1
.LBB142_3818:
	s_and_not1_b32 vcc_lo, exec_lo, s3
	s_mov_b32 s3, 0
	s_cbranch_vccnz .LBB142_3825
; %bb.3819:
	s_cmp_gt_i32 s2, 14
	s_mov_b32 s3, -1
	s_cbranch_scc0 .LBB142_3823
; %bb.3820:
	s_cmp_eq_u32 s2, 15
	s_mov_b32 s0, -1
	s_cbranch_scc0 .LBB142_3822
; %bb.3821:
	s_wait_xcnt 0x0
	v_cvt_f32_f64_e32 v2, v[0:1]
	s_mov_b32 s0, 0
	s_mov_b32 s6, -1
	s_delay_alu instid0(VALU_DEP_1) | instskip(SKIP_1) | instid1(VALU_DEP_2)
	v_bfe_u32 v3, v2, 16, 1
	v_cmp_o_f32_e32 vcc_lo, v2, v2
	v_add3_u32 v3, v2, v3, 0x7fff
	s_delay_alu instid0(VALU_DEP_1) | instskip(NEXT) | instid1(VALU_DEP_1)
	v_lshrrev_b32_e32 v3, 16, v3
	v_cndmask_b32_e32 v2, 0x7fc0, v3, vcc_lo
	global_store_b16 v[8:9], v2, off
.LBB142_3822:
	s_mov_b32 s3, 0
.LBB142_3823:
	s_delay_alu instid0(SALU_CYCLE_1)
	s_and_b32 vcc_lo, exec_lo, s3
	s_mov_b32 s3, 0
	s_cbranch_vccz .LBB142_3825
; %bb.3824:
	s_cmp_lg_u32 s2, 11
	s_mov_b32 s3, -1
	s_cselect_b32 s0, -1, 0
.LBB142_3825:
	s_delay_alu instid0(SALU_CYCLE_1)
	s_and_b32 vcc_lo, exec_lo, s0
	s_cbranch_vccnz .LBB142_4119
; %bb.3826:
	s_and_not1_b32 vcc_lo, exec_lo, s3
	s_cbranch_vccnz .LBB142_3828
.LBB142_3827:
	v_cmp_neq_f64_e32 vcc_lo, 0, v[0:1]
	s_mov_b32 s6, -1
	s_wait_xcnt 0x0
	v_cndmask_b32_e64 v2, 0, 1, vcc_lo
	global_store_b8 v[8:9], v2, off
.LBB142_3828:
	s_mov_b32 s0, 0
	s_branch .LBB142_3830
.LBB142_3829:
	s_mov_b32 s0, -1
	s_mov_b32 s6, 0
.LBB142_3830:
	s_and_b32 vcc_lo, exec_lo, s0
	s_cbranch_vccz .LBB142_3869
; %bb.3831:
	s_and_b32 s0, 0xffff, s20
	s_mov_b32 s2, -1
	s_cmp_lt_i32 s0, 5
	s_cbranch_scc1 .LBB142_3852
; %bb.3832:
	s_cmp_lt_i32 s0, 8
	s_cbranch_scc1 .LBB142_3842
; %bb.3833:
	;; [unrolled: 3-line block ×3, first 2 shown]
	s_cmp_gt_i32 s0, 9
	s_cbranch_scc0 .LBB142_3836
; %bb.3835:
	s_wait_xcnt 0x0
	v_mov_b32_e32 v2, 0
	s_mov_b32 s2, 0
	s_delay_alu instid0(VALU_DEP_1)
	v_mov_b32_e32 v3, v2
	global_store_b128 v[8:9], v[0:3], off
.LBB142_3836:
	s_and_not1_b32 vcc_lo, exec_lo, s2
	s_cbranch_vccnz .LBB142_3838
; %bb.3837:
	s_wait_xcnt 0x0
	v_cvt_f32_f64_e32 v2, v[0:1]
	v_mov_b32_e32 v3, 0
	global_store_b64 v[8:9], v[2:3], off
.LBB142_3838:
	s_mov_b32 s2, 0
.LBB142_3839:
	s_delay_alu instid0(SALU_CYCLE_1)
	s_and_not1_b32 vcc_lo, exec_lo, s2
	s_cbranch_vccnz .LBB142_3841
; %bb.3840:
	s_wait_xcnt 0x0
	v_and_or_b32 v2, 0x1ff, v1, v0
	v_lshrrev_b32_e32 v3, 8, v1
	v_bfe_u32 v4, v1, 20, 11
	s_delay_alu instid0(VALU_DEP_3) | instskip(NEXT) | instid1(VALU_DEP_2)
	v_cmp_ne_u32_e32 vcc_lo, 0, v2
	v_sub_nc_u32_e32 v5, 0x3f1, v4
	v_add_nc_u32_e32 v4, 0xfffffc10, v4
	v_cndmask_b32_e64 v2, 0, 1, vcc_lo
	s_delay_alu instid0(VALU_DEP_1) | instskip(NEXT) | instid1(VALU_DEP_4)
	v_and_or_b32 v2, 0xffe, v3, v2
	v_med3_i32 v3, v5, 0, 13
	s_delay_alu instid0(VALU_DEP_2) | instskip(NEXT) | instid1(VALU_DEP_1)
	v_or_b32_e32 v5, 0x1000, v2
	v_lshrrev_b32_e32 v7, v3, v5
	s_delay_alu instid0(VALU_DEP_1) | instskip(NEXT) | instid1(VALU_DEP_1)
	v_lshlrev_b32_e32 v3, v3, v7
	v_cmp_ne_u32_e32 vcc_lo, v3, v5
	v_lshl_or_b32 v5, v4, 12, v2
	v_cndmask_b32_e64 v3, 0, 1, vcc_lo
	v_cmp_gt_i32_e32 vcc_lo, 1, v4
	s_delay_alu instid0(VALU_DEP_2) | instskip(NEXT) | instid1(VALU_DEP_1)
	v_or_b32_e32 v3, v7, v3
	v_cndmask_b32_e32 v3, v5, v3, vcc_lo
	s_delay_alu instid0(VALU_DEP_1) | instskip(NEXT) | instid1(VALU_DEP_1)
	v_dual_lshrrev_b32 v3, 2, v3 :: v_dual_bitop2_b32 v5, 7, v3 bitop3:0x40
	v_cmp_lt_i32_e32 vcc_lo, 5, v5
	v_cndmask_b32_e64 v7, 0, 1, vcc_lo
	v_cmp_eq_u32_e32 vcc_lo, 3, v5
	v_cndmask_b32_e64 v5, 0, 1, vcc_lo
	v_cmp_ne_u32_e32 vcc_lo, 0, v2
	s_delay_alu instid0(VALU_DEP_2) | instskip(SKIP_1) | instid1(VALU_DEP_1)
	v_or_b32_e32 v5, v5, v7
	v_mov_b32_e32 v7, 0x7e00
	v_dual_cndmask_b32 v2, 0x7c00, v7 :: v_dual_add_nc_u32 v3, v3, v5
	v_cmp_gt_i32_e32 vcc_lo, 31, v4
	v_lshrrev_b32_e32 v5, 16, v1
	s_delay_alu instid0(VALU_DEP_3) | instskip(SKIP_1) | instid1(VALU_DEP_2)
	v_cndmask_b32_e32 v3, 0x7c00, v3, vcc_lo
	v_cmp_eq_u32_e32 vcc_lo, 0x40f, v4
	v_cndmask_b32_e32 v2, v3, v2, vcc_lo
	s_delay_alu instid0(VALU_DEP_4) | instskip(NEXT) | instid1(VALU_DEP_1)
	v_and_b32_e32 v3, 0x8000, v5
	v_bitop3_b32 v2, v3, 0xffff, v2 bitop3:0xc8
	global_store_b32 v[8:9], v2, off
.LBB142_3841:
	s_mov_b32 s2, 0
.LBB142_3842:
	s_delay_alu instid0(SALU_CYCLE_1)
	s_and_not1_b32 vcc_lo, exec_lo, s2
	s_cbranch_vccnz .LBB142_3851
; %bb.3843:
	s_cmp_lt_i32 s0, 6
	s_mov_b32 s2, -1
	s_cbranch_scc1 .LBB142_3849
; %bb.3844:
	s_cmp_gt_i32 s0, 6
	s_cbranch_scc0 .LBB142_3846
; %bb.3845:
	s_mov_b32 s2, 0
	global_store_b64 v[8:9], v[0:1], off
.LBB142_3846:
	s_and_not1_b32 vcc_lo, exec_lo, s2
	s_cbranch_vccnz .LBB142_3848
; %bb.3847:
	s_wait_xcnt 0x0
	v_cvt_f32_f64_e32 v2, v[0:1]
	global_store_b32 v[8:9], v2, off
.LBB142_3848:
	s_mov_b32 s2, 0
.LBB142_3849:
	s_delay_alu instid0(SALU_CYCLE_1)
	s_and_not1_b32 vcc_lo, exec_lo, s2
	s_cbranch_vccnz .LBB142_3851
; %bb.3850:
	s_wait_xcnt 0x0
	v_and_or_b32 v2, 0x1ff, v1, v0
	v_lshrrev_b32_e32 v3, 8, v1
	v_bfe_u32 v4, v1, 20, 11
	s_delay_alu instid0(VALU_DEP_3) | instskip(NEXT) | instid1(VALU_DEP_2)
	v_cmp_ne_u32_e32 vcc_lo, 0, v2
	v_sub_nc_u32_e32 v5, 0x3f1, v4
	v_add_nc_u32_e32 v4, 0xfffffc10, v4
	v_cndmask_b32_e64 v2, 0, 1, vcc_lo
	s_delay_alu instid0(VALU_DEP_1) | instskip(NEXT) | instid1(VALU_DEP_4)
	v_and_or_b32 v2, 0xffe, v3, v2
	v_med3_i32 v3, v5, 0, 13
	s_delay_alu instid0(VALU_DEP_2) | instskip(NEXT) | instid1(VALU_DEP_1)
	v_or_b32_e32 v5, 0x1000, v2
	v_lshrrev_b32_e32 v7, v3, v5
	s_delay_alu instid0(VALU_DEP_1) | instskip(NEXT) | instid1(VALU_DEP_1)
	v_lshlrev_b32_e32 v3, v3, v7
	v_cmp_ne_u32_e32 vcc_lo, v3, v5
	v_lshl_or_b32 v5, v4, 12, v2
	v_cndmask_b32_e64 v3, 0, 1, vcc_lo
	v_cmp_gt_i32_e32 vcc_lo, 1, v4
	s_delay_alu instid0(VALU_DEP_2) | instskip(NEXT) | instid1(VALU_DEP_1)
	v_or_b32_e32 v3, v7, v3
	v_cndmask_b32_e32 v3, v5, v3, vcc_lo
	s_delay_alu instid0(VALU_DEP_1) | instskip(NEXT) | instid1(VALU_DEP_1)
	v_dual_lshrrev_b32 v3, 2, v3 :: v_dual_bitop2_b32 v5, 7, v3 bitop3:0x40
	v_cmp_lt_i32_e32 vcc_lo, 5, v5
	v_cndmask_b32_e64 v7, 0, 1, vcc_lo
	v_cmp_eq_u32_e32 vcc_lo, 3, v5
	v_cndmask_b32_e64 v5, 0, 1, vcc_lo
	v_cmp_ne_u32_e32 vcc_lo, 0, v2
	s_delay_alu instid0(VALU_DEP_2) | instskip(SKIP_1) | instid1(VALU_DEP_1)
	v_or_b32_e32 v5, v5, v7
	v_mov_b32_e32 v7, 0x7e00
	v_dual_cndmask_b32 v2, 0x7c00, v7 :: v_dual_add_nc_u32 v3, v3, v5
	v_cmp_gt_i32_e32 vcc_lo, 31, v4
	s_delay_alu instid0(VALU_DEP_2) | instskip(SKIP_1) | instid1(VALU_DEP_2)
	v_cndmask_b32_e32 v3, 0x7c00, v3, vcc_lo
	v_cmp_eq_u32_e32 vcc_lo, 0x40f, v4
	v_dual_cndmask_b32 v2, v3, v2 :: v_dual_lshrrev_b32 v3, 16, v1
	s_delay_alu instid0(VALU_DEP_1)
	v_and_or_b32 v2, 0x8000, v3, v2
	global_store_b16 v[8:9], v2, off
.LBB142_3851:
	s_mov_b32 s2, 0
.LBB142_3852:
	s_delay_alu instid0(SALU_CYCLE_1)
	s_and_not1_b32 vcc_lo, exec_lo, s2
	s_cbranch_vccnz .LBB142_3868
; %bb.3853:
	s_cmp_lt_i32 s0, 2
	s_mov_b32 s2, -1
	s_cbranch_scc1 .LBB142_3863
; %bb.3854:
	s_cmp_lt_i32 s0, 3
	s_cbranch_scc1 .LBB142_3860
; %bb.3855:
	s_cmp_gt_i32 s0, 3
	s_cbranch_scc0 .LBB142_3857
; %bb.3856:
	s_wait_xcnt 0x0
	v_trunc_f64_e32 v[2:3], v[0:1]
	s_mov_b32 s2, 0
	s_delay_alu instid0(VALU_DEP_1) | instskip(NEXT) | instid1(VALU_DEP_1)
	v_ldexp_f64 v[4:5], v[2:3], 0xffffffe0
	v_floor_f64_e32 v[4:5], v[4:5]
	s_delay_alu instid0(VALU_DEP_1) | instskip(SKIP_1) | instid1(VALU_DEP_2)
	v_fmamk_f64 v[2:3], v[4:5], 0xc1f00000, v[2:3]
	v_cvt_i32_f64_e32 v5, v[4:5]
	v_cvt_u32_f64_e32 v4, v[2:3]
	global_store_b64 v[8:9], v[4:5], off
.LBB142_3857:
	s_and_not1_b32 vcc_lo, exec_lo, s2
	s_cbranch_vccnz .LBB142_3859
; %bb.3858:
	s_wait_xcnt 0x0
	v_cvt_i32_f64_e32 v2, v[0:1]
	global_store_b32 v[8:9], v2, off
.LBB142_3859:
	s_mov_b32 s2, 0
.LBB142_3860:
	s_delay_alu instid0(SALU_CYCLE_1)
	s_and_not1_b32 vcc_lo, exec_lo, s2
	s_cbranch_vccnz .LBB142_3862
; %bb.3861:
	s_wait_xcnt 0x0
	v_cvt_i32_f64_e32 v2, v[0:1]
	global_store_b16 v[8:9], v2, off
.LBB142_3862:
	s_mov_b32 s2, 0
.LBB142_3863:
	s_delay_alu instid0(SALU_CYCLE_1)
	s_and_not1_b32 vcc_lo, exec_lo, s2
	s_cbranch_vccnz .LBB142_3868
; %bb.3864:
	s_cmp_gt_i32 s0, 0
	s_mov_b32 s0, -1
	s_cbranch_scc0 .LBB142_3866
; %bb.3865:
	s_wait_xcnt 0x0
	v_cvt_i32_f64_e32 v2, v[0:1]
	s_mov_b32 s0, 0
	global_store_b8 v[8:9], v2, off
.LBB142_3866:
	s_and_not1_b32 vcc_lo, exec_lo, s0
	s_cbranch_vccnz .LBB142_3868
; %bb.3867:
	s_wait_xcnt 0x0
	v_trunc_f64_e32 v[0:1], v[0:1]
	s_delay_alu instid0(VALU_DEP_1) | instskip(NEXT) | instid1(VALU_DEP_1)
	v_ldexp_f64 v[2:3], v[0:1], 0xffffffe0
	v_floor_f64_e32 v[2:3], v[2:3]
	s_delay_alu instid0(VALU_DEP_1) | instskip(NEXT) | instid1(VALU_DEP_1)
	v_fmamk_f64 v[0:1], v[2:3], 0xc1f00000, v[0:1]
	v_cvt_u32_f64_e32 v0, v[0:1]
	global_store_b8 v[8:9], v0, off
.LBB142_3868:
	s_mov_b32 s6, -1
.LBB142_3869:
	s_delay_alu instid0(SALU_CYCLE_1)
	s_and_not1_b32 vcc_lo, exec_lo, s6
	s_cbranch_vccnz .LBB142_4065
; %bb.3870:
	s_wait_xcnt 0x0
	v_max_num_f64_e32 v[0:1], v[14:15], v[14:15]
	v_max_num_f64_e32 v[2:3], v[10:11], v[10:11]
	;; [unrolled: 1-line block ×3, first 2 shown]
	v_cmp_u_f64_e32 vcc_lo, v[18:19], v[18:19]
	s_cmp_lt_i32 s20, 11
	s_delay_alu instid0(VALU_DEP_3) | instskip(NEXT) | instid1(VALU_DEP_1)
	v_max_num_f64_e32 v[0:1], v[2:3], v[0:1]
	v_dual_min_num_f64 v[0:1], v[0:1], v[4:5] :: v_dual_add_nc_u32 v4, s1, v6
	s_delay_alu instid0(VALU_DEP_1) | instskip(NEXT) | instid1(VALU_DEP_1)
	v_ashrrev_i32_e32 v5, 31, v4
	v_add_nc_u64_e32 v[6:7], s[4:5], v[4:5]
	s_delay_alu instid0(VALU_DEP_3) | instskip(SKIP_1) | instid1(VALU_DEP_2)
	v_dual_cndmask_b32 v1, v1, v19 :: v_dual_cndmask_b32 v0, v0, v18
	v_cmp_u_f64_e32 vcc_lo, v[14:15], v[14:15]
	v_dual_cndmask_b32 v0, v0, v14 :: v_dual_cndmask_b32 v1, v1, v15
	v_cmp_u_f64_e32 vcc_lo, v[10:11], v[10:11]
	s_delay_alu instid0(VALU_DEP_2)
	v_dual_cndmask_b32 v1, v1, v11 :: v_dual_cndmask_b32 v0, v0, v10
	s_cbranch_scc1 .LBB142_3948
; %bb.3871:
	s_and_b32 s2, 0xffff, s20
	s_mov_b32 s7, -1
	s_mov_b32 s3, 0
	s_cmp_gt_i32 s2, 25
	s_mov_b32 s6, 0
	s_mov_b32 s0, 0
	s_cbranch_scc0 .LBB142_3904
; %bb.3872:
	s_cmp_gt_i32 s2, 28
	s_cbranch_scc0 .LBB142_3887
; %bb.3873:
	s_cmp_gt_i32 s2, 43
	;; [unrolled: 3-line block ×3, first 2 shown]
	s_cbranch_scc0 .LBB142_3877
; %bb.3875:
	s_mov_b32 s0, -1
	s_mov_b32 s7, 0
	s_cmp_eq_u32 s2, 46
	s_cbranch_scc0 .LBB142_3877
; %bb.3876:
	v_cvt_f32_f64_e32 v2, v[0:1]
	s_mov_b32 s0, 0
	s_mov_b32 s6, -1
	s_delay_alu instid0(VALU_DEP_1) | instskip(SKIP_1) | instid1(VALU_DEP_2)
	v_bfe_u32 v3, v2, 16, 1
	v_cmp_o_f32_e32 vcc_lo, v2, v2
	v_add3_u32 v3, v2, v3, 0x7fff
	s_delay_alu instid0(VALU_DEP_1) | instskip(NEXT) | instid1(VALU_DEP_1)
	v_lshrrev_b32_e32 v3, 16, v3
	v_cndmask_b32_e32 v2, 0x7fc0, v3, vcc_lo
	global_store_b32 v[6:7], v2, off
.LBB142_3877:
	s_and_b32 vcc_lo, exec_lo, s7
	s_cbranch_vccz .LBB142_3882
; %bb.3878:
	s_cmp_eq_u32 s2, 44
	s_mov_b32 s0, -1
	s_cbranch_scc0 .LBB142_3882
; %bb.3879:
	s_wait_xcnt 0x0
	v_cvt_f32_f64_e32 v2, v[0:1]
	v_mov_b32_e32 v3, 0xff
	s_mov_b32 s6, exec_lo
	s_delay_alu instid0(VALU_DEP_2) | instskip(NEXT) | instid1(VALU_DEP_1)
	v_bfe_u32 v5, v2, 23, 8
	v_cmpx_ne_u32_e32 0xff, v5
	s_cbranch_execz .LBB142_3881
; %bb.3880:
	v_and_b32_e32 v3, 0x400000, v2
	v_and_or_b32 v5, 0x3fffff, v2, v5
	v_lshrrev_b32_e32 v2, 23, v2
	s_delay_alu instid0(VALU_DEP_3) | instskip(NEXT) | instid1(VALU_DEP_3)
	v_cmp_ne_u32_e32 vcc_lo, 0, v3
	v_cmp_ne_u32_e64 s0, 0, v5
	s_and_b32 s0, vcc_lo, s0
	s_delay_alu instid0(SALU_CYCLE_1) | instskip(NEXT) | instid1(VALU_DEP_1)
	v_cndmask_b32_e64 v3, 0, 1, s0
	v_add_nc_u32_e32 v3, v2, v3
.LBB142_3881:
	s_or_b32 exec_lo, exec_lo, s6
	s_mov_b32 s0, 0
	s_mov_b32 s6, -1
	global_store_b8 v[6:7], v3, off
.LBB142_3882:
	s_mov_b32 s7, 0
.LBB142_3883:
	s_delay_alu instid0(SALU_CYCLE_1)
	s_and_b32 vcc_lo, exec_lo, s7
	s_cbranch_vccz .LBB142_3886
; %bb.3884:
	s_cmp_eq_u32 s2, 29
	s_mov_b32 s0, -1
	s_cbranch_scc0 .LBB142_3886
; %bb.3885:
	s_wait_xcnt 0x0
	v_trunc_f64_e32 v[2:3], v[0:1]
	s_mov_b32 s0, 0
	s_mov_b32 s6, -1
	s_delay_alu instid0(VALU_DEP_1) | instskip(NEXT) | instid1(VALU_DEP_1)
	v_ldexp_f64 v[8:9], v[2:3], 0xffffffe0
	v_floor_f64_e32 v[8:9], v[8:9]
	s_delay_alu instid0(VALU_DEP_1) | instskip(SKIP_1) | instid1(VALU_DEP_2)
	v_fmamk_f64 v[2:3], v[8:9], 0xc1f00000, v[2:3]
	v_cvt_u32_f64_e32 v9, v[8:9]
	v_cvt_u32_f64_e32 v8, v[2:3]
	global_store_b64 v[6:7], v[8:9], off
.LBB142_3886:
	s_mov_b32 s7, 0
.LBB142_3887:
	s_delay_alu instid0(SALU_CYCLE_1)
	s_and_b32 vcc_lo, exec_lo, s7
	s_cbranch_vccz .LBB142_3903
; %bb.3888:
	s_cmp_lt_i32 s2, 27
	s_mov_b32 s6, -1
	s_cbranch_scc1 .LBB142_3894
; %bb.3889:
	s_wait_xcnt 0x0
	v_cvt_u32_f64_e32 v2, v[0:1]
	s_cmp_gt_i32 s2, 27
	s_cbranch_scc0 .LBB142_3891
; %bb.3890:
	s_mov_b32 s6, 0
	global_store_b32 v[6:7], v2, off
.LBB142_3891:
	s_and_not1_b32 vcc_lo, exec_lo, s6
	s_cbranch_vccnz .LBB142_3893
; %bb.3892:
	global_store_b16 v[6:7], v2, off
.LBB142_3893:
	s_mov_b32 s6, 0
.LBB142_3894:
	s_delay_alu instid0(SALU_CYCLE_1)
	s_and_not1_b32 vcc_lo, exec_lo, s6
	s_cbranch_vccnz .LBB142_3902
; %bb.3895:
	s_wait_xcnt 0x0
	v_cvt_f32_f64_e32 v2, v[0:1]
	v_mov_b32_e32 v5, 0x80
	s_mov_b32 s6, exec_lo
	s_delay_alu instid0(VALU_DEP_2) | instskip(NEXT) | instid1(VALU_DEP_1)
	v_and_b32_e32 v3, 0x7fffffff, v2
	v_cmpx_gt_u32_e32 0x43800000, v3
	s_cbranch_execz .LBB142_3901
; %bb.3896:
	v_cmp_lt_u32_e32 vcc_lo, 0x3bffffff, v3
	s_mov_b32 s7, 0
                                        ; implicit-def: $vgpr3
	s_and_saveexec_b32 s8, vcc_lo
	s_delay_alu instid0(SALU_CYCLE_1)
	s_xor_b32 s8, exec_lo, s8
	s_cbranch_execz .LBB142_4122
; %bb.3897:
	v_bfe_u32 v3, v2, 20, 1
	s_mov_b32 s7, exec_lo
	s_delay_alu instid0(VALU_DEP_1) | instskip(NEXT) | instid1(VALU_DEP_1)
	v_add3_u32 v3, v2, v3, 0x487ffff
	v_lshrrev_b32_e32 v3, 20, v3
	s_and_not1_saveexec_b32 s8, s8
	s_cbranch_execnz .LBB142_4123
.LBB142_3898:
	s_or_b32 exec_lo, exec_lo, s8
	v_mov_b32_e32 v5, 0
	s_and_saveexec_b32 s8, s7
.LBB142_3899:
	v_lshrrev_b32_e32 v2, 24, v2
	s_delay_alu instid0(VALU_DEP_1)
	v_and_or_b32 v5, 0x80, v2, v3
.LBB142_3900:
	s_or_b32 exec_lo, exec_lo, s8
.LBB142_3901:
	s_delay_alu instid0(SALU_CYCLE_1)
	s_or_b32 exec_lo, exec_lo, s6
	global_store_b8 v[6:7], v5, off
.LBB142_3902:
	s_mov_b32 s6, -1
.LBB142_3903:
	s_mov_b32 s7, 0
.LBB142_3904:
	s_delay_alu instid0(SALU_CYCLE_1)
	s_and_b32 vcc_lo, exec_lo, s7
	s_cbranch_vccz .LBB142_3944
; %bb.3905:
	s_cmp_gt_i32 s2, 22
	s_mov_b32 s3, -1
	s_cbranch_scc0 .LBB142_3937
; %bb.3906:
	s_cmp_lt_i32 s2, 24
	s_cbranch_scc1 .LBB142_3926
; %bb.3907:
	s_cmp_gt_i32 s2, 24
	s_cbranch_scc0 .LBB142_3915
; %bb.3908:
	s_wait_xcnt 0x0
	v_cvt_f32_f64_e32 v2, v[0:1]
	v_mov_b32_e32 v5, 0x80
	s_mov_b32 s3, exec_lo
	s_delay_alu instid0(VALU_DEP_2) | instskip(NEXT) | instid1(VALU_DEP_1)
	v_and_b32_e32 v3, 0x7fffffff, v2
	v_cmpx_gt_u32_e32 0x47800000, v3
	s_cbranch_execz .LBB142_3914
; %bb.3909:
	v_cmp_lt_u32_e32 vcc_lo, 0x37ffffff, v3
	s_mov_b32 s6, 0
                                        ; implicit-def: $vgpr3
	s_and_saveexec_b32 s7, vcc_lo
	s_delay_alu instid0(SALU_CYCLE_1)
	s_xor_b32 s7, exec_lo, s7
	s_cbranch_execz .LBB142_4125
; %bb.3910:
	v_bfe_u32 v3, v2, 21, 1
	s_mov_b32 s6, exec_lo
	s_delay_alu instid0(VALU_DEP_1) | instskip(NEXT) | instid1(VALU_DEP_1)
	v_add3_u32 v3, v2, v3, 0x88fffff
	v_lshrrev_b32_e32 v3, 21, v3
	s_and_not1_saveexec_b32 s7, s7
	s_cbranch_execnz .LBB142_4126
.LBB142_3911:
	s_or_b32 exec_lo, exec_lo, s7
	v_mov_b32_e32 v5, 0
	s_and_saveexec_b32 s7, s6
.LBB142_3912:
	v_lshrrev_b32_e32 v2, 24, v2
	s_delay_alu instid0(VALU_DEP_1)
	v_and_or_b32 v5, 0x80, v2, v3
.LBB142_3913:
	s_or_b32 exec_lo, exec_lo, s7
.LBB142_3914:
	s_delay_alu instid0(SALU_CYCLE_1)
	s_or_b32 exec_lo, exec_lo, s3
	s_mov_b32 s3, 0
	global_store_b8 v[6:7], v5, off
.LBB142_3915:
	s_and_b32 vcc_lo, exec_lo, s3
	s_cbranch_vccz .LBB142_3925
; %bb.3916:
	s_wait_xcnt 0x0
	v_cvt_f32_f64_e32 v2, v[0:1]
	s_mov_b32 s3, exec_lo
                                        ; implicit-def: $vgpr3
	s_delay_alu instid0(VALU_DEP_1) | instskip(NEXT) | instid1(VALU_DEP_1)
	v_and_b32_e32 v5, 0x7fffffff, v2
	v_cmpx_gt_u32_e32 0x43f00000, v5
	s_xor_b32 s3, exec_lo, s3
	s_cbranch_execz .LBB142_3922
; %bb.3917:
	s_mov_b32 s6, exec_lo
                                        ; implicit-def: $vgpr3
	v_cmpx_lt_u32_e32 0x3c7fffff, v5
	s_xor_b32 s6, exec_lo, s6
; %bb.3918:
	v_bfe_u32 v3, v2, 20, 1
	s_delay_alu instid0(VALU_DEP_1) | instskip(NEXT) | instid1(VALU_DEP_1)
	v_add3_u32 v3, v2, v3, 0x407ffff
	v_and_b32_e32 v5, 0xff00000, v3
	v_lshrrev_b32_e32 v3, 20, v3
	s_delay_alu instid0(VALU_DEP_2) | instskip(NEXT) | instid1(VALU_DEP_2)
	v_cmp_ne_u32_e32 vcc_lo, 0x7f00000, v5
	v_cndmask_b32_e32 v3, 0x7e, v3, vcc_lo
; %bb.3919:
	s_and_not1_saveexec_b32 s6, s6
; %bb.3920:
	v_add_f32_e64 v3, 0x46800000, |v2|
; %bb.3921:
	s_or_b32 exec_lo, exec_lo, s6
                                        ; implicit-def: $vgpr5
.LBB142_3922:
	s_and_not1_saveexec_b32 s3, s3
; %bb.3923:
	v_mov_b32_e32 v3, 0x7f
	v_cmp_lt_u32_e32 vcc_lo, 0x7f800000, v5
	s_delay_alu instid0(VALU_DEP_2)
	v_cndmask_b32_e32 v3, 0x7e, v3, vcc_lo
; %bb.3924:
	s_or_b32 exec_lo, exec_lo, s3
	v_lshrrev_b32_e32 v2, 24, v2
	s_delay_alu instid0(VALU_DEP_1)
	v_and_or_b32 v2, 0x80, v2, v3
	global_store_b8 v[6:7], v2, off
.LBB142_3925:
	s_mov_b32 s3, 0
.LBB142_3926:
	s_delay_alu instid0(SALU_CYCLE_1)
	s_and_not1_b32 vcc_lo, exec_lo, s3
	s_cbranch_vccnz .LBB142_3936
; %bb.3927:
	s_wait_xcnt 0x0
	v_cvt_f32_f64_e32 v2, v[0:1]
	s_mov_b32 s3, exec_lo
                                        ; implicit-def: $vgpr3
	s_delay_alu instid0(VALU_DEP_1) | instskip(NEXT) | instid1(VALU_DEP_1)
	v_and_b32_e32 v5, 0x7fffffff, v2
	v_cmpx_gt_u32_e32 0x47800000, v5
	s_xor_b32 s3, exec_lo, s3
	s_cbranch_execz .LBB142_3933
; %bb.3928:
	s_mov_b32 s6, exec_lo
                                        ; implicit-def: $vgpr3
	v_cmpx_lt_u32_e32 0x387fffff, v5
	s_xor_b32 s6, exec_lo, s6
; %bb.3929:
	v_bfe_u32 v3, v2, 21, 1
	s_delay_alu instid0(VALU_DEP_1) | instskip(NEXT) | instid1(VALU_DEP_1)
	v_add3_u32 v3, v2, v3, 0x80fffff
	v_lshrrev_b32_e32 v3, 21, v3
; %bb.3930:
	s_and_not1_saveexec_b32 s6, s6
; %bb.3931:
	v_add_f32_e64 v3, 0x43000000, |v2|
; %bb.3932:
	s_or_b32 exec_lo, exec_lo, s6
                                        ; implicit-def: $vgpr5
.LBB142_3933:
	s_and_not1_saveexec_b32 s3, s3
; %bb.3934:
	v_mov_b32_e32 v3, 0x7f
	v_cmp_lt_u32_e32 vcc_lo, 0x7f800000, v5
	s_delay_alu instid0(VALU_DEP_2)
	v_cndmask_b32_e32 v3, 0x7c, v3, vcc_lo
; %bb.3935:
	s_or_b32 exec_lo, exec_lo, s3
	v_lshrrev_b32_e32 v2, 24, v2
	s_delay_alu instid0(VALU_DEP_1)
	v_and_or_b32 v2, 0x80, v2, v3
	global_store_b8 v[6:7], v2, off
.LBB142_3936:
	s_mov_b32 s3, 0
	s_mov_b32 s6, -1
.LBB142_3937:
	s_and_not1_b32 vcc_lo, exec_lo, s3
	s_mov_b32 s3, 0
	s_cbranch_vccnz .LBB142_3944
; %bb.3938:
	s_cmp_gt_i32 s2, 14
	s_mov_b32 s3, -1
	s_cbranch_scc0 .LBB142_3942
; %bb.3939:
	s_cmp_eq_u32 s2, 15
	s_mov_b32 s0, -1
	s_cbranch_scc0 .LBB142_3941
; %bb.3940:
	s_wait_xcnt 0x0
	v_cvt_f32_f64_e32 v2, v[0:1]
	s_mov_b32 s0, 0
	s_mov_b32 s6, -1
	s_delay_alu instid0(VALU_DEP_1) | instskip(SKIP_1) | instid1(VALU_DEP_2)
	v_bfe_u32 v3, v2, 16, 1
	v_cmp_o_f32_e32 vcc_lo, v2, v2
	v_add3_u32 v3, v2, v3, 0x7fff
	s_delay_alu instid0(VALU_DEP_1) | instskip(NEXT) | instid1(VALU_DEP_1)
	v_lshrrev_b32_e32 v3, 16, v3
	v_cndmask_b32_e32 v2, 0x7fc0, v3, vcc_lo
	global_store_b16 v[6:7], v2, off
.LBB142_3941:
	s_mov_b32 s3, 0
.LBB142_3942:
	s_delay_alu instid0(SALU_CYCLE_1)
	s_and_b32 vcc_lo, exec_lo, s3
	s_mov_b32 s3, 0
	s_cbranch_vccz .LBB142_3944
; %bb.3943:
	s_cmp_lg_u32 s2, 11
	s_mov_b32 s3, -1
	s_cselect_b32 s0, -1, 0
.LBB142_3944:
	s_delay_alu instid0(SALU_CYCLE_1)
	s_and_b32 vcc_lo, exec_lo, s0
	s_cbranch_vccnz .LBB142_4124
; %bb.3945:
	s_and_not1_b32 vcc_lo, exec_lo, s3
	s_cbranch_vccnz .LBB142_3947
.LBB142_3946:
	v_cmp_neq_f64_e32 vcc_lo, 0, v[0:1]
	s_mov_b32 s6, -1
	s_wait_xcnt 0x0
	v_cndmask_b32_e64 v2, 0, 1, vcc_lo
	global_store_b8 v[6:7], v2, off
.LBB142_3947:
	s_mov_b32 s0, 0
	s_branch .LBB142_3949
.LBB142_3948:
	s_mov_b32 s0, -1
	s_mov_b32 s6, 0
.LBB142_3949:
	s_and_b32 vcc_lo, exec_lo, s0
	s_cbranch_vccz .LBB142_3988
; %bb.3950:
	s_and_b32 s0, 0xffff, s20
	s_mov_b32 s2, -1
	s_cmp_lt_i32 s0, 5
	s_cbranch_scc1 .LBB142_3971
; %bb.3951:
	s_cmp_lt_i32 s0, 8
	s_cbranch_scc1 .LBB142_3961
; %bb.3952:
	s_cmp_lt_i32 s0, 9
	s_cbranch_scc1 .LBB142_3958
; %bb.3953:
	s_cmp_gt_i32 s0, 9
	s_cbranch_scc0 .LBB142_3955
; %bb.3954:
	s_wait_xcnt 0x0
	v_mov_b32_e32 v2, 0
	s_mov_b32 s2, 0
	s_delay_alu instid0(VALU_DEP_1)
	v_mov_b32_e32 v3, v2
	global_store_b128 v[6:7], v[0:3], off
.LBB142_3955:
	s_and_not1_b32 vcc_lo, exec_lo, s2
	s_cbranch_vccnz .LBB142_3957
; %bb.3956:
	s_wait_xcnt 0x0
	v_cvt_f32_f64_e32 v2, v[0:1]
	v_mov_b32_e32 v3, 0
	global_store_b64 v[6:7], v[2:3], off
.LBB142_3957:
	s_mov_b32 s2, 0
.LBB142_3958:
	s_delay_alu instid0(SALU_CYCLE_1)
	s_and_not1_b32 vcc_lo, exec_lo, s2
	s_cbranch_vccnz .LBB142_3960
; %bb.3959:
	s_wait_xcnt 0x0
	v_and_or_b32 v2, 0x1ff, v1, v0
	v_lshrrev_b32_e32 v3, 8, v1
	v_bfe_u32 v5, v1, 20, 11
	s_delay_alu instid0(VALU_DEP_3) | instskip(NEXT) | instid1(VALU_DEP_2)
	v_cmp_ne_u32_e32 vcc_lo, 0, v2
	v_sub_nc_u32_e32 v8, 0x3f1, v5
	v_add_nc_u32_e32 v5, 0xfffffc10, v5
	v_cndmask_b32_e64 v2, 0, 1, vcc_lo
	s_delay_alu instid0(VALU_DEP_1) | instskip(NEXT) | instid1(VALU_DEP_4)
	v_and_or_b32 v2, 0xffe, v3, v2
	v_med3_i32 v3, v8, 0, 13
	s_delay_alu instid0(VALU_DEP_2) | instskip(NEXT) | instid1(VALU_DEP_1)
	v_or_b32_e32 v8, 0x1000, v2
	v_lshrrev_b32_e32 v9, v3, v8
	s_delay_alu instid0(VALU_DEP_1) | instskip(NEXT) | instid1(VALU_DEP_1)
	v_lshlrev_b32_e32 v3, v3, v9
	v_cmp_ne_u32_e32 vcc_lo, v3, v8
	v_lshl_or_b32 v8, v5, 12, v2
	v_cndmask_b32_e64 v3, 0, 1, vcc_lo
	v_cmp_gt_i32_e32 vcc_lo, 1, v5
	s_delay_alu instid0(VALU_DEP_2) | instskip(NEXT) | instid1(VALU_DEP_1)
	v_or_b32_e32 v3, v9, v3
	v_cndmask_b32_e32 v3, v8, v3, vcc_lo
	s_delay_alu instid0(VALU_DEP_1) | instskip(NEXT) | instid1(VALU_DEP_1)
	v_dual_lshrrev_b32 v3, 2, v3 :: v_dual_bitop2_b32 v8, 7, v3 bitop3:0x40
	v_cmp_lt_i32_e32 vcc_lo, 5, v8
	v_cndmask_b32_e64 v9, 0, 1, vcc_lo
	v_cmp_eq_u32_e32 vcc_lo, 3, v8
	v_cndmask_b32_e64 v8, 0, 1, vcc_lo
	v_cmp_ne_u32_e32 vcc_lo, 0, v2
	s_delay_alu instid0(VALU_DEP_2) | instskip(SKIP_1) | instid1(VALU_DEP_1)
	v_or_b32_e32 v8, v8, v9
	v_mov_b32_e32 v9, 0x7e00
	v_dual_cndmask_b32 v2, 0x7c00, v9 :: v_dual_add_nc_u32 v3, v3, v8
	v_cmp_gt_i32_e32 vcc_lo, 31, v5
	s_delay_alu instid0(VALU_DEP_2) | instskip(SKIP_1) | instid1(VALU_DEP_2)
	v_dual_cndmask_b32 v3, 0x7c00, v3 :: v_dual_lshrrev_b32 v8, 16, v1
	v_cmp_eq_u32_e32 vcc_lo, 0x40f, v5
	v_cndmask_b32_e32 v2, v3, v2, vcc_lo
	s_delay_alu instid0(VALU_DEP_3) | instskip(NEXT) | instid1(VALU_DEP_1)
	v_and_b32_e32 v3, 0x8000, v8
	v_bitop3_b32 v2, v3, 0xffff, v2 bitop3:0xc8
	global_store_b32 v[6:7], v2, off
.LBB142_3960:
	s_mov_b32 s2, 0
.LBB142_3961:
	s_delay_alu instid0(SALU_CYCLE_1)
	s_and_not1_b32 vcc_lo, exec_lo, s2
	s_cbranch_vccnz .LBB142_3970
; %bb.3962:
	s_cmp_lt_i32 s0, 6
	s_mov_b32 s2, -1
	s_cbranch_scc1 .LBB142_3968
; %bb.3963:
	s_cmp_gt_i32 s0, 6
	s_cbranch_scc0 .LBB142_3965
; %bb.3964:
	s_mov_b32 s2, 0
	global_store_b64 v[6:7], v[0:1], off
.LBB142_3965:
	s_and_not1_b32 vcc_lo, exec_lo, s2
	s_cbranch_vccnz .LBB142_3967
; %bb.3966:
	s_wait_xcnt 0x0
	v_cvt_f32_f64_e32 v2, v[0:1]
	global_store_b32 v[6:7], v2, off
.LBB142_3967:
	s_mov_b32 s2, 0
.LBB142_3968:
	s_delay_alu instid0(SALU_CYCLE_1)
	s_and_not1_b32 vcc_lo, exec_lo, s2
	s_cbranch_vccnz .LBB142_3970
; %bb.3969:
	s_wait_xcnt 0x0
	v_and_or_b32 v2, 0x1ff, v1, v0
	v_lshrrev_b32_e32 v3, 8, v1
	v_bfe_u32 v5, v1, 20, 11
	s_delay_alu instid0(VALU_DEP_3) | instskip(NEXT) | instid1(VALU_DEP_2)
	v_cmp_ne_u32_e32 vcc_lo, 0, v2
	v_sub_nc_u32_e32 v8, 0x3f1, v5
	v_add_nc_u32_e32 v5, 0xfffffc10, v5
	v_cndmask_b32_e64 v2, 0, 1, vcc_lo
	s_delay_alu instid0(VALU_DEP_1) | instskip(NEXT) | instid1(VALU_DEP_4)
	v_and_or_b32 v2, 0xffe, v3, v2
	v_med3_i32 v3, v8, 0, 13
	s_delay_alu instid0(VALU_DEP_2) | instskip(NEXT) | instid1(VALU_DEP_1)
	v_or_b32_e32 v8, 0x1000, v2
	v_lshrrev_b32_e32 v9, v3, v8
	s_delay_alu instid0(VALU_DEP_1) | instskip(NEXT) | instid1(VALU_DEP_1)
	v_lshlrev_b32_e32 v3, v3, v9
	v_cmp_ne_u32_e32 vcc_lo, v3, v8
	v_lshl_or_b32 v8, v5, 12, v2
	v_cndmask_b32_e64 v3, 0, 1, vcc_lo
	v_cmp_gt_i32_e32 vcc_lo, 1, v5
	s_delay_alu instid0(VALU_DEP_2) | instskip(NEXT) | instid1(VALU_DEP_1)
	v_or_b32_e32 v3, v9, v3
	v_cndmask_b32_e32 v3, v8, v3, vcc_lo
	s_delay_alu instid0(VALU_DEP_1) | instskip(NEXT) | instid1(VALU_DEP_1)
	v_dual_lshrrev_b32 v3, 2, v3 :: v_dual_bitop2_b32 v8, 7, v3 bitop3:0x40
	v_cmp_lt_i32_e32 vcc_lo, 5, v8
	v_cndmask_b32_e64 v9, 0, 1, vcc_lo
	v_cmp_eq_u32_e32 vcc_lo, 3, v8
	v_cndmask_b32_e64 v8, 0, 1, vcc_lo
	v_cmp_ne_u32_e32 vcc_lo, 0, v2
	s_delay_alu instid0(VALU_DEP_2) | instskip(SKIP_1) | instid1(VALU_DEP_1)
	v_or_b32_e32 v8, v8, v9
	v_mov_b32_e32 v9, 0x7e00
	v_dual_cndmask_b32 v2, 0x7c00, v9 :: v_dual_add_nc_u32 v3, v3, v8
	v_cmp_gt_i32_e32 vcc_lo, 31, v5
	s_delay_alu instid0(VALU_DEP_2) | instskip(SKIP_1) | instid1(VALU_DEP_2)
	v_cndmask_b32_e32 v3, 0x7c00, v3, vcc_lo
	v_cmp_eq_u32_e32 vcc_lo, 0x40f, v5
	v_dual_cndmask_b32 v2, v3, v2 :: v_dual_lshrrev_b32 v3, 16, v1
	s_delay_alu instid0(VALU_DEP_1)
	v_and_or_b32 v2, 0x8000, v3, v2
	global_store_b16 v[6:7], v2, off
.LBB142_3970:
	s_mov_b32 s2, 0
.LBB142_3971:
	s_delay_alu instid0(SALU_CYCLE_1)
	s_and_not1_b32 vcc_lo, exec_lo, s2
	s_cbranch_vccnz .LBB142_3987
; %bb.3972:
	s_cmp_lt_i32 s0, 2
	s_mov_b32 s2, -1
	s_cbranch_scc1 .LBB142_3982
; %bb.3973:
	s_cmp_lt_i32 s0, 3
	s_cbranch_scc1 .LBB142_3979
; %bb.3974:
	s_cmp_gt_i32 s0, 3
	s_cbranch_scc0 .LBB142_3976
; %bb.3975:
	s_wait_xcnt 0x0
	v_trunc_f64_e32 v[2:3], v[0:1]
	s_mov_b32 s2, 0
	s_delay_alu instid0(VALU_DEP_1) | instskip(NEXT) | instid1(VALU_DEP_1)
	v_ldexp_f64 v[8:9], v[2:3], 0xffffffe0
	v_floor_f64_e32 v[8:9], v[8:9]
	s_delay_alu instid0(VALU_DEP_1) | instskip(SKIP_1) | instid1(VALU_DEP_2)
	v_fmamk_f64 v[2:3], v[8:9], 0xc1f00000, v[2:3]
	v_cvt_i32_f64_e32 v9, v[8:9]
	v_cvt_u32_f64_e32 v8, v[2:3]
	global_store_b64 v[6:7], v[8:9], off
.LBB142_3976:
	s_and_not1_b32 vcc_lo, exec_lo, s2
	s_cbranch_vccnz .LBB142_3978
; %bb.3977:
	s_wait_xcnt 0x0
	v_cvt_i32_f64_e32 v2, v[0:1]
	global_store_b32 v[6:7], v2, off
.LBB142_3978:
	s_mov_b32 s2, 0
.LBB142_3979:
	s_delay_alu instid0(SALU_CYCLE_1)
	s_and_not1_b32 vcc_lo, exec_lo, s2
	s_cbranch_vccnz .LBB142_3981
; %bb.3980:
	s_wait_xcnt 0x0
	v_cvt_i32_f64_e32 v2, v[0:1]
	global_store_b16 v[6:7], v2, off
.LBB142_3981:
	s_mov_b32 s2, 0
.LBB142_3982:
	s_delay_alu instid0(SALU_CYCLE_1)
	s_and_not1_b32 vcc_lo, exec_lo, s2
	s_cbranch_vccnz .LBB142_3987
; %bb.3983:
	s_cmp_gt_i32 s0, 0
	s_mov_b32 s0, -1
	s_cbranch_scc0 .LBB142_3985
; %bb.3984:
	s_wait_xcnt 0x0
	v_cvt_i32_f64_e32 v2, v[0:1]
	s_mov_b32 s0, 0
	global_store_b8 v[6:7], v2, off
.LBB142_3985:
	s_and_not1_b32 vcc_lo, exec_lo, s0
	s_cbranch_vccnz .LBB142_3987
; %bb.3986:
	s_wait_xcnt 0x0
	v_trunc_f64_e32 v[0:1], v[0:1]
	s_delay_alu instid0(VALU_DEP_1) | instskip(NEXT) | instid1(VALU_DEP_1)
	v_ldexp_f64 v[2:3], v[0:1], 0xffffffe0
	v_floor_f64_e32 v[2:3], v[2:3]
	s_delay_alu instid0(VALU_DEP_1) | instskip(NEXT) | instid1(VALU_DEP_1)
	v_fmamk_f64 v[0:1], v[2:3], 0xc1f00000, v[0:1]
	v_cvt_u32_f64_e32 v0, v[0:1]
	global_store_b8 v[6:7], v0, off
.LBB142_3987:
	s_mov_b32 s6, -1
.LBB142_3988:
	s_delay_alu instid0(SALU_CYCLE_1)
	s_and_not1_b32 vcc_lo, exec_lo, s6
	s_cbranch_vccnz .LBB142_4065
; %bb.3989:
	s_wait_xcnt 0x0
	v_max_num_f64_e32 v[0:1], v[20:21], v[20:21]
	v_max_num_f64_e32 v[2:3], v[16:17], v[16:17]
	;; [unrolled: 1-line block ×3, first 2 shown]
	v_cmp_u_f64_e32 vcc_lo, v[22:23], v[22:23]
	s_cmp_lt_i32 s20, 11
	s_delay_alu instid0(VALU_DEP_3) | instskip(NEXT) | instid1(VALU_DEP_1)
	v_max_num_f64_e32 v[0:1], v[2:3], v[0:1]
	v_min_num_f64_e32 v[0:1], v[0:1], v[6:7]
	s_delay_alu instid0(VALU_DEP_1) | instskip(SKIP_1) | instid1(VALU_DEP_2)
	v_dual_cndmask_b32 v1, v1, v23 :: v_dual_cndmask_b32 v0, v0, v22
	v_cmp_u_f64_e32 vcc_lo, v[20:21], v[20:21]
	v_dual_cndmask_b32 v2, v0, v20 :: v_dual_cndmask_b32 v3, v1, v21
	v_add_nc_u32_e32 v0, s1, v4
	v_cmp_u_f64_e32 vcc_lo, v[16:17], v[16:17]
	s_delay_alu instid0(VALU_DEP_2) | instskip(NEXT) | instid1(VALU_DEP_1)
	v_ashrrev_i32_e32 v1, 31, v0
	v_add_nc_u64_e32 v[4:5], s[4:5], v[0:1]
	v_dual_cndmask_b32 v1, v3, v17 :: v_dual_cndmask_b32 v0, v2, v16
	s_cbranch_scc1 .LBB142_4110
; %bb.3990:
	s_and_b32 s2, 0xffff, s20
	s_mov_b32 s3, -1
	s_mov_b32 s1, 0
	s_cmp_gt_i32 s2, 25
	s_mov_b32 s0, 0
	s_cbranch_scc0 .LBB142_4023
; %bb.3991:
	s_cmp_gt_i32 s2, 28
	s_cbranch_scc0 .LBB142_4007
; %bb.3992:
	s_cmp_gt_i32 s2, 43
	;; [unrolled: 3-line block ×3, first 2 shown]
	s_cbranch_scc0 .LBB142_3997
; %bb.3994:
	s_cmp_eq_u32 s2, 46
	s_mov_b32 s0, -1
	s_cbranch_scc0 .LBB142_3996
; %bb.3995:
	v_cvt_f32_f64_e32 v2, v[0:1]
	s_mov_b32 s0, 0
	s_delay_alu instid0(VALU_DEP_1) | instskip(SKIP_1) | instid1(VALU_DEP_2)
	v_bfe_u32 v3, v2, 16, 1
	v_cmp_o_f32_e32 vcc_lo, v2, v2
	v_add3_u32 v3, v2, v3, 0x7fff
	s_delay_alu instid0(VALU_DEP_1) | instskip(NEXT) | instid1(VALU_DEP_1)
	v_lshrrev_b32_e32 v3, 16, v3
	v_cndmask_b32_e32 v2, 0x7fc0, v3, vcc_lo
	global_store_b32 v[4:5], v2, off
.LBB142_3996:
	s_mov_b32 s3, 0
.LBB142_3997:
	s_delay_alu instid0(SALU_CYCLE_1)
	s_and_b32 vcc_lo, exec_lo, s3
	s_cbranch_vccz .LBB142_4002
; %bb.3998:
	s_cmp_eq_u32 s2, 44
	s_mov_b32 s0, -1
	s_cbranch_scc0 .LBB142_4002
; %bb.3999:
	s_wait_xcnt 0x0
	v_cvt_f32_f64_e32 v2, v[0:1]
	v_mov_b32_e32 v3, 0xff
	s_mov_b32 s3, exec_lo
	s_delay_alu instid0(VALU_DEP_2) | instskip(NEXT) | instid1(VALU_DEP_1)
	v_bfe_u32 v6, v2, 23, 8
	v_cmpx_ne_u32_e32 0xff, v6
	s_cbranch_execz .LBB142_4001
; %bb.4000:
	v_and_b32_e32 v3, 0x400000, v2
	v_and_or_b32 v6, 0x3fffff, v2, v6
	v_lshrrev_b32_e32 v2, 23, v2
	s_delay_alu instid0(VALU_DEP_3) | instskip(NEXT) | instid1(VALU_DEP_3)
	v_cmp_ne_u32_e32 vcc_lo, 0, v3
	v_cmp_ne_u32_e64 s0, 0, v6
	s_and_b32 s0, vcc_lo, s0
	s_delay_alu instid0(SALU_CYCLE_1) | instskip(NEXT) | instid1(VALU_DEP_1)
	v_cndmask_b32_e64 v3, 0, 1, s0
	v_add_nc_u32_e32 v3, v2, v3
.LBB142_4001:
	s_or_b32 exec_lo, exec_lo, s3
	s_mov_b32 s0, 0
	global_store_b8 v[4:5], v3, off
.LBB142_4002:
	s_mov_b32 s3, 0
.LBB142_4003:
	s_delay_alu instid0(SALU_CYCLE_1)
	s_and_b32 vcc_lo, exec_lo, s3
	s_cbranch_vccz .LBB142_4006
; %bb.4004:
	s_cmp_eq_u32 s2, 29
	s_mov_b32 s0, -1
	s_cbranch_scc0 .LBB142_4006
; %bb.4005:
	s_wait_xcnt 0x0
	v_trunc_f64_e32 v[2:3], v[0:1]
	s_mov_b32 s0, 0
	s_delay_alu instid0(VALU_DEP_1) | instskip(NEXT) | instid1(VALU_DEP_1)
	v_ldexp_f64 v[6:7], v[2:3], 0xffffffe0
	v_floor_f64_e32 v[6:7], v[6:7]
	s_delay_alu instid0(VALU_DEP_1) | instskip(SKIP_1) | instid1(VALU_DEP_2)
	v_fmamk_f64 v[2:3], v[6:7], 0xc1f00000, v[2:3]
	v_cvt_u32_f64_e32 v7, v[6:7]
	v_cvt_u32_f64_e32 v6, v[2:3]
	global_store_b64 v[4:5], v[6:7], off
.LBB142_4006:
	s_mov_b32 s3, 0
.LBB142_4007:
	s_delay_alu instid0(SALU_CYCLE_1)
	s_and_b32 vcc_lo, exec_lo, s3
	s_cbranch_vccz .LBB142_4022
; %bb.4008:
	s_cmp_lt_i32 s2, 27
	s_mov_b32 s3, -1
	s_cbranch_scc1 .LBB142_4014
; %bb.4009:
	s_wait_xcnt 0x0
	v_cvt_u32_f64_e32 v2, v[0:1]
	s_cmp_gt_i32 s2, 27
	s_cbranch_scc0 .LBB142_4011
; %bb.4010:
	s_mov_b32 s3, 0
	global_store_b32 v[4:5], v2, off
.LBB142_4011:
	s_and_not1_b32 vcc_lo, exec_lo, s3
	s_cbranch_vccnz .LBB142_4013
; %bb.4012:
	global_store_b16 v[4:5], v2, off
.LBB142_4013:
	s_mov_b32 s3, 0
.LBB142_4014:
	s_delay_alu instid0(SALU_CYCLE_1)
	s_and_not1_b32 vcc_lo, exec_lo, s3
	s_cbranch_vccnz .LBB142_4022
; %bb.4015:
	s_wait_xcnt 0x0
	v_cvt_f32_f64_e32 v2, v[0:1]
	v_mov_b32_e32 v6, 0x80
	s_mov_b32 s3, exec_lo
	s_delay_alu instid0(VALU_DEP_2) | instskip(NEXT) | instid1(VALU_DEP_1)
	v_and_b32_e32 v3, 0x7fffffff, v2
	v_cmpx_gt_u32_e32 0x43800000, v3
	s_cbranch_execz .LBB142_4021
; %bb.4016:
	v_cmp_lt_u32_e32 vcc_lo, 0x3bffffff, v3
	s_mov_b32 s4, 0
                                        ; implicit-def: $vgpr3
	s_and_saveexec_b32 s5, vcc_lo
	s_delay_alu instid0(SALU_CYCLE_1)
	s_xor_b32 s5, exec_lo, s5
	s_cbranch_execz .LBB142_4127
; %bb.4017:
	v_bfe_u32 v3, v2, 20, 1
	s_mov_b32 s4, exec_lo
	s_delay_alu instid0(VALU_DEP_1) | instskip(NEXT) | instid1(VALU_DEP_1)
	v_add3_u32 v3, v2, v3, 0x487ffff
	v_lshrrev_b32_e32 v3, 20, v3
	s_and_not1_saveexec_b32 s5, s5
	s_cbranch_execnz .LBB142_4128
.LBB142_4018:
	s_or_b32 exec_lo, exec_lo, s5
	v_mov_b32_e32 v6, 0
	s_and_saveexec_b32 s5, s4
.LBB142_4019:
	v_lshrrev_b32_e32 v2, 24, v2
	s_delay_alu instid0(VALU_DEP_1)
	v_and_or_b32 v6, 0x80, v2, v3
.LBB142_4020:
	s_or_b32 exec_lo, exec_lo, s5
.LBB142_4021:
	s_delay_alu instid0(SALU_CYCLE_1)
	s_or_b32 exec_lo, exec_lo, s3
	global_store_b8 v[4:5], v6, off
.LBB142_4022:
	s_mov_b32 s3, 0
.LBB142_4023:
	s_delay_alu instid0(SALU_CYCLE_1)
	s_and_b32 vcc_lo, exec_lo, s3
	s_cbranch_vccz .LBB142_4063
; %bb.4024:
	s_cmp_gt_i32 s2, 22
	s_mov_b32 s1, -1
	s_cbranch_scc0 .LBB142_4056
; %bb.4025:
	s_cmp_lt_i32 s2, 24
	s_cbranch_scc1 .LBB142_4045
; %bb.4026:
	s_cmp_gt_i32 s2, 24
	s_cbranch_scc0 .LBB142_4034
; %bb.4027:
	s_wait_xcnt 0x0
	v_cvt_f32_f64_e32 v2, v[0:1]
	v_mov_b32_e32 v6, 0x80
	s_mov_b32 s1, exec_lo
	s_delay_alu instid0(VALU_DEP_2) | instskip(NEXT) | instid1(VALU_DEP_1)
	v_and_b32_e32 v3, 0x7fffffff, v2
	v_cmpx_gt_u32_e32 0x47800000, v3
	s_cbranch_execz .LBB142_4033
; %bb.4028:
	v_cmp_lt_u32_e32 vcc_lo, 0x37ffffff, v3
	s_mov_b32 s3, 0
                                        ; implicit-def: $vgpr3
	s_and_saveexec_b32 s4, vcc_lo
	s_delay_alu instid0(SALU_CYCLE_1)
	s_xor_b32 s4, exec_lo, s4
	s_cbranch_execz .LBB142_4130
; %bb.4029:
	v_bfe_u32 v3, v2, 21, 1
	s_mov_b32 s3, exec_lo
	s_delay_alu instid0(VALU_DEP_1) | instskip(NEXT) | instid1(VALU_DEP_1)
	v_add3_u32 v3, v2, v3, 0x88fffff
	v_lshrrev_b32_e32 v3, 21, v3
	s_and_not1_saveexec_b32 s4, s4
	s_cbranch_execnz .LBB142_4131
.LBB142_4030:
	s_or_b32 exec_lo, exec_lo, s4
	v_mov_b32_e32 v6, 0
	s_and_saveexec_b32 s4, s3
.LBB142_4031:
	v_lshrrev_b32_e32 v2, 24, v2
	s_delay_alu instid0(VALU_DEP_1)
	v_and_or_b32 v6, 0x80, v2, v3
.LBB142_4032:
	s_or_b32 exec_lo, exec_lo, s4
.LBB142_4033:
	s_delay_alu instid0(SALU_CYCLE_1)
	s_or_b32 exec_lo, exec_lo, s1
	s_mov_b32 s1, 0
	global_store_b8 v[4:5], v6, off
.LBB142_4034:
	s_and_b32 vcc_lo, exec_lo, s1
	s_cbranch_vccz .LBB142_4044
; %bb.4035:
	s_wait_xcnt 0x0
	v_cvt_f32_f64_e32 v2, v[0:1]
	s_mov_b32 s1, exec_lo
                                        ; implicit-def: $vgpr3
	s_delay_alu instid0(VALU_DEP_1) | instskip(NEXT) | instid1(VALU_DEP_1)
	v_and_b32_e32 v6, 0x7fffffff, v2
	v_cmpx_gt_u32_e32 0x43f00000, v6
	s_xor_b32 s1, exec_lo, s1
	s_cbranch_execz .LBB142_4041
; %bb.4036:
	s_mov_b32 s3, exec_lo
                                        ; implicit-def: $vgpr3
	v_cmpx_lt_u32_e32 0x3c7fffff, v6
	s_xor_b32 s3, exec_lo, s3
; %bb.4037:
	v_bfe_u32 v3, v2, 20, 1
	s_delay_alu instid0(VALU_DEP_1) | instskip(NEXT) | instid1(VALU_DEP_1)
	v_add3_u32 v3, v2, v3, 0x407ffff
	v_and_b32_e32 v6, 0xff00000, v3
	v_lshrrev_b32_e32 v3, 20, v3
	s_delay_alu instid0(VALU_DEP_2) | instskip(NEXT) | instid1(VALU_DEP_2)
	v_cmp_ne_u32_e32 vcc_lo, 0x7f00000, v6
	v_cndmask_b32_e32 v3, 0x7e, v3, vcc_lo
; %bb.4038:
	s_and_not1_saveexec_b32 s3, s3
; %bb.4039:
	v_add_f32_e64 v3, 0x46800000, |v2|
; %bb.4040:
	s_or_b32 exec_lo, exec_lo, s3
                                        ; implicit-def: $vgpr6
.LBB142_4041:
	s_and_not1_saveexec_b32 s1, s1
; %bb.4042:
	v_mov_b32_e32 v3, 0x7f
	v_cmp_lt_u32_e32 vcc_lo, 0x7f800000, v6
	s_delay_alu instid0(VALU_DEP_2)
	v_cndmask_b32_e32 v3, 0x7e, v3, vcc_lo
; %bb.4043:
	s_or_b32 exec_lo, exec_lo, s1
	v_lshrrev_b32_e32 v2, 24, v2
	s_delay_alu instid0(VALU_DEP_1)
	v_and_or_b32 v2, 0x80, v2, v3
	global_store_b8 v[4:5], v2, off
.LBB142_4044:
	s_mov_b32 s1, 0
.LBB142_4045:
	s_delay_alu instid0(SALU_CYCLE_1)
	s_and_not1_b32 vcc_lo, exec_lo, s1
	s_cbranch_vccnz .LBB142_4055
; %bb.4046:
	s_wait_xcnt 0x0
	v_cvt_f32_f64_e32 v2, v[0:1]
	s_mov_b32 s1, exec_lo
                                        ; implicit-def: $vgpr3
	s_delay_alu instid0(VALU_DEP_1) | instskip(NEXT) | instid1(VALU_DEP_1)
	v_and_b32_e32 v6, 0x7fffffff, v2
	v_cmpx_gt_u32_e32 0x47800000, v6
	s_xor_b32 s1, exec_lo, s1
	s_cbranch_execz .LBB142_4052
; %bb.4047:
	s_mov_b32 s3, exec_lo
                                        ; implicit-def: $vgpr3
	v_cmpx_lt_u32_e32 0x387fffff, v6
	s_xor_b32 s3, exec_lo, s3
; %bb.4048:
	v_bfe_u32 v3, v2, 21, 1
	s_delay_alu instid0(VALU_DEP_1) | instskip(NEXT) | instid1(VALU_DEP_1)
	v_add3_u32 v3, v2, v3, 0x80fffff
	v_lshrrev_b32_e32 v3, 21, v3
; %bb.4049:
	s_and_not1_saveexec_b32 s3, s3
; %bb.4050:
	v_add_f32_e64 v3, 0x43000000, |v2|
; %bb.4051:
	s_or_b32 exec_lo, exec_lo, s3
                                        ; implicit-def: $vgpr6
.LBB142_4052:
	s_and_not1_saveexec_b32 s1, s1
; %bb.4053:
	v_mov_b32_e32 v3, 0x7f
	v_cmp_lt_u32_e32 vcc_lo, 0x7f800000, v6
	s_delay_alu instid0(VALU_DEP_2)
	v_cndmask_b32_e32 v3, 0x7c, v3, vcc_lo
; %bb.4054:
	s_or_b32 exec_lo, exec_lo, s1
	v_lshrrev_b32_e32 v2, 24, v2
	s_delay_alu instid0(VALU_DEP_1)
	v_and_or_b32 v2, 0x80, v2, v3
	global_store_b8 v[4:5], v2, off
.LBB142_4055:
	s_mov_b32 s1, 0
.LBB142_4056:
	s_delay_alu instid0(SALU_CYCLE_1)
	s_and_not1_b32 vcc_lo, exec_lo, s1
	s_mov_b32 s1, 0
	s_cbranch_vccnz .LBB142_4063
; %bb.4057:
	s_cmp_gt_i32 s2, 14
	s_mov_b32 s1, -1
	s_cbranch_scc0 .LBB142_4061
; %bb.4058:
	s_cmp_eq_u32 s2, 15
	s_mov_b32 s0, -1
	s_cbranch_scc0 .LBB142_4060
; %bb.4059:
	s_wait_xcnt 0x0
	v_cvt_f32_f64_e32 v2, v[0:1]
	s_mov_b32 s0, 0
	s_delay_alu instid0(VALU_DEP_1) | instskip(SKIP_1) | instid1(VALU_DEP_2)
	v_bfe_u32 v3, v2, 16, 1
	v_cmp_o_f32_e32 vcc_lo, v2, v2
	v_add3_u32 v3, v2, v3, 0x7fff
	s_delay_alu instid0(VALU_DEP_1) | instskip(NEXT) | instid1(VALU_DEP_1)
	v_lshrrev_b32_e32 v3, 16, v3
	v_cndmask_b32_e32 v2, 0x7fc0, v3, vcc_lo
	global_store_b16 v[4:5], v2, off
.LBB142_4060:
	s_mov_b32 s1, 0
.LBB142_4061:
	s_delay_alu instid0(SALU_CYCLE_1)
	s_and_b32 vcc_lo, exec_lo, s1
	s_mov_b32 s1, 0
	s_cbranch_vccz .LBB142_4063
; %bb.4062:
	s_cmp_lg_u32 s2, 11
	s_mov_b32 s1, -1
	s_cselect_b32 s0, -1, 0
.LBB142_4063:
	s_delay_alu instid0(SALU_CYCLE_1)
	s_and_b32 vcc_lo, exec_lo, s0
	s_cbranch_vccnz .LBB142_4129
.LBB142_4064:
	s_mov_b32 s0, 0
	s_branch .LBB142_4066
.LBB142_4065:
	s_mov_b32 s0, 0
	s_mov_b32 s1, 0
                                        ; implicit-def: $sgpr20
                                        ; implicit-def: $vgpr4_vgpr5
                                        ; implicit-def: $vgpr0_vgpr1
.LBB142_4066:
	s_and_not1_b32 s2, s19, exec_lo
	s_and_b32 s3, s16, exec_lo
	s_and_b32 s0, s0, exec_lo
	;; [unrolled: 1-line block ×3, first 2 shown]
	s_or_b32 s19, s2, s3
.LBB142_4067:
	s_wait_xcnt 0x0
	s_or_b32 exec_lo, exec_lo, s18
	s_and_saveexec_b32 s1, s19
	s_cbranch_execz .LBB142_4070
; %bb.4068:
	; divergent unreachable
	s_or_b32 exec_lo, exec_lo, s1
	s_and_saveexec_b32 s1, s16
	s_delay_alu instid0(SALU_CYCLE_1)
	s_xor_b32 s1, exec_lo, s1
	s_cbranch_execnz .LBB142_4071
.LBB142_4069:
	s_or_b32 exec_lo, exec_lo, s1
	s_and_saveexec_b32 s1, s0
	s_cbranch_execnz .LBB142_4072
	s_branch .LBB142_4109
.LBB142_4070:
	s_or_b32 exec_lo, exec_lo, s1
	s_and_saveexec_b32 s1, s16
	s_delay_alu instid0(SALU_CYCLE_1)
	s_xor_b32 s1, exec_lo, s1
	s_cbranch_execz .LBB142_4069
.LBB142_4071:
	s_wait_loadcnt 0x0
	s_delay_alu instid0(VALU_DEP_1)
	v_cmp_neq_f64_e32 vcc_lo, 0, v[0:1]
	v_cndmask_b32_e64 v2, 0, 1, vcc_lo
	global_store_b8 v[4:5], v2, off
	s_wait_xcnt 0x0
	s_or_b32 exec_lo, exec_lo, s1
	s_and_saveexec_b32 s1, s0
	s_cbranch_execz .LBB142_4109
.LBB142_4072:
	s_sext_i32_i16 s1, s20
	s_mov_b32 s0, -1
	s_cmp_lt_i32 s1, 5
	s_cbranch_scc1 .LBB142_4093
; %bb.4073:
	s_cmp_lt_i32 s1, 8
	s_cbranch_scc1 .LBB142_4083
; %bb.4074:
	;; [unrolled: 3-line block ×3, first 2 shown]
	s_cmp_gt_i32 s1, 9
	s_cbranch_scc0 .LBB142_4077
; %bb.4076:
	s_wait_loadcnt 0x0
	v_mov_b32_e32 v2, 0
	s_mov_b32 s0, 0
	s_delay_alu instid0(VALU_DEP_1)
	v_mov_b32_e32 v3, v2
	global_store_b128 v[4:5], v[0:3], off
.LBB142_4077:
	s_and_not1_b32 vcc_lo, exec_lo, s0
	s_cbranch_vccnz .LBB142_4079
; %bb.4078:
	s_wait_loadcnt 0x0
	v_cvt_f32_f64_e32 v2, v[0:1]
	v_mov_b32_e32 v3, 0
	global_store_b64 v[4:5], v[2:3], off
.LBB142_4079:
	s_mov_b32 s0, 0
.LBB142_4080:
	s_delay_alu instid0(SALU_CYCLE_1)
	s_and_not1_b32 vcc_lo, exec_lo, s0
	s_cbranch_vccnz .LBB142_4082
; %bb.4081:
	s_wait_loadcnt 0x0
	v_and_or_b32 v2, 0x1ff, v1, v0
	v_lshrrev_b32_e32 v3, 8, v1
	v_bfe_u32 v6, v1, 20, 11
	s_delay_alu instid0(VALU_DEP_3) | instskip(NEXT) | instid1(VALU_DEP_2)
	v_cmp_ne_u32_e32 vcc_lo, 0, v2
	v_sub_nc_u32_e32 v7, 0x3f1, v6
	v_cndmask_b32_e64 v2, 0, 1, vcc_lo
	s_delay_alu instid0(VALU_DEP_1) | instskip(NEXT) | instid1(VALU_DEP_3)
	v_and_or_b32 v2, 0xffe, v3, v2
	v_med3_i32 v3, v7, 0, 13
	s_delay_alu instid0(VALU_DEP_2) | instskip(NEXT) | instid1(VALU_DEP_1)
	v_or_b32_e32 v7, 0x1000, v2
	v_lshrrev_b32_e32 v8, v3, v7
	s_delay_alu instid0(VALU_DEP_1) | instskip(NEXT) | instid1(VALU_DEP_1)
	v_lshlrev_b32_e32 v3, v3, v8
	v_cmp_ne_u32_e32 vcc_lo, v3, v7
	v_cndmask_b32_e64 v3, 0, 1, vcc_lo
	s_delay_alu instid0(VALU_DEP_1) | instskip(SKIP_1) | instid1(VALU_DEP_1)
	v_or_b32_e32 v3, v8, v3
	v_add_nc_u32_e32 v6, 0xfffffc10, v6
	v_lshl_or_b32 v7, v6, 12, v2
	v_cmp_gt_i32_e32 vcc_lo, 1, v6
	s_delay_alu instid0(VALU_DEP_2) | instskip(NEXT) | instid1(VALU_DEP_1)
	v_cndmask_b32_e32 v3, v7, v3, vcc_lo
	v_dual_lshrrev_b32 v3, 2, v3 :: v_dual_bitop2_b32 v7, 7, v3 bitop3:0x40
	s_delay_alu instid0(VALU_DEP_1) | instskip(SKIP_4) | instid1(VALU_DEP_2)
	v_cmp_lt_i32_e32 vcc_lo, 5, v7
	v_cndmask_b32_e64 v8, 0, 1, vcc_lo
	v_cmp_eq_u32_e32 vcc_lo, 3, v7
	v_cndmask_b32_e64 v7, 0, 1, vcc_lo
	v_cmp_ne_u32_e32 vcc_lo, 0, v2
	v_or_b32_e32 v7, v7, v8
	s_delay_alu instid0(VALU_DEP_1) | instskip(NEXT) | instid1(VALU_DEP_1)
	v_dual_mov_b32 v8, 0x7e00 :: v_dual_add_nc_u32 v3, v3, v7
	v_cndmask_b32_e32 v2, 0x7c00, v8, vcc_lo
	v_cmp_gt_i32_e32 vcc_lo, 31, v6
	v_lshrrev_b32_e32 v7, 16, v1
	s_delay_alu instid0(VALU_DEP_4) | instskip(SKIP_1) | instid1(VALU_DEP_2)
	v_cndmask_b32_e32 v3, 0x7c00, v3, vcc_lo
	v_cmp_eq_u32_e32 vcc_lo, 0x40f, v6
	v_cndmask_b32_e32 v2, v3, v2, vcc_lo
	s_delay_alu instid0(VALU_DEP_4) | instskip(NEXT) | instid1(VALU_DEP_1)
	v_and_b32_e32 v3, 0x8000, v7
	v_bitop3_b32 v2, v3, 0xffff, v2 bitop3:0xc8
	global_store_b32 v[4:5], v2, off
.LBB142_4082:
	s_mov_b32 s0, 0
.LBB142_4083:
	s_delay_alu instid0(SALU_CYCLE_1)
	s_and_not1_b32 vcc_lo, exec_lo, s0
	s_cbranch_vccnz .LBB142_4092
; %bb.4084:
	s_sext_i32_i16 s1, s20
	s_mov_b32 s0, -1
	s_cmp_lt_i32 s1, 6
	s_cbranch_scc1 .LBB142_4090
; %bb.4085:
	s_cmp_gt_i32 s1, 6
	s_cbranch_scc0 .LBB142_4087
; %bb.4086:
	s_mov_b32 s0, 0
	s_wait_loadcnt 0x0
	global_store_b64 v[4:5], v[0:1], off
.LBB142_4087:
	s_and_not1_b32 vcc_lo, exec_lo, s0
	s_cbranch_vccnz .LBB142_4089
; %bb.4088:
	s_wait_loadcnt 0x0
	v_cvt_f32_f64_e32 v2, v[0:1]
	global_store_b32 v[4:5], v2, off
.LBB142_4089:
	s_mov_b32 s0, 0
.LBB142_4090:
	s_delay_alu instid0(SALU_CYCLE_1)
	s_and_not1_b32 vcc_lo, exec_lo, s0
	s_cbranch_vccnz .LBB142_4092
; %bb.4091:
	s_wait_loadcnt 0x0
	v_and_or_b32 v2, 0x1ff, v1, v0
	v_lshrrev_b32_e32 v3, 8, v1
	v_bfe_u32 v6, v1, 20, 11
	s_delay_alu instid0(VALU_DEP_3) | instskip(NEXT) | instid1(VALU_DEP_2)
	v_cmp_ne_u32_e32 vcc_lo, 0, v2
	v_sub_nc_u32_e32 v7, 0x3f1, v6
	v_cndmask_b32_e64 v2, 0, 1, vcc_lo
	s_delay_alu instid0(VALU_DEP_1) | instskip(NEXT) | instid1(VALU_DEP_3)
	v_and_or_b32 v2, 0xffe, v3, v2
	v_med3_i32 v3, v7, 0, 13
	s_delay_alu instid0(VALU_DEP_2) | instskip(NEXT) | instid1(VALU_DEP_1)
	v_or_b32_e32 v7, 0x1000, v2
	v_lshrrev_b32_e32 v8, v3, v7
	s_delay_alu instid0(VALU_DEP_1) | instskip(NEXT) | instid1(VALU_DEP_1)
	v_lshlrev_b32_e32 v3, v3, v8
	v_cmp_ne_u32_e32 vcc_lo, v3, v7
	v_cndmask_b32_e64 v3, 0, 1, vcc_lo
	s_delay_alu instid0(VALU_DEP_1) | instskip(SKIP_1) | instid1(VALU_DEP_1)
	v_or_b32_e32 v3, v8, v3
	v_add_nc_u32_e32 v6, 0xfffffc10, v6
	v_lshl_or_b32 v7, v6, 12, v2
	v_cmp_gt_i32_e32 vcc_lo, 1, v6
	s_delay_alu instid0(VALU_DEP_2) | instskip(NEXT) | instid1(VALU_DEP_1)
	v_cndmask_b32_e32 v3, v7, v3, vcc_lo
	v_dual_lshrrev_b32 v3, 2, v3 :: v_dual_bitop2_b32 v7, 7, v3 bitop3:0x40
	s_delay_alu instid0(VALU_DEP_1) | instskip(SKIP_4) | instid1(VALU_DEP_2)
	v_cmp_lt_i32_e32 vcc_lo, 5, v7
	v_cndmask_b32_e64 v8, 0, 1, vcc_lo
	v_cmp_eq_u32_e32 vcc_lo, 3, v7
	v_cndmask_b32_e64 v7, 0, 1, vcc_lo
	v_cmp_ne_u32_e32 vcc_lo, 0, v2
	v_or_b32_e32 v7, v7, v8
	s_delay_alu instid0(VALU_DEP_1) | instskip(NEXT) | instid1(VALU_DEP_1)
	v_dual_mov_b32 v8, 0x7e00 :: v_dual_add_nc_u32 v3, v3, v7
	v_cndmask_b32_e32 v2, 0x7c00, v8, vcc_lo
	v_cmp_gt_i32_e32 vcc_lo, 31, v6
	s_delay_alu instid0(VALU_DEP_3) | instskip(SKIP_1) | instid1(VALU_DEP_2)
	v_cndmask_b32_e32 v3, 0x7c00, v3, vcc_lo
	v_cmp_eq_u32_e32 vcc_lo, 0x40f, v6
	v_dual_cndmask_b32 v2, v3, v2 :: v_dual_lshrrev_b32 v3, 16, v1
	s_delay_alu instid0(VALU_DEP_1)
	v_and_or_b32 v2, 0x8000, v3, v2
	global_store_b16 v[4:5], v2, off
.LBB142_4092:
	s_mov_b32 s0, 0
.LBB142_4093:
	s_delay_alu instid0(SALU_CYCLE_1)
	s_and_not1_b32 vcc_lo, exec_lo, s0
	s_cbranch_vccnz .LBB142_4109
; %bb.4094:
	s_sext_i32_i16 s1, s20
	s_mov_b32 s0, -1
	s_cmp_lt_i32 s1, 2
	s_cbranch_scc1 .LBB142_4104
; %bb.4095:
	s_cmp_lt_i32 s1, 3
	s_cbranch_scc1 .LBB142_4101
; %bb.4096:
	s_cmp_gt_i32 s1, 3
	s_cbranch_scc0 .LBB142_4098
; %bb.4097:
	s_wait_loadcnt 0x0
	v_trunc_f64_e32 v[2:3], v[0:1]
	s_mov_b32 s0, 0
	s_delay_alu instid0(VALU_DEP_1) | instskip(NEXT) | instid1(VALU_DEP_1)
	v_ldexp_f64 v[6:7], v[2:3], 0xffffffe0
	v_floor_f64_e32 v[6:7], v[6:7]
	s_delay_alu instid0(VALU_DEP_1) | instskip(SKIP_1) | instid1(VALU_DEP_2)
	v_fmamk_f64 v[2:3], v[6:7], 0xc1f00000, v[2:3]
	v_cvt_i32_f64_e32 v7, v[6:7]
	v_cvt_u32_f64_e32 v6, v[2:3]
	global_store_b64 v[4:5], v[6:7], off
.LBB142_4098:
	s_and_not1_b32 vcc_lo, exec_lo, s0
	s_cbranch_vccnz .LBB142_4100
; %bb.4099:
	s_wait_loadcnt 0x0
	v_cvt_i32_f64_e32 v2, v[0:1]
	global_store_b32 v[4:5], v2, off
.LBB142_4100:
	s_mov_b32 s0, 0
.LBB142_4101:
	s_delay_alu instid0(SALU_CYCLE_1)
	s_and_not1_b32 vcc_lo, exec_lo, s0
	s_cbranch_vccnz .LBB142_4103
; %bb.4102:
	s_wait_loadcnt 0x0
	v_cvt_i32_f64_e32 v2, v[0:1]
	global_store_b16 v[4:5], v2, off
.LBB142_4103:
	s_mov_b32 s0, 0
.LBB142_4104:
	s_delay_alu instid0(SALU_CYCLE_1)
	s_and_not1_b32 vcc_lo, exec_lo, s0
	s_cbranch_vccnz .LBB142_4109
; %bb.4105:
	s_sext_i32_i16 s0, s20
	s_delay_alu instid0(SALU_CYCLE_1)
	s_cmp_gt_i32 s0, 0
	s_mov_b32 s0, -1
	s_cbranch_scc0 .LBB142_4107
; %bb.4106:
	s_wait_loadcnt 0x0
	v_cvt_i32_f64_e32 v2, v[0:1]
	s_mov_b32 s0, 0
	global_store_b8 v[4:5], v2, off
.LBB142_4107:
	s_and_not1_b32 vcc_lo, exec_lo, s0
	s_cbranch_vccnz .LBB142_4109
; %bb.4108:
	s_wait_loadcnt 0x0
	v_trunc_f64_e32 v[0:1], v[0:1]
	s_delay_alu instid0(VALU_DEP_1) | instskip(NEXT) | instid1(VALU_DEP_1)
	v_ldexp_f64 v[2:3], v[0:1], 0xffffffe0
	v_floor_f64_e32 v[2:3], v[2:3]
	s_delay_alu instid0(VALU_DEP_1) | instskip(NEXT) | instid1(VALU_DEP_1)
	v_fmamk_f64 v[0:1], v[2:3], 0xc1f00000, v[0:1]
	v_cvt_u32_f64_e32 v0, v[0:1]
	global_store_b8 v[4:5], v0, off
	s_endpgm
.LBB142_4109:
	s_endpgm
.LBB142_4110:
	s_mov_b32 s1, 0
	s_mov_b32 s0, -1
	s_branch .LBB142_4066
.LBB142_4111:
	s_or_b32 s16, s16, exec_lo
	s_trap 2
	s_cbranch_execz .LBB142_3580
	s_branch .LBB142_3581
.LBB142_4112:
	s_and_not1_saveexec_b32 s7, s7
	s_cbranch_execz .LBB142_3660
.LBB142_4113:
	v_add_f32_e64 v3, 0x46000000, |v2|
	s_and_not1_b32 s6, s6, exec_lo
	s_delay_alu instid0(VALU_DEP_1) | instskip(NEXT) | instid1(VALU_DEP_1)
	v_and_b32_e32 v3, 0xff, v3
	v_cmp_ne_u32_e32 vcc_lo, 0, v3
	s_and_b32 s8, vcc_lo, exec_lo
	s_delay_alu instid0(SALU_CYCLE_1)
	s_or_b32 s6, s6, s8
	s_or_b32 exec_lo, exec_lo, s7
	v_mov_b32_e32 v7, 0
	s_and_saveexec_b32 s7, s6
	s_cbranch_execnz .LBB142_3661
	s_branch .LBB142_3662
.LBB142_4114:
	s_or_b32 s16, s16, exec_lo
	s_trap 2
	s_cbranch_execz .LBB142_3708
	s_branch .LBB142_3709
.LBB142_4115:
	s_and_not1_saveexec_b32 s6, s6
	s_cbranch_execz .LBB142_3673
.LBB142_4116:
	v_add_f32_e64 v3, 0x42800000, |v2|
	s_and_not1_b32 s3, s3, exec_lo
	s_delay_alu instid0(VALU_DEP_1) | instskip(NEXT) | instid1(VALU_DEP_1)
	v_and_b32_e32 v3, 0xff, v3
	v_cmp_ne_u32_e32 vcc_lo, 0, v3
	s_and_b32 s7, vcc_lo, exec_lo
	s_delay_alu instid0(SALU_CYCLE_1)
	s_or_b32 s3, s3, s7
	s_or_b32 exec_lo, exec_lo, s6
	v_mov_b32_e32 v7, 0
	s_and_saveexec_b32 s6, s3
	s_cbranch_execnz .LBB142_3674
	s_branch .LBB142_3675
.LBB142_4117:
	s_and_not1_saveexec_b32 s8, s8
	s_cbranch_execz .LBB142_3779
.LBB142_4118:
	v_add_f32_e64 v3, 0x46000000, |v2|
	s_and_not1_b32 s7, s7, exec_lo
	s_delay_alu instid0(VALU_DEP_1) | instskip(NEXT) | instid1(VALU_DEP_1)
	v_and_b32_e32 v3, 0xff, v3
	v_cmp_ne_u32_e32 vcc_lo, 0, v3
	s_and_b32 s9, vcc_lo, exec_lo
	s_delay_alu instid0(SALU_CYCLE_1)
	s_or_b32 s7, s7, s9
	s_or_b32 exec_lo, exec_lo, s8
	v_mov_b32_e32 v4, 0
	s_and_saveexec_b32 s8, s7
	s_cbranch_execnz .LBB142_3780
	s_branch .LBB142_3781
.LBB142_4119:
	s_or_b32 s16, s16, exec_lo
	s_trap 2
	s_cbranch_execz .LBB142_3827
	s_branch .LBB142_3828
.LBB142_4120:
	s_and_not1_saveexec_b32 s7, s7
	s_cbranch_execz .LBB142_3792
.LBB142_4121:
	v_add_f32_e64 v3, 0x42800000, |v2|
	s_and_not1_b32 s6, s6, exec_lo
	s_delay_alu instid0(VALU_DEP_1) | instskip(NEXT) | instid1(VALU_DEP_1)
	v_and_b32_e32 v3, 0xff, v3
	v_cmp_ne_u32_e32 vcc_lo, 0, v3
	s_and_b32 s8, vcc_lo, exec_lo
	s_delay_alu instid0(SALU_CYCLE_1)
	s_or_b32 s6, s6, s8
	s_or_b32 exec_lo, exec_lo, s7
	v_mov_b32_e32 v4, 0
	s_and_saveexec_b32 s7, s6
	s_cbranch_execnz .LBB142_3793
	s_branch .LBB142_3794
.LBB142_4122:
	s_and_not1_saveexec_b32 s8, s8
	s_cbranch_execz .LBB142_3898
.LBB142_4123:
	v_add_f32_e64 v3, 0x46000000, |v2|
	s_and_not1_b32 s7, s7, exec_lo
	s_delay_alu instid0(VALU_DEP_1) | instskip(NEXT) | instid1(VALU_DEP_1)
	v_and_b32_e32 v3, 0xff, v3
	v_cmp_ne_u32_e32 vcc_lo, 0, v3
	s_and_b32 s9, vcc_lo, exec_lo
	s_delay_alu instid0(SALU_CYCLE_1)
	s_or_b32 s7, s7, s9
	s_or_b32 exec_lo, exec_lo, s8
	v_mov_b32_e32 v5, 0
	s_and_saveexec_b32 s8, s7
	s_cbranch_execnz .LBB142_3899
	s_branch .LBB142_3900
.LBB142_4124:
	s_or_b32 s16, s16, exec_lo
	s_trap 2
	s_cbranch_execz .LBB142_3946
	s_branch .LBB142_3947
.LBB142_4125:
	s_and_not1_saveexec_b32 s7, s7
	s_cbranch_execz .LBB142_3911
.LBB142_4126:
	v_add_f32_e64 v3, 0x42800000, |v2|
	s_and_not1_b32 s6, s6, exec_lo
	s_delay_alu instid0(VALU_DEP_1) | instskip(NEXT) | instid1(VALU_DEP_1)
	v_and_b32_e32 v3, 0xff, v3
	v_cmp_ne_u32_e32 vcc_lo, 0, v3
	s_and_b32 s8, vcc_lo, exec_lo
	s_delay_alu instid0(SALU_CYCLE_1)
	s_or_b32 s6, s6, s8
	s_or_b32 exec_lo, exec_lo, s7
	v_mov_b32_e32 v5, 0
	s_and_saveexec_b32 s7, s6
	s_cbranch_execnz .LBB142_3912
	s_branch .LBB142_3913
.LBB142_4127:
	s_and_not1_saveexec_b32 s5, s5
	s_cbranch_execz .LBB142_4018
.LBB142_4128:
	v_add_f32_e64 v3, 0x46000000, |v2|
	s_and_not1_b32 s4, s4, exec_lo
	s_delay_alu instid0(VALU_DEP_1) | instskip(NEXT) | instid1(VALU_DEP_1)
	v_and_b32_e32 v3, 0xff, v3
	v_cmp_ne_u32_e32 vcc_lo, 0, v3
	s_and_b32 s6, vcc_lo, exec_lo
	s_delay_alu instid0(SALU_CYCLE_1)
	s_or_b32 s4, s4, s6
	s_or_b32 exec_lo, exec_lo, s5
	v_mov_b32_e32 v6, 0
	s_and_saveexec_b32 s5, s4
	s_cbranch_execnz .LBB142_4019
	s_branch .LBB142_4020
.LBB142_4129:
	s_mov_b32 s1, 0
	s_or_b32 s16, s16, exec_lo
	s_trap 2
	s_branch .LBB142_4064
.LBB142_4130:
	s_and_not1_saveexec_b32 s4, s4
	s_cbranch_execz .LBB142_4030
.LBB142_4131:
	v_add_f32_e64 v3, 0x42800000, |v2|
	s_and_not1_b32 s3, s3, exec_lo
	s_delay_alu instid0(VALU_DEP_1) | instskip(NEXT) | instid1(VALU_DEP_1)
	v_and_b32_e32 v3, 0xff, v3
	v_cmp_ne_u32_e32 vcc_lo, 0, v3
	s_and_b32 s5, vcc_lo, exec_lo
	s_delay_alu instid0(SALU_CYCLE_1)
	s_or_b32 s3, s3, s5
	s_or_b32 exec_lo, exec_lo, s4
	v_mov_b32_e32 v6, 0
	s_and_saveexec_b32 s4, s3
	s_cbranch_execnz .LBB142_4031
	s_branch .LBB142_4032
	.section	.rodata,"a",@progbits
	.p2align	6, 0x0
	.amdhsa_kernel _ZN2at6native32elementwise_kernel_manual_unrollILi128ELi4EZNS0_15gpu_kernel_implIZZZNS0_12_GLOBAL__N_117clamp_kernel_implERNS_18TensorIteratorBaseEENKUlvE_clEvENKUlvE4_clEvEUldddE_EEvS5_RKT_EUlibE_EEviT1_
		.amdhsa_group_segment_fixed_size 0
		.amdhsa_private_segment_fixed_size 0
		.amdhsa_kernarg_size 64
		.amdhsa_user_sgpr_count 2
		.amdhsa_user_sgpr_dispatch_ptr 0
		.amdhsa_user_sgpr_queue_ptr 0
		.amdhsa_user_sgpr_kernarg_segment_ptr 1
		.amdhsa_user_sgpr_dispatch_id 0
		.amdhsa_user_sgpr_kernarg_preload_length 0
		.amdhsa_user_sgpr_kernarg_preload_offset 0
		.amdhsa_user_sgpr_private_segment_size 0
		.amdhsa_wavefront_size32 1
		.amdhsa_uses_dynamic_stack 0
		.amdhsa_enable_private_segment 0
		.amdhsa_system_sgpr_workgroup_id_x 1
		.amdhsa_system_sgpr_workgroup_id_y 0
		.amdhsa_system_sgpr_workgroup_id_z 0
		.amdhsa_system_sgpr_workgroup_info 0
		.amdhsa_system_vgpr_workitem_id 0
		.amdhsa_next_free_vgpr 32
		.amdhsa_next_free_sgpr 42
		.amdhsa_named_barrier_count 0
		.amdhsa_reserve_vcc 1
		.amdhsa_float_round_mode_32 0
		.amdhsa_float_round_mode_16_64 0
		.amdhsa_float_denorm_mode_32 3
		.amdhsa_float_denorm_mode_16_64 3
		.amdhsa_fp16_overflow 0
		.amdhsa_memory_ordered 1
		.amdhsa_forward_progress 1
		.amdhsa_inst_pref_size 255
		.amdhsa_round_robin_scheduling 0
		.amdhsa_exception_fp_ieee_invalid_op 0
		.amdhsa_exception_fp_denorm_src 0
		.amdhsa_exception_fp_ieee_div_zero 0
		.amdhsa_exception_fp_ieee_overflow 0
		.amdhsa_exception_fp_ieee_underflow 0
		.amdhsa_exception_fp_ieee_inexact 0
		.amdhsa_exception_int_div_zero 0
	.end_amdhsa_kernel
	.section	.text._ZN2at6native32elementwise_kernel_manual_unrollILi128ELi4EZNS0_15gpu_kernel_implIZZZNS0_12_GLOBAL__N_117clamp_kernel_implERNS_18TensorIteratorBaseEENKUlvE_clEvENKUlvE4_clEvEUldddE_EEvS5_RKT_EUlibE_EEviT1_,"axG",@progbits,_ZN2at6native32elementwise_kernel_manual_unrollILi128ELi4EZNS0_15gpu_kernel_implIZZZNS0_12_GLOBAL__N_117clamp_kernel_implERNS_18TensorIteratorBaseEENKUlvE_clEvENKUlvE4_clEvEUldddE_EEvS5_RKT_EUlibE_EEviT1_,comdat
.Lfunc_end142:
	.size	_ZN2at6native32elementwise_kernel_manual_unrollILi128ELi4EZNS0_15gpu_kernel_implIZZZNS0_12_GLOBAL__N_117clamp_kernel_implERNS_18TensorIteratorBaseEENKUlvE_clEvENKUlvE4_clEvEUldddE_EEvS5_RKT_EUlibE_EEviT1_, .Lfunc_end142-_ZN2at6native32elementwise_kernel_manual_unrollILi128ELi4EZNS0_15gpu_kernel_implIZZZNS0_12_GLOBAL__N_117clamp_kernel_implERNS_18TensorIteratorBaseEENKUlvE_clEvENKUlvE4_clEvEUldddE_EEvS5_RKT_EUlibE_EEviT1_
                                        ; -- End function
	.set _ZN2at6native32elementwise_kernel_manual_unrollILi128ELi4EZNS0_15gpu_kernel_implIZZZNS0_12_GLOBAL__N_117clamp_kernel_implERNS_18TensorIteratorBaseEENKUlvE_clEvENKUlvE4_clEvEUldddE_EEvS5_RKT_EUlibE_EEviT1_.num_vgpr, 32
	.set _ZN2at6native32elementwise_kernel_manual_unrollILi128ELi4EZNS0_15gpu_kernel_implIZZZNS0_12_GLOBAL__N_117clamp_kernel_implERNS_18TensorIteratorBaseEENKUlvE_clEvENKUlvE4_clEvEUldddE_EEvS5_RKT_EUlibE_EEviT1_.num_agpr, 0
	.set _ZN2at6native32elementwise_kernel_manual_unrollILi128ELi4EZNS0_15gpu_kernel_implIZZZNS0_12_GLOBAL__N_117clamp_kernel_implERNS_18TensorIteratorBaseEENKUlvE_clEvENKUlvE4_clEvEUldddE_EEvS5_RKT_EUlibE_EEviT1_.numbered_sgpr, 42
	.set _ZN2at6native32elementwise_kernel_manual_unrollILi128ELi4EZNS0_15gpu_kernel_implIZZZNS0_12_GLOBAL__N_117clamp_kernel_implERNS_18TensorIteratorBaseEENKUlvE_clEvENKUlvE4_clEvEUldddE_EEvS5_RKT_EUlibE_EEviT1_.num_named_barrier, 0
	.set _ZN2at6native32elementwise_kernel_manual_unrollILi128ELi4EZNS0_15gpu_kernel_implIZZZNS0_12_GLOBAL__N_117clamp_kernel_implERNS_18TensorIteratorBaseEENKUlvE_clEvENKUlvE4_clEvEUldddE_EEvS5_RKT_EUlibE_EEviT1_.private_seg_size, 0
	.set _ZN2at6native32elementwise_kernel_manual_unrollILi128ELi4EZNS0_15gpu_kernel_implIZZZNS0_12_GLOBAL__N_117clamp_kernel_implERNS_18TensorIteratorBaseEENKUlvE_clEvENKUlvE4_clEvEUldddE_EEvS5_RKT_EUlibE_EEviT1_.uses_vcc, 1
	.set _ZN2at6native32elementwise_kernel_manual_unrollILi128ELi4EZNS0_15gpu_kernel_implIZZZNS0_12_GLOBAL__N_117clamp_kernel_implERNS_18TensorIteratorBaseEENKUlvE_clEvENKUlvE4_clEvEUldddE_EEvS5_RKT_EUlibE_EEviT1_.uses_flat_scratch, 0
	.set _ZN2at6native32elementwise_kernel_manual_unrollILi128ELi4EZNS0_15gpu_kernel_implIZZZNS0_12_GLOBAL__N_117clamp_kernel_implERNS_18TensorIteratorBaseEENKUlvE_clEvENKUlvE4_clEvEUldddE_EEvS5_RKT_EUlibE_EEviT1_.has_dyn_sized_stack, 0
	.set _ZN2at6native32elementwise_kernel_manual_unrollILi128ELi4EZNS0_15gpu_kernel_implIZZZNS0_12_GLOBAL__N_117clamp_kernel_implERNS_18TensorIteratorBaseEENKUlvE_clEvENKUlvE4_clEvEUldddE_EEvS5_RKT_EUlibE_EEviT1_.has_recursion, 0
	.set _ZN2at6native32elementwise_kernel_manual_unrollILi128ELi4EZNS0_15gpu_kernel_implIZZZNS0_12_GLOBAL__N_117clamp_kernel_implERNS_18TensorIteratorBaseEENKUlvE_clEvENKUlvE4_clEvEUldddE_EEvS5_RKT_EUlibE_EEviT1_.has_indirect_call, 0
	.section	.AMDGPU.csdata,"",@progbits
; Kernel info:
; codeLenInByte = 79684
; TotalNumSgprs: 44
; NumVgprs: 32
; ScratchSize: 0
; MemoryBound: 1
; FloatMode: 240
; IeeeMode: 1
; LDSByteSize: 0 bytes/workgroup (compile time only)
; SGPRBlocks: 0
; VGPRBlocks: 1
; NumSGPRsForWavesPerEU: 44
; NumVGPRsForWavesPerEU: 32
; NamedBarCnt: 0
; Occupancy: 16
; WaveLimiterHint : 0
; COMPUTE_PGM_RSRC2:SCRATCH_EN: 0
; COMPUTE_PGM_RSRC2:USER_SGPR: 2
; COMPUTE_PGM_RSRC2:TRAP_HANDLER: 0
; COMPUTE_PGM_RSRC2:TGID_X_EN: 1
; COMPUTE_PGM_RSRC2:TGID_Y_EN: 0
; COMPUTE_PGM_RSRC2:TGID_Z_EN: 0
; COMPUTE_PGM_RSRC2:TIDIG_COMP_CNT: 0
	.section	.text._ZN2at6native32elementwise_kernel_manual_unrollILi128ELi4EZNS0_15gpu_kernel_implIZZZNS0_12_GLOBAL__N_117clamp_kernel_implERNS_18TensorIteratorBaseEENKUlvE_clEvENKUlvE4_clEvEUldddE_EEvS5_RKT_EUlibE0_EEviT1_,"axG",@progbits,_ZN2at6native32elementwise_kernel_manual_unrollILi128ELi4EZNS0_15gpu_kernel_implIZZZNS0_12_GLOBAL__N_117clamp_kernel_implERNS_18TensorIteratorBaseEENKUlvE_clEvENKUlvE4_clEvEUldddE_EEvS5_RKT_EUlibE0_EEviT1_,comdat
	.globl	_ZN2at6native32elementwise_kernel_manual_unrollILi128ELi4EZNS0_15gpu_kernel_implIZZZNS0_12_GLOBAL__N_117clamp_kernel_implERNS_18TensorIteratorBaseEENKUlvE_clEvENKUlvE4_clEvEUldddE_EEvS5_RKT_EUlibE0_EEviT1_ ; -- Begin function _ZN2at6native32elementwise_kernel_manual_unrollILi128ELi4EZNS0_15gpu_kernel_implIZZZNS0_12_GLOBAL__N_117clamp_kernel_implERNS_18TensorIteratorBaseEENKUlvE_clEvENKUlvE4_clEvEUldddE_EEvS5_RKT_EUlibE0_EEviT1_
	.p2align	8
	.type	_ZN2at6native32elementwise_kernel_manual_unrollILi128ELi4EZNS0_15gpu_kernel_implIZZZNS0_12_GLOBAL__N_117clamp_kernel_implERNS_18TensorIteratorBaseEENKUlvE_clEvENKUlvE4_clEvEUldddE_EEvS5_RKT_EUlibE0_EEviT1_,@function
_ZN2at6native32elementwise_kernel_manual_unrollILi128ELi4EZNS0_15gpu_kernel_implIZZZNS0_12_GLOBAL__N_117clamp_kernel_implERNS_18TensorIteratorBaseEENKUlvE_clEvENKUlvE4_clEvEUldddE_EEvS5_RKT_EUlibE0_EEviT1_: ; @_ZN2at6native32elementwise_kernel_manual_unrollILi128ELi4EZNS0_15gpu_kernel_implIZZZNS0_12_GLOBAL__N_117clamp_kernel_implERNS_18TensorIteratorBaseEENKUlvE_clEvENKUlvE4_clEvEUldddE_EEvS5_RKT_EUlibE0_EEviT1_
; %bb.0:
	s_clause 0x1
	s_load_b32 s33, s[0:1], 0x8
	s_load_b32 s43, s[0:1], 0x0
	s_bfe_u32 s2, ttmp6, 0x4000c
	s_and_b32 s3, ttmp6, 15
	s_add_co_i32 s2, s2, 1
	s_getreg_b32 s4, hwreg(HW_REG_IB_STS2, 6, 4)
	s_mul_i32 s2, ttmp9, s2
	s_mov_b32 s35, 0
	s_add_co_i32 s3, s3, s2
	s_cmp_eq_u32 s4, 0
	s_mov_b32 s29, -1
	s_cselect_b32 s2, ttmp9, s3
	s_mov_b32 s10, 0
	v_lshl_or_b32 v4, s2, 9, v0
	s_add_nc_u64 s[2:3], s[0:1], 8
	s_wait_xcnt 0x0
	s_mov_b32 s0, exec_lo
	s_delay_alu instid0(VALU_DEP_1) | instskip(SKIP_2) | instid1(SALU_CYCLE_1)
	v_or_b32_e32 v3, 0x180, v4
	s_wait_kmcnt 0x0
	s_add_co_i32 s34, s33, -1
	s_cmp_gt_u32 s34, 1
	s_cselect_b32 s36, -1, 0
	v_cmpx_le_i32_e64 s43, v3
	s_xor_b32 s37, exec_lo, s0
	s_cbranch_execz .LBB143_2109
; %bb.1:
	v_mov_b32_e32 v0, 0
	s_clause 0x3
	s_load_b128 s[20:23], s[2:3], 0x4
	s_load_b64 s[0:1], s[2:3], 0x14
	s_load_b256 s[12:19], s[2:3], 0xc4
	s_load_b256 s[4:11], s[2:3], 0x1c8
	s_cmp_lg_u32 s33, 0
	s_mov_b32 s25, 0
	s_cselect_b32 s44, -1, 0
	global_load_b32 v0, v0, s[2:3] offset:489
	s_min_u32 s42, s34, 15
	s_cmp_gt_u32 s33, 1
	s_mov_b32 s27, s25
	s_mov_b32 s48, s25
	;; [unrolled: 1-line block ×4, first 2 shown]
	s_cselect_b32 s41, -1, 0
	s_mov_b32 s45, s25
	s_mov_b32 s49, exec_lo
	s_wait_kmcnt 0x0
	s_mov_b32 s24, s21
	s_mov_b32 s26, s0
	s_wait_loadcnt 0x0
	v_readfirstlane_b32 s38, v0
	s_lshr_b32 s39, s38, 16
	s_lshr_b32 s40, s38, 8
	;; [unrolled: 1-line block ×3, first 2 shown]
	v_cmpx_gt_i32_e64 s43, v4
	s_cbranch_execz .LBB143_523
; %bb.2:
	s_and_not1_b32 vcc_lo, exec_lo, s36
	s_cbranch_vccnz .LBB143_8
; %bb.3:
	s_and_not1_b32 vcc_lo, exec_lo, s44
	s_cbranch_vccnz .LBB143_9
; %bb.4:
	v_dual_mov_b32 v8, 0 :: v_dual_mov_b32 v1, v4
	v_dual_mov_b32 v6, 0 :: v_dual_mov_b32 v0, 0
	v_mov_b32_e32 v2, 0
	s_add_co_i32 s0, s42, 1
	s_mov_b64 s[28:29], 0xffffffffffffffe0
	s_and_b32 s0, s0, 30
	s_add_nc_u64 s[28:29], s[2:3], s[28:29]
	s_mov_b64 s[30:31], s[2:3]
.LBB143_5:                              ; =>This Inner Loop Header: Depth=1
	s_clause 0x1
	s_load_b128 s[60:63], s[30:31], 0x4
	s_load_b64 s[46:47], s[30:31], 0x14
	s_load_b256 s[52:59], s[28:29], 0xe4
	s_add_co_i32 s0, s0, -2
	s_wait_xcnt 0x0
	s_add_nc_u64 s[30:31], s[30:31], 24
	s_cmp_lg_u32 s0, 0
	s_add_nc_u64 s[28:29], s[28:29], 32
	s_wait_kmcnt 0x0
	v_mul_hi_u32 v3, s61, v1
	s_delay_alu instid0(VALU_DEP_1) | instskip(NEXT) | instid1(VALU_DEP_1)
	v_add_nc_u32_e32 v3, v1, v3
	v_lshrrev_b32_e32 v3, s62, v3
	s_delay_alu instid0(VALU_DEP_1) | instskip(SKIP_1) | instid1(VALU_DEP_1)
	v_mul_hi_u32 v5, s46, v3
	v_mul_lo_u32 v7, v3, s60
	v_dual_add_nc_u32 v5, v3, v5 :: v_dual_sub_nc_u32 v7, v1, v7
	s_delay_alu instid0(VALU_DEP_1) | instskip(NEXT) | instid1(VALU_DEP_2)
	v_lshrrev_b32_e32 v1, s47, v5
	v_mad_u32 v2, v7, s53, v2
	v_mad_u32 v0, v7, s52, v0
	;; [unrolled: 1-line block ×4, first 2 shown]
	v_mul_lo_u32 v5, v1, s63
	s_delay_alu instid0(VALU_DEP_1) | instskip(NEXT) | instid1(VALU_DEP_1)
	v_sub_nc_u32_e32 v3, v3, v5
	v_mad_u32 v2, v3, s57, v2
	v_mad_u32 v0, v3, s56, v0
	;; [unrolled: 1-line block ×4, first 2 shown]
	s_cbranch_scc1 .LBB143_5
; %bb.6:
	s_bitcmp1_b32 s42, 0
	s_cselect_b32 s0, -1, 0
	s_delay_alu instid0(SALU_CYCLE_1)
	s_and_b32 vcc_lo, exec_lo, s0
	s_cbranch_vccnz .LBB143_10
; %bb.7:
	s_load_b96 s[56:58], s[30:31], 0x4
	s_load_b128 s[52:55], s[28:29], 0xe4
	s_wait_kmcnt 0x0
	v_mul_hi_u32 v3, s57, v1
	s_delay_alu instid0(VALU_DEP_1) | instskip(NEXT) | instid1(VALU_DEP_1)
	v_add_nc_u32_e32 v3, v1, v3
	v_lshrrev_b32_e32 v3, s58, v3
	s_delay_alu instid0(VALU_DEP_1) | instskip(NEXT) | instid1(VALU_DEP_1)
	v_mul_lo_u32 v3, v3, s56
	v_sub_nc_u32_e32 v1, v1, v3
	s_delay_alu instid0(VALU_DEP_1)
	v_mad_u32 v0, v1, s52, v0
	v_mad_u32 v2, v1, s53, v2
	;; [unrolled: 1-line block ×4, first 2 shown]
	s_cbranch_execz .LBB143_11
	s_branch .LBB143_13
.LBB143_8:
                                        ; implicit-def: $vgpr2
                                        ; implicit-def: $vgpr0
                                        ; implicit-def: $vgpr6
                                        ; implicit-def: $vgpr8
	s_branch .LBB143_11
.LBB143_9:
	v_dual_mov_b32 v2, 0 :: v_dual_mov_b32 v0, 0
	v_dual_mov_b32 v6, 0 :: v_dual_mov_b32 v8, 0
.LBB143_10:
	s_cbranch_execnz .LBB143_13
.LBB143_11:
	v_mov_b32_e32 v5, 0
	s_and_not1_b32 vcc_lo, exec_lo, s41
	s_delay_alu instid0(VALU_DEP_1) | instskip(NEXT) | instid1(VALU_DEP_1)
	v_mul_u64_e32 v[0:1], s[24:25], v[4:5]
	v_add_nc_u32_e32 v0, v4, v1
	s_delay_alu instid0(VALU_DEP_1) | instskip(NEXT) | instid1(VALU_DEP_1)
	v_lshrrev_b32_e32 v10, s22, v0
	v_mul_lo_u32 v0, v10, s20
	s_delay_alu instid0(VALU_DEP_1) | instskip(NEXT) | instid1(VALU_DEP_1)
	v_sub_nc_u32_e32 v1, v4, v0
	v_mul_lo_u32 v2, v1, s13
	v_mul_lo_u32 v0, v1, s12
	;; [unrolled: 1-line block ×4, first 2 shown]
	s_cbranch_vccnz .LBB143_13
; %bb.12:
	v_mov_b32_e32 v11, v5
	s_delay_alu instid0(VALU_DEP_1) | instskip(NEXT) | instid1(VALU_DEP_1)
	v_mul_u64_e32 v[12:13], s[26:27], v[10:11]
	v_add_nc_u32_e32 v1, v10, v13
	s_delay_alu instid0(VALU_DEP_1) | instskip(NEXT) | instid1(VALU_DEP_1)
	v_lshrrev_b32_e32 v1, s1, v1
	v_mul_lo_u32 v1, v1, s23
	s_delay_alu instid0(VALU_DEP_1) | instskip(NEXT) | instid1(VALU_DEP_1)
	v_sub_nc_u32_e32 v1, v10, v1
	v_mad_u32 v0, v1, s16, v0
	v_mad_u32 v2, v1, s17, v2
	;; [unrolled: 1-line block ×4, first 2 shown]
.LBB143_13:
	v_mov_b32_e32 v3, 0
	s_and_b32 s0, s40, 0xff
	s_delay_alu instid0(SALU_CYCLE_1) | instskip(NEXT) | instid1(VALU_DEP_1)
	s_cmp_lt_i32 s0, 11
	v_add_nc_u64_e32 v[10:11], s[6:7], v[2:3]
	s_cbranch_scc1 .LBB143_20
; %bb.14:
	s_and_b32 s29, 0xffff, s0
	s_delay_alu instid0(SALU_CYCLE_1)
	s_cmp_gt_i32 s29, 25
	s_cbranch_scc0 .LBB143_29
; %bb.15:
	s_cmp_gt_i32 s29, 28
	s_cbranch_scc0 .LBB143_39
; %bb.16:
	;; [unrolled: 3-line block ×4, first 2 shown]
	s_cmp_eq_u32 s29, 46
	s_mov_b32 s31, 0
	s_cbranch_scc0 .LBB143_48
; %bb.19:
	global_load_b32 v1, v[10:11], off
	s_mov_b32 s30, -1
	s_mov_b32 s28, 0
	s_wait_loadcnt 0x0
	v_lshlrev_b32_e32 v1, 16, v1
	s_delay_alu instid0(VALU_DEP_1)
	v_cvt_f64_f32_e32 v[2:3], v1
	s_branch .LBB143_50
.LBB143_20:
	s_mov_b32 s28, 0
	s_mov_b32 s30, 0
                                        ; implicit-def: $vgpr2_vgpr3
	s_cbranch_execnz .LBB143_116
.LBB143_21:
	s_and_not1_b32 vcc_lo, exec_lo, s30
	s_cbranch_vccnz .LBB143_163
.LBB143_22:
	v_mov_b32_e32 v9, 0
	s_and_b32 s0, s39, 0xff
	s_delay_alu instid0(SALU_CYCLE_1) | instskip(SKIP_1) | instid1(VALU_DEP_1)
	s_cmp_lt_i32 s0, 11
	s_wait_xcnt 0x0
	v_add_nc_u64_e32 v[10:11], s[8:9], v[8:9]
	s_cbranch_scc1 .LBB143_30
; %bb.23:
	s_and_b32 s30, 0xffff, s0
	s_delay_alu instid0(SALU_CYCLE_1)
	s_cmp_gt_i32 s30, 25
	s_cbranch_scc0 .LBB143_40
; %bb.24:
	s_cmp_gt_i32 s30, 28
	s_cbranch_scc0 .LBB143_43
; %bb.25:
	;; [unrolled: 3-line block ×4, first 2 shown]
	s_cmp_eq_u32 s30, 46
	s_mov_b32 s45, 0
	s_cbranch_scc0 .LBB143_164
; %bb.28:
	global_load_b32 v1, v[10:11], off
	s_mov_b32 s31, -1
	s_mov_b32 s29, 0
	s_wait_loadcnt 0x0
	v_lshlrev_b32_e32 v1, 16, v1
	s_delay_alu instid0(VALU_DEP_1)
	v_cvt_f64_f32_e32 v[8:9], v1
	s_branch .LBB143_166
.LBB143_29:
	s_mov_b32 s28, 0
	s_mov_b32 s30, 0
                                        ; implicit-def: $vgpr2_vgpr3
	s_cbranch_execnz .LBB143_81
	s_branch .LBB143_115
.LBB143_30:
	s_mov_b32 s29, 0
	s_mov_b32 s31, 0
                                        ; implicit-def: $vgpr8_vgpr9
	s_cbranch_execnz .LBB143_232
.LBB143_31:
	s_and_not1_b32 vcc_lo, exec_lo, s31
	s_cbranch_vccnz .LBB143_280
.LBB143_32:
	v_mov_b32_e32 v7, 0
	s_and_b32 s0, 0xffff, s21
	s_delay_alu instid0(SALU_CYCLE_1) | instskip(NEXT) | instid1(VALU_DEP_1)
	s_cmp_lt_i32 s0, 11
	v_add_nc_u64_e32 v[6:7], s[10:11], v[6:7]
	s_cbranch_scc1 .LBB143_41
; %bb.33:
	s_cmp_gt_i32 s0, 25
	s_cbranch_scc0 .LBB143_44
; %bb.34:
	s_cmp_gt_i32 s0, 28
	s_cbranch_scc0 .LBB143_47
	;; [unrolled: 3-line block ×4, first 2 shown]
; %bb.37:
	s_cmp_eq_u32 s0, 46
	s_mov_b32 s45, 0
	s_cbranch_scc0 .LBB143_281
; %bb.38:
	global_load_b32 v1, v[6:7], off
	s_mov_b32 s31, -1
	s_mov_b32 s30, 0
	s_wait_loadcnt 0x0
	v_lshlrev_b32_e32 v1, 16, v1
	s_delay_alu instid0(VALU_DEP_1)
	v_cvt_f64_f32_e32 v[10:11], v1
	s_branch .LBB143_283
.LBB143_39:
	s_mov_b32 s31, -1
	s_mov_b32 s28, 0
	s_mov_b32 s30, 0
                                        ; implicit-def: $vgpr2_vgpr3
	s_branch .LBB143_62
.LBB143_40:
	s_mov_b32 s45, -1
	s_mov_b32 s29, 0
	s_mov_b32 s31, 0
                                        ; implicit-def: $vgpr8_vgpr9
	s_branch .LBB143_196
.LBB143_41:
	s_mov_b32 s45, -1
	s_mov_b32 s30, 0
	s_mov_b32 s31, 0
                                        ; implicit-def: $vgpr10_vgpr11
	s_branch .LBB143_348
.LBB143_42:
	s_mov_b32 s31, -1
	s_mov_b32 s28, 0
	s_mov_b32 s30, 0
                                        ; implicit-def: $vgpr2_vgpr3
	s_branch .LBB143_57
.LBB143_43:
	s_mov_b32 s45, -1
	s_mov_b32 s29, 0
	s_mov_b32 s31, 0
                                        ; implicit-def: $vgpr8_vgpr9
	s_branch .LBB143_177
.LBB143_44:
	s_mov_b32 s45, -1
	s_mov_b32 s30, 0
	s_mov_b32 s31, 0
                                        ; implicit-def: $vgpr10_vgpr11
	s_branch .LBB143_312
.LBB143_45:
	s_mov_b32 s31, -1
	s_mov_b32 s28, 0
	s_branch .LBB143_49
.LBB143_46:
	s_mov_b32 s45, -1
	s_mov_b32 s29, 0
	s_mov_b32 s31, 0
                                        ; implicit-def: $vgpr8_vgpr9
	s_branch .LBB143_172
.LBB143_47:
	s_mov_b32 s45, -1
	s_mov_b32 s30, 0
	s_mov_b32 s31, 0
                                        ; implicit-def: $vgpr10_vgpr11
	s_branch .LBB143_293
.LBB143_48:
	s_mov_b32 s28, -1
.LBB143_49:
	s_mov_b32 s30, 0
                                        ; implicit-def: $vgpr2_vgpr3
.LBB143_50:
	s_and_b32 vcc_lo, exec_lo, s31
	s_cbranch_vccz .LBB143_56
; %bb.51:
	s_cmp_eq_u32 s29, 44
	s_cbranch_scc0 .LBB143_55
; %bb.52:
	global_load_u8 v1, v[10:11], off
	s_mov_b32 s28, 0
	s_mov_b32 s30, -1
	s_wait_loadcnt 0x0
	v_cmp_ne_u32_e32 vcc_lo, 0xff, v1
	v_lshlrev_b32_e32 v2, 23, v1
	s_delay_alu instid0(VALU_DEP_1) | instskip(NEXT) | instid1(VALU_DEP_1)
	v_cvt_f64_f32_e32 v[2:3], v2
	v_cndmask_b32_e32 v2, 0x20000000, v2, vcc_lo
	s_delay_alu instid0(VALU_DEP_2) | instskip(SKIP_1) | instid1(VALU_DEP_2)
	v_cndmask_b32_e32 v3, 0x7ff80000, v3, vcc_lo
	v_cmp_ne_u32_e32 vcc_lo, 0, v1
	v_cndmask_b32_e32 v3, 0x38000000, v3, vcc_lo
	s_delay_alu instid0(VALU_DEP_4)
	v_cndmask_b32_e32 v2, 0, v2, vcc_lo
	s_branch .LBB143_56
.LBB143_53:
	s_mov_b32 s45, -1
	s_mov_b32 s29, 0
	s_branch .LBB143_165
.LBB143_54:
	s_mov_b32 s45, -1
	s_mov_b32 s30, 0
	s_mov_b32 s31, 0
                                        ; implicit-def: $vgpr10_vgpr11
	s_branch .LBB143_288
.LBB143_55:
	s_mov_b32 s28, -1
                                        ; implicit-def: $vgpr2_vgpr3
.LBB143_56:
	s_mov_b32 s31, 0
.LBB143_57:
	s_delay_alu instid0(SALU_CYCLE_1)
	s_and_b32 vcc_lo, exec_lo, s31
	s_cbranch_vccz .LBB143_61
; %bb.58:
	s_cmp_eq_u32 s29, 29
	s_cbranch_scc0 .LBB143_60
; %bb.59:
	global_load_b64 v[2:3], v[10:11], off
	s_mov_b32 s30, -1
	s_mov_b32 s28, 0
	s_mov_b32 s31, 0
	s_wait_loadcnt 0x0
	v_cvt_f64_u32_e32 v[12:13], v3
	v_cvt_f64_u32_e32 v[2:3], v2
	s_delay_alu instid0(VALU_DEP_2) | instskip(NEXT) | instid1(VALU_DEP_1)
	v_ldexp_f64 v[12:13], v[12:13], 32
	v_add_f64_e32 v[2:3], v[12:13], v[2:3]
	s_branch .LBB143_62
.LBB143_60:
	s_mov_b32 s28, -1
                                        ; implicit-def: $vgpr2_vgpr3
.LBB143_61:
	s_mov_b32 s31, 0
.LBB143_62:
	s_delay_alu instid0(SALU_CYCLE_1)
	s_and_b32 vcc_lo, exec_lo, s31
	s_cbranch_vccz .LBB143_80
; %bb.63:
	s_cmp_lt_i32 s29, 27
	s_cbranch_scc1 .LBB143_66
; %bb.64:
	s_cmp_gt_i32 s29, 27
	s_cbranch_scc0 .LBB143_67
; %bb.65:
	global_load_b32 v1, v[10:11], off
	s_mov_b32 s30, 0
	s_wait_loadcnt 0x0
	v_cvt_f64_u32_e32 v[2:3], v1
	s_branch .LBB143_68
.LBB143_66:
	s_mov_b32 s30, -1
                                        ; implicit-def: $vgpr2_vgpr3
	s_branch .LBB143_71
.LBB143_67:
	s_mov_b32 s30, -1
                                        ; implicit-def: $vgpr2_vgpr3
.LBB143_68:
	s_delay_alu instid0(SALU_CYCLE_1)
	s_and_not1_b32 vcc_lo, exec_lo, s30
	s_cbranch_vccnz .LBB143_70
; %bb.69:
	global_load_u16 v1, v[10:11], off
	s_wait_loadcnt 0x0
	v_cvt_f64_u32_e32 v[2:3], v1
.LBB143_70:
	s_mov_b32 s30, 0
.LBB143_71:
	s_delay_alu instid0(SALU_CYCLE_1)
	s_and_not1_b32 vcc_lo, exec_lo, s30
	s_cbranch_vccnz .LBB143_79
; %bb.72:
	global_load_u8 v1, v[10:11], off
	s_mov_b32 s30, 0
	s_mov_b32 s31, exec_lo
	s_wait_loadcnt 0x0
	v_cmpx_lt_i16_e32 0x7f, v1
	s_xor_b32 s31, exec_lo, s31
	s_cbranch_execz .LBB143_92
; %bb.73:
	s_mov_b32 s30, -1
	s_mov_b32 s45, exec_lo
	v_cmpx_eq_u16_e32 0x80, v1
; %bb.74:
	s_xor_b32 s30, exec_lo, -1
; %bb.75:
	s_or_b32 exec_lo, exec_lo, s45
	s_delay_alu instid0(SALU_CYCLE_1)
	s_and_b32 s30, s30, exec_lo
	s_or_saveexec_b32 s31, s31
	v_mov_b64_e32 v[2:3], 0x7ff8000020000000
	s_xor_b32 exec_lo, exec_lo, s31
	s_cbranch_execnz .LBB143_93
.LBB143_76:
	s_or_b32 exec_lo, exec_lo, s31
	s_and_saveexec_b32 s31, s30
	s_cbranch_execz .LBB143_78
.LBB143_77:
	v_and_b32_e32 v2, 0xffff, v1
	s_delay_alu instid0(VALU_DEP_1) | instskip(SKIP_1) | instid1(VALU_DEP_2)
	v_and_b32_e32 v3, 7, v2
	v_bfe_u32 v9, v2, 3, 4
	v_clz_i32_u32_e32 v5, v3
	s_delay_alu instid0(VALU_DEP_2) | instskip(NEXT) | instid1(VALU_DEP_2)
	v_cmp_eq_u32_e32 vcc_lo, 0, v9
	v_min_u32_e32 v5, 32, v5
	s_delay_alu instid0(VALU_DEP_1) | instskip(NEXT) | instid1(VALU_DEP_1)
	v_subrev_nc_u32_e32 v7, 28, v5
	v_dual_lshlrev_b32 v2, v7, v2 :: v_dual_sub_nc_u32 v5, 29, v5
	s_delay_alu instid0(VALU_DEP_1) | instskip(NEXT) | instid1(VALU_DEP_1)
	v_dual_lshlrev_b32 v1, 24, v1 :: v_dual_bitop2_b32 v2, 7, v2 bitop3:0x40
	v_dual_cndmask_b32 v2, v3, v2 :: v_dual_cndmask_b32 v5, v9, v5
	s_delay_alu instid0(VALU_DEP_2) | instskip(NEXT) | instid1(VALU_DEP_2)
	v_and_b32_e32 v1, 0x80000000, v1
	v_lshlrev_b32_e32 v2, 20, v2
	s_delay_alu instid0(VALU_DEP_3) | instskip(NEXT) | instid1(VALU_DEP_1)
	v_lshl_add_u32 v3, v5, 23, 0x3b800000
	v_or3_b32 v1, v1, v3, v2
	s_delay_alu instid0(VALU_DEP_1)
	v_cvt_f64_f32_e32 v[2:3], v1
.LBB143_78:
	s_or_b32 exec_lo, exec_lo, s31
.LBB143_79:
	s_mov_b32 s30, -1
.LBB143_80:
	s_branch .LBB143_115
.LBB143_81:
	s_cmp_gt_i32 s29, 22
	s_cbranch_scc0 .LBB143_91
; %bb.82:
	s_cmp_lt_i32 s29, 24
	s_cbranch_scc1 .LBB143_94
; %bb.83:
	s_cmp_gt_i32 s29, 24
	s_cbranch_scc0 .LBB143_95
; %bb.84:
	global_load_u8 v1, v[10:11], off
	s_mov_b32 s30, 0
	s_mov_b32 s31, exec_lo
	s_wait_loadcnt 0x0
	v_cmpx_lt_i16_e32 0x7f, v1
	s_xor_b32 s31, exec_lo, s31
	s_cbranch_execz .LBB143_107
; %bb.85:
	s_mov_b32 s30, -1
	s_mov_b32 s45, exec_lo
	v_cmpx_eq_u16_e32 0x80, v1
; %bb.86:
	s_xor_b32 s30, exec_lo, -1
; %bb.87:
	s_or_b32 exec_lo, exec_lo, s45
	s_delay_alu instid0(SALU_CYCLE_1)
	s_and_b32 s30, s30, exec_lo
	s_or_saveexec_b32 s31, s31
	v_mov_b64_e32 v[2:3], 0x7ff8000020000000
	s_xor_b32 exec_lo, exec_lo, s31
	s_cbranch_execnz .LBB143_108
.LBB143_88:
	s_or_b32 exec_lo, exec_lo, s31
	s_and_saveexec_b32 s31, s30
	s_cbranch_execz .LBB143_90
.LBB143_89:
	v_and_b32_e32 v2, 0xffff, v1
	s_delay_alu instid0(VALU_DEP_1) | instskip(SKIP_1) | instid1(VALU_DEP_2)
	v_and_b32_e32 v3, 3, v2
	v_bfe_u32 v9, v2, 2, 5
	v_clz_i32_u32_e32 v5, v3
	s_delay_alu instid0(VALU_DEP_2) | instskip(NEXT) | instid1(VALU_DEP_2)
	v_cmp_eq_u32_e32 vcc_lo, 0, v9
	v_min_u32_e32 v5, 32, v5
	s_delay_alu instid0(VALU_DEP_1) | instskip(NEXT) | instid1(VALU_DEP_1)
	v_subrev_nc_u32_e32 v7, 29, v5
	v_dual_lshlrev_b32 v2, v7, v2 :: v_dual_sub_nc_u32 v5, 30, v5
	s_delay_alu instid0(VALU_DEP_1) | instskip(NEXT) | instid1(VALU_DEP_1)
	v_dual_lshlrev_b32 v1, 24, v1 :: v_dual_bitop2_b32 v2, 3, v2 bitop3:0x40
	v_dual_cndmask_b32 v2, v3, v2 :: v_dual_cndmask_b32 v5, v9, v5
	s_delay_alu instid0(VALU_DEP_2) | instskip(NEXT) | instid1(VALU_DEP_2)
	v_and_b32_e32 v1, 0x80000000, v1
	v_lshlrev_b32_e32 v2, 21, v2
	s_delay_alu instid0(VALU_DEP_3) | instskip(NEXT) | instid1(VALU_DEP_1)
	v_lshl_add_u32 v3, v5, 23, 0x37800000
	v_or3_b32 v1, v1, v3, v2
	s_delay_alu instid0(VALU_DEP_1)
	v_cvt_f64_f32_e32 v[2:3], v1
.LBB143_90:
	s_or_b32 exec_lo, exec_lo, s31
	s_mov_b32 s30, 0
	s_branch .LBB143_96
.LBB143_91:
	s_mov_b32 s31, -1
                                        ; implicit-def: $vgpr2_vgpr3
	s_branch .LBB143_102
.LBB143_92:
	s_or_saveexec_b32 s31, s31
	v_mov_b64_e32 v[2:3], 0x7ff8000020000000
	s_xor_b32 exec_lo, exec_lo, s31
	s_cbranch_execz .LBB143_76
.LBB143_93:
	v_cmp_ne_u16_e32 vcc_lo, 0, v1
	v_mov_b64_e32 v[2:3], 0
	s_and_not1_b32 s30, s30, exec_lo
	s_and_b32 s45, vcc_lo, exec_lo
	s_delay_alu instid0(SALU_CYCLE_1)
	s_or_b32 s30, s30, s45
	s_or_b32 exec_lo, exec_lo, s31
	s_and_saveexec_b32 s31, s30
	s_cbranch_execnz .LBB143_77
	s_branch .LBB143_78
.LBB143_94:
	s_mov_b32 s30, -1
                                        ; implicit-def: $vgpr2_vgpr3
	s_branch .LBB143_99
.LBB143_95:
	s_mov_b32 s30, -1
                                        ; implicit-def: $vgpr2_vgpr3
.LBB143_96:
	s_delay_alu instid0(SALU_CYCLE_1)
	s_and_b32 vcc_lo, exec_lo, s30
	s_cbranch_vccz .LBB143_98
; %bb.97:
	global_load_u8 v1, v[10:11], off
	s_wait_loadcnt 0x0
	v_lshlrev_b32_e32 v1, 24, v1
	s_delay_alu instid0(VALU_DEP_1) | instskip(NEXT) | instid1(VALU_DEP_1)
	v_and_b32_e32 v2, 0x7f000000, v1
	v_clz_i32_u32_e32 v3, v2
	v_cmp_ne_u32_e32 vcc_lo, 0, v2
	v_add_nc_u32_e32 v7, 0x1000000, v2
	s_delay_alu instid0(VALU_DEP_3) | instskip(NEXT) | instid1(VALU_DEP_1)
	v_min_u32_e32 v3, 32, v3
	v_sub_nc_u32_e64 v3, v3, 4 clamp
	s_delay_alu instid0(VALU_DEP_1) | instskip(NEXT) | instid1(VALU_DEP_1)
	v_dual_lshlrev_b32 v5, v3, v2 :: v_dual_lshlrev_b32 v3, 23, v3
	v_lshrrev_b32_e32 v5, 4, v5
	s_delay_alu instid0(VALU_DEP_1) | instskip(SKIP_1) | instid1(VALU_DEP_2)
	v_sub_nc_u32_e32 v3, v5, v3
	v_ashrrev_i32_e32 v5, 8, v7
	v_add_nc_u32_e32 v3, 0x3c000000, v3
	s_delay_alu instid0(VALU_DEP_1) | instskip(NEXT) | instid1(VALU_DEP_1)
	v_and_or_b32 v3, 0x7f800000, v5, v3
	v_cndmask_b32_e32 v2, 0, v3, vcc_lo
	s_delay_alu instid0(VALU_DEP_1) | instskip(NEXT) | instid1(VALU_DEP_1)
	v_and_or_b32 v1, 0x80000000, v1, v2
	v_cvt_f64_f32_e32 v[2:3], v1
.LBB143_98:
	s_mov_b32 s30, 0
.LBB143_99:
	s_delay_alu instid0(SALU_CYCLE_1)
	s_and_not1_b32 vcc_lo, exec_lo, s30
	s_cbranch_vccnz .LBB143_101
; %bb.100:
	global_load_u8 v1, v[10:11], off
	s_wait_loadcnt 0x0
	v_lshlrev_b32_e32 v2, 25, v1
	v_lshlrev_b16 v1, 8, v1
	s_delay_alu instid0(VALU_DEP_1) | instskip(NEXT) | instid1(VALU_DEP_3)
	v_and_or_b32 v5, 0x7f00, v1, 0.5
	v_lshrrev_b32_e32 v3, 4, v2
	v_bfe_i32 v1, v1, 0, 16
	s_delay_alu instid0(VALU_DEP_3) | instskip(NEXT) | instid1(VALU_DEP_3)
	v_add_f32_e32 v5, -0.5, v5
	v_or_b32_e32 v3, 0x70000000, v3
	s_delay_alu instid0(VALU_DEP_1) | instskip(SKIP_1) | instid1(VALU_DEP_2)
	v_mul_f32_e32 v3, 0x7800000, v3
	v_cmp_gt_u32_e32 vcc_lo, 0x8000000, v2
	v_cndmask_b32_e32 v2, v3, v5, vcc_lo
	s_delay_alu instid0(VALU_DEP_1) | instskip(NEXT) | instid1(VALU_DEP_1)
	v_and_or_b32 v1, 0x80000000, v1, v2
	v_cvt_f64_f32_e32 v[2:3], v1
.LBB143_101:
	s_mov_b32 s31, 0
	s_mov_b32 s30, -1
.LBB143_102:
	s_and_not1_b32 vcc_lo, exec_lo, s31
	s_cbranch_vccnz .LBB143_115
; %bb.103:
	s_cmp_gt_i32 s29, 14
	s_cbranch_scc0 .LBB143_106
; %bb.104:
	s_cmp_eq_u32 s29, 15
	s_cbranch_scc0 .LBB143_109
; %bb.105:
	global_load_u16 v1, v[10:11], off
	s_mov_b32 s30, -1
	s_mov_b32 s28, 0
	s_wait_loadcnt 0x0
	v_lshlrev_b32_e32 v1, 16, v1
	s_delay_alu instid0(VALU_DEP_1)
	v_cvt_f64_f32_e32 v[2:3], v1
	s_branch .LBB143_110
.LBB143_106:
	s_mov_b32 s31, -1
                                        ; implicit-def: $vgpr2_vgpr3
	s_branch .LBB143_111
.LBB143_107:
	s_or_saveexec_b32 s31, s31
	v_mov_b64_e32 v[2:3], 0x7ff8000020000000
	s_xor_b32 exec_lo, exec_lo, s31
	s_cbranch_execz .LBB143_88
.LBB143_108:
	v_cmp_ne_u16_e32 vcc_lo, 0, v1
	v_mov_b64_e32 v[2:3], 0
	s_and_not1_b32 s30, s30, exec_lo
	s_and_b32 s45, vcc_lo, exec_lo
	s_delay_alu instid0(SALU_CYCLE_1)
	s_or_b32 s30, s30, s45
	s_or_b32 exec_lo, exec_lo, s31
	s_and_saveexec_b32 s31, s30
	s_cbranch_execnz .LBB143_89
	s_branch .LBB143_90
.LBB143_109:
	s_mov_b32 s28, -1
                                        ; implicit-def: $vgpr2_vgpr3
.LBB143_110:
	s_mov_b32 s31, 0
.LBB143_111:
	s_delay_alu instid0(SALU_CYCLE_1)
	s_and_b32 vcc_lo, exec_lo, s31
	s_cbranch_vccz .LBB143_115
; %bb.112:
	s_cmp_eq_u32 s29, 11
	s_cbranch_scc0 .LBB143_114
; %bb.113:
	global_load_u8 v1, v[10:11], off
	v_mov_b32_e32 v2, 0
	s_mov_b32 s28, 0
	s_mov_b32 s30, -1
	s_wait_loadcnt 0x0
	v_cmp_ne_u16_e32 vcc_lo, 0, v1
	v_cndmask_b32_e64 v3, 0, 0x3ff00000, vcc_lo
	s_branch .LBB143_115
.LBB143_114:
	s_mov_b32 s28, -1
                                        ; implicit-def: $vgpr2_vgpr3
.LBB143_115:
	s_branch .LBB143_21
.LBB143_116:
	s_and_b32 s0, 0xffff, s0
	s_delay_alu instid0(SALU_CYCLE_1)
	s_cmp_lt_i32 s0, 5
	s_cbranch_scc1 .LBB143_121
; %bb.117:
	s_cmp_lt_i32 s0, 8
	s_cbranch_scc1 .LBB143_122
; %bb.118:
	;; [unrolled: 3-line block ×3, first 2 shown]
	s_cmp_gt_i32 s0, 9
	s_cbranch_scc0 .LBB143_124
; %bb.120:
	global_load_b64 v[2:3], v[10:11], off
	s_mov_b32 s29, 0
	s_branch .LBB143_125
.LBB143_121:
                                        ; implicit-def: $vgpr2_vgpr3
	s_branch .LBB143_143
.LBB143_122:
	s_mov_b32 s29, -1
                                        ; implicit-def: $vgpr2_vgpr3
	s_branch .LBB143_131
.LBB143_123:
	s_mov_b32 s29, -1
                                        ; implicit-def: $vgpr2_vgpr3
	s_branch .LBB143_128
.LBB143_124:
	s_mov_b32 s29, -1
                                        ; implicit-def: $vgpr2_vgpr3
.LBB143_125:
	s_delay_alu instid0(SALU_CYCLE_1)
	s_and_not1_b32 vcc_lo, exec_lo, s29
	s_cbranch_vccnz .LBB143_127
; %bb.126:
	global_load_b32 v1, v[10:11], off
	s_wait_loadcnt 0x0
	v_cvt_f64_f32_e32 v[2:3], v1
.LBB143_127:
	s_mov_b32 s29, 0
.LBB143_128:
	s_delay_alu instid0(SALU_CYCLE_1)
	s_and_not1_b32 vcc_lo, exec_lo, s29
	s_cbranch_vccnz .LBB143_130
; %bb.129:
	global_load_b32 v1, v[10:11], off
	s_wait_loadcnt 0x0
	v_cvt_f32_f16_e32 v1, v1
	s_delay_alu instid0(VALU_DEP_1)
	v_cvt_f64_f32_e32 v[2:3], v1
.LBB143_130:
	s_mov_b32 s29, 0
.LBB143_131:
	s_delay_alu instid0(SALU_CYCLE_1)
	s_and_not1_b32 vcc_lo, exec_lo, s29
	s_cbranch_vccnz .LBB143_142
; %bb.132:
	s_cmp_lt_i32 s0, 6
	s_cbranch_scc1 .LBB143_135
; %bb.133:
	s_cmp_gt_i32 s0, 6
	s_cbranch_scc0 .LBB143_136
; %bb.134:
	s_wait_loadcnt 0x0
	global_load_b64 v[2:3], v[10:11], off
	s_mov_b32 s29, 0
	s_branch .LBB143_137
.LBB143_135:
	s_mov_b32 s29, -1
                                        ; implicit-def: $vgpr2_vgpr3
	s_branch .LBB143_140
.LBB143_136:
	s_mov_b32 s29, -1
                                        ; implicit-def: $vgpr2_vgpr3
.LBB143_137:
	s_delay_alu instid0(SALU_CYCLE_1)
	s_and_not1_b32 vcc_lo, exec_lo, s29
	s_cbranch_vccnz .LBB143_139
; %bb.138:
	global_load_b32 v1, v[10:11], off
	s_wait_loadcnt 0x0
	v_cvt_f64_f32_e32 v[2:3], v1
.LBB143_139:
	s_mov_b32 s29, 0
.LBB143_140:
	s_delay_alu instid0(SALU_CYCLE_1)
	s_and_not1_b32 vcc_lo, exec_lo, s29
	s_cbranch_vccnz .LBB143_142
; %bb.141:
	global_load_u16 v1, v[10:11], off
	s_wait_loadcnt 0x0
	v_cvt_f32_f16_e32 v1, v1
	s_delay_alu instid0(VALU_DEP_1)
	v_cvt_f64_f32_e32 v[2:3], v1
.LBB143_142:
	s_cbranch_execnz .LBB143_162
.LBB143_143:
	s_cmp_lt_i32 s0, 2
	s_cbranch_scc1 .LBB143_147
; %bb.144:
	s_cmp_lt_i32 s0, 3
	s_cbranch_scc1 .LBB143_148
; %bb.145:
	s_cmp_gt_i32 s0, 3
	s_cbranch_scc0 .LBB143_149
; %bb.146:
	s_wait_loadcnt 0x0
	global_load_b64 v[2:3], v[10:11], off
	s_mov_b32 s29, 0
	s_wait_loadcnt 0x0
	v_cvt_f64_i32_e32 v[12:13], v3
	v_cvt_f64_u32_e32 v[2:3], v2
	s_delay_alu instid0(VALU_DEP_2) | instskip(NEXT) | instid1(VALU_DEP_1)
	v_ldexp_f64 v[12:13], v[12:13], 32
	v_add_f64_e32 v[2:3], v[12:13], v[2:3]
	s_branch .LBB143_150
.LBB143_147:
	s_mov_b32 s29, -1
                                        ; implicit-def: $vgpr2_vgpr3
	s_branch .LBB143_156
.LBB143_148:
	s_mov_b32 s29, -1
                                        ; implicit-def: $vgpr2_vgpr3
	s_branch .LBB143_153
.LBB143_149:
	s_mov_b32 s29, -1
                                        ; implicit-def: $vgpr2_vgpr3
.LBB143_150:
	s_delay_alu instid0(SALU_CYCLE_1)
	s_and_not1_b32 vcc_lo, exec_lo, s29
	s_cbranch_vccnz .LBB143_152
; %bb.151:
	global_load_b32 v1, v[10:11], off
	s_wait_loadcnt 0x0
	v_cvt_f64_i32_e32 v[2:3], v1
.LBB143_152:
	s_mov_b32 s29, 0
.LBB143_153:
	s_delay_alu instid0(SALU_CYCLE_1)
	s_and_not1_b32 vcc_lo, exec_lo, s29
	s_cbranch_vccnz .LBB143_155
; %bb.154:
	global_load_i16 v1, v[10:11], off
	s_wait_loadcnt 0x0
	v_cvt_f64_i32_e32 v[2:3], v1
.LBB143_155:
	s_mov_b32 s29, 0
.LBB143_156:
	s_delay_alu instid0(SALU_CYCLE_1)
	s_and_not1_b32 vcc_lo, exec_lo, s29
	s_cbranch_vccnz .LBB143_162
; %bb.157:
	s_cmp_gt_i32 s0, 0
	s_mov_b32 s0, 0
	s_cbranch_scc0 .LBB143_159
; %bb.158:
	global_load_i8 v1, v[10:11], off
	s_wait_loadcnt 0x0
	v_cvt_f64_i32_e32 v[2:3], v1
	s_branch .LBB143_160
.LBB143_159:
	s_mov_b32 s0, -1
                                        ; implicit-def: $vgpr2_vgpr3
.LBB143_160:
	s_delay_alu instid0(SALU_CYCLE_1)
	s_and_not1_b32 vcc_lo, exec_lo, s0
	s_cbranch_vccnz .LBB143_162
; %bb.161:
	global_load_u8 v1, v[10:11], off
	s_wait_loadcnt 0x0
	v_cvt_f64_u32_e32 v[2:3], v1
.LBB143_162:
	s_branch .LBB143_22
.LBB143_163:
	s_mov_b32 s0, 0
	s_mov_b32 s30, 0
	;; [unrolled: 1-line block ×3, first 2 shown]
	s_branch .LBB143_521
.LBB143_164:
	s_mov_b32 s29, -1
.LBB143_165:
	s_mov_b32 s31, 0
                                        ; implicit-def: $vgpr8_vgpr9
.LBB143_166:
	s_and_b32 vcc_lo, exec_lo, s45
	s_cbranch_vccz .LBB143_171
; %bb.167:
	s_cmp_eq_u32 s30, 44
	s_cbranch_scc0 .LBB143_170
; %bb.168:
	global_load_u8 v1, v[10:11], off
	s_mov_b32 s29, 0
	s_mov_b32 s31, -1
	s_wait_loadcnt 0x0
	v_lshlrev_b32_e32 v5, 23, v1
	v_cmp_ne_u32_e32 vcc_lo, 0xff, v1
	s_delay_alu instid0(VALU_DEP_2) | instskip(NEXT) | instid1(VALU_DEP_1)
	v_cvt_f64_f32_e32 v[8:9], v5
	v_cndmask_b32_e32 v5, 0x20000000, v8, vcc_lo
	s_delay_alu instid0(VALU_DEP_2) | instskip(SKIP_1) | instid1(VALU_DEP_2)
	v_cndmask_b32_e32 v7, 0x7ff80000, v9, vcc_lo
	v_cmp_ne_u32_e32 vcc_lo, 0, v1
	v_cndmask_b32_e32 v9, 0x38000000, v7, vcc_lo
	s_delay_alu instid0(VALU_DEP_4)
	v_cndmask_b32_e32 v8, 0, v5, vcc_lo
	s_branch .LBB143_171
.LBB143_169:
	s_mov_b32 s45, -1
	s_mov_b32 s30, 0
	s_branch .LBB143_282
.LBB143_170:
	s_mov_b32 s29, -1
                                        ; implicit-def: $vgpr8_vgpr9
.LBB143_171:
	s_mov_b32 s45, 0
.LBB143_172:
	s_delay_alu instid0(SALU_CYCLE_1)
	s_and_b32 vcc_lo, exec_lo, s45
	s_cbranch_vccz .LBB143_176
; %bb.173:
	s_cmp_eq_u32 s30, 29
	s_cbranch_scc0 .LBB143_175
; %bb.174:
	global_load_b64 v[8:9], v[10:11], off
	s_mov_b32 s31, -1
	s_mov_b32 s29, 0
	s_mov_b32 s45, 0
	s_wait_loadcnt 0x0
	v_cvt_f64_u32_e32 v[12:13], v9
	v_cvt_f64_u32_e32 v[8:9], v8
	s_delay_alu instid0(VALU_DEP_2) | instskip(NEXT) | instid1(VALU_DEP_1)
	v_ldexp_f64 v[12:13], v[12:13], 32
	v_add_f64_e32 v[8:9], v[12:13], v[8:9]
	s_branch .LBB143_177
.LBB143_175:
	s_mov_b32 s29, -1
                                        ; implicit-def: $vgpr8_vgpr9
.LBB143_176:
	s_mov_b32 s45, 0
.LBB143_177:
	s_delay_alu instid0(SALU_CYCLE_1)
	s_and_b32 vcc_lo, exec_lo, s45
	s_cbranch_vccz .LBB143_195
; %bb.178:
	s_cmp_lt_i32 s30, 27
	s_cbranch_scc1 .LBB143_181
; %bb.179:
	s_cmp_gt_i32 s30, 27
	s_cbranch_scc0 .LBB143_182
; %bb.180:
	global_load_b32 v1, v[10:11], off
	s_mov_b32 s31, 0
	s_wait_loadcnt 0x0
	v_cvt_f64_u32_e32 v[8:9], v1
	s_branch .LBB143_183
.LBB143_181:
	s_mov_b32 s31, -1
                                        ; implicit-def: $vgpr8_vgpr9
	s_branch .LBB143_186
.LBB143_182:
	s_mov_b32 s31, -1
                                        ; implicit-def: $vgpr8_vgpr9
.LBB143_183:
	s_delay_alu instid0(SALU_CYCLE_1)
	s_and_not1_b32 vcc_lo, exec_lo, s31
	s_cbranch_vccnz .LBB143_185
; %bb.184:
	global_load_u16 v1, v[10:11], off
	s_wait_loadcnt 0x0
	v_cvt_f64_u32_e32 v[8:9], v1
.LBB143_185:
	s_mov_b32 s31, 0
.LBB143_186:
	s_delay_alu instid0(SALU_CYCLE_1)
	s_and_not1_b32 vcc_lo, exec_lo, s31
	s_cbranch_vccnz .LBB143_194
; %bb.187:
	global_load_u8 v1, v[10:11], off
	s_mov_b32 s31, 0
	s_mov_b32 s45, exec_lo
	s_wait_loadcnt 0x0
	v_cmpx_lt_i16_e32 0x7f, v1
	s_xor_b32 s45, exec_lo, s45
	s_cbranch_execz .LBB143_208
; %bb.188:
	s_mov_b32 s31, -1
	s_mov_b32 s46, exec_lo
	v_cmpx_eq_u16_e32 0x80, v1
; %bb.189:
	s_xor_b32 s31, exec_lo, -1
; %bb.190:
	s_or_b32 exec_lo, exec_lo, s46
	s_delay_alu instid0(SALU_CYCLE_1)
	s_and_b32 s31, s31, exec_lo
	s_or_saveexec_b32 s45, s45
	v_mov_b64_e32 v[8:9], 0x7ff8000020000000
	s_xor_b32 exec_lo, exec_lo, s45
	s_cbranch_execnz .LBB143_209
.LBB143_191:
	s_or_b32 exec_lo, exec_lo, s45
	s_and_saveexec_b32 s45, s31
	s_cbranch_execz .LBB143_193
.LBB143_192:
	v_and_b32_e32 v5, 0xffff, v1
	s_delay_alu instid0(VALU_DEP_1) | instskip(SKIP_1) | instid1(VALU_DEP_2)
	v_and_b32_e32 v7, 7, v5
	v_bfe_u32 v12, v5, 3, 4
	v_clz_i32_u32_e32 v8, v7
	s_delay_alu instid0(VALU_DEP_2) | instskip(NEXT) | instid1(VALU_DEP_2)
	v_cmp_eq_u32_e32 vcc_lo, 0, v12
	v_min_u32_e32 v8, 32, v8
	s_delay_alu instid0(VALU_DEP_1) | instskip(NEXT) | instid1(VALU_DEP_1)
	v_subrev_nc_u32_e32 v9, 28, v8
	v_dual_lshlrev_b32 v5, v9, v5 :: v_dual_sub_nc_u32 v8, 29, v8
	s_delay_alu instid0(VALU_DEP_1) | instskip(NEXT) | instid1(VALU_DEP_2)
	v_and_b32_e32 v5, 7, v5
	v_dual_cndmask_b32 v8, v12, v8 :: v_dual_lshlrev_b32 v1, 24, v1
	s_delay_alu instid0(VALU_DEP_2) | instskip(NEXT) | instid1(VALU_DEP_2)
	v_cndmask_b32_e32 v5, v7, v5, vcc_lo
	v_and_b32_e32 v1, 0x80000000, v1
	s_delay_alu instid0(VALU_DEP_3) | instskip(NEXT) | instid1(VALU_DEP_3)
	v_lshl_add_u32 v7, v8, 23, 0x3b800000
	v_lshlrev_b32_e32 v5, 20, v5
	s_delay_alu instid0(VALU_DEP_1) | instskip(NEXT) | instid1(VALU_DEP_1)
	v_or3_b32 v1, v1, v7, v5
	v_cvt_f64_f32_e32 v[8:9], v1
.LBB143_193:
	s_or_b32 exec_lo, exec_lo, s45
.LBB143_194:
	s_mov_b32 s31, -1
.LBB143_195:
	s_mov_b32 s45, 0
.LBB143_196:
	s_delay_alu instid0(SALU_CYCLE_1)
	s_and_b32 vcc_lo, exec_lo, s45
	s_cbranch_vccz .LBB143_231
; %bb.197:
	s_cmp_gt_i32 s30, 22
	s_cbranch_scc0 .LBB143_207
; %bb.198:
	s_cmp_lt_i32 s30, 24
	s_cbranch_scc1 .LBB143_210
; %bb.199:
	s_cmp_gt_i32 s30, 24
	s_cbranch_scc0 .LBB143_211
; %bb.200:
	global_load_u8 v1, v[10:11], off
	s_mov_b32 s31, 0
	s_mov_b32 s45, exec_lo
	s_wait_loadcnt 0x0
	v_cmpx_lt_i16_e32 0x7f, v1
	s_xor_b32 s45, exec_lo, s45
	s_cbranch_execz .LBB143_223
; %bb.201:
	s_mov_b32 s31, -1
	s_mov_b32 s46, exec_lo
	v_cmpx_eq_u16_e32 0x80, v1
; %bb.202:
	s_xor_b32 s31, exec_lo, -1
; %bb.203:
	s_or_b32 exec_lo, exec_lo, s46
	s_delay_alu instid0(SALU_CYCLE_1)
	s_and_b32 s31, s31, exec_lo
	s_or_saveexec_b32 s45, s45
	v_mov_b64_e32 v[8:9], 0x7ff8000020000000
	s_xor_b32 exec_lo, exec_lo, s45
	s_cbranch_execnz .LBB143_224
.LBB143_204:
	s_or_b32 exec_lo, exec_lo, s45
	s_and_saveexec_b32 s45, s31
	s_cbranch_execz .LBB143_206
.LBB143_205:
	v_and_b32_e32 v5, 0xffff, v1
	s_delay_alu instid0(VALU_DEP_1) | instskip(SKIP_1) | instid1(VALU_DEP_2)
	v_and_b32_e32 v7, 3, v5
	v_bfe_u32 v12, v5, 2, 5
	v_clz_i32_u32_e32 v8, v7
	s_delay_alu instid0(VALU_DEP_2) | instskip(NEXT) | instid1(VALU_DEP_2)
	v_cmp_eq_u32_e32 vcc_lo, 0, v12
	v_min_u32_e32 v8, 32, v8
	s_delay_alu instid0(VALU_DEP_1) | instskip(NEXT) | instid1(VALU_DEP_1)
	v_subrev_nc_u32_e32 v9, 29, v8
	v_dual_lshlrev_b32 v5, v9, v5 :: v_dual_sub_nc_u32 v8, 30, v8
	s_delay_alu instid0(VALU_DEP_1) | instskip(NEXT) | instid1(VALU_DEP_2)
	v_and_b32_e32 v5, 3, v5
	v_dual_cndmask_b32 v8, v12, v8 :: v_dual_lshlrev_b32 v1, 24, v1
	s_delay_alu instid0(VALU_DEP_2) | instskip(NEXT) | instid1(VALU_DEP_2)
	v_cndmask_b32_e32 v5, v7, v5, vcc_lo
	v_and_b32_e32 v1, 0x80000000, v1
	s_delay_alu instid0(VALU_DEP_3) | instskip(NEXT) | instid1(VALU_DEP_3)
	v_lshl_add_u32 v7, v8, 23, 0x37800000
	v_lshlrev_b32_e32 v5, 21, v5
	s_delay_alu instid0(VALU_DEP_1) | instskip(NEXT) | instid1(VALU_DEP_1)
	v_or3_b32 v1, v1, v7, v5
	v_cvt_f64_f32_e32 v[8:9], v1
.LBB143_206:
	s_or_b32 exec_lo, exec_lo, s45
	s_mov_b32 s31, 0
	s_branch .LBB143_212
.LBB143_207:
	s_mov_b32 s45, -1
                                        ; implicit-def: $vgpr8_vgpr9
	s_branch .LBB143_218
.LBB143_208:
	s_or_saveexec_b32 s45, s45
	v_mov_b64_e32 v[8:9], 0x7ff8000020000000
	s_xor_b32 exec_lo, exec_lo, s45
	s_cbranch_execz .LBB143_191
.LBB143_209:
	v_cmp_ne_u16_e32 vcc_lo, 0, v1
	v_mov_b64_e32 v[8:9], 0
	s_and_not1_b32 s31, s31, exec_lo
	s_and_b32 s46, vcc_lo, exec_lo
	s_delay_alu instid0(SALU_CYCLE_1)
	s_or_b32 s31, s31, s46
	s_or_b32 exec_lo, exec_lo, s45
	s_and_saveexec_b32 s45, s31
	s_cbranch_execnz .LBB143_192
	s_branch .LBB143_193
.LBB143_210:
	s_mov_b32 s31, -1
                                        ; implicit-def: $vgpr8_vgpr9
	s_branch .LBB143_215
.LBB143_211:
	s_mov_b32 s31, -1
                                        ; implicit-def: $vgpr8_vgpr9
.LBB143_212:
	s_delay_alu instid0(SALU_CYCLE_1)
	s_and_b32 vcc_lo, exec_lo, s31
	s_cbranch_vccz .LBB143_214
; %bb.213:
	global_load_u8 v1, v[10:11], off
	s_wait_loadcnt 0x0
	v_lshlrev_b32_e32 v1, 24, v1
	s_delay_alu instid0(VALU_DEP_1) | instskip(NEXT) | instid1(VALU_DEP_1)
	v_and_b32_e32 v5, 0x7f000000, v1
	v_clz_i32_u32_e32 v7, v5
	v_add_nc_u32_e32 v9, 0x1000000, v5
	v_cmp_ne_u32_e32 vcc_lo, 0, v5
	s_delay_alu instid0(VALU_DEP_3) | instskip(NEXT) | instid1(VALU_DEP_1)
	v_min_u32_e32 v7, 32, v7
	v_sub_nc_u32_e64 v7, v7, 4 clamp
	s_delay_alu instid0(VALU_DEP_1) | instskip(NEXT) | instid1(VALU_DEP_1)
	v_dual_lshlrev_b32 v8, v7, v5 :: v_dual_lshlrev_b32 v7, 23, v7
	v_lshrrev_b32_e32 v8, 4, v8
	s_delay_alu instid0(VALU_DEP_1) | instskip(NEXT) | instid1(VALU_DEP_1)
	v_dual_sub_nc_u32 v7, v8, v7 :: v_dual_ashrrev_i32 v8, 8, v9
	v_add_nc_u32_e32 v7, 0x3c000000, v7
	s_delay_alu instid0(VALU_DEP_1) | instskip(NEXT) | instid1(VALU_DEP_1)
	v_and_or_b32 v7, 0x7f800000, v8, v7
	v_cndmask_b32_e32 v5, 0, v7, vcc_lo
	s_delay_alu instid0(VALU_DEP_1) | instskip(NEXT) | instid1(VALU_DEP_1)
	v_and_or_b32 v1, 0x80000000, v1, v5
	v_cvt_f64_f32_e32 v[8:9], v1
.LBB143_214:
	s_mov_b32 s31, 0
.LBB143_215:
	s_delay_alu instid0(SALU_CYCLE_1)
	s_and_not1_b32 vcc_lo, exec_lo, s31
	s_cbranch_vccnz .LBB143_217
; %bb.216:
	global_load_u8 v1, v[10:11], off
	s_wait_loadcnt 0x0
	v_lshlrev_b32_e32 v5, 25, v1
	v_lshlrev_b16 v1, 8, v1
	s_delay_alu instid0(VALU_DEP_1) | instskip(SKIP_1) | instid1(VALU_DEP_2)
	v_and_or_b32 v8, 0x7f00, v1, 0.5
	v_bfe_i32 v1, v1, 0, 16
	v_dual_add_f32 v8, -0.5, v8 :: v_dual_lshrrev_b32 v7, 4, v5
	v_cmp_gt_u32_e32 vcc_lo, 0x8000000, v5
	s_delay_alu instid0(VALU_DEP_2) | instskip(NEXT) | instid1(VALU_DEP_1)
	v_or_b32_e32 v7, 0x70000000, v7
	v_mul_f32_e32 v7, 0x7800000, v7
	s_delay_alu instid0(VALU_DEP_1) | instskip(NEXT) | instid1(VALU_DEP_1)
	v_cndmask_b32_e32 v5, v7, v8, vcc_lo
	v_and_or_b32 v1, 0x80000000, v1, v5
	s_delay_alu instid0(VALU_DEP_1)
	v_cvt_f64_f32_e32 v[8:9], v1
.LBB143_217:
	s_mov_b32 s45, 0
	s_mov_b32 s31, -1
.LBB143_218:
	s_and_not1_b32 vcc_lo, exec_lo, s45
	s_cbranch_vccnz .LBB143_231
; %bb.219:
	s_cmp_gt_i32 s30, 14
	s_cbranch_scc0 .LBB143_222
; %bb.220:
	s_cmp_eq_u32 s30, 15
	s_cbranch_scc0 .LBB143_225
; %bb.221:
	global_load_u16 v1, v[10:11], off
	s_mov_b32 s31, -1
	s_mov_b32 s29, 0
	s_wait_loadcnt 0x0
	v_lshlrev_b32_e32 v1, 16, v1
	s_delay_alu instid0(VALU_DEP_1)
	v_cvt_f64_f32_e32 v[8:9], v1
	s_branch .LBB143_226
.LBB143_222:
	s_mov_b32 s45, -1
                                        ; implicit-def: $vgpr8_vgpr9
	s_branch .LBB143_227
.LBB143_223:
	s_or_saveexec_b32 s45, s45
	v_mov_b64_e32 v[8:9], 0x7ff8000020000000
	s_xor_b32 exec_lo, exec_lo, s45
	s_cbranch_execz .LBB143_204
.LBB143_224:
	v_cmp_ne_u16_e32 vcc_lo, 0, v1
	v_mov_b64_e32 v[8:9], 0
	s_and_not1_b32 s31, s31, exec_lo
	s_and_b32 s46, vcc_lo, exec_lo
	s_delay_alu instid0(SALU_CYCLE_1)
	s_or_b32 s31, s31, s46
	s_or_b32 exec_lo, exec_lo, s45
	s_and_saveexec_b32 s45, s31
	s_cbranch_execnz .LBB143_205
	s_branch .LBB143_206
.LBB143_225:
	s_mov_b32 s29, -1
                                        ; implicit-def: $vgpr8_vgpr9
.LBB143_226:
	s_mov_b32 s45, 0
.LBB143_227:
	s_delay_alu instid0(SALU_CYCLE_1)
	s_and_b32 vcc_lo, exec_lo, s45
	s_cbranch_vccz .LBB143_231
; %bb.228:
	s_cmp_eq_u32 s30, 11
	s_cbranch_scc0 .LBB143_230
; %bb.229:
	global_load_u8 v1, v[10:11], off
	v_mov_b32_e32 v8, 0
	s_mov_b32 s29, 0
	s_mov_b32 s31, -1
	s_wait_loadcnt 0x0
	v_cmp_ne_u16_e32 vcc_lo, 0, v1
	v_cndmask_b32_e64 v9, 0, 0x3ff00000, vcc_lo
	s_branch .LBB143_231
.LBB143_230:
	s_mov_b32 s29, -1
                                        ; implicit-def: $vgpr8_vgpr9
.LBB143_231:
	s_branch .LBB143_31
.LBB143_232:
	s_and_b32 s0, 0xffff, s0
	s_delay_alu instid0(SALU_CYCLE_1)
	s_cmp_lt_i32 s0, 5
	s_cbranch_scc1 .LBB143_237
; %bb.233:
	s_cmp_lt_i32 s0, 8
	s_cbranch_scc1 .LBB143_238
; %bb.234:
	;; [unrolled: 3-line block ×3, first 2 shown]
	s_cmp_gt_i32 s0, 9
	s_cbranch_scc0 .LBB143_240
; %bb.236:
	global_load_b64 v[8:9], v[10:11], off
	s_mov_b32 s30, 0
	s_branch .LBB143_241
.LBB143_237:
	s_mov_b32 s30, -1
                                        ; implicit-def: $vgpr8_vgpr9
	s_branch .LBB143_259
.LBB143_238:
	s_mov_b32 s30, -1
                                        ; implicit-def: $vgpr8_vgpr9
	s_branch .LBB143_247
.LBB143_239:
	s_mov_b32 s30, -1
                                        ; implicit-def: $vgpr8_vgpr9
	s_branch .LBB143_244
.LBB143_240:
	s_mov_b32 s30, -1
                                        ; implicit-def: $vgpr8_vgpr9
.LBB143_241:
	s_delay_alu instid0(SALU_CYCLE_1)
	s_and_not1_b32 vcc_lo, exec_lo, s30
	s_cbranch_vccnz .LBB143_243
; %bb.242:
	global_load_b32 v1, v[10:11], off
	s_wait_loadcnt 0x0
	v_cvt_f64_f32_e32 v[8:9], v1
.LBB143_243:
	s_mov_b32 s30, 0
.LBB143_244:
	s_delay_alu instid0(SALU_CYCLE_1)
	s_and_not1_b32 vcc_lo, exec_lo, s30
	s_cbranch_vccnz .LBB143_246
; %bb.245:
	global_load_b32 v1, v[10:11], off
	s_wait_loadcnt 0x0
	v_cvt_f32_f16_e32 v1, v1
	s_delay_alu instid0(VALU_DEP_1)
	v_cvt_f64_f32_e32 v[8:9], v1
.LBB143_246:
	s_mov_b32 s30, 0
.LBB143_247:
	s_delay_alu instid0(SALU_CYCLE_1)
	s_and_not1_b32 vcc_lo, exec_lo, s30
	s_cbranch_vccnz .LBB143_258
; %bb.248:
	s_cmp_lt_i32 s0, 6
	s_cbranch_scc1 .LBB143_251
; %bb.249:
	s_cmp_gt_i32 s0, 6
	s_cbranch_scc0 .LBB143_252
; %bb.250:
	s_wait_loadcnt 0x0
	global_load_b64 v[8:9], v[10:11], off
	s_mov_b32 s30, 0
	s_branch .LBB143_253
.LBB143_251:
	s_mov_b32 s30, -1
                                        ; implicit-def: $vgpr8_vgpr9
	s_branch .LBB143_256
.LBB143_252:
	s_mov_b32 s30, -1
                                        ; implicit-def: $vgpr8_vgpr9
.LBB143_253:
	s_delay_alu instid0(SALU_CYCLE_1)
	s_and_not1_b32 vcc_lo, exec_lo, s30
	s_cbranch_vccnz .LBB143_255
; %bb.254:
	global_load_b32 v1, v[10:11], off
	s_wait_loadcnt 0x0
	v_cvt_f64_f32_e32 v[8:9], v1
.LBB143_255:
	s_mov_b32 s30, 0
.LBB143_256:
	s_delay_alu instid0(SALU_CYCLE_1)
	s_and_not1_b32 vcc_lo, exec_lo, s30
	s_cbranch_vccnz .LBB143_258
; %bb.257:
	global_load_u16 v1, v[10:11], off
	s_wait_loadcnt 0x0
	v_cvt_f32_f16_e32 v1, v1
	s_delay_alu instid0(VALU_DEP_1)
	v_cvt_f64_f32_e32 v[8:9], v1
.LBB143_258:
	s_mov_b32 s30, 0
.LBB143_259:
	s_delay_alu instid0(SALU_CYCLE_1)
	s_and_not1_b32 vcc_lo, exec_lo, s30
	s_cbranch_vccnz .LBB143_279
; %bb.260:
	s_cmp_lt_i32 s0, 2
	s_cbranch_scc1 .LBB143_264
; %bb.261:
	s_cmp_lt_i32 s0, 3
	s_cbranch_scc1 .LBB143_265
; %bb.262:
	s_cmp_gt_i32 s0, 3
	s_cbranch_scc0 .LBB143_266
; %bb.263:
	s_wait_loadcnt 0x0
	global_load_b64 v[8:9], v[10:11], off
	s_mov_b32 s30, 0
	s_wait_loadcnt 0x0
	v_cvt_f64_i32_e32 v[12:13], v9
	v_cvt_f64_u32_e32 v[8:9], v8
	s_delay_alu instid0(VALU_DEP_2) | instskip(NEXT) | instid1(VALU_DEP_1)
	v_ldexp_f64 v[12:13], v[12:13], 32
	v_add_f64_e32 v[8:9], v[12:13], v[8:9]
	s_branch .LBB143_267
.LBB143_264:
	s_mov_b32 s30, -1
                                        ; implicit-def: $vgpr8_vgpr9
	s_branch .LBB143_273
.LBB143_265:
	s_mov_b32 s30, -1
                                        ; implicit-def: $vgpr8_vgpr9
	s_branch .LBB143_270
.LBB143_266:
	s_mov_b32 s30, -1
                                        ; implicit-def: $vgpr8_vgpr9
.LBB143_267:
	s_delay_alu instid0(SALU_CYCLE_1)
	s_and_not1_b32 vcc_lo, exec_lo, s30
	s_cbranch_vccnz .LBB143_269
; %bb.268:
	global_load_b32 v1, v[10:11], off
	s_wait_loadcnt 0x0
	v_cvt_f64_i32_e32 v[8:9], v1
.LBB143_269:
	s_mov_b32 s30, 0
.LBB143_270:
	s_delay_alu instid0(SALU_CYCLE_1)
	s_and_not1_b32 vcc_lo, exec_lo, s30
	s_cbranch_vccnz .LBB143_272
; %bb.271:
	global_load_i16 v1, v[10:11], off
	s_wait_loadcnt 0x0
	v_cvt_f64_i32_e32 v[8:9], v1
.LBB143_272:
	s_mov_b32 s30, 0
.LBB143_273:
	s_delay_alu instid0(SALU_CYCLE_1)
	s_and_not1_b32 vcc_lo, exec_lo, s30
	s_cbranch_vccnz .LBB143_279
; %bb.274:
	s_cmp_gt_i32 s0, 0
	s_mov_b32 s0, 0
	s_cbranch_scc0 .LBB143_276
; %bb.275:
	global_load_i8 v1, v[10:11], off
	s_wait_loadcnt 0x0
	v_cvt_f64_i32_e32 v[8:9], v1
	s_branch .LBB143_277
.LBB143_276:
	s_mov_b32 s0, -1
                                        ; implicit-def: $vgpr8_vgpr9
.LBB143_277:
	s_delay_alu instid0(SALU_CYCLE_1)
	s_and_not1_b32 vcc_lo, exec_lo, s0
	s_cbranch_vccnz .LBB143_279
; %bb.278:
	global_load_u8 v1, v[10:11], off
	s_wait_loadcnt 0x0
	v_cvt_f64_u32_e32 v[8:9], v1
.LBB143_279:
	s_branch .LBB143_32
.LBB143_280:
	s_mov_b32 s0, 0
	s_mov_b32 s30, 0
	s_branch .LBB143_521
.LBB143_281:
	s_mov_b32 s30, -1
.LBB143_282:
	s_mov_b32 s31, 0
                                        ; implicit-def: $vgpr10_vgpr11
.LBB143_283:
	s_and_b32 vcc_lo, exec_lo, s45
	s_cbranch_vccz .LBB143_287
; %bb.284:
	s_cmp_eq_u32 s0, 44
	s_cbranch_scc0 .LBB143_286
; %bb.285:
	global_load_u8 v1, v[6:7], off
	s_mov_b32 s30, 0
	s_mov_b32 s31, -1
	s_wait_loadcnt 0x0
	v_cmp_ne_u32_e32 vcc_lo, 0xff, v1
	v_lshlrev_b32_e32 v5, 23, v1
	s_delay_alu instid0(VALU_DEP_1) | instskip(NEXT) | instid1(VALU_DEP_1)
	v_cvt_f64_f32_e32 v[10:11], v5
	v_cndmask_b32_e32 v5, 0x20000000, v10, vcc_lo
	s_delay_alu instid0(VALU_DEP_2) | instskip(SKIP_1) | instid1(VALU_DEP_2)
	v_cndmask_b32_e32 v10, 0x7ff80000, v11, vcc_lo
	v_cmp_ne_u32_e32 vcc_lo, 0, v1
	v_cndmask_b32_e32 v11, 0x38000000, v10, vcc_lo
	s_delay_alu instid0(VALU_DEP_4)
	v_cndmask_b32_e32 v10, 0, v5, vcc_lo
	s_branch .LBB143_287
.LBB143_286:
	s_mov_b32 s30, -1
                                        ; implicit-def: $vgpr10_vgpr11
.LBB143_287:
	s_mov_b32 s45, 0
.LBB143_288:
	s_delay_alu instid0(SALU_CYCLE_1)
	s_and_b32 vcc_lo, exec_lo, s45
	s_cbranch_vccz .LBB143_292
; %bb.289:
	s_cmp_eq_u32 s0, 29
	s_cbranch_scc0 .LBB143_291
; %bb.290:
	global_load_b64 v[10:11], v[6:7], off
	s_mov_b32 s31, -1
	s_mov_b32 s30, 0
	s_mov_b32 s45, 0
	s_wait_loadcnt 0x0
	v_cvt_f64_u32_e32 v[12:13], v11
	v_cvt_f64_u32_e32 v[10:11], v10
	s_delay_alu instid0(VALU_DEP_2) | instskip(NEXT) | instid1(VALU_DEP_1)
	v_ldexp_f64 v[12:13], v[12:13], 32
	v_add_f64_e32 v[10:11], v[12:13], v[10:11]
	s_branch .LBB143_293
.LBB143_291:
	s_mov_b32 s30, -1
                                        ; implicit-def: $vgpr10_vgpr11
.LBB143_292:
	s_mov_b32 s45, 0
.LBB143_293:
	s_delay_alu instid0(SALU_CYCLE_1)
	s_and_b32 vcc_lo, exec_lo, s45
	s_cbranch_vccz .LBB143_311
; %bb.294:
	s_cmp_lt_i32 s0, 27
	s_cbranch_scc1 .LBB143_297
; %bb.295:
	s_cmp_gt_i32 s0, 27
	s_cbranch_scc0 .LBB143_298
; %bb.296:
	global_load_b32 v1, v[6:7], off
	s_mov_b32 s31, 0
	s_wait_loadcnt 0x0
	v_cvt_f64_u32_e32 v[10:11], v1
	s_branch .LBB143_299
.LBB143_297:
	s_mov_b32 s31, -1
                                        ; implicit-def: $vgpr10_vgpr11
	s_branch .LBB143_302
.LBB143_298:
	s_mov_b32 s31, -1
                                        ; implicit-def: $vgpr10_vgpr11
.LBB143_299:
	s_delay_alu instid0(SALU_CYCLE_1)
	s_and_not1_b32 vcc_lo, exec_lo, s31
	s_cbranch_vccnz .LBB143_301
; %bb.300:
	global_load_u16 v1, v[6:7], off
	s_wait_loadcnt 0x0
	v_cvt_f64_u32_e32 v[10:11], v1
.LBB143_301:
	s_mov_b32 s31, 0
.LBB143_302:
	s_delay_alu instid0(SALU_CYCLE_1)
	s_and_not1_b32 vcc_lo, exec_lo, s31
	s_cbranch_vccnz .LBB143_310
; %bb.303:
	global_load_u8 v1, v[6:7], off
	s_mov_b32 s31, 0
	s_mov_b32 s45, exec_lo
	s_wait_loadcnt 0x0
	v_cmpx_lt_i16_e32 0x7f, v1
	s_xor_b32 s45, exec_lo, s45
	s_cbranch_execz .LBB143_324
; %bb.304:
	s_mov_b32 s31, -1
	s_mov_b32 s46, exec_lo
	v_cmpx_eq_u16_e32 0x80, v1
; %bb.305:
	s_xor_b32 s31, exec_lo, -1
; %bb.306:
	s_or_b32 exec_lo, exec_lo, s46
	s_delay_alu instid0(SALU_CYCLE_1)
	s_and_b32 s31, s31, exec_lo
	s_or_saveexec_b32 s45, s45
	v_mov_b64_e32 v[10:11], 0x7ff8000020000000
	s_xor_b32 exec_lo, exec_lo, s45
	s_cbranch_execnz .LBB143_325
.LBB143_307:
	s_or_b32 exec_lo, exec_lo, s45
	s_and_saveexec_b32 s45, s31
	s_cbranch_execz .LBB143_309
.LBB143_308:
	v_and_b32_e32 v5, 0xffff, v1
	s_delay_alu instid0(VALU_DEP_1) | instskip(SKIP_1) | instid1(VALU_DEP_2)
	v_and_b32_e32 v10, 7, v5
	v_bfe_u32 v13, v5, 3, 4
	v_clz_i32_u32_e32 v11, v10
	s_delay_alu instid0(VALU_DEP_2) | instskip(NEXT) | instid1(VALU_DEP_2)
	v_cmp_eq_u32_e32 vcc_lo, 0, v13
	v_min_u32_e32 v11, 32, v11
	s_delay_alu instid0(VALU_DEP_1) | instskip(NEXT) | instid1(VALU_DEP_1)
	v_subrev_nc_u32_e32 v12, 28, v11
	v_dual_lshlrev_b32 v5, v12, v5 :: v_dual_sub_nc_u32 v11, 29, v11
	s_delay_alu instid0(VALU_DEP_1) | instskip(NEXT) | instid1(VALU_DEP_2)
	v_and_b32_e32 v5, 7, v5
	v_dual_lshlrev_b32 v1, 24, v1 :: v_dual_cndmask_b32 v11, v13, v11, vcc_lo
	s_delay_alu instid0(VALU_DEP_2) | instskip(NEXT) | instid1(VALU_DEP_2)
	v_cndmask_b32_e32 v5, v10, v5, vcc_lo
	v_and_b32_e32 v1, 0x80000000, v1
	s_delay_alu instid0(VALU_DEP_3) | instskip(NEXT) | instid1(VALU_DEP_3)
	v_lshl_add_u32 v10, v11, 23, 0x3b800000
	v_lshlrev_b32_e32 v5, 20, v5
	s_delay_alu instid0(VALU_DEP_1) | instskip(NEXT) | instid1(VALU_DEP_1)
	v_or3_b32 v1, v1, v10, v5
	v_cvt_f64_f32_e32 v[10:11], v1
.LBB143_309:
	s_or_b32 exec_lo, exec_lo, s45
.LBB143_310:
	s_mov_b32 s31, -1
.LBB143_311:
	s_mov_b32 s45, 0
.LBB143_312:
	s_delay_alu instid0(SALU_CYCLE_1)
	s_and_b32 vcc_lo, exec_lo, s45
	s_cbranch_vccz .LBB143_347
; %bb.313:
	s_cmp_gt_i32 s0, 22
	s_cbranch_scc0 .LBB143_323
; %bb.314:
	s_cmp_lt_i32 s0, 24
	s_cbranch_scc1 .LBB143_326
; %bb.315:
	s_cmp_gt_i32 s0, 24
	s_cbranch_scc0 .LBB143_327
; %bb.316:
	global_load_u8 v1, v[6:7], off
	s_mov_b32 s31, 0
	s_mov_b32 s45, exec_lo
	s_wait_loadcnt 0x0
	v_cmpx_lt_i16_e32 0x7f, v1
	s_xor_b32 s45, exec_lo, s45
	s_cbranch_execz .LBB143_339
; %bb.317:
	s_mov_b32 s31, -1
	s_mov_b32 s46, exec_lo
	v_cmpx_eq_u16_e32 0x80, v1
; %bb.318:
	s_xor_b32 s31, exec_lo, -1
; %bb.319:
	s_or_b32 exec_lo, exec_lo, s46
	s_delay_alu instid0(SALU_CYCLE_1)
	s_and_b32 s31, s31, exec_lo
	s_or_saveexec_b32 s45, s45
	v_mov_b64_e32 v[10:11], 0x7ff8000020000000
	s_xor_b32 exec_lo, exec_lo, s45
	s_cbranch_execnz .LBB143_340
.LBB143_320:
	s_or_b32 exec_lo, exec_lo, s45
	s_and_saveexec_b32 s45, s31
	s_cbranch_execz .LBB143_322
.LBB143_321:
	v_and_b32_e32 v5, 0xffff, v1
	s_delay_alu instid0(VALU_DEP_1) | instskip(SKIP_1) | instid1(VALU_DEP_2)
	v_and_b32_e32 v10, 3, v5
	v_bfe_u32 v13, v5, 2, 5
	v_clz_i32_u32_e32 v11, v10
	s_delay_alu instid0(VALU_DEP_2) | instskip(NEXT) | instid1(VALU_DEP_2)
	v_cmp_eq_u32_e32 vcc_lo, 0, v13
	v_min_u32_e32 v11, 32, v11
	s_delay_alu instid0(VALU_DEP_1) | instskip(NEXT) | instid1(VALU_DEP_1)
	v_subrev_nc_u32_e32 v12, 29, v11
	v_dual_lshlrev_b32 v5, v12, v5 :: v_dual_sub_nc_u32 v11, 30, v11
	s_delay_alu instid0(VALU_DEP_1) | instskip(NEXT) | instid1(VALU_DEP_2)
	v_and_b32_e32 v5, 3, v5
	v_dual_lshlrev_b32 v1, 24, v1 :: v_dual_cndmask_b32 v11, v13, v11, vcc_lo
	s_delay_alu instid0(VALU_DEP_2) | instskip(NEXT) | instid1(VALU_DEP_2)
	v_cndmask_b32_e32 v5, v10, v5, vcc_lo
	v_and_b32_e32 v1, 0x80000000, v1
	s_delay_alu instid0(VALU_DEP_3) | instskip(NEXT) | instid1(VALU_DEP_3)
	v_lshl_add_u32 v10, v11, 23, 0x37800000
	v_lshlrev_b32_e32 v5, 21, v5
	s_delay_alu instid0(VALU_DEP_1) | instskip(NEXT) | instid1(VALU_DEP_1)
	v_or3_b32 v1, v1, v10, v5
	v_cvt_f64_f32_e32 v[10:11], v1
.LBB143_322:
	s_or_b32 exec_lo, exec_lo, s45
	s_mov_b32 s31, 0
	s_branch .LBB143_328
.LBB143_323:
	s_mov_b32 s45, -1
                                        ; implicit-def: $vgpr10_vgpr11
	s_branch .LBB143_334
.LBB143_324:
	s_or_saveexec_b32 s45, s45
	v_mov_b64_e32 v[10:11], 0x7ff8000020000000
	s_xor_b32 exec_lo, exec_lo, s45
	s_cbranch_execz .LBB143_307
.LBB143_325:
	v_cmp_ne_u16_e32 vcc_lo, 0, v1
	v_mov_b64_e32 v[10:11], 0
	s_and_not1_b32 s31, s31, exec_lo
	s_and_b32 s46, vcc_lo, exec_lo
	s_delay_alu instid0(SALU_CYCLE_1)
	s_or_b32 s31, s31, s46
	s_or_b32 exec_lo, exec_lo, s45
	s_and_saveexec_b32 s45, s31
	s_cbranch_execnz .LBB143_308
	s_branch .LBB143_309
.LBB143_326:
	s_mov_b32 s31, -1
                                        ; implicit-def: $vgpr10_vgpr11
	s_branch .LBB143_331
.LBB143_327:
	s_mov_b32 s31, -1
                                        ; implicit-def: $vgpr10_vgpr11
.LBB143_328:
	s_delay_alu instid0(SALU_CYCLE_1)
	s_and_b32 vcc_lo, exec_lo, s31
	s_cbranch_vccz .LBB143_330
; %bb.329:
	global_load_u8 v1, v[6:7], off
	s_wait_loadcnt 0x0
	v_lshlrev_b32_e32 v1, 24, v1
	s_delay_alu instid0(VALU_DEP_1) | instskip(NEXT) | instid1(VALU_DEP_1)
	v_and_b32_e32 v5, 0x7f000000, v1
	v_clz_i32_u32_e32 v10, v5
	v_cmp_ne_u32_e32 vcc_lo, 0, v5
	v_add_nc_u32_e32 v12, 0x1000000, v5
	s_delay_alu instid0(VALU_DEP_3) | instskip(NEXT) | instid1(VALU_DEP_1)
	v_min_u32_e32 v10, 32, v10
	v_sub_nc_u32_e64 v10, v10, 4 clamp
	s_delay_alu instid0(VALU_DEP_1) | instskip(NEXT) | instid1(VALU_DEP_1)
	v_dual_lshlrev_b32 v11, v10, v5 :: v_dual_lshlrev_b32 v10, 23, v10
	v_lshrrev_b32_e32 v11, 4, v11
	s_delay_alu instid0(VALU_DEP_1) | instskip(NEXT) | instid1(VALU_DEP_1)
	v_dual_sub_nc_u32 v10, v11, v10 :: v_dual_ashrrev_i32 v11, 8, v12
	v_add_nc_u32_e32 v10, 0x3c000000, v10
	s_delay_alu instid0(VALU_DEP_1) | instskip(NEXT) | instid1(VALU_DEP_1)
	v_and_or_b32 v10, 0x7f800000, v11, v10
	v_cndmask_b32_e32 v5, 0, v10, vcc_lo
	s_delay_alu instid0(VALU_DEP_1) | instskip(NEXT) | instid1(VALU_DEP_1)
	v_and_or_b32 v1, 0x80000000, v1, v5
	v_cvt_f64_f32_e32 v[10:11], v1
.LBB143_330:
	s_mov_b32 s31, 0
.LBB143_331:
	s_delay_alu instid0(SALU_CYCLE_1)
	s_and_not1_b32 vcc_lo, exec_lo, s31
	s_cbranch_vccnz .LBB143_333
; %bb.332:
	global_load_u8 v1, v[6:7], off
	s_wait_loadcnt 0x0
	v_lshlrev_b32_e32 v5, 25, v1
	v_lshlrev_b16 v1, 8, v1
	s_delay_alu instid0(VALU_DEP_1) | instskip(SKIP_1) | instid1(VALU_DEP_2)
	v_and_or_b32 v11, 0x7f00, v1, 0.5
	v_bfe_i32 v1, v1, 0, 16
	v_dual_add_f32 v11, -0.5, v11 :: v_dual_lshrrev_b32 v10, 4, v5
	v_cmp_gt_u32_e32 vcc_lo, 0x8000000, v5
	s_delay_alu instid0(VALU_DEP_2) | instskip(NEXT) | instid1(VALU_DEP_1)
	v_or_b32_e32 v10, 0x70000000, v10
	v_mul_f32_e32 v10, 0x7800000, v10
	s_delay_alu instid0(VALU_DEP_1) | instskip(NEXT) | instid1(VALU_DEP_1)
	v_cndmask_b32_e32 v5, v10, v11, vcc_lo
	v_and_or_b32 v1, 0x80000000, v1, v5
	s_delay_alu instid0(VALU_DEP_1)
	v_cvt_f64_f32_e32 v[10:11], v1
.LBB143_333:
	s_mov_b32 s45, 0
	s_mov_b32 s31, -1
.LBB143_334:
	s_and_not1_b32 vcc_lo, exec_lo, s45
	s_cbranch_vccnz .LBB143_347
; %bb.335:
	s_cmp_gt_i32 s0, 14
	s_cbranch_scc0 .LBB143_338
; %bb.336:
	s_cmp_eq_u32 s0, 15
	s_cbranch_scc0 .LBB143_341
; %bb.337:
	global_load_u16 v1, v[6:7], off
	s_mov_b32 s31, -1
	s_mov_b32 s30, 0
	s_wait_loadcnt 0x0
	v_lshlrev_b32_e32 v1, 16, v1
	s_delay_alu instid0(VALU_DEP_1)
	v_cvt_f64_f32_e32 v[10:11], v1
	s_branch .LBB143_342
.LBB143_338:
	s_mov_b32 s45, -1
                                        ; implicit-def: $vgpr10_vgpr11
	s_branch .LBB143_343
.LBB143_339:
	s_or_saveexec_b32 s45, s45
	v_mov_b64_e32 v[10:11], 0x7ff8000020000000
	s_xor_b32 exec_lo, exec_lo, s45
	s_cbranch_execz .LBB143_320
.LBB143_340:
	v_cmp_ne_u16_e32 vcc_lo, 0, v1
	v_mov_b64_e32 v[10:11], 0
	s_and_not1_b32 s31, s31, exec_lo
	s_and_b32 s46, vcc_lo, exec_lo
	s_delay_alu instid0(SALU_CYCLE_1)
	s_or_b32 s31, s31, s46
	s_or_b32 exec_lo, exec_lo, s45
	s_and_saveexec_b32 s45, s31
	s_cbranch_execnz .LBB143_321
	s_branch .LBB143_322
.LBB143_341:
	s_mov_b32 s30, -1
                                        ; implicit-def: $vgpr10_vgpr11
.LBB143_342:
	s_mov_b32 s45, 0
.LBB143_343:
	s_delay_alu instid0(SALU_CYCLE_1)
	s_and_b32 vcc_lo, exec_lo, s45
	s_cbranch_vccz .LBB143_347
; %bb.344:
	s_cmp_eq_u32 s0, 11
	s_cbranch_scc0 .LBB143_346
; %bb.345:
	global_load_u8 v1, v[6:7], off
	s_wait_xcnt 0x1
	v_mov_b32_e32 v10, 0
	s_mov_b32 s30, 0
	s_mov_b32 s31, -1
	s_wait_loadcnt 0x0
	v_cmp_ne_u16_e32 vcc_lo, 0, v1
	v_cndmask_b32_e64 v11, 0, 0x3ff00000, vcc_lo
	s_branch .LBB143_347
.LBB143_346:
	s_mov_b32 s30, -1
                                        ; implicit-def: $vgpr10_vgpr11
.LBB143_347:
	s_mov_b32 s45, 0
.LBB143_348:
	s_delay_alu instid0(SALU_CYCLE_1)
	s_and_b32 vcc_lo, exec_lo, s45
	s_cbranch_vccz .LBB143_397
; %bb.349:
	s_cmp_lt_i32 s0, 5
	s_cbranch_scc1 .LBB143_354
; %bb.350:
	s_cmp_lt_i32 s0, 8
	s_cbranch_scc1 .LBB143_355
; %bb.351:
	s_cmp_lt_i32 s0, 9
	s_cbranch_scc1 .LBB143_356
; %bb.352:
	s_cmp_gt_i32 s0, 9
	s_cbranch_scc0 .LBB143_357
; %bb.353:
	global_load_b64 v[10:11], v[6:7], off
	s_mov_b32 s31, 0
	s_branch .LBB143_358
.LBB143_354:
	s_mov_b32 s31, -1
                                        ; implicit-def: $vgpr10_vgpr11
	s_branch .LBB143_376
.LBB143_355:
	s_mov_b32 s31, -1
                                        ; implicit-def: $vgpr10_vgpr11
	s_branch .LBB143_364
.LBB143_356:
	s_mov_b32 s31, -1
                                        ; implicit-def: $vgpr10_vgpr11
	s_branch .LBB143_361
.LBB143_357:
	s_mov_b32 s31, -1
                                        ; implicit-def: $vgpr10_vgpr11
.LBB143_358:
	s_delay_alu instid0(SALU_CYCLE_1)
	s_and_not1_b32 vcc_lo, exec_lo, s31
	s_cbranch_vccnz .LBB143_360
; %bb.359:
	global_load_b32 v1, v[6:7], off
	s_wait_loadcnt 0x0
	v_cvt_f64_f32_e32 v[10:11], v1
.LBB143_360:
	s_mov_b32 s31, 0
.LBB143_361:
	s_delay_alu instid0(SALU_CYCLE_1)
	s_and_not1_b32 vcc_lo, exec_lo, s31
	s_cbranch_vccnz .LBB143_363
; %bb.362:
	global_load_b32 v1, v[6:7], off
	s_wait_loadcnt 0x0
	v_cvt_f32_f16_e32 v1, v1
	s_delay_alu instid0(VALU_DEP_1)
	v_cvt_f64_f32_e32 v[10:11], v1
.LBB143_363:
	s_mov_b32 s31, 0
.LBB143_364:
	s_delay_alu instid0(SALU_CYCLE_1)
	s_and_not1_b32 vcc_lo, exec_lo, s31
	s_cbranch_vccnz .LBB143_375
; %bb.365:
	s_cmp_lt_i32 s0, 6
	s_cbranch_scc1 .LBB143_368
; %bb.366:
	s_cmp_gt_i32 s0, 6
	s_cbranch_scc0 .LBB143_369
; %bb.367:
	s_wait_loadcnt 0x0
	global_load_b64 v[10:11], v[6:7], off
	s_mov_b32 s31, 0
	s_branch .LBB143_370
.LBB143_368:
	s_mov_b32 s31, -1
                                        ; implicit-def: $vgpr10_vgpr11
	s_branch .LBB143_373
.LBB143_369:
	s_mov_b32 s31, -1
                                        ; implicit-def: $vgpr10_vgpr11
.LBB143_370:
	s_delay_alu instid0(SALU_CYCLE_1)
	s_and_not1_b32 vcc_lo, exec_lo, s31
	s_cbranch_vccnz .LBB143_372
; %bb.371:
	global_load_b32 v1, v[6:7], off
	s_wait_loadcnt 0x0
	v_cvt_f64_f32_e32 v[10:11], v1
.LBB143_372:
	s_mov_b32 s31, 0
.LBB143_373:
	s_delay_alu instid0(SALU_CYCLE_1)
	s_and_not1_b32 vcc_lo, exec_lo, s31
	s_cbranch_vccnz .LBB143_375
; %bb.374:
	global_load_u16 v1, v[6:7], off
	s_wait_loadcnt 0x0
	v_cvt_f32_f16_e32 v1, v1
	s_delay_alu instid0(VALU_DEP_1)
	v_cvt_f64_f32_e32 v[10:11], v1
.LBB143_375:
	s_mov_b32 s31, 0
.LBB143_376:
	s_delay_alu instid0(SALU_CYCLE_1)
	s_and_not1_b32 vcc_lo, exec_lo, s31
	s_cbranch_vccnz .LBB143_396
; %bb.377:
	s_cmp_lt_i32 s0, 2
	s_cbranch_scc1 .LBB143_381
; %bb.378:
	s_cmp_lt_i32 s0, 3
	s_cbranch_scc1 .LBB143_382
; %bb.379:
	s_cmp_gt_i32 s0, 3
	s_cbranch_scc0 .LBB143_383
; %bb.380:
	s_wait_loadcnt 0x0
	global_load_b64 v[10:11], v[6:7], off
	s_mov_b32 s31, 0
	s_wait_loadcnt 0x0
	v_cvt_f64_i32_e32 v[12:13], v11
	v_cvt_f64_u32_e32 v[10:11], v10
	s_delay_alu instid0(VALU_DEP_2) | instskip(NEXT) | instid1(VALU_DEP_1)
	v_ldexp_f64 v[12:13], v[12:13], 32
	v_add_f64_e32 v[10:11], v[12:13], v[10:11]
	s_branch .LBB143_384
.LBB143_381:
	s_mov_b32 s31, -1
                                        ; implicit-def: $vgpr10_vgpr11
	s_branch .LBB143_390
.LBB143_382:
	s_mov_b32 s31, -1
                                        ; implicit-def: $vgpr10_vgpr11
	s_branch .LBB143_387
.LBB143_383:
	s_mov_b32 s31, -1
                                        ; implicit-def: $vgpr10_vgpr11
.LBB143_384:
	s_delay_alu instid0(SALU_CYCLE_1)
	s_and_not1_b32 vcc_lo, exec_lo, s31
	s_cbranch_vccnz .LBB143_386
; %bb.385:
	global_load_b32 v1, v[6:7], off
	s_wait_loadcnt 0x0
	v_cvt_f64_i32_e32 v[10:11], v1
.LBB143_386:
	s_mov_b32 s31, 0
.LBB143_387:
	s_delay_alu instid0(SALU_CYCLE_1)
	s_and_not1_b32 vcc_lo, exec_lo, s31
	s_cbranch_vccnz .LBB143_389
; %bb.388:
	global_load_i16 v1, v[6:7], off
	s_wait_loadcnt 0x0
	v_cvt_f64_i32_e32 v[10:11], v1
.LBB143_389:
	s_mov_b32 s31, 0
.LBB143_390:
	s_delay_alu instid0(SALU_CYCLE_1)
	s_and_not1_b32 vcc_lo, exec_lo, s31
	s_cbranch_vccnz .LBB143_396
; %bb.391:
	s_cmp_gt_i32 s0, 0
	s_mov_b32 s0, 0
	s_cbranch_scc0 .LBB143_393
; %bb.392:
	global_load_i8 v1, v[6:7], off
	s_wait_loadcnt 0x0
	v_cvt_f64_i32_e32 v[10:11], v1
	s_branch .LBB143_394
.LBB143_393:
	s_mov_b32 s0, -1
                                        ; implicit-def: $vgpr10_vgpr11
.LBB143_394:
	s_delay_alu instid0(SALU_CYCLE_1)
	s_and_not1_b32 vcc_lo, exec_lo, s0
	s_cbranch_vccnz .LBB143_396
; %bb.395:
	global_load_u8 v1, v[6:7], off
	s_wait_loadcnt 0x0
	v_cvt_f64_u32_e32 v[10:11], v1
.LBB143_396:
	s_mov_b32 s31, -1
.LBB143_397:
	s_delay_alu instid0(SALU_CYCLE_1)
	s_and_not1_b32 vcc_lo, exec_lo, s31
	s_cbranch_vccnz .LBB143_405
; %bb.398:
	s_wait_loadcnt 0x0
	s_delay_alu instid0(VALU_DEP_3) | instskip(SKIP_1) | instid1(VALU_DEP_3)
	v_max_num_f64_e32 v[6:7], v[8:9], v[8:9]
	v_max_num_f64_e32 v[12:13], v[2:3], v[2:3]
	;; [unrolled: 1-line block ×3, first 2 shown]
	v_cmp_u_f64_e32 vcc_lo, v[10:11], v[10:11]
	s_and_b32 s31, s38, 0xff
	s_delay_alu instid0(SALU_CYCLE_1) | instskip(NEXT) | instid1(VALU_DEP_3)
	s_cmp_lt_i32 s31, 11
	v_max_num_f64_e32 v[6:7], v[12:13], v[6:7]
	s_delay_alu instid0(VALU_DEP_1) | instskip(NEXT) | instid1(VALU_DEP_1)
	v_min_num_f64_e32 v[6:7], v[6:7], v[14:15]
	v_dual_cndmask_b32 v1, v7, v11, vcc_lo :: v_dual_cndmask_b32 v5, v6, v10, vcc_lo
	v_cmp_u_f64_e32 vcc_lo, v[8:9], v[8:9]
	s_delay_alu instid0(VALU_DEP_2) | instskip(NEXT) | instid1(VALU_DEP_3)
	v_cndmask_b32_e32 v5, v5, v8, vcc_lo
	v_cndmask_b32_e32 v8, v1, v9, vcc_lo
	v_cmp_u_f64_e32 vcc_lo, v[2:3], v[2:3]
	v_mov_b32_e32 v1, 0
	s_delay_alu instid0(VALU_DEP_1) | instskip(NEXT) | instid1(VALU_DEP_4)
	v_add_nc_u64_e32 v[6:7], s[4:5], v[0:1]
	v_dual_cndmask_b32 v1, v8, v3 :: v_dual_cndmask_b32 v0, v5, v2
	s_cbranch_scc1 .LBB143_406
; %bb.399:
	s_and_b32 s45, 0xffff, s31
	s_delay_alu instid0(SALU_CYCLE_1)
	s_cmp_gt_i32 s45, 25
	s_cbranch_scc0 .LBB143_407
; %bb.400:
	s_cmp_gt_i32 s45, 28
	s_cbranch_scc0 .LBB143_408
; %bb.401:
	;; [unrolled: 3-line block ×4, first 2 shown]
	s_mov_b32 s47, 0
	s_mov_b32 s0, -1
	s_cmp_eq_u32 s45, 46
	s_mov_b32 s46, 0
	s_cbranch_scc0 .LBB143_411
; %bb.404:
	v_cvt_f32_f64_e32 v2, v[0:1]
	s_mov_b32 s46, -1
	s_mov_b32 s0, 0
	s_delay_alu instid0(VALU_DEP_1) | instskip(SKIP_1) | instid1(VALU_DEP_2)
	v_bfe_u32 v3, v2, 16, 1
	v_cmp_o_f32_e32 vcc_lo, v2, v2
	v_add3_u32 v3, v2, v3, 0x7fff
	s_delay_alu instid0(VALU_DEP_1) | instskip(NEXT) | instid1(VALU_DEP_1)
	v_lshrrev_b32_e32 v3, 16, v3
	v_cndmask_b32_e32 v2, 0x7fc0, v3, vcc_lo
	global_store_b32 v[6:7], v2, off
	s_branch .LBB143_411
.LBB143_405:
	s_mov_b32 s0, 0
	s_branch .LBB143_521
.LBB143_406:
	s_mov_b32 s45, -1
	s_mov_b32 s0, 0
	s_mov_b32 s46, 0
	s_branch .LBB143_480
.LBB143_407:
	s_mov_b32 s47, -1
	s_mov_b32 s0, 0
	s_mov_b32 s46, 0
	s_branch .LBB143_438
.LBB143_408:
	s_mov_b32 s47, -1
	s_mov_b32 s0, 0
	s_mov_b32 s46, 0
	s_branch .LBB143_421
.LBB143_409:
	s_mov_b32 s47, -1
	s_mov_b32 s0, 0
	s_mov_b32 s46, 0
	s_branch .LBB143_417
.LBB143_410:
	s_mov_b32 s47, -1
	s_mov_b32 s0, 0
	s_mov_b32 s46, 0
.LBB143_411:
	s_and_b32 vcc_lo, exec_lo, s47
	s_cbranch_vccz .LBB143_416
; %bb.412:
	s_cmp_eq_u32 s45, 44
	s_mov_b32 s0, -1
	s_cbranch_scc0 .LBB143_416
; %bb.413:
	s_wait_xcnt 0x0
	v_cvt_f32_f64_e32 v2, v[0:1]
	v_mov_b32_e32 v3, 0xff
	s_mov_b32 s46, exec_lo
	s_delay_alu instid0(VALU_DEP_2) | instskip(NEXT) | instid1(VALU_DEP_1)
	v_bfe_u32 v5, v2, 23, 8
	v_cmpx_ne_u32_e32 0xff, v5
	s_cbranch_execz .LBB143_415
; %bb.414:
	v_and_b32_e32 v3, 0x400000, v2
	v_and_or_b32 v5, 0x3fffff, v2, v5
	v_lshrrev_b32_e32 v2, 23, v2
	s_delay_alu instid0(VALU_DEP_3) | instskip(NEXT) | instid1(VALU_DEP_3)
	v_cmp_ne_u32_e32 vcc_lo, 0, v3
	v_cmp_ne_u32_e64 s0, 0, v5
	s_and_b32 s0, vcc_lo, s0
	s_delay_alu instid0(SALU_CYCLE_1) | instskip(NEXT) | instid1(VALU_DEP_1)
	v_cndmask_b32_e64 v3, 0, 1, s0
	v_add_nc_u32_e32 v3, v2, v3
.LBB143_415:
	s_or_b32 exec_lo, exec_lo, s46
	s_mov_b32 s46, -1
	s_mov_b32 s0, 0
	global_store_b8 v[6:7], v3, off
.LBB143_416:
	s_mov_b32 s47, 0
.LBB143_417:
	s_delay_alu instid0(SALU_CYCLE_1)
	s_and_b32 vcc_lo, exec_lo, s47
	s_cbranch_vccz .LBB143_420
; %bb.418:
	s_cmp_eq_u32 s45, 29
	s_mov_b32 s0, -1
	s_cbranch_scc0 .LBB143_420
; %bb.419:
	s_wait_xcnt 0x0
	v_trunc_f64_e32 v[2:3], v[0:1]
	s_mov_b32 s46, -1
	s_mov_b32 s0, 0
	s_mov_b32 s47, 0
	s_delay_alu instid0(VALU_DEP_1) | instskip(NEXT) | instid1(VALU_DEP_1)
	v_ldexp_f64 v[8:9], v[2:3], 0xffffffe0
	v_floor_f64_e32 v[8:9], v[8:9]
	s_delay_alu instid0(VALU_DEP_1) | instskip(SKIP_1) | instid1(VALU_DEP_2)
	v_fmamk_f64 v[2:3], v[8:9], 0xc1f00000, v[2:3]
	v_cvt_u32_f64_e32 v9, v[8:9]
	v_cvt_u32_f64_e32 v8, v[2:3]
	global_store_b64 v[6:7], v[8:9], off
	s_branch .LBB143_421
.LBB143_420:
	s_mov_b32 s47, 0
.LBB143_421:
	s_delay_alu instid0(SALU_CYCLE_1)
	s_and_b32 vcc_lo, exec_lo, s47
	s_cbranch_vccz .LBB143_437
; %bb.422:
	s_cmp_lt_i32 s45, 27
	s_mov_b32 s46, -1
	s_cbranch_scc1 .LBB143_428
; %bb.423:
	s_wait_xcnt 0x0
	v_cvt_u32_f64_e32 v2, v[0:1]
	s_cmp_gt_i32 s45, 27
	s_cbranch_scc0 .LBB143_425
; %bb.424:
	s_mov_b32 s46, 0
	global_store_b32 v[6:7], v2, off
.LBB143_425:
	s_and_not1_b32 vcc_lo, exec_lo, s46
	s_cbranch_vccnz .LBB143_427
; %bb.426:
	global_store_b16 v[6:7], v2, off
.LBB143_427:
	s_mov_b32 s46, 0
.LBB143_428:
	s_delay_alu instid0(SALU_CYCLE_1)
	s_and_not1_b32 vcc_lo, exec_lo, s46
	s_cbranch_vccnz .LBB143_436
; %bb.429:
	s_wait_xcnt 0x0
	v_cvt_f32_f64_e32 v2, v[0:1]
	v_mov_b32_e32 v5, 0x80
	s_mov_b32 s46, exec_lo
	s_delay_alu instid0(VALU_DEP_2) | instskip(NEXT) | instid1(VALU_DEP_1)
	v_and_b32_e32 v3, 0x7fffffff, v2
	v_cmpx_gt_u32_e32 0x43800000, v3
	s_cbranch_execz .LBB143_435
; %bb.430:
	v_cmp_lt_u32_e32 vcc_lo, 0x3bffffff, v3
	s_mov_b32 s47, 0
                                        ; implicit-def: $vgpr3
	s_and_saveexec_b32 s48, vcc_lo
	s_delay_alu instid0(SALU_CYCLE_1)
	s_xor_b32 s48, exec_lo, s48
	s_cbranch_execz .LBB143_680
; %bb.431:
	v_bfe_u32 v3, v2, 20, 1
	s_mov_b32 s47, exec_lo
	s_delay_alu instid0(VALU_DEP_1) | instskip(NEXT) | instid1(VALU_DEP_1)
	v_add3_u32 v3, v2, v3, 0x487ffff
	v_lshrrev_b32_e32 v3, 20, v3
	s_and_not1_saveexec_b32 s48, s48
	s_cbranch_execnz .LBB143_681
.LBB143_432:
	s_or_b32 exec_lo, exec_lo, s48
	v_mov_b32_e32 v5, 0
	s_and_saveexec_b32 s48, s47
.LBB143_433:
	v_lshrrev_b32_e32 v2, 24, v2
	s_delay_alu instid0(VALU_DEP_1)
	v_and_or_b32 v5, 0x80, v2, v3
.LBB143_434:
	s_or_b32 exec_lo, exec_lo, s48
.LBB143_435:
	s_delay_alu instid0(SALU_CYCLE_1)
	s_or_b32 exec_lo, exec_lo, s46
	global_store_b8 v[6:7], v5, off
.LBB143_436:
	s_mov_b32 s46, -1
.LBB143_437:
	s_mov_b32 s47, 0
.LBB143_438:
	s_delay_alu instid0(SALU_CYCLE_1)
	s_and_b32 vcc_lo, exec_lo, s47
	s_cbranch_vccz .LBB143_479
; %bb.439:
	s_cmp_gt_i32 s45, 22
	s_mov_b32 s47, -1
	s_cbranch_scc0 .LBB143_471
; %bb.440:
	s_cmp_lt_i32 s45, 24
	s_mov_b32 s46, -1
	s_cbranch_scc1 .LBB143_460
; %bb.441:
	s_cmp_gt_i32 s45, 24
	s_cbranch_scc0 .LBB143_449
; %bb.442:
	s_wait_xcnt 0x0
	v_cvt_f32_f64_e32 v2, v[0:1]
	v_mov_b32_e32 v5, 0x80
	s_mov_b32 s46, exec_lo
	s_delay_alu instid0(VALU_DEP_2) | instskip(NEXT) | instid1(VALU_DEP_1)
	v_and_b32_e32 v3, 0x7fffffff, v2
	v_cmpx_gt_u32_e32 0x47800000, v3
	s_cbranch_execz .LBB143_448
; %bb.443:
	v_cmp_lt_u32_e32 vcc_lo, 0x37ffffff, v3
	s_mov_b32 s47, 0
                                        ; implicit-def: $vgpr3
	s_and_saveexec_b32 s48, vcc_lo
	s_delay_alu instid0(SALU_CYCLE_1)
	s_xor_b32 s48, exec_lo, s48
	s_cbranch_execz .LBB143_812
; %bb.444:
	v_bfe_u32 v3, v2, 21, 1
	s_mov_b32 s47, exec_lo
	s_delay_alu instid0(VALU_DEP_1) | instskip(NEXT) | instid1(VALU_DEP_1)
	v_add3_u32 v3, v2, v3, 0x88fffff
	v_lshrrev_b32_e32 v3, 21, v3
	s_and_not1_saveexec_b32 s48, s48
	s_cbranch_execnz .LBB143_813
.LBB143_445:
	s_or_b32 exec_lo, exec_lo, s48
	v_mov_b32_e32 v5, 0
	s_and_saveexec_b32 s48, s47
.LBB143_446:
	v_lshrrev_b32_e32 v2, 24, v2
	s_delay_alu instid0(VALU_DEP_1)
	v_and_or_b32 v5, 0x80, v2, v3
.LBB143_447:
	s_or_b32 exec_lo, exec_lo, s48
.LBB143_448:
	s_delay_alu instid0(SALU_CYCLE_1)
	s_or_b32 exec_lo, exec_lo, s46
	s_mov_b32 s46, 0
	global_store_b8 v[6:7], v5, off
.LBB143_449:
	s_and_b32 vcc_lo, exec_lo, s46
	s_cbranch_vccz .LBB143_459
; %bb.450:
	s_wait_xcnt 0x0
	v_cvt_f32_f64_e32 v2, v[0:1]
	s_mov_b32 s46, exec_lo
                                        ; implicit-def: $vgpr3
	s_delay_alu instid0(VALU_DEP_1) | instskip(NEXT) | instid1(VALU_DEP_1)
	v_and_b32_e32 v5, 0x7fffffff, v2
	v_cmpx_gt_u32_e32 0x43f00000, v5
	s_xor_b32 s46, exec_lo, s46
	s_cbranch_execz .LBB143_456
; %bb.451:
	s_mov_b32 s47, exec_lo
                                        ; implicit-def: $vgpr3
	v_cmpx_lt_u32_e32 0x3c7fffff, v5
	s_xor_b32 s47, exec_lo, s47
; %bb.452:
	v_bfe_u32 v3, v2, 20, 1
	s_delay_alu instid0(VALU_DEP_1) | instskip(NEXT) | instid1(VALU_DEP_1)
	v_add3_u32 v3, v2, v3, 0x407ffff
	v_and_b32_e32 v5, 0xff00000, v3
	v_lshrrev_b32_e32 v3, 20, v3
	s_delay_alu instid0(VALU_DEP_2) | instskip(NEXT) | instid1(VALU_DEP_2)
	v_cmp_ne_u32_e32 vcc_lo, 0x7f00000, v5
	v_cndmask_b32_e32 v3, 0x7e, v3, vcc_lo
; %bb.453:
	s_and_not1_saveexec_b32 s47, s47
; %bb.454:
	v_add_f32_e64 v3, 0x46800000, |v2|
; %bb.455:
	s_or_b32 exec_lo, exec_lo, s47
                                        ; implicit-def: $vgpr5
.LBB143_456:
	s_and_not1_saveexec_b32 s46, s46
; %bb.457:
	v_mov_b32_e32 v3, 0x7f
	v_cmp_lt_u32_e32 vcc_lo, 0x7f800000, v5
	s_delay_alu instid0(VALU_DEP_2)
	v_cndmask_b32_e32 v3, 0x7e, v3, vcc_lo
; %bb.458:
	s_or_b32 exec_lo, exec_lo, s46
	v_lshrrev_b32_e32 v2, 24, v2
	s_delay_alu instid0(VALU_DEP_1)
	v_and_or_b32 v2, 0x80, v2, v3
	global_store_b8 v[6:7], v2, off
.LBB143_459:
	s_mov_b32 s46, 0
.LBB143_460:
	s_delay_alu instid0(SALU_CYCLE_1)
	s_and_not1_b32 vcc_lo, exec_lo, s46
	s_cbranch_vccnz .LBB143_470
; %bb.461:
	s_wait_xcnt 0x0
	v_cvt_f32_f64_e32 v2, v[0:1]
	s_mov_b32 s46, exec_lo
                                        ; implicit-def: $vgpr3
	s_delay_alu instid0(VALU_DEP_1) | instskip(NEXT) | instid1(VALU_DEP_1)
	v_and_b32_e32 v5, 0x7fffffff, v2
	v_cmpx_gt_u32_e32 0x47800000, v5
	s_xor_b32 s46, exec_lo, s46
	s_cbranch_execz .LBB143_467
; %bb.462:
	s_mov_b32 s47, exec_lo
                                        ; implicit-def: $vgpr3
	v_cmpx_lt_u32_e32 0x387fffff, v5
	s_xor_b32 s47, exec_lo, s47
; %bb.463:
	v_bfe_u32 v3, v2, 21, 1
	s_delay_alu instid0(VALU_DEP_1) | instskip(NEXT) | instid1(VALU_DEP_1)
	v_add3_u32 v3, v2, v3, 0x80fffff
	v_lshrrev_b32_e32 v3, 21, v3
; %bb.464:
	s_and_not1_saveexec_b32 s47, s47
; %bb.465:
	v_add_f32_e64 v3, 0x43000000, |v2|
; %bb.466:
	s_or_b32 exec_lo, exec_lo, s47
                                        ; implicit-def: $vgpr5
.LBB143_467:
	s_and_not1_saveexec_b32 s46, s46
; %bb.468:
	v_mov_b32_e32 v3, 0x7f
	v_cmp_lt_u32_e32 vcc_lo, 0x7f800000, v5
	s_delay_alu instid0(VALU_DEP_2)
	v_cndmask_b32_e32 v3, 0x7c, v3, vcc_lo
; %bb.469:
	s_or_b32 exec_lo, exec_lo, s46
	v_lshrrev_b32_e32 v2, 24, v2
	s_delay_alu instid0(VALU_DEP_1)
	v_and_or_b32 v2, 0x80, v2, v3
	global_store_b8 v[6:7], v2, off
.LBB143_470:
	s_mov_b32 s47, 0
	s_mov_b32 s46, -1
.LBB143_471:
	s_and_not1_b32 vcc_lo, exec_lo, s47
	s_cbranch_vccnz .LBB143_479
; %bb.472:
	s_cmp_gt_i32 s45, 14
	s_mov_b32 s47, -1
	s_cbranch_scc0 .LBB143_476
; %bb.473:
	s_cmp_eq_u32 s45, 15
	s_mov_b32 s0, -1
	s_cbranch_scc0 .LBB143_475
; %bb.474:
	s_wait_xcnt 0x0
	v_cvt_f32_f64_e32 v2, v[0:1]
	s_mov_b32 s46, -1
	s_mov_b32 s0, 0
	s_delay_alu instid0(VALU_DEP_1) | instskip(SKIP_1) | instid1(VALU_DEP_2)
	v_bfe_u32 v3, v2, 16, 1
	v_cmp_o_f32_e32 vcc_lo, v2, v2
	v_add3_u32 v3, v2, v3, 0x7fff
	s_delay_alu instid0(VALU_DEP_1) | instskip(NEXT) | instid1(VALU_DEP_1)
	v_lshrrev_b32_e32 v3, 16, v3
	v_cndmask_b32_e32 v2, 0x7fc0, v3, vcc_lo
	global_store_b16 v[6:7], v2, off
.LBB143_475:
	s_mov_b32 s47, 0
.LBB143_476:
	s_delay_alu instid0(SALU_CYCLE_1)
	s_and_b32 vcc_lo, exec_lo, s47
	s_cbranch_vccz .LBB143_479
; %bb.477:
	s_cmp_eq_u32 s45, 11
	s_mov_b32 s0, -1
	s_cbranch_scc0 .LBB143_479
; %bb.478:
	v_cmp_neq_f64_e32 vcc_lo, 0, v[0:1]
	s_mov_b32 s46, -1
	s_mov_b32 s0, 0
	s_wait_xcnt 0x0
	v_cndmask_b32_e64 v2, 0, 1, vcc_lo
	global_store_b8 v[6:7], v2, off
.LBB143_479:
	s_mov_b32 s45, 0
.LBB143_480:
	s_delay_alu instid0(SALU_CYCLE_1)
	s_and_b32 vcc_lo, exec_lo, s45
	s_cbranch_vccz .LBB143_519
; %bb.481:
	s_and_b32 s31, 0xffff, s31
	s_mov_b32 s45, -1
	s_cmp_lt_i32 s31, 5
	s_cbranch_scc1 .LBB143_502
; %bb.482:
	s_cmp_lt_i32 s31, 8
	s_cbranch_scc1 .LBB143_492
; %bb.483:
	;; [unrolled: 3-line block ×3, first 2 shown]
	s_cmp_gt_i32 s31, 9
	s_cbranch_scc0 .LBB143_486
; %bb.485:
	s_wait_xcnt 0x0
	v_mov_b32_e32 v2, 0
	s_mov_b32 s45, 0
	s_delay_alu instid0(VALU_DEP_1)
	v_mov_b32_e32 v3, v2
	global_store_b128 v[6:7], v[0:3], off
.LBB143_486:
	s_and_not1_b32 vcc_lo, exec_lo, s45
	s_cbranch_vccnz .LBB143_488
; %bb.487:
	s_wait_xcnt 0x0
	v_cvt_f32_f64_e32 v2, v[0:1]
	v_mov_b32_e32 v3, 0
	global_store_b64 v[6:7], v[2:3], off
.LBB143_488:
	s_mov_b32 s45, 0
.LBB143_489:
	s_delay_alu instid0(SALU_CYCLE_1)
	s_and_not1_b32 vcc_lo, exec_lo, s45
	s_cbranch_vccnz .LBB143_491
; %bb.490:
	s_wait_xcnt 0x0
	v_and_or_b32 v2, 0x1ff, v1, v0
	v_lshrrev_b32_e32 v3, 8, v1
	v_bfe_u32 v5, v1, 20, 11
	s_delay_alu instid0(VALU_DEP_3) | instskip(NEXT) | instid1(VALU_DEP_2)
	v_cmp_ne_u32_e32 vcc_lo, 0, v2
	v_sub_nc_u32_e32 v8, 0x3f1, v5
	v_add_nc_u32_e32 v5, 0xfffffc10, v5
	v_cndmask_b32_e64 v2, 0, 1, vcc_lo
	s_delay_alu instid0(VALU_DEP_1) | instskip(NEXT) | instid1(VALU_DEP_4)
	v_and_or_b32 v2, 0xffe, v3, v2
	v_med3_i32 v3, v8, 0, 13
	s_delay_alu instid0(VALU_DEP_2) | instskip(NEXT) | instid1(VALU_DEP_1)
	v_or_b32_e32 v8, 0x1000, v2
	v_lshrrev_b32_e32 v9, v3, v8
	s_delay_alu instid0(VALU_DEP_1) | instskip(NEXT) | instid1(VALU_DEP_1)
	v_lshlrev_b32_e32 v3, v3, v9
	v_cmp_ne_u32_e32 vcc_lo, v3, v8
	v_lshl_or_b32 v8, v5, 12, v2
	v_cndmask_b32_e64 v3, 0, 1, vcc_lo
	v_cmp_gt_i32_e32 vcc_lo, 1, v5
	s_delay_alu instid0(VALU_DEP_2) | instskip(NEXT) | instid1(VALU_DEP_1)
	v_or_b32_e32 v3, v9, v3
	v_cndmask_b32_e32 v3, v8, v3, vcc_lo
	s_delay_alu instid0(VALU_DEP_1) | instskip(NEXT) | instid1(VALU_DEP_1)
	v_dual_lshrrev_b32 v3, 2, v3 :: v_dual_bitop2_b32 v8, 7, v3 bitop3:0x40
	v_cmp_lt_i32_e32 vcc_lo, 5, v8
	v_cndmask_b32_e64 v9, 0, 1, vcc_lo
	v_cmp_eq_u32_e32 vcc_lo, 3, v8
	v_cndmask_b32_e64 v8, 0, 1, vcc_lo
	v_cmp_ne_u32_e32 vcc_lo, 0, v2
	s_delay_alu instid0(VALU_DEP_2) | instskip(SKIP_1) | instid1(VALU_DEP_1)
	v_or_b32_e32 v8, v8, v9
	v_mov_b32_e32 v9, 0x7e00
	v_dual_cndmask_b32 v2, 0x7c00, v9 :: v_dual_add_nc_u32 v3, v3, v8
	v_cmp_gt_i32_e32 vcc_lo, 31, v5
	s_delay_alu instid0(VALU_DEP_2) | instskip(SKIP_1) | instid1(VALU_DEP_2)
	v_dual_cndmask_b32 v3, 0x7c00, v3 :: v_dual_lshrrev_b32 v8, 16, v1
	v_cmp_eq_u32_e32 vcc_lo, 0x40f, v5
	v_cndmask_b32_e32 v2, v3, v2, vcc_lo
	s_delay_alu instid0(VALU_DEP_3) | instskip(NEXT) | instid1(VALU_DEP_1)
	v_and_b32_e32 v3, 0x8000, v8
	v_bitop3_b32 v2, v3, 0xffff, v2 bitop3:0xc8
	global_store_b32 v[6:7], v2, off
.LBB143_491:
	s_mov_b32 s45, 0
.LBB143_492:
	s_delay_alu instid0(SALU_CYCLE_1)
	s_and_not1_b32 vcc_lo, exec_lo, s45
	s_cbranch_vccnz .LBB143_501
; %bb.493:
	s_cmp_lt_i32 s31, 6
	s_mov_b32 s45, -1
	s_cbranch_scc1 .LBB143_499
; %bb.494:
	s_cmp_gt_i32 s31, 6
	s_cbranch_scc0 .LBB143_496
; %bb.495:
	s_mov_b32 s45, 0
	global_store_b64 v[6:7], v[0:1], off
.LBB143_496:
	s_and_not1_b32 vcc_lo, exec_lo, s45
	s_cbranch_vccnz .LBB143_498
; %bb.497:
	s_wait_xcnt 0x0
	v_cvt_f32_f64_e32 v2, v[0:1]
	global_store_b32 v[6:7], v2, off
.LBB143_498:
	s_mov_b32 s45, 0
.LBB143_499:
	s_delay_alu instid0(SALU_CYCLE_1)
	s_and_not1_b32 vcc_lo, exec_lo, s45
	s_cbranch_vccnz .LBB143_501
; %bb.500:
	s_wait_xcnt 0x0
	v_and_or_b32 v2, 0x1ff, v1, v0
	v_lshrrev_b32_e32 v3, 8, v1
	v_bfe_u32 v5, v1, 20, 11
	s_delay_alu instid0(VALU_DEP_3) | instskip(NEXT) | instid1(VALU_DEP_2)
	v_cmp_ne_u32_e32 vcc_lo, 0, v2
	v_sub_nc_u32_e32 v8, 0x3f1, v5
	v_add_nc_u32_e32 v5, 0xfffffc10, v5
	v_cndmask_b32_e64 v2, 0, 1, vcc_lo
	s_delay_alu instid0(VALU_DEP_1) | instskip(NEXT) | instid1(VALU_DEP_4)
	v_and_or_b32 v2, 0xffe, v3, v2
	v_med3_i32 v3, v8, 0, 13
	s_delay_alu instid0(VALU_DEP_2) | instskip(NEXT) | instid1(VALU_DEP_1)
	v_or_b32_e32 v8, 0x1000, v2
	v_lshrrev_b32_e32 v9, v3, v8
	s_delay_alu instid0(VALU_DEP_1) | instskip(NEXT) | instid1(VALU_DEP_1)
	v_lshlrev_b32_e32 v3, v3, v9
	v_cmp_ne_u32_e32 vcc_lo, v3, v8
	v_lshl_or_b32 v8, v5, 12, v2
	v_cndmask_b32_e64 v3, 0, 1, vcc_lo
	v_cmp_gt_i32_e32 vcc_lo, 1, v5
	s_delay_alu instid0(VALU_DEP_2) | instskip(NEXT) | instid1(VALU_DEP_1)
	v_or_b32_e32 v3, v9, v3
	v_cndmask_b32_e32 v3, v8, v3, vcc_lo
	s_delay_alu instid0(VALU_DEP_1) | instskip(NEXT) | instid1(VALU_DEP_1)
	v_dual_lshrrev_b32 v3, 2, v3 :: v_dual_bitop2_b32 v8, 7, v3 bitop3:0x40
	v_cmp_lt_i32_e32 vcc_lo, 5, v8
	v_cndmask_b32_e64 v9, 0, 1, vcc_lo
	v_cmp_eq_u32_e32 vcc_lo, 3, v8
	v_cndmask_b32_e64 v8, 0, 1, vcc_lo
	v_cmp_ne_u32_e32 vcc_lo, 0, v2
	s_delay_alu instid0(VALU_DEP_2) | instskip(SKIP_1) | instid1(VALU_DEP_1)
	v_or_b32_e32 v8, v8, v9
	v_mov_b32_e32 v9, 0x7e00
	v_dual_cndmask_b32 v2, 0x7c00, v9 :: v_dual_add_nc_u32 v3, v3, v8
	v_cmp_gt_i32_e32 vcc_lo, 31, v5
	s_delay_alu instid0(VALU_DEP_2) | instskip(SKIP_1) | instid1(VALU_DEP_2)
	v_cndmask_b32_e32 v3, 0x7c00, v3, vcc_lo
	v_cmp_eq_u32_e32 vcc_lo, 0x40f, v5
	v_dual_cndmask_b32 v2, v3, v2 :: v_dual_lshrrev_b32 v3, 16, v1
	s_delay_alu instid0(VALU_DEP_1)
	v_and_or_b32 v2, 0x8000, v3, v2
	global_store_b16 v[6:7], v2, off
.LBB143_501:
	s_mov_b32 s45, 0
.LBB143_502:
	s_delay_alu instid0(SALU_CYCLE_1)
	s_and_not1_b32 vcc_lo, exec_lo, s45
	s_cbranch_vccnz .LBB143_518
; %bb.503:
	s_cmp_lt_i32 s31, 2
	s_mov_b32 s45, -1
	s_cbranch_scc1 .LBB143_513
; %bb.504:
	s_cmp_lt_i32 s31, 3
	s_cbranch_scc1 .LBB143_510
; %bb.505:
	s_cmp_gt_i32 s31, 3
	s_cbranch_scc0 .LBB143_507
; %bb.506:
	s_wait_xcnt 0x0
	v_trunc_f64_e32 v[2:3], v[0:1]
	s_mov_b32 s45, 0
	s_delay_alu instid0(VALU_DEP_1) | instskip(NEXT) | instid1(VALU_DEP_1)
	v_ldexp_f64 v[8:9], v[2:3], 0xffffffe0
	v_floor_f64_e32 v[8:9], v[8:9]
	s_delay_alu instid0(VALU_DEP_1) | instskip(SKIP_1) | instid1(VALU_DEP_2)
	v_fmamk_f64 v[2:3], v[8:9], 0xc1f00000, v[2:3]
	v_cvt_i32_f64_e32 v9, v[8:9]
	v_cvt_u32_f64_e32 v8, v[2:3]
	global_store_b64 v[6:7], v[8:9], off
.LBB143_507:
	s_and_not1_b32 vcc_lo, exec_lo, s45
	s_cbranch_vccnz .LBB143_509
; %bb.508:
	s_wait_xcnt 0x0
	v_cvt_i32_f64_e32 v2, v[0:1]
	global_store_b32 v[6:7], v2, off
.LBB143_509:
	s_mov_b32 s45, 0
.LBB143_510:
	s_delay_alu instid0(SALU_CYCLE_1)
	s_and_not1_b32 vcc_lo, exec_lo, s45
	s_cbranch_vccnz .LBB143_512
; %bb.511:
	s_wait_xcnt 0x0
	v_cvt_i32_f64_e32 v2, v[0:1]
	global_store_b16 v[6:7], v2, off
.LBB143_512:
	s_mov_b32 s45, 0
.LBB143_513:
	s_delay_alu instid0(SALU_CYCLE_1)
	s_and_not1_b32 vcc_lo, exec_lo, s45
	s_cbranch_vccnz .LBB143_518
; %bb.514:
	s_cmp_gt_i32 s31, 0
	s_mov_b32 s31, -1
	s_cbranch_scc0 .LBB143_516
; %bb.515:
	s_wait_xcnt 0x0
	v_cvt_i32_f64_e32 v2, v[0:1]
	s_mov_b32 s31, 0
	global_store_b8 v[6:7], v2, off
.LBB143_516:
	s_and_not1_b32 vcc_lo, exec_lo, s31
	s_cbranch_vccnz .LBB143_518
; %bb.517:
	s_wait_xcnt 0x0
	v_trunc_f64_e32 v[0:1], v[0:1]
	s_delay_alu instid0(VALU_DEP_1) | instskip(NEXT) | instid1(VALU_DEP_1)
	v_ldexp_f64 v[2:3], v[0:1], 0xffffffe0
	v_floor_f64_e32 v[2:3], v[2:3]
	s_delay_alu instid0(VALU_DEP_1) | instskip(NEXT) | instid1(VALU_DEP_1)
	v_fmamk_f64 v[0:1], v[2:3], 0xc1f00000, v[0:1]
	v_cvt_u32_f64_e32 v0, v[0:1]
	global_store_b8 v[6:7], v0, off
.LBB143_518:
	s_mov_b32 s46, -1
.LBB143_519:
	s_delay_alu instid0(SALU_CYCLE_1)
	s_and_not1_b32 vcc_lo, exec_lo, s46
	s_cbranch_vccnz .LBB143_521
; %bb.520:
	v_add_nc_u32_e32 v4, 0x80, v4
	s_mov_b32 s31, -1
	s_branch .LBB143_522
.LBB143_521:
	s_mov_b32 s31, 0
                                        ; implicit-def: $vgpr4
.LBB143_522:
	s_and_b32 s45, s0, exec_lo
	s_and_b32 s46, s30, exec_lo
	;; [unrolled: 1-line block ×4, first 2 shown]
	s_or_not1_b32 s29, s31, exec_lo
.LBB143_523:
	s_wait_xcnt 0x0
	s_or_b32 exec_lo, exec_lo, s49
	s_mov_b32 s30, 0
	s_mov_b32 s28, 0
                                        ; implicit-def: $sgpr0
                                        ; implicit-def: $vgpr10_vgpr11
                                        ; implicit-def: $vgpr2
                                        ; implicit-def: $vgpr0
                                        ; implicit-def: $vgpr8
                                        ; implicit-def: $vgpr6_vgpr7
	s_and_saveexec_b32 s49, s29
	s_cbranch_execz .LBB143_531
; %bb.524:
	s_mov_b32 s31, -1
	s_mov_b32 s50, s48
	s_mov_b32 s53, s47
	;; [unrolled: 1-line block ×4, first 2 shown]
	s_mov_b32 s54, exec_lo
	v_cmpx_gt_i32_e64 s43, v4
	s_cbranch_execz .LBB143_1057
; %bb.525:
	s_and_not1_b32 vcc_lo, exec_lo, s36
	s_cbranch_vccnz .LBB143_534
; %bb.526:
	s_and_not1_b32 vcc_lo, exec_lo, s44
	s_cbranch_vccnz .LBB143_535
; %bb.527:
	s_wait_loadcnt 0x0
	v_dual_mov_b32 v8, 0 :: v_dual_mov_b32 v1, v4
	v_dual_mov_b32 v6, 0 :: v_dual_mov_b32 v0, 0
	v_mov_b32_e32 v2, 0
	s_add_co_i32 s0, s42, 1
	s_mov_b64 s[28:29], 0xffffffffffffffe0
	s_and_b32 s0, s0, 30
	s_add_nc_u64 s[28:29], s[2:3], s[28:29]
	s_mov_b64 s[30:31], s[2:3]
.LBB143_528:                            ; =>This Inner Loop Header: Depth=1
	s_clause 0x1
	s_load_b128 s[64:67], s[30:31], 0x4
	s_load_b64 s[50:51], s[30:31], 0x14
	s_load_b256 s[56:63], s[28:29], 0xe4
	s_add_co_i32 s0, s0, -2
	s_wait_xcnt 0x0
	s_add_nc_u64 s[30:31], s[30:31], 24
	s_cmp_eq_u32 s0, 0
	s_add_nc_u64 s[28:29], s[28:29], 32
	s_wait_kmcnt 0x0
	v_mul_hi_u32 v3, s65, v1
	s_delay_alu instid0(VALU_DEP_1) | instskip(NEXT) | instid1(VALU_DEP_1)
	v_add_nc_u32_e32 v3, v1, v3
	v_lshrrev_b32_e32 v3, s66, v3
	s_delay_alu instid0(VALU_DEP_1) | instskip(SKIP_1) | instid1(VALU_DEP_1)
	v_mul_hi_u32 v5, s50, v3
	v_mul_lo_u32 v7, v3, s64
	v_dual_add_nc_u32 v5, v3, v5 :: v_dual_sub_nc_u32 v7, v1, v7
	s_delay_alu instid0(VALU_DEP_1) | instskip(NEXT) | instid1(VALU_DEP_2)
	v_lshrrev_b32_e32 v1, s51, v5
	v_mad_u32 v2, v7, s57, v2
	v_mad_u32 v0, v7, s56, v0
	;; [unrolled: 1-line block ×4, first 2 shown]
	v_mul_lo_u32 v5, v1, s67
	s_delay_alu instid0(VALU_DEP_1) | instskip(NEXT) | instid1(VALU_DEP_1)
	v_sub_nc_u32_e32 v3, v3, v5
	v_mad_u32 v2, v3, s61, v2
	v_mad_u32 v0, v3, s60, v0
	v_mad_u32 v6, v3, s63, v6
	v_mad_u32 v8, v3, s62, v7
	s_cbranch_scc0 .LBB143_528
; %bb.529:
	s_bitcmp1_b32 s42, 0
	s_cselect_b32 s0, -1, 0
	s_delay_alu instid0(SALU_CYCLE_1)
	s_and_b32 vcc_lo, exec_lo, s0
	s_cbranch_vccnz .LBB143_536
; %bb.530:
	s_load_b96 s[60:62], s[30:31], 0x4
	s_load_b128 s[56:59], s[28:29], 0xe4
	s_wait_kmcnt 0x0
	v_mul_hi_u32 v3, s61, v1
	s_delay_alu instid0(VALU_DEP_1) | instskip(NEXT) | instid1(VALU_DEP_1)
	v_add_nc_u32_e32 v3, v1, v3
	v_lshrrev_b32_e32 v3, s62, v3
	s_delay_alu instid0(VALU_DEP_1) | instskip(NEXT) | instid1(VALU_DEP_1)
	v_mul_lo_u32 v3, v3, s60
	v_sub_nc_u32_e32 v1, v1, v3
	s_delay_alu instid0(VALU_DEP_1)
	v_mad_u32 v0, v1, s56, v0
	v_mad_u32 v2, v1, s57, v2
	;; [unrolled: 1-line block ×4, first 2 shown]
	s_branch .LBB143_536
.LBB143_531:
	s_or_b32 exec_lo, exec_lo, s49
	s_mov_b32 s1, 0
	s_and_saveexec_b32 s6, s48
	s_cbranch_execnz .LBB143_1685
.LBB143_532:
	s_or_b32 exec_lo, exec_lo, s6
	s_and_saveexec_b32 s6, s25
	s_delay_alu instid0(SALU_CYCLE_1)
	s_xor_b32 s6, exec_lo, s6
	s_cbranch_execz .LBB143_1686
.LBB143_533:
	s_wait_loadcnt 0x0
	global_load_u8 v1, v[10:11], off
	v_mov_b32_e32 v6, 0
	s_or_b32 s28, s28, exec_lo
	s_wait_loadcnt 0x0
	v_cmp_ne_u16_e32 vcc_lo, 0, v1
	v_cndmask_b32_e64 v7, 0, 0x3ff00000, vcc_lo
	s_wait_xcnt 0x0
	s_or_b32 exec_lo, exec_lo, s6
	s_and_saveexec_b32 s6, s30
	s_cbranch_execz .LBB143_1732
	s_branch .LBB143_1687
.LBB143_534:
                                        ; implicit-def: $vgpr2
                                        ; implicit-def: $vgpr0
                                        ; implicit-def: $vgpr6
                                        ; implicit-def: $vgpr8
	s_branch .LBB143_537
.LBB143_535:
	s_wait_loadcnt 0x0
	v_dual_mov_b32 v2, 0 :: v_dual_mov_b32 v0, 0
	v_dual_mov_b32 v6, 0 :: v_dual_mov_b32 v8, 0
.LBB143_536:
	s_cbranch_execnz .LBB143_539
.LBB143_537:
	v_mov_b32_e32 v5, 0
	s_and_not1_b32 vcc_lo, exec_lo, s41
	s_delay_alu instid0(VALU_DEP_1) | instskip(NEXT) | instid1(VALU_DEP_1)
	v_mul_u64_e32 v[0:1], s[24:25], v[4:5]
	v_add_nc_u32_e32 v0, v4, v1
	s_wait_loadcnt 0x0
	s_delay_alu instid0(VALU_DEP_1) | instskip(NEXT) | instid1(VALU_DEP_1)
	v_lshrrev_b32_e32 v10, s22, v0
	v_mul_lo_u32 v0, v10, s20
	s_delay_alu instid0(VALU_DEP_1) | instskip(NEXT) | instid1(VALU_DEP_1)
	v_sub_nc_u32_e32 v1, v4, v0
	v_mul_lo_u32 v2, v1, s13
	v_mul_lo_u32 v0, v1, s12
	;; [unrolled: 1-line block ×4, first 2 shown]
	s_cbranch_vccnz .LBB143_539
; %bb.538:
	v_mov_b32_e32 v11, v5
	s_delay_alu instid0(VALU_DEP_1) | instskip(NEXT) | instid1(VALU_DEP_1)
	v_mul_u64_e32 v[12:13], s[26:27], v[10:11]
	v_add_nc_u32_e32 v1, v10, v13
	s_delay_alu instid0(VALU_DEP_1) | instskip(NEXT) | instid1(VALU_DEP_1)
	v_lshrrev_b32_e32 v1, s1, v1
	v_mul_lo_u32 v1, v1, s23
	s_delay_alu instid0(VALU_DEP_1) | instskip(NEXT) | instid1(VALU_DEP_1)
	v_sub_nc_u32_e32 v1, v10, v1
	v_mad_u32 v0, v1, s16, v0
	v_mad_u32 v2, v1, s17, v2
	;; [unrolled: 1-line block ×4, first 2 shown]
.LBB143_539:
	s_wait_loadcnt 0x0
	v_mov_b32_e32 v3, 0
	s_and_b32 s0, s40, 0xff
	s_delay_alu instid0(SALU_CYCLE_1) | instskip(NEXT) | instid1(VALU_DEP_1)
	s_cmp_lt_i32 s0, 11
	v_add_nc_u64_e32 v[10:11], s[6:7], v[2:3]
	s_cbranch_scc1 .LBB143_546
; %bb.540:
	s_and_b32 s29, 0xffff, s0
	s_delay_alu instid0(SALU_CYCLE_1)
	s_cmp_gt_i32 s29, 25
	s_cbranch_scc0 .LBB143_555
; %bb.541:
	s_cmp_gt_i32 s29, 28
	s_cbranch_scc0 .LBB143_557
; %bb.542:
	;; [unrolled: 3-line block ×4, first 2 shown]
	s_cmp_eq_u32 s29, 46
	s_mov_b32 s31, 0
	s_cbranch_scc0 .LBB143_563
; %bb.545:
	global_load_b32 v1, v[10:11], off
	s_mov_b32 s30, -1
	s_mov_b32 s28, 0
	s_wait_loadcnt 0x0
	v_lshlrev_b32_e32 v1, 16, v1
	s_delay_alu instid0(VALU_DEP_1)
	v_cvt_f64_f32_e32 v[2:3], v1
	s_branch .LBB143_565
.LBB143_546:
	s_mov_b32 s30, 0
	s_mov_b32 s28, s48
                                        ; implicit-def: $vgpr2_vgpr3
	s_cbranch_execnz .LBB143_631
.LBB143_547:
	s_and_not1_b32 vcc_lo, exec_lo, s30
	s_cbranch_vccnz .LBB143_679
.LBB143_548:
	v_mov_b32_e32 v9, 0
	s_and_b32 s0, s39, 0xff
	s_delay_alu instid0(SALU_CYCLE_1) | instskip(SKIP_1) | instid1(VALU_DEP_1)
	s_cmp_lt_i32 s0, 11
	s_wait_xcnt 0x0
	v_add_nc_u64_e32 v[10:11], s[8:9], v[8:9]
	s_cbranch_scc1 .LBB143_556
; %bb.549:
	s_and_b32 s30, 0xffff, s0
	s_delay_alu instid0(SALU_CYCLE_1)
	s_cmp_gt_i32 s30, 25
	s_cbranch_scc0 .LBB143_558
; %bb.550:
	s_cmp_gt_i32 s30, 28
	s_cbranch_scc0 .LBB143_560
; %bb.551:
	;; [unrolled: 3-line block ×4, first 2 shown]
	s_cmp_eq_u32 s30, 46
	s_mov_b32 s50, 0
	s_cbranch_scc0 .LBB143_682
; %bb.554:
	global_load_b32 v1, v[10:11], off
	s_mov_b32 s31, -1
	s_mov_b32 s29, 0
	s_wait_loadcnt 0x0
	v_lshlrev_b32_e32 v1, 16, v1
	s_delay_alu instid0(VALU_DEP_1)
	v_cvt_f64_f32_e32 v[8:9], v1
	s_branch .LBB143_684
.LBB143_555:
	s_mov_b32 s31, -1
	s_mov_b32 s30, 0
	s_mov_b32 s28, s48
                                        ; implicit-def: $vgpr2_vgpr3
	s_branch .LBB143_595
.LBB143_556:
	s_mov_b32 s30, -1
	s_mov_b32 s31, 0
	s_mov_b32 s29, s47
                                        ; implicit-def: $vgpr8_vgpr9
	s_branch .LBB143_749
.LBB143_557:
	s_mov_b32 s31, -1
	s_mov_b32 s30, 0
	s_mov_b32 s28, s48
                                        ; implicit-def: $vgpr2_vgpr3
	s_branch .LBB143_576
.LBB143_558:
	s_mov_b32 s50, -1
	s_mov_b32 s31, 0
	s_mov_b32 s29, s47
                                        ; implicit-def: $vgpr8_vgpr9
	s_branch .LBB143_713
.LBB143_559:
	s_mov_b32 s31, -1
	s_mov_b32 s30, 0
	s_mov_b32 s28, s48
                                        ; implicit-def: $vgpr2_vgpr3
	s_branch .LBB143_571
.LBB143_560:
	s_mov_b32 s50, -1
	s_mov_b32 s31, 0
	s_mov_b32 s29, s47
                                        ; implicit-def: $vgpr8_vgpr9
	s_branch .LBB143_694
.LBB143_561:
	s_mov_b32 s31, -1
	s_mov_b32 s30, 0
	s_mov_b32 s28, s48
	s_branch .LBB143_564
.LBB143_562:
	s_mov_b32 s50, -1
	s_mov_b32 s31, 0
	s_mov_b32 s29, s47
                                        ; implicit-def: $vgpr8_vgpr9
	s_branch .LBB143_689
.LBB143_563:
	s_mov_b32 s28, -1
	s_mov_b32 s30, 0
.LBB143_564:
                                        ; implicit-def: $vgpr2_vgpr3
.LBB143_565:
	s_and_b32 vcc_lo, exec_lo, s31
	s_cbranch_vccz .LBB143_570
; %bb.566:
	s_cmp_eq_u32 s29, 44
	s_cbranch_scc0 .LBB143_569
; %bb.567:
	global_load_u8 v1, v[10:11], off
	s_mov_b32 s28, 0
	s_mov_b32 s30, -1
	s_wait_loadcnt 0x0
	v_cmp_ne_u32_e32 vcc_lo, 0xff, v1
	v_lshlrev_b32_e32 v2, 23, v1
	s_delay_alu instid0(VALU_DEP_1) | instskip(NEXT) | instid1(VALU_DEP_1)
	v_cvt_f64_f32_e32 v[2:3], v2
	v_cndmask_b32_e32 v2, 0x20000000, v2, vcc_lo
	s_delay_alu instid0(VALU_DEP_2) | instskip(SKIP_1) | instid1(VALU_DEP_2)
	v_cndmask_b32_e32 v3, 0x7ff80000, v3, vcc_lo
	v_cmp_ne_u32_e32 vcc_lo, 0, v1
	v_cndmask_b32_e32 v3, 0x38000000, v3, vcc_lo
	s_delay_alu instid0(VALU_DEP_4)
	v_cndmask_b32_e32 v2, 0, v2, vcc_lo
	s_branch .LBB143_570
.LBB143_568:
	s_mov_b32 s50, -1
	s_mov_b32 s31, 0
	s_mov_b32 s29, s47
	s_branch .LBB143_683
.LBB143_569:
	s_mov_b32 s28, -1
                                        ; implicit-def: $vgpr2_vgpr3
.LBB143_570:
	s_mov_b32 s31, 0
.LBB143_571:
	s_delay_alu instid0(SALU_CYCLE_1)
	s_and_b32 vcc_lo, exec_lo, s31
	s_cbranch_vccz .LBB143_575
; %bb.572:
	s_cmp_eq_u32 s29, 29
	s_cbranch_scc0 .LBB143_574
; %bb.573:
	global_load_b64 v[2:3], v[10:11], off
	s_mov_b32 s30, -1
	s_mov_b32 s28, 0
	s_mov_b32 s31, 0
	s_wait_loadcnt 0x0
	v_cvt_f64_u32_e32 v[12:13], v3
	v_cvt_f64_u32_e32 v[2:3], v2
	s_delay_alu instid0(VALU_DEP_2) | instskip(NEXT) | instid1(VALU_DEP_1)
	v_ldexp_f64 v[12:13], v[12:13], 32
	v_add_f64_e32 v[2:3], v[12:13], v[2:3]
	s_branch .LBB143_576
.LBB143_574:
	s_mov_b32 s28, -1
                                        ; implicit-def: $vgpr2_vgpr3
.LBB143_575:
	s_mov_b32 s31, 0
.LBB143_576:
	s_delay_alu instid0(SALU_CYCLE_1)
	s_and_b32 vcc_lo, exec_lo, s31
	s_cbranch_vccz .LBB143_594
; %bb.577:
	s_cmp_lt_i32 s29, 27
	s_cbranch_scc1 .LBB143_580
; %bb.578:
	s_cmp_gt_i32 s29, 27
	s_cbranch_scc0 .LBB143_581
; %bb.579:
	global_load_b32 v1, v[10:11], off
	s_mov_b32 s30, 0
	s_wait_loadcnt 0x0
	v_cvt_f64_u32_e32 v[2:3], v1
	s_branch .LBB143_582
.LBB143_580:
	s_mov_b32 s30, -1
                                        ; implicit-def: $vgpr2_vgpr3
	s_branch .LBB143_585
.LBB143_581:
	s_mov_b32 s30, -1
                                        ; implicit-def: $vgpr2_vgpr3
.LBB143_582:
	s_delay_alu instid0(SALU_CYCLE_1)
	s_and_not1_b32 vcc_lo, exec_lo, s30
	s_cbranch_vccnz .LBB143_584
; %bb.583:
	global_load_u16 v1, v[10:11], off
	s_wait_loadcnt 0x0
	v_cvt_f64_u32_e32 v[2:3], v1
.LBB143_584:
	s_mov_b32 s30, 0
.LBB143_585:
	s_delay_alu instid0(SALU_CYCLE_1)
	s_and_not1_b32 vcc_lo, exec_lo, s30
	s_cbranch_vccnz .LBB143_593
; %bb.586:
	global_load_u8 v1, v[10:11], off
	s_mov_b32 s30, 0
	s_mov_b32 s31, exec_lo
	s_wait_loadcnt 0x0
	v_cmpx_lt_i16_e32 0x7f, v1
	s_xor_b32 s31, exec_lo, s31
	s_cbranch_execz .LBB143_607
; %bb.587:
	s_mov_b32 s30, -1
	s_mov_b32 s50, exec_lo
	v_cmpx_eq_u16_e32 0x80, v1
; %bb.588:
	s_xor_b32 s30, exec_lo, -1
; %bb.589:
	s_or_b32 exec_lo, exec_lo, s50
	s_delay_alu instid0(SALU_CYCLE_1)
	s_and_b32 s30, s30, exec_lo
	s_or_saveexec_b32 s31, s31
	v_mov_b64_e32 v[2:3], 0x7ff8000020000000
	s_xor_b32 exec_lo, exec_lo, s31
	s_cbranch_execnz .LBB143_608
.LBB143_590:
	s_or_b32 exec_lo, exec_lo, s31
	s_and_saveexec_b32 s31, s30
	s_cbranch_execz .LBB143_592
.LBB143_591:
	v_and_b32_e32 v2, 0xffff, v1
	s_delay_alu instid0(VALU_DEP_1) | instskip(SKIP_1) | instid1(VALU_DEP_2)
	v_and_b32_e32 v3, 7, v2
	v_bfe_u32 v9, v2, 3, 4
	v_clz_i32_u32_e32 v5, v3
	s_delay_alu instid0(VALU_DEP_2) | instskip(NEXT) | instid1(VALU_DEP_2)
	v_cmp_eq_u32_e32 vcc_lo, 0, v9
	v_min_u32_e32 v5, 32, v5
	s_delay_alu instid0(VALU_DEP_1) | instskip(NEXT) | instid1(VALU_DEP_1)
	v_subrev_nc_u32_e32 v7, 28, v5
	v_dual_lshlrev_b32 v2, v7, v2 :: v_dual_sub_nc_u32 v5, 29, v5
	s_delay_alu instid0(VALU_DEP_1) | instskip(NEXT) | instid1(VALU_DEP_1)
	v_dual_lshlrev_b32 v1, 24, v1 :: v_dual_bitop2_b32 v2, 7, v2 bitop3:0x40
	v_dual_cndmask_b32 v2, v3, v2 :: v_dual_cndmask_b32 v5, v9, v5
	s_delay_alu instid0(VALU_DEP_2) | instskip(NEXT) | instid1(VALU_DEP_2)
	v_and_b32_e32 v1, 0x80000000, v1
	v_lshlrev_b32_e32 v2, 20, v2
	s_delay_alu instid0(VALU_DEP_3) | instskip(NEXT) | instid1(VALU_DEP_1)
	v_lshl_add_u32 v3, v5, 23, 0x3b800000
	v_or3_b32 v1, v1, v3, v2
	s_delay_alu instid0(VALU_DEP_1)
	v_cvt_f64_f32_e32 v[2:3], v1
.LBB143_592:
	s_or_b32 exec_lo, exec_lo, s31
.LBB143_593:
	s_mov_b32 s30, -1
.LBB143_594:
	s_mov_b32 s31, 0
.LBB143_595:
	s_delay_alu instid0(SALU_CYCLE_1)
	s_and_b32 vcc_lo, exec_lo, s31
	s_cbranch_vccz .LBB143_630
; %bb.596:
	s_cmp_gt_i32 s29, 22
	s_cbranch_scc0 .LBB143_606
; %bb.597:
	s_cmp_lt_i32 s29, 24
	s_cbranch_scc1 .LBB143_609
; %bb.598:
	s_cmp_gt_i32 s29, 24
	s_cbranch_scc0 .LBB143_610
; %bb.599:
	global_load_u8 v1, v[10:11], off
	s_mov_b32 s30, 0
	s_mov_b32 s31, exec_lo
	s_wait_loadcnt 0x0
	v_cmpx_lt_i16_e32 0x7f, v1
	s_xor_b32 s31, exec_lo, s31
	s_cbranch_execz .LBB143_622
; %bb.600:
	s_mov_b32 s30, -1
	s_mov_b32 s50, exec_lo
	v_cmpx_eq_u16_e32 0x80, v1
; %bb.601:
	s_xor_b32 s30, exec_lo, -1
; %bb.602:
	s_or_b32 exec_lo, exec_lo, s50
	s_delay_alu instid0(SALU_CYCLE_1)
	s_and_b32 s30, s30, exec_lo
	s_or_saveexec_b32 s31, s31
	v_mov_b64_e32 v[2:3], 0x7ff8000020000000
	s_xor_b32 exec_lo, exec_lo, s31
	s_cbranch_execnz .LBB143_623
.LBB143_603:
	s_or_b32 exec_lo, exec_lo, s31
	s_and_saveexec_b32 s31, s30
	s_cbranch_execz .LBB143_605
.LBB143_604:
	v_and_b32_e32 v2, 0xffff, v1
	s_delay_alu instid0(VALU_DEP_1) | instskip(SKIP_1) | instid1(VALU_DEP_2)
	v_and_b32_e32 v3, 3, v2
	v_bfe_u32 v9, v2, 2, 5
	v_clz_i32_u32_e32 v5, v3
	s_delay_alu instid0(VALU_DEP_2) | instskip(NEXT) | instid1(VALU_DEP_2)
	v_cmp_eq_u32_e32 vcc_lo, 0, v9
	v_min_u32_e32 v5, 32, v5
	s_delay_alu instid0(VALU_DEP_1) | instskip(NEXT) | instid1(VALU_DEP_1)
	v_subrev_nc_u32_e32 v7, 29, v5
	v_dual_lshlrev_b32 v2, v7, v2 :: v_dual_sub_nc_u32 v5, 30, v5
	s_delay_alu instid0(VALU_DEP_1) | instskip(NEXT) | instid1(VALU_DEP_1)
	v_dual_lshlrev_b32 v1, 24, v1 :: v_dual_bitop2_b32 v2, 3, v2 bitop3:0x40
	v_dual_cndmask_b32 v2, v3, v2 :: v_dual_cndmask_b32 v5, v9, v5
	s_delay_alu instid0(VALU_DEP_2) | instskip(NEXT) | instid1(VALU_DEP_2)
	v_and_b32_e32 v1, 0x80000000, v1
	v_lshlrev_b32_e32 v2, 21, v2
	s_delay_alu instid0(VALU_DEP_3) | instskip(NEXT) | instid1(VALU_DEP_1)
	v_lshl_add_u32 v3, v5, 23, 0x37800000
	v_or3_b32 v1, v1, v3, v2
	s_delay_alu instid0(VALU_DEP_1)
	v_cvt_f64_f32_e32 v[2:3], v1
.LBB143_605:
	s_or_b32 exec_lo, exec_lo, s31
	s_mov_b32 s30, 0
	s_branch .LBB143_611
.LBB143_606:
	s_mov_b32 s31, -1
                                        ; implicit-def: $vgpr2_vgpr3
	s_branch .LBB143_617
.LBB143_607:
	s_or_saveexec_b32 s31, s31
	v_mov_b64_e32 v[2:3], 0x7ff8000020000000
	s_xor_b32 exec_lo, exec_lo, s31
	s_cbranch_execz .LBB143_590
.LBB143_608:
	v_cmp_ne_u16_e32 vcc_lo, 0, v1
	v_mov_b64_e32 v[2:3], 0
	s_and_not1_b32 s30, s30, exec_lo
	s_and_b32 s50, vcc_lo, exec_lo
	s_delay_alu instid0(SALU_CYCLE_1)
	s_or_b32 s30, s30, s50
	s_or_b32 exec_lo, exec_lo, s31
	s_and_saveexec_b32 s31, s30
	s_cbranch_execnz .LBB143_591
	s_branch .LBB143_592
.LBB143_609:
	s_mov_b32 s30, -1
                                        ; implicit-def: $vgpr2_vgpr3
	s_branch .LBB143_614
.LBB143_610:
	s_mov_b32 s30, -1
                                        ; implicit-def: $vgpr2_vgpr3
.LBB143_611:
	s_delay_alu instid0(SALU_CYCLE_1)
	s_and_b32 vcc_lo, exec_lo, s30
	s_cbranch_vccz .LBB143_613
; %bb.612:
	global_load_u8 v1, v[10:11], off
	s_wait_loadcnt 0x0
	v_lshlrev_b32_e32 v1, 24, v1
	s_delay_alu instid0(VALU_DEP_1) | instskip(NEXT) | instid1(VALU_DEP_1)
	v_and_b32_e32 v2, 0x7f000000, v1
	v_clz_i32_u32_e32 v3, v2
	v_cmp_ne_u32_e32 vcc_lo, 0, v2
	v_add_nc_u32_e32 v7, 0x1000000, v2
	s_delay_alu instid0(VALU_DEP_3) | instskip(NEXT) | instid1(VALU_DEP_1)
	v_min_u32_e32 v3, 32, v3
	v_sub_nc_u32_e64 v3, v3, 4 clamp
	s_delay_alu instid0(VALU_DEP_1) | instskip(NEXT) | instid1(VALU_DEP_1)
	v_dual_lshlrev_b32 v5, v3, v2 :: v_dual_lshlrev_b32 v3, 23, v3
	v_lshrrev_b32_e32 v5, 4, v5
	s_delay_alu instid0(VALU_DEP_1) | instskip(SKIP_1) | instid1(VALU_DEP_2)
	v_sub_nc_u32_e32 v3, v5, v3
	v_ashrrev_i32_e32 v5, 8, v7
	v_add_nc_u32_e32 v3, 0x3c000000, v3
	s_delay_alu instid0(VALU_DEP_1) | instskip(NEXT) | instid1(VALU_DEP_1)
	v_and_or_b32 v3, 0x7f800000, v5, v3
	v_cndmask_b32_e32 v2, 0, v3, vcc_lo
	s_delay_alu instid0(VALU_DEP_1) | instskip(NEXT) | instid1(VALU_DEP_1)
	v_and_or_b32 v1, 0x80000000, v1, v2
	v_cvt_f64_f32_e32 v[2:3], v1
.LBB143_613:
	s_mov_b32 s30, 0
.LBB143_614:
	s_delay_alu instid0(SALU_CYCLE_1)
	s_and_not1_b32 vcc_lo, exec_lo, s30
	s_cbranch_vccnz .LBB143_616
; %bb.615:
	global_load_u8 v1, v[10:11], off
	s_wait_loadcnt 0x0
	v_lshlrev_b32_e32 v2, 25, v1
	v_lshlrev_b16 v1, 8, v1
	s_delay_alu instid0(VALU_DEP_1) | instskip(NEXT) | instid1(VALU_DEP_3)
	v_and_or_b32 v5, 0x7f00, v1, 0.5
	v_lshrrev_b32_e32 v3, 4, v2
	v_bfe_i32 v1, v1, 0, 16
	s_delay_alu instid0(VALU_DEP_3) | instskip(NEXT) | instid1(VALU_DEP_3)
	v_add_f32_e32 v5, -0.5, v5
	v_or_b32_e32 v3, 0x70000000, v3
	s_delay_alu instid0(VALU_DEP_1) | instskip(SKIP_1) | instid1(VALU_DEP_2)
	v_mul_f32_e32 v3, 0x7800000, v3
	v_cmp_gt_u32_e32 vcc_lo, 0x8000000, v2
	v_cndmask_b32_e32 v2, v3, v5, vcc_lo
	s_delay_alu instid0(VALU_DEP_1) | instskip(NEXT) | instid1(VALU_DEP_1)
	v_and_or_b32 v1, 0x80000000, v1, v2
	v_cvt_f64_f32_e32 v[2:3], v1
.LBB143_616:
	s_mov_b32 s31, 0
	s_mov_b32 s30, -1
.LBB143_617:
	s_and_not1_b32 vcc_lo, exec_lo, s31
	s_cbranch_vccnz .LBB143_630
; %bb.618:
	s_cmp_gt_i32 s29, 14
	s_cbranch_scc0 .LBB143_621
; %bb.619:
	s_cmp_eq_u32 s29, 15
	s_cbranch_scc0 .LBB143_624
; %bb.620:
	global_load_u16 v1, v[10:11], off
	s_mov_b32 s30, -1
	s_mov_b32 s28, 0
	s_wait_loadcnt 0x0
	v_lshlrev_b32_e32 v1, 16, v1
	s_delay_alu instid0(VALU_DEP_1)
	v_cvt_f64_f32_e32 v[2:3], v1
	s_branch .LBB143_625
.LBB143_621:
	s_mov_b32 s31, -1
                                        ; implicit-def: $vgpr2_vgpr3
	s_branch .LBB143_626
.LBB143_622:
	s_or_saveexec_b32 s31, s31
	v_mov_b64_e32 v[2:3], 0x7ff8000020000000
	s_xor_b32 exec_lo, exec_lo, s31
	s_cbranch_execz .LBB143_603
.LBB143_623:
	v_cmp_ne_u16_e32 vcc_lo, 0, v1
	v_mov_b64_e32 v[2:3], 0
	s_and_not1_b32 s30, s30, exec_lo
	s_and_b32 s50, vcc_lo, exec_lo
	s_delay_alu instid0(SALU_CYCLE_1)
	s_or_b32 s30, s30, s50
	s_or_b32 exec_lo, exec_lo, s31
	s_and_saveexec_b32 s31, s30
	s_cbranch_execnz .LBB143_604
	s_branch .LBB143_605
.LBB143_624:
	s_mov_b32 s28, -1
                                        ; implicit-def: $vgpr2_vgpr3
.LBB143_625:
	s_mov_b32 s31, 0
.LBB143_626:
	s_delay_alu instid0(SALU_CYCLE_1)
	s_and_b32 vcc_lo, exec_lo, s31
	s_cbranch_vccz .LBB143_630
; %bb.627:
	s_cmp_eq_u32 s29, 11
	s_cbranch_scc0 .LBB143_629
; %bb.628:
	global_load_u8 v1, v[10:11], off
	v_mov_b32_e32 v2, 0
	s_mov_b32 s28, 0
	s_mov_b32 s30, -1
	s_wait_loadcnt 0x0
	v_cmp_ne_u16_e32 vcc_lo, 0, v1
	v_cndmask_b32_e64 v3, 0, 0x3ff00000, vcc_lo
	s_branch .LBB143_630
.LBB143_629:
	s_mov_b32 s28, -1
                                        ; implicit-def: $vgpr2_vgpr3
.LBB143_630:
	s_branch .LBB143_547
.LBB143_631:
	s_and_b32 s0, 0xffff, s0
	s_delay_alu instid0(SALU_CYCLE_1)
	s_cmp_lt_i32 s0, 5
	s_cbranch_scc1 .LBB143_636
; %bb.632:
	s_cmp_lt_i32 s0, 8
	s_cbranch_scc1 .LBB143_637
; %bb.633:
	;; [unrolled: 3-line block ×3, first 2 shown]
	s_cmp_gt_i32 s0, 9
	s_cbranch_scc0 .LBB143_639
; %bb.635:
	global_load_b64 v[2:3], v[10:11], off
	s_mov_b32 s29, 0
	s_branch .LBB143_640
.LBB143_636:
	s_mov_b32 s29, -1
                                        ; implicit-def: $vgpr2_vgpr3
	s_branch .LBB143_658
.LBB143_637:
	s_mov_b32 s29, -1
                                        ; implicit-def: $vgpr2_vgpr3
	s_branch .LBB143_646
.LBB143_638:
	s_mov_b32 s29, -1
                                        ; implicit-def: $vgpr2_vgpr3
	s_branch .LBB143_643
.LBB143_639:
	s_mov_b32 s29, -1
                                        ; implicit-def: $vgpr2_vgpr3
.LBB143_640:
	s_delay_alu instid0(SALU_CYCLE_1)
	s_and_not1_b32 vcc_lo, exec_lo, s29
	s_cbranch_vccnz .LBB143_642
; %bb.641:
	global_load_b32 v1, v[10:11], off
	s_wait_loadcnt 0x0
	v_cvt_f64_f32_e32 v[2:3], v1
.LBB143_642:
	s_mov_b32 s29, 0
.LBB143_643:
	s_delay_alu instid0(SALU_CYCLE_1)
	s_and_not1_b32 vcc_lo, exec_lo, s29
	s_cbranch_vccnz .LBB143_645
; %bb.644:
	global_load_b32 v1, v[10:11], off
	s_wait_loadcnt 0x0
	v_cvt_f32_f16_e32 v1, v1
	s_delay_alu instid0(VALU_DEP_1)
	v_cvt_f64_f32_e32 v[2:3], v1
.LBB143_645:
	s_mov_b32 s29, 0
.LBB143_646:
	s_delay_alu instid0(SALU_CYCLE_1)
	s_and_not1_b32 vcc_lo, exec_lo, s29
	s_cbranch_vccnz .LBB143_657
; %bb.647:
	s_cmp_lt_i32 s0, 6
	s_cbranch_scc1 .LBB143_650
; %bb.648:
	s_cmp_gt_i32 s0, 6
	s_cbranch_scc0 .LBB143_651
; %bb.649:
	s_wait_loadcnt 0x0
	global_load_b64 v[2:3], v[10:11], off
	s_mov_b32 s29, 0
	s_branch .LBB143_652
.LBB143_650:
	s_mov_b32 s29, -1
                                        ; implicit-def: $vgpr2_vgpr3
	s_branch .LBB143_655
.LBB143_651:
	s_mov_b32 s29, -1
                                        ; implicit-def: $vgpr2_vgpr3
.LBB143_652:
	s_delay_alu instid0(SALU_CYCLE_1)
	s_and_not1_b32 vcc_lo, exec_lo, s29
	s_cbranch_vccnz .LBB143_654
; %bb.653:
	global_load_b32 v1, v[10:11], off
	s_wait_loadcnt 0x0
	v_cvt_f64_f32_e32 v[2:3], v1
.LBB143_654:
	s_mov_b32 s29, 0
.LBB143_655:
	s_delay_alu instid0(SALU_CYCLE_1)
	s_and_not1_b32 vcc_lo, exec_lo, s29
	s_cbranch_vccnz .LBB143_657
; %bb.656:
	global_load_u16 v1, v[10:11], off
	s_wait_loadcnt 0x0
	v_cvt_f32_f16_e32 v1, v1
	s_delay_alu instid0(VALU_DEP_1)
	v_cvt_f64_f32_e32 v[2:3], v1
.LBB143_657:
	s_mov_b32 s29, 0
.LBB143_658:
	s_delay_alu instid0(SALU_CYCLE_1)
	s_and_not1_b32 vcc_lo, exec_lo, s29
	s_cbranch_vccnz .LBB143_678
; %bb.659:
	s_cmp_lt_i32 s0, 2
	s_cbranch_scc1 .LBB143_663
; %bb.660:
	s_cmp_lt_i32 s0, 3
	s_cbranch_scc1 .LBB143_664
; %bb.661:
	s_cmp_gt_i32 s0, 3
	s_cbranch_scc0 .LBB143_665
; %bb.662:
	s_wait_loadcnt 0x0
	global_load_b64 v[2:3], v[10:11], off
	s_mov_b32 s29, 0
	s_wait_loadcnt 0x0
	v_cvt_f64_i32_e32 v[12:13], v3
	v_cvt_f64_u32_e32 v[2:3], v2
	s_delay_alu instid0(VALU_DEP_2) | instskip(NEXT) | instid1(VALU_DEP_1)
	v_ldexp_f64 v[12:13], v[12:13], 32
	v_add_f64_e32 v[2:3], v[12:13], v[2:3]
	s_branch .LBB143_666
.LBB143_663:
	s_mov_b32 s29, -1
                                        ; implicit-def: $vgpr2_vgpr3
	s_branch .LBB143_672
.LBB143_664:
	s_mov_b32 s29, -1
                                        ; implicit-def: $vgpr2_vgpr3
	s_branch .LBB143_669
.LBB143_665:
	s_mov_b32 s29, -1
                                        ; implicit-def: $vgpr2_vgpr3
.LBB143_666:
	s_delay_alu instid0(SALU_CYCLE_1)
	s_and_not1_b32 vcc_lo, exec_lo, s29
	s_cbranch_vccnz .LBB143_668
; %bb.667:
	global_load_b32 v1, v[10:11], off
	s_wait_loadcnt 0x0
	v_cvt_f64_i32_e32 v[2:3], v1
.LBB143_668:
	s_mov_b32 s29, 0
.LBB143_669:
	s_delay_alu instid0(SALU_CYCLE_1)
	s_and_not1_b32 vcc_lo, exec_lo, s29
	s_cbranch_vccnz .LBB143_671
; %bb.670:
	global_load_i16 v1, v[10:11], off
	s_wait_loadcnt 0x0
	v_cvt_f64_i32_e32 v[2:3], v1
.LBB143_671:
	s_mov_b32 s29, 0
.LBB143_672:
	s_delay_alu instid0(SALU_CYCLE_1)
	s_and_not1_b32 vcc_lo, exec_lo, s29
	s_cbranch_vccnz .LBB143_678
; %bb.673:
	s_cmp_gt_i32 s0, 0
	s_mov_b32 s0, 0
	s_cbranch_scc0 .LBB143_675
; %bb.674:
	global_load_i8 v1, v[10:11], off
	s_wait_loadcnt 0x0
	v_cvt_f64_i32_e32 v[2:3], v1
	s_branch .LBB143_676
.LBB143_675:
	s_mov_b32 s0, -1
                                        ; implicit-def: $vgpr2_vgpr3
.LBB143_676:
	s_delay_alu instid0(SALU_CYCLE_1)
	s_and_not1_b32 vcc_lo, exec_lo, s0
	s_cbranch_vccnz .LBB143_678
; %bb.677:
	global_load_u8 v1, v[10:11], off
	s_wait_loadcnt 0x0
	v_cvt_f64_u32_e32 v[2:3], v1
.LBB143_678:
	s_branch .LBB143_548
.LBB143_679:
	s_mov_b32 s31, 0
	s_mov_b32 s0, s45
	;; [unrolled: 1-line block ×4, first 2 shown]
	s_branch .LBB143_1055
.LBB143_680:
	s_and_not1_saveexec_b32 s48, s48
	s_cbranch_execz .LBB143_432
.LBB143_681:
	v_add_f32_e64 v3, 0x46000000, |v2|
	s_and_not1_b32 s47, s47, exec_lo
	s_delay_alu instid0(VALU_DEP_1) | instskip(NEXT) | instid1(VALU_DEP_1)
	v_and_b32_e32 v3, 0xff, v3
	v_cmp_ne_u32_e32 vcc_lo, 0, v3
	s_and_b32 s50, vcc_lo, exec_lo
	s_delay_alu instid0(SALU_CYCLE_1)
	s_or_b32 s47, s47, s50
	s_or_b32 exec_lo, exec_lo, s48
	v_mov_b32_e32 v5, 0
	s_and_saveexec_b32 s48, s47
	s_cbranch_execnz .LBB143_433
	s_branch .LBB143_434
.LBB143_682:
	s_mov_b32 s29, -1
	s_mov_b32 s31, 0
.LBB143_683:
                                        ; implicit-def: $vgpr8_vgpr9
.LBB143_684:
	s_and_b32 vcc_lo, exec_lo, s50
	s_cbranch_vccz .LBB143_688
; %bb.685:
	s_cmp_eq_u32 s30, 44
	s_cbranch_scc0 .LBB143_687
; %bb.686:
	global_load_u8 v1, v[10:11], off
	s_mov_b32 s29, 0
	s_mov_b32 s31, -1
	s_wait_loadcnt 0x0
	v_lshlrev_b32_e32 v5, 23, v1
	v_cmp_ne_u32_e32 vcc_lo, 0xff, v1
	s_delay_alu instid0(VALU_DEP_2) | instskip(NEXT) | instid1(VALU_DEP_1)
	v_cvt_f64_f32_e32 v[8:9], v5
	v_cndmask_b32_e32 v5, 0x20000000, v8, vcc_lo
	s_delay_alu instid0(VALU_DEP_2) | instskip(SKIP_1) | instid1(VALU_DEP_2)
	v_cndmask_b32_e32 v7, 0x7ff80000, v9, vcc_lo
	v_cmp_ne_u32_e32 vcc_lo, 0, v1
	v_cndmask_b32_e32 v9, 0x38000000, v7, vcc_lo
	s_delay_alu instid0(VALU_DEP_4)
	v_cndmask_b32_e32 v8, 0, v5, vcc_lo
	s_branch .LBB143_688
.LBB143_687:
	s_mov_b32 s29, -1
                                        ; implicit-def: $vgpr8_vgpr9
.LBB143_688:
	s_mov_b32 s50, 0
.LBB143_689:
	s_delay_alu instid0(SALU_CYCLE_1)
	s_and_b32 vcc_lo, exec_lo, s50
	s_cbranch_vccz .LBB143_693
; %bb.690:
	s_cmp_eq_u32 s30, 29
	s_cbranch_scc0 .LBB143_692
; %bb.691:
	global_load_b64 v[8:9], v[10:11], off
	s_mov_b32 s31, -1
	s_mov_b32 s29, 0
	s_mov_b32 s50, 0
	s_wait_loadcnt 0x0
	v_cvt_f64_u32_e32 v[12:13], v9
	v_cvt_f64_u32_e32 v[8:9], v8
	s_delay_alu instid0(VALU_DEP_2) | instskip(NEXT) | instid1(VALU_DEP_1)
	v_ldexp_f64 v[12:13], v[12:13], 32
	v_add_f64_e32 v[8:9], v[12:13], v[8:9]
	s_branch .LBB143_694
.LBB143_692:
	s_mov_b32 s29, -1
                                        ; implicit-def: $vgpr8_vgpr9
.LBB143_693:
	s_mov_b32 s50, 0
.LBB143_694:
	s_delay_alu instid0(SALU_CYCLE_1)
	s_and_b32 vcc_lo, exec_lo, s50
	s_cbranch_vccz .LBB143_712
; %bb.695:
	s_cmp_lt_i32 s30, 27
	s_cbranch_scc1 .LBB143_698
; %bb.696:
	s_cmp_gt_i32 s30, 27
	s_cbranch_scc0 .LBB143_699
; %bb.697:
	global_load_b32 v1, v[10:11], off
	s_mov_b32 s31, 0
	s_wait_loadcnt 0x0
	v_cvt_f64_u32_e32 v[8:9], v1
	s_branch .LBB143_700
.LBB143_698:
	s_mov_b32 s31, -1
                                        ; implicit-def: $vgpr8_vgpr9
	s_branch .LBB143_703
.LBB143_699:
	s_mov_b32 s31, -1
                                        ; implicit-def: $vgpr8_vgpr9
.LBB143_700:
	s_delay_alu instid0(SALU_CYCLE_1)
	s_and_not1_b32 vcc_lo, exec_lo, s31
	s_cbranch_vccnz .LBB143_702
; %bb.701:
	global_load_u16 v1, v[10:11], off
	s_wait_loadcnt 0x0
	v_cvt_f64_u32_e32 v[8:9], v1
.LBB143_702:
	s_mov_b32 s31, 0
.LBB143_703:
	s_delay_alu instid0(SALU_CYCLE_1)
	s_and_not1_b32 vcc_lo, exec_lo, s31
	s_cbranch_vccnz .LBB143_711
; %bb.704:
	global_load_u8 v1, v[10:11], off
	s_mov_b32 s31, 0
	s_mov_b32 s50, exec_lo
	s_wait_loadcnt 0x0
	v_cmpx_lt_i16_e32 0x7f, v1
	s_xor_b32 s50, exec_lo, s50
	s_cbranch_execz .LBB143_725
; %bb.705:
	s_mov_b32 s31, -1
	s_mov_b32 s51, exec_lo
	v_cmpx_eq_u16_e32 0x80, v1
; %bb.706:
	s_xor_b32 s31, exec_lo, -1
; %bb.707:
	s_or_b32 exec_lo, exec_lo, s51
	s_delay_alu instid0(SALU_CYCLE_1)
	s_and_b32 s31, s31, exec_lo
	s_or_saveexec_b32 s50, s50
	v_mov_b64_e32 v[8:9], 0x7ff8000020000000
	s_xor_b32 exec_lo, exec_lo, s50
	s_cbranch_execnz .LBB143_726
.LBB143_708:
	s_or_b32 exec_lo, exec_lo, s50
	s_and_saveexec_b32 s50, s31
	s_cbranch_execz .LBB143_710
.LBB143_709:
	v_and_b32_e32 v5, 0xffff, v1
	s_delay_alu instid0(VALU_DEP_1) | instskip(SKIP_1) | instid1(VALU_DEP_2)
	v_and_b32_e32 v7, 7, v5
	v_bfe_u32 v12, v5, 3, 4
	v_clz_i32_u32_e32 v8, v7
	s_delay_alu instid0(VALU_DEP_2) | instskip(NEXT) | instid1(VALU_DEP_2)
	v_cmp_eq_u32_e32 vcc_lo, 0, v12
	v_min_u32_e32 v8, 32, v8
	s_delay_alu instid0(VALU_DEP_1) | instskip(NEXT) | instid1(VALU_DEP_1)
	v_subrev_nc_u32_e32 v9, 28, v8
	v_dual_lshlrev_b32 v5, v9, v5 :: v_dual_sub_nc_u32 v8, 29, v8
	s_delay_alu instid0(VALU_DEP_1) | instskip(NEXT) | instid1(VALU_DEP_2)
	v_and_b32_e32 v5, 7, v5
	v_dual_cndmask_b32 v8, v12, v8 :: v_dual_lshlrev_b32 v1, 24, v1
	s_delay_alu instid0(VALU_DEP_2) | instskip(NEXT) | instid1(VALU_DEP_2)
	v_cndmask_b32_e32 v5, v7, v5, vcc_lo
	v_and_b32_e32 v1, 0x80000000, v1
	s_delay_alu instid0(VALU_DEP_3) | instskip(NEXT) | instid1(VALU_DEP_3)
	v_lshl_add_u32 v7, v8, 23, 0x3b800000
	v_lshlrev_b32_e32 v5, 20, v5
	s_delay_alu instid0(VALU_DEP_1) | instskip(NEXT) | instid1(VALU_DEP_1)
	v_or3_b32 v1, v1, v7, v5
	v_cvt_f64_f32_e32 v[8:9], v1
.LBB143_710:
	s_or_b32 exec_lo, exec_lo, s50
.LBB143_711:
	s_mov_b32 s31, -1
.LBB143_712:
	s_mov_b32 s50, 0
.LBB143_713:
	s_delay_alu instid0(SALU_CYCLE_1)
	s_and_b32 vcc_lo, exec_lo, s50
	s_cbranch_vccz .LBB143_748
; %bb.714:
	s_cmp_gt_i32 s30, 22
	s_cbranch_scc0 .LBB143_724
; %bb.715:
	s_cmp_lt_i32 s30, 24
	s_cbranch_scc1 .LBB143_727
; %bb.716:
	s_cmp_gt_i32 s30, 24
	s_cbranch_scc0 .LBB143_728
; %bb.717:
	global_load_u8 v1, v[10:11], off
	s_mov_b32 s31, 0
	s_mov_b32 s50, exec_lo
	s_wait_loadcnt 0x0
	v_cmpx_lt_i16_e32 0x7f, v1
	s_xor_b32 s50, exec_lo, s50
	s_cbranch_execz .LBB143_740
; %bb.718:
	s_mov_b32 s31, -1
	s_mov_b32 s51, exec_lo
	v_cmpx_eq_u16_e32 0x80, v1
; %bb.719:
	s_xor_b32 s31, exec_lo, -1
; %bb.720:
	s_or_b32 exec_lo, exec_lo, s51
	s_delay_alu instid0(SALU_CYCLE_1)
	s_and_b32 s31, s31, exec_lo
	s_or_saveexec_b32 s50, s50
	v_mov_b64_e32 v[8:9], 0x7ff8000020000000
	s_xor_b32 exec_lo, exec_lo, s50
	s_cbranch_execnz .LBB143_741
.LBB143_721:
	s_or_b32 exec_lo, exec_lo, s50
	s_and_saveexec_b32 s50, s31
	s_cbranch_execz .LBB143_723
.LBB143_722:
	v_and_b32_e32 v5, 0xffff, v1
	s_delay_alu instid0(VALU_DEP_1) | instskip(SKIP_1) | instid1(VALU_DEP_2)
	v_and_b32_e32 v7, 3, v5
	v_bfe_u32 v12, v5, 2, 5
	v_clz_i32_u32_e32 v8, v7
	s_delay_alu instid0(VALU_DEP_2) | instskip(NEXT) | instid1(VALU_DEP_2)
	v_cmp_eq_u32_e32 vcc_lo, 0, v12
	v_min_u32_e32 v8, 32, v8
	s_delay_alu instid0(VALU_DEP_1) | instskip(NEXT) | instid1(VALU_DEP_1)
	v_subrev_nc_u32_e32 v9, 29, v8
	v_dual_lshlrev_b32 v5, v9, v5 :: v_dual_sub_nc_u32 v8, 30, v8
	s_delay_alu instid0(VALU_DEP_1) | instskip(NEXT) | instid1(VALU_DEP_2)
	v_and_b32_e32 v5, 3, v5
	v_dual_cndmask_b32 v8, v12, v8 :: v_dual_lshlrev_b32 v1, 24, v1
	s_delay_alu instid0(VALU_DEP_2) | instskip(NEXT) | instid1(VALU_DEP_2)
	v_cndmask_b32_e32 v5, v7, v5, vcc_lo
	v_and_b32_e32 v1, 0x80000000, v1
	s_delay_alu instid0(VALU_DEP_3) | instskip(NEXT) | instid1(VALU_DEP_3)
	v_lshl_add_u32 v7, v8, 23, 0x37800000
	v_lshlrev_b32_e32 v5, 21, v5
	s_delay_alu instid0(VALU_DEP_1) | instskip(NEXT) | instid1(VALU_DEP_1)
	v_or3_b32 v1, v1, v7, v5
	v_cvt_f64_f32_e32 v[8:9], v1
.LBB143_723:
	s_or_b32 exec_lo, exec_lo, s50
	s_mov_b32 s31, 0
	s_branch .LBB143_729
.LBB143_724:
	s_mov_b32 s50, -1
                                        ; implicit-def: $vgpr8_vgpr9
	s_branch .LBB143_735
.LBB143_725:
	s_or_saveexec_b32 s50, s50
	v_mov_b64_e32 v[8:9], 0x7ff8000020000000
	s_xor_b32 exec_lo, exec_lo, s50
	s_cbranch_execz .LBB143_708
.LBB143_726:
	v_cmp_ne_u16_e32 vcc_lo, 0, v1
	v_mov_b64_e32 v[8:9], 0
	s_and_not1_b32 s31, s31, exec_lo
	s_and_b32 s51, vcc_lo, exec_lo
	s_delay_alu instid0(SALU_CYCLE_1)
	s_or_b32 s31, s31, s51
	s_or_b32 exec_lo, exec_lo, s50
	s_and_saveexec_b32 s50, s31
	s_cbranch_execnz .LBB143_709
	s_branch .LBB143_710
.LBB143_727:
	s_mov_b32 s31, -1
                                        ; implicit-def: $vgpr8_vgpr9
	s_branch .LBB143_732
.LBB143_728:
	s_mov_b32 s31, -1
                                        ; implicit-def: $vgpr8_vgpr9
.LBB143_729:
	s_delay_alu instid0(SALU_CYCLE_1)
	s_and_b32 vcc_lo, exec_lo, s31
	s_cbranch_vccz .LBB143_731
; %bb.730:
	global_load_u8 v1, v[10:11], off
	s_wait_loadcnt 0x0
	v_lshlrev_b32_e32 v1, 24, v1
	s_delay_alu instid0(VALU_DEP_1) | instskip(NEXT) | instid1(VALU_DEP_1)
	v_and_b32_e32 v5, 0x7f000000, v1
	v_clz_i32_u32_e32 v7, v5
	v_add_nc_u32_e32 v9, 0x1000000, v5
	v_cmp_ne_u32_e32 vcc_lo, 0, v5
	s_delay_alu instid0(VALU_DEP_3) | instskip(NEXT) | instid1(VALU_DEP_1)
	v_min_u32_e32 v7, 32, v7
	v_sub_nc_u32_e64 v7, v7, 4 clamp
	s_delay_alu instid0(VALU_DEP_1) | instskip(NEXT) | instid1(VALU_DEP_1)
	v_dual_lshlrev_b32 v8, v7, v5 :: v_dual_lshlrev_b32 v7, 23, v7
	v_lshrrev_b32_e32 v8, 4, v8
	s_delay_alu instid0(VALU_DEP_1) | instskip(NEXT) | instid1(VALU_DEP_1)
	v_dual_sub_nc_u32 v7, v8, v7 :: v_dual_ashrrev_i32 v8, 8, v9
	v_add_nc_u32_e32 v7, 0x3c000000, v7
	s_delay_alu instid0(VALU_DEP_1) | instskip(NEXT) | instid1(VALU_DEP_1)
	v_and_or_b32 v7, 0x7f800000, v8, v7
	v_cndmask_b32_e32 v5, 0, v7, vcc_lo
	s_delay_alu instid0(VALU_DEP_1) | instskip(NEXT) | instid1(VALU_DEP_1)
	v_and_or_b32 v1, 0x80000000, v1, v5
	v_cvt_f64_f32_e32 v[8:9], v1
.LBB143_731:
	s_mov_b32 s31, 0
.LBB143_732:
	s_delay_alu instid0(SALU_CYCLE_1)
	s_and_not1_b32 vcc_lo, exec_lo, s31
	s_cbranch_vccnz .LBB143_734
; %bb.733:
	global_load_u8 v1, v[10:11], off
	s_wait_loadcnt 0x0
	v_lshlrev_b32_e32 v5, 25, v1
	v_lshlrev_b16 v1, 8, v1
	s_delay_alu instid0(VALU_DEP_1) | instskip(SKIP_1) | instid1(VALU_DEP_2)
	v_and_or_b32 v8, 0x7f00, v1, 0.5
	v_bfe_i32 v1, v1, 0, 16
	v_dual_add_f32 v8, -0.5, v8 :: v_dual_lshrrev_b32 v7, 4, v5
	v_cmp_gt_u32_e32 vcc_lo, 0x8000000, v5
	s_delay_alu instid0(VALU_DEP_2) | instskip(NEXT) | instid1(VALU_DEP_1)
	v_or_b32_e32 v7, 0x70000000, v7
	v_mul_f32_e32 v7, 0x7800000, v7
	s_delay_alu instid0(VALU_DEP_1) | instskip(NEXT) | instid1(VALU_DEP_1)
	v_cndmask_b32_e32 v5, v7, v8, vcc_lo
	v_and_or_b32 v1, 0x80000000, v1, v5
	s_delay_alu instid0(VALU_DEP_1)
	v_cvt_f64_f32_e32 v[8:9], v1
.LBB143_734:
	s_mov_b32 s50, 0
	s_mov_b32 s31, -1
.LBB143_735:
	s_and_not1_b32 vcc_lo, exec_lo, s50
	s_cbranch_vccnz .LBB143_748
; %bb.736:
	s_cmp_gt_i32 s30, 14
	s_cbranch_scc0 .LBB143_739
; %bb.737:
	s_cmp_eq_u32 s30, 15
	s_cbranch_scc0 .LBB143_742
; %bb.738:
	global_load_u16 v1, v[10:11], off
	s_mov_b32 s31, -1
	s_mov_b32 s29, 0
	s_wait_loadcnt 0x0
	v_lshlrev_b32_e32 v1, 16, v1
	s_delay_alu instid0(VALU_DEP_1)
	v_cvt_f64_f32_e32 v[8:9], v1
	s_branch .LBB143_743
.LBB143_739:
	s_mov_b32 s50, -1
                                        ; implicit-def: $vgpr8_vgpr9
	s_branch .LBB143_744
.LBB143_740:
	s_or_saveexec_b32 s50, s50
	v_mov_b64_e32 v[8:9], 0x7ff8000020000000
	s_xor_b32 exec_lo, exec_lo, s50
	s_cbranch_execz .LBB143_721
.LBB143_741:
	v_cmp_ne_u16_e32 vcc_lo, 0, v1
	v_mov_b64_e32 v[8:9], 0
	s_and_not1_b32 s31, s31, exec_lo
	s_and_b32 s51, vcc_lo, exec_lo
	s_delay_alu instid0(SALU_CYCLE_1)
	s_or_b32 s31, s31, s51
	s_or_b32 exec_lo, exec_lo, s50
	s_and_saveexec_b32 s50, s31
	s_cbranch_execnz .LBB143_722
	s_branch .LBB143_723
.LBB143_742:
	s_mov_b32 s29, -1
                                        ; implicit-def: $vgpr8_vgpr9
.LBB143_743:
	s_mov_b32 s50, 0
.LBB143_744:
	s_delay_alu instid0(SALU_CYCLE_1)
	s_and_b32 vcc_lo, exec_lo, s50
	s_cbranch_vccz .LBB143_748
; %bb.745:
	s_cmp_eq_u32 s30, 11
	s_cbranch_scc0 .LBB143_747
; %bb.746:
	global_load_u8 v1, v[10:11], off
	v_mov_b32_e32 v8, 0
	s_mov_b32 s29, 0
	s_mov_b32 s31, -1
	s_wait_loadcnt 0x0
	v_cmp_ne_u16_e32 vcc_lo, 0, v1
	v_cndmask_b32_e64 v9, 0, 0x3ff00000, vcc_lo
	s_branch .LBB143_748
.LBB143_747:
	s_mov_b32 s29, -1
                                        ; implicit-def: $vgpr8_vgpr9
.LBB143_748:
	s_mov_b32 s30, 0
.LBB143_749:
	s_delay_alu instid0(SALU_CYCLE_1)
	s_and_b32 vcc_lo, exec_lo, s30
	s_cbranch_vccz .LBB143_798
; %bb.750:
	s_and_b32 s0, 0xffff, s0
	s_delay_alu instid0(SALU_CYCLE_1)
	s_cmp_lt_i32 s0, 5
	s_cbranch_scc1 .LBB143_755
; %bb.751:
	s_cmp_lt_i32 s0, 8
	s_cbranch_scc1 .LBB143_756
; %bb.752:
	;; [unrolled: 3-line block ×3, first 2 shown]
	s_cmp_gt_i32 s0, 9
	s_cbranch_scc0 .LBB143_758
; %bb.754:
	global_load_b64 v[8:9], v[10:11], off
	s_mov_b32 s30, 0
	s_branch .LBB143_759
.LBB143_755:
	s_mov_b32 s30, -1
                                        ; implicit-def: $vgpr8_vgpr9
	s_branch .LBB143_777
.LBB143_756:
	s_mov_b32 s30, -1
                                        ; implicit-def: $vgpr8_vgpr9
	s_branch .LBB143_765
.LBB143_757:
	s_mov_b32 s30, -1
                                        ; implicit-def: $vgpr8_vgpr9
	s_branch .LBB143_762
.LBB143_758:
	s_mov_b32 s30, -1
                                        ; implicit-def: $vgpr8_vgpr9
.LBB143_759:
	s_delay_alu instid0(SALU_CYCLE_1)
	s_and_not1_b32 vcc_lo, exec_lo, s30
	s_cbranch_vccnz .LBB143_761
; %bb.760:
	global_load_b32 v1, v[10:11], off
	s_wait_loadcnt 0x0
	v_cvt_f64_f32_e32 v[8:9], v1
.LBB143_761:
	s_mov_b32 s30, 0
.LBB143_762:
	s_delay_alu instid0(SALU_CYCLE_1)
	s_and_not1_b32 vcc_lo, exec_lo, s30
	s_cbranch_vccnz .LBB143_764
; %bb.763:
	global_load_b32 v1, v[10:11], off
	s_wait_loadcnt 0x0
	v_cvt_f32_f16_e32 v1, v1
	s_delay_alu instid0(VALU_DEP_1)
	v_cvt_f64_f32_e32 v[8:9], v1
.LBB143_764:
	s_mov_b32 s30, 0
.LBB143_765:
	s_delay_alu instid0(SALU_CYCLE_1)
	s_and_not1_b32 vcc_lo, exec_lo, s30
	s_cbranch_vccnz .LBB143_776
; %bb.766:
	s_cmp_lt_i32 s0, 6
	s_cbranch_scc1 .LBB143_769
; %bb.767:
	s_cmp_gt_i32 s0, 6
	s_cbranch_scc0 .LBB143_770
; %bb.768:
	s_wait_loadcnt 0x0
	global_load_b64 v[8:9], v[10:11], off
	s_mov_b32 s30, 0
	s_branch .LBB143_771
.LBB143_769:
	s_mov_b32 s30, -1
                                        ; implicit-def: $vgpr8_vgpr9
	s_branch .LBB143_774
.LBB143_770:
	s_mov_b32 s30, -1
                                        ; implicit-def: $vgpr8_vgpr9
.LBB143_771:
	s_delay_alu instid0(SALU_CYCLE_1)
	s_and_not1_b32 vcc_lo, exec_lo, s30
	s_cbranch_vccnz .LBB143_773
; %bb.772:
	global_load_b32 v1, v[10:11], off
	s_wait_loadcnt 0x0
	v_cvt_f64_f32_e32 v[8:9], v1
.LBB143_773:
	s_mov_b32 s30, 0
.LBB143_774:
	s_delay_alu instid0(SALU_CYCLE_1)
	s_and_not1_b32 vcc_lo, exec_lo, s30
	s_cbranch_vccnz .LBB143_776
; %bb.775:
	global_load_u16 v1, v[10:11], off
	s_wait_loadcnt 0x0
	v_cvt_f32_f16_e32 v1, v1
	s_delay_alu instid0(VALU_DEP_1)
	v_cvt_f64_f32_e32 v[8:9], v1
.LBB143_776:
	s_mov_b32 s30, 0
.LBB143_777:
	s_delay_alu instid0(SALU_CYCLE_1)
	s_and_not1_b32 vcc_lo, exec_lo, s30
	s_cbranch_vccnz .LBB143_797
; %bb.778:
	s_cmp_lt_i32 s0, 2
	s_cbranch_scc1 .LBB143_782
; %bb.779:
	s_cmp_lt_i32 s0, 3
	s_cbranch_scc1 .LBB143_783
; %bb.780:
	s_cmp_gt_i32 s0, 3
	s_cbranch_scc0 .LBB143_784
; %bb.781:
	s_wait_loadcnt 0x0
	global_load_b64 v[8:9], v[10:11], off
	s_mov_b32 s30, 0
	s_wait_loadcnt 0x0
	v_cvt_f64_i32_e32 v[12:13], v9
	v_cvt_f64_u32_e32 v[8:9], v8
	s_delay_alu instid0(VALU_DEP_2) | instskip(NEXT) | instid1(VALU_DEP_1)
	v_ldexp_f64 v[12:13], v[12:13], 32
	v_add_f64_e32 v[8:9], v[12:13], v[8:9]
	s_branch .LBB143_785
.LBB143_782:
	s_mov_b32 s30, -1
                                        ; implicit-def: $vgpr8_vgpr9
	s_branch .LBB143_791
.LBB143_783:
	s_mov_b32 s30, -1
                                        ; implicit-def: $vgpr8_vgpr9
	s_branch .LBB143_788
.LBB143_784:
	s_mov_b32 s30, -1
                                        ; implicit-def: $vgpr8_vgpr9
.LBB143_785:
	s_delay_alu instid0(SALU_CYCLE_1)
	s_and_not1_b32 vcc_lo, exec_lo, s30
	s_cbranch_vccnz .LBB143_787
; %bb.786:
	global_load_b32 v1, v[10:11], off
	s_wait_loadcnt 0x0
	v_cvt_f64_i32_e32 v[8:9], v1
.LBB143_787:
	s_mov_b32 s30, 0
.LBB143_788:
	s_delay_alu instid0(SALU_CYCLE_1)
	s_and_not1_b32 vcc_lo, exec_lo, s30
	s_cbranch_vccnz .LBB143_790
; %bb.789:
	global_load_i16 v1, v[10:11], off
	s_wait_loadcnt 0x0
	v_cvt_f64_i32_e32 v[8:9], v1
.LBB143_790:
	s_mov_b32 s30, 0
.LBB143_791:
	s_delay_alu instid0(SALU_CYCLE_1)
	s_and_not1_b32 vcc_lo, exec_lo, s30
	s_cbranch_vccnz .LBB143_797
; %bb.792:
	s_cmp_gt_i32 s0, 0
	s_mov_b32 s0, 0
	s_cbranch_scc0 .LBB143_794
; %bb.793:
	global_load_i8 v1, v[10:11], off
	s_wait_loadcnt 0x0
	v_cvt_f64_i32_e32 v[8:9], v1
	s_branch .LBB143_795
.LBB143_794:
	s_mov_b32 s0, -1
                                        ; implicit-def: $vgpr8_vgpr9
.LBB143_795:
	s_delay_alu instid0(SALU_CYCLE_1)
	s_and_not1_b32 vcc_lo, exec_lo, s0
	s_cbranch_vccnz .LBB143_797
; %bb.796:
	global_load_u8 v1, v[10:11], off
	s_wait_loadcnt 0x0
	v_cvt_f64_u32_e32 v[8:9], v1
.LBB143_797:
	s_mov_b32 s31, -1
.LBB143_798:
	s_delay_alu instid0(SALU_CYCLE_1)
	s_and_not1_b32 vcc_lo, exec_lo, s31
	s_cbranch_vccnz .LBB143_806
; %bb.799:
	v_mov_b32_e32 v7, 0
	s_and_b32 s0, 0xffff, s21
	s_delay_alu instid0(SALU_CYCLE_1) | instskip(NEXT) | instid1(VALU_DEP_1)
	s_cmp_lt_i32 s0, 11
	v_add_nc_u64_e32 v[6:7], s[10:11], v[6:7]
	s_cbranch_scc1 .LBB143_807
; %bb.800:
	s_cmp_gt_i32 s0, 25
	s_cbranch_scc0 .LBB143_808
; %bb.801:
	s_cmp_gt_i32 s0, 28
	s_cbranch_scc0 .LBB143_809
	;; [unrolled: 3-line block ×4, first 2 shown]
; %bb.804:
	s_cmp_eq_u32 s0, 46
	s_mov_b32 s50, 0
	s_cbranch_scc0 .LBB143_814
; %bb.805:
	global_load_b32 v1, v[6:7], off
	s_mov_b32 s31, -1
	s_mov_b32 s30, 0
	s_wait_loadcnt 0x0
	v_lshlrev_b32_e32 v1, 16, v1
	s_wait_xcnt 0x1
	s_delay_alu instid0(VALU_DEP_1)
	v_cvt_f64_f32_e32 v[10:11], v1
	s_branch .LBB143_816
.LBB143_806:
	s_mov_b32 s31, 0
	s_mov_b32 s0, s45
	;; [unrolled: 1-line block ×3, first 2 shown]
	s_branch .LBB143_1055
.LBB143_807:
	s_mov_b32 s50, -1
	s_mov_b32 s31, 0
	s_mov_b32 s30, s46
                                        ; implicit-def: $vgpr10_vgpr11
	s_branch .LBB143_881
.LBB143_808:
	s_mov_b32 s50, -1
	s_mov_b32 s31, 0
	s_mov_b32 s30, s46
                                        ; implicit-def: $vgpr10_vgpr11
	s_branch .LBB143_845
.LBB143_809:
	s_mov_b32 s50, -1
	s_mov_b32 s31, 0
	s_mov_b32 s30, s46
                                        ; implicit-def: $vgpr10_vgpr11
	s_branch .LBB143_826
.LBB143_810:
	s_mov_b32 s50, -1
	s_mov_b32 s31, 0
	s_mov_b32 s30, s46
                                        ; implicit-def: $vgpr10_vgpr11
	s_branch .LBB143_821
.LBB143_811:
	s_mov_b32 s50, -1
	s_mov_b32 s31, 0
	s_mov_b32 s30, s46
	s_branch .LBB143_815
.LBB143_812:
	s_and_not1_saveexec_b32 s48, s48
	s_cbranch_execz .LBB143_445
.LBB143_813:
	v_add_f32_e64 v3, 0x42800000, |v2|
	s_and_not1_b32 s47, s47, exec_lo
	s_delay_alu instid0(VALU_DEP_1) | instskip(NEXT) | instid1(VALU_DEP_1)
	v_and_b32_e32 v3, 0xff, v3
	v_cmp_ne_u32_e32 vcc_lo, 0, v3
	s_and_b32 s50, vcc_lo, exec_lo
	s_delay_alu instid0(SALU_CYCLE_1)
	s_or_b32 s47, s47, s50
	s_or_b32 exec_lo, exec_lo, s48
	v_mov_b32_e32 v5, 0
	s_and_saveexec_b32 s48, s47
	s_cbranch_execnz .LBB143_446
	s_branch .LBB143_447
.LBB143_814:
	s_mov_b32 s30, -1
	s_mov_b32 s31, 0
.LBB143_815:
                                        ; implicit-def: $vgpr10_vgpr11
.LBB143_816:
	s_and_b32 vcc_lo, exec_lo, s50
	s_cbranch_vccz .LBB143_820
; %bb.817:
	s_cmp_eq_u32 s0, 44
	s_cbranch_scc0 .LBB143_819
; %bb.818:
	global_load_u8 v1, v[6:7], off
	s_mov_b32 s30, 0
	s_mov_b32 s31, -1
	s_wait_loadcnt 0x0
	v_cmp_ne_u32_e32 vcc_lo, 0xff, v1
	v_lshlrev_b32_e32 v5, 23, v1
	s_wait_xcnt 0x1
	s_delay_alu instid0(VALU_DEP_1) | instskip(NEXT) | instid1(VALU_DEP_1)
	v_cvt_f64_f32_e32 v[10:11], v5
	v_cndmask_b32_e32 v5, 0x20000000, v10, vcc_lo
	s_delay_alu instid0(VALU_DEP_2) | instskip(SKIP_1) | instid1(VALU_DEP_2)
	v_cndmask_b32_e32 v10, 0x7ff80000, v11, vcc_lo
	v_cmp_ne_u32_e32 vcc_lo, 0, v1
	v_cndmask_b32_e32 v11, 0x38000000, v10, vcc_lo
	s_delay_alu instid0(VALU_DEP_4)
	v_cndmask_b32_e32 v10, 0, v5, vcc_lo
	s_branch .LBB143_820
.LBB143_819:
	s_mov_b32 s30, -1
                                        ; implicit-def: $vgpr10_vgpr11
.LBB143_820:
	s_mov_b32 s50, 0
.LBB143_821:
	s_delay_alu instid0(SALU_CYCLE_1)
	s_and_b32 vcc_lo, exec_lo, s50
	s_cbranch_vccz .LBB143_825
; %bb.822:
	s_cmp_eq_u32 s0, 29
	s_cbranch_scc0 .LBB143_824
; %bb.823:
	global_load_b64 v[10:11], v[6:7], off
	s_mov_b32 s31, -1
	s_mov_b32 s30, 0
	s_mov_b32 s50, 0
	s_wait_loadcnt 0x0
	v_cvt_f64_u32_e32 v[12:13], v11
	v_cvt_f64_u32_e32 v[10:11], v10
	s_delay_alu instid0(VALU_DEP_2) | instskip(NEXT) | instid1(VALU_DEP_1)
	v_ldexp_f64 v[12:13], v[12:13], 32
	v_add_f64_e32 v[10:11], v[12:13], v[10:11]
	s_branch .LBB143_826
.LBB143_824:
	s_mov_b32 s30, -1
                                        ; implicit-def: $vgpr10_vgpr11
.LBB143_825:
	s_mov_b32 s50, 0
.LBB143_826:
	s_delay_alu instid0(SALU_CYCLE_1)
	s_and_b32 vcc_lo, exec_lo, s50
	s_cbranch_vccz .LBB143_844
; %bb.827:
	s_cmp_lt_i32 s0, 27
	s_cbranch_scc1 .LBB143_830
; %bb.828:
	s_cmp_gt_i32 s0, 27
	s_cbranch_scc0 .LBB143_831
; %bb.829:
	global_load_b32 v1, v[6:7], off
	s_mov_b32 s31, 0
	s_wait_loadcnt 0x0
	s_wait_xcnt 0x1
	v_cvt_f64_u32_e32 v[10:11], v1
	s_branch .LBB143_832
.LBB143_830:
	s_mov_b32 s31, -1
                                        ; implicit-def: $vgpr10_vgpr11
	s_branch .LBB143_835
.LBB143_831:
	s_mov_b32 s31, -1
                                        ; implicit-def: $vgpr10_vgpr11
.LBB143_832:
	s_delay_alu instid0(SALU_CYCLE_1)
	s_and_not1_b32 vcc_lo, exec_lo, s31
	s_cbranch_vccnz .LBB143_834
; %bb.833:
	global_load_u16 v1, v[6:7], off
	s_wait_loadcnt 0x0
	s_wait_xcnt 0x1
	v_cvt_f64_u32_e32 v[10:11], v1
.LBB143_834:
	s_mov_b32 s31, 0
.LBB143_835:
	s_delay_alu instid0(SALU_CYCLE_1)
	s_and_not1_b32 vcc_lo, exec_lo, s31
	s_cbranch_vccnz .LBB143_843
; %bb.836:
	global_load_u8 v1, v[6:7], off
	s_mov_b32 s31, 0
	s_mov_b32 s50, exec_lo
	s_wait_loadcnt 0x0
	v_cmpx_lt_i16_e32 0x7f, v1
	s_xor_b32 s50, exec_lo, s50
	s_cbranch_execz .LBB143_857
; %bb.837:
	s_mov_b32 s31, -1
	s_mov_b32 s51, exec_lo
	v_cmpx_eq_u16_e32 0x80, v1
; %bb.838:
	s_xor_b32 s31, exec_lo, -1
; %bb.839:
	s_or_b32 exec_lo, exec_lo, s51
	s_delay_alu instid0(SALU_CYCLE_1)
	s_and_b32 s31, s31, exec_lo
	s_or_saveexec_b32 s50, s50
	v_mov_b64_e32 v[10:11], 0x7ff8000020000000
	s_xor_b32 exec_lo, exec_lo, s50
	s_cbranch_execnz .LBB143_858
.LBB143_840:
	s_or_b32 exec_lo, exec_lo, s50
	s_and_saveexec_b32 s50, s31
	s_cbranch_execz .LBB143_842
.LBB143_841:
	v_and_b32_e32 v5, 0xffff, v1
	s_delay_alu instid0(VALU_DEP_1) | instskip(SKIP_1) | instid1(VALU_DEP_2)
	v_and_b32_e32 v10, 7, v5
	v_bfe_u32 v13, v5, 3, 4
	v_clz_i32_u32_e32 v11, v10
	s_delay_alu instid0(VALU_DEP_2) | instskip(NEXT) | instid1(VALU_DEP_2)
	v_cmp_eq_u32_e32 vcc_lo, 0, v13
	v_min_u32_e32 v11, 32, v11
	s_delay_alu instid0(VALU_DEP_1) | instskip(NEXT) | instid1(VALU_DEP_1)
	v_subrev_nc_u32_e32 v12, 28, v11
	v_dual_lshlrev_b32 v5, v12, v5 :: v_dual_sub_nc_u32 v11, 29, v11
	s_delay_alu instid0(VALU_DEP_1) | instskip(NEXT) | instid1(VALU_DEP_2)
	v_and_b32_e32 v5, 7, v5
	v_dual_lshlrev_b32 v1, 24, v1 :: v_dual_cndmask_b32 v11, v13, v11, vcc_lo
	s_delay_alu instid0(VALU_DEP_2) | instskip(NEXT) | instid1(VALU_DEP_2)
	v_cndmask_b32_e32 v5, v10, v5, vcc_lo
	v_and_b32_e32 v1, 0x80000000, v1
	s_delay_alu instid0(VALU_DEP_3) | instskip(NEXT) | instid1(VALU_DEP_3)
	v_lshl_add_u32 v10, v11, 23, 0x3b800000
	v_lshlrev_b32_e32 v5, 20, v5
	s_delay_alu instid0(VALU_DEP_1) | instskip(NEXT) | instid1(VALU_DEP_1)
	v_or3_b32 v1, v1, v10, v5
	v_cvt_f64_f32_e32 v[10:11], v1
.LBB143_842:
	s_or_b32 exec_lo, exec_lo, s50
.LBB143_843:
	s_mov_b32 s31, -1
.LBB143_844:
	s_mov_b32 s50, 0
.LBB143_845:
	s_delay_alu instid0(SALU_CYCLE_1)
	s_and_b32 vcc_lo, exec_lo, s50
	s_cbranch_vccz .LBB143_880
; %bb.846:
	s_cmp_gt_i32 s0, 22
	s_cbranch_scc0 .LBB143_856
; %bb.847:
	s_cmp_lt_i32 s0, 24
	s_cbranch_scc1 .LBB143_859
; %bb.848:
	s_cmp_gt_i32 s0, 24
	s_cbranch_scc0 .LBB143_860
; %bb.849:
	global_load_u8 v1, v[6:7], off
	s_mov_b32 s31, 0
	s_mov_b32 s50, exec_lo
	s_wait_loadcnt 0x0
	v_cmpx_lt_i16_e32 0x7f, v1
	s_xor_b32 s50, exec_lo, s50
	s_cbranch_execz .LBB143_872
; %bb.850:
	s_mov_b32 s31, -1
	s_mov_b32 s51, exec_lo
	v_cmpx_eq_u16_e32 0x80, v1
; %bb.851:
	s_xor_b32 s31, exec_lo, -1
; %bb.852:
	s_or_b32 exec_lo, exec_lo, s51
	s_delay_alu instid0(SALU_CYCLE_1)
	s_and_b32 s31, s31, exec_lo
	s_or_saveexec_b32 s50, s50
	v_mov_b64_e32 v[10:11], 0x7ff8000020000000
	s_xor_b32 exec_lo, exec_lo, s50
	s_cbranch_execnz .LBB143_873
.LBB143_853:
	s_or_b32 exec_lo, exec_lo, s50
	s_and_saveexec_b32 s50, s31
	s_cbranch_execz .LBB143_855
.LBB143_854:
	v_and_b32_e32 v5, 0xffff, v1
	s_delay_alu instid0(VALU_DEP_1) | instskip(SKIP_1) | instid1(VALU_DEP_2)
	v_and_b32_e32 v10, 3, v5
	v_bfe_u32 v13, v5, 2, 5
	v_clz_i32_u32_e32 v11, v10
	s_delay_alu instid0(VALU_DEP_2) | instskip(NEXT) | instid1(VALU_DEP_2)
	v_cmp_eq_u32_e32 vcc_lo, 0, v13
	v_min_u32_e32 v11, 32, v11
	s_delay_alu instid0(VALU_DEP_1) | instskip(NEXT) | instid1(VALU_DEP_1)
	v_subrev_nc_u32_e32 v12, 29, v11
	v_dual_lshlrev_b32 v5, v12, v5 :: v_dual_sub_nc_u32 v11, 30, v11
	s_delay_alu instid0(VALU_DEP_1) | instskip(NEXT) | instid1(VALU_DEP_2)
	v_and_b32_e32 v5, 3, v5
	v_dual_lshlrev_b32 v1, 24, v1 :: v_dual_cndmask_b32 v11, v13, v11, vcc_lo
	s_delay_alu instid0(VALU_DEP_2) | instskip(NEXT) | instid1(VALU_DEP_2)
	v_cndmask_b32_e32 v5, v10, v5, vcc_lo
	v_and_b32_e32 v1, 0x80000000, v1
	s_delay_alu instid0(VALU_DEP_3) | instskip(NEXT) | instid1(VALU_DEP_3)
	v_lshl_add_u32 v10, v11, 23, 0x37800000
	v_lshlrev_b32_e32 v5, 21, v5
	s_delay_alu instid0(VALU_DEP_1) | instskip(NEXT) | instid1(VALU_DEP_1)
	v_or3_b32 v1, v1, v10, v5
	v_cvt_f64_f32_e32 v[10:11], v1
.LBB143_855:
	s_or_b32 exec_lo, exec_lo, s50
	s_mov_b32 s31, 0
	s_branch .LBB143_861
.LBB143_856:
	s_mov_b32 s50, -1
                                        ; implicit-def: $vgpr10_vgpr11
	s_branch .LBB143_867
.LBB143_857:
	s_or_saveexec_b32 s50, s50
	v_mov_b64_e32 v[10:11], 0x7ff8000020000000
	s_xor_b32 exec_lo, exec_lo, s50
	s_cbranch_execz .LBB143_840
.LBB143_858:
	v_cmp_ne_u16_e32 vcc_lo, 0, v1
	v_mov_b64_e32 v[10:11], 0
	s_and_not1_b32 s31, s31, exec_lo
	s_and_b32 s51, vcc_lo, exec_lo
	s_delay_alu instid0(SALU_CYCLE_1)
	s_or_b32 s31, s31, s51
	s_or_b32 exec_lo, exec_lo, s50
	s_and_saveexec_b32 s50, s31
	s_cbranch_execnz .LBB143_841
	s_branch .LBB143_842
.LBB143_859:
	s_mov_b32 s31, -1
                                        ; implicit-def: $vgpr10_vgpr11
	s_branch .LBB143_864
.LBB143_860:
	s_mov_b32 s31, -1
                                        ; implicit-def: $vgpr10_vgpr11
.LBB143_861:
	s_delay_alu instid0(SALU_CYCLE_1)
	s_and_b32 vcc_lo, exec_lo, s31
	s_cbranch_vccz .LBB143_863
; %bb.862:
	global_load_u8 v1, v[6:7], off
	s_wait_loadcnt 0x0
	v_lshlrev_b32_e32 v1, 24, v1
	s_delay_alu instid0(VALU_DEP_1) | instskip(SKIP_1) | instid1(VALU_DEP_1)
	v_and_b32_e32 v5, 0x7f000000, v1
	s_wait_xcnt 0x1
	v_clz_i32_u32_e32 v10, v5
	v_cmp_ne_u32_e32 vcc_lo, 0, v5
	v_add_nc_u32_e32 v12, 0x1000000, v5
	s_delay_alu instid0(VALU_DEP_3) | instskip(NEXT) | instid1(VALU_DEP_1)
	v_min_u32_e32 v10, 32, v10
	v_sub_nc_u32_e64 v10, v10, 4 clamp
	s_delay_alu instid0(VALU_DEP_1) | instskip(NEXT) | instid1(VALU_DEP_1)
	v_dual_lshlrev_b32 v11, v10, v5 :: v_dual_lshlrev_b32 v10, 23, v10
	v_lshrrev_b32_e32 v11, 4, v11
	s_delay_alu instid0(VALU_DEP_1) | instskip(NEXT) | instid1(VALU_DEP_1)
	v_dual_sub_nc_u32 v10, v11, v10 :: v_dual_ashrrev_i32 v11, 8, v12
	v_add_nc_u32_e32 v10, 0x3c000000, v10
	s_delay_alu instid0(VALU_DEP_1) | instskip(NEXT) | instid1(VALU_DEP_1)
	v_and_or_b32 v10, 0x7f800000, v11, v10
	v_cndmask_b32_e32 v5, 0, v10, vcc_lo
	s_delay_alu instid0(VALU_DEP_1) | instskip(NEXT) | instid1(VALU_DEP_1)
	v_and_or_b32 v1, 0x80000000, v1, v5
	v_cvt_f64_f32_e32 v[10:11], v1
.LBB143_863:
	s_mov_b32 s31, 0
.LBB143_864:
	s_delay_alu instid0(SALU_CYCLE_1)
	s_and_not1_b32 vcc_lo, exec_lo, s31
	s_cbranch_vccnz .LBB143_866
; %bb.865:
	global_load_u8 v1, v[6:7], off
	s_wait_loadcnt 0x0
	v_lshlrev_b32_e32 v5, 25, v1
	v_lshlrev_b16 v1, 8, v1
	s_wait_xcnt 0x1
	s_delay_alu instid0(VALU_DEP_1) | instskip(SKIP_1) | instid1(VALU_DEP_2)
	v_and_or_b32 v11, 0x7f00, v1, 0.5
	v_bfe_i32 v1, v1, 0, 16
	v_dual_add_f32 v11, -0.5, v11 :: v_dual_lshrrev_b32 v10, 4, v5
	v_cmp_gt_u32_e32 vcc_lo, 0x8000000, v5
	s_delay_alu instid0(VALU_DEP_2) | instskip(NEXT) | instid1(VALU_DEP_1)
	v_or_b32_e32 v10, 0x70000000, v10
	v_mul_f32_e32 v10, 0x7800000, v10
	s_delay_alu instid0(VALU_DEP_1) | instskip(NEXT) | instid1(VALU_DEP_1)
	v_cndmask_b32_e32 v5, v10, v11, vcc_lo
	v_and_or_b32 v1, 0x80000000, v1, v5
	s_delay_alu instid0(VALU_DEP_1)
	v_cvt_f64_f32_e32 v[10:11], v1
.LBB143_866:
	s_mov_b32 s50, 0
	s_mov_b32 s31, -1
.LBB143_867:
	s_and_not1_b32 vcc_lo, exec_lo, s50
	s_cbranch_vccnz .LBB143_880
; %bb.868:
	s_cmp_gt_i32 s0, 14
	s_cbranch_scc0 .LBB143_871
; %bb.869:
	s_cmp_eq_u32 s0, 15
	s_cbranch_scc0 .LBB143_874
; %bb.870:
	global_load_u16 v1, v[6:7], off
	s_mov_b32 s31, -1
	s_mov_b32 s30, 0
	s_wait_loadcnt 0x0
	v_lshlrev_b32_e32 v1, 16, v1
	s_wait_xcnt 0x1
	s_delay_alu instid0(VALU_DEP_1)
	v_cvt_f64_f32_e32 v[10:11], v1
	s_branch .LBB143_875
.LBB143_871:
	s_mov_b32 s50, -1
                                        ; implicit-def: $vgpr10_vgpr11
	s_branch .LBB143_876
.LBB143_872:
	s_or_saveexec_b32 s50, s50
	v_mov_b64_e32 v[10:11], 0x7ff8000020000000
	s_xor_b32 exec_lo, exec_lo, s50
	s_cbranch_execz .LBB143_853
.LBB143_873:
	v_cmp_ne_u16_e32 vcc_lo, 0, v1
	v_mov_b64_e32 v[10:11], 0
	s_and_not1_b32 s31, s31, exec_lo
	s_and_b32 s51, vcc_lo, exec_lo
	s_delay_alu instid0(SALU_CYCLE_1)
	s_or_b32 s31, s31, s51
	s_or_b32 exec_lo, exec_lo, s50
	s_and_saveexec_b32 s50, s31
	s_cbranch_execnz .LBB143_854
	s_branch .LBB143_855
.LBB143_874:
	s_mov_b32 s30, -1
                                        ; implicit-def: $vgpr10_vgpr11
.LBB143_875:
	s_mov_b32 s50, 0
.LBB143_876:
	s_delay_alu instid0(SALU_CYCLE_1)
	s_and_b32 vcc_lo, exec_lo, s50
	s_cbranch_vccz .LBB143_880
; %bb.877:
	s_cmp_eq_u32 s0, 11
	s_cbranch_scc0 .LBB143_879
; %bb.878:
	global_load_u8 v1, v[6:7], off
	s_wait_xcnt 0x1
	v_mov_b32_e32 v10, 0
	s_mov_b32 s30, 0
	s_mov_b32 s31, -1
	s_wait_loadcnt 0x0
	v_cmp_ne_u16_e32 vcc_lo, 0, v1
	v_cndmask_b32_e64 v11, 0, 0x3ff00000, vcc_lo
	s_branch .LBB143_880
.LBB143_879:
	s_mov_b32 s30, -1
                                        ; implicit-def: $vgpr10_vgpr11
.LBB143_880:
	s_mov_b32 s50, 0
.LBB143_881:
	s_delay_alu instid0(SALU_CYCLE_1)
	s_and_b32 vcc_lo, exec_lo, s50
	s_cbranch_vccz .LBB143_930
; %bb.882:
	s_cmp_lt_i32 s0, 5
	s_cbranch_scc1 .LBB143_887
; %bb.883:
	s_cmp_lt_i32 s0, 8
	s_cbranch_scc1 .LBB143_888
	;; [unrolled: 3-line block ×3, first 2 shown]
; %bb.885:
	s_cmp_gt_i32 s0, 9
	s_cbranch_scc0 .LBB143_890
; %bb.886:
	global_load_b64 v[10:11], v[6:7], off
	s_mov_b32 s31, 0
	s_branch .LBB143_891
.LBB143_887:
	s_mov_b32 s31, -1
                                        ; implicit-def: $vgpr10_vgpr11
	s_branch .LBB143_909
.LBB143_888:
	s_mov_b32 s31, -1
                                        ; implicit-def: $vgpr10_vgpr11
	s_branch .LBB143_897
.LBB143_889:
	s_mov_b32 s31, -1
                                        ; implicit-def: $vgpr10_vgpr11
	s_branch .LBB143_894
.LBB143_890:
	s_mov_b32 s31, -1
                                        ; implicit-def: $vgpr10_vgpr11
.LBB143_891:
	s_delay_alu instid0(SALU_CYCLE_1)
	s_and_not1_b32 vcc_lo, exec_lo, s31
	s_cbranch_vccnz .LBB143_893
; %bb.892:
	global_load_b32 v1, v[6:7], off
	s_wait_loadcnt 0x0
	s_wait_xcnt 0x1
	v_cvt_f64_f32_e32 v[10:11], v1
.LBB143_893:
	s_mov_b32 s31, 0
.LBB143_894:
	s_delay_alu instid0(SALU_CYCLE_1)
	s_and_not1_b32 vcc_lo, exec_lo, s31
	s_cbranch_vccnz .LBB143_896
; %bb.895:
	global_load_b32 v1, v[6:7], off
	s_wait_loadcnt 0x0
	v_cvt_f32_f16_e32 v1, v1
	s_wait_xcnt 0x1
	s_delay_alu instid0(VALU_DEP_1)
	v_cvt_f64_f32_e32 v[10:11], v1
.LBB143_896:
	s_mov_b32 s31, 0
.LBB143_897:
	s_delay_alu instid0(SALU_CYCLE_1)
	s_and_not1_b32 vcc_lo, exec_lo, s31
	s_cbranch_vccnz .LBB143_908
; %bb.898:
	s_cmp_lt_i32 s0, 6
	s_cbranch_scc1 .LBB143_901
; %bb.899:
	s_cmp_gt_i32 s0, 6
	s_cbranch_scc0 .LBB143_902
; %bb.900:
	s_wait_loadcnt 0x0
	global_load_b64 v[10:11], v[6:7], off
	s_mov_b32 s31, 0
	s_branch .LBB143_903
.LBB143_901:
	s_mov_b32 s31, -1
                                        ; implicit-def: $vgpr10_vgpr11
	s_branch .LBB143_906
.LBB143_902:
	s_mov_b32 s31, -1
                                        ; implicit-def: $vgpr10_vgpr11
.LBB143_903:
	s_delay_alu instid0(SALU_CYCLE_1)
	s_and_not1_b32 vcc_lo, exec_lo, s31
	s_cbranch_vccnz .LBB143_905
; %bb.904:
	global_load_b32 v1, v[6:7], off
	s_wait_loadcnt 0x0
	s_wait_xcnt 0x1
	v_cvt_f64_f32_e32 v[10:11], v1
.LBB143_905:
	s_mov_b32 s31, 0
.LBB143_906:
	s_delay_alu instid0(SALU_CYCLE_1)
	s_and_not1_b32 vcc_lo, exec_lo, s31
	s_cbranch_vccnz .LBB143_908
; %bb.907:
	global_load_u16 v1, v[6:7], off
	s_wait_loadcnt 0x0
	v_cvt_f32_f16_e32 v1, v1
	s_wait_xcnt 0x1
	s_delay_alu instid0(VALU_DEP_1)
	v_cvt_f64_f32_e32 v[10:11], v1
.LBB143_908:
	s_mov_b32 s31, 0
.LBB143_909:
	s_delay_alu instid0(SALU_CYCLE_1)
	s_and_not1_b32 vcc_lo, exec_lo, s31
	s_cbranch_vccnz .LBB143_929
; %bb.910:
	s_cmp_lt_i32 s0, 2
	s_cbranch_scc1 .LBB143_914
; %bb.911:
	s_cmp_lt_i32 s0, 3
	s_cbranch_scc1 .LBB143_915
; %bb.912:
	s_cmp_gt_i32 s0, 3
	s_cbranch_scc0 .LBB143_916
; %bb.913:
	s_wait_loadcnt 0x0
	global_load_b64 v[10:11], v[6:7], off
	s_mov_b32 s31, 0
	s_wait_loadcnt 0x0
	v_cvt_f64_i32_e32 v[12:13], v11
	v_cvt_f64_u32_e32 v[10:11], v10
	s_delay_alu instid0(VALU_DEP_2) | instskip(NEXT) | instid1(VALU_DEP_1)
	v_ldexp_f64 v[12:13], v[12:13], 32
	v_add_f64_e32 v[10:11], v[12:13], v[10:11]
	s_branch .LBB143_917
.LBB143_914:
	s_mov_b32 s31, -1
                                        ; implicit-def: $vgpr10_vgpr11
	s_branch .LBB143_923
.LBB143_915:
	s_mov_b32 s31, -1
                                        ; implicit-def: $vgpr10_vgpr11
	s_branch .LBB143_920
.LBB143_916:
	s_mov_b32 s31, -1
                                        ; implicit-def: $vgpr10_vgpr11
.LBB143_917:
	s_delay_alu instid0(SALU_CYCLE_1)
	s_and_not1_b32 vcc_lo, exec_lo, s31
	s_cbranch_vccnz .LBB143_919
; %bb.918:
	global_load_b32 v1, v[6:7], off
	s_wait_loadcnt 0x0
	s_wait_xcnt 0x1
	v_cvt_f64_i32_e32 v[10:11], v1
.LBB143_919:
	s_mov_b32 s31, 0
.LBB143_920:
	s_delay_alu instid0(SALU_CYCLE_1)
	s_and_not1_b32 vcc_lo, exec_lo, s31
	s_cbranch_vccnz .LBB143_922
; %bb.921:
	global_load_i16 v1, v[6:7], off
	s_wait_loadcnt 0x0
	s_wait_xcnt 0x1
	v_cvt_f64_i32_e32 v[10:11], v1
.LBB143_922:
	s_mov_b32 s31, 0
.LBB143_923:
	s_delay_alu instid0(SALU_CYCLE_1)
	s_and_not1_b32 vcc_lo, exec_lo, s31
	s_cbranch_vccnz .LBB143_929
; %bb.924:
	s_cmp_gt_i32 s0, 0
	s_mov_b32 s0, 0
	s_cbranch_scc0 .LBB143_926
; %bb.925:
	global_load_i8 v1, v[6:7], off
	s_wait_loadcnt 0x0
	s_wait_xcnt 0x1
	v_cvt_f64_i32_e32 v[10:11], v1
	s_branch .LBB143_927
.LBB143_926:
	s_mov_b32 s0, -1
                                        ; implicit-def: $vgpr10_vgpr11
.LBB143_927:
	s_delay_alu instid0(SALU_CYCLE_1)
	s_and_not1_b32 vcc_lo, exec_lo, s0
	s_cbranch_vccnz .LBB143_929
; %bb.928:
	global_load_u8 v1, v[6:7], off
	s_wait_loadcnt 0x0
	s_wait_xcnt 0x1
	v_cvt_f64_u32_e32 v[10:11], v1
.LBB143_929:
	s_mov_b32 s31, -1
.LBB143_930:
	s_delay_alu instid0(SALU_CYCLE_1)
	s_and_not1_b32 vcc_lo, exec_lo, s31
	s_cbranch_vccnz .LBB143_938
; %bb.931:
	s_wait_loadcnt 0x0
	s_delay_alu instid0(VALU_DEP_3) | instskip(SKIP_1) | instid1(VALU_DEP_3)
	v_max_num_f64_e32 v[6:7], v[8:9], v[8:9]
	v_max_num_f64_e32 v[12:13], v[2:3], v[2:3]
	;; [unrolled: 1-line block ×3, first 2 shown]
	v_cmp_u_f64_e32 vcc_lo, v[10:11], v[10:11]
	s_and_b32 s31, s38, 0xff
	s_delay_alu instid0(SALU_CYCLE_1) | instskip(NEXT) | instid1(VALU_DEP_3)
	s_cmp_lt_i32 s31, 11
	v_max_num_f64_e32 v[6:7], v[12:13], v[6:7]
	s_delay_alu instid0(VALU_DEP_1) | instskip(NEXT) | instid1(VALU_DEP_1)
	v_min_num_f64_e32 v[6:7], v[6:7], v[14:15]
	v_dual_cndmask_b32 v1, v7, v11, vcc_lo :: v_dual_cndmask_b32 v5, v6, v10, vcc_lo
	v_cmp_u_f64_e32 vcc_lo, v[8:9], v[8:9]
	s_delay_alu instid0(VALU_DEP_2) | instskip(NEXT) | instid1(VALU_DEP_3)
	v_cndmask_b32_e32 v5, v5, v8, vcc_lo
	v_cndmask_b32_e32 v8, v1, v9, vcc_lo
	v_cmp_u_f64_e32 vcc_lo, v[2:3], v[2:3]
	v_mov_b32_e32 v1, 0
	s_delay_alu instid0(VALU_DEP_1) | instskip(NEXT) | instid1(VALU_DEP_4)
	v_add_nc_u64_e32 v[6:7], s[4:5], v[0:1]
	v_dual_cndmask_b32 v1, v8, v3 :: v_dual_cndmask_b32 v0, v5, v2
	s_cbranch_scc1 .LBB143_939
; %bb.932:
	s_and_b32 s50, 0xffff, s31
	s_delay_alu instid0(SALU_CYCLE_1)
	s_cmp_gt_i32 s50, 25
	s_cbranch_scc0 .LBB143_940
; %bb.933:
	s_cmp_gt_i32 s50, 28
	s_cbranch_scc0 .LBB143_941
; %bb.934:
	;; [unrolled: 3-line block ×4, first 2 shown]
	s_mov_b32 s52, 0
	s_mov_b32 s0, -1
	s_cmp_eq_u32 s50, 46
	s_mov_b32 s51, 0
	s_cbranch_scc0 .LBB143_944
; %bb.937:
	v_cvt_f32_f64_e32 v2, v[0:1]
	s_mov_b32 s51, -1
	s_mov_b32 s0, 0
	s_delay_alu instid0(VALU_DEP_1) | instskip(SKIP_1) | instid1(VALU_DEP_2)
	v_bfe_u32 v3, v2, 16, 1
	v_cmp_o_f32_e32 vcc_lo, v2, v2
	v_add3_u32 v3, v2, v3, 0x7fff
	s_delay_alu instid0(VALU_DEP_1) | instskip(NEXT) | instid1(VALU_DEP_1)
	v_lshrrev_b32_e32 v3, 16, v3
	v_cndmask_b32_e32 v2, 0x7fc0, v3, vcc_lo
	global_store_b32 v[6:7], v2, off
	s_branch .LBB143_944
.LBB143_938:
	s_mov_b32 s31, 0
	s_mov_b32 s0, s45
	s_branch .LBB143_1055
.LBB143_939:
	s_mov_b32 s50, -1
	s_mov_b32 s51, 0
	s_mov_b32 s0, s45
	s_branch .LBB143_1013
.LBB143_940:
	s_mov_b32 s52, -1
	s_mov_b32 s51, 0
	s_mov_b32 s0, s45
	s_branch .LBB143_971
.LBB143_941:
	s_mov_b32 s52, -1
	s_mov_b32 s51, 0
	s_mov_b32 s0, s45
	s_branch .LBB143_954
.LBB143_942:
	s_mov_b32 s52, -1
	s_mov_b32 s51, 0
	s_mov_b32 s0, s45
	s_branch .LBB143_950
.LBB143_943:
	s_mov_b32 s52, -1
	s_mov_b32 s51, 0
	s_mov_b32 s0, s45
.LBB143_944:
	s_and_b32 vcc_lo, exec_lo, s52
	s_cbranch_vccz .LBB143_949
; %bb.945:
	s_cmp_eq_u32 s50, 44
	s_mov_b32 s0, -1
	s_cbranch_scc0 .LBB143_949
; %bb.946:
	s_wait_xcnt 0x0
	v_cvt_f32_f64_e32 v2, v[0:1]
	v_mov_b32_e32 v3, 0xff
	s_mov_b32 s51, exec_lo
	s_delay_alu instid0(VALU_DEP_2) | instskip(NEXT) | instid1(VALU_DEP_1)
	v_bfe_u32 v5, v2, 23, 8
	v_cmpx_ne_u32_e32 0xff, v5
	s_cbranch_execz .LBB143_948
; %bb.947:
	v_and_b32_e32 v3, 0x400000, v2
	v_and_or_b32 v5, 0x3fffff, v2, v5
	v_lshrrev_b32_e32 v2, 23, v2
	s_delay_alu instid0(VALU_DEP_3) | instskip(NEXT) | instid1(VALU_DEP_3)
	v_cmp_ne_u32_e32 vcc_lo, 0, v3
	v_cmp_ne_u32_e64 s0, 0, v5
	s_and_b32 s0, vcc_lo, s0
	s_delay_alu instid0(SALU_CYCLE_1) | instskip(NEXT) | instid1(VALU_DEP_1)
	v_cndmask_b32_e64 v3, 0, 1, s0
	v_add_nc_u32_e32 v3, v2, v3
.LBB143_948:
	s_or_b32 exec_lo, exec_lo, s51
	s_mov_b32 s51, -1
	s_mov_b32 s0, 0
	global_store_b8 v[6:7], v3, off
.LBB143_949:
	s_mov_b32 s52, 0
.LBB143_950:
	s_delay_alu instid0(SALU_CYCLE_1)
	s_and_b32 vcc_lo, exec_lo, s52
	s_cbranch_vccz .LBB143_953
; %bb.951:
	s_cmp_eq_u32 s50, 29
	s_mov_b32 s0, -1
	s_cbranch_scc0 .LBB143_953
; %bb.952:
	s_wait_xcnt 0x0
	v_trunc_f64_e32 v[2:3], v[0:1]
	s_mov_b32 s51, -1
	s_mov_b32 s0, 0
	s_mov_b32 s52, 0
	s_delay_alu instid0(VALU_DEP_1) | instskip(NEXT) | instid1(VALU_DEP_1)
	v_ldexp_f64 v[8:9], v[2:3], 0xffffffe0
	v_floor_f64_e32 v[8:9], v[8:9]
	s_delay_alu instid0(VALU_DEP_1) | instskip(SKIP_1) | instid1(VALU_DEP_2)
	v_fmamk_f64 v[2:3], v[8:9], 0xc1f00000, v[2:3]
	v_cvt_u32_f64_e32 v9, v[8:9]
	v_cvt_u32_f64_e32 v8, v[2:3]
	global_store_b64 v[6:7], v[8:9], off
	s_branch .LBB143_954
.LBB143_953:
	s_mov_b32 s52, 0
.LBB143_954:
	s_delay_alu instid0(SALU_CYCLE_1)
	s_and_b32 vcc_lo, exec_lo, s52
	s_cbranch_vccz .LBB143_970
; %bb.955:
	s_cmp_lt_i32 s50, 27
	s_mov_b32 s51, -1
	s_cbranch_scc1 .LBB143_961
; %bb.956:
	s_cmp_gt_i32 s50, 27
	s_cbranch_scc0 .LBB143_958
; %bb.957:
	s_wait_xcnt 0x0
	v_cvt_u32_f64_e32 v2, v[0:1]
	s_mov_b32 s51, 0
	global_store_b32 v[6:7], v2, off
.LBB143_958:
	s_and_not1_b32 vcc_lo, exec_lo, s51
	s_cbranch_vccnz .LBB143_960
; %bb.959:
	s_wait_xcnt 0x0
	v_cvt_u32_f64_e32 v2, v[0:1]
	global_store_b16 v[6:7], v2, off
.LBB143_960:
	s_mov_b32 s51, 0
.LBB143_961:
	s_delay_alu instid0(SALU_CYCLE_1)
	s_and_not1_b32 vcc_lo, exec_lo, s51
	s_cbranch_vccnz .LBB143_969
; %bb.962:
	s_wait_xcnt 0x0
	v_cvt_f32_f64_e32 v2, v[0:1]
	v_mov_b32_e32 v5, 0x80
	s_mov_b32 s51, exec_lo
	s_delay_alu instid0(VALU_DEP_2) | instskip(NEXT) | instid1(VALU_DEP_1)
	v_and_b32_e32 v3, 0x7fffffff, v2
	v_cmpx_gt_u32_e32 0x43800000, v3
	s_cbranch_execz .LBB143_968
; %bb.963:
	v_cmp_lt_u32_e32 vcc_lo, 0x3bffffff, v3
	s_mov_b32 s52, 0
                                        ; implicit-def: $vgpr3
	s_and_saveexec_b32 s53, vcc_lo
	s_delay_alu instid0(SALU_CYCLE_1)
	s_xor_b32 s53, exec_lo, s53
	s_cbranch_execz .LBB143_1213
; %bb.964:
	v_bfe_u32 v3, v2, 20, 1
	s_mov_b32 s52, exec_lo
	s_delay_alu instid0(VALU_DEP_1) | instskip(NEXT) | instid1(VALU_DEP_1)
	v_add3_u32 v3, v2, v3, 0x487ffff
	v_lshrrev_b32_e32 v3, 20, v3
	s_and_not1_saveexec_b32 s53, s53
	s_cbranch_execnz .LBB143_1214
.LBB143_965:
	s_or_b32 exec_lo, exec_lo, s53
	v_mov_b32_e32 v5, 0
	s_and_saveexec_b32 s53, s52
.LBB143_966:
	v_lshrrev_b32_e32 v2, 24, v2
	s_delay_alu instid0(VALU_DEP_1)
	v_and_or_b32 v5, 0x80, v2, v3
.LBB143_967:
	s_or_b32 exec_lo, exec_lo, s53
.LBB143_968:
	s_delay_alu instid0(SALU_CYCLE_1)
	s_or_b32 exec_lo, exec_lo, s51
	global_store_b8 v[6:7], v5, off
.LBB143_969:
	s_mov_b32 s51, -1
.LBB143_970:
	s_mov_b32 s52, 0
.LBB143_971:
	s_delay_alu instid0(SALU_CYCLE_1)
	s_and_b32 vcc_lo, exec_lo, s52
	s_cbranch_vccz .LBB143_1012
; %bb.972:
	s_cmp_gt_i32 s50, 22
	s_mov_b32 s52, -1
	s_cbranch_scc0 .LBB143_1004
; %bb.973:
	s_cmp_lt_i32 s50, 24
	s_mov_b32 s51, -1
	s_cbranch_scc1 .LBB143_993
; %bb.974:
	s_cmp_gt_i32 s50, 24
	s_cbranch_scc0 .LBB143_982
; %bb.975:
	s_wait_xcnt 0x0
	v_cvt_f32_f64_e32 v2, v[0:1]
	v_mov_b32_e32 v5, 0x80
	s_mov_b32 s51, exec_lo
	s_delay_alu instid0(VALU_DEP_2) | instskip(NEXT) | instid1(VALU_DEP_1)
	v_and_b32_e32 v3, 0x7fffffff, v2
	v_cmpx_gt_u32_e32 0x47800000, v3
	s_cbranch_execz .LBB143_981
; %bb.976:
	v_cmp_lt_u32_e32 vcc_lo, 0x37ffffff, v3
	s_mov_b32 s52, 0
                                        ; implicit-def: $vgpr3
	s_and_saveexec_b32 s53, vcc_lo
	s_delay_alu instid0(SALU_CYCLE_1)
	s_xor_b32 s53, exec_lo, s53
	s_cbranch_execz .LBB143_1345
; %bb.977:
	v_bfe_u32 v3, v2, 21, 1
	s_mov_b32 s52, exec_lo
	s_delay_alu instid0(VALU_DEP_1) | instskip(NEXT) | instid1(VALU_DEP_1)
	v_add3_u32 v3, v2, v3, 0x88fffff
	v_lshrrev_b32_e32 v3, 21, v3
	s_and_not1_saveexec_b32 s53, s53
	s_cbranch_execnz .LBB143_1346
.LBB143_978:
	s_or_b32 exec_lo, exec_lo, s53
	v_mov_b32_e32 v5, 0
	s_and_saveexec_b32 s53, s52
.LBB143_979:
	v_lshrrev_b32_e32 v2, 24, v2
	s_delay_alu instid0(VALU_DEP_1)
	v_and_or_b32 v5, 0x80, v2, v3
.LBB143_980:
	s_or_b32 exec_lo, exec_lo, s53
.LBB143_981:
	s_delay_alu instid0(SALU_CYCLE_1)
	s_or_b32 exec_lo, exec_lo, s51
	s_mov_b32 s51, 0
	global_store_b8 v[6:7], v5, off
.LBB143_982:
	s_and_b32 vcc_lo, exec_lo, s51
	s_cbranch_vccz .LBB143_992
; %bb.983:
	s_wait_xcnt 0x0
	v_cvt_f32_f64_e32 v2, v[0:1]
	s_mov_b32 s51, exec_lo
                                        ; implicit-def: $vgpr3
	s_delay_alu instid0(VALU_DEP_1) | instskip(NEXT) | instid1(VALU_DEP_1)
	v_and_b32_e32 v5, 0x7fffffff, v2
	v_cmpx_gt_u32_e32 0x43f00000, v5
	s_xor_b32 s51, exec_lo, s51
	s_cbranch_execz .LBB143_989
; %bb.984:
	s_mov_b32 s52, exec_lo
                                        ; implicit-def: $vgpr3
	v_cmpx_lt_u32_e32 0x3c7fffff, v5
	s_xor_b32 s52, exec_lo, s52
; %bb.985:
	v_bfe_u32 v3, v2, 20, 1
	s_delay_alu instid0(VALU_DEP_1) | instskip(NEXT) | instid1(VALU_DEP_1)
	v_add3_u32 v3, v2, v3, 0x407ffff
	v_and_b32_e32 v5, 0xff00000, v3
	v_lshrrev_b32_e32 v3, 20, v3
	s_delay_alu instid0(VALU_DEP_2) | instskip(NEXT) | instid1(VALU_DEP_2)
	v_cmp_ne_u32_e32 vcc_lo, 0x7f00000, v5
	v_cndmask_b32_e32 v3, 0x7e, v3, vcc_lo
; %bb.986:
	s_and_not1_saveexec_b32 s52, s52
; %bb.987:
	v_add_f32_e64 v3, 0x46800000, |v2|
; %bb.988:
	s_or_b32 exec_lo, exec_lo, s52
                                        ; implicit-def: $vgpr5
.LBB143_989:
	s_and_not1_saveexec_b32 s51, s51
; %bb.990:
	v_mov_b32_e32 v3, 0x7f
	v_cmp_lt_u32_e32 vcc_lo, 0x7f800000, v5
	s_delay_alu instid0(VALU_DEP_2)
	v_cndmask_b32_e32 v3, 0x7e, v3, vcc_lo
; %bb.991:
	s_or_b32 exec_lo, exec_lo, s51
	v_lshrrev_b32_e32 v2, 24, v2
	s_delay_alu instid0(VALU_DEP_1)
	v_and_or_b32 v2, 0x80, v2, v3
	global_store_b8 v[6:7], v2, off
.LBB143_992:
	s_mov_b32 s51, 0
.LBB143_993:
	s_delay_alu instid0(SALU_CYCLE_1)
	s_and_not1_b32 vcc_lo, exec_lo, s51
	s_cbranch_vccnz .LBB143_1003
; %bb.994:
	s_wait_xcnt 0x0
	v_cvt_f32_f64_e32 v2, v[0:1]
	s_mov_b32 s51, exec_lo
                                        ; implicit-def: $vgpr3
	s_delay_alu instid0(VALU_DEP_1) | instskip(NEXT) | instid1(VALU_DEP_1)
	v_and_b32_e32 v5, 0x7fffffff, v2
	v_cmpx_gt_u32_e32 0x47800000, v5
	s_xor_b32 s51, exec_lo, s51
	s_cbranch_execz .LBB143_1000
; %bb.995:
	s_mov_b32 s52, exec_lo
                                        ; implicit-def: $vgpr3
	v_cmpx_lt_u32_e32 0x387fffff, v5
	s_xor_b32 s52, exec_lo, s52
; %bb.996:
	v_bfe_u32 v3, v2, 21, 1
	s_delay_alu instid0(VALU_DEP_1) | instskip(NEXT) | instid1(VALU_DEP_1)
	v_add3_u32 v3, v2, v3, 0x80fffff
	v_lshrrev_b32_e32 v3, 21, v3
; %bb.997:
	s_and_not1_saveexec_b32 s52, s52
; %bb.998:
	v_add_f32_e64 v3, 0x43000000, |v2|
; %bb.999:
	s_or_b32 exec_lo, exec_lo, s52
                                        ; implicit-def: $vgpr5
.LBB143_1000:
	s_and_not1_saveexec_b32 s51, s51
; %bb.1001:
	v_mov_b32_e32 v3, 0x7f
	v_cmp_lt_u32_e32 vcc_lo, 0x7f800000, v5
	s_delay_alu instid0(VALU_DEP_2)
	v_cndmask_b32_e32 v3, 0x7c, v3, vcc_lo
; %bb.1002:
	s_or_b32 exec_lo, exec_lo, s51
	v_lshrrev_b32_e32 v2, 24, v2
	s_delay_alu instid0(VALU_DEP_1)
	v_and_or_b32 v2, 0x80, v2, v3
	global_store_b8 v[6:7], v2, off
.LBB143_1003:
	s_mov_b32 s52, 0
	s_mov_b32 s51, -1
.LBB143_1004:
	s_and_not1_b32 vcc_lo, exec_lo, s52
	s_cbranch_vccnz .LBB143_1012
; %bb.1005:
	s_cmp_gt_i32 s50, 14
	s_mov_b32 s52, -1
	s_cbranch_scc0 .LBB143_1009
; %bb.1006:
	s_cmp_eq_u32 s50, 15
	s_mov_b32 s0, -1
	s_cbranch_scc0 .LBB143_1008
; %bb.1007:
	s_wait_xcnt 0x0
	v_cvt_f32_f64_e32 v2, v[0:1]
	s_mov_b32 s51, -1
	s_mov_b32 s0, 0
	s_delay_alu instid0(VALU_DEP_1) | instskip(SKIP_1) | instid1(VALU_DEP_2)
	v_bfe_u32 v3, v2, 16, 1
	v_cmp_o_f32_e32 vcc_lo, v2, v2
	v_add3_u32 v3, v2, v3, 0x7fff
	s_delay_alu instid0(VALU_DEP_1) | instskip(NEXT) | instid1(VALU_DEP_1)
	v_lshrrev_b32_e32 v3, 16, v3
	v_cndmask_b32_e32 v2, 0x7fc0, v3, vcc_lo
	global_store_b16 v[6:7], v2, off
.LBB143_1008:
	s_mov_b32 s52, 0
.LBB143_1009:
	s_delay_alu instid0(SALU_CYCLE_1)
	s_and_b32 vcc_lo, exec_lo, s52
	s_cbranch_vccz .LBB143_1012
; %bb.1010:
	s_cmp_eq_u32 s50, 11
	s_mov_b32 s0, -1
	s_cbranch_scc0 .LBB143_1012
; %bb.1011:
	v_cmp_neq_f64_e32 vcc_lo, 0, v[0:1]
	s_mov_b32 s51, -1
	s_mov_b32 s0, 0
	s_wait_xcnt 0x0
	v_cndmask_b32_e64 v2, 0, 1, vcc_lo
	global_store_b8 v[6:7], v2, off
.LBB143_1012:
	s_mov_b32 s50, 0
.LBB143_1013:
	s_delay_alu instid0(SALU_CYCLE_1)
	s_and_b32 vcc_lo, exec_lo, s50
	s_cbranch_vccz .LBB143_1052
; %bb.1014:
	s_and_b32 s31, 0xffff, s31
	s_mov_b32 s50, -1
	s_cmp_lt_i32 s31, 5
	s_cbranch_scc1 .LBB143_1035
; %bb.1015:
	s_cmp_lt_i32 s31, 8
	s_cbranch_scc1 .LBB143_1025
; %bb.1016:
	;; [unrolled: 3-line block ×3, first 2 shown]
	s_cmp_gt_i32 s31, 9
	s_cbranch_scc0 .LBB143_1019
; %bb.1018:
	s_wait_xcnt 0x0
	v_mov_b32_e32 v2, 0
	s_mov_b32 s50, 0
	s_delay_alu instid0(VALU_DEP_1)
	v_mov_b32_e32 v3, v2
	global_store_b128 v[6:7], v[0:3], off
.LBB143_1019:
	s_and_not1_b32 vcc_lo, exec_lo, s50
	s_cbranch_vccnz .LBB143_1021
; %bb.1020:
	s_wait_xcnt 0x0
	v_cvt_f32_f64_e32 v2, v[0:1]
	v_mov_b32_e32 v3, 0
	global_store_b64 v[6:7], v[2:3], off
.LBB143_1021:
	s_mov_b32 s50, 0
.LBB143_1022:
	s_delay_alu instid0(SALU_CYCLE_1)
	s_and_not1_b32 vcc_lo, exec_lo, s50
	s_cbranch_vccnz .LBB143_1024
; %bb.1023:
	s_wait_xcnt 0x0
	v_and_or_b32 v2, 0x1ff, v1, v0
	v_lshrrev_b32_e32 v3, 8, v1
	v_bfe_u32 v5, v1, 20, 11
	s_delay_alu instid0(VALU_DEP_3) | instskip(NEXT) | instid1(VALU_DEP_2)
	v_cmp_ne_u32_e32 vcc_lo, 0, v2
	v_sub_nc_u32_e32 v8, 0x3f1, v5
	v_add_nc_u32_e32 v5, 0xfffffc10, v5
	v_cndmask_b32_e64 v2, 0, 1, vcc_lo
	s_delay_alu instid0(VALU_DEP_1) | instskip(NEXT) | instid1(VALU_DEP_4)
	v_and_or_b32 v2, 0xffe, v3, v2
	v_med3_i32 v3, v8, 0, 13
	s_delay_alu instid0(VALU_DEP_2) | instskip(NEXT) | instid1(VALU_DEP_1)
	v_or_b32_e32 v8, 0x1000, v2
	v_lshrrev_b32_e32 v9, v3, v8
	s_delay_alu instid0(VALU_DEP_1) | instskip(NEXT) | instid1(VALU_DEP_1)
	v_lshlrev_b32_e32 v3, v3, v9
	v_cmp_ne_u32_e32 vcc_lo, v3, v8
	v_lshl_or_b32 v8, v5, 12, v2
	v_cndmask_b32_e64 v3, 0, 1, vcc_lo
	v_cmp_gt_i32_e32 vcc_lo, 1, v5
	s_delay_alu instid0(VALU_DEP_2) | instskip(NEXT) | instid1(VALU_DEP_1)
	v_or_b32_e32 v3, v9, v3
	v_cndmask_b32_e32 v3, v8, v3, vcc_lo
	s_delay_alu instid0(VALU_DEP_1) | instskip(NEXT) | instid1(VALU_DEP_1)
	v_dual_lshrrev_b32 v3, 2, v3 :: v_dual_bitop2_b32 v8, 7, v3 bitop3:0x40
	v_cmp_lt_i32_e32 vcc_lo, 5, v8
	v_cndmask_b32_e64 v9, 0, 1, vcc_lo
	v_cmp_eq_u32_e32 vcc_lo, 3, v8
	v_cndmask_b32_e64 v8, 0, 1, vcc_lo
	v_cmp_ne_u32_e32 vcc_lo, 0, v2
	s_delay_alu instid0(VALU_DEP_2) | instskip(SKIP_1) | instid1(VALU_DEP_1)
	v_or_b32_e32 v8, v8, v9
	v_mov_b32_e32 v9, 0x7e00
	v_dual_cndmask_b32 v2, 0x7c00, v9 :: v_dual_add_nc_u32 v3, v3, v8
	v_cmp_gt_i32_e32 vcc_lo, 31, v5
	s_delay_alu instid0(VALU_DEP_2) | instskip(SKIP_1) | instid1(VALU_DEP_2)
	v_dual_cndmask_b32 v3, 0x7c00, v3 :: v_dual_lshrrev_b32 v8, 16, v1
	v_cmp_eq_u32_e32 vcc_lo, 0x40f, v5
	v_cndmask_b32_e32 v2, v3, v2, vcc_lo
	s_delay_alu instid0(VALU_DEP_3) | instskip(NEXT) | instid1(VALU_DEP_1)
	v_and_b32_e32 v3, 0x8000, v8
	v_bitop3_b32 v2, v3, 0xffff, v2 bitop3:0xc8
	global_store_b32 v[6:7], v2, off
.LBB143_1024:
	s_mov_b32 s50, 0
.LBB143_1025:
	s_delay_alu instid0(SALU_CYCLE_1)
	s_and_not1_b32 vcc_lo, exec_lo, s50
	s_cbranch_vccnz .LBB143_1034
; %bb.1026:
	s_cmp_lt_i32 s31, 6
	s_mov_b32 s50, -1
	s_cbranch_scc1 .LBB143_1032
; %bb.1027:
	s_cmp_gt_i32 s31, 6
	s_cbranch_scc0 .LBB143_1029
; %bb.1028:
	s_mov_b32 s50, 0
	global_store_b64 v[6:7], v[0:1], off
.LBB143_1029:
	s_and_not1_b32 vcc_lo, exec_lo, s50
	s_cbranch_vccnz .LBB143_1031
; %bb.1030:
	s_wait_xcnt 0x0
	v_cvt_f32_f64_e32 v2, v[0:1]
	global_store_b32 v[6:7], v2, off
.LBB143_1031:
	s_mov_b32 s50, 0
.LBB143_1032:
	s_delay_alu instid0(SALU_CYCLE_1)
	s_and_not1_b32 vcc_lo, exec_lo, s50
	s_cbranch_vccnz .LBB143_1034
; %bb.1033:
	s_wait_xcnt 0x0
	v_and_or_b32 v2, 0x1ff, v1, v0
	v_lshrrev_b32_e32 v3, 8, v1
	v_bfe_u32 v5, v1, 20, 11
	s_delay_alu instid0(VALU_DEP_3) | instskip(NEXT) | instid1(VALU_DEP_2)
	v_cmp_ne_u32_e32 vcc_lo, 0, v2
	v_sub_nc_u32_e32 v8, 0x3f1, v5
	v_add_nc_u32_e32 v5, 0xfffffc10, v5
	v_cndmask_b32_e64 v2, 0, 1, vcc_lo
	s_delay_alu instid0(VALU_DEP_1) | instskip(NEXT) | instid1(VALU_DEP_4)
	v_and_or_b32 v2, 0xffe, v3, v2
	v_med3_i32 v3, v8, 0, 13
	s_delay_alu instid0(VALU_DEP_2) | instskip(NEXT) | instid1(VALU_DEP_1)
	v_or_b32_e32 v8, 0x1000, v2
	v_lshrrev_b32_e32 v9, v3, v8
	s_delay_alu instid0(VALU_DEP_1) | instskip(NEXT) | instid1(VALU_DEP_1)
	v_lshlrev_b32_e32 v3, v3, v9
	v_cmp_ne_u32_e32 vcc_lo, v3, v8
	v_lshl_or_b32 v8, v5, 12, v2
	v_cndmask_b32_e64 v3, 0, 1, vcc_lo
	v_cmp_gt_i32_e32 vcc_lo, 1, v5
	s_delay_alu instid0(VALU_DEP_2) | instskip(NEXT) | instid1(VALU_DEP_1)
	v_or_b32_e32 v3, v9, v3
	v_cndmask_b32_e32 v3, v8, v3, vcc_lo
	s_delay_alu instid0(VALU_DEP_1) | instskip(NEXT) | instid1(VALU_DEP_1)
	v_dual_lshrrev_b32 v3, 2, v3 :: v_dual_bitop2_b32 v8, 7, v3 bitop3:0x40
	v_cmp_lt_i32_e32 vcc_lo, 5, v8
	v_cndmask_b32_e64 v9, 0, 1, vcc_lo
	v_cmp_eq_u32_e32 vcc_lo, 3, v8
	v_cndmask_b32_e64 v8, 0, 1, vcc_lo
	v_cmp_ne_u32_e32 vcc_lo, 0, v2
	s_delay_alu instid0(VALU_DEP_2) | instskip(SKIP_1) | instid1(VALU_DEP_1)
	v_or_b32_e32 v8, v8, v9
	v_mov_b32_e32 v9, 0x7e00
	v_dual_cndmask_b32 v2, 0x7c00, v9 :: v_dual_add_nc_u32 v3, v3, v8
	v_cmp_gt_i32_e32 vcc_lo, 31, v5
	s_delay_alu instid0(VALU_DEP_2) | instskip(SKIP_1) | instid1(VALU_DEP_2)
	v_cndmask_b32_e32 v3, 0x7c00, v3, vcc_lo
	v_cmp_eq_u32_e32 vcc_lo, 0x40f, v5
	v_dual_cndmask_b32 v2, v3, v2 :: v_dual_lshrrev_b32 v3, 16, v1
	s_delay_alu instid0(VALU_DEP_1)
	v_and_or_b32 v2, 0x8000, v3, v2
	global_store_b16 v[6:7], v2, off
.LBB143_1034:
	s_mov_b32 s50, 0
.LBB143_1035:
	s_delay_alu instid0(SALU_CYCLE_1)
	s_and_not1_b32 vcc_lo, exec_lo, s50
	s_cbranch_vccnz .LBB143_1051
; %bb.1036:
	s_cmp_lt_i32 s31, 2
	s_mov_b32 s50, -1
	s_cbranch_scc1 .LBB143_1046
; %bb.1037:
	s_cmp_lt_i32 s31, 3
	s_cbranch_scc1 .LBB143_1043
; %bb.1038:
	s_cmp_gt_i32 s31, 3
	s_cbranch_scc0 .LBB143_1040
; %bb.1039:
	s_wait_xcnt 0x0
	v_trunc_f64_e32 v[2:3], v[0:1]
	s_mov_b32 s50, 0
	s_delay_alu instid0(VALU_DEP_1) | instskip(NEXT) | instid1(VALU_DEP_1)
	v_ldexp_f64 v[8:9], v[2:3], 0xffffffe0
	v_floor_f64_e32 v[8:9], v[8:9]
	s_delay_alu instid0(VALU_DEP_1) | instskip(SKIP_1) | instid1(VALU_DEP_2)
	v_fmamk_f64 v[2:3], v[8:9], 0xc1f00000, v[2:3]
	v_cvt_i32_f64_e32 v9, v[8:9]
	v_cvt_u32_f64_e32 v8, v[2:3]
	global_store_b64 v[6:7], v[8:9], off
.LBB143_1040:
	s_and_not1_b32 vcc_lo, exec_lo, s50
	s_cbranch_vccnz .LBB143_1042
; %bb.1041:
	s_wait_xcnt 0x0
	v_cvt_i32_f64_e32 v2, v[0:1]
	global_store_b32 v[6:7], v2, off
.LBB143_1042:
	s_mov_b32 s50, 0
.LBB143_1043:
	s_delay_alu instid0(SALU_CYCLE_1)
	s_and_not1_b32 vcc_lo, exec_lo, s50
	s_cbranch_vccnz .LBB143_1045
; %bb.1044:
	s_wait_xcnt 0x0
	v_cvt_i32_f64_e32 v2, v[0:1]
	global_store_b16 v[6:7], v2, off
.LBB143_1045:
	s_mov_b32 s50, 0
.LBB143_1046:
	s_delay_alu instid0(SALU_CYCLE_1)
	s_and_not1_b32 vcc_lo, exec_lo, s50
	s_cbranch_vccnz .LBB143_1051
; %bb.1047:
	s_cmp_gt_i32 s31, 0
	s_mov_b32 s31, -1
	s_cbranch_scc0 .LBB143_1049
; %bb.1048:
	s_wait_xcnt 0x0
	v_cvt_i32_f64_e32 v2, v[0:1]
	s_mov_b32 s31, 0
	global_store_b8 v[6:7], v2, off
.LBB143_1049:
	s_and_not1_b32 vcc_lo, exec_lo, s31
	s_cbranch_vccnz .LBB143_1051
; %bb.1050:
	s_wait_xcnt 0x0
	v_trunc_f64_e32 v[0:1], v[0:1]
	s_delay_alu instid0(VALU_DEP_1) | instskip(NEXT) | instid1(VALU_DEP_1)
	v_ldexp_f64 v[2:3], v[0:1], 0xffffffe0
	v_floor_f64_e32 v[2:3], v[2:3]
	s_delay_alu instid0(VALU_DEP_1) | instskip(NEXT) | instid1(VALU_DEP_1)
	v_fmamk_f64 v[0:1], v[2:3], 0xc1f00000, v[0:1]
	v_cvt_u32_f64_e32 v0, v[0:1]
	global_store_b8 v[6:7], v0, off
.LBB143_1051:
	s_mov_b32 s51, -1
.LBB143_1052:
	s_delay_alu instid0(SALU_CYCLE_1)
	s_and_not1_b32 vcc_lo, exec_lo, s51
	s_cbranch_vccnz .LBB143_1054
; %bb.1053:
	v_add_nc_u32_e32 v4, 0x80, v4
	s_mov_b32 s31, -1
	s_branch .LBB143_1056
.LBB143_1054:
	s_mov_b32 s31, 0
.LBB143_1055:
                                        ; implicit-def: $vgpr4
.LBB143_1056:
	s_and_not1_b32 s50, s45, exec_lo
	s_and_b32 s0, s0, exec_lo
	s_and_not1_b32 s52, s46, exec_lo
	s_and_b32 s30, s30, exec_lo
	s_or_b32 s51, s50, s0
	s_or_b32 s52, s52, s30
	s_and_not1_b32 s0, s47, exec_lo
	s_and_b32 s29, s29, exec_lo
	s_and_not1_b32 s30, s48, exec_lo
	s_and_b32 s28, s28, exec_lo
	s_or_b32 s53, s0, s29
	s_or_b32 s50, s30, s28
	s_or_not1_b32 s31, s31, exec_lo
.LBB143_1057:
	s_wait_xcnt 0x0
	s_or_b32 exec_lo, exec_lo, s54
	s_mov_b32 s29, 0
	s_mov_b32 s30, 0
	;; [unrolled: 1-line block ×3, first 2 shown]
                                        ; implicit-def: $sgpr0
                                        ; implicit-def: $vgpr10_vgpr11
                                        ; implicit-def: $vgpr2
                                        ; implicit-def: $vgpr0
                                        ; implicit-def: $vgpr8
                                        ; implicit-def: $vgpr6_vgpr7
	s_and_saveexec_b32 s54, s31
	s_cbranch_execz .LBB143_1684
; %bb.1058:
	s_mov_b32 s31, -1
	s_mov_b32 s56, s50
	s_mov_b32 s58, s53
	;; [unrolled: 1-line block ×4, first 2 shown]
	s_mov_b32 s55, exec_lo
	v_cmpx_gt_i32_e64 s43, v4
	s_cbranch_execz .LBB143_1590
; %bb.1059:
	s_and_not1_b32 vcc_lo, exec_lo, s36
	s_cbranch_vccnz .LBB143_1065
; %bb.1060:
	s_and_not1_b32 vcc_lo, exec_lo, s44
	s_cbranch_vccnz .LBB143_1066
; %bb.1061:
	s_wait_loadcnt 0x0
	v_dual_mov_b32 v8, 0 :: v_dual_mov_b32 v1, v4
	v_dual_mov_b32 v6, 0 :: v_dual_mov_b32 v0, 0
	v_mov_b32_e32 v2, 0
	s_add_co_i32 s0, s42, 1
	s_mov_b64 s[28:29], 0xffffffffffffffe0
	s_and_b32 s0, s0, 30
	s_add_nc_u64 s[28:29], s[2:3], s[28:29]
	s_mov_b64 s[30:31], s[2:3]
.LBB143_1062:                           ; =>This Inner Loop Header: Depth=1
	s_clause 0x1
	s_load_b128 s[64:67], s[30:31], 0x4
	s_load_b64 s[68:69], s[30:31], 0x14
	s_load_b256 s[56:63], s[28:29], 0xe4
	s_add_co_i32 s0, s0, -2
	s_wait_xcnt 0x0
	s_add_nc_u64 s[30:31], s[30:31], 24
	s_cmp_eq_u32 s0, 0
	s_add_nc_u64 s[28:29], s[28:29], 32
	s_wait_kmcnt 0x0
	v_mul_hi_u32 v3, s65, v1
	s_delay_alu instid0(VALU_DEP_1) | instskip(NEXT) | instid1(VALU_DEP_1)
	v_add_nc_u32_e32 v3, v1, v3
	v_lshrrev_b32_e32 v3, s66, v3
	s_delay_alu instid0(VALU_DEP_1) | instskip(SKIP_1) | instid1(VALU_DEP_1)
	v_mul_hi_u32 v5, s68, v3
	v_mul_lo_u32 v7, v3, s64
	v_dual_add_nc_u32 v5, v3, v5 :: v_dual_sub_nc_u32 v7, v1, v7
	s_delay_alu instid0(VALU_DEP_1) | instskip(NEXT) | instid1(VALU_DEP_2)
	v_lshrrev_b32_e32 v1, s69, v5
	v_mad_u32 v2, v7, s57, v2
	v_mad_u32 v0, v7, s56, v0
	;; [unrolled: 1-line block ×4, first 2 shown]
	v_mul_lo_u32 v5, v1, s67
	s_delay_alu instid0(VALU_DEP_1) | instskip(NEXT) | instid1(VALU_DEP_1)
	v_sub_nc_u32_e32 v3, v3, v5
	v_mad_u32 v2, v3, s61, v2
	v_mad_u32 v0, v3, s60, v0
	;; [unrolled: 1-line block ×4, first 2 shown]
	s_cbranch_scc0 .LBB143_1062
; %bb.1063:
	s_bitcmp1_b32 s42, 0
	s_cselect_b32 s0, -1, 0
	s_delay_alu instid0(SALU_CYCLE_1)
	s_and_b32 vcc_lo, exec_lo, s0
	s_cbranch_vccnz .LBB143_1067
; %bb.1064:
	s_load_b96 s[60:62], s[30:31], 0x4
	s_load_b128 s[56:59], s[28:29], 0xe4
	s_wait_kmcnt 0x0
	v_mul_hi_u32 v3, s61, v1
	s_delay_alu instid0(VALU_DEP_1) | instskip(NEXT) | instid1(VALU_DEP_1)
	v_add_nc_u32_e32 v3, v1, v3
	v_lshrrev_b32_e32 v3, s62, v3
	s_delay_alu instid0(VALU_DEP_1) | instskip(NEXT) | instid1(VALU_DEP_1)
	v_mul_lo_u32 v3, v3, s60
	v_sub_nc_u32_e32 v1, v1, v3
	s_delay_alu instid0(VALU_DEP_1)
	v_mad_u32 v0, v1, s56, v0
	v_mad_u32 v2, v1, s57, v2
	v_mad_u32 v8, v1, s58, v8
	v_mad_u32 v6, v1, s59, v6
	s_branch .LBB143_1067
.LBB143_1065:
	s_mov_b32 s0, -1
                                        ; implicit-def: $vgpr2
                                        ; implicit-def: $vgpr0
                                        ; implicit-def: $vgpr6
                                        ; implicit-def: $vgpr8
	s_branch .LBB143_1068
.LBB143_1066:
	s_wait_loadcnt 0x0
	v_dual_mov_b32 v2, 0 :: v_dual_mov_b32 v0, 0
	v_dual_mov_b32 v6, 0 :: v_dual_mov_b32 v8, 0
.LBB143_1067:
	s_mov_b32 s0, 0
.LBB143_1068:
	s_delay_alu instid0(SALU_CYCLE_1)
	s_and_not1_b32 vcc_lo, exec_lo, s0
	s_cbranch_vccnz .LBB143_1071
; %bb.1069:
	v_mov_b32_e32 v5, 0
	s_and_not1_b32 vcc_lo, exec_lo, s41
	s_delay_alu instid0(VALU_DEP_1) | instskip(NEXT) | instid1(VALU_DEP_1)
	v_mul_u64_e32 v[0:1], s[24:25], v[4:5]
	v_add_nc_u32_e32 v0, v4, v1
	s_wait_loadcnt 0x0
	s_delay_alu instid0(VALU_DEP_1) | instskip(NEXT) | instid1(VALU_DEP_1)
	v_lshrrev_b32_e32 v10, s22, v0
	v_mul_lo_u32 v0, v10, s20
	s_delay_alu instid0(VALU_DEP_1) | instskip(NEXT) | instid1(VALU_DEP_1)
	v_sub_nc_u32_e32 v1, v4, v0
	v_mul_lo_u32 v2, v1, s13
	v_mul_lo_u32 v0, v1, s12
	;; [unrolled: 1-line block ×4, first 2 shown]
	s_cbranch_vccnz .LBB143_1071
; %bb.1070:
	v_mov_b32_e32 v11, v5
	s_delay_alu instid0(VALU_DEP_1) | instskip(NEXT) | instid1(VALU_DEP_1)
	v_mul_u64_e32 v[12:13], s[26:27], v[10:11]
	v_add_nc_u32_e32 v1, v10, v13
	s_delay_alu instid0(VALU_DEP_1) | instskip(NEXT) | instid1(VALU_DEP_1)
	v_lshrrev_b32_e32 v1, s1, v1
	v_mul_lo_u32 v1, v1, s23
	s_delay_alu instid0(VALU_DEP_1) | instskip(NEXT) | instid1(VALU_DEP_1)
	v_sub_nc_u32_e32 v1, v10, v1
	v_mad_u32 v0, v1, s16, v0
	v_mad_u32 v2, v1, s17, v2
	;; [unrolled: 1-line block ×4, first 2 shown]
.LBB143_1071:
	s_wait_loadcnt 0x0
	v_mov_b32_e32 v3, 0
	s_and_b32 s0, s40, 0xff
	s_delay_alu instid0(SALU_CYCLE_1) | instskip(NEXT) | instid1(VALU_DEP_1)
	s_cmp_lt_i32 s0, 11
	v_add_nc_u64_e32 v[10:11], s[6:7], v[2:3]
	s_cbranch_scc1 .LBB143_1078
; %bb.1072:
	s_and_b32 s29, 0xffff, s0
	s_delay_alu instid0(SALU_CYCLE_1)
	s_cmp_gt_i32 s29, 25
	s_cbranch_scc0 .LBB143_1079
; %bb.1073:
	s_cmp_gt_i32 s29, 28
	s_cbranch_scc0 .LBB143_1080
; %bb.1074:
	;; [unrolled: 3-line block ×4, first 2 shown]
	s_cmp_eq_u32 s29, 46
	s_mov_b32 s31, 0
	s_cbranch_scc0 .LBB143_1083
; %bb.1077:
	global_load_b32 v1, v[10:11], off
	s_mov_b32 s30, -1
	s_mov_b32 s28, 0
	s_wait_loadcnt 0x0
	v_lshlrev_b32_e32 v1, 16, v1
	s_delay_alu instid0(VALU_DEP_1)
	v_cvt_f64_f32_e32 v[2:3], v1
	s_branch .LBB143_1085
.LBB143_1078:
	s_mov_b32 s29, -1
	s_mov_b32 s30, 0
	s_mov_b32 s28, s50
                                        ; implicit-def: $vgpr2_vgpr3
	s_branch .LBB143_1150
.LBB143_1079:
	s_mov_b32 s31, -1
	s_mov_b32 s30, 0
	s_mov_b32 s28, s50
                                        ; implicit-def: $vgpr2_vgpr3
	s_branch .LBB143_1114
.LBB143_1080:
	s_mov_b32 s31, -1
	s_mov_b32 s30, 0
	s_mov_b32 s28, s50
                                        ; implicit-def: $vgpr2_vgpr3
	s_branch .LBB143_1095
.LBB143_1081:
	s_mov_b32 s31, -1
	s_mov_b32 s30, 0
	s_mov_b32 s28, s50
                                        ; implicit-def: $vgpr2_vgpr3
	s_branch .LBB143_1090
.LBB143_1082:
	s_mov_b32 s31, -1
	s_mov_b32 s30, 0
	s_mov_b32 s28, s50
	s_branch .LBB143_1084
.LBB143_1083:
	s_mov_b32 s28, -1
	s_mov_b32 s30, 0
.LBB143_1084:
                                        ; implicit-def: $vgpr2_vgpr3
.LBB143_1085:
	s_and_b32 vcc_lo, exec_lo, s31
	s_cbranch_vccz .LBB143_1089
; %bb.1086:
	s_cmp_eq_u32 s29, 44
	s_cbranch_scc0 .LBB143_1088
; %bb.1087:
	global_load_u8 v1, v[10:11], off
	s_mov_b32 s28, 0
	s_mov_b32 s30, -1
	s_wait_loadcnt 0x0
	v_cmp_ne_u32_e32 vcc_lo, 0xff, v1
	v_lshlrev_b32_e32 v2, 23, v1
	s_delay_alu instid0(VALU_DEP_1) | instskip(NEXT) | instid1(VALU_DEP_1)
	v_cvt_f64_f32_e32 v[2:3], v2
	v_cndmask_b32_e32 v2, 0x20000000, v2, vcc_lo
	s_delay_alu instid0(VALU_DEP_2) | instskip(SKIP_1) | instid1(VALU_DEP_2)
	v_cndmask_b32_e32 v3, 0x7ff80000, v3, vcc_lo
	v_cmp_ne_u32_e32 vcc_lo, 0, v1
	v_cndmask_b32_e32 v3, 0x38000000, v3, vcc_lo
	s_delay_alu instid0(VALU_DEP_4)
	v_cndmask_b32_e32 v2, 0, v2, vcc_lo
	s_branch .LBB143_1089
.LBB143_1088:
	s_mov_b32 s28, -1
                                        ; implicit-def: $vgpr2_vgpr3
.LBB143_1089:
	s_mov_b32 s31, 0
.LBB143_1090:
	s_delay_alu instid0(SALU_CYCLE_1)
	s_and_b32 vcc_lo, exec_lo, s31
	s_cbranch_vccz .LBB143_1094
; %bb.1091:
	s_cmp_eq_u32 s29, 29
	s_cbranch_scc0 .LBB143_1093
; %bb.1092:
	global_load_b64 v[2:3], v[10:11], off
	s_mov_b32 s30, -1
	s_mov_b32 s28, 0
	s_mov_b32 s31, 0
	s_wait_loadcnt 0x0
	v_cvt_f64_u32_e32 v[12:13], v3
	v_cvt_f64_u32_e32 v[2:3], v2
	s_delay_alu instid0(VALU_DEP_2) | instskip(NEXT) | instid1(VALU_DEP_1)
	v_ldexp_f64 v[12:13], v[12:13], 32
	v_add_f64_e32 v[2:3], v[12:13], v[2:3]
	s_branch .LBB143_1095
.LBB143_1093:
	s_mov_b32 s28, -1
                                        ; implicit-def: $vgpr2_vgpr3
.LBB143_1094:
	s_mov_b32 s31, 0
.LBB143_1095:
	s_delay_alu instid0(SALU_CYCLE_1)
	s_and_b32 vcc_lo, exec_lo, s31
	s_cbranch_vccz .LBB143_1113
; %bb.1096:
	s_cmp_lt_i32 s29, 27
	s_cbranch_scc1 .LBB143_1099
; %bb.1097:
	s_cmp_gt_i32 s29, 27
	s_cbranch_scc0 .LBB143_1100
; %bb.1098:
	global_load_b32 v1, v[10:11], off
	s_mov_b32 s30, 0
	s_wait_loadcnt 0x0
	v_cvt_f64_u32_e32 v[2:3], v1
	s_branch .LBB143_1101
.LBB143_1099:
	s_mov_b32 s30, -1
                                        ; implicit-def: $vgpr2_vgpr3
	s_branch .LBB143_1104
.LBB143_1100:
	s_mov_b32 s30, -1
                                        ; implicit-def: $vgpr2_vgpr3
.LBB143_1101:
	s_delay_alu instid0(SALU_CYCLE_1)
	s_and_not1_b32 vcc_lo, exec_lo, s30
	s_cbranch_vccnz .LBB143_1103
; %bb.1102:
	global_load_u16 v1, v[10:11], off
	s_wait_loadcnt 0x0
	v_cvt_f64_u32_e32 v[2:3], v1
.LBB143_1103:
	s_mov_b32 s30, 0
.LBB143_1104:
	s_delay_alu instid0(SALU_CYCLE_1)
	s_and_not1_b32 vcc_lo, exec_lo, s30
	s_cbranch_vccnz .LBB143_1112
; %bb.1105:
	global_load_u8 v1, v[10:11], off
	s_mov_b32 s30, 0
	s_mov_b32 s31, exec_lo
	s_wait_loadcnt 0x0
	v_cmpx_lt_i16_e32 0x7f, v1
	s_xor_b32 s31, exec_lo, s31
	s_cbranch_execz .LBB143_1126
; %bb.1106:
	s_mov_b32 s30, -1
	s_mov_b32 s56, exec_lo
	v_cmpx_eq_u16_e32 0x80, v1
; %bb.1107:
	s_xor_b32 s30, exec_lo, -1
; %bb.1108:
	s_or_b32 exec_lo, exec_lo, s56
	s_delay_alu instid0(SALU_CYCLE_1)
	s_and_b32 s30, s30, exec_lo
	s_or_saveexec_b32 s31, s31
	v_mov_b64_e32 v[2:3], 0x7ff8000020000000
	s_xor_b32 exec_lo, exec_lo, s31
	s_cbranch_execnz .LBB143_1127
.LBB143_1109:
	s_or_b32 exec_lo, exec_lo, s31
	s_and_saveexec_b32 s31, s30
	s_cbranch_execz .LBB143_1111
.LBB143_1110:
	v_and_b32_e32 v2, 0xffff, v1
	s_delay_alu instid0(VALU_DEP_1) | instskip(SKIP_1) | instid1(VALU_DEP_2)
	v_and_b32_e32 v3, 7, v2
	v_bfe_u32 v9, v2, 3, 4
	v_clz_i32_u32_e32 v5, v3
	s_delay_alu instid0(VALU_DEP_2) | instskip(NEXT) | instid1(VALU_DEP_2)
	v_cmp_eq_u32_e32 vcc_lo, 0, v9
	v_min_u32_e32 v5, 32, v5
	s_delay_alu instid0(VALU_DEP_1) | instskip(NEXT) | instid1(VALU_DEP_1)
	v_subrev_nc_u32_e32 v7, 28, v5
	v_dual_lshlrev_b32 v2, v7, v2 :: v_dual_sub_nc_u32 v5, 29, v5
	s_delay_alu instid0(VALU_DEP_1) | instskip(NEXT) | instid1(VALU_DEP_1)
	v_dual_lshlrev_b32 v1, 24, v1 :: v_dual_bitop2_b32 v2, 7, v2 bitop3:0x40
	v_dual_cndmask_b32 v2, v3, v2 :: v_dual_cndmask_b32 v5, v9, v5
	s_delay_alu instid0(VALU_DEP_2) | instskip(NEXT) | instid1(VALU_DEP_2)
	v_and_b32_e32 v1, 0x80000000, v1
	v_lshlrev_b32_e32 v2, 20, v2
	s_delay_alu instid0(VALU_DEP_3) | instskip(NEXT) | instid1(VALU_DEP_1)
	v_lshl_add_u32 v3, v5, 23, 0x3b800000
	v_or3_b32 v1, v1, v3, v2
	s_delay_alu instid0(VALU_DEP_1)
	v_cvt_f64_f32_e32 v[2:3], v1
.LBB143_1111:
	s_or_b32 exec_lo, exec_lo, s31
.LBB143_1112:
	s_mov_b32 s30, -1
.LBB143_1113:
	s_mov_b32 s31, 0
.LBB143_1114:
	s_delay_alu instid0(SALU_CYCLE_1)
	s_and_b32 vcc_lo, exec_lo, s31
	s_cbranch_vccz .LBB143_1149
; %bb.1115:
	s_cmp_gt_i32 s29, 22
	s_cbranch_scc0 .LBB143_1125
; %bb.1116:
	s_cmp_lt_i32 s29, 24
	s_cbranch_scc1 .LBB143_1128
; %bb.1117:
	s_cmp_gt_i32 s29, 24
	s_cbranch_scc0 .LBB143_1129
; %bb.1118:
	global_load_u8 v1, v[10:11], off
	s_mov_b32 s30, 0
	s_mov_b32 s31, exec_lo
	s_wait_loadcnt 0x0
	v_cmpx_lt_i16_e32 0x7f, v1
	s_xor_b32 s31, exec_lo, s31
	s_cbranch_execz .LBB143_1141
; %bb.1119:
	s_mov_b32 s30, -1
	s_mov_b32 s56, exec_lo
	v_cmpx_eq_u16_e32 0x80, v1
; %bb.1120:
	s_xor_b32 s30, exec_lo, -1
; %bb.1121:
	s_or_b32 exec_lo, exec_lo, s56
	s_delay_alu instid0(SALU_CYCLE_1)
	s_and_b32 s30, s30, exec_lo
	s_or_saveexec_b32 s31, s31
	v_mov_b64_e32 v[2:3], 0x7ff8000020000000
	s_xor_b32 exec_lo, exec_lo, s31
	s_cbranch_execnz .LBB143_1142
.LBB143_1122:
	s_or_b32 exec_lo, exec_lo, s31
	s_and_saveexec_b32 s31, s30
	s_cbranch_execz .LBB143_1124
.LBB143_1123:
	v_and_b32_e32 v2, 0xffff, v1
	s_delay_alu instid0(VALU_DEP_1) | instskip(SKIP_1) | instid1(VALU_DEP_2)
	v_and_b32_e32 v3, 3, v2
	v_bfe_u32 v9, v2, 2, 5
	v_clz_i32_u32_e32 v5, v3
	s_delay_alu instid0(VALU_DEP_2) | instskip(NEXT) | instid1(VALU_DEP_2)
	v_cmp_eq_u32_e32 vcc_lo, 0, v9
	v_min_u32_e32 v5, 32, v5
	s_delay_alu instid0(VALU_DEP_1) | instskip(NEXT) | instid1(VALU_DEP_1)
	v_subrev_nc_u32_e32 v7, 29, v5
	v_dual_lshlrev_b32 v2, v7, v2 :: v_dual_sub_nc_u32 v5, 30, v5
	s_delay_alu instid0(VALU_DEP_1) | instskip(NEXT) | instid1(VALU_DEP_1)
	v_dual_lshlrev_b32 v1, 24, v1 :: v_dual_bitop2_b32 v2, 3, v2 bitop3:0x40
	v_dual_cndmask_b32 v2, v3, v2 :: v_dual_cndmask_b32 v5, v9, v5
	s_delay_alu instid0(VALU_DEP_2) | instskip(NEXT) | instid1(VALU_DEP_2)
	v_and_b32_e32 v1, 0x80000000, v1
	v_lshlrev_b32_e32 v2, 21, v2
	s_delay_alu instid0(VALU_DEP_3) | instskip(NEXT) | instid1(VALU_DEP_1)
	v_lshl_add_u32 v3, v5, 23, 0x37800000
	v_or3_b32 v1, v1, v3, v2
	s_delay_alu instid0(VALU_DEP_1)
	v_cvt_f64_f32_e32 v[2:3], v1
.LBB143_1124:
	s_or_b32 exec_lo, exec_lo, s31
	s_mov_b32 s30, 0
	s_branch .LBB143_1130
.LBB143_1125:
	s_mov_b32 s31, -1
                                        ; implicit-def: $vgpr2_vgpr3
	s_branch .LBB143_1136
.LBB143_1126:
	s_or_saveexec_b32 s31, s31
	v_mov_b64_e32 v[2:3], 0x7ff8000020000000
	s_xor_b32 exec_lo, exec_lo, s31
	s_cbranch_execz .LBB143_1109
.LBB143_1127:
	v_cmp_ne_u16_e32 vcc_lo, 0, v1
	v_mov_b64_e32 v[2:3], 0
	s_and_not1_b32 s30, s30, exec_lo
	s_and_b32 s56, vcc_lo, exec_lo
	s_delay_alu instid0(SALU_CYCLE_1)
	s_or_b32 s30, s30, s56
	s_or_b32 exec_lo, exec_lo, s31
	s_and_saveexec_b32 s31, s30
	s_cbranch_execnz .LBB143_1110
	s_branch .LBB143_1111
.LBB143_1128:
	s_mov_b32 s30, -1
                                        ; implicit-def: $vgpr2_vgpr3
	s_branch .LBB143_1133
.LBB143_1129:
	s_mov_b32 s30, -1
                                        ; implicit-def: $vgpr2_vgpr3
.LBB143_1130:
	s_delay_alu instid0(SALU_CYCLE_1)
	s_and_b32 vcc_lo, exec_lo, s30
	s_cbranch_vccz .LBB143_1132
; %bb.1131:
	global_load_u8 v1, v[10:11], off
	s_wait_loadcnt 0x0
	v_lshlrev_b32_e32 v1, 24, v1
	s_delay_alu instid0(VALU_DEP_1) | instskip(NEXT) | instid1(VALU_DEP_1)
	v_and_b32_e32 v2, 0x7f000000, v1
	v_clz_i32_u32_e32 v3, v2
	v_cmp_ne_u32_e32 vcc_lo, 0, v2
	v_add_nc_u32_e32 v7, 0x1000000, v2
	s_delay_alu instid0(VALU_DEP_3) | instskip(NEXT) | instid1(VALU_DEP_1)
	v_min_u32_e32 v3, 32, v3
	v_sub_nc_u32_e64 v3, v3, 4 clamp
	s_delay_alu instid0(VALU_DEP_1) | instskip(NEXT) | instid1(VALU_DEP_1)
	v_dual_lshlrev_b32 v5, v3, v2 :: v_dual_lshlrev_b32 v3, 23, v3
	v_lshrrev_b32_e32 v5, 4, v5
	s_delay_alu instid0(VALU_DEP_1) | instskip(SKIP_1) | instid1(VALU_DEP_2)
	v_sub_nc_u32_e32 v3, v5, v3
	v_ashrrev_i32_e32 v5, 8, v7
	v_add_nc_u32_e32 v3, 0x3c000000, v3
	s_delay_alu instid0(VALU_DEP_1) | instskip(NEXT) | instid1(VALU_DEP_1)
	v_and_or_b32 v3, 0x7f800000, v5, v3
	v_cndmask_b32_e32 v2, 0, v3, vcc_lo
	s_delay_alu instid0(VALU_DEP_1) | instskip(NEXT) | instid1(VALU_DEP_1)
	v_and_or_b32 v1, 0x80000000, v1, v2
	v_cvt_f64_f32_e32 v[2:3], v1
.LBB143_1132:
	s_mov_b32 s30, 0
.LBB143_1133:
	s_delay_alu instid0(SALU_CYCLE_1)
	s_and_not1_b32 vcc_lo, exec_lo, s30
	s_cbranch_vccnz .LBB143_1135
; %bb.1134:
	global_load_u8 v1, v[10:11], off
	s_wait_loadcnt 0x0
	v_lshlrev_b32_e32 v2, 25, v1
	v_lshlrev_b16 v1, 8, v1
	s_delay_alu instid0(VALU_DEP_1) | instskip(NEXT) | instid1(VALU_DEP_3)
	v_and_or_b32 v5, 0x7f00, v1, 0.5
	v_lshrrev_b32_e32 v3, 4, v2
	v_bfe_i32 v1, v1, 0, 16
	s_delay_alu instid0(VALU_DEP_3) | instskip(NEXT) | instid1(VALU_DEP_3)
	v_add_f32_e32 v5, -0.5, v5
	v_or_b32_e32 v3, 0x70000000, v3
	s_delay_alu instid0(VALU_DEP_1) | instskip(SKIP_1) | instid1(VALU_DEP_2)
	v_mul_f32_e32 v3, 0x7800000, v3
	v_cmp_gt_u32_e32 vcc_lo, 0x8000000, v2
	v_cndmask_b32_e32 v2, v3, v5, vcc_lo
	s_delay_alu instid0(VALU_DEP_1) | instskip(NEXT) | instid1(VALU_DEP_1)
	v_and_or_b32 v1, 0x80000000, v1, v2
	v_cvt_f64_f32_e32 v[2:3], v1
.LBB143_1135:
	s_mov_b32 s31, 0
	s_mov_b32 s30, -1
.LBB143_1136:
	s_and_not1_b32 vcc_lo, exec_lo, s31
	s_cbranch_vccnz .LBB143_1149
; %bb.1137:
	s_cmp_gt_i32 s29, 14
	s_cbranch_scc0 .LBB143_1140
; %bb.1138:
	s_cmp_eq_u32 s29, 15
	s_cbranch_scc0 .LBB143_1143
; %bb.1139:
	global_load_u16 v1, v[10:11], off
	s_mov_b32 s30, -1
	s_mov_b32 s28, 0
	s_wait_loadcnt 0x0
	v_lshlrev_b32_e32 v1, 16, v1
	s_delay_alu instid0(VALU_DEP_1)
	v_cvt_f64_f32_e32 v[2:3], v1
	s_branch .LBB143_1144
.LBB143_1140:
	s_mov_b32 s31, -1
                                        ; implicit-def: $vgpr2_vgpr3
	s_branch .LBB143_1145
.LBB143_1141:
	s_or_saveexec_b32 s31, s31
	v_mov_b64_e32 v[2:3], 0x7ff8000020000000
	s_xor_b32 exec_lo, exec_lo, s31
	s_cbranch_execz .LBB143_1122
.LBB143_1142:
	v_cmp_ne_u16_e32 vcc_lo, 0, v1
	v_mov_b64_e32 v[2:3], 0
	s_and_not1_b32 s30, s30, exec_lo
	s_and_b32 s56, vcc_lo, exec_lo
	s_delay_alu instid0(SALU_CYCLE_1)
	s_or_b32 s30, s30, s56
	s_or_b32 exec_lo, exec_lo, s31
	s_and_saveexec_b32 s31, s30
	s_cbranch_execnz .LBB143_1123
	s_branch .LBB143_1124
.LBB143_1143:
	s_mov_b32 s28, -1
                                        ; implicit-def: $vgpr2_vgpr3
.LBB143_1144:
	s_mov_b32 s31, 0
.LBB143_1145:
	s_delay_alu instid0(SALU_CYCLE_1)
	s_and_b32 vcc_lo, exec_lo, s31
	s_cbranch_vccz .LBB143_1149
; %bb.1146:
	s_cmp_eq_u32 s29, 11
	s_cbranch_scc0 .LBB143_1148
; %bb.1147:
	global_load_u8 v1, v[10:11], off
	v_mov_b32_e32 v2, 0
	s_mov_b32 s28, 0
	s_mov_b32 s30, -1
	s_wait_loadcnt 0x0
	v_cmp_ne_u16_e32 vcc_lo, 0, v1
	v_cndmask_b32_e64 v3, 0, 0x3ff00000, vcc_lo
	s_branch .LBB143_1149
.LBB143_1148:
	s_mov_b32 s28, -1
                                        ; implicit-def: $vgpr2_vgpr3
.LBB143_1149:
	s_mov_b32 s29, 0
.LBB143_1150:
	s_delay_alu instid0(SALU_CYCLE_1)
	s_and_b32 vcc_lo, exec_lo, s29
	s_cbranch_vccz .LBB143_1199
; %bb.1151:
	s_and_b32 s0, 0xffff, s0
	s_delay_alu instid0(SALU_CYCLE_1)
	s_cmp_lt_i32 s0, 5
	s_cbranch_scc1 .LBB143_1156
; %bb.1152:
	s_cmp_lt_i32 s0, 8
	s_cbranch_scc1 .LBB143_1157
; %bb.1153:
	;; [unrolled: 3-line block ×3, first 2 shown]
	s_cmp_gt_i32 s0, 9
	s_cbranch_scc0 .LBB143_1159
; %bb.1155:
	global_load_b64 v[2:3], v[10:11], off
	s_mov_b32 s29, 0
	s_branch .LBB143_1160
.LBB143_1156:
	s_mov_b32 s29, -1
                                        ; implicit-def: $vgpr2_vgpr3
	s_branch .LBB143_1178
.LBB143_1157:
	s_mov_b32 s29, -1
                                        ; implicit-def: $vgpr2_vgpr3
	s_branch .LBB143_1166
.LBB143_1158:
	s_mov_b32 s29, -1
                                        ; implicit-def: $vgpr2_vgpr3
	s_branch .LBB143_1163
.LBB143_1159:
	s_mov_b32 s29, -1
                                        ; implicit-def: $vgpr2_vgpr3
.LBB143_1160:
	s_delay_alu instid0(SALU_CYCLE_1)
	s_and_not1_b32 vcc_lo, exec_lo, s29
	s_cbranch_vccnz .LBB143_1162
; %bb.1161:
	global_load_b32 v1, v[10:11], off
	s_wait_loadcnt 0x0
	v_cvt_f64_f32_e32 v[2:3], v1
.LBB143_1162:
	s_mov_b32 s29, 0
.LBB143_1163:
	s_delay_alu instid0(SALU_CYCLE_1)
	s_and_not1_b32 vcc_lo, exec_lo, s29
	s_cbranch_vccnz .LBB143_1165
; %bb.1164:
	global_load_b32 v1, v[10:11], off
	s_wait_loadcnt 0x0
	v_cvt_f32_f16_e32 v1, v1
	s_delay_alu instid0(VALU_DEP_1)
	v_cvt_f64_f32_e32 v[2:3], v1
.LBB143_1165:
	s_mov_b32 s29, 0
.LBB143_1166:
	s_delay_alu instid0(SALU_CYCLE_1)
	s_and_not1_b32 vcc_lo, exec_lo, s29
	s_cbranch_vccnz .LBB143_1177
; %bb.1167:
	s_cmp_lt_i32 s0, 6
	s_cbranch_scc1 .LBB143_1170
; %bb.1168:
	s_cmp_gt_i32 s0, 6
	s_cbranch_scc0 .LBB143_1171
; %bb.1169:
	s_wait_loadcnt 0x0
	global_load_b64 v[2:3], v[10:11], off
	s_mov_b32 s29, 0
	s_branch .LBB143_1172
.LBB143_1170:
	s_mov_b32 s29, -1
                                        ; implicit-def: $vgpr2_vgpr3
	s_branch .LBB143_1175
.LBB143_1171:
	s_mov_b32 s29, -1
                                        ; implicit-def: $vgpr2_vgpr3
.LBB143_1172:
	s_delay_alu instid0(SALU_CYCLE_1)
	s_and_not1_b32 vcc_lo, exec_lo, s29
	s_cbranch_vccnz .LBB143_1174
; %bb.1173:
	global_load_b32 v1, v[10:11], off
	s_wait_loadcnt 0x0
	v_cvt_f64_f32_e32 v[2:3], v1
.LBB143_1174:
	s_mov_b32 s29, 0
.LBB143_1175:
	s_delay_alu instid0(SALU_CYCLE_1)
	s_and_not1_b32 vcc_lo, exec_lo, s29
	s_cbranch_vccnz .LBB143_1177
; %bb.1176:
	global_load_u16 v1, v[10:11], off
	s_wait_loadcnt 0x0
	v_cvt_f32_f16_e32 v1, v1
	s_delay_alu instid0(VALU_DEP_1)
	v_cvt_f64_f32_e32 v[2:3], v1
.LBB143_1177:
	s_mov_b32 s29, 0
.LBB143_1178:
	s_delay_alu instid0(SALU_CYCLE_1)
	s_and_not1_b32 vcc_lo, exec_lo, s29
	s_cbranch_vccnz .LBB143_1198
; %bb.1179:
	s_cmp_lt_i32 s0, 2
	s_cbranch_scc1 .LBB143_1183
; %bb.1180:
	s_cmp_lt_i32 s0, 3
	s_cbranch_scc1 .LBB143_1184
; %bb.1181:
	s_cmp_gt_i32 s0, 3
	s_cbranch_scc0 .LBB143_1185
; %bb.1182:
	s_wait_loadcnt 0x0
	global_load_b64 v[2:3], v[10:11], off
	s_mov_b32 s29, 0
	s_wait_loadcnt 0x0
	v_cvt_f64_i32_e32 v[12:13], v3
	v_cvt_f64_u32_e32 v[2:3], v2
	s_delay_alu instid0(VALU_DEP_2) | instskip(NEXT) | instid1(VALU_DEP_1)
	v_ldexp_f64 v[12:13], v[12:13], 32
	v_add_f64_e32 v[2:3], v[12:13], v[2:3]
	s_branch .LBB143_1186
.LBB143_1183:
	s_mov_b32 s29, -1
                                        ; implicit-def: $vgpr2_vgpr3
	s_branch .LBB143_1192
.LBB143_1184:
	s_mov_b32 s29, -1
                                        ; implicit-def: $vgpr2_vgpr3
	s_branch .LBB143_1189
.LBB143_1185:
	s_mov_b32 s29, -1
                                        ; implicit-def: $vgpr2_vgpr3
.LBB143_1186:
	s_delay_alu instid0(SALU_CYCLE_1)
	s_and_not1_b32 vcc_lo, exec_lo, s29
	s_cbranch_vccnz .LBB143_1188
; %bb.1187:
	global_load_b32 v1, v[10:11], off
	s_wait_loadcnt 0x0
	v_cvt_f64_i32_e32 v[2:3], v1
.LBB143_1188:
	s_mov_b32 s29, 0
.LBB143_1189:
	s_delay_alu instid0(SALU_CYCLE_1)
	s_and_not1_b32 vcc_lo, exec_lo, s29
	s_cbranch_vccnz .LBB143_1191
; %bb.1190:
	global_load_i16 v1, v[10:11], off
	s_wait_loadcnt 0x0
	v_cvt_f64_i32_e32 v[2:3], v1
.LBB143_1191:
	s_mov_b32 s29, 0
.LBB143_1192:
	s_delay_alu instid0(SALU_CYCLE_1)
	s_and_not1_b32 vcc_lo, exec_lo, s29
	s_cbranch_vccnz .LBB143_1198
; %bb.1193:
	s_cmp_gt_i32 s0, 0
	s_mov_b32 s0, 0
	s_cbranch_scc0 .LBB143_1195
; %bb.1194:
	global_load_i8 v1, v[10:11], off
	s_wait_loadcnt 0x0
	v_cvt_f64_i32_e32 v[2:3], v1
	s_branch .LBB143_1196
.LBB143_1195:
	s_mov_b32 s0, -1
                                        ; implicit-def: $vgpr2_vgpr3
.LBB143_1196:
	s_delay_alu instid0(SALU_CYCLE_1)
	s_and_not1_b32 vcc_lo, exec_lo, s0
	s_cbranch_vccnz .LBB143_1198
; %bb.1197:
	global_load_u8 v1, v[10:11], off
	s_wait_loadcnt 0x0
	v_cvt_f64_u32_e32 v[2:3], v1
.LBB143_1198:
	s_mov_b32 s30, -1
.LBB143_1199:
	s_delay_alu instid0(SALU_CYCLE_1)
	s_and_not1_b32 vcc_lo, exec_lo, s30
	s_cbranch_vccnz .LBB143_1207
; %bb.1200:
	v_mov_b32_e32 v9, 0
	s_and_b32 s0, s39, 0xff
	s_delay_alu instid0(SALU_CYCLE_1) | instskip(SKIP_1) | instid1(VALU_DEP_1)
	s_cmp_lt_i32 s0, 11
	s_wait_xcnt 0x0
	v_add_nc_u64_e32 v[10:11], s[8:9], v[8:9]
	s_cbranch_scc1 .LBB143_1208
; %bb.1201:
	s_and_b32 s30, 0xffff, s0
	s_delay_alu instid0(SALU_CYCLE_1)
	s_cmp_gt_i32 s30, 25
	s_cbranch_scc0 .LBB143_1209
; %bb.1202:
	s_cmp_gt_i32 s30, 28
	s_cbranch_scc0 .LBB143_1210
; %bb.1203:
	;; [unrolled: 3-line block ×4, first 2 shown]
	s_cmp_eq_u32 s30, 46
	s_mov_b32 s56, 0
	s_cbranch_scc0 .LBB143_1215
; %bb.1206:
	global_load_b32 v1, v[10:11], off
	s_mov_b32 s31, -1
	s_mov_b32 s29, 0
	s_wait_loadcnt 0x0
	v_lshlrev_b32_e32 v1, 16, v1
	s_delay_alu instid0(VALU_DEP_1)
	v_cvt_f64_f32_e32 v[8:9], v1
	s_branch .LBB143_1217
.LBB143_1207:
	s_mov_b32 s31, 0
	s_mov_b32 s0, s51
	;; [unrolled: 1-line block ×4, first 2 shown]
	s_branch .LBB143_1588
.LBB143_1208:
	s_mov_b32 s30, -1
	s_mov_b32 s31, 0
	s_mov_b32 s29, s53
                                        ; implicit-def: $vgpr8_vgpr9
	s_branch .LBB143_1282
.LBB143_1209:
	s_mov_b32 s56, -1
	s_mov_b32 s31, 0
	s_mov_b32 s29, s53
                                        ; implicit-def: $vgpr8_vgpr9
	s_branch .LBB143_1246
.LBB143_1210:
	s_mov_b32 s56, -1
	s_mov_b32 s31, 0
	s_mov_b32 s29, s53
                                        ; implicit-def: $vgpr8_vgpr9
	s_branch .LBB143_1227
.LBB143_1211:
	s_mov_b32 s56, -1
	s_mov_b32 s31, 0
	s_mov_b32 s29, s53
                                        ; implicit-def: $vgpr8_vgpr9
	s_branch .LBB143_1222
.LBB143_1212:
	s_mov_b32 s56, -1
	s_mov_b32 s31, 0
	s_mov_b32 s29, s53
	s_branch .LBB143_1216
.LBB143_1213:
	s_and_not1_saveexec_b32 s53, s53
	s_cbranch_execz .LBB143_965
.LBB143_1214:
	v_add_f32_e64 v3, 0x46000000, |v2|
	s_and_not1_b32 s52, s52, exec_lo
	s_delay_alu instid0(VALU_DEP_1) | instskip(NEXT) | instid1(VALU_DEP_1)
	v_and_b32_e32 v3, 0xff, v3
	v_cmp_ne_u32_e32 vcc_lo, 0, v3
	s_and_b32 s55, vcc_lo, exec_lo
	s_delay_alu instid0(SALU_CYCLE_1)
	s_or_b32 s52, s52, s55
	s_or_b32 exec_lo, exec_lo, s53
	v_mov_b32_e32 v5, 0
	s_and_saveexec_b32 s53, s52
	s_cbranch_execnz .LBB143_966
	s_branch .LBB143_967
.LBB143_1215:
	s_mov_b32 s29, -1
	s_mov_b32 s31, 0
.LBB143_1216:
                                        ; implicit-def: $vgpr8_vgpr9
.LBB143_1217:
	s_and_b32 vcc_lo, exec_lo, s56
	s_cbranch_vccz .LBB143_1221
; %bb.1218:
	s_cmp_eq_u32 s30, 44
	s_cbranch_scc0 .LBB143_1220
; %bb.1219:
	global_load_u8 v1, v[10:11], off
	s_mov_b32 s29, 0
	s_mov_b32 s31, -1
	s_wait_loadcnt 0x0
	v_lshlrev_b32_e32 v5, 23, v1
	v_cmp_ne_u32_e32 vcc_lo, 0xff, v1
	s_delay_alu instid0(VALU_DEP_2) | instskip(NEXT) | instid1(VALU_DEP_1)
	v_cvt_f64_f32_e32 v[8:9], v5
	v_cndmask_b32_e32 v5, 0x20000000, v8, vcc_lo
	s_delay_alu instid0(VALU_DEP_2) | instskip(SKIP_1) | instid1(VALU_DEP_2)
	v_cndmask_b32_e32 v7, 0x7ff80000, v9, vcc_lo
	v_cmp_ne_u32_e32 vcc_lo, 0, v1
	v_cndmask_b32_e32 v9, 0x38000000, v7, vcc_lo
	s_delay_alu instid0(VALU_DEP_4)
	v_cndmask_b32_e32 v8, 0, v5, vcc_lo
	s_branch .LBB143_1221
.LBB143_1220:
	s_mov_b32 s29, -1
                                        ; implicit-def: $vgpr8_vgpr9
.LBB143_1221:
	s_mov_b32 s56, 0
.LBB143_1222:
	s_delay_alu instid0(SALU_CYCLE_1)
	s_and_b32 vcc_lo, exec_lo, s56
	s_cbranch_vccz .LBB143_1226
; %bb.1223:
	s_cmp_eq_u32 s30, 29
	s_cbranch_scc0 .LBB143_1225
; %bb.1224:
	global_load_b64 v[8:9], v[10:11], off
	s_mov_b32 s31, -1
	s_mov_b32 s29, 0
	s_mov_b32 s56, 0
	s_wait_loadcnt 0x0
	v_cvt_f64_u32_e32 v[12:13], v9
	v_cvt_f64_u32_e32 v[8:9], v8
	s_delay_alu instid0(VALU_DEP_2) | instskip(NEXT) | instid1(VALU_DEP_1)
	v_ldexp_f64 v[12:13], v[12:13], 32
	v_add_f64_e32 v[8:9], v[12:13], v[8:9]
	s_branch .LBB143_1227
.LBB143_1225:
	s_mov_b32 s29, -1
                                        ; implicit-def: $vgpr8_vgpr9
.LBB143_1226:
	s_mov_b32 s56, 0
.LBB143_1227:
	s_delay_alu instid0(SALU_CYCLE_1)
	s_and_b32 vcc_lo, exec_lo, s56
	s_cbranch_vccz .LBB143_1245
; %bb.1228:
	s_cmp_lt_i32 s30, 27
	s_cbranch_scc1 .LBB143_1231
; %bb.1229:
	s_cmp_gt_i32 s30, 27
	s_cbranch_scc0 .LBB143_1232
; %bb.1230:
	global_load_b32 v1, v[10:11], off
	s_mov_b32 s31, 0
	s_wait_loadcnt 0x0
	v_cvt_f64_u32_e32 v[8:9], v1
	s_branch .LBB143_1233
.LBB143_1231:
	s_mov_b32 s31, -1
                                        ; implicit-def: $vgpr8_vgpr9
	s_branch .LBB143_1236
.LBB143_1232:
	s_mov_b32 s31, -1
                                        ; implicit-def: $vgpr8_vgpr9
.LBB143_1233:
	s_delay_alu instid0(SALU_CYCLE_1)
	s_and_not1_b32 vcc_lo, exec_lo, s31
	s_cbranch_vccnz .LBB143_1235
; %bb.1234:
	global_load_u16 v1, v[10:11], off
	s_wait_loadcnt 0x0
	v_cvt_f64_u32_e32 v[8:9], v1
.LBB143_1235:
	s_mov_b32 s31, 0
.LBB143_1236:
	s_delay_alu instid0(SALU_CYCLE_1)
	s_and_not1_b32 vcc_lo, exec_lo, s31
	s_cbranch_vccnz .LBB143_1244
; %bb.1237:
	global_load_u8 v1, v[10:11], off
	s_mov_b32 s31, 0
	s_mov_b32 s56, exec_lo
	s_wait_loadcnt 0x0
	v_cmpx_lt_i16_e32 0x7f, v1
	s_xor_b32 s56, exec_lo, s56
	s_cbranch_execz .LBB143_1258
; %bb.1238:
	s_mov_b32 s31, -1
	s_mov_b32 s57, exec_lo
	v_cmpx_eq_u16_e32 0x80, v1
; %bb.1239:
	s_xor_b32 s31, exec_lo, -1
; %bb.1240:
	s_or_b32 exec_lo, exec_lo, s57
	s_delay_alu instid0(SALU_CYCLE_1)
	s_and_b32 s31, s31, exec_lo
	s_or_saveexec_b32 s56, s56
	v_mov_b64_e32 v[8:9], 0x7ff8000020000000
	s_xor_b32 exec_lo, exec_lo, s56
	s_cbranch_execnz .LBB143_1259
.LBB143_1241:
	s_or_b32 exec_lo, exec_lo, s56
	s_and_saveexec_b32 s56, s31
	s_cbranch_execz .LBB143_1243
.LBB143_1242:
	v_and_b32_e32 v5, 0xffff, v1
	s_delay_alu instid0(VALU_DEP_1) | instskip(SKIP_1) | instid1(VALU_DEP_2)
	v_and_b32_e32 v7, 7, v5
	v_bfe_u32 v12, v5, 3, 4
	v_clz_i32_u32_e32 v8, v7
	s_delay_alu instid0(VALU_DEP_2) | instskip(NEXT) | instid1(VALU_DEP_2)
	v_cmp_eq_u32_e32 vcc_lo, 0, v12
	v_min_u32_e32 v8, 32, v8
	s_delay_alu instid0(VALU_DEP_1) | instskip(NEXT) | instid1(VALU_DEP_1)
	v_subrev_nc_u32_e32 v9, 28, v8
	v_dual_lshlrev_b32 v5, v9, v5 :: v_dual_sub_nc_u32 v8, 29, v8
	s_delay_alu instid0(VALU_DEP_1) | instskip(NEXT) | instid1(VALU_DEP_2)
	v_and_b32_e32 v5, 7, v5
	v_dual_cndmask_b32 v8, v12, v8 :: v_dual_lshlrev_b32 v1, 24, v1
	s_delay_alu instid0(VALU_DEP_2) | instskip(NEXT) | instid1(VALU_DEP_2)
	v_cndmask_b32_e32 v5, v7, v5, vcc_lo
	v_and_b32_e32 v1, 0x80000000, v1
	s_delay_alu instid0(VALU_DEP_3) | instskip(NEXT) | instid1(VALU_DEP_3)
	v_lshl_add_u32 v7, v8, 23, 0x3b800000
	v_lshlrev_b32_e32 v5, 20, v5
	s_delay_alu instid0(VALU_DEP_1) | instskip(NEXT) | instid1(VALU_DEP_1)
	v_or3_b32 v1, v1, v7, v5
	v_cvt_f64_f32_e32 v[8:9], v1
.LBB143_1243:
	s_or_b32 exec_lo, exec_lo, s56
.LBB143_1244:
	s_mov_b32 s31, -1
.LBB143_1245:
	s_mov_b32 s56, 0
.LBB143_1246:
	s_delay_alu instid0(SALU_CYCLE_1)
	s_and_b32 vcc_lo, exec_lo, s56
	s_cbranch_vccz .LBB143_1281
; %bb.1247:
	s_cmp_gt_i32 s30, 22
	s_cbranch_scc0 .LBB143_1257
; %bb.1248:
	s_cmp_lt_i32 s30, 24
	s_cbranch_scc1 .LBB143_1260
; %bb.1249:
	s_cmp_gt_i32 s30, 24
	s_cbranch_scc0 .LBB143_1261
; %bb.1250:
	global_load_u8 v1, v[10:11], off
	s_mov_b32 s31, 0
	s_mov_b32 s56, exec_lo
	s_wait_loadcnt 0x0
	v_cmpx_lt_i16_e32 0x7f, v1
	s_xor_b32 s56, exec_lo, s56
	s_cbranch_execz .LBB143_1273
; %bb.1251:
	s_mov_b32 s31, -1
	s_mov_b32 s57, exec_lo
	v_cmpx_eq_u16_e32 0x80, v1
; %bb.1252:
	s_xor_b32 s31, exec_lo, -1
; %bb.1253:
	s_or_b32 exec_lo, exec_lo, s57
	s_delay_alu instid0(SALU_CYCLE_1)
	s_and_b32 s31, s31, exec_lo
	s_or_saveexec_b32 s56, s56
	v_mov_b64_e32 v[8:9], 0x7ff8000020000000
	s_xor_b32 exec_lo, exec_lo, s56
	s_cbranch_execnz .LBB143_1274
.LBB143_1254:
	s_or_b32 exec_lo, exec_lo, s56
	s_and_saveexec_b32 s56, s31
	s_cbranch_execz .LBB143_1256
.LBB143_1255:
	v_and_b32_e32 v5, 0xffff, v1
	s_delay_alu instid0(VALU_DEP_1) | instskip(SKIP_1) | instid1(VALU_DEP_2)
	v_and_b32_e32 v7, 3, v5
	v_bfe_u32 v12, v5, 2, 5
	v_clz_i32_u32_e32 v8, v7
	s_delay_alu instid0(VALU_DEP_2) | instskip(NEXT) | instid1(VALU_DEP_2)
	v_cmp_eq_u32_e32 vcc_lo, 0, v12
	v_min_u32_e32 v8, 32, v8
	s_delay_alu instid0(VALU_DEP_1) | instskip(NEXT) | instid1(VALU_DEP_1)
	v_subrev_nc_u32_e32 v9, 29, v8
	v_dual_lshlrev_b32 v5, v9, v5 :: v_dual_sub_nc_u32 v8, 30, v8
	s_delay_alu instid0(VALU_DEP_1) | instskip(NEXT) | instid1(VALU_DEP_2)
	v_and_b32_e32 v5, 3, v5
	v_dual_cndmask_b32 v8, v12, v8 :: v_dual_lshlrev_b32 v1, 24, v1
	s_delay_alu instid0(VALU_DEP_2) | instskip(NEXT) | instid1(VALU_DEP_2)
	v_cndmask_b32_e32 v5, v7, v5, vcc_lo
	v_and_b32_e32 v1, 0x80000000, v1
	s_delay_alu instid0(VALU_DEP_3) | instskip(NEXT) | instid1(VALU_DEP_3)
	v_lshl_add_u32 v7, v8, 23, 0x37800000
	v_lshlrev_b32_e32 v5, 21, v5
	s_delay_alu instid0(VALU_DEP_1) | instskip(NEXT) | instid1(VALU_DEP_1)
	v_or3_b32 v1, v1, v7, v5
	v_cvt_f64_f32_e32 v[8:9], v1
.LBB143_1256:
	s_or_b32 exec_lo, exec_lo, s56
	s_mov_b32 s31, 0
	s_branch .LBB143_1262
.LBB143_1257:
	s_mov_b32 s56, -1
                                        ; implicit-def: $vgpr8_vgpr9
	s_branch .LBB143_1268
.LBB143_1258:
	s_or_saveexec_b32 s56, s56
	v_mov_b64_e32 v[8:9], 0x7ff8000020000000
	s_xor_b32 exec_lo, exec_lo, s56
	s_cbranch_execz .LBB143_1241
.LBB143_1259:
	v_cmp_ne_u16_e32 vcc_lo, 0, v1
	v_mov_b64_e32 v[8:9], 0
	s_and_not1_b32 s31, s31, exec_lo
	s_and_b32 s57, vcc_lo, exec_lo
	s_delay_alu instid0(SALU_CYCLE_1)
	s_or_b32 s31, s31, s57
	s_or_b32 exec_lo, exec_lo, s56
	s_and_saveexec_b32 s56, s31
	s_cbranch_execnz .LBB143_1242
	s_branch .LBB143_1243
.LBB143_1260:
	s_mov_b32 s31, -1
                                        ; implicit-def: $vgpr8_vgpr9
	s_branch .LBB143_1265
.LBB143_1261:
	s_mov_b32 s31, -1
                                        ; implicit-def: $vgpr8_vgpr9
.LBB143_1262:
	s_delay_alu instid0(SALU_CYCLE_1)
	s_and_b32 vcc_lo, exec_lo, s31
	s_cbranch_vccz .LBB143_1264
; %bb.1263:
	global_load_u8 v1, v[10:11], off
	s_wait_loadcnt 0x0
	v_lshlrev_b32_e32 v1, 24, v1
	s_delay_alu instid0(VALU_DEP_1) | instskip(NEXT) | instid1(VALU_DEP_1)
	v_and_b32_e32 v5, 0x7f000000, v1
	v_clz_i32_u32_e32 v7, v5
	v_add_nc_u32_e32 v9, 0x1000000, v5
	v_cmp_ne_u32_e32 vcc_lo, 0, v5
	s_delay_alu instid0(VALU_DEP_3) | instskip(NEXT) | instid1(VALU_DEP_1)
	v_min_u32_e32 v7, 32, v7
	v_sub_nc_u32_e64 v7, v7, 4 clamp
	s_delay_alu instid0(VALU_DEP_1) | instskip(NEXT) | instid1(VALU_DEP_1)
	v_dual_lshlrev_b32 v8, v7, v5 :: v_dual_lshlrev_b32 v7, 23, v7
	v_lshrrev_b32_e32 v8, 4, v8
	s_delay_alu instid0(VALU_DEP_1) | instskip(NEXT) | instid1(VALU_DEP_1)
	v_dual_sub_nc_u32 v7, v8, v7 :: v_dual_ashrrev_i32 v8, 8, v9
	v_add_nc_u32_e32 v7, 0x3c000000, v7
	s_delay_alu instid0(VALU_DEP_1) | instskip(NEXT) | instid1(VALU_DEP_1)
	v_and_or_b32 v7, 0x7f800000, v8, v7
	v_cndmask_b32_e32 v5, 0, v7, vcc_lo
	s_delay_alu instid0(VALU_DEP_1) | instskip(NEXT) | instid1(VALU_DEP_1)
	v_and_or_b32 v1, 0x80000000, v1, v5
	v_cvt_f64_f32_e32 v[8:9], v1
.LBB143_1264:
	s_mov_b32 s31, 0
.LBB143_1265:
	s_delay_alu instid0(SALU_CYCLE_1)
	s_and_not1_b32 vcc_lo, exec_lo, s31
	s_cbranch_vccnz .LBB143_1267
; %bb.1266:
	global_load_u8 v1, v[10:11], off
	s_wait_loadcnt 0x0
	v_lshlrev_b32_e32 v5, 25, v1
	v_lshlrev_b16 v1, 8, v1
	s_delay_alu instid0(VALU_DEP_1) | instskip(SKIP_1) | instid1(VALU_DEP_2)
	v_and_or_b32 v8, 0x7f00, v1, 0.5
	v_bfe_i32 v1, v1, 0, 16
	v_dual_add_f32 v8, -0.5, v8 :: v_dual_lshrrev_b32 v7, 4, v5
	v_cmp_gt_u32_e32 vcc_lo, 0x8000000, v5
	s_delay_alu instid0(VALU_DEP_2) | instskip(NEXT) | instid1(VALU_DEP_1)
	v_or_b32_e32 v7, 0x70000000, v7
	v_mul_f32_e32 v7, 0x7800000, v7
	s_delay_alu instid0(VALU_DEP_1) | instskip(NEXT) | instid1(VALU_DEP_1)
	v_cndmask_b32_e32 v5, v7, v8, vcc_lo
	v_and_or_b32 v1, 0x80000000, v1, v5
	s_delay_alu instid0(VALU_DEP_1)
	v_cvt_f64_f32_e32 v[8:9], v1
.LBB143_1267:
	s_mov_b32 s56, 0
	s_mov_b32 s31, -1
.LBB143_1268:
	s_and_not1_b32 vcc_lo, exec_lo, s56
	s_cbranch_vccnz .LBB143_1281
; %bb.1269:
	s_cmp_gt_i32 s30, 14
	s_cbranch_scc0 .LBB143_1272
; %bb.1270:
	s_cmp_eq_u32 s30, 15
	s_cbranch_scc0 .LBB143_1275
; %bb.1271:
	global_load_u16 v1, v[10:11], off
	s_mov_b32 s31, -1
	s_mov_b32 s29, 0
	s_wait_loadcnt 0x0
	v_lshlrev_b32_e32 v1, 16, v1
	s_delay_alu instid0(VALU_DEP_1)
	v_cvt_f64_f32_e32 v[8:9], v1
	s_branch .LBB143_1276
.LBB143_1272:
	s_mov_b32 s56, -1
                                        ; implicit-def: $vgpr8_vgpr9
	s_branch .LBB143_1277
.LBB143_1273:
	s_or_saveexec_b32 s56, s56
	v_mov_b64_e32 v[8:9], 0x7ff8000020000000
	s_xor_b32 exec_lo, exec_lo, s56
	s_cbranch_execz .LBB143_1254
.LBB143_1274:
	v_cmp_ne_u16_e32 vcc_lo, 0, v1
	v_mov_b64_e32 v[8:9], 0
	s_and_not1_b32 s31, s31, exec_lo
	s_and_b32 s57, vcc_lo, exec_lo
	s_delay_alu instid0(SALU_CYCLE_1)
	s_or_b32 s31, s31, s57
	s_or_b32 exec_lo, exec_lo, s56
	s_and_saveexec_b32 s56, s31
	s_cbranch_execnz .LBB143_1255
	s_branch .LBB143_1256
.LBB143_1275:
	s_mov_b32 s29, -1
                                        ; implicit-def: $vgpr8_vgpr9
.LBB143_1276:
	s_mov_b32 s56, 0
.LBB143_1277:
	s_delay_alu instid0(SALU_CYCLE_1)
	s_and_b32 vcc_lo, exec_lo, s56
	s_cbranch_vccz .LBB143_1281
; %bb.1278:
	s_cmp_eq_u32 s30, 11
	s_cbranch_scc0 .LBB143_1280
; %bb.1279:
	global_load_u8 v1, v[10:11], off
	v_mov_b32_e32 v8, 0
	s_mov_b32 s29, 0
	s_mov_b32 s31, -1
	s_wait_loadcnt 0x0
	v_cmp_ne_u16_e32 vcc_lo, 0, v1
	v_cndmask_b32_e64 v9, 0, 0x3ff00000, vcc_lo
	s_branch .LBB143_1281
.LBB143_1280:
	s_mov_b32 s29, -1
                                        ; implicit-def: $vgpr8_vgpr9
.LBB143_1281:
	s_mov_b32 s30, 0
.LBB143_1282:
	s_delay_alu instid0(SALU_CYCLE_1)
	s_and_b32 vcc_lo, exec_lo, s30
	s_cbranch_vccz .LBB143_1331
; %bb.1283:
	s_and_b32 s0, 0xffff, s0
	s_delay_alu instid0(SALU_CYCLE_1)
	s_cmp_lt_i32 s0, 5
	s_cbranch_scc1 .LBB143_1288
; %bb.1284:
	s_cmp_lt_i32 s0, 8
	s_cbranch_scc1 .LBB143_1289
; %bb.1285:
	;; [unrolled: 3-line block ×3, first 2 shown]
	s_cmp_gt_i32 s0, 9
	s_cbranch_scc0 .LBB143_1291
; %bb.1287:
	global_load_b64 v[8:9], v[10:11], off
	s_mov_b32 s30, 0
	s_branch .LBB143_1292
.LBB143_1288:
	s_mov_b32 s30, -1
                                        ; implicit-def: $vgpr8_vgpr9
	s_branch .LBB143_1310
.LBB143_1289:
	s_mov_b32 s30, -1
                                        ; implicit-def: $vgpr8_vgpr9
	s_branch .LBB143_1298
.LBB143_1290:
	s_mov_b32 s30, -1
                                        ; implicit-def: $vgpr8_vgpr9
	s_branch .LBB143_1295
.LBB143_1291:
	s_mov_b32 s30, -1
                                        ; implicit-def: $vgpr8_vgpr9
.LBB143_1292:
	s_delay_alu instid0(SALU_CYCLE_1)
	s_and_not1_b32 vcc_lo, exec_lo, s30
	s_cbranch_vccnz .LBB143_1294
; %bb.1293:
	global_load_b32 v1, v[10:11], off
	s_wait_loadcnt 0x0
	v_cvt_f64_f32_e32 v[8:9], v1
.LBB143_1294:
	s_mov_b32 s30, 0
.LBB143_1295:
	s_delay_alu instid0(SALU_CYCLE_1)
	s_and_not1_b32 vcc_lo, exec_lo, s30
	s_cbranch_vccnz .LBB143_1297
; %bb.1296:
	global_load_b32 v1, v[10:11], off
	s_wait_loadcnt 0x0
	v_cvt_f32_f16_e32 v1, v1
	s_delay_alu instid0(VALU_DEP_1)
	v_cvt_f64_f32_e32 v[8:9], v1
.LBB143_1297:
	s_mov_b32 s30, 0
.LBB143_1298:
	s_delay_alu instid0(SALU_CYCLE_1)
	s_and_not1_b32 vcc_lo, exec_lo, s30
	s_cbranch_vccnz .LBB143_1309
; %bb.1299:
	s_cmp_lt_i32 s0, 6
	s_cbranch_scc1 .LBB143_1302
; %bb.1300:
	s_cmp_gt_i32 s0, 6
	s_cbranch_scc0 .LBB143_1303
; %bb.1301:
	s_wait_loadcnt 0x0
	global_load_b64 v[8:9], v[10:11], off
	s_mov_b32 s30, 0
	s_branch .LBB143_1304
.LBB143_1302:
	s_mov_b32 s30, -1
                                        ; implicit-def: $vgpr8_vgpr9
	s_branch .LBB143_1307
.LBB143_1303:
	s_mov_b32 s30, -1
                                        ; implicit-def: $vgpr8_vgpr9
.LBB143_1304:
	s_delay_alu instid0(SALU_CYCLE_1)
	s_and_not1_b32 vcc_lo, exec_lo, s30
	s_cbranch_vccnz .LBB143_1306
; %bb.1305:
	global_load_b32 v1, v[10:11], off
	s_wait_loadcnt 0x0
	v_cvt_f64_f32_e32 v[8:9], v1
.LBB143_1306:
	s_mov_b32 s30, 0
.LBB143_1307:
	s_delay_alu instid0(SALU_CYCLE_1)
	s_and_not1_b32 vcc_lo, exec_lo, s30
	s_cbranch_vccnz .LBB143_1309
; %bb.1308:
	global_load_u16 v1, v[10:11], off
	s_wait_loadcnt 0x0
	v_cvt_f32_f16_e32 v1, v1
	s_delay_alu instid0(VALU_DEP_1)
	v_cvt_f64_f32_e32 v[8:9], v1
.LBB143_1309:
	s_mov_b32 s30, 0
.LBB143_1310:
	s_delay_alu instid0(SALU_CYCLE_1)
	s_and_not1_b32 vcc_lo, exec_lo, s30
	s_cbranch_vccnz .LBB143_1330
; %bb.1311:
	s_cmp_lt_i32 s0, 2
	s_cbranch_scc1 .LBB143_1315
; %bb.1312:
	s_cmp_lt_i32 s0, 3
	s_cbranch_scc1 .LBB143_1316
; %bb.1313:
	s_cmp_gt_i32 s0, 3
	s_cbranch_scc0 .LBB143_1317
; %bb.1314:
	s_wait_loadcnt 0x0
	global_load_b64 v[8:9], v[10:11], off
	s_mov_b32 s30, 0
	s_wait_loadcnt 0x0
	v_cvt_f64_i32_e32 v[12:13], v9
	v_cvt_f64_u32_e32 v[8:9], v8
	s_delay_alu instid0(VALU_DEP_2) | instskip(NEXT) | instid1(VALU_DEP_1)
	v_ldexp_f64 v[12:13], v[12:13], 32
	v_add_f64_e32 v[8:9], v[12:13], v[8:9]
	s_branch .LBB143_1318
.LBB143_1315:
	s_mov_b32 s30, -1
                                        ; implicit-def: $vgpr8_vgpr9
	s_branch .LBB143_1324
.LBB143_1316:
	s_mov_b32 s30, -1
                                        ; implicit-def: $vgpr8_vgpr9
	s_branch .LBB143_1321
.LBB143_1317:
	s_mov_b32 s30, -1
                                        ; implicit-def: $vgpr8_vgpr9
.LBB143_1318:
	s_delay_alu instid0(SALU_CYCLE_1)
	s_and_not1_b32 vcc_lo, exec_lo, s30
	s_cbranch_vccnz .LBB143_1320
; %bb.1319:
	global_load_b32 v1, v[10:11], off
	s_wait_loadcnt 0x0
	v_cvt_f64_i32_e32 v[8:9], v1
.LBB143_1320:
	s_mov_b32 s30, 0
.LBB143_1321:
	s_delay_alu instid0(SALU_CYCLE_1)
	s_and_not1_b32 vcc_lo, exec_lo, s30
	s_cbranch_vccnz .LBB143_1323
; %bb.1322:
	global_load_i16 v1, v[10:11], off
	s_wait_loadcnt 0x0
	v_cvt_f64_i32_e32 v[8:9], v1
.LBB143_1323:
	s_mov_b32 s30, 0
.LBB143_1324:
	s_delay_alu instid0(SALU_CYCLE_1)
	s_and_not1_b32 vcc_lo, exec_lo, s30
	s_cbranch_vccnz .LBB143_1330
; %bb.1325:
	s_cmp_gt_i32 s0, 0
	s_mov_b32 s0, 0
	s_cbranch_scc0 .LBB143_1327
; %bb.1326:
	global_load_i8 v1, v[10:11], off
	s_wait_loadcnt 0x0
	v_cvt_f64_i32_e32 v[8:9], v1
	s_branch .LBB143_1328
.LBB143_1327:
	s_mov_b32 s0, -1
                                        ; implicit-def: $vgpr8_vgpr9
.LBB143_1328:
	s_delay_alu instid0(SALU_CYCLE_1)
	s_and_not1_b32 vcc_lo, exec_lo, s0
	s_cbranch_vccnz .LBB143_1330
; %bb.1329:
	global_load_u8 v1, v[10:11], off
	s_wait_loadcnt 0x0
	v_cvt_f64_u32_e32 v[8:9], v1
.LBB143_1330:
	s_mov_b32 s31, -1
.LBB143_1331:
	s_delay_alu instid0(SALU_CYCLE_1)
	s_and_not1_b32 vcc_lo, exec_lo, s31
	s_cbranch_vccnz .LBB143_1339
; %bb.1332:
	v_mov_b32_e32 v7, 0
	s_and_b32 s0, 0xffff, s21
	s_delay_alu instid0(SALU_CYCLE_1) | instskip(NEXT) | instid1(VALU_DEP_1)
	s_cmp_lt_i32 s0, 11
	v_add_nc_u64_e32 v[6:7], s[10:11], v[6:7]
	s_cbranch_scc1 .LBB143_1340
; %bb.1333:
	s_cmp_gt_i32 s0, 25
	s_cbranch_scc0 .LBB143_1341
; %bb.1334:
	s_cmp_gt_i32 s0, 28
	s_cbranch_scc0 .LBB143_1342
	;; [unrolled: 3-line block ×4, first 2 shown]
; %bb.1337:
	s_cmp_eq_u32 s0, 46
	s_mov_b32 s56, 0
	s_cbranch_scc0 .LBB143_1347
; %bb.1338:
	global_load_b32 v1, v[6:7], off
	s_mov_b32 s31, -1
	s_mov_b32 s30, 0
	s_wait_loadcnt 0x0
	v_lshlrev_b32_e32 v1, 16, v1
	s_wait_xcnt 0x1
	s_delay_alu instid0(VALU_DEP_1)
	v_cvt_f64_f32_e32 v[10:11], v1
	s_branch .LBB143_1349
.LBB143_1339:
	s_mov_b32 s31, 0
	s_mov_b32 s0, s51
	;; [unrolled: 1-line block ×3, first 2 shown]
	s_branch .LBB143_1588
.LBB143_1340:
	s_mov_b32 s56, -1
	s_mov_b32 s31, 0
	s_mov_b32 s30, s52
                                        ; implicit-def: $vgpr10_vgpr11
	s_branch .LBB143_1414
.LBB143_1341:
	s_mov_b32 s56, -1
	s_mov_b32 s31, 0
	s_mov_b32 s30, s52
                                        ; implicit-def: $vgpr10_vgpr11
	s_branch .LBB143_1378
.LBB143_1342:
	s_mov_b32 s56, -1
	s_mov_b32 s31, 0
	s_mov_b32 s30, s52
                                        ; implicit-def: $vgpr10_vgpr11
	s_branch .LBB143_1359
.LBB143_1343:
	s_mov_b32 s56, -1
	s_mov_b32 s31, 0
	s_mov_b32 s30, s52
                                        ; implicit-def: $vgpr10_vgpr11
	s_branch .LBB143_1354
.LBB143_1344:
	s_mov_b32 s56, -1
	s_mov_b32 s31, 0
	s_mov_b32 s30, s52
	s_branch .LBB143_1348
.LBB143_1345:
	s_and_not1_saveexec_b32 s53, s53
	s_cbranch_execz .LBB143_978
.LBB143_1346:
	v_add_f32_e64 v3, 0x42800000, |v2|
	s_and_not1_b32 s52, s52, exec_lo
	s_delay_alu instid0(VALU_DEP_1) | instskip(NEXT) | instid1(VALU_DEP_1)
	v_and_b32_e32 v3, 0xff, v3
	v_cmp_ne_u32_e32 vcc_lo, 0, v3
	s_and_b32 s55, vcc_lo, exec_lo
	s_delay_alu instid0(SALU_CYCLE_1)
	s_or_b32 s52, s52, s55
	s_or_b32 exec_lo, exec_lo, s53
	v_mov_b32_e32 v5, 0
	s_and_saveexec_b32 s53, s52
	s_cbranch_execnz .LBB143_979
	s_branch .LBB143_980
.LBB143_1347:
	s_mov_b32 s30, -1
	s_mov_b32 s31, 0
.LBB143_1348:
                                        ; implicit-def: $vgpr10_vgpr11
.LBB143_1349:
	s_and_b32 vcc_lo, exec_lo, s56
	s_cbranch_vccz .LBB143_1353
; %bb.1350:
	s_cmp_eq_u32 s0, 44
	s_cbranch_scc0 .LBB143_1352
; %bb.1351:
	global_load_u8 v1, v[6:7], off
	s_mov_b32 s30, 0
	s_mov_b32 s31, -1
	s_wait_loadcnt 0x0
	v_cmp_ne_u32_e32 vcc_lo, 0xff, v1
	v_lshlrev_b32_e32 v5, 23, v1
	s_wait_xcnt 0x1
	s_delay_alu instid0(VALU_DEP_1) | instskip(NEXT) | instid1(VALU_DEP_1)
	v_cvt_f64_f32_e32 v[10:11], v5
	v_cndmask_b32_e32 v5, 0x20000000, v10, vcc_lo
	s_delay_alu instid0(VALU_DEP_2) | instskip(SKIP_1) | instid1(VALU_DEP_2)
	v_cndmask_b32_e32 v10, 0x7ff80000, v11, vcc_lo
	v_cmp_ne_u32_e32 vcc_lo, 0, v1
	v_cndmask_b32_e32 v11, 0x38000000, v10, vcc_lo
	s_delay_alu instid0(VALU_DEP_4)
	v_cndmask_b32_e32 v10, 0, v5, vcc_lo
	s_branch .LBB143_1353
.LBB143_1352:
	s_mov_b32 s30, -1
                                        ; implicit-def: $vgpr10_vgpr11
.LBB143_1353:
	s_mov_b32 s56, 0
.LBB143_1354:
	s_delay_alu instid0(SALU_CYCLE_1)
	s_and_b32 vcc_lo, exec_lo, s56
	s_cbranch_vccz .LBB143_1358
; %bb.1355:
	s_cmp_eq_u32 s0, 29
	s_cbranch_scc0 .LBB143_1357
; %bb.1356:
	global_load_b64 v[10:11], v[6:7], off
	s_mov_b32 s31, -1
	s_mov_b32 s30, 0
	s_mov_b32 s56, 0
	s_wait_loadcnt 0x0
	v_cvt_f64_u32_e32 v[12:13], v11
	v_cvt_f64_u32_e32 v[10:11], v10
	s_delay_alu instid0(VALU_DEP_2) | instskip(NEXT) | instid1(VALU_DEP_1)
	v_ldexp_f64 v[12:13], v[12:13], 32
	v_add_f64_e32 v[10:11], v[12:13], v[10:11]
	s_branch .LBB143_1359
.LBB143_1357:
	s_mov_b32 s30, -1
                                        ; implicit-def: $vgpr10_vgpr11
.LBB143_1358:
	s_mov_b32 s56, 0
.LBB143_1359:
	s_delay_alu instid0(SALU_CYCLE_1)
	s_and_b32 vcc_lo, exec_lo, s56
	s_cbranch_vccz .LBB143_1377
; %bb.1360:
	s_cmp_lt_i32 s0, 27
	s_cbranch_scc1 .LBB143_1363
; %bb.1361:
	s_cmp_gt_i32 s0, 27
	s_cbranch_scc0 .LBB143_1364
; %bb.1362:
	global_load_b32 v1, v[6:7], off
	s_mov_b32 s31, 0
	s_wait_loadcnt 0x0
	s_wait_xcnt 0x1
	v_cvt_f64_u32_e32 v[10:11], v1
	s_branch .LBB143_1365
.LBB143_1363:
	s_mov_b32 s31, -1
                                        ; implicit-def: $vgpr10_vgpr11
	s_branch .LBB143_1368
.LBB143_1364:
	s_mov_b32 s31, -1
                                        ; implicit-def: $vgpr10_vgpr11
.LBB143_1365:
	s_delay_alu instid0(SALU_CYCLE_1)
	s_and_not1_b32 vcc_lo, exec_lo, s31
	s_cbranch_vccnz .LBB143_1367
; %bb.1366:
	global_load_u16 v1, v[6:7], off
	s_wait_loadcnt 0x0
	s_wait_xcnt 0x1
	v_cvt_f64_u32_e32 v[10:11], v1
.LBB143_1367:
	s_mov_b32 s31, 0
.LBB143_1368:
	s_delay_alu instid0(SALU_CYCLE_1)
	s_and_not1_b32 vcc_lo, exec_lo, s31
	s_cbranch_vccnz .LBB143_1376
; %bb.1369:
	global_load_u8 v1, v[6:7], off
	s_mov_b32 s31, 0
	s_mov_b32 s56, exec_lo
	s_wait_loadcnt 0x0
	v_cmpx_lt_i16_e32 0x7f, v1
	s_xor_b32 s56, exec_lo, s56
	s_cbranch_execz .LBB143_1390
; %bb.1370:
	s_mov_b32 s31, -1
	s_mov_b32 s57, exec_lo
	v_cmpx_eq_u16_e32 0x80, v1
; %bb.1371:
	s_xor_b32 s31, exec_lo, -1
; %bb.1372:
	s_or_b32 exec_lo, exec_lo, s57
	s_delay_alu instid0(SALU_CYCLE_1)
	s_and_b32 s31, s31, exec_lo
	s_or_saveexec_b32 s56, s56
	v_mov_b64_e32 v[10:11], 0x7ff8000020000000
	s_xor_b32 exec_lo, exec_lo, s56
	s_cbranch_execnz .LBB143_1391
.LBB143_1373:
	s_or_b32 exec_lo, exec_lo, s56
	s_and_saveexec_b32 s56, s31
	s_cbranch_execz .LBB143_1375
.LBB143_1374:
	v_and_b32_e32 v5, 0xffff, v1
	s_delay_alu instid0(VALU_DEP_1) | instskip(SKIP_1) | instid1(VALU_DEP_2)
	v_and_b32_e32 v10, 7, v5
	v_bfe_u32 v13, v5, 3, 4
	v_clz_i32_u32_e32 v11, v10
	s_delay_alu instid0(VALU_DEP_2) | instskip(NEXT) | instid1(VALU_DEP_2)
	v_cmp_eq_u32_e32 vcc_lo, 0, v13
	v_min_u32_e32 v11, 32, v11
	s_delay_alu instid0(VALU_DEP_1) | instskip(NEXT) | instid1(VALU_DEP_1)
	v_subrev_nc_u32_e32 v12, 28, v11
	v_dual_lshlrev_b32 v5, v12, v5 :: v_dual_sub_nc_u32 v11, 29, v11
	s_delay_alu instid0(VALU_DEP_1) | instskip(NEXT) | instid1(VALU_DEP_2)
	v_and_b32_e32 v5, 7, v5
	v_dual_lshlrev_b32 v1, 24, v1 :: v_dual_cndmask_b32 v11, v13, v11, vcc_lo
	s_delay_alu instid0(VALU_DEP_2) | instskip(NEXT) | instid1(VALU_DEP_2)
	v_cndmask_b32_e32 v5, v10, v5, vcc_lo
	v_and_b32_e32 v1, 0x80000000, v1
	s_delay_alu instid0(VALU_DEP_3) | instskip(NEXT) | instid1(VALU_DEP_3)
	v_lshl_add_u32 v10, v11, 23, 0x3b800000
	v_lshlrev_b32_e32 v5, 20, v5
	s_delay_alu instid0(VALU_DEP_1) | instskip(NEXT) | instid1(VALU_DEP_1)
	v_or3_b32 v1, v1, v10, v5
	v_cvt_f64_f32_e32 v[10:11], v1
.LBB143_1375:
	s_or_b32 exec_lo, exec_lo, s56
.LBB143_1376:
	s_mov_b32 s31, -1
.LBB143_1377:
	s_mov_b32 s56, 0
.LBB143_1378:
	s_delay_alu instid0(SALU_CYCLE_1)
	s_and_b32 vcc_lo, exec_lo, s56
	s_cbranch_vccz .LBB143_1413
; %bb.1379:
	s_cmp_gt_i32 s0, 22
	s_cbranch_scc0 .LBB143_1389
; %bb.1380:
	s_cmp_lt_i32 s0, 24
	s_cbranch_scc1 .LBB143_1392
; %bb.1381:
	s_cmp_gt_i32 s0, 24
	s_cbranch_scc0 .LBB143_1393
; %bb.1382:
	global_load_u8 v1, v[6:7], off
	s_mov_b32 s31, 0
	s_mov_b32 s56, exec_lo
	s_wait_loadcnt 0x0
	v_cmpx_lt_i16_e32 0x7f, v1
	s_xor_b32 s56, exec_lo, s56
	s_cbranch_execz .LBB143_1405
; %bb.1383:
	s_mov_b32 s31, -1
	s_mov_b32 s57, exec_lo
	v_cmpx_eq_u16_e32 0x80, v1
; %bb.1384:
	s_xor_b32 s31, exec_lo, -1
; %bb.1385:
	s_or_b32 exec_lo, exec_lo, s57
	s_delay_alu instid0(SALU_CYCLE_1)
	s_and_b32 s31, s31, exec_lo
	s_or_saveexec_b32 s56, s56
	v_mov_b64_e32 v[10:11], 0x7ff8000020000000
	s_xor_b32 exec_lo, exec_lo, s56
	s_cbranch_execnz .LBB143_1406
.LBB143_1386:
	s_or_b32 exec_lo, exec_lo, s56
	s_and_saveexec_b32 s56, s31
	s_cbranch_execz .LBB143_1388
.LBB143_1387:
	v_and_b32_e32 v5, 0xffff, v1
	s_delay_alu instid0(VALU_DEP_1) | instskip(SKIP_1) | instid1(VALU_DEP_2)
	v_and_b32_e32 v10, 3, v5
	v_bfe_u32 v13, v5, 2, 5
	v_clz_i32_u32_e32 v11, v10
	s_delay_alu instid0(VALU_DEP_2) | instskip(NEXT) | instid1(VALU_DEP_2)
	v_cmp_eq_u32_e32 vcc_lo, 0, v13
	v_min_u32_e32 v11, 32, v11
	s_delay_alu instid0(VALU_DEP_1) | instskip(NEXT) | instid1(VALU_DEP_1)
	v_subrev_nc_u32_e32 v12, 29, v11
	v_dual_lshlrev_b32 v5, v12, v5 :: v_dual_sub_nc_u32 v11, 30, v11
	s_delay_alu instid0(VALU_DEP_1) | instskip(NEXT) | instid1(VALU_DEP_2)
	v_and_b32_e32 v5, 3, v5
	v_dual_lshlrev_b32 v1, 24, v1 :: v_dual_cndmask_b32 v11, v13, v11, vcc_lo
	s_delay_alu instid0(VALU_DEP_2) | instskip(NEXT) | instid1(VALU_DEP_2)
	v_cndmask_b32_e32 v5, v10, v5, vcc_lo
	v_and_b32_e32 v1, 0x80000000, v1
	s_delay_alu instid0(VALU_DEP_3) | instskip(NEXT) | instid1(VALU_DEP_3)
	v_lshl_add_u32 v10, v11, 23, 0x37800000
	v_lshlrev_b32_e32 v5, 21, v5
	s_delay_alu instid0(VALU_DEP_1) | instskip(NEXT) | instid1(VALU_DEP_1)
	v_or3_b32 v1, v1, v10, v5
	v_cvt_f64_f32_e32 v[10:11], v1
.LBB143_1388:
	s_or_b32 exec_lo, exec_lo, s56
	s_mov_b32 s31, 0
	s_branch .LBB143_1394
.LBB143_1389:
	s_mov_b32 s56, -1
                                        ; implicit-def: $vgpr10_vgpr11
	s_branch .LBB143_1400
.LBB143_1390:
	s_or_saveexec_b32 s56, s56
	v_mov_b64_e32 v[10:11], 0x7ff8000020000000
	s_xor_b32 exec_lo, exec_lo, s56
	s_cbranch_execz .LBB143_1373
.LBB143_1391:
	v_cmp_ne_u16_e32 vcc_lo, 0, v1
	v_mov_b64_e32 v[10:11], 0
	s_and_not1_b32 s31, s31, exec_lo
	s_and_b32 s57, vcc_lo, exec_lo
	s_delay_alu instid0(SALU_CYCLE_1)
	s_or_b32 s31, s31, s57
	s_or_b32 exec_lo, exec_lo, s56
	s_and_saveexec_b32 s56, s31
	s_cbranch_execnz .LBB143_1374
	s_branch .LBB143_1375
.LBB143_1392:
	s_mov_b32 s31, -1
                                        ; implicit-def: $vgpr10_vgpr11
	s_branch .LBB143_1397
.LBB143_1393:
	s_mov_b32 s31, -1
                                        ; implicit-def: $vgpr10_vgpr11
.LBB143_1394:
	s_delay_alu instid0(SALU_CYCLE_1)
	s_and_b32 vcc_lo, exec_lo, s31
	s_cbranch_vccz .LBB143_1396
; %bb.1395:
	global_load_u8 v1, v[6:7], off
	s_wait_loadcnt 0x0
	v_lshlrev_b32_e32 v1, 24, v1
	s_delay_alu instid0(VALU_DEP_1) | instskip(SKIP_1) | instid1(VALU_DEP_1)
	v_and_b32_e32 v5, 0x7f000000, v1
	s_wait_xcnt 0x1
	v_clz_i32_u32_e32 v10, v5
	v_cmp_ne_u32_e32 vcc_lo, 0, v5
	v_add_nc_u32_e32 v12, 0x1000000, v5
	s_delay_alu instid0(VALU_DEP_3) | instskip(NEXT) | instid1(VALU_DEP_1)
	v_min_u32_e32 v10, 32, v10
	v_sub_nc_u32_e64 v10, v10, 4 clamp
	s_delay_alu instid0(VALU_DEP_1) | instskip(NEXT) | instid1(VALU_DEP_1)
	v_dual_lshlrev_b32 v11, v10, v5 :: v_dual_lshlrev_b32 v10, 23, v10
	v_lshrrev_b32_e32 v11, 4, v11
	s_delay_alu instid0(VALU_DEP_1) | instskip(NEXT) | instid1(VALU_DEP_1)
	v_dual_sub_nc_u32 v10, v11, v10 :: v_dual_ashrrev_i32 v11, 8, v12
	v_add_nc_u32_e32 v10, 0x3c000000, v10
	s_delay_alu instid0(VALU_DEP_1) | instskip(NEXT) | instid1(VALU_DEP_1)
	v_and_or_b32 v10, 0x7f800000, v11, v10
	v_cndmask_b32_e32 v5, 0, v10, vcc_lo
	s_delay_alu instid0(VALU_DEP_1) | instskip(NEXT) | instid1(VALU_DEP_1)
	v_and_or_b32 v1, 0x80000000, v1, v5
	v_cvt_f64_f32_e32 v[10:11], v1
.LBB143_1396:
	s_mov_b32 s31, 0
.LBB143_1397:
	s_delay_alu instid0(SALU_CYCLE_1)
	s_and_not1_b32 vcc_lo, exec_lo, s31
	s_cbranch_vccnz .LBB143_1399
; %bb.1398:
	global_load_u8 v1, v[6:7], off
	s_wait_loadcnt 0x0
	v_lshlrev_b32_e32 v5, 25, v1
	v_lshlrev_b16 v1, 8, v1
	s_wait_xcnt 0x1
	s_delay_alu instid0(VALU_DEP_1) | instskip(SKIP_1) | instid1(VALU_DEP_2)
	v_and_or_b32 v11, 0x7f00, v1, 0.5
	v_bfe_i32 v1, v1, 0, 16
	v_dual_add_f32 v11, -0.5, v11 :: v_dual_lshrrev_b32 v10, 4, v5
	v_cmp_gt_u32_e32 vcc_lo, 0x8000000, v5
	s_delay_alu instid0(VALU_DEP_2) | instskip(NEXT) | instid1(VALU_DEP_1)
	v_or_b32_e32 v10, 0x70000000, v10
	v_mul_f32_e32 v10, 0x7800000, v10
	s_delay_alu instid0(VALU_DEP_1) | instskip(NEXT) | instid1(VALU_DEP_1)
	v_cndmask_b32_e32 v5, v10, v11, vcc_lo
	v_and_or_b32 v1, 0x80000000, v1, v5
	s_delay_alu instid0(VALU_DEP_1)
	v_cvt_f64_f32_e32 v[10:11], v1
.LBB143_1399:
	s_mov_b32 s56, 0
	s_mov_b32 s31, -1
.LBB143_1400:
	s_and_not1_b32 vcc_lo, exec_lo, s56
	s_cbranch_vccnz .LBB143_1413
; %bb.1401:
	s_cmp_gt_i32 s0, 14
	s_cbranch_scc0 .LBB143_1404
; %bb.1402:
	s_cmp_eq_u32 s0, 15
	s_cbranch_scc0 .LBB143_1407
; %bb.1403:
	global_load_u16 v1, v[6:7], off
	s_mov_b32 s31, -1
	s_mov_b32 s30, 0
	s_wait_loadcnt 0x0
	v_lshlrev_b32_e32 v1, 16, v1
	s_wait_xcnt 0x1
	s_delay_alu instid0(VALU_DEP_1)
	v_cvt_f64_f32_e32 v[10:11], v1
	s_branch .LBB143_1408
.LBB143_1404:
	s_mov_b32 s56, -1
                                        ; implicit-def: $vgpr10_vgpr11
	s_branch .LBB143_1409
.LBB143_1405:
	s_or_saveexec_b32 s56, s56
	v_mov_b64_e32 v[10:11], 0x7ff8000020000000
	s_xor_b32 exec_lo, exec_lo, s56
	s_cbranch_execz .LBB143_1386
.LBB143_1406:
	v_cmp_ne_u16_e32 vcc_lo, 0, v1
	v_mov_b64_e32 v[10:11], 0
	s_and_not1_b32 s31, s31, exec_lo
	s_and_b32 s57, vcc_lo, exec_lo
	s_delay_alu instid0(SALU_CYCLE_1)
	s_or_b32 s31, s31, s57
	s_or_b32 exec_lo, exec_lo, s56
	s_and_saveexec_b32 s56, s31
	s_cbranch_execnz .LBB143_1387
	s_branch .LBB143_1388
.LBB143_1407:
	s_mov_b32 s30, -1
                                        ; implicit-def: $vgpr10_vgpr11
.LBB143_1408:
	s_mov_b32 s56, 0
.LBB143_1409:
	s_delay_alu instid0(SALU_CYCLE_1)
	s_and_b32 vcc_lo, exec_lo, s56
	s_cbranch_vccz .LBB143_1413
; %bb.1410:
	s_cmp_eq_u32 s0, 11
	s_cbranch_scc0 .LBB143_1412
; %bb.1411:
	global_load_u8 v1, v[6:7], off
	s_wait_xcnt 0x1
	v_mov_b32_e32 v10, 0
	s_mov_b32 s30, 0
	s_mov_b32 s31, -1
	s_wait_loadcnt 0x0
	v_cmp_ne_u16_e32 vcc_lo, 0, v1
	v_cndmask_b32_e64 v11, 0, 0x3ff00000, vcc_lo
	s_branch .LBB143_1413
.LBB143_1412:
	s_mov_b32 s30, -1
                                        ; implicit-def: $vgpr10_vgpr11
.LBB143_1413:
	s_mov_b32 s56, 0
.LBB143_1414:
	s_delay_alu instid0(SALU_CYCLE_1)
	s_and_b32 vcc_lo, exec_lo, s56
	s_cbranch_vccz .LBB143_1463
; %bb.1415:
	s_cmp_lt_i32 s0, 5
	s_cbranch_scc1 .LBB143_1420
; %bb.1416:
	s_cmp_lt_i32 s0, 8
	s_cbranch_scc1 .LBB143_1421
	;; [unrolled: 3-line block ×3, first 2 shown]
; %bb.1418:
	s_cmp_gt_i32 s0, 9
	s_cbranch_scc0 .LBB143_1423
; %bb.1419:
	global_load_b64 v[10:11], v[6:7], off
	s_mov_b32 s31, 0
	s_branch .LBB143_1424
.LBB143_1420:
	s_mov_b32 s31, -1
                                        ; implicit-def: $vgpr10_vgpr11
	s_branch .LBB143_1442
.LBB143_1421:
	s_mov_b32 s31, -1
                                        ; implicit-def: $vgpr10_vgpr11
	s_branch .LBB143_1430
.LBB143_1422:
	s_mov_b32 s31, -1
                                        ; implicit-def: $vgpr10_vgpr11
	s_branch .LBB143_1427
.LBB143_1423:
	s_mov_b32 s31, -1
                                        ; implicit-def: $vgpr10_vgpr11
.LBB143_1424:
	s_delay_alu instid0(SALU_CYCLE_1)
	s_and_not1_b32 vcc_lo, exec_lo, s31
	s_cbranch_vccnz .LBB143_1426
; %bb.1425:
	global_load_b32 v1, v[6:7], off
	s_wait_loadcnt 0x0
	s_wait_xcnt 0x1
	v_cvt_f64_f32_e32 v[10:11], v1
.LBB143_1426:
	s_mov_b32 s31, 0
.LBB143_1427:
	s_delay_alu instid0(SALU_CYCLE_1)
	s_and_not1_b32 vcc_lo, exec_lo, s31
	s_cbranch_vccnz .LBB143_1429
; %bb.1428:
	global_load_b32 v1, v[6:7], off
	s_wait_loadcnt 0x0
	v_cvt_f32_f16_e32 v1, v1
	s_wait_xcnt 0x1
	s_delay_alu instid0(VALU_DEP_1)
	v_cvt_f64_f32_e32 v[10:11], v1
.LBB143_1429:
	s_mov_b32 s31, 0
.LBB143_1430:
	s_delay_alu instid0(SALU_CYCLE_1)
	s_and_not1_b32 vcc_lo, exec_lo, s31
	s_cbranch_vccnz .LBB143_1441
; %bb.1431:
	s_cmp_lt_i32 s0, 6
	s_cbranch_scc1 .LBB143_1434
; %bb.1432:
	s_cmp_gt_i32 s0, 6
	s_cbranch_scc0 .LBB143_1435
; %bb.1433:
	s_wait_loadcnt 0x0
	global_load_b64 v[10:11], v[6:7], off
	s_mov_b32 s31, 0
	s_branch .LBB143_1436
.LBB143_1434:
	s_mov_b32 s31, -1
                                        ; implicit-def: $vgpr10_vgpr11
	s_branch .LBB143_1439
.LBB143_1435:
	s_mov_b32 s31, -1
                                        ; implicit-def: $vgpr10_vgpr11
.LBB143_1436:
	s_delay_alu instid0(SALU_CYCLE_1)
	s_and_not1_b32 vcc_lo, exec_lo, s31
	s_cbranch_vccnz .LBB143_1438
; %bb.1437:
	global_load_b32 v1, v[6:7], off
	s_wait_loadcnt 0x0
	s_wait_xcnt 0x1
	v_cvt_f64_f32_e32 v[10:11], v1
.LBB143_1438:
	s_mov_b32 s31, 0
.LBB143_1439:
	s_delay_alu instid0(SALU_CYCLE_1)
	s_and_not1_b32 vcc_lo, exec_lo, s31
	s_cbranch_vccnz .LBB143_1441
; %bb.1440:
	global_load_u16 v1, v[6:7], off
	s_wait_loadcnt 0x0
	v_cvt_f32_f16_e32 v1, v1
	s_wait_xcnt 0x1
	s_delay_alu instid0(VALU_DEP_1)
	v_cvt_f64_f32_e32 v[10:11], v1
.LBB143_1441:
	s_mov_b32 s31, 0
.LBB143_1442:
	s_delay_alu instid0(SALU_CYCLE_1)
	s_and_not1_b32 vcc_lo, exec_lo, s31
	s_cbranch_vccnz .LBB143_1462
; %bb.1443:
	s_cmp_lt_i32 s0, 2
	s_cbranch_scc1 .LBB143_1447
; %bb.1444:
	s_cmp_lt_i32 s0, 3
	s_cbranch_scc1 .LBB143_1448
; %bb.1445:
	s_cmp_gt_i32 s0, 3
	s_cbranch_scc0 .LBB143_1449
; %bb.1446:
	s_wait_loadcnt 0x0
	global_load_b64 v[10:11], v[6:7], off
	s_mov_b32 s31, 0
	s_wait_loadcnt 0x0
	v_cvt_f64_i32_e32 v[12:13], v11
	v_cvt_f64_u32_e32 v[10:11], v10
	s_delay_alu instid0(VALU_DEP_2) | instskip(NEXT) | instid1(VALU_DEP_1)
	v_ldexp_f64 v[12:13], v[12:13], 32
	v_add_f64_e32 v[10:11], v[12:13], v[10:11]
	s_branch .LBB143_1450
.LBB143_1447:
	s_mov_b32 s31, -1
                                        ; implicit-def: $vgpr10_vgpr11
	s_branch .LBB143_1456
.LBB143_1448:
	s_mov_b32 s31, -1
                                        ; implicit-def: $vgpr10_vgpr11
	s_branch .LBB143_1453
.LBB143_1449:
	s_mov_b32 s31, -1
                                        ; implicit-def: $vgpr10_vgpr11
.LBB143_1450:
	s_delay_alu instid0(SALU_CYCLE_1)
	s_and_not1_b32 vcc_lo, exec_lo, s31
	s_cbranch_vccnz .LBB143_1452
; %bb.1451:
	global_load_b32 v1, v[6:7], off
	s_wait_loadcnt 0x0
	s_wait_xcnt 0x1
	v_cvt_f64_i32_e32 v[10:11], v1
.LBB143_1452:
	s_mov_b32 s31, 0
.LBB143_1453:
	s_delay_alu instid0(SALU_CYCLE_1)
	s_and_not1_b32 vcc_lo, exec_lo, s31
	s_cbranch_vccnz .LBB143_1455
; %bb.1454:
	global_load_i16 v1, v[6:7], off
	s_wait_loadcnt 0x0
	s_wait_xcnt 0x1
	v_cvt_f64_i32_e32 v[10:11], v1
.LBB143_1455:
	s_mov_b32 s31, 0
.LBB143_1456:
	s_delay_alu instid0(SALU_CYCLE_1)
	s_and_not1_b32 vcc_lo, exec_lo, s31
	s_cbranch_vccnz .LBB143_1462
; %bb.1457:
	s_cmp_gt_i32 s0, 0
	s_mov_b32 s0, 0
	s_cbranch_scc0 .LBB143_1459
; %bb.1458:
	global_load_i8 v1, v[6:7], off
	s_wait_loadcnt 0x0
	s_wait_xcnt 0x1
	v_cvt_f64_i32_e32 v[10:11], v1
	s_branch .LBB143_1460
.LBB143_1459:
	s_mov_b32 s0, -1
                                        ; implicit-def: $vgpr10_vgpr11
.LBB143_1460:
	s_delay_alu instid0(SALU_CYCLE_1)
	s_and_not1_b32 vcc_lo, exec_lo, s0
	s_cbranch_vccnz .LBB143_1462
; %bb.1461:
	global_load_u8 v1, v[6:7], off
	s_wait_loadcnt 0x0
	s_wait_xcnt 0x1
	v_cvt_f64_u32_e32 v[10:11], v1
.LBB143_1462:
	s_mov_b32 s31, -1
.LBB143_1463:
	s_delay_alu instid0(SALU_CYCLE_1)
	s_and_not1_b32 vcc_lo, exec_lo, s31
	s_cbranch_vccnz .LBB143_1471
; %bb.1464:
	s_wait_loadcnt 0x0
	s_delay_alu instid0(VALU_DEP_3) | instskip(SKIP_1) | instid1(VALU_DEP_3)
	v_max_num_f64_e32 v[6:7], v[8:9], v[8:9]
	v_max_num_f64_e32 v[12:13], v[2:3], v[2:3]
	;; [unrolled: 1-line block ×3, first 2 shown]
	v_cmp_u_f64_e32 vcc_lo, v[10:11], v[10:11]
	s_and_b32 s31, s38, 0xff
	s_delay_alu instid0(SALU_CYCLE_1) | instskip(NEXT) | instid1(VALU_DEP_3)
	s_cmp_lt_i32 s31, 11
	v_max_num_f64_e32 v[6:7], v[12:13], v[6:7]
	s_delay_alu instid0(VALU_DEP_1) | instskip(NEXT) | instid1(VALU_DEP_1)
	v_min_num_f64_e32 v[6:7], v[6:7], v[14:15]
	v_dual_cndmask_b32 v1, v7, v11, vcc_lo :: v_dual_cndmask_b32 v5, v6, v10, vcc_lo
	v_cmp_u_f64_e32 vcc_lo, v[8:9], v[8:9]
	s_delay_alu instid0(VALU_DEP_2) | instskip(NEXT) | instid1(VALU_DEP_3)
	v_cndmask_b32_e32 v5, v5, v8, vcc_lo
	v_cndmask_b32_e32 v8, v1, v9, vcc_lo
	v_cmp_u_f64_e32 vcc_lo, v[2:3], v[2:3]
	v_mov_b32_e32 v1, 0
	s_delay_alu instid0(VALU_DEP_1) | instskip(NEXT) | instid1(VALU_DEP_4)
	v_add_nc_u64_e32 v[6:7], s[4:5], v[0:1]
	v_dual_cndmask_b32 v1, v8, v3 :: v_dual_cndmask_b32 v0, v5, v2
	s_cbranch_scc1 .LBB143_1472
; %bb.1465:
	s_and_b32 s56, 0xffff, s31
	s_delay_alu instid0(SALU_CYCLE_1)
	s_cmp_gt_i32 s56, 25
	s_cbranch_scc0 .LBB143_1473
; %bb.1466:
	s_cmp_gt_i32 s56, 28
	s_cbranch_scc0 .LBB143_1474
; %bb.1467:
	;; [unrolled: 3-line block ×4, first 2 shown]
	s_mov_b32 s58, 0
	s_mov_b32 s0, -1
	s_cmp_eq_u32 s56, 46
	s_mov_b32 s57, 0
	s_cbranch_scc0 .LBB143_1477
; %bb.1470:
	v_cvt_f32_f64_e32 v2, v[0:1]
	s_mov_b32 s57, -1
	s_mov_b32 s0, 0
	s_delay_alu instid0(VALU_DEP_1) | instskip(SKIP_1) | instid1(VALU_DEP_2)
	v_bfe_u32 v3, v2, 16, 1
	v_cmp_o_f32_e32 vcc_lo, v2, v2
	v_add3_u32 v3, v2, v3, 0x7fff
	s_delay_alu instid0(VALU_DEP_1) | instskip(NEXT) | instid1(VALU_DEP_1)
	v_lshrrev_b32_e32 v3, 16, v3
	v_cndmask_b32_e32 v2, 0x7fc0, v3, vcc_lo
	global_store_b32 v[6:7], v2, off
	s_branch .LBB143_1477
.LBB143_1471:
	s_mov_b32 s31, 0
	s_mov_b32 s0, s51
	s_branch .LBB143_1588
.LBB143_1472:
	s_mov_b32 s56, -1
	s_mov_b32 s57, 0
	s_mov_b32 s0, s51
	s_branch .LBB143_1546
.LBB143_1473:
	s_mov_b32 s58, -1
	s_mov_b32 s57, 0
	s_mov_b32 s0, s51
	s_branch .LBB143_1504
.LBB143_1474:
	s_mov_b32 s58, -1
	s_mov_b32 s57, 0
	s_mov_b32 s0, s51
	s_branch .LBB143_1487
.LBB143_1475:
	s_mov_b32 s58, -1
	s_mov_b32 s57, 0
	s_mov_b32 s0, s51
	s_branch .LBB143_1483
.LBB143_1476:
	s_mov_b32 s58, -1
	s_mov_b32 s57, 0
	s_mov_b32 s0, s51
.LBB143_1477:
	s_and_b32 vcc_lo, exec_lo, s58
	s_cbranch_vccz .LBB143_1482
; %bb.1478:
	s_cmp_eq_u32 s56, 44
	s_mov_b32 s0, -1
	s_cbranch_scc0 .LBB143_1482
; %bb.1479:
	s_wait_xcnt 0x0
	v_cvt_f32_f64_e32 v2, v[0:1]
	v_mov_b32_e32 v3, 0xff
	s_mov_b32 s57, exec_lo
	s_delay_alu instid0(VALU_DEP_2) | instskip(NEXT) | instid1(VALU_DEP_1)
	v_bfe_u32 v5, v2, 23, 8
	v_cmpx_ne_u32_e32 0xff, v5
	s_cbranch_execz .LBB143_1481
; %bb.1480:
	v_and_b32_e32 v3, 0x400000, v2
	v_and_or_b32 v5, 0x3fffff, v2, v5
	v_lshrrev_b32_e32 v2, 23, v2
	s_delay_alu instid0(VALU_DEP_3) | instskip(NEXT) | instid1(VALU_DEP_3)
	v_cmp_ne_u32_e32 vcc_lo, 0, v3
	v_cmp_ne_u32_e64 s0, 0, v5
	s_and_b32 s0, vcc_lo, s0
	s_delay_alu instid0(SALU_CYCLE_1) | instskip(NEXT) | instid1(VALU_DEP_1)
	v_cndmask_b32_e64 v3, 0, 1, s0
	v_add_nc_u32_e32 v3, v2, v3
.LBB143_1481:
	s_or_b32 exec_lo, exec_lo, s57
	s_mov_b32 s57, -1
	s_mov_b32 s0, 0
	global_store_b8 v[6:7], v3, off
.LBB143_1482:
	s_mov_b32 s58, 0
.LBB143_1483:
	s_delay_alu instid0(SALU_CYCLE_1)
	s_and_b32 vcc_lo, exec_lo, s58
	s_cbranch_vccz .LBB143_1486
; %bb.1484:
	s_cmp_eq_u32 s56, 29
	s_mov_b32 s0, -1
	s_cbranch_scc0 .LBB143_1486
; %bb.1485:
	s_wait_xcnt 0x0
	v_trunc_f64_e32 v[2:3], v[0:1]
	s_mov_b32 s57, -1
	s_mov_b32 s0, 0
	s_mov_b32 s58, 0
	s_delay_alu instid0(VALU_DEP_1) | instskip(NEXT) | instid1(VALU_DEP_1)
	v_ldexp_f64 v[8:9], v[2:3], 0xffffffe0
	v_floor_f64_e32 v[8:9], v[8:9]
	s_delay_alu instid0(VALU_DEP_1) | instskip(SKIP_1) | instid1(VALU_DEP_2)
	v_fmamk_f64 v[2:3], v[8:9], 0xc1f00000, v[2:3]
	v_cvt_u32_f64_e32 v9, v[8:9]
	v_cvt_u32_f64_e32 v8, v[2:3]
	global_store_b64 v[6:7], v[8:9], off
	s_branch .LBB143_1487
.LBB143_1486:
	s_mov_b32 s58, 0
.LBB143_1487:
	s_delay_alu instid0(SALU_CYCLE_1)
	s_and_b32 vcc_lo, exec_lo, s58
	s_cbranch_vccz .LBB143_1503
; %bb.1488:
	s_cmp_lt_i32 s56, 27
	s_mov_b32 s57, -1
	s_cbranch_scc1 .LBB143_1494
; %bb.1489:
	s_cmp_gt_i32 s56, 27
	s_cbranch_scc0 .LBB143_1491
; %bb.1490:
	s_wait_xcnt 0x0
	v_cvt_u32_f64_e32 v2, v[0:1]
	s_mov_b32 s57, 0
	global_store_b32 v[6:7], v2, off
.LBB143_1491:
	s_and_not1_b32 vcc_lo, exec_lo, s57
	s_cbranch_vccnz .LBB143_1493
; %bb.1492:
	s_wait_xcnt 0x0
	v_cvt_u32_f64_e32 v2, v[0:1]
	global_store_b16 v[6:7], v2, off
.LBB143_1493:
	s_mov_b32 s57, 0
.LBB143_1494:
	s_delay_alu instid0(SALU_CYCLE_1)
	s_and_not1_b32 vcc_lo, exec_lo, s57
	s_cbranch_vccnz .LBB143_1502
; %bb.1495:
	s_wait_xcnt 0x0
	v_cvt_f32_f64_e32 v2, v[0:1]
	v_mov_b32_e32 v5, 0x80
	s_mov_b32 s57, exec_lo
	s_delay_alu instid0(VALU_DEP_2) | instskip(NEXT) | instid1(VALU_DEP_1)
	v_and_b32_e32 v3, 0x7fffffff, v2
	v_cmpx_gt_u32_e32 0x43800000, v3
	s_cbranch_execz .LBB143_1501
; %bb.1496:
	v_cmp_lt_u32_e32 vcc_lo, 0x3bffffff, v3
	s_mov_b32 s58, 0
                                        ; implicit-def: $vgpr3
	s_and_saveexec_b32 s59, vcc_lo
	s_delay_alu instid0(SALU_CYCLE_1)
	s_xor_b32 s59, exec_lo, s59
	s_cbranch_execz .LBB143_2814
; %bb.1497:
	v_bfe_u32 v3, v2, 20, 1
	s_mov_b32 s58, exec_lo
	s_delay_alu instid0(VALU_DEP_1) | instskip(NEXT) | instid1(VALU_DEP_1)
	v_add3_u32 v3, v2, v3, 0x487ffff
	v_lshrrev_b32_e32 v3, 20, v3
	s_and_not1_saveexec_b32 s59, s59
	s_cbranch_execnz .LBB143_2815
.LBB143_1498:
	s_or_b32 exec_lo, exec_lo, s59
	v_mov_b32_e32 v5, 0
	s_and_saveexec_b32 s59, s58
.LBB143_1499:
	v_lshrrev_b32_e32 v2, 24, v2
	s_delay_alu instid0(VALU_DEP_1)
	v_and_or_b32 v5, 0x80, v2, v3
.LBB143_1500:
	s_or_b32 exec_lo, exec_lo, s59
.LBB143_1501:
	s_delay_alu instid0(SALU_CYCLE_1)
	s_or_b32 exec_lo, exec_lo, s57
	global_store_b8 v[6:7], v5, off
.LBB143_1502:
	s_mov_b32 s57, -1
.LBB143_1503:
	s_mov_b32 s58, 0
.LBB143_1504:
	s_delay_alu instid0(SALU_CYCLE_1)
	s_and_b32 vcc_lo, exec_lo, s58
	s_cbranch_vccz .LBB143_1545
; %bb.1505:
	s_cmp_gt_i32 s56, 22
	s_mov_b32 s58, -1
	s_cbranch_scc0 .LBB143_1537
; %bb.1506:
	s_cmp_lt_i32 s56, 24
	s_mov_b32 s57, -1
	s_cbranch_scc1 .LBB143_1526
; %bb.1507:
	s_cmp_gt_i32 s56, 24
	s_cbranch_scc0 .LBB143_1515
; %bb.1508:
	s_wait_xcnt 0x0
	v_cvt_f32_f64_e32 v2, v[0:1]
	v_mov_b32_e32 v5, 0x80
	s_mov_b32 s57, exec_lo
	s_delay_alu instid0(VALU_DEP_2) | instskip(NEXT) | instid1(VALU_DEP_1)
	v_and_b32_e32 v3, 0x7fffffff, v2
	v_cmpx_gt_u32_e32 0x47800000, v3
	s_cbranch_execz .LBB143_1514
; %bb.1509:
	v_cmp_lt_u32_e32 vcc_lo, 0x37ffffff, v3
	s_mov_b32 s58, 0
                                        ; implicit-def: $vgpr3
	s_and_saveexec_b32 s59, vcc_lo
	s_delay_alu instid0(SALU_CYCLE_1)
	s_xor_b32 s59, exec_lo, s59
	s_cbranch_execz .LBB143_2947
; %bb.1510:
	v_bfe_u32 v3, v2, 21, 1
	s_mov_b32 s58, exec_lo
	s_delay_alu instid0(VALU_DEP_1) | instskip(NEXT) | instid1(VALU_DEP_1)
	v_add3_u32 v3, v2, v3, 0x88fffff
	v_lshrrev_b32_e32 v3, 21, v3
	s_and_not1_saveexec_b32 s59, s59
	s_cbranch_execnz .LBB143_2948
.LBB143_1511:
	s_or_b32 exec_lo, exec_lo, s59
	v_mov_b32_e32 v5, 0
	s_and_saveexec_b32 s59, s58
.LBB143_1512:
	v_lshrrev_b32_e32 v2, 24, v2
	s_delay_alu instid0(VALU_DEP_1)
	v_and_or_b32 v5, 0x80, v2, v3
.LBB143_1513:
	s_or_b32 exec_lo, exec_lo, s59
.LBB143_1514:
	s_delay_alu instid0(SALU_CYCLE_1)
	s_or_b32 exec_lo, exec_lo, s57
	s_mov_b32 s57, 0
	global_store_b8 v[6:7], v5, off
.LBB143_1515:
	s_and_b32 vcc_lo, exec_lo, s57
	s_cbranch_vccz .LBB143_1525
; %bb.1516:
	s_wait_xcnt 0x0
	v_cvt_f32_f64_e32 v2, v[0:1]
	s_mov_b32 s57, exec_lo
                                        ; implicit-def: $vgpr3
	s_delay_alu instid0(VALU_DEP_1) | instskip(NEXT) | instid1(VALU_DEP_1)
	v_and_b32_e32 v5, 0x7fffffff, v2
	v_cmpx_gt_u32_e32 0x43f00000, v5
	s_xor_b32 s57, exec_lo, s57
	s_cbranch_execz .LBB143_1522
; %bb.1517:
	s_mov_b32 s58, exec_lo
                                        ; implicit-def: $vgpr3
	v_cmpx_lt_u32_e32 0x3c7fffff, v5
	s_xor_b32 s58, exec_lo, s58
; %bb.1518:
	v_bfe_u32 v3, v2, 20, 1
	s_delay_alu instid0(VALU_DEP_1) | instskip(NEXT) | instid1(VALU_DEP_1)
	v_add3_u32 v3, v2, v3, 0x407ffff
	v_and_b32_e32 v5, 0xff00000, v3
	v_lshrrev_b32_e32 v3, 20, v3
	s_delay_alu instid0(VALU_DEP_2) | instskip(NEXT) | instid1(VALU_DEP_2)
	v_cmp_ne_u32_e32 vcc_lo, 0x7f00000, v5
	v_cndmask_b32_e32 v3, 0x7e, v3, vcc_lo
; %bb.1519:
	s_and_not1_saveexec_b32 s58, s58
; %bb.1520:
	v_add_f32_e64 v3, 0x46800000, |v2|
; %bb.1521:
	s_or_b32 exec_lo, exec_lo, s58
                                        ; implicit-def: $vgpr5
.LBB143_1522:
	s_and_not1_saveexec_b32 s57, s57
; %bb.1523:
	v_mov_b32_e32 v3, 0x7f
	v_cmp_lt_u32_e32 vcc_lo, 0x7f800000, v5
	s_delay_alu instid0(VALU_DEP_2)
	v_cndmask_b32_e32 v3, 0x7e, v3, vcc_lo
; %bb.1524:
	s_or_b32 exec_lo, exec_lo, s57
	v_lshrrev_b32_e32 v2, 24, v2
	s_delay_alu instid0(VALU_DEP_1)
	v_and_or_b32 v2, 0x80, v2, v3
	global_store_b8 v[6:7], v2, off
.LBB143_1525:
	s_mov_b32 s57, 0
.LBB143_1526:
	s_delay_alu instid0(SALU_CYCLE_1)
	s_and_not1_b32 vcc_lo, exec_lo, s57
	s_cbranch_vccnz .LBB143_1536
; %bb.1527:
	s_wait_xcnt 0x0
	v_cvt_f32_f64_e32 v2, v[0:1]
	s_mov_b32 s57, exec_lo
                                        ; implicit-def: $vgpr3
	s_delay_alu instid0(VALU_DEP_1) | instskip(NEXT) | instid1(VALU_DEP_1)
	v_and_b32_e32 v5, 0x7fffffff, v2
	v_cmpx_gt_u32_e32 0x47800000, v5
	s_xor_b32 s57, exec_lo, s57
	s_cbranch_execz .LBB143_1533
; %bb.1528:
	s_mov_b32 s58, exec_lo
                                        ; implicit-def: $vgpr3
	v_cmpx_lt_u32_e32 0x387fffff, v5
	s_xor_b32 s58, exec_lo, s58
; %bb.1529:
	v_bfe_u32 v3, v2, 21, 1
	s_delay_alu instid0(VALU_DEP_1) | instskip(NEXT) | instid1(VALU_DEP_1)
	v_add3_u32 v3, v2, v3, 0x80fffff
	v_lshrrev_b32_e32 v3, 21, v3
; %bb.1530:
	s_and_not1_saveexec_b32 s58, s58
; %bb.1531:
	v_add_f32_e64 v3, 0x43000000, |v2|
; %bb.1532:
	s_or_b32 exec_lo, exec_lo, s58
                                        ; implicit-def: $vgpr5
.LBB143_1533:
	s_and_not1_saveexec_b32 s57, s57
; %bb.1534:
	v_mov_b32_e32 v3, 0x7f
	v_cmp_lt_u32_e32 vcc_lo, 0x7f800000, v5
	s_delay_alu instid0(VALU_DEP_2)
	v_cndmask_b32_e32 v3, 0x7c, v3, vcc_lo
; %bb.1535:
	s_or_b32 exec_lo, exec_lo, s57
	v_lshrrev_b32_e32 v2, 24, v2
	s_delay_alu instid0(VALU_DEP_1)
	v_and_or_b32 v2, 0x80, v2, v3
	global_store_b8 v[6:7], v2, off
.LBB143_1536:
	s_mov_b32 s58, 0
	s_mov_b32 s57, -1
.LBB143_1537:
	s_and_not1_b32 vcc_lo, exec_lo, s58
	s_cbranch_vccnz .LBB143_1545
; %bb.1538:
	s_cmp_gt_i32 s56, 14
	s_mov_b32 s58, -1
	s_cbranch_scc0 .LBB143_1542
; %bb.1539:
	s_cmp_eq_u32 s56, 15
	s_mov_b32 s0, -1
	s_cbranch_scc0 .LBB143_1541
; %bb.1540:
	s_wait_xcnt 0x0
	v_cvt_f32_f64_e32 v2, v[0:1]
	s_mov_b32 s57, -1
	s_mov_b32 s0, 0
	s_delay_alu instid0(VALU_DEP_1) | instskip(SKIP_1) | instid1(VALU_DEP_2)
	v_bfe_u32 v3, v2, 16, 1
	v_cmp_o_f32_e32 vcc_lo, v2, v2
	v_add3_u32 v3, v2, v3, 0x7fff
	s_delay_alu instid0(VALU_DEP_1) | instskip(NEXT) | instid1(VALU_DEP_1)
	v_lshrrev_b32_e32 v3, 16, v3
	v_cndmask_b32_e32 v2, 0x7fc0, v3, vcc_lo
	global_store_b16 v[6:7], v2, off
.LBB143_1541:
	s_mov_b32 s58, 0
.LBB143_1542:
	s_delay_alu instid0(SALU_CYCLE_1)
	s_and_b32 vcc_lo, exec_lo, s58
	s_cbranch_vccz .LBB143_1545
; %bb.1543:
	s_cmp_eq_u32 s56, 11
	s_mov_b32 s0, -1
	s_cbranch_scc0 .LBB143_1545
; %bb.1544:
	v_cmp_neq_f64_e32 vcc_lo, 0, v[0:1]
	s_mov_b32 s57, -1
	s_mov_b32 s0, 0
	s_wait_xcnt 0x0
	v_cndmask_b32_e64 v2, 0, 1, vcc_lo
	global_store_b8 v[6:7], v2, off
.LBB143_1545:
	s_mov_b32 s56, 0
.LBB143_1546:
	s_delay_alu instid0(SALU_CYCLE_1)
	s_and_b32 vcc_lo, exec_lo, s56
	s_cbranch_vccz .LBB143_1585
; %bb.1547:
	s_and_b32 s31, 0xffff, s31
	s_mov_b32 s56, -1
	s_cmp_lt_i32 s31, 5
	s_cbranch_scc1 .LBB143_1568
; %bb.1548:
	s_cmp_lt_i32 s31, 8
	s_cbranch_scc1 .LBB143_1558
; %bb.1549:
	;; [unrolled: 3-line block ×3, first 2 shown]
	s_cmp_gt_i32 s31, 9
	s_cbranch_scc0 .LBB143_1552
; %bb.1551:
	s_wait_xcnt 0x0
	v_mov_b32_e32 v2, 0
	s_mov_b32 s56, 0
	s_delay_alu instid0(VALU_DEP_1)
	v_mov_b32_e32 v3, v2
	global_store_b128 v[6:7], v[0:3], off
.LBB143_1552:
	s_and_not1_b32 vcc_lo, exec_lo, s56
	s_cbranch_vccnz .LBB143_1554
; %bb.1553:
	s_wait_xcnt 0x0
	v_cvt_f32_f64_e32 v2, v[0:1]
	v_mov_b32_e32 v3, 0
	global_store_b64 v[6:7], v[2:3], off
.LBB143_1554:
	s_mov_b32 s56, 0
.LBB143_1555:
	s_delay_alu instid0(SALU_CYCLE_1)
	s_and_not1_b32 vcc_lo, exec_lo, s56
	s_cbranch_vccnz .LBB143_1557
; %bb.1556:
	s_wait_xcnt 0x0
	v_and_or_b32 v2, 0x1ff, v1, v0
	v_lshrrev_b32_e32 v3, 8, v1
	v_bfe_u32 v5, v1, 20, 11
	s_delay_alu instid0(VALU_DEP_3) | instskip(NEXT) | instid1(VALU_DEP_2)
	v_cmp_ne_u32_e32 vcc_lo, 0, v2
	v_sub_nc_u32_e32 v8, 0x3f1, v5
	v_add_nc_u32_e32 v5, 0xfffffc10, v5
	v_cndmask_b32_e64 v2, 0, 1, vcc_lo
	s_delay_alu instid0(VALU_DEP_1) | instskip(NEXT) | instid1(VALU_DEP_4)
	v_and_or_b32 v2, 0xffe, v3, v2
	v_med3_i32 v3, v8, 0, 13
	s_delay_alu instid0(VALU_DEP_2) | instskip(NEXT) | instid1(VALU_DEP_1)
	v_or_b32_e32 v8, 0x1000, v2
	v_lshrrev_b32_e32 v9, v3, v8
	s_delay_alu instid0(VALU_DEP_1) | instskip(NEXT) | instid1(VALU_DEP_1)
	v_lshlrev_b32_e32 v3, v3, v9
	v_cmp_ne_u32_e32 vcc_lo, v3, v8
	v_lshl_or_b32 v8, v5, 12, v2
	v_cndmask_b32_e64 v3, 0, 1, vcc_lo
	v_cmp_gt_i32_e32 vcc_lo, 1, v5
	s_delay_alu instid0(VALU_DEP_2) | instskip(NEXT) | instid1(VALU_DEP_1)
	v_or_b32_e32 v3, v9, v3
	v_cndmask_b32_e32 v3, v8, v3, vcc_lo
	s_delay_alu instid0(VALU_DEP_1) | instskip(NEXT) | instid1(VALU_DEP_1)
	v_dual_lshrrev_b32 v3, 2, v3 :: v_dual_bitop2_b32 v8, 7, v3 bitop3:0x40
	v_cmp_lt_i32_e32 vcc_lo, 5, v8
	v_cndmask_b32_e64 v9, 0, 1, vcc_lo
	v_cmp_eq_u32_e32 vcc_lo, 3, v8
	v_cndmask_b32_e64 v8, 0, 1, vcc_lo
	v_cmp_ne_u32_e32 vcc_lo, 0, v2
	s_delay_alu instid0(VALU_DEP_2) | instskip(SKIP_1) | instid1(VALU_DEP_1)
	v_or_b32_e32 v8, v8, v9
	v_mov_b32_e32 v9, 0x7e00
	v_dual_cndmask_b32 v2, 0x7c00, v9 :: v_dual_add_nc_u32 v3, v3, v8
	v_cmp_gt_i32_e32 vcc_lo, 31, v5
	s_delay_alu instid0(VALU_DEP_2) | instskip(SKIP_1) | instid1(VALU_DEP_2)
	v_dual_cndmask_b32 v3, 0x7c00, v3 :: v_dual_lshrrev_b32 v8, 16, v1
	v_cmp_eq_u32_e32 vcc_lo, 0x40f, v5
	v_cndmask_b32_e32 v2, v3, v2, vcc_lo
	s_delay_alu instid0(VALU_DEP_3) | instskip(NEXT) | instid1(VALU_DEP_1)
	v_and_b32_e32 v3, 0x8000, v8
	v_bitop3_b32 v2, v3, 0xffff, v2 bitop3:0xc8
	global_store_b32 v[6:7], v2, off
.LBB143_1557:
	s_mov_b32 s56, 0
.LBB143_1558:
	s_delay_alu instid0(SALU_CYCLE_1)
	s_and_not1_b32 vcc_lo, exec_lo, s56
	s_cbranch_vccnz .LBB143_1567
; %bb.1559:
	s_cmp_lt_i32 s31, 6
	s_mov_b32 s56, -1
	s_cbranch_scc1 .LBB143_1565
; %bb.1560:
	s_cmp_gt_i32 s31, 6
	s_cbranch_scc0 .LBB143_1562
; %bb.1561:
	s_mov_b32 s56, 0
	global_store_b64 v[6:7], v[0:1], off
.LBB143_1562:
	s_and_not1_b32 vcc_lo, exec_lo, s56
	s_cbranch_vccnz .LBB143_1564
; %bb.1563:
	s_wait_xcnt 0x0
	v_cvt_f32_f64_e32 v2, v[0:1]
	global_store_b32 v[6:7], v2, off
.LBB143_1564:
	s_mov_b32 s56, 0
.LBB143_1565:
	s_delay_alu instid0(SALU_CYCLE_1)
	s_and_not1_b32 vcc_lo, exec_lo, s56
	s_cbranch_vccnz .LBB143_1567
; %bb.1566:
	s_wait_xcnt 0x0
	v_and_or_b32 v2, 0x1ff, v1, v0
	v_lshrrev_b32_e32 v3, 8, v1
	v_bfe_u32 v5, v1, 20, 11
	s_delay_alu instid0(VALU_DEP_3) | instskip(NEXT) | instid1(VALU_DEP_2)
	v_cmp_ne_u32_e32 vcc_lo, 0, v2
	v_sub_nc_u32_e32 v8, 0x3f1, v5
	v_add_nc_u32_e32 v5, 0xfffffc10, v5
	v_cndmask_b32_e64 v2, 0, 1, vcc_lo
	s_delay_alu instid0(VALU_DEP_1) | instskip(NEXT) | instid1(VALU_DEP_4)
	v_and_or_b32 v2, 0xffe, v3, v2
	v_med3_i32 v3, v8, 0, 13
	s_delay_alu instid0(VALU_DEP_2) | instskip(NEXT) | instid1(VALU_DEP_1)
	v_or_b32_e32 v8, 0x1000, v2
	v_lshrrev_b32_e32 v9, v3, v8
	s_delay_alu instid0(VALU_DEP_1) | instskip(NEXT) | instid1(VALU_DEP_1)
	v_lshlrev_b32_e32 v3, v3, v9
	v_cmp_ne_u32_e32 vcc_lo, v3, v8
	v_lshl_or_b32 v8, v5, 12, v2
	v_cndmask_b32_e64 v3, 0, 1, vcc_lo
	v_cmp_gt_i32_e32 vcc_lo, 1, v5
	s_delay_alu instid0(VALU_DEP_2) | instskip(NEXT) | instid1(VALU_DEP_1)
	v_or_b32_e32 v3, v9, v3
	v_cndmask_b32_e32 v3, v8, v3, vcc_lo
	s_delay_alu instid0(VALU_DEP_1) | instskip(NEXT) | instid1(VALU_DEP_1)
	v_dual_lshrrev_b32 v3, 2, v3 :: v_dual_bitop2_b32 v8, 7, v3 bitop3:0x40
	v_cmp_lt_i32_e32 vcc_lo, 5, v8
	v_cndmask_b32_e64 v9, 0, 1, vcc_lo
	v_cmp_eq_u32_e32 vcc_lo, 3, v8
	v_cndmask_b32_e64 v8, 0, 1, vcc_lo
	v_cmp_ne_u32_e32 vcc_lo, 0, v2
	s_delay_alu instid0(VALU_DEP_2) | instskip(SKIP_1) | instid1(VALU_DEP_1)
	v_or_b32_e32 v8, v8, v9
	v_mov_b32_e32 v9, 0x7e00
	v_dual_cndmask_b32 v2, 0x7c00, v9 :: v_dual_add_nc_u32 v3, v3, v8
	v_cmp_gt_i32_e32 vcc_lo, 31, v5
	s_delay_alu instid0(VALU_DEP_2) | instskip(SKIP_1) | instid1(VALU_DEP_2)
	v_cndmask_b32_e32 v3, 0x7c00, v3, vcc_lo
	v_cmp_eq_u32_e32 vcc_lo, 0x40f, v5
	v_dual_cndmask_b32 v2, v3, v2 :: v_dual_lshrrev_b32 v3, 16, v1
	s_delay_alu instid0(VALU_DEP_1)
	v_and_or_b32 v2, 0x8000, v3, v2
	global_store_b16 v[6:7], v2, off
.LBB143_1567:
	s_mov_b32 s56, 0
.LBB143_1568:
	s_delay_alu instid0(SALU_CYCLE_1)
	s_and_not1_b32 vcc_lo, exec_lo, s56
	s_cbranch_vccnz .LBB143_1584
; %bb.1569:
	s_cmp_lt_i32 s31, 2
	s_mov_b32 s56, -1
	s_cbranch_scc1 .LBB143_1579
; %bb.1570:
	s_cmp_lt_i32 s31, 3
	s_cbranch_scc1 .LBB143_1576
; %bb.1571:
	s_cmp_gt_i32 s31, 3
	s_cbranch_scc0 .LBB143_1573
; %bb.1572:
	s_wait_xcnt 0x0
	v_trunc_f64_e32 v[2:3], v[0:1]
	s_mov_b32 s56, 0
	s_delay_alu instid0(VALU_DEP_1) | instskip(NEXT) | instid1(VALU_DEP_1)
	v_ldexp_f64 v[8:9], v[2:3], 0xffffffe0
	v_floor_f64_e32 v[8:9], v[8:9]
	s_delay_alu instid0(VALU_DEP_1) | instskip(SKIP_1) | instid1(VALU_DEP_2)
	v_fmamk_f64 v[2:3], v[8:9], 0xc1f00000, v[2:3]
	v_cvt_i32_f64_e32 v9, v[8:9]
	v_cvt_u32_f64_e32 v8, v[2:3]
	global_store_b64 v[6:7], v[8:9], off
.LBB143_1573:
	s_and_not1_b32 vcc_lo, exec_lo, s56
	s_cbranch_vccnz .LBB143_1575
; %bb.1574:
	s_wait_xcnt 0x0
	v_cvt_i32_f64_e32 v2, v[0:1]
	global_store_b32 v[6:7], v2, off
.LBB143_1575:
	s_mov_b32 s56, 0
.LBB143_1576:
	s_delay_alu instid0(SALU_CYCLE_1)
	s_and_not1_b32 vcc_lo, exec_lo, s56
	s_cbranch_vccnz .LBB143_1578
; %bb.1577:
	s_wait_xcnt 0x0
	v_cvt_i32_f64_e32 v2, v[0:1]
	global_store_b16 v[6:7], v2, off
.LBB143_1578:
	s_mov_b32 s56, 0
.LBB143_1579:
	s_delay_alu instid0(SALU_CYCLE_1)
	s_and_not1_b32 vcc_lo, exec_lo, s56
	s_cbranch_vccnz .LBB143_1584
; %bb.1580:
	s_cmp_gt_i32 s31, 0
	s_mov_b32 s31, -1
	s_cbranch_scc0 .LBB143_1582
; %bb.1581:
	s_wait_xcnt 0x0
	v_cvt_i32_f64_e32 v2, v[0:1]
	s_mov_b32 s31, 0
	global_store_b8 v[6:7], v2, off
.LBB143_1582:
	s_and_not1_b32 vcc_lo, exec_lo, s31
	s_cbranch_vccnz .LBB143_1584
; %bb.1583:
	s_wait_xcnt 0x0
	v_trunc_f64_e32 v[0:1], v[0:1]
	s_delay_alu instid0(VALU_DEP_1) | instskip(NEXT) | instid1(VALU_DEP_1)
	v_ldexp_f64 v[2:3], v[0:1], 0xffffffe0
	v_floor_f64_e32 v[2:3], v[2:3]
	s_delay_alu instid0(VALU_DEP_1) | instskip(NEXT) | instid1(VALU_DEP_1)
	v_fmamk_f64 v[0:1], v[2:3], 0xc1f00000, v[0:1]
	v_cvt_u32_f64_e32 v0, v[0:1]
	global_store_b8 v[6:7], v0, off
.LBB143_1584:
	s_mov_b32 s57, -1
.LBB143_1585:
	s_delay_alu instid0(SALU_CYCLE_1)
	s_and_not1_b32 vcc_lo, exec_lo, s57
	s_cbranch_vccnz .LBB143_1587
; %bb.1586:
	v_add_nc_u32_e32 v4, 0x80, v4
	s_mov_b32 s31, -1
	s_branch .LBB143_1589
.LBB143_1587:
	s_mov_b32 s31, 0
.LBB143_1588:
                                        ; implicit-def: $vgpr4
.LBB143_1589:
	s_and_not1_b32 s56, s51, exec_lo
	s_and_b32 s0, s0, exec_lo
	s_and_not1_b32 s57, s52, exec_lo
	s_and_b32 s30, s30, exec_lo
	s_or_b32 s59, s56, s0
	s_or_b32 s57, s57, s30
	s_and_not1_b32 s0, s53, exec_lo
	s_and_b32 s29, s29, exec_lo
	s_and_not1_b32 s30, s50, exec_lo
	s_and_b32 s28, s28, exec_lo
	s_or_b32 s58, s0, s29
	s_or_b32 s56, s30, s28
	s_or_not1_b32 s31, s31, exec_lo
.LBB143_1590:
	s_wait_xcnt 0x0
	s_or_b32 exec_lo, exec_lo, s55
	s_mov_b32 s29, 0
	s_mov_b32 s30, 0
	;; [unrolled: 1-line block ×3, first 2 shown]
                                        ; implicit-def: $sgpr0
                                        ; implicit-def: $vgpr10_vgpr11
                                        ; implicit-def: $vgpr2
                                        ; implicit-def: $vgpr0
                                        ; implicit-def: $vgpr8
                                        ; implicit-def: $vgpr6_vgpr7
	s_and_saveexec_b32 s55, s31
	s_cbranch_execz .LBB143_1683
; %bb.1591:
	v_cmp_gt_i32_e32 vcc_lo, s43, v4
	s_mov_b32 s31, s56
                                        ; implicit-def: $sgpr0
                                        ; implicit-def: $vgpr10_vgpr11
                                        ; implicit-def: $vgpr2
                                        ; implicit-def: $vgpr0
                                        ; implicit-def: $vgpr8
                                        ; implicit-def: $vgpr6_vgpr7
	s_and_saveexec_b32 s43, vcc_lo
	s_cbranch_execz .LBB143_1682
; %bb.1592:
	s_and_not1_b32 vcc_lo, exec_lo, s36
	s_cbranch_vccnz .LBB143_1598
; %bb.1593:
	s_and_not1_b32 vcc_lo, exec_lo, s44
	s_cbranch_vccnz .LBB143_1599
; %bb.1594:
	s_wait_loadcnt 0x0
	v_dual_mov_b32 v8, 0 :: v_dual_mov_b32 v1, v4
	v_dual_mov_b32 v0, 0 :: v_dual_mov_b32 v2, 0
	v_mov_b32_e32 v6, 0
	s_add_co_i32 s0, s42, 1
	s_mov_b64 s[28:29], 0xffffffffffffffe0
	s_and_b32 s0, s0, 30
	s_add_nc_u64 s[28:29], s[2:3], s[28:29]
	s_mov_b64 s[30:31], s[2:3]
.LBB143_1595:                           ; =>This Inner Loop Header: Depth=1
	s_clause 0x1
	s_load_b128 s[68:71], s[30:31], 0x4
	s_load_b64 s[72:73], s[30:31], 0x14
	s_load_b256 s[60:67], s[28:29], 0xe4
	s_add_co_i32 s0, s0, -2
	s_wait_xcnt 0x0
	s_add_nc_u64 s[30:31], s[30:31], 24
	s_cmp_eq_u32 s0, 0
	s_add_nc_u64 s[28:29], s[28:29], 32
	s_wait_kmcnt 0x0
	v_mul_hi_u32 v3, s69, v1
	s_delay_alu instid0(VALU_DEP_1) | instskip(NEXT) | instid1(VALU_DEP_1)
	v_add_nc_u32_e32 v3, v1, v3
	v_lshrrev_b32_e32 v3, s70, v3
	s_delay_alu instid0(VALU_DEP_1) | instskip(SKIP_1) | instid1(VALU_DEP_1)
	v_mul_hi_u32 v5, s72, v3
	v_mul_lo_u32 v7, v3, s68
	v_dual_add_nc_u32 v5, v3, v5 :: v_dual_sub_nc_u32 v7, v1, v7
	s_delay_alu instid0(VALU_DEP_1) | instskip(NEXT) | instid1(VALU_DEP_2)
	v_lshrrev_b32_e32 v1, s73, v5
	v_mad_u32 v6, v7, s61, v6
	v_mad_u32 v2, v7, s60, v2
	;; [unrolled: 1-line block ×4, first 2 shown]
	v_mul_lo_u32 v5, v1, s71
	s_delay_alu instid0(VALU_DEP_1) | instskip(NEXT) | instid1(VALU_DEP_1)
	v_sub_nc_u32_e32 v3, v3, v5
	v_mad_u32 v6, v3, s65, v6
	v_mad_u32 v2, v3, s64, v2
	;; [unrolled: 1-line block ×4, first 2 shown]
	s_cbranch_scc0 .LBB143_1595
; %bb.1596:
	s_bitcmp1_b32 s42, 0
	s_cselect_b32 s0, -1, 0
	s_delay_alu instid0(SALU_CYCLE_1)
	s_and_b32 vcc_lo, exec_lo, s0
	s_cbranch_vccnz .LBB143_1600
; %bb.1597:
	s_load_b96 s[64:66], s[30:31], 0x4
	s_load_b128 s[60:63], s[28:29], 0xe4
	s_wait_kmcnt 0x0
	v_mul_hi_u32 v3, s65, v1
	s_delay_alu instid0(VALU_DEP_1) | instskip(NEXT) | instid1(VALU_DEP_1)
	v_add_nc_u32_e32 v3, v1, v3
	v_lshrrev_b32_e32 v3, s66, v3
	s_delay_alu instid0(VALU_DEP_1) | instskip(NEXT) | instid1(VALU_DEP_1)
	v_mul_lo_u32 v3, v3, s64
	v_sub_nc_u32_e32 v1, v1, v3
	s_delay_alu instid0(VALU_DEP_1)
	v_mad_u32 v2, v1, s60, v2
	v_mad_u32 v6, v1, s61, v6
	;; [unrolled: 1-line block ×4, first 2 shown]
	s_branch .LBB143_1600
.LBB143_1598:
	s_mov_b32 s0, -1
                                        ; implicit-def: $vgpr6
                                        ; implicit-def: $vgpr2
                                        ; implicit-def: $vgpr0
                                        ; implicit-def: $vgpr8
	s_branch .LBB143_1601
.LBB143_1599:
	s_wait_loadcnt 0x0
	v_dual_mov_b32 v6, 0 :: v_dual_mov_b32 v2, 0
	v_dual_mov_b32 v0, 0 :: v_dual_mov_b32 v8, 0
.LBB143_1600:
	s_mov_b32 s0, 0
.LBB143_1601:
	s_delay_alu instid0(SALU_CYCLE_1)
	s_and_not1_b32 vcc_lo, exec_lo, s0
	s_cbranch_vccnz .LBB143_1604
; %bb.1602:
	v_mov_b32_e32 v5, 0
	s_and_not1_b32 vcc_lo, exec_lo, s41
	s_delay_alu instid0(VALU_DEP_1) | instskip(NEXT) | instid1(VALU_DEP_1)
	v_mul_u64_e32 v[0:1], s[24:25], v[4:5]
	v_add_nc_u32_e32 v0, v4, v1
	s_wait_loadcnt 0x0
	s_delay_alu instid0(VALU_DEP_1) | instskip(NEXT) | instid1(VALU_DEP_1)
	v_lshrrev_b32_e32 v10, s22, v0
	v_mul_lo_u32 v0, v10, s20
	s_delay_alu instid0(VALU_DEP_1) | instskip(NEXT) | instid1(VALU_DEP_1)
	v_sub_nc_u32_e32 v1, v4, v0
	v_mul_lo_u32 v6, v1, s13
	v_mul_lo_u32 v2, v1, s12
	v_mul_lo_u32 v0, v1, s15
	v_mul_lo_u32 v8, v1, s14
	s_cbranch_vccnz .LBB143_1604
; %bb.1603:
	v_mov_b32_e32 v11, v5
	s_delay_alu instid0(VALU_DEP_1) | instskip(NEXT) | instid1(VALU_DEP_1)
	v_mul_u64_e32 v[4:5], s[26:27], v[10:11]
	v_add_nc_u32_e32 v1, v10, v5
	s_delay_alu instid0(VALU_DEP_1) | instskip(NEXT) | instid1(VALU_DEP_1)
	v_lshrrev_b32_e32 v1, s1, v1
	v_mul_lo_u32 v1, v1, s23
	s_delay_alu instid0(VALU_DEP_1) | instskip(NEXT) | instid1(VALU_DEP_1)
	v_sub_nc_u32_e32 v1, v10, v1
	v_mad_u32 v2, v1, s16, v2
	v_mad_u32 v6, v1, s17, v6
	;; [unrolled: 1-line block ×4, first 2 shown]
.LBB143_1604:
	v_mov_b32_e32 v7, 0
	s_and_b32 s0, s40, 0xff
	s_delay_alu instid0(SALU_CYCLE_1) | instskip(SKIP_1) | instid1(VALU_DEP_1)
	s_cmp_lt_i32 s0, 11
	s_wait_loadcnt 0x0
	v_add_nc_u64_e32 v[10:11], s[6:7], v[6:7]
	s_cbranch_scc1 .LBB143_1611
; %bb.1605:
	s_and_b32 s1, 0xffff, s0
	s_mov_b32 s7, 0
	s_cmp_gt_i32 s1, 25
	s_cbranch_scc0 .LBB143_1612
; %bb.1606:
	s_cmp_gt_i32 s1, 28
	s_cbranch_scc0 .LBB143_1613
; %bb.1607:
	;; [unrolled: 3-line block ×4, first 2 shown]
	s_cmp_eq_u32 s1, 46
	s_mov_b32 s13, 0
	s_cbranch_scc0 .LBB143_1616
; %bb.1610:
	global_load_b32 v1, v[10:11], off
	s_mov_b32 s6, 0
	s_mov_b32 s12, -1
	s_wait_loadcnt 0x0
	v_lshlrev_b32_e32 v1, 16, v1
	s_delay_alu instid0(VALU_DEP_1)
	v_cvt_f64_f32_e32 v[6:7], v1
	s_branch .LBB143_1618
.LBB143_1611:
	s_mov_b32 s1, -1
	s_mov_b32 s12, 0
	s_mov_b32 s7, 0
	;; [unrolled: 1-line block ×3, first 2 shown]
                                        ; implicit-def: $vgpr6_vgpr7
	s_branch .LBB143_1681
.LBB143_1612:
	s_mov_b32 s13, -1
	s_mov_b32 s12, 0
	s_mov_b32 s6, s56
                                        ; implicit-def: $vgpr6_vgpr7
	s_branch .LBB143_1647
.LBB143_1613:
	s_mov_b32 s13, -1
	s_mov_b32 s12, 0
	s_mov_b32 s6, s56
                                        ; implicit-def: $vgpr6_vgpr7
	s_branch .LBB143_1628
.LBB143_1614:
	s_mov_b32 s13, -1
	s_mov_b32 s12, 0
	s_mov_b32 s6, s56
                                        ; implicit-def: $vgpr6_vgpr7
	s_branch .LBB143_1623
.LBB143_1615:
	s_mov_b32 s13, -1
	s_mov_b32 s12, 0
	s_mov_b32 s6, s56
	s_branch .LBB143_1617
.LBB143_1616:
	s_mov_b32 s6, -1
	s_mov_b32 s12, 0
.LBB143_1617:
                                        ; implicit-def: $vgpr6_vgpr7
.LBB143_1618:
	s_and_b32 vcc_lo, exec_lo, s13
	s_cbranch_vccz .LBB143_1622
; %bb.1619:
	s_cmp_eq_u32 s1, 44
	s_cbranch_scc0 .LBB143_1621
; %bb.1620:
	global_load_u8 v1, v[10:11], off
	s_mov_b32 s6, 0
	s_mov_b32 s12, -1
	s_wait_loadcnt 0x0
	v_lshlrev_b32_e32 v3, 23, v1
	v_cmp_ne_u32_e32 vcc_lo, 0xff, v1
	s_delay_alu instid0(VALU_DEP_2) | instskip(NEXT) | instid1(VALU_DEP_1)
	v_cvt_f64_f32_e32 v[4:5], v3
	v_cndmask_b32_e32 v3, 0x20000000, v4, vcc_lo
	s_delay_alu instid0(VALU_DEP_2) | instskip(SKIP_1) | instid1(VALU_DEP_2)
	v_cndmask_b32_e32 v4, 0x7ff80000, v5, vcc_lo
	v_cmp_ne_u32_e32 vcc_lo, 0, v1
	v_cndmask_b32_e32 v7, 0x38000000, v4, vcc_lo
	s_delay_alu instid0(VALU_DEP_4)
	v_cndmask_b32_e32 v6, 0, v3, vcc_lo
	s_branch .LBB143_1622
.LBB143_1621:
	s_mov_b32 s6, -1
                                        ; implicit-def: $vgpr6_vgpr7
.LBB143_1622:
	s_mov_b32 s13, 0
.LBB143_1623:
	s_delay_alu instid0(SALU_CYCLE_1)
	s_and_b32 vcc_lo, exec_lo, s13
	s_cbranch_vccz .LBB143_1627
; %bb.1624:
	s_cmp_eq_u32 s1, 29
	s_cbranch_scc0 .LBB143_1626
; %bb.1625:
	global_load_b64 v[4:5], v[10:11], off
	s_mov_b32 s6, 0
	s_mov_b32 s12, -1
	s_mov_b32 s13, 0
	s_wait_loadcnt 0x0
	v_cvt_f64_u32_e32 v[6:7], v5
	v_cvt_f64_u32_e32 v[4:5], v4
	s_delay_alu instid0(VALU_DEP_2) | instskip(NEXT) | instid1(VALU_DEP_1)
	v_ldexp_f64 v[6:7], v[6:7], 32
	v_add_f64_e32 v[6:7], v[6:7], v[4:5]
	s_branch .LBB143_1628
.LBB143_1626:
	s_mov_b32 s6, -1
                                        ; implicit-def: $vgpr6_vgpr7
.LBB143_1627:
	s_mov_b32 s13, 0
.LBB143_1628:
	s_delay_alu instid0(SALU_CYCLE_1)
	s_and_b32 vcc_lo, exec_lo, s13
	s_cbranch_vccz .LBB143_1646
; %bb.1629:
	s_cmp_lt_i32 s1, 27
	s_cbranch_scc1 .LBB143_1632
; %bb.1630:
	s_cmp_gt_i32 s1, 27
	s_cbranch_scc0 .LBB143_1633
; %bb.1631:
	global_load_b32 v1, v[10:11], off
	s_mov_b32 s12, 0
	s_wait_loadcnt 0x0
	v_cvt_f64_u32_e32 v[6:7], v1
	s_branch .LBB143_1634
.LBB143_1632:
	s_mov_b32 s12, -1
                                        ; implicit-def: $vgpr6_vgpr7
	s_branch .LBB143_1637
.LBB143_1633:
	s_mov_b32 s12, -1
                                        ; implicit-def: $vgpr6_vgpr7
.LBB143_1634:
	s_delay_alu instid0(SALU_CYCLE_1)
	s_and_not1_b32 vcc_lo, exec_lo, s12
	s_cbranch_vccnz .LBB143_1636
; %bb.1635:
	global_load_u16 v1, v[10:11], off
	s_wait_loadcnt 0x0
	v_cvt_f64_u32_e32 v[6:7], v1
.LBB143_1636:
	s_mov_b32 s12, 0
.LBB143_1637:
	s_delay_alu instid0(SALU_CYCLE_1)
	s_and_not1_b32 vcc_lo, exec_lo, s12
	s_cbranch_vccnz .LBB143_1645
; %bb.1638:
	global_load_u8 v1, v[10:11], off
	s_mov_b32 s12, 0
	s_mov_b32 s13, exec_lo
	s_wait_loadcnt 0x0
	v_cmpx_lt_i16_e32 0x7f, v1
	s_xor_b32 s13, exec_lo, s13
	s_cbranch_execz .LBB143_1659
; %bb.1639:
	s_mov_b32 s12, -1
	s_mov_b32 s14, exec_lo
	v_cmpx_eq_u16_e32 0x80, v1
; %bb.1640:
	s_xor_b32 s12, exec_lo, -1
; %bb.1641:
	s_or_b32 exec_lo, exec_lo, s14
	s_delay_alu instid0(SALU_CYCLE_1)
	s_and_b32 s12, s12, exec_lo
	s_or_saveexec_b32 s13, s13
	v_mov_b64_e32 v[6:7], 0x7ff8000020000000
	s_xor_b32 exec_lo, exec_lo, s13
	s_cbranch_execnz .LBB143_1660
.LBB143_1642:
	s_or_b32 exec_lo, exec_lo, s13
	s_and_saveexec_b32 s13, s12
	s_cbranch_execz .LBB143_1644
.LBB143_1643:
	v_and_b32_e32 v3, 0xffff, v1
	s_delay_alu instid0(VALU_DEP_1) | instskip(SKIP_1) | instid1(VALU_DEP_2)
	v_and_b32_e32 v4, 7, v3
	v_bfe_u32 v7, v3, 3, 4
	v_clz_i32_u32_e32 v5, v4
	s_delay_alu instid0(VALU_DEP_2) | instskip(NEXT) | instid1(VALU_DEP_2)
	v_cmp_eq_u32_e32 vcc_lo, 0, v7
	v_min_u32_e32 v5, 32, v5
	s_delay_alu instid0(VALU_DEP_1) | instskip(NEXT) | instid1(VALU_DEP_1)
	v_subrev_nc_u32_e32 v6, 28, v5
	v_dual_lshlrev_b32 v3, v6, v3 :: v_dual_sub_nc_u32 v5, 29, v5
	s_delay_alu instid0(VALU_DEP_1) | instskip(NEXT) | instid1(VALU_DEP_1)
	v_dual_lshlrev_b32 v1, 24, v1 :: v_dual_bitop2_b32 v3, 7, v3 bitop3:0x40
	v_dual_cndmask_b32 v3, v4, v3, vcc_lo :: v_dual_cndmask_b32 v5, v7, v5, vcc_lo
	s_delay_alu instid0(VALU_DEP_2) | instskip(NEXT) | instid1(VALU_DEP_2)
	v_and_b32_e32 v1, 0x80000000, v1
	v_lshlrev_b32_e32 v3, 20, v3
	s_delay_alu instid0(VALU_DEP_3) | instskip(NEXT) | instid1(VALU_DEP_1)
	v_lshl_add_u32 v4, v5, 23, 0x3b800000
	v_or3_b32 v1, v1, v4, v3
	s_delay_alu instid0(VALU_DEP_1)
	v_cvt_f64_f32_e32 v[6:7], v1
.LBB143_1644:
	s_or_b32 exec_lo, exec_lo, s13
.LBB143_1645:
	s_mov_b32 s12, -1
.LBB143_1646:
	s_mov_b32 s13, 0
.LBB143_1647:
	s_delay_alu instid0(SALU_CYCLE_1)
	s_and_b32 vcc_lo, exec_lo, s13
	s_cbranch_vccz .LBB143_1680
; %bb.1648:
	s_cmp_gt_i32 s1, 22
	s_cbranch_scc0 .LBB143_1658
; %bb.1649:
	s_cmp_lt_i32 s1, 24
	s_cbranch_scc1 .LBB143_1661
; %bb.1650:
	s_cmp_gt_i32 s1, 24
	s_cbranch_scc0 .LBB143_1662
; %bb.1651:
	global_load_u8 v1, v[10:11], off
	s_mov_b32 s12, exec_lo
	s_wait_loadcnt 0x0
	v_cmpx_lt_i16_e32 0x7f, v1
	s_xor_b32 s12, exec_lo, s12
	s_cbranch_execz .LBB143_1674
; %bb.1652:
	s_mov_b32 s7, -1
	s_mov_b32 s13, exec_lo
	v_cmpx_eq_u16_e32 0x80, v1
; %bb.1653:
	s_xor_b32 s7, exec_lo, -1
; %bb.1654:
	s_or_b32 exec_lo, exec_lo, s13
	s_delay_alu instid0(SALU_CYCLE_1)
	s_and_b32 s7, s7, exec_lo
	s_or_saveexec_b32 s12, s12
	v_mov_b64_e32 v[6:7], 0x7ff8000020000000
	s_xor_b32 exec_lo, exec_lo, s12
	s_cbranch_execnz .LBB143_1675
.LBB143_1655:
	s_or_b32 exec_lo, exec_lo, s12
	s_and_saveexec_b32 s12, s7
	s_cbranch_execz .LBB143_1657
.LBB143_1656:
	v_and_b32_e32 v3, 0xffff, v1
	s_delay_alu instid0(VALU_DEP_1) | instskip(SKIP_1) | instid1(VALU_DEP_2)
	v_and_b32_e32 v4, 3, v3
	v_bfe_u32 v7, v3, 2, 5
	v_clz_i32_u32_e32 v5, v4
	s_delay_alu instid0(VALU_DEP_2) | instskip(NEXT) | instid1(VALU_DEP_2)
	v_cmp_eq_u32_e32 vcc_lo, 0, v7
	v_min_u32_e32 v5, 32, v5
	s_delay_alu instid0(VALU_DEP_1) | instskip(NEXT) | instid1(VALU_DEP_1)
	v_subrev_nc_u32_e32 v6, 29, v5
	v_dual_lshlrev_b32 v3, v6, v3 :: v_dual_sub_nc_u32 v5, 30, v5
	s_delay_alu instid0(VALU_DEP_1) | instskip(NEXT) | instid1(VALU_DEP_1)
	v_dual_lshlrev_b32 v1, 24, v1 :: v_dual_bitop2_b32 v3, 3, v3 bitop3:0x40
	v_dual_cndmask_b32 v3, v4, v3, vcc_lo :: v_dual_cndmask_b32 v5, v7, v5, vcc_lo
	s_delay_alu instid0(VALU_DEP_2) | instskip(NEXT) | instid1(VALU_DEP_2)
	v_and_b32_e32 v1, 0x80000000, v1
	v_lshlrev_b32_e32 v3, 21, v3
	s_delay_alu instid0(VALU_DEP_3) | instskip(NEXT) | instid1(VALU_DEP_1)
	v_lshl_add_u32 v4, v5, 23, 0x37800000
	v_or3_b32 v1, v1, v4, v3
	s_delay_alu instid0(VALU_DEP_1)
	v_cvt_f64_f32_e32 v[6:7], v1
.LBB143_1657:
	s_or_b32 exec_lo, exec_lo, s12
	s_mov_b32 s7, 0
	s_branch .LBB143_1663
.LBB143_1658:
	s_mov_b32 s7, -1
                                        ; implicit-def: $vgpr6_vgpr7
	s_branch .LBB143_1669
.LBB143_1659:
	s_or_saveexec_b32 s13, s13
	v_mov_b64_e32 v[6:7], 0x7ff8000020000000
	s_xor_b32 exec_lo, exec_lo, s13
	s_cbranch_execz .LBB143_1642
.LBB143_1660:
	v_cmp_ne_u16_e32 vcc_lo, 0, v1
	v_mov_b64_e32 v[6:7], 0
	s_and_not1_b32 s12, s12, exec_lo
	s_and_b32 s14, vcc_lo, exec_lo
	s_delay_alu instid0(SALU_CYCLE_1)
	s_or_b32 s12, s12, s14
	s_or_b32 exec_lo, exec_lo, s13
	s_and_saveexec_b32 s13, s12
	s_cbranch_execnz .LBB143_1643
	s_branch .LBB143_1644
.LBB143_1661:
	s_mov_b32 s7, -1
                                        ; implicit-def: $vgpr6_vgpr7
	s_branch .LBB143_1666
.LBB143_1662:
	s_mov_b32 s7, -1
                                        ; implicit-def: $vgpr6_vgpr7
.LBB143_1663:
	s_delay_alu instid0(SALU_CYCLE_1)
	s_and_b32 vcc_lo, exec_lo, s7
	s_cbranch_vccz .LBB143_1665
; %bb.1664:
	global_load_u8 v1, v[10:11], off
	s_wait_loadcnt 0x0
	v_lshlrev_b32_e32 v1, 24, v1
	s_delay_alu instid0(VALU_DEP_1) | instskip(NEXT) | instid1(VALU_DEP_1)
	v_and_b32_e32 v3, 0x7f000000, v1
	v_clz_i32_u32_e32 v4, v3
	v_cmp_ne_u32_e32 vcc_lo, 0, v3
	v_add_nc_u32_e32 v6, 0x1000000, v3
	s_delay_alu instid0(VALU_DEP_3) | instskip(NEXT) | instid1(VALU_DEP_1)
	v_min_u32_e32 v4, 32, v4
	v_sub_nc_u32_e64 v4, v4, 4 clamp
	s_delay_alu instid0(VALU_DEP_1) | instskip(NEXT) | instid1(VALU_DEP_1)
	v_dual_lshlrev_b32 v5, v4, v3 :: v_dual_lshlrev_b32 v4, 23, v4
	v_lshrrev_b32_e32 v5, 4, v5
	s_delay_alu instid0(VALU_DEP_1) | instskip(NEXT) | instid1(VALU_DEP_1)
	v_dual_sub_nc_u32 v4, v5, v4 :: v_dual_ashrrev_i32 v5, 8, v6
	v_add_nc_u32_e32 v4, 0x3c000000, v4
	s_delay_alu instid0(VALU_DEP_1) | instskip(NEXT) | instid1(VALU_DEP_1)
	v_and_or_b32 v4, 0x7f800000, v5, v4
	v_cndmask_b32_e32 v3, 0, v4, vcc_lo
	s_delay_alu instid0(VALU_DEP_1) | instskip(NEXT) | instid1(VALU_DEP_1)
	v_and_or_b32 v1, 0x80000000, v1, v3
	v_cvt_f64_f32_e32 v[6:7], v1
.LBB143_1665:
	s_mov_b32 s7, 0
.LBB143_1666:
	s_delay_alu instid0(SALU_CYCLE_1)
	s_and_not1_b32 vcc_lo, exec_lo, s7
	s_cbranch_vccnz .LBB143_1668
; %bb.1667:
	global_load_u8 v1, v[10:11], off
	s_wait_loadcnt 0x0
	v_lshlrev_b32_e32 v3, 25, v1
	v_lshlrev_b16 v1, 8, v1
	s_delay_alu instid0(VALU_DEP_1) | instskip(NEXT) | instid1(VALU_DEP_3)
	v_and_or_b32 v5, 0x7f00, v1, 0.5
	v_lshrrev_b32_e32 v4, 4, v3
	v_bfe_i32 v1, v1, 0, 16
	s_delay_alu instid0(VALU_DEP_3) | instskip(NEXT) | instid1(VALU_DEP_3)
	v_add_f32_e32 v5, -0.5, v5
	v_or_b32_e32 v4, 0x70000000, v4
	s_delay_alu instid0(VALU_DEP_1) | instskip(SKIP_1) | instid1(VALU_DEP_2)
	v_mul_f32_e32 v4, 0x7800000, v4
	v_cmp_gt_u32_e32 vcc_lo, 0x8000000, v3
	v_cndmask_b32_e32 v3, v4, v5, vcc_lo
	s_delay_alu instid0(VALU_DEP_1) | instskip(NEXT) | instid1(VALU_DEP_1)
	v_and_or_b32 v1, 0x80000000, v1, v3
	v_cvt_f64_f32_e32 v[6:7], v1
.LBB143_1668:
	s_mov_b32 s7, 0
	s_mov_b32 s12, -1
.LBB143_1669:
	s_and_not1_b32 vcc_lo, exec_lo, s7
	s_mov_b32 s7, 0
	s_cbranch_vccnz .LBB143_1680
; %bb.1670:
	s_cmp_gt_i32 s1, 14
	s_cbranch_scc0 .LBB143_1673
; %bb.1671:
	s_cmp_eq_u32 s1, 15
	s_cbranch_scc0 .LBB143_1676
; %bb.1672:
	global_load_u16 v1, v[10:11], off
	s_mov_b32 s6, 0
	s_mov_b32 s12, -1
	s_wait_loadcnt 0x0
	v_lshlrev_b32_e32 v1, 16, v1
	s_delay_alu instid0(VALU_DEP_1)
	v_cvt_f64_f32_e32 v[6:7], v1
	s_branch .LBB143_1678
.LBB143_1673:
	s_mov_b32 s7, -1
	s_branch .LBB143_1677
.LBB143_1674:
	s_or_saveexec_b32 s12, s12
	v_mov_b64_e32 v[6:7], 0x7ff8000020000000
	s_xor_b32 exec_lo, exec_lo, s12
	s_cbranch_execz .LBB143_1655
.LBB143_1675:
	v_cmp_ne_u16_e32 vcc_lo, 0, v1
	v_mov_b64_e32 v[6:7], 0
	s_and_not1_b32 s7, s7, exec_lo
	s_and_b32 s13, vcc_lo, exec_lo
	s_delay_alu instid0(SALU_CYCLE_1)
	s_or_b32 s7, s7, s13
	s_or_b32 exec_lo, exec_lo, s12
	s_and_saveexec_b32 s12, s7
	s_cbranch_execnz .LBB143_1656
	s_branch .LBB143_1657
.LBB143_1676:
	s_mov_b32 s6, -1
.LBB143_1677:
                                        ; implicit-def: $vgpr6_vgpr7
.LBB143_1678:
	s_and_b32 vcc_lo, exec_lo, s7
	s_mov_b32 s7, 0
	s_cbranch_vccz .LBB143_1680
; %bb.1679:
	s_cmp_lg_u32 s1, 11
	s_mov_b32 s7, -1
	s_cselect_b32 s1, -1, 0
	s_and_not1_b32 s6, s6, exec_lo
	s_and_b32 s1, s1, exec_lo
	s_delay_alu instid0(SALU_CYCLE_1)
	s_or_b32 s6, s6, s1
.LBB143_1680:
	s_mov_b32 s1, 0
.LBB143_1681:
	s_delay_alu instid0(SALU_CYCLE_1)
	s_and_b32 s30, s1, exec_lo
	s_and_not1_b32 s1, s56, exec_lo
	s_and_b32 s6, s6, exec_lo
	s_and_b32 s28, s12, exec_lo
	s_and_b32 s29, s7, exec_lo
	s_or_b32 s31, s1, s6
.LBB143_1682:
	s_wait_xcnt 0x0
	s_or_b32 exec_lo, exec_lo, s43
	s_delay_alu instid0(SALU_CYCLE_1)
	s_and_not1_b32 s1, s56, exec_lo
	s_and_b32 s6, s31, exec_lo
	s_and_b32 s28, s28, exec_lo
	;; [unrolled: 1-line block ×4, first 2 shown]
	s_or_b32 s56, s1, s6
.LBB143_1683:
	s_or_b32 exec_lo, exec_lo, s55
	s_delay_alu instid0(SALU_CYCLE_1)
	s_and_not1_b32 s1, s51, exec_lo
	s_and_b32 s6, s59, exec_lo
	s_and_not1_b32 s7, s53, exec_lo
	s_or_b32 s51, s1, s6
	s_and_not1_b32 s1, s52, exec_lo
	s_and_b32 s6, s57, exec_lo
	s_and_b32 s12, s58, exec_lo
	s_or_b32 s52, s1, s6
	s_and_not1_b32 s1, s50, exec_lo
	s_and_b32 s6, s56, exec_lo
	s_or_b32 s53, s7, s12
	s_and_b32 s28, s28, exec_lo
	s_and_b32 s30, s30, exec_lo
	;; [unrolled: 1-line block ×3, first 2 shown]
	s_or_b32 s50, s1, s6
.LBB143_1684:
	s_or_b32 exec_lo, exec_lo, s54
	s_delay_alu instid0(SALU_CYCLE_1)
	s_and_not1_b32 s1, s45, exec_lo
	s_and_b32 s6, s51, exec_lo
	s_and_not1_b32 s7, s47, exec_lo
	s_or_b32 s45, s1, s6
	s_and_not1_b32 s1, s46, exec_lo
	s_and_b32 s6, s52, exec_lo
	s_and_b32 s12, s53, exec_lo
	s_or_b32 s46, s1, s6
	s_and_not1_b32 s1, s48, exec_lo
	s_and_b32 s6, s50, exec_lo
	s_or_b32 s47, s7, s12
	s_and_b32 s28, s28, exec_lo
	s_and_b32 s30, s30, exec_lo
	;; [unrolled: 1-line block ×3, first 2 shown]
	s_or_b32 s48, s1, s6
	s_or_b32 exec_lo, exec_lo, s49
	s_mov_b32 s1, 0
	s_and_saveexec_b32 s6, s48
	s_cbranch_execz .LBB143_532
.LBB143_1685:
	s_mov_b32 s1, exec_lo
	s_and_not1_b32 s25, s25, exec_lo
	s_trap 2
	s_or_b32 exec_lo, exec_lo, s6
	s_and_saveexec_b32 s6, s25
	s_delay_alu instid0(SALU_CYCLE_1)
	s_xor_b32 s6, exec_lo, s6
	s_cbranch_execnz .LBB143_533
.LBB143_1686:
	s_or_b32 exec_lo, exec_lo, s6
	s_and_saveexec_b32 s6, s30
	s_cbranch_execz .LBB143_1732
.LBB143_1687:
	s_sext_i32_i16 s7, s0
	s_delay_alu instid0(SALU_CYCLE_1)
	s_cmp_lt_i32 s7, 5
	s_cbranch_scc1 .LBB143_1692
; %bb.1688:
	s_cmp_lt_i32 s7, 8
	s_cbranch_scc1 .LBB143_1693
; %bb.1689:
	;; [unrolled: 3-line block ×3, first 2 shown]
	s_cmp_gt_i32 s7, 9
	s_cbranch_scc0 .LBB143_1695
; %bb.1691:
	s_wait_loadcnt 0x0
	global_load_b64 v[6:7], v[10:11], off
	s_mov_b32 s7, 0
	s_branch .LBB143_1696
.LBB143_1692:
                                        ; implicit-def: $vgpr6_vgpr7
	s_branch .LBB143_1713
.LBB143_1693:
                                        ; implicit-def: $vgpr6_vgpr7
	s_branch .LBB143_1702
.LBB143_1694:
	s_mov_b32 s7, -1
                                        ; implicit-def: $vgpr6_vgpr7
	s_branch .LBB143_1699
.LBB143_1695:
	s_mov_b32 s7, -1
                                        ; implicit-def: $vgpr6_vgpr7
.LBB143_1696:
	s_delay_alu instid0(SALU_CYCLE_1)
	s_and_not1_b32 vcc_lo, exec_lo, s7
	s_cbranch_vccnz .LBB143_1698
; %bb.1697:
	s_wait_loadcnt 0x0
	global_load_b32 v1, v[10:11], off
	s_wait_loadcnt 0x0
	v_cvt_f64_f32_e32 v[6:7], v1
.LBB143_1698:
	s_mov_b32 s7, 0
.LBB143_1699:
	s_delay_alu instid0(SALU_CYCLE_1)
	s_and_not1_b32 vcc_lo, exec_lo, s7
	s_cbranch_vccnz .LBB143_1701
; %bb.1700:
	s_wait_loadcnt 0x0
	global_load_b32 v1, v[10:11], off
	s_wait_loadcnt 0x0
	v_cvt_f32_f16_e32 v1, v1
	s_delay_alu instid0(VALU_DEP_1)
	v_cvt_f64_f32_e32 v[6:7], v1
.LBB143_1701:
	s_cbranch_execnz .LBB143_1712
.LBB143_1702:
	s_sext_i32_i16 s7, s0
	s_delay_alu instid0(SALU_CYCLE_1)
	s_cmp_lt_i32 s7, 6
	s_cbranch_scc1 .LBB143_1705
; %bb.1703:
	s_cmp_gt_i32 s7, 6
	s_cbranch_scc0 .LBB143_1706
; %bb.1704:
	s_wait_loadcnt 0x0
	global_load_b64 v[6:7], v[10:11], off
	s_mov_b32 s7, 0
	s_branch .LBB143_1707
.LBB143_1705:
	s_mov_b32 s7, -1
                                        ; implicit-def: $vgpr6_vgpr7
	s_branch .LBB143_1710
.LBB143_1706:
	s_mov_b32 s7, -1
                                        ; implicit-def: $vgpr6_vgpr7
.LBB143_1707:
	s_delay_alu instid0(SALU_CYCLE_1)
	s_and_not1_b32 vcc_lo, exec_lo, s7
	s_cbranch_vccnz .LBB143_1709
; %bb.1708:
	s_wait_loadcnt 0x0
	global_load_b32 v1, v[10:11], off
	s_wait_loadcnt 0x0
	v_cvt_f64_f32_e32 v[6:7], v1
.LBB143_1709:
	s_mov_b32 s7, 0
.LBB143_1710:
	s_delay_alu instid0(SALU_CYCLE_1)
	s_and_not1_b32 vcc_lo, exec_lo, s7
	s_cbranch_vccnz .LBB143_1712
; %bb.1711:
	s_wait_loadcnt 0x0
	global_load_u16 v1, v[10:11], off
	s_wait_loadcnt 0x0
	v_cvt_f32_f16_e32 v1, v1
	s_delay_alu instid0(VALU_DEP_1)
	v_cvt_f64_f32_e32 v[6:7], v1
.LBB143_1712:
	s_cbranch_execnz .LBB143_1731
.LBB143_1713:
	s_sext_i32_i16 s7, s0
	s_delay_alu instid0(SALU_CYCLE_1)
	s_cmp_lt_i32 s7, 2
	s_cbranch_scc1 .LBB143_1717
; %bb.1714:
	s_cmp_lt_i32 s7, 3
	s_cbranch_scc1 .LBB143_1718
; %bb.1715:
	s_cmp_gt_i32 s7, 3
	s_cbranch_scc0 .LBB143_1719
; %bb.1716:
	s_wait_loadcnt 0x0
	global_load_b64 v[4:5], v[10:11], off
	s_mov_b32 s7, 0
	s_wait_loadcnt 0x0
	v_cvt_f64_i32_e32 v[6:7], v5
	v_cvt_f64_u32_e32 v[4:5], v4
	s_delay_alu instid0(VALU_DEP_2) | instskip(NEXT) | instid1(VALU_DEP_1)
	v_ldexp_f64 v[6:7], v[6:7], 32
	v_add_f64_e32 v[6:7], v[6:7], v[4:5]
	s_branch .LBB143_1720
.LBB143_1717:
                                        ; implicit-def: $vgpr6_vgpr7
	s_branch .LBB143_1726
.LBB143_1718:
	s_mov_b32 s7, -1
                                        ; implicit-def: $vgpr6_vgpr7
	s_branch .LBB143_1723
.LBB143_1719:
	s_mov_b32 s7, -1
                                        ; implicit-def: $vgpr6_vgpr7
.LBB143_1720:
	s_delay_alu instid0(SALU_CYCLE_1)
	s_and_not1_b32 vcc_lo, exec_lo, s7
	s_cbranch_vccnz .LBB143_1722
; %bb.1721:
	s_wait_loadcnt 0x0
	global_load_b32 v1, v[10:11], off
	s_wait_loadcnt 0x0
	v_cvt_f64_i32_e32 v[6:7], v1
.LBB143_1722:
	s_mov_b32 s7, 0
.LBB143_1723:
	s_delay_alu instid0(SALU_CYCLE_1)
	s_and_not1_b32 vcc_lo, exec_lo, s7
	s_cbranch_vccnz .LBB143_1725
; %bb.1724:
	s_wait_loadcnt 0x0
	global_load_i16 v1, v[10:11], off
	s_wait_loadcnt 0x0
	v_cvt_f64_i32_e32 v[6:7], v1
.LBB143_1725:
	s_cbranch_execnz .LBB143_1731
.LBB143_1726:
	s_sext_i32_i16 s0, s0
	s_delay_alu instid0(SALU_CYCLE_1)
	s_cmp_gt_i32 s0, 0
	s_mov_b32 s0, 0
	s_cbranch_scc0 .LBB143_1728
; %bb.1727:
	s_wait_loadcnt 0x0
	global_load_i8 v1, v[10:11], off
	s_wait_loadcnt 0x0
	v_cvt_f64_i32_e32 v[6:7], v1
	s_branch .LBB143_1729
.LBB143_1728:
	s_mov_b32 s0, -1
                                        ; implicit-def: $vgpr6_vgpr7
.LBB143_1729:
	s_delay_alu instid0(SALU_CYCLE_1)
	s_and_not1_b32 vcc_lo, exec_lo, s0
	s_cbranch_vccnz .LBB143_1731
; %bb.1730:
	s_wait_loadcnt 0x0
	global_load_u8 v1, v[10:11], off
	s_wait_loadcnt 0x0
	v_cvt_f64_u32_e32 v[6:7], v1
.LBB143_1731:
	s_or_b32 s28, s28, exec_lo
.LBB143_1732:
	s_wait_xcnt 0x0
	s_or_b32 exec_lo, exec_lo, s6
	s_mov_b32 s13, 0
	s_mov_b32 s12, 0
	;; [unrolled: 1-line block ×3, first 2 shown]
                                        ; implicit-def: $sgpr0
                                        ; implicit-def: $vgpr10_vgpr11
                                        ; implicit-def: $vgpr4_vgpr5
	s_and_saveexec_b32 s6, s28
	s_cbranch_execz .LBB143_1740
; %bb.1733:
	s_wait_loadcnt 0x0
	v_mov_b32_e32 v9, 0
	s_and_b32 s0, s39, 0xff
	s_delay_alu instid0(SALU_CYCLE_1) | instskip(NEXT) | instid1(VALU_DEP_1)
	s_cmp_lt_i32 s0, 11
	v_add_nc_u64_e32 v[10:11], s[8:9], v[8:9]
	s_cbranch_scc1 .LBB143_1743
; %bb.1734:
	s_and_b32 s7, 0xffff, s0
	s_mov_b32 s9, 0
	s_cmp_gt_i32 s7, 25
	s_cbranch_scc0 .LBB143_1744
; %bb.1735:
	s_cmp_gt_i32 s7, 28
	s_cbranch_scc0 .LBB143_1745
; %bb.1736:
	;; [unrolled: 3-line block ×4, first 2 shown]
	s_cmp_eq_u32 s7, 46
	s_cbranch_scc0 .LBB143_1748
; %bb.1739:
	global_load_b32 v1, v[10:11], off
	s_mov_b32 s8, 0
	s_mov_b32 s12, -1
	s_wait_loadcnt 0x0
	v_lshlrev_b32_e32 v1, 16, v1
	s_delay_alu instid0(VALU_DEP_1)
	v_cvt_f64_f32_e32 v[4:5], v1
	s_branch .LBB143_1750
.LBB143_1740:
	s_or_b32 exec_lo, exec_lo, s6
	s_and_saveexec_b32 s6, s47
	s_cbranch_execnz .LBB143_1813
.LBB143_1741:
	s_or_b32 exec_lo, exec_lo, s6
	s_and_saveexec_b32 s6, s13
	s_delay_alu instid0(SALU_CYCLE_1)
	s_xor_b32 s6, exec_lo, s6
	s_cbranch_execz .LBB143_1814
.LBB143_1742:
	s_wait_loadcnt 0x0
	global_load_u8 v1, v[10:11], off
	v_mov_b32_e32 v4, 0
	s_or_b32 s7, s7, exec_lo
	s_wait_loadcnt 0x0
	v_cmp_ne_u16_e32 vcc_lo, 0, v1
	v_cndmask_b32_e64 v5, 0, 0x3ff00000, vcc_lo
	s_wait_xcnt 0x0
	s_or_b32 exec_lo, exec_lo, s6
	s_and_saveexec_b32 s6, s12
	s_cbranch_execz .LBB143_1860
	s_branch .LBB143_1815
.LBB143_1743:
	s_mov_b32 s13, -1
	s_mov_b32 s9, 0
	s_mov_b32 s8, s47
                                        ; implicit-def: $vgpr4_vgpr5
	s_branch .LBB143_1812
.LBB143_1744:
	s_mov_b32 s8, s47
                                        ; implicit-def: $vgpr4_vgpr5
	s_cbranch_execnz .LBB143_1779
	s_branch .LBB143_1811
.LBB143_1745:
	s_mov_b32 s13, -1
	s_mov_b32 s8, s47
                                        ; implicit-def: $vgpr4_vgpr5
	s_branch .LBB143_1760
.LBB143_1746:
	s_mov_b32 s13, -1
	s_mov_b32 s8, s47
                                        ; implicit-def: $vgpr4_vgpr5
	s_branch .LBB143_1755
.LBB143_1747:
	s_mov_b32 s13, -1
	s_mov_b32 s8, s47
	s_branch .LBB143_1749
.LBB143_1748:
	s_mov_b32 s8, -1
.LBB143_1749:
                                        ; implicit-def: $vgpr4_vgpr5
.LBB143_1750:
	s_and_b32 vcc_lo, exec_lo, s13
	s_cbranch_vccz .LBB143_1754
; %bb.1751:
	s_cmp_eq_u32 s7, 44
	s_cbranch_scc0 .LBB143_1753
; %bb.1752:
	global_load_u8 v1, v[10:11], off
	s_mov_b32 s8, 0
	s_mov_b32 s12, -1
	s_wait_loadcnt 0x0
	v_lshlrev_b32_e32 v3, 23, v1
	v_cmp_ne_u32_e32 vcc_lo, 0xff, v1
	s_delay_alu instid0(VALU_DEP_2) | instskip(NEXT) | instid1(VALU_DEP_1)
	v_cvt_f64_f32_e32 v[4:5], v3
	v_cndmask_b32_e32 v3, 0x20000000, v4, vcc_lo
	s_delay_alu instid0(VALU_DEP_2) | instskip(SKIP_1) | instid1(VALU_DEP_2)
	v_cndmask_b32_e32 v4, 0x7ff80000, v5, vcc_lo
	v_cmp_ne_u32_e32 vcc_lo, 0, v1
	v_cndmask_b32_e32 v5, 0x38000000, v4, vcc_lo
	s_delay_alu instid0(VALU_DEP_4)
	v_cndmask_b32_e32 v4, 0, v3, vcc_lo
	s_branch .LBB143_1754
.LBB143_1753:
	s_mov_b32 s8, -1
                                        ; implicit-def: $vgpr4_vgpr5
.LBB143_1754:
	s_mov_b32 s13, 0
.LBB143_1755:
	s_delay_alu instid0(SALU_CYCLE_1)
	s_and_b32 vcc_lo, exec_lo, s13
	s_cbranch_vccz .LBB143_1759
; %bb.1756:
	s_cmp_eq_u32 s7, 29
	s_cbranch_scc0 .LBB143_1758
; %bb.1757:
	global_load_b64 v[4:5], v[10:11], off
	s_mov_b32 s8, 0
	s_mov_b32 s12, -1
	s_mov_b32 s13, 0
	s_wait_loadcnt 0x0
	v_cvt_f64_u32_e32 v[8:9], v5
	v_cvt_f64_u32_e32 v[4:5], v4
	s_delay_alu instid0(VALU_DEP_2) | instskip(NEXT) | instid1(VALU_DEP_1)
	v_ldexp_f64 v[8:9], v[8:9], 32
	v_add_f64_e32 v[4:5], v[8:9], v[4:5]
	s_branch .LBB143_1760
.LBB143_1758:
	s_mov_b32 s8, -1
                                        ; implicit-def: $vgpr4_vgpr5
.LBB143_1759:
	s_mov_b32 s13, 0
.LBB143_1760:
	s_delay_alu instid0(SALU_CYCLE_1)
	s_and_b32 vcc_lo, exec_lo, s13
	s_cbranch_vccz .LBB143_1778
; %bb.1761:
	s_cmp_lt_i32 s7, 27
	s_cbranch_scc1 .LBB143_1764
; %bb.1762:
	s_cmp_gt_i32 s7, 27
	s_cbranch_scc0 .LBB143_1765
; %bb.1763:
	global_load_b32 v1, v[10:11], off
	s_mov_b32 s12, 0
	s_wait_loadcnt 0x0
	v_cvt_f64_u32_e32 v[4:5], v1
	s_branch .LBB143_1766
.LBB143_1764:
	s_mov_b32 s12, -1
                                        ; implicit-def: $vgpr4_vgpr5
	s_branch .LBB143_1769
.LBB143_1765:
	s_mov_b32 s12, -1
                                        ; implicit-def: $vgpr4_vgpr5
.LBB143_1766:
	s_delay_alu instid0(SALU_CYCLE_1)
	s_and_not1_b32 vcc_lo, exec_lo, s12
	s_cbranch_vccnz .LBB143_1768
; %bb.1767:
	global_load_u16 v1, v[10:11], off
	s_wait_loadcnt 0x0
	v_cvt_f64_u32_e32 v[4:5], v1
.LBB143_1768:
	s_mov_b32 s12, 0
.LBB143_1769:
	s_delay_alu instid0(SALU_CYCLE_1)
	s_and_not1_b32 vcc_lo, exec_lo, s12
	s_cbranch_vccnz .LBB143_1777
; %bb.1770:
	global_load_u8 v1, v[10:11], off
	s_mov_b32 s12, 0
	s_mov_b32 s13, exec_lo
	s_wait_loadcnt 0x0
	v_cmpx_lt_i16_e32 0x7f, v1
	s_xor_b32 s13, exec_lo, s13
	s_cbranch_execz .LBB143_1790
; %bb.1771:
	s_mov_b32 s12, -1
	s_mov_b32 s14, exec_lo
	v_cmpx_eq_u16_e32 0x80, v1
; %bb.1772:
	s_xor_b32 s12, exec_lo, -1
; %bb.1773:
	s_or_b32 exec_lo, exec_lo, s14
	s_delay_alu instid0(SALU_CYCLE_1)
	s_and_b32 s12, s12, exec_lo
	s_or_saveexec_b32 s13, s13
	v_mov_b64_e32 v[4:5], 0x7ff8000020000000
	s_xor_b32 exec_lo, exec_lo, s13
	s_cbranch_execnz .LBB143_1791
.LBB143_1774:
	s_or_b32 exec_lo, exec_lo, s13
	s_and_saveexec_b32 s13, s12
	s_cbranch_execz .LBB143_1776
.LBB143_1775:
	v_and_b32_e32 v3, 0xffff, v1
	s_delay_alu instid0(VALU_DEP_1) | instskip(SKIP_1) | instid1(VALU_DEP_2)
	v_and_b32_e32 v4, 7, v3
	v_bfe_u32 v9, v3, 3, 4
	v_clz_i32_u32_e32 v5, v4
	s_delay_alu instid0(VALU_DEP_2) | instskip(NEXT) | instid1(VALU_DEP_2)
	v_cmp_eq_u32_e32 vcc_lo, 0, v9
	v_min_u32_e32 v5, 32, v5
	s_delay_alu instid0(VALU_DEP_1) | instskip(NEXT) | instid1(VALU_DEP_1)
	v_subrev_nc_u32_e32 v8, 28, v5
	v_dual_lshlrev_b32 v3, v8, v3 :: v_dual_sub_nc_u32 v5, 29, v5
	s_delay_alu instid0(VALU_DEP_1) | instskip(NEXT) | instid1(VALU_DEP_1)
	v_dual_lshlrev_b32 v1, 24, v1 :: v_dual_bitop2_b32 v3, 7, v3 bitop3:0x40
	v_dual_cndmask_b32 v3, v4, v3, vcc_lo :: v_dual_cndmask_b32 v5, v9, v5, vcc_lo
	s_delay_alu instid0(VALU_DEP_2) | instskip(NEXT) | instid1(VALU_DEP_2)
	v_and_b32_e32 v1, 0x80000000, v1
	v_lshlrev_b32_e32 v3, 20, v3
	s_delay_alu instid0(VALU_DEP_3) | instskip(NEXT) | instid1(VALU_DEP_1)
	v_lshl_add_u32 v4, v5, 23, 0x3b800000
	v_or3_b32 v1, v1, v4, v3
	s_delay_alu instid0(VALU_DEP_1)
	v_cvt_f64_f32_e32 v[4:5], v1
.LBB143_1776:
	s_or_b32 exec_lo, exec_lo, s13
.LBB143_1777:
	s_mov_b32 s12, -1
.LBB143_1778:
	s_branch .LBB143_1811
.LBB143_1779:
	s_cmp_gt_i32 s7, 22
	s_cbranch_scc0 .LBB143_1789
; %bb.1780:
	s_cmp_lt_i32 s7, 24
	s_cbranch_scc1 .LBB143_1792
; %bb.1781:
	s_cmp_gt_i32 s7, 24
	s_cbranch_scc0 .LBB143_1793
; %bb.1782:
	global_load_u8 v1, v[10:11], off
	s_mov_b32 s12, exec_lo
	s_wait_loadcnt 0x0
	v_cmpx_lt_i16_e32 0x7f, v1
	s_xor_b32 s12, exec_lo, s12
	s_cbranch_execz .LBB143_1805
; %bb.1783:
	s_mov_b32 s9, -1
	s_mov_b32 s13, exec_lo
	v_cmpx_eq_u16_e32 0x80, v1
; %bb.1784:
	s_xor_b32 s9, exec_lo, -1
; %bb.1785:
	s_or_b32 exec_lo, exec_lo, s13
	s_delay_alu instid0(SALU_CYCLE_1)
	s_and_b32 s9, s9, exec_lo
	s_or_saveexec_b32 s12, s12
	v_mov_b64_e32 v[4:5], 0x7ff8000020000000
	s_xor_b32 exec_lo, exec_lo, s12
	s_cbranch_execnz .LBB143_1806
.LBB143_1786:
	s_or_b32 exec_lo, exec_lo, s12
	s_and_saveexec_b32 s12, s9
	s_cbranch_execz .LBB143_1788
.LBB143_1787:
	v_and_b32_e32 v3, 0xffff, v1
	s_delay_alu instid0(VALU_DEP_1) | instskip(SKIP_1) | instid1(VALU_DEP_2)
	v_and_b32_e32 v4, 3, v3
	v_bfe_u32 v9, v3, 2, 5
	v_clz_i32_u32_e32 v5, v4
	s_delay_alu instid0(VALU_DEP_2) | instskip(NEXT) | instid1(VALU_DEP_2)
	v_cmp_eq_u32_e32 vcc_lo, 0, v9
	v_min_u32_e32 v5, 32, v5
	s_delay_alu instid0(VALU_DEP_1) | instskip(NEXT) | instid1(VALU_DEP_1)
	v_subrev_nc_u32_e32 v8, 29, v5
	v_dual_lshlrev_b32 v3, v8, v3 :: v_dual_sub_nc_u32 v5, 30, v5
	s_delay_alu instid0(VALU_DEP_1) | instskip(NEXT) | instid1(VALU_DEP_1)
	v_dual_lshlrev_b32 v1, 24, v1 :: v_dual_bitop2_b32 v3, 3, v3 bitop3:0x40
	v_dual_cndmask_b32 v3, v4, v3, vcc_lo :: v_dual_cndmask_b32 v5, v9, v5, vcc_lo
	s_delay_alu instid0(VALU_DEP_2) | instskip(NEXT) | instid1(VALU_DEP_2)
	v_and_b32_e32 v1, 0x80000000, v1
	v_lshlrev_b32_e32 v3, 21, v3
	s_delay_alu instid0(VALU_DEP_3) | instskip(NEXT) | instid1(VALU_DEP_1)
	v_lshl_add_u32 v4, v5, 23, 0x37800000
	v_or3_b32 v1, v1, v4, v3
	s_delay_alu instid0(VALU_DEP_1)
	v_cvt_f64_f32_e32 v[4:5], v1
.LBB143_1788:
	s_or_b32 exec_lo, exec_lo, s12
	s_mov_b32 s9, 0
	s_branch .LBB143_1794
.LBB143_1789:
	s_mov_b32 s9, -1
                                        ; implicit-def: $vgpr4_vgpr5
	s_branch .LBB143_1800
.LBB143_1790:
	s_or_saveexec_b32 s13, s13
	v_mov_b64_e32 v[4:5], 0x7ff8000020000000
	s_xor_b32 exec_lo, exec_lo, s13
	s_cbranch_execz .LBB143_1774
.LBB143_1791:
	v_cmp_ne_u16_e32 vcc_lo, 0, v1
	v_mov_b64_e32 v[4:5], 0
	s_and_not1_b32 s12, s12, exec_lo
	s_and_b32 s14, vcc_lo, exec_lo
	s_delay_alu instid0(SALU_CYCLE_1)
	s_or_b32 s12, s12, s14
	s_or_b32 exec_lo, exec_lo, s13
	s_and_saveexec_b32 s13, s12
	s_cbranch_execnz .LBB143_1775
	s_branch .LBB143_1776
.LBB143_1792:
	s_mov_b32 s9, -1
                                        ; implicit-def: $vgpr4_vgpr5
	s_branch .LBB143_1797
.LBB143_1793:
	s_mov_b32 s9, -1
                                        ; implicit-def: $vgpr4_vgpr5
.LBB143_1794:
	s_delay_alu instid0(SALU_CYCLE_1)
	s_and_b32 vcc_lo, exec_lo, s9
	s_cbranch_vccz .LBB143_1796
; %bb.1795:
	global_load_u8 v1, v[10:11], off
	s_wait_loadcnt 0x0
	v_lshlrev_b32_e32 v1, 24, v1
	s_delay_alu instid0(VALU_DEP_1) | instskip(NEXT) | instid1(VALU_DEP_1)
	v_and_b32_e32 v3, 0x7f000000, v1
	v_clz_i32_u32_e32 v4, v3
	v_cmp_ne_u32_e32 vcc_lo, 0, v3
	v_add_nc_u32_e32 v8, 0x1000000, v3
	s_delay_alu instid0(VALU_DEP_3) | instskip(NEXT) | instid1(VALU_DEP_1)
	v_min_u32_e32 v4, 32, v4
	v_sub_nc_u32_e64 v4, v4, 4 clamp
	s_delay_alu instid0(VALU_DEP_1) | instskip(NEXT) | instid1(VALU_DEP_1)
	v_dual_lshlrev_b32 v5, v4, v3 :: v_dual_lshlrev_b32 v4, 23, v4
	v_lshrrev_b32_e32 v5, 4, v5
	s_delay_alu instid0(VALU_DEP_1) | instskip(SKIP_1) | instid1(VALU_DEP_2)
	v_sub_nc_u32_e32 v4, v5, v4
	v_ashrrev_i32_e32 v5, 8, v8
	v_add_nc_u32_e32 v4, 0x3c000000, v4
	s_delay_alu instid0(VALU_DEP_1) | instskip(NEXT) | instid1(VALU_DEP_1)
	v_and_or_b32 v4, 0x7f800000, v5, v4
	v_cndmask_b32_e32 v3, 0, v4, vcc_lo
	s_delay_alu instid0(VALU_DEP_1) | instskip(NEXT) | instid1(VALU_DEP_1)
	v_and_or_b32 v1, 0x80000000, v1, v3
	v_cvt_f64_f32_e32 v[4:5], v1
.LBB143_1796:
	s_mov_b32 s9, 0
.LBB143_1797:
	s_delay_alu instid0(SALU_CYCLE_1)
	s_and_not1_b32 vcc_lo, exec_lo, s9
	s_cbranch_vccnz .LBB143_1799
; %bb.1798:
	global_load_u8 v1, v[10:11], off
	s_wait_loadcnt 0x0
	v_lshlrev_b32_e32 v3, 25, v1
	v_lshlrev_b16 v1, 8, v1
	s_delay_alu instid0(VALU_DEP_1) | instskip(NEXT) | instid1(VALU_DEP_3)
	v_and_or_b32 v5, 0x7f00, v1, 0.5
	v_lshrrev_b32_e32 v4, 4, v3
	v_bfe_i32 v1, v1, 0, 16
	s_delay_alu instid0(VALU_DEP_3) | instskip(NEXT) | instid1(VALU_DEP_3)
	v_add_f32_e32 v5, -0.5, v5
	v_or_b32_e32 v4, 0x70000000, v4
	s_delay_alu instid0(VALU_DEP_1) | instskip(SKIP_1) | instid1(VALU_DEP_2)
	v_mul_f32_e32 v4, 0x7800000, v4
	v_cmp_gt_u32_e32 vcc_lo, 0x8000000, v3
	v_cndmask_b32_e32 v3, v4, v5, vcc_lo
	s_delay_alu instid0(VALU_DEP_1) | instskip(NEXT) | instid1(VALU_DEP_1)
	v_and_or_b32 v1, 0x80000000, v1, v3
	v_cvt_f64_f32_e32 v[4:5], v1
.LBB143_1799:
	s_mov_b32 s9, 0
	s_mov_b32 s12, -1
.LBB143_1800:
	s_and_not1_b32 vcc_lo, exec_lo, s9
	s_mov_b32 s9, 0
	s_cbranch_vccnz .LBB143_1811
; %bb.1801:
	s_cmp_gt_i32 s7, 14
	s_cbranch_scc0 .LBB143_1804
; %bb.1802:
	s_cmp_eq_u32 s7, 15
	s_cbranch_scc0 .LBB143_1807
; %bb.1803:
	global_load_u16 v1, v[10:11], off
	s_mov_b32 s8, 0
	s_mov_b32 s12, -1
	s_wait_loadcnt 0x0
	v_lshlrev_b32_e32 v1, 16, v1
	s_delay_alu instid0(VALU_DEP_1)
	v_cvt_f64_f32_e32 v[4:5], v1
	s_branch .LBB143_1809
.LBB143_1804:
	s_mov_b32 s9, -1
	s_branch .LBB143_1808
.LBB143_1805:
	s_or_saveexec_b32 s12, s12
	v_mov_b64_e32 v[4:5], 0x7ff8000020000000
	s_xor_b32 exec_lo, exec_lo, s12
	s_cbranch_execz .LBB143_1786
.LBB143_1806:
	v_cmp_ne_u16_e32 vcc_lo, 0, v1
	v_mov_b64_e32 v[4:5], 0
	s_and_not1_b32 s9, s9, exec_lo
	s_and_b32 s13, vcc_lo, exec_lo
	s_delay_alu instid0(SALU_CYCLE_1)
	s_or_b32 s9, s9, s13
	s_or_b32 exec_lo, exec_lo, s12
	s_and_saveexec_b32 s12, s9
	s_cbranch_execnz .LBB143_1787
	s_branch .LBB143_1788
.LBB143_1807:
	s_mov_b32 s8, -1
.LBB143_1808:
                                        ; implicit-def: $vgpr4_vgpr5
.LBB143_1809:
	s_and_b32 vcc_lo, exec_lo, s9
	s_mov_b32 s9, 0
	s_cbranch_vccz .LBB143_1811
; %bb.1810:
	s_cmp_lg_u32 s7, 11
	s_mov_b32 s9, -1
	s_cselect_b32 s7, -1, 0
	s_and_not1_b32 s8, s8, exec_lo
	s_and_b32 s7, s7, exec_lo
	s_delay_alu instid0(SALU_CYCLE_1)
	s_or_b32 s8, s8, s7
.LBB143_1811:
	s_mov_b32 s13, 0
.LBB143_1812:
	s_and_not1_b32 s14, s47, exec_lo
	s_and_b32 s8, s8, exec_lo
	s_and_b32 s7, s12, exec_lo
	;; [unrolled: 1-line block ×4, first 2 shown]
	s_or_b32 s47, s14, s8
	s_wait_xcnt 0x0
	s_or_b32 exec_lo, exec_lo, s6
	s_and_saveexec_b32 s6, s47
	s_cbranch_execz .LBB143_1741
.LBB143_1813:
	s_or_b32 s1, s1, exec_lo
	s_and_not1_b32 s13, s13, exec_lo
	s_trap 2
	s_or_b32 exec_lo, exec_lo, s6
	s_and_saveexec_b32 s6, s13
	s_delay_alu instid0(SALU_CYCLE_1)
	s_xor_b32 s6, exec_lo, s6
	s_cbranch_execnz .LBB143_1742
.LBB143_1814:
	s_or_b32 exec_lo, exec_lo, s6
	s_and_saveexec_b32 s6, s12
	s_cbranch_execz .LBB143_1860
.LBB143_1815:
	s_sext_i32_i16 s8, s0
	s_delay_alu instid0(SALU_CYCLE_1)
	s_cmp_lt_i32 s8, 5
	s_cbranch_scc1 .LBB143_1820
; %bb.1816:
	s_cmp_lt_i32 s8, 8
	s_cbranch_scc1 .LBB143_1821
; %bb.1817:
	;; [unrolled: 3-line block ×3, first 2 shown]
	s_cmp_gt_i32 s8, 9
	s_cbranch_scc0 .LBB143_1823
; %bb.1819:
	s_wait_loadcnt 0x0
	global_load_b64 v[4:5], v[10:11], off
	s_mov_b32 s8, 0
	s_branch .LBB143_1824
.LBB143_1820:
                                        ; implicit-def: $vgpr4_vgpr5
	s_branch .LBB143_1841
.LBB143_1821:
                                        ; implicit-def: $vgpr4_vgpr5
	s_branch .LBB143_1830
.LBB143_1822:
	s_mov_b32 s8, -1
                                        ; implicit-def: $vgpr4_vgpr5
	s_branch .LBB143_1827
.LBB143_1823:
	s_mov_b32 s8, -1
                                        ; implicit-def: $vgpr4_vgpr5
.LBB143_1824:
	s_delay_alu instid0(SALU_CYCLE_1)
	s_and_not1_b32 vcc_lo, exec_lo, s8
	s_cbranch_vccnz .LBB143_1826
; %bb.1825:
	s_wait_loadcnt 0x0
	global_load_b32 v1, v[10:11], off
	s_wait_loadcnt 0x0
	v_cvt_f64_f32_e32 v[4:5], v1
.LBB143_1826:
	s_mov_b32 s8, 0
.LBB143_1827:
	s_delay_alu instid0(SALU_CYCLE_1)
	s_and_not1_b32 vcc_lo, exec_lo, s8
	s_cbranch_vccnz .LBB143_1829
; %bb.1828:
	s_wait_loadcnt 0x0
	global_load_b32 v1, v[10:11], off
	s_wait_loadcnt 0x0
	v_cvt_f32_f16_e32 v1, v1
	s_delay_alu instid0(VALU_DEP_1)
	v_cvt_f64_f32_e32 v[4:5], v1
.LBB143_1829:
	s_cbranch_execnz .LBB143_1840
.LBB143_1830:
	s_sext_i32_i16 s8, s0
	s_delay_alu instid0(SALU_CYCLE_1)
	s_cmp_lt_i32 s8, 6
	s_cbranch_scc1 .LBB143_1833
; %bb.1831:
	s_cmp_gt_i32 s8, 6
	s_cbranch_scc0 .LBB143_1834
; %bb.1832:
	s_wait_loadcnt 0x0
	global_load_b64 v[4:5], v[10:11], off
	s_mov_b32 s8, 0
	s_branch .LBB143_1835
.LBB143_1833:
	s_mov_b32 s8, -1
                                        ; implicit-def: $vgpr4_vgpr5
	s_branch .LBB143_1838
.LBB143_1834:
	s_mov_b32 s8, -1
                                        ; implicit-def: $vgpr4_vgpr5
.LBB143_1835:
	s_delay_alu instid0(SALU_CYCLE_1)
	s_and_not1_b32 vcc_lo, exec_lo, s8
	s_cbranch_vccnz .LBB143_1837
; %bb.1836:
	s_wait_loadcnt 0x0
	global_load_b32 v1, v[10:11], off
	s_wait_loadcnt 0x0
	v_cvt_f64_f32_e32 v[4:5], v1
.LBB143_1837:
	s_mov_b32 s8, 0
.LBB143_1838:
	s_delay_alu instid0(SALU_CYCLE_1)
	s_and_not1_b32 vcc_lo, exec_lo, s8
	s_cbranch_vccnz .LBB143_1840
; %bb.1839:
	s_wait_loadcnt 0x0
	global_load_u16 v1, v[10:11], off
	s_wait_loadcnt 0x0
	v_cvt_f32_f16_e32 v1, v1
	s_delay_alu instid0(VALU_DEP_1)
	v_cvt_f64_f32_e32 v[4:5], v1
.LBB143_1840:
	s_cbranch_execnz .LBB143_1859
.LBB143_1841:
	s_sext_i32_i16 s8, s0
	s_delay_alu instid0(SALU_CYCLE_1)
	s_cmp_lt_i32 s8, 2
	s_cbranch_scc1 .LBB143_1845
; %bb.1842:
	s_cmp_lt_i32 s8, 3
	s_cbranch_scc1 .LBB143_1846
; %bb.1843:
	s_cmp_gt_i32 s8, 3
	s_cbranch_scc0 .LBB143_1847
; %bb.1844:
	s_wait_loadcnt 0x0
	global_load_b64 v[4:5], v[10:11], off
	s_mov_b32 s8, 0
	s_wait_loadcnt 0x0
	v_cvt_f64_i32_e32 v[8:9], v5
	v_cvt_f64_u32_e32 v[4:5], v4
	s_delay_alu instid0(VALU_DEP_2) | instskip(NEXT) | instid1(VALU_DEP_1)
	v_ldexp_f64 v[8:9], v[8:9], 32
	v_add_f64_e32 v[4:5], v[8:9], v[4:5]
	s_branch .LBB143_1848
.LBB143_1845:
                                        ; implicit-def: $vgpr4_vgpr5
	s_branch .LBB143_1854
.LBB143_1846:
	s_mov_b32 s8, -1
                                        ; implicit-def: $vgpr4_vgpr5
	s_branch .LBB143_1851
.LBB143_1847:
	s_mov_b32 s8, -1
                                        ; implicit-def: $vgpr4_vgpr5
.LBB143_1848:
	s_delay_alu instid0(SALU_CYCLE_1)
	s_and_not1_b32 vcc_lo, exec_lo, s8
	s_cbranch_vccnz .LBB143_1850
; %bb.1849:
	s_wait_loadcnt 0x0
	global_load_b32 v1, v[10:11], off
	s_wait_loadcnt 0x0
	v_cvt_f64_i32_e32 v[4:5], v1
.LBB143_1850:
	s_mov_b32 s8, 0
.LBB143_1851:
	s_delay_alu instid0(SALU_CYCLE_1)
	s_and_not1_b32 vcc_lo, exec_lo, s8
	s_cbranch_vccnz .LBB143_1853
; %bb.1852:
	s_wait_loadcnt 0x0
	global_load_i16 v1, v[10:11], off
	s_wait_loadcnt 0x0
	v_cvt_f64_i32_e32 v[4:5], v1
.LBB143_1853:
	s_cbranch_execnz .LBB143_1859
.LBB143_1854:
	s_sext_i32_i16 s0, s0
	s_delay_alu instid0(SALU_CYCLE_1)
	s_cmp_gt_i32 s0, 0
	s_mov_b32 s0, 0
	s_cbranch_scc0 .LBB143_1856
; %bb.1855:
	s_wait_loadcnt 0x0
	global_load_i8 v1, v[10:11], off
	s_wait_loadcnt 0x0
	v_cvt_f64_i32_e32 v[4:5], v1
	s_branch .LBB143_1857
.LBB143_1856:
	s_mov_b32 s0, -1
                                        ; implicit-def: $vgpr4_vgpr5
.LBB143_1857:
	s_delay_alu instid0(SALU_CYCLE_1)
	s_and_not1_b32 vcc_lo, exec_lo, s0
	s_cbranch_vccnz .LBB143_1859
; %bb.1858:
	s_wait_loadcnt 0x0
	global_load_u8 v1, v[10:11], off
	s_wait_loadcnt 0x0
	v_cvt_f64_u32_e32 v[4:5], v1
.LBB143_1859:
	s_or_b32 s7, s7, exec_lo
.LBB143_1860:
	s_wait_xcnt 0x0
	s_or_b32 exec_lo, exec_lo, s6
	s_mov_b32 s8, 0
	s_mov_b32 s6, 0
	;; [unrolled: 1-line block ×3, first 2 shown]
                                        ; implicit-def: $vgpr8_vgpr9
                                        ; implicit-def: $vgpr10_vgpr11
	s_and_saveexec_b32 s0, s7
	s_cbranch_execz .LBB143_1868
; %bb.1861:
	v_mov_b32_e32 v1, 0
	s_and_b32 s6, 0xffff, s21
	s_delay_alu instid0(SALU_CYCLE_1) | instskip(SKIP_1) | instid1(VALU_DEP_1)
	s_cmp_lt_i32 s6, 11
	s_wait_loadcnt 0x0
	v_add_nc_u64_e32 v[8:9], s[10:11], v[0:1]
	s_cbranch_scc1 .LBB143_1871
; %bb.1862:
	s_cmp_gt_i32 s6, 25
	s_cbranch_scc0 .LBB143_1872
; %bb.1863:
	s_cmp_gt_i32 s6, 28
	s_cbranch_scc0 .LBB143_1873
	;; [unrolled: 3-line block ×4, first 2 shown]
; %bb.1866:
	s_cmp_eq_u32 s6, 46
	s_mov_b32 s10, 0
	s_cbranch_scc0 .LBB143_1876
; %bb.1867:
	global_load_b32 v0, v[8:9], off
	s_mov_b32 s7, 0
	s_mov_b32 s9, -1
	s_wait_loadcnt 0x0
	v_lshlrev_b32_e32 v0, 16, v0
	s_delay_alu instid0(VALU_DEP_1)
	v_cvt_f64_f32_e32 v[10:11], v0
	s_branch .LBB143_1878
.LBB143_1868:
	s_or_b32 exec_lo, exec_lo, s0
	s_and_saveexec_b32 s0, s46
	s_cbranch_execnz .LBB143_1941
.LBB143_1869:
	s_or_b32 exec_lo, exec_lo, s0
	s_and_saveexec_b32 s0, s8
	s_delay_alu instid0(SALU_CYCLE_1)
	s_xor_b32 s0, exec_lo, s0
	s_cbranch_execz .LBB143_1942
.LBB143_1870:
	s_wait_loadcnt 0x0
	global_load_u8 v0, v[8:9], off
	v_mov_b32_e32 v10, 0
	s_or_b32 s9, s9, exec_lo
	s_wait_loadcnt 0x0
	v_cmp_ne_u16_e32 vcc_lo, 0, v0
	v_cndmask_b32_e64 v11, 0, 0x3ff00000, vcc_lo
	s_wait_xcnt 0x0
	s_or_b32 exec_lo, exec_lo, s0
	s_and_saveexec_b32 s0, s6
	s_cbranch_execz .LBB143_1988
	s_branch .LBB143_1943
.LBB143_1871:
	s_mov_b32 s6, -1
	s_mov_b32 s7, s46
                                        ; implicit-def: $vgpr10_vgpr11
	s_branch .LBB143_1940
.LBB143_1872:
	s_mov_b32 s7, s46
                                        ; implicit-def: $vgpr10_vgpr11
	s_cbranch_execnz .LBB143_1907
	s_branch .LBB143_1939
.LBB143_1873:
	s_mov_b32 s10, -1
	s_mov_b32 s7, s46
                                        ; implicit-def: $vgpr10_vgpr11
	s_branch .LBB143_1888
.LBB143_1874:
	s_mov_b32 s10, -1
	s_mov_b32 s7, s46
                                        ; implicit-def: $vgpr10_vgpr11
	s_branch .LBB143_1883
.LBB143_1875:
	s_mov_b32 s10, -1
	s_mov_b32 s7, s46
	s_branch .LBB143_1877
.LBB143_1876:
	s_mov_b32 s7, -1
.LBB143_1877:
                                        ; implicit-def: $vgpr10_vgpr11
.LBB143_1878:
	s_and_b32 vcc_lo, exec_lo, s10
	s_cbranch_vccz .LBB143_1882
; %bb.1879:
	s_cmp_eq_u32 s6, 44
	s_cbranch_scc0 .LBB143_1881
; %bb.1880:
	global_load_u8 v3, v[8:9], off
	s_mov_b32 s7, 0
	s_mov_b32 s9, -1
	s_wait_loadcnt 0x0
	v_cmp_ne_u32_e32 vcc_lo, 0xff, v3
	v_lshlrev_b32_e32 v0, 23, v3
	s_delay_alu instid0(VALU_DEP_1) | instskip(NEXT) | instid1(VALU_DEP_1)
	v_cvt_f64_f32_e32 v[0:1], v0
	v_cndmask_b32_e32 v0, 0x20000000, v0, vcc_lo
	s_delay_alu instid0(VALU_DEP_2) | instskip(SKIP_1) | instid1(VALU_DEP_2)
	v_cndmask_b32_e32 v1, 0x7ff80000, v1, vcc_lo
	v_cmp_ne_u32_e32 vcc_lo, 0, v3
	v_cndmask_b32_e32 v11, 0x38000000, v1, vcc_lo
	s_delay_alu instid0(VALU_DEP_4)
	v_cndmask_b32_e32 v10, 0, v0, vcc_lo
	s_branch .LBB143_1882
.LBB143_1881:
	s_mov_b32 s7, -1
                                        ; implicit-def: $vgpr10_vgpr11
.LBB143_1882:
	s_mov_b32 s10, 0
.LBB143_1883:
	s_delay_alu instid0(SALU_CYCLE_1)
	s_and_b32 vcc_lo, exec_lo, s10
	s_cbranch_vccz .LBB143_1887
; %bb.1884:
	s_cmp_eq_u32 s6, 29
	s_cbranch_scc0 .LBB143_1886
; %bb.1885:
	global_load_b64 v[0:1], v[8:9], off
	s_mov_b32 s7, 0
	s_mov_b32 s9, -1
	s_mov_b32 s10, 0
	s_wait_loadcnt 0x0
	v_cvt_f64_u32_e32 v[10:11], v1
	v_cvt_f64_u32_e32 v[0:1], v0
	s_delay_alu instid0(VALU_DEP_2) | instskip(NEXT) | instid1(VALU_DEP_1)
	v_ldexp_f64 v[10:11], v[10:11], 32
	v_add_f64_e32 v[10:11], v[10:11], v[0:1]
	s_branch .LBB143_1888
.LBB143_1886:
	s_mov_b32 s7, -1
                                        ; implicit-def: $vgpr10_vgpr11
.LBB143_1887:
	s_mov_b32 s10, 0
.LBB143_1888:
	s_delay_alu instid0(SALU_CYCLE_1)
	s_and_b32 vcc_lo, exec_lo, s10
	s_cbranch_vccz .LBB143_1906
; %bb.1889:
	s_cmp_lt_i32 s6, 27
	s_cbranch_scc1 .LBB143_1892
; %bb.1890:
	s_cmp_gt_i32 s6, 27
	s_cbranch_scc0 .LBB143_1893
; %bb.1891:
	global_load_b32 v0, v[8:9], off
	s_mov_b32 s9, 0
	s_wait_loadcnt 0x0
	v_cvt_f64_u32_e32 v[10:11], v0
	s_branch .LBB143_1894
.LBB143_1892:
	s_mov_b32 s9, -1
                                        ; implicit-def: $vgpr10_vgpr11
	s_branch .LBB143_1897
.LBB143_1893:
	s_mov_b32 s9, -1
                                        ; implicit-def: $vgpr10_vgpr11
.LBB143_1894:
	s_delay_alu instid0(SALU_CYCLE_1)
	s_and_not1_b32 vcc_lo, exec_lo, s9
	s_cbranch_vccnz .LBB143_1896
; %bb.1895:
	global_load_u16 v0, v[8:9], off
	s_wait_loadcnt 0x0
	v_cvt_f64_u32_e32 v[10:11], v0
.LBB143_1896:
	s_mov_b32 s9, 0
.LBB143_1897:
	s_delay_alu instid0(SALU_CYCLE_1)
	s_and_not1_b32 vcc_lo, exec_lo, s9
	s_cbranch_vccnz .LBB143_1905
; %bb.1898:
	global_load_u8 v0, v[8:9], off
	s_mov_b32 s9, 0
	s_mov_b32 s10, exec_lo
	s_wait_loadcnt 0x0
	v_cmpx_lt_i16_e32 0x7f, v0
	s_xor_b32 s10, exec_lo, s10
	s_cbranch_execz .LBB143_1918
; %bb.1899:
	s_mov_b32 s9, -1
	s_mov_b32 s11, exec_lo
	v_cmpx_eq_u16_e32 0x80, v0
; %bb.1900:
	s_xor_b32 s9, exec_lo, -1
; %bb.1901:
	s_or_b32 exec_lo, exec_lo, s11
	s_delay_alu instid0(SALU_CYCLE_1)
	s_and_b32 s9, s9, exec_lo
	s_or_saveexec_b32 s10, s10
	v_mov_b64_e32 v[10:11], 0x7ff8000020000000
	s_xor_b32 exec_lo, exec_lo, s10
	s_cbranch_execnz .LBB143_1919
.LBB143_1902:
	s_or_b32 exec_lo, exec_lo, s10
	s_and_saveexec_b32 s10, s9
	s_cbranch_execz .LBB143_1904
.LBB143_1903:
	v_and_b32_e32 v1, 0xffff, v0
	s_delay_alu instid0(VALU_DEP_1) | instskip(SKIP_1) | instid1(VALU_DEP_2)
	v_and_b32_e32 v3, 7, v1
	v_bfe_u32 v12, v1, 3, 4
	v_clz_i32_u32_e32 v10, v3
	s_delay_alu instid0(VALU_DEP_2) | instskip(NEXT) | instid1(VALU_DEP_2)
	v_cmp_eq_u32_e32 vcc_lo, 0, v12
	v_min_u32_e32 v10, 32, v10
	s_delay_alu instid0(VALU_DEP_1) | instskip(NEXT) | instid1(VALU_DEP_1)
	v_subrev_nc_u32_e32 v11, 28, v10
	v_dual_lshlrev_b32 v1, v11, v1 :: v_dual_sub_nc_u32 v10, 29, v10
	s_delay_alu instid0(VALU_DEP_1) | instskip(NEXT) | instid1(VALU_DEP_1)
	v_dual_lshlrev_b32 v0, 24, v0 :: v_dual_bitop2_b32 v1, 7, v1 bitop3:0x40
	v_dual_cndmask_b32 v10, v12, v10 :: v_dual_cndmask_b32 v1, v3, v1
	s_delay_alu instid0(VALU_DEP_2) | instskip(NEXT) | instid1(VALU_DEP_2)
	v_and_b32_e32 v0, 0x80000000, v0
	v_lshl_add_u32 v3, v10, 23, 0x3b800000
	s_delay_alu instid0(VALU_DEP_3) | instskip(NEXT) | instid1(VALU_DEP_1)
	v_lshlrev_b32_e32 v1, 20, v1
	v_or3_b32 v0, v0, v3, v1
	s_delay_alu instid0(VALU_DEP_1)
	v_cvt_f64_f32_e32 v[10:11], v0
.LBB143_1904:
	s_or_b32 exec_lo, exec_lo, s10
.LBB143_1905:
	s_mov_b32 s9, -1
.LBB143_1906:
	s_branch .LBB143_1939
.LBB143_1907:
	s_cmp_gt_i32 s6, 22
	s_cbranch_scc0 .LBB143_1917
; %bb.1908:
	s_cmp_lt_i32 s6, 24
	s_cbranch_scc1 .LBB143_1920
; %bb.1909:
	s_cmp_gt_i32 s6, 24
	s_cbranch_scc0 .LBB143_1921
; %bb.1910:
	global_load_u8 v0, v[8:9], off
	s_mov_b32 s9, exec_lo
	s_wait_loadcnt 0x0
	v_cmpx_lt_i16_e32 0x7f, v0
	s_xor_b32 s9, exec_lo, s9
	s_cbranch_execz .LBB143_1933
; %bb.1911:
	s_mov_b32 s8, -1
	s_mov_b32 s10, exec_lo
	v_cmpx_eq_u16_e32 0x80, v0
; %bb.1912:
	s_xor_b32 s8, exec_lo, -1
; %bb.1913:
	s_or_b32 exec_lo, exec_lo, s10
	s_delay_alu instid0(SALU_CYCLE_1)
	s_and_b32 s8, s8, exec_lo
	s_or_saveexec_b32 s9, s9
	v_mov_b64_e32 v[10:11], 0x7ff8000020000000
	s_xor_b32 exec_lo, exec_lo, s9
	s_cbranch_execnz .LBB143_1934
.LBB143_1914:
	s_or_b32 exec_lo, exec_lo, s9
	s_and_saveexec_b32 s9, s8
	s_cbranch_execz .LBB143_1916
.LBB143_1915:
	v_and_b32_e32 v1, 0xffff, v0
	s_delay_alu instid0(VALU_DEP_1) | instskip(SKIP_1) | instid1(VALU_DEP_2)
	v_and_b32_e32 v3, 3, v1
	v_bfe_u32 v12, v1, 2, 5
	v_clz_i32_u32_e32 v10, v3
	s_delay_alu instid0(VALU_DEP_2) | instskip(NEXT) | instid1(VALU_DEP_2)
	v_cmp_eq_u32_e32 vcc_lo, 0, v12
	v_min_u32_e32 v10, 32, v10
	s_delay_alu instid0(VALU_DEP_1) | instskip(NEXT) | instid1(VALU_DEP_1)
	v_subrev_nc_u32_e32 v11, 29, v10
	v_dual_lshlrev_b32 v1, v11, v1 :: v_dual_sub_nc_u32 v10, 30, v10
	s_delay_alu instid0(VALU_DEP_1) | instskip(NEXT) | instid1(VALU_DEP_1)
	v_dual_lshlrev_b32 v0, 24, v0 :: v_dual_bitop2_b32 v1, 3, v1 bitop3:0x40
	v_dual_cndmask_b32 v10, v12, v10 :: v_dual_cndmask_b32 v1, v3, v1
	s_delay_alu instid0(VALU_DEP_2) | instskip(NEXT) | instid1(VALU_DEP_2)
	v_and_b32_e32 v0, 0x80000000, v0
	v_lshl_add_u32 v3, v10, 23, 0x37800000
	s_delay_alu instid0(VALU_DEP_3) | instskip(NEXT) | instid1(VALU_DEP_1)
	v_lshlrev_b32_e32 v1, 21, v1
	v_or3_b32 v0, v0, v3, v1
	s_delay_alu instid0(VALU_DEP_1)
	v_cvt_f64_f32_e32 v[10:11], v0
.LBB143_1916:
	s_or_b32 exec_lo, exec_lo, s9
	s_mov_b32 s8, 0
	s_branch .LBB143_1922
.LBB143_1917:
	s_mov_b32 s8, -1
                                        ; implicit-def: $vgpr10_vgpr11
	s_branch .LBB143_1928
.LBB143_1918:
	s_or_saveexec_b32 s10, s10
	v_mov_b64_e32 v[10:11], 0x7ff8000020000000
	s_xor_b32 exec_lo, exec_lo, s10
	s_cbranch_execz .LBB143_1902
.LBB143_1919:
	v_cmp_ne_u16_e32 vcc_lo, 0, v0
	v_mov_b64_e32 v[10:11], 0
	s_and_not1_b32 s9, s9, exec_lo
	s_and_b32 s11, vcc_lo, exec_lo
	s_delay_alu instid0(SALU_CYCLE_1)
	s_or_b32 s9, s9, s11
	s_or_b32 exec_lo, exec_lo, s10
	s_and_saveexec_b32 s10, s9
	s_cbranch_execnz .LBB143_1903
	s_branch .LBB143_1904
.LBB143_1920:
	s_mov_b32 s8, -1
                                        ; implicit-def: $vgpr10_vgpr11
	s_branch .LBB143_1925
.LBB143_1921:
	s_mov_b32 s8, -1
                                        ; implicit-def: $vgpr10_vgpr11
.LBB143_1922:
	s_delay_alu instid0(SALU_CYCLE_1)
	s_and_b32 vcc_lo, exec_lo, s8
	s_cbranch_vccz .LBB143_1924
; %bb.1923:
	global_load_u8 v0, v[8:9], off
	s_wait_loadcnt 0x0
	v_lshlrev_b32_e32 v0, 24, v0
	s_delay_alu instid0(VALU_DEP_1) | instskip(NEXT) | instid1(VALU_DEP_1)
	v_and_b32_e32 v1, 0x7f000000, v0
	v_clz_i32_u32_e32 v3, v1
	v_add_nc_u32_e32 v11, 0x1000000, v1
	v_cmp_ne_u32_e32 vcc_lo, 0, v1
	s_delay_alu instid0(VALU_DEP_3) | instskip(NEXT) | instid1(VALU_DEP_1)
	v_min_u32_e32 v3, 32, v3
	v_sub_nc_u32_e64 v3, v3, 4 clamp
	s_delay_alu instid0(VALU_DEP_1) | instskip(NEXT) | instid1(VALU_DEP_1)
	v_dual_lshlrev_b32 v10, v3, v1 :: v_dual_lshlrev_b32 v3, 23, v3
	v_lshrrev_b32_e32 v10, 4, v10
	s_delay_alu instid0(VALU_DEP_1) | instskip(SKIP_1) | instid1(VALU_DEP_2)
	v_sub_nc_u32_e32 v3, v10, v3
	v_ashrrev_i32_e32 v10, 8, v11
	v_add_nc_u32_e32 v3, 0x3c000000, v3
	s_delay_alu instid0(VALU_DEP_1) | instskip(NEXT) | instid1(VALU_DEP_1)
	v_and_or_b32 v3, 0x7f800000, v10, v3
	v_cndmask_b32_e32 v1, 0, v3, vcc_lo
	s_delay_alu instid0(VALU_DEP_1) | instskip(NEXT) | instid1(VALU_DEP_1)
	v_and_or_b32 v0, 0x80000000, v0, v1
	v_cvt_f64_f32_e32 v[10:11], v0
.LBB143_1924:
	s_mov_b32 s8, 0
.LBB143_1925:
	s_delay_alu instid0(SALU_CYCLE_1)
	s_and_not1_b32 vcc_lo, exec_lo, s8
	s_cbranch_vccnz .LBB143_1927
; %bb.1926:
	global_load_u8 v0, v[8:9], off
	s_wait_loadcnt 0x0
	v_lshlrev_b32_e32 v1, 25, v0
	v_lshlrev_b16 v0, 8, v0
	s_delay_alu instid0(VALU_DEP_1) | instskip(SKIP_1) | instid1(VALU_DEP_2)
	v_and_or_b32 v10, 0x7f00, v0, 0.5
	v_bfe_i32 v0, v0, 0, 16
	v_dual_add_f32 v10, -0.5, v10 :: v_dual_lshrrev_b32 v3, 4, v1
	v_cmp_gt_u32_e32 vcc_lo, 0x8000000, v1
	s_delay_alu instid0(VALU_DEP_2) | instskip(NEXT) | instid1(VALU_DEP_1)
	v_or_b32_e32 v3, 0x70000000, v3
	v_mul_f32_e32 v3, 0x7800000, v3
	s_delay_alu instid0(VALU_DEP_1) | instskip(NEXT) | instid1(VALU_DEP_1)
	v_cndmask_b32_e32 v1, v3, v10, vcc_lo
	v_and_or_b32 v0, 0x80000000, v0, v1
	s_delay_alu instid0(VALU_DEP_1)
	v_cvt_f64_f32_e32 v[10:11], v0
.LBB143_1927:
	s_mov_b32 s8, 0
	s_mov_b32 s9, -1
.LBB143_1928:
	s_and_not1_b32 vcc_lo, exec_lo, s8
	s_mov_b32 s8, 0
	s_cbranch_vccnz .LBB143_1939
; %bb.1929:
	s_cmp_gt_i32 s6, 14
	s_cbranch_scc0 .LBB143_1932
; %bb.1930:
	s_cmp_eq_u32 s6, 15
	s_cbranch_scc0 .LBB143_1935
; %bb.1931:
	global_load_u16 v0, v[8:9], off
	s_mov_b32 s7, 0
	s_mov_b32 s9, -1
	s_wait_loadcnt 0x0
	v_lshlrev_b32_e32 v0, 16, v0
	s_delay_alu instid0(VALU_DEP_1)
	v_cvt_f64_f32_e32 v[10:11], v0
	s_branch .LBB143_1937
.LBB143_1932:
	s_mov_b32 s8, -1
	s_branch .LBB143_1936
.LBB143_1933:
	s_or_saveexec_b32 s9, s9
	v_mov_b64_e32 v[10:11], 0x7ff8000020000000
	s_xor_b32 exec_lo, exec_lo, s9
	s_cbranch_execz .LBB143_1914
.LBB143_1934:
	v_cmp_ne_u16_e32 vcc_lo, 0, v0
	v_mov_b64_e32 v[10:11], 0
	s_and_not1_b32 s8, s8, exec_lo
	s_and_b32 s10, vcc_lo, exec_lo
	s_delay_alu instid0(SALU_CYCLE_1)
	s_or_b32 s8, s8, s10
	s_or_b32 exec_lo, exec_lo, s9
	s_and_saveexec_b32 s9, s8
	s_cbranch_execnz .LBB143_1915
	s_branch .LBB143_1916
.LBB143_1935:
	s_mov_b32 s7, -1
.LBB143_1936:
                                        ; implicit-def: $vgpr10_vgpr11
.LBB143_1937:
	s_and_b32 vcc_lo, exec_lo, s8
	s_mov_b32 s8, 0
	s_cbranch_vccz .LBB143_1939
; %bb.1938:
	s_cmp_lg_u32 s6, 11
	s_mov_b32 s8, -1
	s_cselect_b32 s6, -1, 0
	s_and_not1_b32 s7, s7, exec_lo
	s_and_b32 s6, s6, exec_lo
	s_delay_alu instid0(SALU_CYCLE_1)
	s_or_b32 s7, s7, s6
.LBB143_1939:
	s_mov_b32 s6, 0
.LBB143_1940:
	s_and_not1_b32 s10, s46, exec_lo
	s_and_b32 s7, s7, exec_lo
	s_and_b32 s9, s9, exec_lo
	;; [unrolled: 1-line block ×4, first 2 shown]
	s_or_b32 s46, s10, s7
	s_wait_xcnt 0x0
	s_or_b32 exec_lo, exec_lo, s0
	s_and_saveexec_b32 s0, s46
	s_cbranch_execz .LBB143_1869
.LBB143_1941:
	s_or_b32 s1, s1, exec_lo
	s_and_not1_b32 s8, s8, exec_lo
	s_trap 2
	s_or_b32 exec_lo, exec_lo, s0
	s_and_saveexec_b32 s0, s8
	s_delay_alu instid0(SALU_CYCLE_1)
	s_xor_b32 s0, exec_lo, s0
	s_cbranch_execnz .LBB143_1870
.LBB143_1942:
	s_or_b32 exec_lo, exec_lo, s0
	s_and_saveexec_b32 s0, s6
	s_cbranch_execz .LBB143_1988
.LBB143_1943:
	s_sext_i32_i16 s6, s21
	s_delay_alu instid0(SALU_CYCLE_1)
	s_cmp_lt_i32 s6, 5
	s_cbranch_scc1 .LBB143_1948
; %bb.1944:
	s_cmp_lt_i32 s6, 8
	s_cbranch_scc1 .LBB143_1949
; %bb.1945:
	s_cmp_lt_i32 s6, 9
	s_cbranch_scc1 .LBB143_1950
; %bb.1946:
	s_cmp_gt_i32 s6, 9
	s_cbranch_scc0 .LBB143_1951
; %bb.1947:
	s_wait_loadcnt 0x0
	global_load_b64 v[10:11], v[8:9], off
	s_mov_b32 s6, 0
	s_branch .LBB143_1952
.LBB143_1948:
                                        ; implicit-def: $vgpr10_vgpr11
	s_branch .LBB143_1969
.LBB143_1949:
                                        ; implicit-def: $vgpr10_vgpr11
	s_branch .LBB143_1958
.LBB143_1950:
	s_mov_b32 s6, -1
                                        ; implicit-def: $vgpr10_vgpr11
	s_branch .LBB143_1955
.LBB143_1951:
	s_mov_b32 s6, -1
                                        ; implicit-def: $vgpr10_vgpr11
.LBB143_1952:
	s_delay_alu instid0(SALU_CYCLE_1)
	s_and_not1_b32 vcc_lo, exec_lo, s6
	s_cbranch_vccnz .LBB143_1954
; %bb.1953:
	s_wait_loadcnt 0x0
	global_load_b32 v0, v[8:9], off
	s_wait_loadcnt 0x0
	v_cvt_f64_f32_e32 v[10:11], v0
.LBB143_1954:
	s_mov_b32 s6, 0
.LBB143_1955:
	s_delay_alu instid0(SALU_CYCLE_1)
	s_and_not1_b32 vcc_lo, exec_lo, s6
	s_cbranch_vccnz .LBB143_1957
; %bb.1956:
	s_wait_loadcnt 0x0
	global_load_b32 v0, v[8:9], off
	s_wait_loadcnt 0x0
	v_cvt_f32_f16_e32 v0, v0
	s_delay_alu instid0(VALU_DEP_1)
	v_cvt_f64_f32_e32 v[10:11], v0
.LBB143_1957:
	s_cbranch_execnz .LBB143_1968
.LBB143_1958:
	s_sext_i32_i16 s6, s21
	s_delay_alu instid0(SALU_CYCLE_1)
	s_cmp_lt_i32 s6, 6
	s_cbranch_scc1 .LBB143_1961
; %bb.1959:
	s_cmp_gt_i32 s6, 6
	s_cbranch_scc0 .LBB143_1962
; %bb.1960:
	s_wait_loadcnt 0x0
	global_load_b64 v[10:11], v[8:9], off
	s_mov_b32 s6, 0
	s_branch .LBB143_1963
.LBB143_1961:
	s_mov_b32 s6, -1
                                        ; implicit-def: $vgpr10_vgpr11
	s_branch .LBB143_1966
.LBB143_1962:
	s_mov_b32 s6, -1
                                        ; implicit-def: $vgpr10_vgpr11
.LBB143_1963:
	s_delay_alu instid0(SALU_CYCLE_1)
	s_and_not1_b32 vcc_lo, exec_lo, s6
	s_cbranch_vccnz .LBB143_1965
; %bb.1964:
	s_wait_loadcnt 0x0
	global_load_b32 v0, v[8:9], off
	s_wait_loadcnt 0x0
	v_cvt_f64_f32_e32 v[10:11], v0
.LBB143_1965:
	s_mov_b32 s6, 0
.LBB143_1966:
	s_delay_alu instid0(SALU_CYCLE_1)
	s_and_not1_b32 vcc_lo, exec_lo, s6
	s_cbranch_vccnz .LBB143_1968
; %bb.1967:
	s_wait_loadcnt 0x0
	global_load_u16 v0, v[8:9], off
	s_wait_loadcnt 0x0
	v_cvt_f32_f16_e32 v0, v0
	s_delay_alu instid0(VALU_DEP_1)
	v_cvt_f64_f32_e32 v[10:11], v0
.LBB143_1968:
	s_cbranch_execnz .LBB143_1987
.LBB143_1969:
	s_sext_i32_i16 s6, s21
	s_delay_alu instid0(SALU_CYCLE_1)
	s_cmp_lt_i32 s6, 2
	s_cbranch_scc1 .LBB143_1973
; %bb.1970:
	s_cmp_lt_i32 s6, 3
	s_cbranch_scc1 .LBB143_1974
; %bb.1971:
	s_cmp_gt_i32 s6, 3
	s_cbranch_scc0 .LBB143_1975
; %bb.1972:
	s_wait_loadcnt 0x0
	global_load_b64 v[0:1], v[8:9], off
	s_mov_b32 s6, 0
	s_wait_loadcnt 0x0
	v_cvt_f64_i32_e32 v[10:11], v1
	v_cvt_f64_u32_e32 v[0:1], v0
	s_delay_alu instid0(VALU_DEP_2) | instskip(NEXT) | instid1(VALU_DEP_1)
	v_ldexp_f64 v[10:11], v[10:11], 32
	v_add_f64_e32 v[10:11], v[10:11], v[0:1]
	s_branch .LBB143_1976
.LBB143_1973:
                                        ; implicit-def: $vgpr10_vgpr11
	s_branch .LBB143_1982
.LBB143_1974:
	s_mov_b32 s6, -1
                                        ; implicit-def: $vgpr10_vgpr11
	s_branch .LBB143_1979
.LBB143_1975:
	s_mov_b32 s6, -1
                                        ; implicit-def: $vgpr10_vgpr11
.LBB143_1976:
	s_delay_alu instid0(SALU_CYCLE_1)
	s_and_not1_b32 vcc_lo, exec_lo, s6
	s_cbranch_vccnz .LBB143_1978
; %bb.1977:
	s_wait_loadcnt 0x0
	global_load_b32 v0, v[8:9], off
	s_wait_loadcnt 0x0
	v_cvt_f64_i32_e32 v[10:11], v0
.LBB143_1978:
	s_mov_b32 s6, 0
.LBB143_1979:
	s_delay_alu instid0(SALU_CYCLE_1)
	s_and_not1_b32 vcc_lo, exec_lo, s6
	s_cbranch_vccnz .LBB143_1981
; %bb.1980:
	s_wait_loadcnt 0x0
	global_load_i16 v0, v[8:9], off
	s_wait_loadcnt 0x0
	v_cvt_f64_i32_e32 v[10:11], v0
.LBB143_1981:
	s_cbranch_execnz .LBB143_1987
.LBB143_1982:
	s_sext_i32_i16 s6, s21
	s_delay_alu instid0(SALU_CYCLE_1)
	s_cmp_gt_i32 s6, 0
	s_mov_b32 s6, 0
	s_cbranch_scc0 .LBB143_1984
; %bb.1983:
	s_wait_loadcnt 0x0
	global_load_i8 v0, v[8:9], off
	s_wait_loadcnt 0x0
	v_cvt_f64_i32_e32 v[10:11], v0
	s_branch .LBB143_1985
.LBB143_1984:
	s_mov_b32 s6, -1
                                        ; implicit-def: $vgpr10_vgpr11
.LBB143_1985:
	s_delay_alu instid0(SALU_CYCLE_1)
	s_and_not1_b32 vcc_lo, exec_lo, s6
	s_cbranch_vccnz .LBB143_1987
; %bb.1986:
	s_wait_loadcnt 0x0
	global_load_u8 v0, v[8:9], off
	s_wait_loadcnt 0x0
	v_cvt_f64_u32_e32 v[10:11], v0
.LBB143_1987:
	s_or_b32 s9, s9, exec_lo
.LBB143_1988:
	s_wait_xcnt 0x0
	s_or_b32 exec_lo, exec_lo, s0
	s_mov_b32 s0, 0
	s_mov_b32 s8, 0
                                        ; implicit-def: $sgpr6
                                        ; implicit-def: $vgpr8_vgpr9
                                        ; implicit-def: $vgpr0_vgpr1
	s_and_saveexec_b32 s7, s9
	s_cbranch_execz .LBB143_1996
; %bb.1989:
	s_wait_loadcnt 0x0
	s_delay_alu instid0(VALU_DEP_1) | instskip(SKIP_1) | instid1(VALU_DEP_3)
	v_dual_max_num_f64 v[0:1], v[4:5], v[4:5] :: v_dual_mov_b32 v3, 0
	v_max_num_f64_e32 v[8:9], v[6:7], v[6:7]
	v_max_num_f64_e32 v[12:13], v[10:11], v[10:11]
	v_cmp_u_f64_e32 vcc_lo, v[10:11], v[10:11]
	s_and_b32 s6, s38, 0xff
	s_delay_alu instid0(SALU_CYCLE_1) | instskip(NEXT) | instid1(VALU_DEP_3)
	s_cmp_lt_i32 s6, 11
	v_max_num_f64_e32 v[0:1], v[8:9], v[0:1]
	v_add_nc_u64_e32 v[8:9], s[4:5], v[2:3]
	s_delay_alu instid0(VALU_DEP_2) | instskip(NEXT) | instid1(VALU_DEP_1)
	v_min_num_f64_e32 v[0:1], v[0:1], v[12:13]
	v_dual_cndmask_b32 v1, v1, v11 :: v_dual_cndmask_b32 v0, v0, v10
	v_cmp_u_f64_e32 vcc_lo, v[4:5], v[4:5]
	s_delay_alu instid0(VALU_DEP_2) | instskip(SKIP_1) | instid1(VALU_DEP_2)
	v_dual_cndmask_b32 v0, v0, v4 :: v_dual_cndmask_b32 v1, v1, v5
	v_cmp_u_f64_e32 vcc_lo, v[6:7], v[6:7]
	v_dual_cndmask_b32 v1, v1, v7 :: v_dual_cndmask_b32 v0, v0, v6
	s_cbranch_scc1 .LBB143_1999
; %bb.1990:
	s_and_b32 s4, 0xffff, s6
	s_mov_b32 s5, -1
	s_cmp_gt_i32 s4, 25
	s_mov_b32 s0, s45
	s_cbranch_scc0 .LBB143_2027
; %bb.1991:
	s_cmp_gt_i32 s4, 28
	s_mov_b32 s0, s45
	s_cbranch_scc0 .LBB143_2011
; %bb.1992:
	s_cmp_gt_i32 s4, 43
	s_mov_b32 s0, s45
	s_cbranch_scc0 .LBB143_2007
; %bb.1993:
	s_cmp_gt_i32 s4, 45
	s_mov_b32 s0, s45
	s_cbranch_scc0 .LBB143_2001
; %bb.1994:
	s_cmp_eq_u32 s4, 46
	s_mov_b32 s0, -1
	s_cbranch_scc0 .LBB143_2000
; %bb.1995:
	v_cvt_f32_f64_e32 v2, v[0:1]
	s_mov_b32 s0, 0
	s_mov_b32 s5, 0
	s_delay_alu instid0(VALU_DEP_1) | instskip(SKIP_1) | instid1(VALU_DEP_2)
	v_bfe_u32 v3, v2, 16, 1
	v_cmp_o_f32_e32 vcc_lo, v2, v2
	v_add3_u32 v3, v2, v3, 0x7fff
	s_delay_alu instid0(VALU_DEP_1) | instskip(NEXT) | instid1(VALU_DEP_1)
	v_lshrrev_b32_e32 v3, 16, v3
	v_cndmask_b32_e32 v2, 0x7fc0, v3, vcc_lo
	global_store_b32 v[8:9], v2, off
	s_branch .LBB143_2001
.LBB143_1996:
	s_or_b32 exec_lo, exec_lo, s7
	s_and_saveexec_b32 s4, s45
	s_cbranch_execnz .LBB143_2069
.LBB143_1997:
	s_or_b32 exec_lo, exec_lo, s4
	s_and_saveexec_b32 s4, s0
	s_delay_alu instid0(SALU_CYCLE_1)
	s_xor_b32 s0, exec_lo, s4
	s_cbranch_execz .LBB143_2070
.LBB143_1998:
	v_cmp_neq_f64_e32 vcc_lo, 0, v[0:1]
	s_wait_loadcnt 0x0
	v_cndmask_b32_e64 v2, 0, 1, vcc_lo
	global_store_b8 v[8:9], v2, off
	s_wait_xcnt 0x0
	s_or_b32 exec_lo, exec_lo, s0
	s_and_saveexec_b32 s0, s8
	s_delay_alu instid0(SALU_CYCLE_1)
	s_xor_b32 s0, exec_lo, s0
	s_cbranch_execz .LBB143_2108
	s_branch .LBB143_2071
.LBB143_1999:
	s_mov_b32 s9, 0
	s_mov_b32 s5, -1
	s_mov_b32 s0, s45
	s_branch .LBB143_2068
.LBB143_2000:
	s_mov_b32 s5, 0
.LBB143_2001:
	s_delay_alu instid0(SALU_CYCLE_1)
	s_and_b32 vcc_lo, exec_lo, s5
	s_cbranch_vccz .LBB143_2006
; %bb.2002:
	s_cmp_eq_u32 s4, 44
	s_mov_b32 s0, -1
	s_cbranch_scc0 .LBB143_2006
; %bb.2003:
	s_wait_xcnt 0x0
	v_cvt_f32_f64_e32 v2, v[0:1]
	v_mov_b32_e32 v3, 0xff
	s_mov_b32 s5, exec_lo
	s_delay_alu instid0(VALU_DEP_2) | instskip(NEXT) | instid1(VALU_DEP_1)
	v_bfe_u32 v4, v2, 23, 8
	v_cmpx_ne_u32_e32 0xff, v4
	s_cbranch_execz .LBB143_2005
; %bb.2004:
	v_and_b32_e32 v3, 0x400000, v2
	v_and_or_b32 v4, 0x3fffff, v2, v4
	v_lshrrev_b32_e32 v2, 23, v2
	s_delay_alu instid0(VALU_DEP_3) | instskip(NEXT) | instid1(VALU_DEP_3)
	v_cmp_ne_u32_e32 vcc_lo, 0, v3
	v_cmp_ne_u32_e64 s0, 0, v4
	s_and_b32 s0, vcc_lo, s0
	s_delay_alu instid0(SALU_CYCLE_1) | instskip(NEXT) | instid1(VALU_DEP_1)
	v_cndmask_b32_e64 v3, 0, 1, s0
	v_add_nc_u32_e32 v3, v2, v3
.LBB143_2005:
	s_or_b32 exec_lo, exec_lo, s5
	s_mov_b32 s0, 0
	global_store_b8 v[8:9], v3, off
.LBB143_2006:
	s_mov_b32 s5, 0
.LBB143_2007:
	s_delay_alu instid0(SALU_CYCLE_1)
	s_and_b32 vcc_lo, exec_lo, s5
	s_cbranch_vccz .LBB143_2010
; %bb.2008:
	s_cmp_eq_u32 s4, 29
	s_mov_b32 s0, -1
	s_cbranch_scc0 .LBB143_2010
; %bb.2009:
	s_wait_xcnt 0x0
	v_trunc_f64_e32 v[2:3], v[0:1]
	s_mov_b32 s0, 0
	s_mov_b32 s5, 0
	s_delay_alu instid0(VALU_DEP_1) | instskip(NEXT) | instid1(VALU_DEP_1)
	v_ldexp_f64 v[4:5], v[2:3], 0xffffffe0
	v_floor_f64_e32 v[4:5], v[4:5]
	s_delay_alu instid0(VALU_DEP_1) | instskip(SKIP_1) | instid1(VALU_DEP_2)
	v_fmamk_f64 v[2:3], v[4:5], 0xc1f00000, v[2:3]
	v_cvt_u32_f64_e32 v5, v[4:5]
	v_cvt_u32_f64_e32 v4, v[2:3]
	global_store_b64 v[8:9], v[4:5], off
	s_branch .LBB143_2011
.LBB143_2010:
	s_mov_b32 s5, 0
.LBB143_2011:
	s_delay_alu instid0(SALU_CYCLE_1)
	s_and_b32 vcc_lo, exec_lo, s5
	s_cbranch_vccz .LBB143_2026
; %bb.2012:
	s_cmp_lt_i32 s4, 27
	s_mov_b32 s5, -1
	s_cbranch_scc1 .LBB143_2018
; %bb.2013:
	s_cmp_gt_i32 s4, 27
	s_cbranch_scc0 .LBB143_2015
; %bb.2014:
	s_wait_xcnt 0x0
	v_cvt_u32_f64_e32 v2, v[0:1]
	s_mov_b32 s5, 0
	global_store_b32 v[8:9], v2, off
.LBB143_2015:
	s_and_not1_b32 vcc_lo, exec_lo, s5
	s_cbranch_vccnz .LBB143_2017
; %bb.2016:
	s_wait_xcnt 0x0
	v_cvt_u32_f64_e32 v2, v[0:1]
	global_store_b16 v[8:9], v2, off
.LBB143_2017:
	s_mov_b32 s5, 0
.LBB143_2018:
	s_delay_alu instid0(SALU_CYCLE_1)
	s_and_not1_b32 vcc_lo, exec_lo, s5
	s_cbranch_vccnz .LBB143_2026
; %bb.2019:
	s_wait_xcnt 0x0
	v_cvt_f32_f64_e32 v2, v[0:1]
	v_mov_b32_e32 v4, 0x80
	s_mov_b32 s5, exec_lo
	s_delay_alu instid0(VALU_DEP_2) | instskip(NEXT) | instid1(VALU_DEP_1)
	v_and_b32_e32 v3, 0x7fffffff, v2
	v_cmpx_gt_u32_e32 0x43800000, v3
	s_cbranch_execz .LBB143_2025
; %bb.2020:
	v_cmp_lt_u32_e32 vcc_lo, 0x3bffffff, v3
                                        ; implicit-def: $vgpr3
	s_and_saveexec_b32 s9, vcc_lo
	s_delay_alu instid0(SALU_CYCLE_1)
	s_xor_b32 s9, exec_lo, s9
	s_cbranch_execz .LBB143_2167
; %bb.2021:
	v_bfe_u32 v3, v2, 20, 1
	s_mov_b32 s8, exec_lo
	s_delay_alu instid0(VALU_DEP_1) | instskip(NEXT) | instid1(VALU_DEP_1)
	v_add3_u32 v3, v2, v3, 0x487ffff
	v_lshrrev_b32_e32 v3, 20, v3
	s_and_not1_saveexec_b32 s9, s9
	s_cbranch_execnz .LBB143_2168
.LBB143_2022:
	s_or_b32 exec_lo, exec_lo, s9
	v_mov_b32_e32 v4, 0
	s_and_saveexec_b32 s9, s8
.LBB143_2023:
	v_lshrrev_b32_e32 v2, 24, v2
	s_delay_alu instid0(VALU_DEP_1)
	v_and_or_b32 v4, 0x80, v2, v3
.LBB143_2024:
	s_or_b32 exec_lo, exec_lo, s9
.LBB143_2025:
	s_delay_alu instid0(SALU_CYCLE_1)
	s_or_b32 exec_lo, exec_lo, s5
	global_store_b8 v[8:9], v4, off
.LBB143_2026:
	s_mov_b32 s5, 0
.LBB143_2027:
	s_delay_alu instid0(SALU_CYCLE_1)
	s_and_b32 vcc_lo, exec_lo, s5
	s_mov_b32 s5, 0
	s_cbranch_vccz .LBB143_2067
; %bb.2028:
	s_cmp_gt_i32 s4, 22
	s_mov_b32 s8, -1
	s_cbranch_scc0 .LBB143_2060
; %bb.2029:
	s_cmp_lt_i32 s4, 24
	s_cbranch_scc1 .LBB143_2049
; %bb.2030:
	s_cmp_gt_i32 s4, 24
	s_cbranch_scc0 .LBB143_2038
; %bb.2031:
	s_wait_xcnt 0x0
	v_cvt_f32_f64_e32 v2, v[0:1]
	v_mov_b32_e32 v4, 0x80
	s_mov_b32 s8, exec_lo
	s_delay_alu instid0(VALU_DEP_2) | instskip(NEXT) | instid1(VALU_DEP_1)
	v_and_b32_e32 v3, 0x7fffffff, v2
	v_cmpx_gt_u32_e32 0x47800000, v3
	s_cbranch_execz .LBB143_2037
; %bb.2032:
	v_cmp_lt_u32_e32 vcc_lo, 0x37ffffff, v3
	s_mov_b32 s9, 0
                                        ; implicit-def: $vgpr3
	s_and_saveexec_b32 s10, vcc_lo
	s_delay_alu instid0(SALU_CYCLE_1)
	s_xor_b32 s10, exec_lo, s10
	s_cbranch_execz .LBB143_2293
; %bb.2033:
	v_bfe_u32 v3, v2, 21, 1
	s_mov_b32 s9, exec_lo
	s_delay_alu instid0(VALU_DEP_1) | instskip(NEXT) | instid1(VALU_DEP_1)
	v_add3_u32 v3, v2, v3, 0x88fffff
	v_lshrrev_b32_e32 v3, 21, v3
	s_and_not1_saveexec_b32 s10, s10
	s_cbranch_execnz .LBB143_2294
.LBB143_2034:
	s_or_b32 exec_lo, exec_lo, s10
	v_mov_b32_e32 v4, 0
	s_and_saveexec_b32 s10, s9
.LBB143_2035:
	v_lshrrev_b32_e32 v2, 24, v2
	s_delay_alu instid0(VALU_DEP_1)
	v_and_or_b32 v4, 0x80, v2, v3
.LBB143_2036:
	s_or_b32 exec_lo, exec_lo, s10
.LBB143_2037:
	s_delay_alu instid0(SALU_CYCLE_1)
	s_or_b32 exec_lo, exec_lo, s8
	s_mov_b32 s8, 0
	global_store_b8 v[8:9], v4, off
.LBB143_2038:
	s_and_b32 vcc_lo, exec_lo, s8
	s_cbranch_vccz .LBB143_2048
; %bb.2039:
	s_wait_xcnt 0x0
	v_cvt_f32_f64_e32 v2, v[0:1]
	s_mov_b32 s8, exec_lo
                                        ; implicit-def: $vgpr3
	s_delay_alu instid0(VALU_DEP_1) | instskip(NEXT) | instid1(VALU_DEP_1)
	v_and_b32_e32 v4, 0x7fffffff, v2
	v_cmpx_gt_u32_e32 0x43f00000, v4
	s_xor_b32 s8, exec_lo, s8
	s_cbranch_execz .LBB143_2045
; %bb.2040:
	s_mov_b32 s9, exec_lo
                                        ; implicit-def: $vgpr3
	v_cmpx_lt_u32_e32 0x3c7fffff, v4
	s_xor_b32 s9, exec_lo, s9
; %bb.2041:
	v_bfe_u32 v3, v2, 20, 1
	s_delay_alu instid0(VALU_DEP_1) | instskip(NEXT) | instid1(VALU_DEP_1)
	v_add3_u32 v3, v2, v3, 0x407ffff
	v_and_b32_e32 v4, 0xff00000, v3
	v_lshrrev_b32_e32 v3, 20, v3
	s_delay_alu instid0(VALU_DEP_2) | instskip(NEXT) | instid1(VALU_DEP_2)
	v_cmp_ne_u32_e32 vcc_lo, 0x7f00000, v4
	v_cndmask_b32_e32 v3, 0x7e, v3, vcc_lo
; %bb.2042:
	s_and_not1_saveexec_b32 s9, s9
; %bb.2043:
	v_add_f32_e64 v3, 0x46800000, |v2|
; %bb.2044:
	s_or_b32 exec_lo, exec_lo, s9
                                        ; implicit-def: $vgpr4
.LBB143_2045:
	s_and_not1_saveexec_b32 s8, s8
; %bb.2046:
	v_mov_b32_e32 v3, 0x7f
	v_cmp_lt_u32_e32 vcc_lo, 0x7f800000, v4
	s_delay_alu instid0(VALU_DEP_2)
	v_cndmask_b32_e32 v3, 0x7e, v3, vcc_lo
; %bb.2047:
	s_or_b32 exec_lo, exec_lo, s8
	v_lshrrev_b32_e32 v2, 24, v2
	s_delay_alu instid0(VALU_DEP_1)
	v_and_or_b32 v2, 0x80, v2, v3
	global_store_b8 v[8:9], v2, off
.LBB143_2048:
	s_mov_b32 s8, 0
.LBB143_2049:
	s_delay_alu instid0(SALU_CYCLE_1)
	s_and_not1_b32 vcc_lo, exec_lo, s8
	s_cbranch_vccnz .LBB143_2059
; %bb.2050:
	s_wait_xcnt 0x0
	v_cvt_f32_f64_e32 v2, v[0:1]
	s_mov_b32 s8, exec_lo
                                        ; implicit-def: $vgpr3
	s_delay_alu instid0(VALU_DEP_1) | instskip(NEXT) | instid1(VALU_DEP_1)
	v_and_b32_e32 v4, 0x7fffffff, v2
	v_cmpx_gt_u32_e32 0x47800000, v4
	s_xor_b32 s8, exec_lo, s8
	s_cbranch_execz .LBB143_2056
; %bb.2051:
	s_mov_b32 s9, exec_lo
                                        ; implicit-def: $vgpr3
	v_cmpx_lt_u32_e32 0x387fffff, v4
	s_xor_b32 s9, exec_lo, s9
; %bb.2052:
	v_bfe_u32 v3, v2, 21, 1
	s_delay_alu instid0(VALU_DEP_1) | instskip(NEXT) | instid1(VALU_DEP_1)
	v_add3_u32 v3, v2, v3, 0x80fffff
	v_lshrrev_b32_e32 v3, 21, v3
; %bb.2053:
	s_and_not1_saveexec_b32 s9, s9
; %bb.2054:
	v_add_f32_e64 v3, 0x43000000, |v2|
; %bb.2055:
	s_or_b32 exec_lo, exec_lo, s9
                                        ; implicit-def: $vgpr4
.LBB143_2056:
	s_and_not1_saveexec_b32 s8, s8
; %bb.2057:
	v_mov_b32_e32 v3, 0x7f
	v_cmp_lt_u32_e32 vcc_lo, 0x7f800000, v4
	s_delay_alu instid0(VALU_DEP_2)
	v_cndmask_b32_e32 v3, 0x7c, v3, vcc_lo
; %bb.2058:
	s_or_b32 exec_lo, exec_lo, s8
	v_lshrrev_b32_e32 v2, 24, v2
	s_delay_alu instid0(VALU_DEP_1)
	v_and_or_b32 v2, 0x80, v2, v3
	global_store_b8 v[8:9], v2, off
.LBB143_2059:
	s_mov_b32 s8, 0
.LBB143_2060:
	s_delay_alu instid0(SALU_CYCLE_1)
	s_and_not1_b32 vcc_lo, exec_lo, s8
	s_mov_b32 s9, 0
	s_cbranch_vccnz .LBB143_2068
; %bb.2061:
	s_cmp_gt_i32 s4, 14
	s_mov_b32 s8, -1
	s_cbranch_scc0 .LBB143_2065
; %bb.2062:
	s_cmp_eq_u32 s4, 15
	s_mov_b32 s0, -1
	s_cbranch_scc0 .LBB143_2064
; %bb.2063:
	s_wait_xcnt 0x0
	v_cvt_f32_f64_e32 v2, v[0:1]
	s_mov_b32 s0, 0
	s_delay_alu instid0(VALU_DEP_1) | instskip(SKIP_1) | instid1(VALU_DEP_2)
	v_bfe_u32 v3, v2, 16, 1
	v_cmp_o_f32_e32 vcc_lo, v2, v2
	v_add3_u32 v3, v2, v3, 0x7fff
	s_delay_alu instid0(VALU_DEP_1) | instskip(NEXT) | instid1(VALU_DEP_1)
	v_lshrrev_b32_e32 v3, 16, v3
	v_cndmask_b32_e32 v2, 0x7fc0, v3, vcc_lo
	global_store_b16 v[8:9], v2, off
.LBB143_2064:
	s_mov_b32 s8, 0
.LBB143_2065:
	s_delay_alu instid0(SALU_CYCLE_1)
	s_and_b32 vcc_lo, exec_lo, s8
	s_cbranch_vccz .LBB143_2068
; %bb.2066:
	s_cmp_lg_u32 s4, 11
	s_mov_b32 s9, -1
	s_cselect_b32 s4, -1, 0
	s_and_not1_b32 s0, s0, exec_lo
	s_and_b32 s4, s4, exec_lo
	s_delay_alu instid0(SALU_CYCLE_1)
	s_or_b32 s0, s0, s4
	s_branch .LBB143_2068
.LBB143_2067:
	s_mov_b32 s9, 0
.LBB143_2068:
	s_and_b32 s8, s5, exec_lo
	s_and_not1_b32 s4, s45, exec_lo
	s_and_b32 s5, s0, exec_lo
	s_and_b32 s0, s9, exec_lo
	s_or_b32 s45, s4, s5
	s_wait_xcnt 0x0
	s_or_b32 exec_lo, exec_lo, s7
	s_and_saveexec_b32 s4, s45
	s_cbranch_execz .LBB143_1997
.LBB143_2069:
	s_or_b32 s1, s1, exec_lo
	s_and_not1_b32 s0, s0, exec_lo
	s_trap 2
	s_or_b32 exec_lo, exec_lo, s4
	s_and_saveexec_b32 s4, s0
	s_delay_alu instid0(SALU_CYCLE_1)
	s_xor_b32 s0, exec_lo, s4
	s_cbranch_execnz .LBB143_1998
.LBB143_2070:
	s_or_b32 exec_lo, exec_lo, s0
	s_and_saveexec_b32 s0, s8
	s_delay_alu instid0(SALU_CYCLE_1)
	s_xor_b32 s0, exec_lo, s0
	s_cbranch_execz .LBB143_2108
.LBB143_2071:
	s_sext_i32_i16 s5, s6
	s_mov_b32 s4, -1
	s_cmp_lt_i32 s5, 5
	s_cbranch_scc1 .LBB143_2092
; %bb.2072:
	s_cmp_lt_i32 s5, 8
	s_cbranch_scc1 .LBB143_2082
; %bb.2073:
	;; [unrolled: 3-line block ×3, first 2 shown]
	s_cmp_gt_i32 s5, 9
	s_cbranch_scc0 .LBB143_2076
; %bb.2075:
	s_wait_loadcnt 0x0
	v_mov_b32_e32 v2, 0
	s_mov_b32 s4, 0
	s_delay_alu instid0(VALU_DEP_1)
	v_mov_b32_e32 v3, v2
	global_store_b128 v[8:9], v[0:3], off
.LBB143_2076:
	s_and_not1_b32 vcc_lo, exec_lo, s4
	s_cbranch_vccnz .LBB143_2078
; %bb.2077:
	s_wait_loadcnt 0x0
	v_cvt_f32_f64_e32 v2, v[0:1]
	v_mov_b32_e32 v3, 0
	global_store_b64 v[8:9], v[2:3], off
.LBB143_2078:
	s_mov_b32 s4, 0
.LBB143_2079:
	s_delay_alu instid0(SALU_CYCLE_1)
	s_and_not1_b32 vcc_lo, exec_lo, s4
	s_cbranch_vccnz .LBB143_2081
; %bb.2080:
	s_wait_loadcnt 0x0
	v_and_or_b32 v2, 0x1ff, v1, v0
	v_lshrrev_b32_e32 v3, 8, v1
	v_bfe_u32 v4, v1, 20, 11
	s_delay_alu instid0(VALU_DEP_3) | instskip(NEXT) | instid1(VALU_DEP_2)
	v_cmp_ne_u32_e32 vcc_lo, 0, v2
	v_sub_nc_u32_e32 v5, 0x3f1, v4
	v_add_nc_u32_e32 v4, 0xfffffc10, v4
	v_cndmask_b32_e64 v2, 0, 1, vcc_lo
	s_delay_alu instid0(VALU_DEP_1) | instskip(NEXT) | instid1(VALU_DEP_4)
	v_and_or_b32 v2, 0xffe, v3, v2
	v_med3_i32 v3, v5, 0, 13
	s_delay_alu instid0(VALU_DEP_2) | instskip(NEXT) | instid1(VALU_DEP_1)
	v_or_b32_e32 v5, 0x1000, v2
	v_lshrrev_b32_e32 v6, v3, v5
	s_delay_alu instid0(VALU_DEP_1) | instskip(NEXT) | instid1(VALU_DEP_1)
	v_lshlrev_b32_e32 v3, v3, v6
	v_cmp_ne_u32_e32 vcc_lo, v3, v5
	v_lshl_or_b32 v5, v4, 12, v2
	v_cndmask_b32_e64 v3, 0, 1, vcc_lo
	v_cmp_gt_i32_e32 vcc_lo, 1, v4
	s_delay_alu instid0(VALU_DEP_2) | instskip(NEXT) | instid1(VALU_DEP_1)
	v_or_b32_e32 v3, v6, v3
	v_cndmask_b32_e32 v3, v5, v3, vcc_lo
	s_delay_alu instid0(VALU_DEP_1) | instskip(NEXT) | instid1(VALU_DEP_1)
	v_dual_lshrrev_b32 v3, 2, v3 :: v_dual_bitop2_b32 v5, 7, v3 bitop3:0x40
	v_cmp_lt_i32_e32 vcc_lo, 5, v5
	v_cndmask_b32_e64 v6, 0, 1, vcc_lo
	v_cmp_eq_u32_e32 vcc_lo, 3, v5
	v_cndmask_b32_e64 v5, 0, 1, vcc_lo
	v_cmp_ne_u32_e32 vcc_lo, 0, v2
	s_delay_alu instid0(VALU_DEP_2) | instskip(NEXT) | instid1(VALU_DEP_1)
	v_or_b32_e32 v5, v5, v6
	v_dual_mov_b32 v6, 0x7e00 :: v_dual_add_nc_u32 v3, v3, v5
	s_delay_alu instid0(VALU_DEP_1) | instskip(SKIP_2) | instid1(VALU_DEP_4)
	v_cndmask_b32_e32 v2, 0x7c00, v6, vcc_lo
	v_cmp_gt_i32_e32 vcc_lo, 31, v4
	v_lshrrev_b32_e32 v5, 16, v1
	v_cndmask_b32_e32 v3, 0x7c00, v3, vcc_lo
	v_cmp_eq_u32_e32 vcc_lo, 0x40f, v4
	s_delay_alu instid0(VALU_DEP_2) | instskip(NEXT) | instid1(VALU_DEP_4)
	v_cndmask_b32_e32 v2, v3, v2, vcc_lo
	v_and_b32_e32 v3, 0x8000, v5
	s_delay_alu instid0(VALU_DEP_1)
	v_bitop3_b32 v2, v3, 0xffff, v2 bitop3:0xc8
	global_store_b32 v[8:9], v2, off
.LBB143_2081:
	s_mov_b32 s4, 0
.LBB143_2082:
	s_delay_alu instid0(SALU_CYCLE_1)
	s_and_not1_b32 vcc_lo, exec_lo, s4
	s_cbranch_vccnz .LBB143_2091
; %bb.2083:
	s_sext_i32_i16 s5, s6
	s_mov_b32 s4, -1
	s_cmp_lt_i32 s5, 6
	s_cbranch_scc1 .LBB143_2089
; %bb.2084:
	s_cmp_gt_i32 s5, 6
	s_cbranch_scc0 .LBB143_2086
; %bb.2085:
	s_mov_b32 s4, 0
	s_wait_loadcnt 0x0
	global_store_b64 v[8:9], v[0:1], off
.LBB143_2086:
	s_and_not1_b32 vcc_lo, exec_lo, s4
	s_cbranch_vccnz .LBB143_2088
; %bb.2087:
	s_wait_loadcnt 0x0
	v_cvt_f32_f64_e32 v2, v[0:1]
	global_store_b32 v[8:9], v2, off
.LBB143_2088:
	s_mov_b32 s4, 0
.LBB143_2089:
	s_delay_alu instid0(SALU_CYCLE_1)
	s_and_not1_b32 vcc_lo, exec_lo, s4
	s_cbranch_vccnz .LBB143_2091
; %bb.2090:
	s_wait_loadcnt 0x0
	v_and_or_b32 v2, 0x1ff, v1, v0
	v_lshrrev_b32_e32 v3, 8, v1
	v_bfe_u32 v4, v1, 20, 11
	s_delay_alu instid0(VALU_DEP_3) | instskip(NEXT) | instid1(VALU_DEP_2)
	v_cmp_ne_u32_e32 vcc_lo, 0, v2
	v_sub_nc_u32_e32 v5, 0x3f1, v4
	v_add_nc_u32_e32 v4, 0xfffffc10, v4
	v_cndmask_b32_e64 v2, 0, 1, vcc_lo
	s_delay_alu instid0(VALU_DEP_1) | instskip(NEXT) | instid1(VALU_DEP_4)
	v_and_or_b32 v2, 0xffe, v3, v2
	v_med3_i32 v3, v5, 0, 13
	s_delay_alu instid0(VALU_DEP_2) | instskip(NEXT) | instid1(VALU_DEP_1)
	v_or_b32_e32 v5, 0x1000, v2
	v_lshrrev_b32_e32 v6, v3, v5
	s_delay_alu instid0(VALU_DEP_1) | instskip(NEXT) | instid1(VALU_DEP_1)
	v_lshlrev_b32_e32 v3, v3, v6
	v_cmp_ne_u32_e32 vcc_lo, v3, v5
	v_lshl_or_b32 v5, v4, 12, v2
	v_cndmask_b32_e64 v3, 0, 1, vcc_lo
	v_cmp_gt_i32_e32 vcc_lo, 1, v4
	s_delay_alu instid0(VALU_DEP_2) | instskip(NEXT) | instid1(VALU_DEP_1)
	v_or_b32_e32 v3, v6, v3
	v_cndmask_b32_e32 v3, v5, v3, vcc_lo
	s_delay_alu instid0(VALU_DEP_1) | instskip(NEXT) | instid1(VALU_DEP_1)
	v_dual_lshrrev_b32 v3, 2, v3 :: v_dual_bitop2_b32 v5, 7, v3 bitop3:0x40
	v_cmp_lt_i32_e32 vcc_lo, 5, v5
	v_cndmask_b32_e64 v6, 0, 1, vcc_lo
	v_cmp_eq_u32_e32 vcc_lo, 3, v5
	v_cndmask_b32_e64 v5, 0, 1, vcc_lo
	v_cmp_ne_u32_e32 vcc_lo, 0, v2
	s_delay_alu instid0(VALU_DEP_2) | instskip(NEXT) | instid1(VALU_DEP_1)
	v_or_b32_e32 v5, v5, v6
	v_dual_mov_b32 v6, 0x7e00 :: v_dual_add_nc_u32 v3, v3, v5
	s_delay_alu instid0(VALU_DEP_1) | instskip(SKIP_1) | instid1(VALU_DEP_3)
	v_cndmask_b32_e32 v2, 0x7c00, v6, vcc_lo
	v_cmp_gt_i32_e32 vcc_lo, 31, v4
	v_cndmask_b32_e32 v3, 0x7c00, v3, vcc_lo
	v_cmp_eq_u32_e32 vcc_lo, 0x40f, v4
	s_delay_alu instid0(VALU_DEP_2) | instskip(NEXT) | instid1(VALU_DEP_1)
	v_dual_cndmask_b32 v2, v3, v2 :: v_dual_lshrrev_b32 v3, 16, v1
	v_and_or_b32 v2, 0x8000, v3, v2
	global_store_b16 v[8:9], v2, off
.LBB143_2091:
	s_mov_b32 s4, 0
.LBB143_2092:
	s_delay_alu instid0(SALU_CYCLE_1)
	s_and_not1_b32 vcc_lo, exec_lo, s4
	s_cbranch_vccnz .LBB143_2108
; %bb.2093:
	s_sext_i32_i16 s5, s6
	s_mov_b32 s4, -1
	s_cmp_lt_i32 s5, 2
	s_cbranch_scc1 .LBB143_2103
; %bb.2094:
	s_cmp_lt_i32 s5, 3
	s_cbranch_scc1 .LBB143_2100
; %bb.2095:
	s_cmp_gt_i32 s5, 3
	s_cbranch_scc0 .LBB143_2097
; %bb.2096:
	s_wait_loadcnt 0x0
	v_trunc_f64_e32 v[2:3], v[0:1]
	s_mov_b32 s4, 0
	s_delay_alu instid0(VALU_DEP_1) | instskip(NEXT) | instid1(VALU_DEP_1)
	v_ldexp_f64 v[4:5], v[2:3], 0xffffffe0
	v_floor_f64_e32 v[4:5], v[4:5]
	s_delay_alu instid0(VALU_DEP_1) | instskip(SKIP_1) | instid1(VALU_DEP_2)
	v_fmamk_f64 v[2:3], v[4:5], 0xc1f00000, v[2:3]
	v_cvt_i32_f64_e32 v5, v[4:5]
	v_cvt_u32_f64_e32 v4, v[2:3]
	global_store_b64 v[8:9], v[4:5], off
.LBB143_2097:
	s_and_not1_b32 vcc_lo, exec_lo, s4
	s_cbranch_vccnz .LBB143_2099
; %bb.2098:
	s_wait_loadcnt 0x0
	v_cvt_i32_f64_e32 v2, v[0:1]
	global_store_b32 v[8:9], v2, off
.LBB143_2099:
	s_mov_b32 s4, 0
.LBB143_2100:
	s_delay_alu instid0(SALU_CYCLE_1)
	s_and_not1_b32 vcc_lo, exec_lo, s4
	s_cbranch_vccnz .LBB143_2102
; %bb.2101:
	s_wait_loadcnt 0x0
	v_cvt_i32_f64_e32 v2, v[0:1]
	global_store_b16 v[8:9], v2, off
.LBB143_2102:
	s_mov_b32 s4, 0
.LBB143_2103:
	s_delay_alu instid0(SALU_CYCLE_1)
	s_and_not1_b32 vcc_lo, exec_lo, s4
	s_cbranch_vccnz .LBB143_2108
; %bb.2104:
	s_sext_i32_i16 s4, s6
	s_delay_alu instid0(SALU_CYCLE_1)
	s_cmp_gt_i32 s4, 0
	s_mov_b32 s4, -1
	s_cbranch_scc0 .LBB143_2106
; %bb.2105:
	s_wait_loadcnt 0x0
	v_cvt_i32_f64_e32 v2, v[0:1]
	s_mov_b32 s4, 0
	global_store_b8 v[8:9], v2, off
.LBB143_2106:
	s_and_not1_b32 vcc_lo, exec_lo, s4
	s_cbranch_vccnz .LBB143_2108
; %bb.2107:
	s_wait_xcnt 0x0
	v_trunc_f64_e32 v[0:1], v[0:1]
	s_wait_loadcnt 0x0
	s_delay_alu instid0(VALU_DEP_1) | instskip(NEXT) | instid1(VALU_DEP_1)
	v_ldexp_f64 v[2:3], v[0:1], 0xffffffe0
	v_floor_f64_e32 v[2:3], v[2:3]
	s_delay_alu instid0(VALU_DEP_1) | instskip(NEXT) | instid1(VALU_DEP_1)
	v_fmamk_f64 v[0:1], v[2:3], 0xc1f00000, v[0:1]
	v_cvt_u32_f64_e32 v0, v[0:1]
	global_store_b8 v[8:9], v0, off
.LBB143_2108:
	s_wait_xcnt 0x0
	s_or_b32 exec_lo, exec_lo, s0
	s_delay_alu instid0(SALU_CYCLE_1)
	s_and_b32 s10, s1, exec_lo
                                        ; implicit-def: $vgpr3
                                        ; implicit-def: $vgpr4
.LBB143_2109:
	s_or_saveexec_b32 s11, s37
	s_mov_b32 s0, 0
                                        ; implicit-def: $vgpr6_vgpr7
                                        ; implicit-def: $sgpr1
                                        ; implicit-def: $vgpr0_vgpr1
	s_xor_b32 exec_lo, exec_lo, s11
	s_cbranch_execz .LBB143_4157
; %bb.2110:
	v_cndmask_b32_e64 v1, 0, 1, s36
	s_and_not1_b32 vcc_lo, exec_lo, s36
	s_cbranch_vccnz .LBB143_2116
; %bb.2111:
	s_cmp_lg_u32 s33, 0
	s_mov_b32 s6, 0
	s_cbranch_scc0 .LBB143_2120
; %bb.2112:
	s_min_u32 s7, s34, 15
	s_wait_loadcnt 0x0
	v_dual_mov_b32 v12, 0 :: v_dual_mov_b32 v5, v4
	v_dual_mov_b32 v18, 0 :: v_dual_mov_b32 v0, 0
	v_mov_b32_e32 v2, 0
	s_add_co_i32 s4, s7, 1
	s_mov_b64 s[0:1], 0xffffffffffffffe0
	s_and_b32 s8, s4, 30
	s_add_nc_u64 s[0:1], s[2:3], s[0:1]
	s_mov_b64 s[4:5], s[2:3]
.LBB143_2113:                           ; =>This Inner Loop Header: Depth=1
	s_clause 0x1
	s_load_b128 s[20:23], s[4:5], 0x4
	s_load_b64 s[24:25], s[4:5], 0x14
	s_load_b256 s[12:19], s[0:1], 0xe4
	s_add_co_i32 s8, s8, -2
	s_wait_xcnt 0x0
	s_add_nc_u64 s[4:5], s[4:5], 24
	s_cmp_lg_u32 s8, 0
	s_add_nc_u64 s[0:1], s[0:1], 32
	s_wait_kmcnt 0x0
	v_mul_hi_u32 v6, s21, v5
	s_delay_alu instid0(VALU_DEP_1) | instskip(NEXT) | instid1(VALU_DEP_1)
	v_add_nc_u32_e32 v6, v5, v6
	v_lshrrev_b32_e32 v6, s22, v6
	s_delay_alu instid0(VALU_DEP_1) | instskip(SKIP_1) | instid1(VALU_DEP_1)
	v_mul_hi_u32 v7, s24, v6
	v_mul_lo_u32 v8, v6, s20
	v_dual_add_nc_u32 v7, v6, v7 :: v_dual_sub_nc_u32 v8, v5, v8
	s_delay_alu instid0(VALU_DEP_1) | instskip(NEXT) | instid1(VALU_DEP_2)
	v_lshrrev_b32_e32 v5, s25, v7
	v_mad_u32 v2, v8, s13, v2
	v_mad_u32 v0, v8, s12, v0
	;; [unrolled: 1-line block ×4, first 2 shown]
	v_mul_lo_u32 v7, v5, s23
	s_delay_alu instid0(VALU_DEP_1) | instskip(NEXT) | instid1(VALU_DEP_1)
	v_sub_nc_u32_e32 v6, v6, v7
	v_mad_u32 v2, v6, s17, v2
	v_mad_u32 v0, v6, s16, v0
	;; [unrolled: 1-line block ×4, first 2 shown]
	s_cbranch_scc1 .LBB143_2113
; %bb.2114:
	s_bitcmp1_b32 s7, 0
	s_cselect_b32 s7, -1, 0
	s_delay_alu instid0(SALU_CYCLE_1)
	s_and_b32 vcc_lo, exec_lo, s7
	s_cbranch_vccnz .LBB143_2117
; %bb.2115:
	s_load_b96 s[16:18], s[4:5], 0x4
	s_load_b128 s[12:15], s[0:1], 0xe4
	s_wait_kmcnt 0x0
	v_mul_hi_u32 v6, s17, v5
	s_delay_alu instid0(VALU_DEP_1) | instskip(NEXT) | instid1(VALU_DEP_1)
	v_add_nc_u32_e32 v6, v5, v6
	v_lshrrev_b32_e32 v6, s18, v6
	s_delay_alu instid0(VALU_DEP_1) | instskip(NEXT) | instid1(VALU_DEP_1)
	v_mul_lo_u32 v6, v6, s16
	v_sub_nc_u32_e32 v5, v5, v6
	s_delay_alu instid0(VALU_DEP_1)
	v_mad_u32 v0, v5, s12, v0
	v_mad_u32 v2, v5, s13, v2
	v_mad_u32 v12, v5, s14, v12
	v_mad_u32 v18, v5, s15, v18
	s_and_not1_b32 vcc_lo, exec_lo, s6
	s_cbranch_vccz .LBB143_2118
	s_branch .LBB143_2121
.LBB143_2116:
	s_mov_b32 s6, -1
                                        ; implicit-def: $vgpr2
                                        ; implicit-def: $vgpr0
                                        ; implicit-def: $vgpr18
                                        ; implicit-def: $vgpr12
.LBB143_2117:
	s_delay_alu instid0(SALU_CYCLE_1)
	s_and_not1_b32 vcc_lo, exec_lo, s6
	s_cbranch_vccnz .LBB143_2121
.LBB143_2118:
	s_clause 0x1
	s_load_b96 s[12:14], s[2:3], 0x4
	s_load_b128 s[4:7], s[2:3], 0xc4
	s_cmp_lt_u32 s33, 2
	s_wait_loadcnt 0x0
	s_wait_kmcnt 0x0
	v_mul_hi_u32 v0, s13, v4
	s_delay_alu instid0(VALU_DEP_1) | instskip(NEXT) | instid1(VALU_DEP_1)
	v_add_nc_u32_e32 v0, v4, v0
	v_lshrrev_b32_e32 v5, s14, v0
	s_delay_alu instid0(VALU_DEP_1) | instskip(NEXT) | instid1(VALU_DEP_1)
	v_mul_lo_u32 v0, v5, s12
	v_sub_nc_u32_e32 v6, v4, v0
	s_delay_alu instid0(VALU_DEP_1)
	v_mul_lo_u32 v2, v6, s5
	v_mul_lo_u32 v0, v6, s4
	;; [unrolled: 1-line block ×4, first 2 shown]
	s_cbranch_scc1 .LBB143_2121
; %bb.2119:
	s_clause 0x1
	s_load_b96 s[12:14], s[2:3], 0x10
	s_load_b128 s[4:7], s[2:3], 0xd4
	s_wait_kmcnt 0x0
	v_mul_hi_u32 v6, s13, v5
	s_delay_alu instid0(VALU_DEP_1) | instskip(NEXT) | instid1(VALU_DEP_1)
	v_add_nc_u32_e32 v6, v5, v6
	v_lshrrev_b32_e32 v6, s14, v6
	s_delay_alu instid0(VALU_DEP_1) | instskip(NEXT) | instid1(VALU_DEP_1)
	v_mul_lo_u32 v6, v6, s12
	v_sub_nc_u32_e32 v5, v5, v6
	s_delay_alu instid0(VALU_DEP_1)
	v_mad_u32 v0, v5, s4, v0
	v_mad_u32 v2, v5, s5, v2
	v_mad_u32 v12, v5, s6, v12
	v_mad_u32 v18, v5, s7, v18
	s_branch .LBB143_2121
.LBB143_2120:
	s_wait_loadcnt 0x0
	v_dual_mov_b32 v2, 0 :: v_dual_mov_b32 v0, 0
	v_dual_mov_b32 v18, 0 :: v_dual_mov_b32 v12, 0
	s_and_not1_b32 vcc_lo, exec_lo, s6
	s_cbranch_vccz .LBB143_2118
.LBB143_2121:
	v_cmp_ne_u32_e32 vcc_lo, 1, v1
	s_wait_loadcnt 0x0
	v_add_nc_u32_e32 v5, 0x80, v4
	s_cbranch_vccnz .LBB143_2127
; %bb.2122:
	s_cmp_lg_u32 s33, 0
	s_mov_b32 s6, 0
	s_cbranch_scc0 .LBB143_2131
; %bb.2123:
	s_min_u32 s7, s34, 15
	v_dual_mov_b32 v22, 0 :: v_dual_mov_b32 v6, v5
	v_dual_mov_b32 v28, 0 :: v_dual_mov_b32 v8, 0
	v_mov_b32_e32 v16, 0
	s_add_co_i32 s4, s7, 1
	s_mov_b64 s[0:1], 0xffffffffffffffe0
	s_and_b32 s8, s4, 30
	s_add_nc_u64 s[0:1], s[2:3], s[0:1]
	s_mov_b64 s[4:5], s[2:3]
.LBB143_2124:                           ; =>This Inner Loop Header: Depth=1
	s_clause 0x1
	s_load_b128 s[20:23], s[4:5], 0x4
	s_load_b64 s[24:25], s[4:5], 0x14
	s_load_b256 s[12:19], s[0:1], 0xe4
	s_add_co_i32 s8, s8, -2
	s_wait_xcnt 0x0
	s_add_nc_u64 s[4:5], s[4:5], 24
	s_cmp_lg_u32 s8, 0
	s_add_nc_u64 s[0:1], s[0:1], 32
	s_wait_kmcnt 0x0
	v_mul_hi_u32 v7, s21, v6
	s_delay_alu instid0(VALU_DEP_1) | instskip(NEXT) | instid1(VALU_DEP_1)
	v_add_nc_u32_e32 v7, v6, v7
	v_lshrrev_b32_e32 v7, s22, v7
	s_delay_alu instid0(VALU_DEP_1) | instskip(SKIP_1) | instid1(VALU_DEP_1)
	v_mul_hi_u32 v9, s24, v7
	v_mul_lo_u32 v10, v7, s20
	v_dual_add_nc_u32 v9, v7, v9 :: v_dual_sub_nc_u32 v10, v6, v10
	s_delay_alu instid0(VALU_DEP_1) | instskip(NEXT) | instid1(VALU_DEP_2)
	v_lshrrev_b32_e32 v6, s25, v9
	v_mad_u32 v11, v10, s13, v16
	v_mad_u32 v8, v10, s12, v8
	;; [unrolled: 1-line block ×4, first 2 shown]
	v_mul_lo_u32 v9, v6, s23
	s_delay_alu instid0(VALU_DEP_1) | instskip(NEXT) | instid1(VALU_DEP_1)
	v_sub_nc_u32_e32 v7, v7, v9
	v_mad_u32 v16, v7, s17, v11
	v_mad_u32 v8, v7, s16, v8
	;; [unrolled: 1-line block ×4, first 2 shown]
	s_cbranch_scc1 .LBB143_2124
; %bb.2125:
	s_bitcmp1_b32 s7, 0
	s_cselect_b32 s7, -1, 0
	s_delay_alu instid0(SALU_CYCLE_1)
	s_and_b32 vcc_lo, exec_lo, s7
	s_cbranch_vccnz .LBB143_2128
; %bb.2126:
	s_load_b96 s[16:18], s[4:5], 0x4
	s_load_b128 s[12:15], s[0:1], 0xe4
	s_wait_kmcnt 0x0
	v_mul_hi_u32 v7, s17, v6
	s_delay_alu instid0(VALU_DEP_1) | instskip(NEXT) | instid1(VALU_DEP_1)
	v_add_nc_u32_e32 v7, v6, v7
	v_lshrrev_b32_e32 v7, s18, v7
	s_delay_alu instid0(VALU_DEP_1) | instskip(NEXT) | instid1(VALU_DEP_1)
	v_mul_lo_u32 v7, v7, s16
	v_sub_nc_u32_e32 v6, v6, v7
	s_delay_alu instid0(VALU_DEP_1)
	v_mad_u32 v8, v6, s12, v8
	v_mad_u32 v16, v6, s13, v16
	;; [unrolled: 1-line block ×4, first 2 shown]
	s_and_not1_b32 vcc_lo, exec_lo, s6
	s_cbranch_vccz .LBB143_2129
	s_branch .LBB143_2132
.LBB143_2127:
	s_mov_b32 s6, -1
                                        ; implicit-def: $vgpr16
                                        ; implicit-def: $vgpr8
                                        ; implicit-def: $vgpr28
                                        ; implicit-def: $vgpr22
.LBB143_2128:
	s_delay_alu instid0(SALU_CYCLE_1)
	s_and_not1_b32 vcc_lo, exec_lo, s6
	s_cbranch_vccnz .LBB143_2132
.LBB143_2129:
	s_clause 0x1
	s_load_b96 s[12:14], s[2:3], 0x4
	s_load_b128 s[4:7], s[2:3], 0xc4
	s_cmp_lt_u32 s33, 2
	s_wait_kmcnt 0x0
	v_mul_hi_u32 v6, s13, v5
	s_delay_alu instid0(VALU_DEP_1) | instskip(NEXT) | instid1(VALU_DEP_1)
	v_add_nc_u32_e32 v6, v5, v6
	v_lshrrev_b32_e32 v6, s14, v6
	s_delay_alu instid0(VALU_DEP_1) | instskip(NEXT) | instid1(VALU_DEP_1)
	v_mul_lo_u32 v7, v6, s12
	v_sub_nc_u32_e32 v5, v5, v7
	s_delay_alu instid0(VALU_DEP_1)
	v_mul_lo_u32 v16, v5, s5
	v_mul_lo_u32 v8, v5, s4
	;; [unrolled: 1-line block ×4, first 2 shown]
	s_cbranch_scc1 .LBB143_2132
; %bb.2130:
	s_clause 0x1
	s_load_b96 s[12:14], s[2:3], 0x10
	s_load_b128 s[4:7], s[2:3], 0xd4
	s_wait_kmcnt 0x0
	v_mul_hi_u32 v5, s13, v6
	s_delay_alu instid0(VALU_DEP_1) | instskip(NEXT) | instid1(VALU_DEP_1)
	v_add_nc_u32_e32 v5, v6, v5
	v_lshrrev_b32_e32 v5, s14, v5
	s_delay_alu instid0(VALU_DEP_1) | instskip(NEXT) | instid1(VALU_DEP_1)
	v_mul_lo_u32 v5, v5, s12
	v_sub_nc_u32_e32 v5, v6, v5
	s_delay_alu instid0(VALU_DEP_1)
	v_mad_u32 v8, v5, s4, v8
	v_mad_u32 v16, v5, s5, v16
	;; [unrolled: 1-line block ×4, first 2 shown]
	s_branch .LBB143_2132
.LBB143_2131:
	v_dual_mov_b32 v16, 0 :: v_dual_mov_b32 v8, 0
	v_dual_mov_b32 v28, 0 :: v_dual_mov_b32 v22, 0
	s_and_not1_b32 vcc_lo, exec_lo, s6
	s_cbranch_vccz .LBB143_2129
.LBB143_2132:
	v_cmp_ne_u32_e32 vcc_lo, 1, v1
	v_add_nc_u32_e32 v4, 0x100, v4
	s_cbranch_vccnz .LBB143_2138
; %bb.2133:
	s_cmp_lg_u32 s33, 0
	s_mov_b32 s6, 0
	s_cbranch_scc0 .LBB143_2142
; %bb.2134:
	s_min_u32 s7, s34, 15
	v_dual_mov_b32 v30, 0 :: v_dual_mov_b32 v5, v4
	v_dual_mov_b32 v24, 0 :: v_dual_mov_b32 v6, 0
	v_mov_b32_e32 v26, 0
	s_add_co_i32 s4, s7, 1
	s_mov_b64 s[0:1], 0xffffffffffffffe0
	s_and_b32 s8, s4, 30
	s_add_nc_u64 s[0:1], s[2:3], s[0:1]
	s_mov_b64 s[4:5], s[2:3]
.LBB143_2135:                           ; =>This Inner Loop Header: Depth=1
	s_clause 0x1
	s_load_b128 s[20:23], s[4:5], 0x4
	s_load_b64 s[24:25], s[4:5], 0x14
	s_load_b256 s[12:19], s[0:1], 0xe4
	s_add_co_i32 s8, s8, -2
	s_wait_xcnt 0x0
	s_add_nc_u64 s[4:5], s[4:5], 24
	s_cmp_lg_u32 s8, 0
	s_add_nc_u64 s[0:1], s[0:1], 32
	s_wait_kmcnt 0x0
	v_mul_hi_u32 v7, s21, v5
	s_delay_alu instid0(VALU_DEP_1) | instskip(NEXT) | instid1(VALU_DEP_1)
	v_add_nc_u32_e32 v7, v5, v7
	v_lshrrev_b32_e32 v7, s22, v7
	s_delay_alu instid0(VALU_DEP_1) | instskip(SKIP_1) | instid1(VALU_DEP_1)
	v_mul_hi_u32 v9, s24, v7
	v_mul_lo_u32 v10, v7, s20
	v_dual_add_nc_u32 v9, v7, v9 :: v_dual_sub_nc_u32 v10, v5, v10
	s_delay_alu instid0(VALU_DEP_1) | instskip(NEXT) | instid1(VALU_DEP_2)
	v_lshrrev_b32_e32 v5, s25, v9
	v_mad_u32 v11, v10, s13, v26
	v_mad_u32 v6, v10, s12, v6
	;; [unrolled: 1-line block ×4, first 2 shown]
	v_mul_lo_u32 v9, v5, s23
	s_delay_alu instid0(VALU_DEP_1) | instskip(NEXT) | instid1(VALU_DEP_1)
	v_sub_nc_u32_e32 v7, v7, v9
	v_mad_u32 v26, v7, s17, v11
	v_mad_u32 v6, v7, s16, v6
	;; [unrolled: 1-line block ×4, first 2 shown]
	s_cbranch_scc1 .LBB143_2135
; %bb.2136:
	s_bitcmp1_b32 s7, 0
	s_cselect_b32 s7, -1, 0
	s_delay_alu instid0(SALU_CYCLE_1)
	s_and_b32 vcc_lo, exec_lo, s7
	s_cbranch_vccnz .LBB143_2139
; %bb.2137:
	s_load_b96 s[16:18], s[4:5], 0x4
	s_load_b128 s[12:15], s[0:1], 0xe4
	s_wait_kmcnt 0x0
	v_mul_hi_u32 v7, s17, v5
	s_delay_alu instid0(VALU_DEP_1) | instskip(NEXT) | instid1(VALU_DEP_1)
	v_add_nc_u32_e32 v7, v5, v7
	v_lshrrev_b32_e32 v7, s18, v7
	s_delay_alu instid0(VALU_DEP_1) | instskip(NEXT) | instid1(VALU_DEP_1)
	v_mul_lo_u32 v7, v7, s16
	v_sub_nc_u32_e32 v5, v5, v7
	s_delay_alu instid0(VALU_DEP_1)
	v_mad_u32 v6, v5, s12, v6
	v_mad_u32 v26, v5, s13, v26
	;; [unrolled: 1-line block ×4, first 2 shown]
	s_and_not1_b32 vcc_lo, exec_lo, s6
	s_cbranch_vccz .LBB143_2140
	s_branch .LBB143_2143
.LBB143_2138:
	s_mov_b32 s6, -1
                                        ; implicit-def: $vgpr26
                                        ; implicit-def: $vgpr6
                                        ; implicit-def: $vgpr24
                                        ; implicit-def: $vgpr30
.LBB143_2139:
	s_delay_alu instid0(SALU_CYCLE_1)
	s_and_not1_b32 vcc_lo, exec_lo, s6
	s_cbranch_vccnz .LBB143_2143
.LBB143_2140:
	s_clause 0x1
	s_load_b96 s[12:14], s[2:3], 0x4
	s_load_b128 s[4:7], s[2:3], 0xc4
	s_cmp_lt_u32 s33, 2
	s_wait_kmcnt 0x0
	v_mul_hi_u32 v5, s13, v4
	s_delay_alu instid0(VALU_DEP_1) | instskip(NEXT) | instid1(VALU_DEP_1)
	v_add_nc_u32_e32 v5, v4, v5
	v_lshrrev_b32_e32 v5, s14, v5
	s_delay_alu instid0(VALU_DEP_1) | instskip(NEXT) | instid1(VALU_DEP_1)
	v_mul_lo_u32 v6, v5, s12
	v_sub_nc_u32_e32 v4, v4, v6
	s_delay_alu instid0(VALU_DEP_1)
	v_mul_lo_u32 v26, v4, s5
	v_mul_lo_u32 v6, v4, s4
	;; [unrolled: 1-line block ×4, first 2 shown]
	s_cbranch_scc1 .LBB143_2143
; %bb.2141:
	s_clause 0x1
	s_load_b96 s[12:14], s[2:3], 0x10
	s_load_b128 s[4:7], s[2:3], 0xd4
	s_wait_kmcnt 0x0
	v_mul_hi_u32 v4, s13, v5
	s_delay_alu instid0(VALU_DEP_1) | instskip(NEXT) | instid1(VALU_DEP_1)
	v_add_nc_u32_e32 v4, v5, v4
	v_lshrrev_b32_e32 v4, s14, v4
	s_delay_alu instid0(VALU_DEP_1) | instskip(NEXT) | instid1(VALU_DEP_1)
	v_mul_lo_u32 v4, v4, s12
	v_sub_nc_u32_e32 v4, v5, v4
	s_delay_alu instid0(VALU_DEP_1)
	v_mad_u32 v6, v4, s4, v6
	v_mad_u32 v26, v4, s5, v26
	;; [unrolled: 1-line block ×4, first 2 shown]
	s_branch .LBB143_2143
.LBB143_2142:
	v_dual_mov_b32 v26, 0 :: v_dual_mov_b32 v6, 0
	v_dual_mov_b32 v24, 0 :: v_dual_mov_b32 v30, 0
	s_and_not1_b32 vcc_lo, exec_lo, s6
	s_cbranch_vccz .LBB143_2140
.LBB143_2143:
	v_cmp_ne_u32_e32 vcc_lo, 1, v1
	s_cbranch_vccnz .LBB143_2149
; %bb.2144:
	s_cmp_lg_u32 s33, 0
	s_mov_b32 s6, 0
	s_cbranch_scc0 .LBB143_2153
; %bb.2145:
	s_min_u32 s7, s34, 15
	v_dual_mov_b32 v14, 0 :: v_dual_mov_b32 v1, v3
	v_dual_mov_b32 v10, 0 :: v_dual_mov_b32 v4, 0
	v_mov_b32_e32 v20, 0
	s_add_co_i32 s4, s7, 1
	s_mov_b64 s[0:1], 0xffffffffffffffe0
	s_and_b32 s8, s4, 30
	s_add_nc_u64 s[0:1], s[2:3], s[0:1]
	s_mov_b64 s[4:5], s[2:3]
.LBB143_2146:                           ; =>This Inner Loop Header: Depth=1
	s_clause 0x1
	s_load_b128 s[20:23], s[4:5], 0x4
	s_load_b64 s[24:25], s[4:5], 0x14
	s_load_b256 s[12:19], s[0:1], 0xe4
	s_add_co_i32 s8, s8, -2
	s_wait_xcnt 0x0
	s_add_nc_u64 s[4:5], s[4:5], 24
	s_cmp_lg_u32 s8, 0
	s_add_nc_u64 s[0:1], s[0:1], 32
	s_wait_kmcnt 0x0
	v_mul_hi_u32 v5, s21, v1
	s_delay_alu instid0(VALU_DEP_1) | instskip(NEXT) | instid1(VALU_DEP_1)
	v_add_nc_u32_e32 v5, v1, v5
	v_lshrrev_b32_e32 v5, s22, v5
	s_delay_alu instid0(VALU_DEP_1) | instskip(SKIP_1) | instid1(VALU_DEP_2)
	v_mul_hi_u32 v7, s24, v5
	v_mul_lo_u32 v9, v5, s20
	v_add_nc_u32_e32 v7, v5, v7
	s_delay_alu instid0(VALU_DEP_1) | instskip(NEXT) | instid1(VALU_DEP_1)
	v_dual_sub_nc_u32 v9, v1, v9 :: v_dual_lshrrev_b32 v1, s25, v7
	v_mad_u32 v11, v9, s13, v20
	v_mad_u32 v4, v9, s12, v4
	v_mad_u32 v10, v9, s15, v10
	v_mad_u32 v9, v9, s14, v14
	v_mul_lo_u32 v7, v1, s23
	s_delay_alu instid0(VALU_DEP_1) | instskip(NEXT) | instid1(VALU_DEP_1)
	v_sub_nc_u32_e32 v5, v5, v7
	v_mad_u32 v20, v5, s17, v11
	v_mad_u32 v4, v5, s16, v4
	;; [unrolled: 1-line block ×4, first 2 shown]
	s_cbranch_scc1 .LBB143_2146
; %bb.2147:
	s_bitcmp1_b32 s7, 0
	s_cselect_b32 s7, -1, 0
	s_delay_alu instid0(SALU_CYCLE_1)
	s_and_b32 vcc_lo, exec_lo, s7
	s_cbranch_vccnz .LBB143_2150
; %bb.2148:
	s_load_b96 s[16:18], s[4:5], 0x4
	s_load_b128 s[12:15], s[0:1], 0xe4
	s_wait_kmcnt 0x0
	v_mul_hi_u32 v5, s17, v1
	s_delay_alu instid0(VALU_DEP_1) | instskip(NEXT) | instid1(VALU_DEP_1)
	v_add_nc_u32_e32 v5, v1, v5
	v_lshrrev_b32_e32 v5, s18, v5
	s_delay_alu instid0(VALU_DEP_1) | instskip(NEXT) | instid1(VALU_DEP_1)
	v_mul_lo_u32 v5, v5, s16
	v_sub_nc_u32_e32 v1, v1, v5
	s_delay_alu instid0(VALU_DEP_1)
	v_mad_u32 v4, v1, s12, v4
	v_mad_u32 v20, v1, s13, v20
	;; [unrolled: 1-line block ×4, first 2 shown]
	s_and_not1_b32 vcc_lo, exec_lo, s6
	s_cbranch_vccz .LBB143_2151
	s_branch .LBB143_2154
.LBB143_2149:
	s_mov_b32 s6, -1
                                        ; implicit-def: $vgpr20
                                        ; implicit-def: $vgpr4
                                        ; implicit-def: $vgpr10
                                        ; implicit-def: $vgpr14
.LBB143_2150:
	s_delay_alu instid0(SALU_CYCLE_1)
	s_and_not1_b32 vcc_lo, exec_lo, s6
	s_cbranch_vccnz .LBB143_2154
.LBB143_2151:
	s_clause 0x1
	s_load_b96 s[12:14], s[2:3], 0x4
	s_load_b128 s[4:7], s[2:3], 0xc4
	s_cmp_lt_u32 s33, 2
	s_wait_kmcnt 0x0
	v_mul_hi_u32 v1, s13, v3
	s_delay_alu instid0(VALU_DEP_1) | instskip(NEXT) | instid1(VALU_DEP_1)
	v_add_nc_u32_e32 v1, v3, v1
	v_lshrrev_b32_e32 v1, s14, v1
	s_delay_alu instid0(VALU_DEP_1) | instskip(NEXT) | instid1(VALU_DEP_1)
	v_mul_lo_u32 v4, v1, s12
	v_sub_nc_u32_e32 v3, v3, v4
	s_delay_alu instid0(VALU_DEP_1)
	v_mul_lo_u32 v20, v3, s5
	v_mul_lo_u32 v4, v3, s4
	;; [unrolled: 1-line block ×4, first 2 shown]
	s_cbranch_scc1 .LBB143_2154
; %bb.2152:
	s_clause 0x1
	s_load_b96 s[12:14], s[2:3], 0x10
	s_load_b128 s[4:7], s[2:3], 0xd4
	s_wait_kmcnt 0x0
	v_mul_hi_u32 v3, s13, v1
	s_delay_alu instid0(VALU_DEP_1) | instskip(NEXT) | instid1(VALU_DEP_1)
	v_add_nc_u32_e32 v3, v1, v3
	v_lshrrev_b32_e32 v3, s14, v3
	s_delay_alu instid0(VALU_DEP_1) | instskip(NEXT) | instid1(VALU_DEP_1)
	v_mul_lo_u32 v3, v3, s12
	v_sub_nc_u32_e32 v1, v1, v3
	s_delay_alu instid0(VALU_DEP_1)
	v_mad_u32 v4, v1, s4, v4
	v_mad_u32 v20, v1, s5, v20
	;; [unrolled: 1-line block ×4, first 2 shown]
	s_branch .LBB143_2154
.LBB143_2153:
	v_dual_mov_b32 v20, 0 :: v_dual_mov_b32 v4, 0
	v_dual_mov_b32 v10, 0 :: v_dual_mov_b32 v14, 0
	s_and_not1_b32 vcc_lo, exec_lo, s6
	s_cbranch_vccz .LBB143_2151
.LBB143_2154:
	v_mov_b32_e32 v3, 0
	s_load_b128 s[4:7], s[2:3], 0x1c8
	global_load_u8 v1, v3, s[2:3] offset:490
	s_wait_kmcnt 0x0
	v_add_nc_u64_e32 v[32:33], s[6:7], v[2:3]
	s_wait_loadcnt 0x0
	v_and_b32_e32 v5, 0xffff, v1
	v_readfirstlane_b32 s13, v1
	s_delay_alu instid0(VALU_DEP_2)
	v_cmp_gt_i32_e32 vcc_lo, 11, v5
	s_cbranch_vccnz .LBB143_2161
; %bb.2155:
	s_and_b32 s0, 0xffff, s13
	s_mov_b32 s8, 0
	s_cmp_gt_i32 s0, 25
	s_cbranch_scc0 .LBB143_2163
; %bb.2156:
	s_cmp_gt_i32 s0, 28
	s_cbranch_scc0 .LBB143_2164
; %bb.2157:
	;; [unrolled: 3-line block ×4, first 2 shown]
	s_cmp_eq_u32 s0, 46
	s_mov_b32 s12, 0
	s_cbranch_scc0 .LBB143_2169
; %bb.2160:
	global_load_b32 v1, v[32:33], off
	s_mov_b32 s1, 0
	s_mov_b32 s9, -1
	s_wait_loadcnt 0x0
	v_lshlrev_b32_e32 v1, 16, v1
	s_wait_xcnt 0x1
	s_delay_alu instid0(VALU_DEP_1)
	v_cvt_f64_f32_e32 v[2:3], v1
	s_branch .LBB143_2171
.LBB143_2161:
	s_mov_b32 s9, 0
	s_mov_b32 s12, s10
                                        ; implicit-def: $vgpr2_vgpr3
	s_cbranch_execnz .LBB143_2234
.LBB143_2162:
	s_and_not1_b32 vcc_lo, exec_lo, s9
	s_cbranch_vccz .LBB143_2279
	s_branch .LBB143_4155
.LBB143_2163:
	s_mov_b32 s9, 0
	s_mov_b32 s1, 0
                                        ; implicit-def: $vgpr2_vgpr3
	s_cbranch_execnz .LBB143_2199
	s_branch .LBB143_2230
.LBB143_2164:
	s_mov_b32 s12, -1
	s_mov_b32 s9, 0
	s_mov_b32 s1, 0
                                        ; implicit-def: $vgpr2_vgpr3
	s_branch .LBB143_2180
.LBB143_2165:
	s_mov_b32 s9, 0
	s_mov_b32 s1, 0
                                        ; implicit-def: $vgpr2_vgpr3
	s_cbranch_execnz .LBB143_2176
	s_branch .LBB143_2179
.LBB143_2166:
	s_mov_b32 s12, -1
	s_mov_b32 s9, 0
	s_mov_b32 s1, 0
	s_branch .LBB143_2170
.LBB143_2167:
	s_and_not1_saveexec_b32 s9, s9
	s_cbranch_execz .LBB143_2022
.LBB143_2168:
	v_add_f32_e64 v3, 0x46000000, |v2|
	s_and_not1_b32 s8, s8, exec_lo
	s_delay_alu instid0(VALU_DEP_1) | instskip(NEXT) | instid1(VALU_DEP_1)
	v_and_b32_e32 v3, 0xff, v3
	v_cmp_ne_u32_e32 vcc_lo, 0, v3
	s_and_b32 s10, vcc_lo, exec_lo
	s_delay_alu instid0(SALU_CYCLE_1)
	s_or_b32 s8, s8, s10
	s_or_b32 exec_lo, exec_lo, s9
	v_mov_b32_e32 v4, 0
	s_and_saveexec_b32 s9, s8
	s_cbranch_execnz .LBB143_2023
	s_branch .LBB143_2024
.LBB143_2169:
	s_mov_b32 s1, -1
	s_mov_b32 s9, 0
.LBB143_2170:
                                        ; implicit-def: $vgpr2_vgpr3
.LBB143_2171:
	s_and_b32 vcc_lo, exec_lo, s12
	s_cbranch_vccz .LBB143_2174
; %bb.2172:
	s_cmp_eq_u32 s0, 44
	s_cbranch_scc0 .LBB143_2175
; %bb.2173:
	global_load_u8 v1, v[32:33], off
	s_mov_b32 s1, 0
	s_mov_b32 s9, -1
	s_wait_loadcnt 0x0
	v_cmp_ne_u32_e32 vcc_lo, 0xff, v1
	v_lshlrev_b32_e32 v2, 23, v1
	s_wait_xcnt 0x1
	s_delay_alu instid0(VALU_DEP_1) | instskip(NEXT) | instid1(VALU_DEP_1)
	v_cvt_f64_f32_e32 v[2:3], v2
	v_cndmask_b32_e32 v2, 0x20000000, v2, vcc_lo
	s_delay_alu instid0(VALU_DEP_2) | instskip(SKIP_1) | instid1(VALU_DEP_2)
	v_cndmask_b32_e32 v3, 0x7ff80000, v3, vcc_lo
	v_cmp_ne_u32_e32 vcc_lo, 0, v1
	v_cndmask_b32_e32 v3, 0x38000000, v3, vcc_lo
	s_delay_alu instid0(VALU_DEP_4)
	v_cndmask_b32_e32 v2, 0, v2, vcc_lo
.LBB143_2174:
	s_branch .LBB143_2179
.LBB143_2175:
	s_mov_b32 s1, -1
                                        ; implicit-def: $vgpr2_vgpr3
	s_branch .LBB143_2179
.LBB143_2176:
	s_cmp_eq_u32 s0, 29
	s_cbranch_scc0 .LBB143_2178
; %bb.2177:
	global_load_b64 v[2:3], v[32:33], off
	s_mov_b32 s1, 0
	s_mov_b32 s9, -1
	s_mov_b32 s12, 0
	s_wait_loadcnt 0x0
	v_cvt_f64_u32_e32 v[34:35], v3
	v_cvt_f64_u32_e32 v[2:3], v2
	s_delay_alu instid0(VALU_DEP_2) | instskip(NEXT) | instid1(VALU_DEP_1)
	v_ldexp_f64 v[34:35], v[34:35], 32
	v_add_f64_e32 v[2:3], v[34:35], v[2:3]
	s_branch .LBB143_2180
.LBB143_2178:
	s_mov_b32 s1, -1
                                        ; implicit-def: $vgpr2_vgpr3
.LBB143_2179:
	s_mov_b32 s12, 0
.LBB143_2180:
	s_delay_alu instid0(SALU_CYCLE_1)
	s_and_b32 vcc_lo, exec_lo, s12
	s_cbranch_vccz .LBB143_2198
; %bb.2181:
	s_cmp_lt_i32 s0, 27
	s_cbranch_scc1 .LBB143_2184
; %bb.2182:
	s_cmp_gt_i32 s0, 27
	s_cbranch_scc0 .LBB143_2185
; %bb.2183:
	global_load_b32 v1, v[32:33], off
	s_mov_b32 s9, 0
	s_wait_loadcnt 0x0
	s_wait_xcnt 0x1
	v_cvt_f64_u32_e32 v[2:3], v1
	s_branch .LBB143_2186
.LBB143_2184:
	s_mov_b32 s9, -1
                                        ; implicit-def: $vgpr2_vgpr3
	s_branch .LBB143_2189
.LBB143_2185:
	s_mov_b32 s9, -1
                                        ; implicit-def: $vgpr2_vgpr3
.LBB143_2186:
	s_delay_alu instid0(SALU_CYCLE_1)
	s_and_not1_b32 vcc_lo, exec_lo, s9
	s_cbranch_vccnz .LBB143_2188
; %bb.2187:
	global_load_u16 v1, v[32:33], off
	s_wait_loadcnt 0x0
	s_wait_xcnt 0x1
	v_cvt_f64_u32_e32 v[2:3], v1
.LBB143_2188:
	s_mov_b32 s9, 0
.LBB143_2189:
	s_delay_alu instid0(SALU_CYCLE_1)
	s_and_not1_b32 vcc_lo, exec_lo, s9
	s_cbranch_vccnz .LBB143_2197
; %bb.2190:
	global_load_u8 v1, v[32:33], off
	s_mov_b32 s9, 0
	s_mov_b32 s12, exec_lo
	s_wait_loadcnt 0x0
	v_cmpx_lt_i16_e32 0x7f, v1
	s_xor_b32 s12, exec_lo, s12
	s_cbranch_execz .LBB143_2210
; %bb.2191:
	s_mov_b32 s9, -1
	s_mov_b32 s14, exec_lo
	v_cmpx_eq_u16_e32 0x80, v1
; %bb.2192:
	s_xor_b32 s9, exec_lo, -1
; %bb.2193:
	s_or_b32 exec_lo, exec_lo, s14
	s_delay_alu instid0(SALU_CYCLE_1)
	s_and_b32 s9, s9, exec_lo
	s_or_saveexec_b32 s12, s12
	v_mov_b64_e32 v[2:3], 0x7ff8000020000000
	s_xor_b32 exec_lo, exec_lo, s12
	s_cbranch_execnz .LBB143_2211
.LBB143_2194:
	s_or_b32 exec_lo, exec_lo, s12
	s_and_saveexec_b32 s12, s9
	s_cbranch_execz .LBB143_2196
.LBB143_2195:
	v_and_b32_e32 v2, 0xffff, v1
	s_delay_alu instid0(VALU_DEP_1) | instskip(SKIP_1) | instid1(VALU_DEP_2)
	v_and_b32_e32 v3, 7, v2
	v_bfe_u32 v9, v2, 3, 4
	v_clz_i32_u32_e32 v5, v3
	s_delay_alu instid0(VALU_DEP_2) | instskip(NEXT) | instid1(VALU_DEP_2)
	v_cmp_eq_u32_e32 vcc_lo, 0, v9
	v_min_u32_e32 v5, 32, v5
	s_delay_alu instid0(VALU_DEP_1) | instskip(NEXT) | instid1(VALU_DEP_1)
	v_subrev_nc_u32_e32 v7, 28, v5
	v_dual_lshlrev_b32 v2, v7, v2 :: v_dual_sub_nc_u32 v5, 29, v5
	s_delay_alu instid0(VALU_DEP_1) | instskip(NEXT) | instid1(VALU_DEP_1)
	v_dual_lshlrev_b32 v1, 24, v1 :: v_dual_bitop2_b32 v2, 7, v2 bitop3:0x40
	v_dual_cndmask_b32 v2, v3, v2 :: v_dual_cndmask_b32 v5, v9, v5
	s_delay_alu instid0(VALU_DEP_2) | instskip(NEXT) | instid1(VALU_DEP_2)
	v_and_b32_e32 v1, 0x80000000, v1
	v_lshlrev_b32_e32 v2, 20, v2
	s_delay_alu instid0(VALU_DEP_3) | instskip(NEXT) | instid1(VALU_DEP_1)
	v_lshl_add_u32 v3, v5, 23, 0x3b800000
	v_or3_b32 v1, v1, v3, v2
	s_delay_alu instid0(VALU_DEP_1)
	v_cvt_f64_f32_e32 v[2:3], v1
.LBB143_2196:
	s_or_b32 exec_lo, exec_lo, s12
.LBB143_2197:
	s_mov_b32 s9, -1
.LBB143_2198:
	s_branch .LBB143_2230
.LBB143_2199:
	s_cmp_gt_i32 s0, 22
	s_cbranch_scc0 .LBB143_2209
; %bb.2200:
	s_cmp_lt_i32 s0, 24
	s_cbranch_scc1 .LBB143_2212
; %bb.2201:
	s_cmp_gt_i32 s0, 24
	s_cbranch_scc0 .LBB143_2213
; %bb.2202:
	global_load_u8 v1, v[32:33], off
	s_mov_b32 s9, exec_lo
	s_wait_loadcnt 0x0
	v_cmpx_lt_i16_e32 0x7f, v1
	s_xor_b32 s9, exec_lo, s9
	s_cbranch_execz .LBB143_2224
; %bb.2203:
	s_mov_b32 s8, -1
	s_mov_b32 s12, exec_lo
	v_cmpx_eq_u16_e32 0x80, v1
; %bb.2204:
	s_xor_b32 s8, exec_lo, -1
; %bb.2205:
	s_or_b32 exec_lo, exec_lo, s12
	s_delay_alu instid0(SALU_CYCLE_1)
	s_and_b32 s8, s8, exec_lo
	s_or_saveexec_b32 s9, s9
	v_mov_b64_e32 v[2:3], 0x7ff8000020000000
	s_xor_b32 exec_lo, exec_lo, s9
	s_cbranch_execnz .LBB143_2225
.LBB143_2206:
	s_or_b32 exec_lo, exec_lo, s9
	s_and_saveexec_b32 s9, s8
	s_cbranch_execz .LBB143_2208
.LBB143_2207:
	v_and_b32_e32 v2, 0xffff, v1
	s_delay_alu instid0(VALU_DEP_1) | instskip(SKIP_1) | instid1(VALU_DEP_2)
	v_and_b32_e32 v3, 3, v2
	v_bfe_u32 v9, v2, 2, 5
	v_clz_i32_u32_e32 v5, v3
	s_delay_alu instid0(VALU_DEP_2) | instskip(NEXT) | instid1(VALU_DEP_2)
	v_cmp_eq_u32_e32 vcc_lo, 0, v9
	v_min_u32_e32 v5, 32, v5
	s_delay_alu instid0(VALU_DEP_1) | instskip(NEXT) | instid1(VALU_DEP_1)
	v_subrev_nc_u32_e32 v7, 29, v5
	v_dual_lshlrev_b32 v2, v7, v2 :: v_dual_sub_nc_u32 v5, 30, v5
	s_delay_alu instid0(VALU_DEP_1) | instskip(NEXT) | instid1(VALU_DEP_1)
	v_dual_lshlrev_b32 v1, 24, v1 :: v_dual_bitop2_b32 v2, 3, v2 bitop3:0x40
	v_dual_cndmask_b32 v2, v3, v2 :: v_dual_cndmask_b32 v5, v9, v5
	s_delay_alu instid0(VALU_DEP_2) | instskip(NEXT) | instid1(VALU_DEP_2)
	v_and_b32_e32 v1, 0x80000000, v1
	v_lshlrev_b32_e32 v2, 21, v2
	s_delay_alu instid0(VALU_DEP_3) | instskip(NEXT) | instid1(VALU_DEP_1)
	v_lshl_add_u32 v3, v5, 23, 0x37800000
	v_or3_b32 v1, v1, v3, v2
	s_delay_alu instid0(VALU_DEP_1)
	v_cvt_f64_f32_e32 v[2:3], v1
.LBB143_2208:
	s_or_b32 exec_lo, exec_lo, s9
	s_mov_b32 s8, 0
	s_branch .LBB143_2214
.LBB143_2209:
                                        ; implicit-def: $vgpr2_vgpr3
	s_mov_b32 s8, 0
	s_branch .LBB143_2220
.LBB143_2210:
	s_or_saveexec_b32 s12, s12
	v_mov_b64_e32 v[2:3], 0x7ff8000020000000
	s_xor_b32 exec_lo, exec_lo, s12
	s_cbranch_execz .LBB143_2194
.LBB143_2211:
	v_cmp_ne_u16_e32 vcc_lo, 0, v1
	v_mov_b64_e32 v[2:3], 0
	s_and_not1_b32 s9, s9, exec_lo
	s_and_b32 s14, vcc_lo, exec_lo
	s_delay_alu instid0(SALU_CYCLE_1)
	s_or_b32 s9, s9, s14
	s_or_b32 exec_lo, exec_lo, s12
	s_and_saveexec_b32 s12, s9
	s_cbranch_execnz .LBB143_2195
	s_branch .LBB143_2196
.LBB143_2212:
	s_mov_b32 s8, -1
                                        ; implicit-def: $vgpr2_vgpr3
	s_branch .LBB143_2217
.LBB143_2213:
	s_mov_b32 s8, -1
                                        ; implicit-def: $vgpr2_vgpr3
.LBB143_2214:
	s_delay_alu instid0(SALU_CYCLE_1)
	s_and_b32 vcc_lo, exec_lo, s8
	s_cbranch_vccz .LBB143_2216
; %bb.2215:
	global_load_u8 v1, v[32:33], off
	s_wait_loadcnt 0x0
	v_lshlrev_b32_e32 v1, 24, v1
	s_delay_alu instid0(VALU_DEP_1) | instskip(SKIP_1) | instid1(VALU_DEP_1)
	v_and_b32_e32 v2, 0x7f000000, v1
	s_wait_xcnt 0x1
	v_clz_i32_u32_e32 v3, v2
	v_cmp_ne_u32_e32 vcc_lo, 0, v2
	v_add_nc_u32_e32 v7, 0x1000000, v2
	s_delay_alu instid0(VALU_DEP_3) | instskip(NEXT) | instid1(VALU_DEP_1)
	v_min_u32_e32 v3, 32, v3
	v_sub_nc_u32_e64 v3, v3, 4 clamp
	s_delay_alu instid0(VALU_DEP_1) | instskip(NEXT) | instid1(VALU_DEP_1)
	v_dual_lshlrev_b32 v5, v3, v2 :: v_dual_lshlrev_b32 v3, 23, v3
	v_lshrrev_b32_e32 v5, 4, v5
	s_delay_alu instid0(VALU_DEP_1) | instskip(SKIP_1) | instid1(VALU_DEP_2)
	v_sub_nc_u32_e32 v3, v5, v3
	v_ashrrev_i32_e32 v5, 8, v7
	v_add_nc_u32_e32 v3, 0x3c000000, v3
	s_delay_alu instid0(VALU_DEP_1) | instskip(NEXT) | instid1(VALU_DEP_1)
	v_and_or_b32 v3, 0x7f800000, v5, v3
	v_cndmask_b32_e32 v2, 0, v3, vcc_lo
	s_delay_alu instid0(VALU_DEP_1) | instskip(NEXT) | instid1(VALU_DEP_1)
	v_and_or_b32 v1, 0x80000000, v1, v2
	v_cvt_f64_f32_e32 v[2:3], v1
.LBB143_2216:
	s_mov_b32 s8, 0
.LBB143_2217:
	s_delay_alu instid0(SALU_CYCLE_1)
	s_and_not1_b32 vcc_lo, exec_lo, s8
	s_cbranch_vccnz .LBB143_2219
; %bb.2218:
	global_load_u8 v1, v[32:33], off
	s_wait_loadcnt 0x0
	v_lshlrev_b32_e32 v2, 25, v1
	v_lshlrev_b16 v1, 8, v1
	s_delay_alu instid0(VALU_DEP_1) | instskip(SKIP_1) | instid1(VALU_DEP_3)
	v_and_or_b32 v5, 0x7f00, v1, 0.5
	s_wait_xcnt 0x1
	v_lshrrev_b32_e32 v3, 4, v2
	v_bfe_i32 v1, v1, 0, 16
	s_delay_alu instid0(VALU_DEP_3) | instskip(NEXT) | instid1(VALU_DEP_3)
	v_add_f32_e32 v5, -0.5, v5
	v_or_b32_e32 v3, 0x70000000, v3
	s_delay_alu instid0(VALU_DEP_1) | instskip(SKIP_1) | instid1(VALU_DEP_2)
	v_mul_f32_e32 v3, 0x7800000, v3
	v_cmp_gt_u32_e32 vcc_lo, 0x8000000, v2
	v_cndmask_b32_e32 v2, v3, v5, vcc_lo
	s_delay_alu instid0(VALU_DEP_1) | instskip(NEXT) | instid1(VALU_DEP_1)
	v_and_or_b32 v1, 0x80000000, v1, v2
	v_cvt_f64_f32_e32 v[2:3], v1
.LBB143_2219:
	s_mov_b32 s9, -1
	s_mov_b32 s8, 0
	s_cbranch_execnz .LBB143_2230
.LBB143_2220:
	s_cmp_gt_i32 s0, 14
	s_cbranch_scc0 .LBB143_2223
; %bb.2221:
	s_cmp_eq_u32 s0, 15
	s_cbranch_scc0 .LBB143_2226
; %bb.2222:
	global_load_u16 v1, v[32:33], off
	s_mov_b32 s1, 0
	s_mov_b32 s9, -1
	s_wait_loadcnt 0x0
	v_lshlrev_b32_e32 v1, 16, v1
	s_wait_xcnt 0x1
	s_delay_alu instid0(VALU_DEP_1)
	v_cvt_f64_f32_e32 v[2:3], v1
	s_branch .LBB143_2228
.LBB143_2223:
	s_mov_b32 s8, -1
	s_branch .LBB143_2227
.LBB143_2224:
	s_or_saveexec_b32 s9, s9
	v_mov_b64_e32 v[2:3], 0x7ff8000020000000
	s_xor_b32 exec_lo, exec_lo, s9
	s_cbranch_execz .LBB143_2206
.LBB143_2225:
	v_cmp_ne_u16_e32 vcc_lo, 0, v1
	v_mov_b64_e32 v[2:3], 0
	s_and_not1_b32 s8, s8, exec_lo
	s_and_b32 s12, vcc_lo, exec_lo
	s_delay_alu instid0(SALU_CYCLE_1)
	s_or_b32 s8, s8, s12
	s_or_b32 exec_lo, exec_lo, s9
	s_and_saveexec_b32 s9, s8
	s_cbranch_execnz .LBB143_2207
	s_branch .LBB143_2208
.LBB143_2226:
	s_mov_b32 s1, -1
.LBB143_2227:
                                        ; implicit-def: $vgpr2_vgpr3
.LBB143_2228:
	s_and_b32 vcc_lo, exec_lo, s8
	s_mov_b32 s8, 0
	s_cbranch_vccz .LBB143_2230
; %bb.2229:
	s_cmp_lg_u32 s0, 11
	s_mov_b32 s8, -1
	s_cselect_b32 s1, -1, 0
.LBB143_2230:
	s_delay_alu instid0(SALU_CYCLE_1)
	s_and_b32 vcc_lo, exec_lo, s1
	s_mov_b32 s12, s10
	s_cbranch_vccnz .LBB143_2291
; %bb.2231:
	s_and_not1_b32 vcc_lo, exec_lo, s8
	s_cbranch_vccnz .LBB143_2233
.LBB143_2232:
	global_load_u8 v1, v[32:33], off
	v_mov_b32_e32 v2, 0
	s_mov_b32 s9, -1
	s_wait_loadcnt 0x0
	v_cmp_ne_u16_e32 vcc_lo, 0, v1
	s_wait_xcnt 0x1
	v_cndmask_b32_e64 v3, 0, 0x3ff00000, vcc_lo
.LBB143_2233:
	s_branch .LBB143_2162
.LBB143_2234:
	s_and_b32 s0, 0xffff, s13
	s_delay_alu instid0(SALU_CYCLE_1)
	s_cmp_lt_i32 s0, 5
	s_cbranch_scc1 .LBB143_2239
; %bb.2235:
	s_cmp_lt_i32 s0, 8
	s_cbranch_scc1 .LBB143_2240
; %bb.2236:
	;; [unrolled: 3-line block ×3, first 2 shown]
	s_cmp_gt_i32 s0, 9
	s_cbranch_scc0 .LBB143_2242
; %bb.2238:
	global_load_b64 v[2:3], v[32:33], off
	s_mov_b32 s1, 0
	s_branch .LBB143_2243
.LBB143_2239:
                                        ; implicit-def: $vgpr2_vgpr3
	s_branch .LBB143_2260
.LBB143_2240:
                                        ; implicit-def: $vgpr2_vgpr3
	s_branch .LBB143_2249
.LBB143_2241:
	s_mov_b32 s1, -1
                                        ; implicit-def: $vgpr2_vgpr3
	s_branch .LBB143_2246
.LBB143_2242:
	s_mov_b32 s1, -1
                                        ; implicit-def: $vgpr2_vgpr3
.LBB143_2243:
	s_delay_alu instid0(SALU_CYCLE_1)
	s_and_not1_b32 vcc_lo, exec_lo, s1
	s_cbranch_vccnz .LBB143_2245
; %bb.2244:
	global_load_b32 v1, v[32:33], off
	s_wait_loadcnt 0x0
	s_wait_xcnt 0x1
	v_cvt_f64_f32_e32 v[2:3], v1
.LBB143_2245:
	s_mov_b32 s1, 0
.LBB143_2246:
	s_delay_alu instid0(SALU_CYCLE_1)
	s_and_not1_b32 vcc_lo, exec_lo, s1
	s_cbranch_vccnz .LBB143_2248
; %bb.2247:
	global_load_b32 v1, v[32:33], off
	s_wait_loadcnt 0x0
	v_cvt_f32_f16_e32 v1, v1
	s_wait_xcnt 0x1
	s_delay_alu instid0(VALU_DEP_1)
	v_cvt_f64_f32_e32 v[2:3], v1
.LBB143_2248:
	s_cbranch_execnz .LBB143_2259
.LBB143_2249:
	s_cmp_lt_i32 s0, 6
	s_cbranch_scc1 .LBB143_2252
; %bb.2250:
	s_cmp_gt_i32 s0, 6
	s_cbranch_scc0 .LBB143_2253
; %bb.2251:
	s_wait_loadcnt 0x0
	global_load_b64 v[2:3], v[32:33], off
	s_mov_b32 s1, 0
	s_branch .LBB143_2254
.LBB143_2252:
	s_mov_b32 s1, -1
                                        ; implicit-def: $vgpr2_vgpr3
	s_branch .LBB143_2257
.LBB143_2253:
	s_mov_b32 s1, -1
                                        ; implicit-def: $vgpr2_vgpr3
.LBB143_2254:
	s_delay_alu instid0(SALU_CYCLE_1)
	s_and_not1_b32 vcc_lo, exec_lo, s1
	s_cbranch_vccnz .LBB143_2256
; %bb.2255:
	global_load_b32 v1, v[32:33], off
	s_wait_loadcnt 0x0
	s_wait_xcnt 0x1
	v_cvt_f64_f32_e32 v[2:3], v1
.LBB143_2256:
	s_mov_b32 s1, 0
.LBB143_2257:
	s_delay_alu instid0(SALU_CYCLE_1)
	s_and_not1_b32 vcc_lo, exec_lo, s1
	s_cbranch_vccnz .LBB143_2259
; %bb.2258:
	global_load_u16 v1, v[32:33], off
	s_wait_loadcnt 0x0
	v_cvt_f32_f16_e32 v1, v1
	s_wait_xcnt 0x1
	s_delay_alu instid0(VALU_DEP_1)
	v_cvt_f64_f32_e32 v[2:3], v1
.LBB143_2259:
	s_cbranch_execnz .LBB143_2278
.LBB143_2260:
	s_cmp_lt_i32 s0, 2
	s_cbranch_scc1 .LBB143_2264
; %bb.2261:
	s_cmp_lt_i32 s0, 3
	s_cbranch_scc1 .LBB143_2265
; %bb.2262:
	s_cmp_gt_i32 s0, 3
	s_cbranch_scc0 .LBB143_2266
; %bb.2263:
	s_wait_loadcnt 0x0
	global_load_b64 v[2:3], v[32:33], off
	s_mov_b32 s1, 0
	s_wait_loadcnt 0x0
	v_cvt_f64_i32_e32 v[34:35], v3
	v_cvt_f64_u32_e32 v[2:3], v2
	s_delay_alu instid0(VALU_DEP_2) | instskip(NEXT) | instid1(VALU_DEP_1)
	v_ldexp_f64 v[34:35], v[34:35], 32
	v_add_f64_e32 v[2:3], v[34:35], v[2:3]
	s_branch .LBB143_2267
.LBB143_2264:
                                        ; implicit-def: $vgpr2_vgpr3
	s_branch .LBB143_2273
.LBB143_2265:
	s_mov_b32 s1, -1
                                        ; implicit-def: $vgpr2_vgpr3
	s_branch .LBB143_2270
.LBB143_2266:
	s_mov_b32 s1, -1
                                        ; implicit-def: $vgpr2_vgpr3
.LBB143_2267:
	s_delay_alu instid0(SALU_CYCLE_1)
	s_and_not1_b32 vcc_lo, exec_lo, s1
	s_cbranch_vccnz .LBB143_2269
; %bb.2268:
	global_load_b32 v1, v[32:33], off
	s_wait_loadcnt 0x0
	s_wait_xcnt 0x1
	v_cvt_f64_i32_e32 v[2:3], v1
.LBB143_2269:
	s_mov_b32 s1, 0
.LBB143_2270:
	s_delay_alu instid0(SALU_CYCLE_1)
	s_and_not1_b32 vcc_lo, exec_lo, s1
	s_cbranch_vccnz .LBB143_2272
; %bb.2271:
	global_load_i16 v1, v[32:33], off
	s_wait_loadcnt 0x0
	s_wait_xcnt 0x1
	v_cvt_f64_i32_e32 v[2:3], v1
.LBB143_2272:
	s_cbranch_execnz .LBB143_2278
.LBB143_2273:
	s_cmp_gt_i32 s0, 0
	s_mov_b32 s0, 0
	s_cbranch_scc0 .LBB143_2275
; %bb.2274:
	global_load_i8 v1, v[32:33], off
	s_wait_loadcnt 0x0
	s_wait_xcnt 0x1
	v_cvt_f64_i32_e32 v[2:3], v1
	s_branch .LBB143_2276
.LBB143_2275:
	s_mov_b32 s0, -1
                                        ; implicit-def: $vgpr2_vgpr3
.LBB143_2276:
	s_delay_alu instid0(SALU_CYCLE_1)
	s_and_not1_b32 vcc_lo, exec_lo, s0
	s_cbranch_vccnz .LBB143_2278
; %bb.2277:
	global_load_u8 v1, v[32:33], off
	s_wait_loadcnt 0x0
	s_wait_xcnt 0x1
	v_cvt_f64_u32_e32 v[2:3], v1
.LBB143_2278:
.LBB143_2279:
	v_mov_b32_e32 v13, 0
	s_load_b64 s[0:1], s[2:3], 0x1d8
	global_load_u8 v1, v13, s[2:3] offset:491
	s_wait_kmcnt 0x0
	v_add_nc_u64_e32 v[32:33], s[0:1], v[12:13]
	s_wait_loadcnt 0x0
	v_and_b32_e32 v5, 0xffff, v1
	v_readfirstlane_b32 s14, v1
	s_delay_alu instid0(VALU_DEP_2)
	v_cmp_gt_i32_e32 vcc_lo, 11, v5
	s_cbranch_vccnz .LBB143_2286
; %bb.2280:
	s_and_b32 s8, 0xffff, s14
	s_mov_b32 s15, 0
	s_cmp_gt_i32 s8, 25
	s_cbranch_scc0 .LBB143_2288
; %bb.2281:
	s_cmp_gt_i32 s8, 28
	s_cbranch_scc0 .LBB143_2289
; %bb.2282:
	;; [unrolled: 3-line block ×4, first 2 shown]
	s_cmp_eq_u32 s8, 46
	s_mov_b32 s17, 0
	s_cbranch_scc0 .LBB143_2295
; %bb.2285:
	global_load_b32 v1, v[32:33], off
	s_mov_b32 s9, 0
	s_mov_b32 s16, -1
	s_wait_loadcnt 0x0
	v_lshlrev_b32_e32 v1, 16, v1
	s_wait_xcnt 0x1
	s_delay_alu instid0(VALU_DEP_1)
	v_cvt_f64_f32_e32 v[12:13], v1
	s_branch .LBB143_2297
.LBB143_2286:
	s_mov_b32 s16, 0
                                        ; implicit-def: $vgpr12_vgpr13
	s_cbranch_execnz .LBB143_2362
.LBB143_2287:
	s_and_not1_b32 vcc_lo, exec_lo, s16
	s_cbranch_vccnz .LBB143_4155
	s_branch .LBB143_2409
.LBB143_2288:
	s_mov_b32 s16, 0
	s_mov_b32 s9, 0
                                        ; implicit-def: $vgpr12_vgpr13
	s_cbranch_execnz .LBB143_2326
	s_branch .LBB143_2358
.LBB143_2289:
	s_mov_b32 s17, -1
	s_mov_b32 s16, 0
	s_mov_b32 s9, 0
                                        ; implicit-def: $vgpr12_vgpr13
	s_branch .LBB143_2307
.LBB143_2290:
	s_mov_b32 s17, -1
	s_mov_b32 s16, 0
	s_mov_b32 s9, 0
                                        ; implicit-def: $vgpr12_vgpr13
	s_branch .LBB143_2302
.LBB143_2291:
	s_or_b32 s12, s10, exec_lo
	s_trap 2
	s_cbranch_execz .LBB143_2232
	s_branch .LBB143_2233
.LBB143_2292:
	s_mov_b32 s17, -1
	s_mov_b32 s16, 0
	s_mov_b32 s9, 0
	s_branch .LBB143_2296
.LBB143_2293:
	s_and_not1_saveexec_b32 s10, s10
	s_cbranch_execz .LBB143_2034
.LBB143_2294:
	v_add_f32_e64 v3, 0x42800000, |v2|
	s_and_not1_b32 s9, s9, exec_lo
	s_delay_alu instid0(VALU_DEP_1) | instskip(NEXT) | instid1(VALU_DEP_1)
	v_and_b32_e32 v3, 0xff, v3
	v_cmp_ne_u32_e32 vcc_lo, 0, v3
	s_and_b32 s11, vcc_lo, exec_lo
	s_delay_alu instid0(SALU_CYCLE_1)
	s_or_b32 s9, s9, s11
	s_or_b32 exec_lo, exec_lo, s10
	v_mov_b32_e32 v4, 0
	s_and_saveexec_b32 s10, s9
	s_cbranch_execnz .LBB143_2035
	s_branch .LBB143_2036
.LBB143_2295:
	s_mov_b32 s9, -1
	s_mov_b32 s16, 0
.LBB143_2296:
                                        ; implicit-def: $vgpr12_vgpr13
.LBB143_2297:
	s_and_b32 vcc_lo, exec_lo, s17
	s_cbranch_vccz .LBB143_2301
; %bb.2298:
	s_cmp_eq_u32 s8, 44
	s_cbranch_scc0 .LBB143_2300
; %bb.2299:
	global_load_u8 v1, v[32:33], off
	s_mov_b32 s9, 0
	s_mov_b32 s16, -1
	s_wait_loadcnt 0x0
	v_lshlrev_b32_e32 v5, 23, v1
	v_cmp_ne_u32_e32 vcc_lo, 0xff, v1
	s_wait_xcnt 0x1
	s_delay_alu instid0(VALU_DEP_2) | instskip(NEXT) | instid1(VALU_DEP_1)
	v_cvt_f64_f32_e32 v[12:13], v5
	v_cndmask_b32_e32 v5, 0x20000000, v12, vcc_lo
	s_delay_alu instid0(VALU_DEP_2) | instskip(SKIP_1) | instid1(VALU_DEP_2)
	v_cndmask_b32_e32 v7, 0x7ff80000, v13, vcc_lo
	v_cmp_ne_u32_e32 vcc_lo, 0, v1
	v_cndmask_b32_e32 v13, 0x38000000, v7, vcc_lo
	s_delay_alu instid0(VALU_DEP_4)
	v_cndmask_b32_e32 v12, 0, v5, vcc_lo
	s_branch .LBB143_2301
.LBB143_2300:
	s_mov_b32 s9, -1
                                        ; implicit-def: $vgpr12_vgpr13
.LBB143_2301:
	s_mov_b32 s17, 0
.LBB143_2302:
	s_delay_alu instid0(SALU_CYCLE_1)
	s_and_b32 vcc_lo, exec_lo, s17
	s_cbranch_vccz .LBB143_2306
; %bb.2303:
	s_cmp_eq_u32 s8, 29
	s_cbranch_scc0 .LBB143_2305
; %bb.2304:
	global_load_b64 v[12:13], v[32:33], off
	s_mov_b32 s9, 0
	s_mov_b32 s16, -1
	s_mov_b32 s17, 0
	s_wait_loadcnt 0x0
	v_cvt_f64_u32_e32 v[34:35], v13
	v_cvt_f64_u32_e32 v[12:13], v12
	s_delay_alu instid0(VALU_DEP_2) | instskip(NEXT) | instid1(VALU_DEP_1)
	v_ldexp_f64 v[34:35], v[34:35], 32
	v_add_f64_e32 v[12:13], v[34:35], v[12:13]
	s_branch .LBB143_2307
.LBB143_2305:
	s_mov_b32 s9, -1
                                        ; implicit-def: $vgpr12_vgpr13
.LBB143_2306:
	s_mov_b32 s17, 0
.LBB143_2307:
	s_delay_alu instid0(SALU_CYCLE_1)
	s_and_b32 vcc_lo, exec_lo, s17
	s_cbranch_vccz .LBB143_2325
; %bb.2308:
	s_cmp_lt_i32 s8, 27
	s_cbranch_scc1 .LBB143_2311
; %bb.2309:
	s_cmp_gt_i32 s8, 27
	s_cbranch_scc0 .LBB143_2312
; %bb.2310:
	global_load_b32 v1, v[32:33], off
	s_mov_b32 s16, 0
	s_wait_loadcnt 0x0
	s_wait_xcnt 0x1
	v_cvt_f64_u32_e32 v[12:13], v1
	s_branch .LBB143_2313
.LBB143_2311:
	s_mov_b32 s16, -1
                                        ; implicit-def: $vgpr12_vgpr13
	s_branch .LBB143_2316
.LBB143_2312:
	s_mov_b32 s16, -1
                                        ; implicit-def: $vgpr12_vgpr13
.LBB143_2313:
	s_delay_alu instid0(SALU_CYCLE_1)
	s_and_not1_b32 vcc_lo, exec_lo, s16
	s_cbranch_vccnz .LBB143_2315
; %bb.2314:
	global_load_u16 v1, v[32:33], off
	s_wait_loadcnt 0x0
	s_wait_xcnt 0x1
	v_cvt_f64_u32_e32 v[12:13], v1
.LBB143_2315:
	s_mov_b32 s16, 0
.LBB143_2316:
	s_delay_alu instid0(SALU_CYCLE_1)
	s_and_not1_b32 vcc_lo, exec_lo, s16
	s_cbranch_vccnz .LBB143_2324
; %bb.2317:
	global_load_u8 v1, v[32:33], off
	s_mov_b32 s16, 0
	s_mov_b32 s17, exec_lo
	s_wait_loadcnt 0x0
	v_cmpx_lt_i16_e32 0x7f, v1
	s_xor_b32 s17, exec_lo, s17
	s_cbranch_execz .LBB143_2337
; %bb.2318:
	s_mov_b32 s16, -1
	s_mov_b32 s18, exec_lo
	v_cmpx_eq_u16_e32 0x80, v1
; %bb.2319:
	s_xor_b32 s16, exec_lo, -1
; %bb.2320:
	s_or_b32 exec_lo, exec_lo, s18
	s_delay_alu instid0(SALU_CYCLE_1)
	s_and_b32 s16, s16, exec_lo
	s_or_saveexec_b32 s17, s17
	v_mov_b64_e32 v[12:13], 0x7ff8000020000000
	s_xor_b32 exec_lo, exec_lo, s17
	s_cbranch_execnz .LBB143_2338
.LBB143_2321:
	s_or_b32 exec_lo, exec_lo, s17
	s_and_saveexec_b32 s17, s16
	s_cbranch_execz .LBB143_2323
.LBB143_2322:
	v_and_b32_e32 v5, 0xffff, v1
	v_lshlrev_b32_e32 v1, 24, v1
	s_delay_alu instid0(VALU_DEP_2) | instskip(SKIP_1) | instid1(VALU_DEP_3)
	v_and_b32_e32 v7, 7, v5
	v_bfe_u32 v12, v5, 3, 4
	v_and_b32_e32 v1, 0x80000000, v1
	s_delay_alu instid0(VALU_DEP_3) | instskip(NEXT) | instid1(VALU_DEP_3)
	v_clz_i32_u32_e32 v9, v7
	v_cmp_eq_u32_e32 vcc_lo, 0, v12
	s_delay_alu instid0(VALU_DEP_2) | instskip(NEXT) | instid1(VALU_DEP_1)
	v_min_u32_e32 v9, 32, v9
	v_subrev_nc_u32_e32 v11, 28, v9
	v_sub_nc_u32_e32 v9, 29, v9
	s_delay_alu instid0(VALU_DEP_2) | instskip(NEXT) | instid1(VALU_DEP_2)
	v_lshlrev_b32_e32 v5, v11, v5
	v_cndmask_b32_e32 v9, v12, v9, vcc_lo
	s_delay_alu instid0(VALU_DEP_2) | instskip(NEXT) | instid1(VALU_DEP_1)
	v_and_b32_e32 v5, 7, v5
	v_cndmask_b32_e32 v5, v7, v5, vcc_lo
	s_delay_alu instid0(VALU_DEP_3) | instskip(NEXT) | instid1(VALU_DEP_2)
	v_lshl_add_u32 v7, v9, 23, 0x3b800000
	v_lshlrev_b32_e32 v5, 20, v5
	s_delay_alu instid0(VALU_DEP_1) | instskip(NEXT) | instid1(VALU_DEP_1)
	v_or3_b32 v1, v1, v7, v5
	v_cvt_f64_f32_e32 v[12:13], v1
.LBB143_2323:
	s_or_b32 exec_lo, exec_lo, s17
.LBB143_2324:
	s_mov_b32 s16, -1
.LBB143_2325:
	s_branch .LBB143_2358
.LBB143_2326:
	s_cmp_gt_i32 s8, 22
	s_cbranch_scc0 .LBB143_2336
; %bb.2327:
	s_cmp_lt_i32 s8, 24
	s_cbranch_scc1 .LBB143_2339
; %bb.2328:
	s_cmp_gt_i32 s8, 24
	s_cbranch_scc0 .LBB143_2340
; %bb.2329:
	global_load_u8 v1, v[32:33], off
	s_mov_b32 s16, exec_lo
	s_wait_loadcnt 0x0
	v_cmpx_lt_i16_e32 0x7f, v1
	s_xor_b32 s16, exec_lo, s16
	s_cbranch_execz .LBB143_2352
; %bb.2330:
	s_mov_b32 s15, -1
	s_mov_b32 s17, exec_lo
	v_cmpx_eq_u16_e32 0x80, v1
; %bb.2331:
	s_xor_b32 s15, exec_lo, -1
; %bb.2332:
	s_or_b32 exec_lo, exec_lo, s17
	s_delay_alu instid0(SALU_CYCLE_1)
	s_and_b32 s15, s15, exec_lo
	s_or_saveexec_b32 s16, s16
	v_mov_b64_e32 v[12:13], 0x7ff8000020000000
	s_xor_b32 exec_lo, exec_lo, s16
	s_cbranch_execnz .LBB143_2353
.LBB143_2333:
	s_or_b32 exec_lo, exec_lo, s16
	s_and_saveexec_b32 s16, s15
	s_cbranch_execz .LBB143_2335
.LBB143_2334:
	v_and_b32_e32 v5, 0xffff, v1
	v_lshlrev_b32_e32 v1, 24, v1
	s_delay_alu instid0(VALU_DEP_2) | instskip(SKIP_1) | instid1(VALU_DEP_3)
	v_and_b32_e32 v7, 3, v5
	v_bfe_u32 v12, v5, 2, 5
	v_and_b32_e32 v1, 0x80000000, v1
	s_delay_alu instid0(VALU_DEP_3) | instskip(NEXT) | instid1(VALU_DEP_3)
	v_clz_i32_u32_e32 v9, v7
	v_cmp_eq_u32_e32 vcc_lo, 0, v12
	s_delay_alu instid0(VALU_DEP_2) | instskip(NEXT) | instid1(VALU_DEP_1)
	v_min_u32_e32 v9, 32, v9
	v_subrev_nc_u32_e32 v11, 29, v9
	v_sub_nc_u32_e32 v9, 30, v9
	s_delay_alu instid0(VALU_DEP_2) | instskip(NEXT) | instid1(VALU_DEP_2)
	v_lshlrev_b32_e32 v5, v11, v5
	v_cndmask_b32_e32 v9, v12, v9, vcc_lo
	s_delay_alu instid0(VALU_DEP_2) | instskip(NEXT) | instid1(VALU_DEP_1)
	v_and_b32_e32 v5, 3, v5
	v_cndmask_b32_e32 v5, v7, v5, vcc_lo
	s_delay_alu instid0(VALU_DEP_3) | instskip(NEXT) | instid1(VALU_DEP_2)
	v_lshl_add_u32 v7, v9, 23, 0x37800000
	v_lshlrev_b32_e32 v5, 21, v5
	s_delay_alu instid0(VALU_DEP_1) | instskip(NEXT) | instid1(VALU_DEP_1)
	v_or3_b32 v1, v1, v7, v5
	v_cvt_f64_f32_e32 v[12:13], v1
.LBB143_2335:
	s_or_b32 exec_lo, exec_lo, s16
	s_mov_b32 s15, 0
	s_branch .LBB143_2341
.LBB143_2336:
	s_mov_b32 s15, -1
                                        ; implicit-def: $vgpr12_vgpr13
	s_branch .LBB143_2347
.LBB143_2337:
	s_or_saveexec_b32 s17, s17
	v_mov_b64_e32 v[12:13], 0x7ff8000020000000
	s_xor_b32 exec_lo, exec_lo, s17
	s_cbranch_execz .LBB143_2321
.LBB143_2338:
	v_cmp_ne_u16_e32 vcc_lo, 0, v1
	v_mov_b64_e32 v[12:13], 0
	s_and_not1_b32 s16, s16, exec_lo
	s_and_b32 s18, vcc_lo, exec_lo
	s_delay_alu instid0(SALU_CYCLE_1)
	s_or_b32 s16, s16, s18
	s_or_b32 exec_lo, exec_lo, s17
	s_and_saveexec_b32 s17, s16
	s_cbranch_execnz .LBB143_2322
	s_branch .LBB143_2323
.LBB143_2339:
	s_mov_b32 s15, -1
                                        ; implicit-def: $vgpr12_vgpr13
	s_branch .LBB143_2344
.LBB143_2340:
	s_mov_b32 s15, -1
                                        ; implicit-def: $vgpr12_vgpr13
.LBB143_2341:
	s_delay_alu instid0(SALU_CYCLE_1)
	s_and_b32 vcc_lo, exec_lo, s15
	s_cbranch_vccz .LBB143_2343
; %bb.2342:
	global_load_u8 v1, v[32:33], off
	s_wait_loadcnt 0x0
	v_lshlrev_b32_e32 v1, 24, v1
	s_delay_alu instid0(VALU_DEP_1) | instskip(NEXT) | instid1(VALU_DEP_1)
	v_and_b32_e32 v5, 0x7f000000, v1
	v_clz_i32_u32_e32 v7, v5
	v_cmp_ne_u32_e32 vcc_lo, 0, v5
	v_add_nc_u32_e32 v11, 0x1000000, v5
	s_delay_alu instid0(VALU_DEP_3) | instskip(NEXT) | instid1(VALU_DEP_1)
	v_min_u32_e32 v7, 32, v7
	v_sub_nc_u32_e64 v7, v7, 4 clamp
	s_delay_alu instid0(VALU_DEP_1) | instskip(NEXT) | instid1(VALU_DEP_1)
	v_dual_lshlrev_b32 v9, v7, v5 :: v_dual_lshlrev_b32 v7, 23, v7
	v_lshrrev_b32_e32 v9, 4, v9
	s_delay_alu instid0(VALU_DEP_1) | instskip(SKIP_1) | instid1(VALU_DEP_2)
	v_sub_nc_u32_e32 v7, v9, v7
	v_ashrrev_i32_e32 v9, 8, v11
	v_add_nc_u32_e32 v7, 0x3c000000, v7
	s_delay_alu instid0(VALU_DEP_1) | instskip(NEXT) | instid1(VALU_DEP_1)
	v_and_or_b32 v7, 0x7f800000, v9, v7
	v_cndmask_b32_e32 v5, 0, v7, vcc_lo
	s_delay_alu instid0(VALU_DEP_1) | instskip(SKIP_1) | instid1(VALU_DEP_1)
	v_and_or_b32 v1, 0x80000000, v1, v5
	s_wait_xcnt 0x1
	v_cvt_f64_f32_e32 v[12:13], v1
.LBB143_2343:
	s_mov_b32 s15, 0
.LBB143_2344:
	s_delay_alu instid0(SALU_CYCLE_1)
	s_and_not1_b32 vcc_lo, exec_lo, s15
	s_cbranch_vccnz .LBB143_2346
; %bb.2345:
	global_load_u8 v1, v[32:33], off
	s_wait_loadcnt 0x0
	v_lshlrev_b32_e32 v5, 25, v1
	v_lshlrev_b16 v1, 8, v1
	s_delay_alu instid0(VALU_DEP_2) | instskip(NEXT) | instid1(VALU_DEP_2)
	v_lshrrev_b32_e32 v7, 4, v5
	v_and_or_b32 v9, 0x7f00, v1, 0.5
	v_cmp_gt_u32_e32 vcc_lo, 0x8000000, v5
	v_bfe_i32 v1, v1, 0, 16
	s_delay_alu instid0(VALU_DEP_4) | instskip(NEXT) | instid1(VALU_DEP_4)
	v_or_b32_e32 v7, 0x70000000, v7
	v_add_f32_e32 v9, -0.5, v9
	s_delay_alu instid0(VALU_DEP_2) | instskip(NEXT) | instid1(VALU_DEP_1)
	v_mul_f32_e32 v7, 0x7800000, v7
	v_cndmask_b32_e32 v5, v7, v9, vcc_lo
	s_delay_alu instid0(VALU_DEP_1) | instskip(SKIP_1) | instid1(VALU_DEP_1)
	v_and_or_b32 v1, 0x80000000, v1, v5
	s_wait_xcnt 0x1
	v_cvt_f64_f32_e32 v[12:13], v1
.LBB143_2346:
	s_mov_b32 s15, 0
	s_mov_b32 s16, -1
.LBB143_2347:
	s_and_not1_b32 vcc_lo, exec_lo, s15
	s_mov_b32 s15, 0
	s_cbranch_vccnz .LBB143_2358
; %bb.2348:
	s_cmp_gt_i32 s8, 14
	s_cbranch_scc0 .LBB143_2351
; %bb.2349:
	s_cmp_eq_u32 s8, 15
	s_cbranch_scc0 .LBB143_2354
; %bb.2350:
	global_load_u16 v1, v[32:33], off
	s_mov_b32 s9, 0
	s_mov_b32 s16, -1
	s_wait_loadcnt 0x0
	v_lshlrev_b32_e32 v1, 16, v1
	s_wait_xcnt 0x1
	s_delay_alu instid0(VALU_DEP_1)
	v_cvt_f64_f32_e32 v[12:13], v1
	s_branch .LBB143_2356
.LBB143_2351:
	s_mov_b32 s15, -1
	s_branch .LBB143_2355
.LBB143_2352:
	s_or_saveexec_b32 s16, s16
	v_mov_b64_e32 v[12:13], 0x7ff8000020000000
	s_xor_b32 exec_lo, exec_lo, s16
	s_cbranch_execz .LBB143_2333
.LBB143_2353:
	v_cmp_ne_u16_e32 vcc_lo, 0, v1
	v_mov_b64_e32 v[12:13], 0
	s_and_not1_b32 s15, s15, exec_lo
	s_and_b32 s17, vcc_lo, exec_lo
	s_delay_alu instid0(SALU_CYCLE_1)
	s_or_b32 s15, s15, s17
	s_or_b32 exec_lo, exec_lo, s16
	s_and_saveexec_b32 s16, s15
	s_cbranch_execnz .LBB143_2334
	s_branch .LBB143_2335
.LBB143_2354:
	s_mov_b32 s9, -1
.LBB143_2355:
                                        ; implicit-def: $vgpr12_vgpr13
.LBB143_2356:
	s_and_b32 vcc_lo, exec_lo, s15
	s_mov_b32 s15, 0
	s_cbranch_vccz .LBB143_2358
; %bb.2357:
	s_cmp_lg_u32 s8, 11
	s_mov_b32 s15, -1
	s_cselect_b32 s9, -1, 0
.LBB143_2358:
	s_delay_alu instid0(SALU_CYCLE_1)
	s_and_b32 vcc_lo, exec_lo, s9
	s_cbranch_vccnz .LBB143_2421
; %bb.2359:
	s_and_not1_b32 vcc_lo, exec_lo, s15
	s_cbranch_vccnz .LBB143_2361
.LBB143_2360:
	global_load_u8 v1, v[32:33], off
	v_mov_b32_e32 v12, 0
	s_mov_b32 s16, -1
	s_wait_loadcnt 0x0
	v_cmp_ne_u16_e32 vcc_lo, 0, v1
	s_wait_xcnt 0x1
	v_cndmask_b32_e64 v13, 0, 0x3ff00000, vcc_lo
.LBB143_2361:
	s_branch .LBB143_2287
.LBB143_2362:
	s_and_b32 s8, 0xffff, s14
	s_delay_alu instid0(SALU_CYCLE_1)
	s_cmp_lt_i32 s8, 5
	s_cbranch_scc1 .LBB143_2367
; %bb.2363:
	s_cmp_lt_i32 s8, 8
	s_cbranch_scc1 .LBB143_2368
; %bb.2364:
	;; [unrolled: 3-line block ×3, first 2 shown]
	s_cmp_gt_i32 s8, 9
	s_cbranch_scc0 .LBB143_2370
; %bb.2366:
	global_load_b64 v[12:13], v[32:33], off
	s_mov_b32 s9, 0
	s_branch .LBB143_2371
.LBB143_2367:
                                        ; implicit-def: $vgpr12_vgpr13
	s_branch .LBB143_2389
.LBB143_2368:
	s_mov_b32 s9, -1
                                        ; implicit-def: $vgpr12_vgpr13
	s_branch .LBB143_2377
.LBB143_2369:
	s_mov_b32 s9, -1
                                        ; implicit-def: $vgpr12_vgpr13
	s_branch .LBB143_2374
.LBB143_2370:
	s_mov_b32 s9, -1
                                        ; implicit-def: $vgpr12_vgpr13
.LBB143_2371:
	s_delay_alu instid0(SALU_CYCLE_1)
	s_and_not1_b32 vcc_lo, exec_lo, s9
	s_cbranch_vccnz .LBB143_2373
; %bb.2372:
	global_load_b32 v1, v[32:33], off
	s_wait_loadcnt 0x0
	s_wait_xcnt 0x1
	v_cvt_f64_f32_e32 v[12:13], v1
.LBB143_2373:
	s_mov_b32 s9, 0
.LBB143_2374:
	s_delay_alu instid0(SALU_CYCLE_1)
	s_and_not1_b32 vcc_lo, exec_lo, s9
	s_cbranch_vccnz .LBB143_2376
; %bb.2375:
	global_load_b32 v1, v[32:33], off
	s_wait_loadcnt 0x0
	v_cvt_f32_f16_e32 v1, v1
	s_wait_xcnt 0x1
	s_delay_alu instid0(VALU_DEP_1)
	v_cvt_f64_f32_e32 v[12:13], v1
.LBB143_2376:
	s_mov_b32 s9, 0
.LBB143_2377:
	s_delay_alu instid0(SALU_CYCLE_1)
	s_and_not1_b32 vcc_lo, exec_lo, s9
	s_cbranch_vccnz .LBB143_2388
; %bb.2378:
	s_cmp_lt_i32 s8, 6
	s_cbranch_scc1 .LBB143_2381
; %bb.2379:
	s_cmp_gt_i32 s8, 6
	s_cbranch_scc0 .LBB143_2382
; %bb.2380:
	s_wait_loadcnt 0x0
	global_load_b64 v[12:13], v[32:33], off
	s_mov_b32 s9, 0
	s_branch .LBB143_2383
.LBB143_2381:
	s_mov_b32 s9, -1
                                        ; implicit-def: $vgpr12_vgpr13
	s_branch .LBB143_2386
.LBB143_2382:
	s_mov_b32 s9, -1
                                        ; implicit-def: $vgpr12_vgpr13
.LBB143_2383:
	s_delay_alu instid0(SALU_CYCLE_1)
	s_and_not1_b32 vcc_lo, exec_lo, s9
	s_cbranch_vccnz .LBB143_2385
; %bb.2384:
	global_load_b32 v1, v[32:33], off
	s_wait_loadcnt 0x0
	s_wait_xcnt 0x1
	v_cvt_f64_f32_e32 v[12:13], v1
.LBB143_2385:
	s_mov_b32 s9, 0
.LBB143_2386:
	s_delay_alu instid0(SALU_CYCLE_1)
	s_and_not1_b32 vcc_lo, exec_lo, s9
	s_cbranch_vccnz .LBB143_2388
; %bb.2387:
	global_load_u16 v1, v[32:33], off
	s_wait_loadcnt 0x0
	v_cvt_f32_f16_e32 v1, v1
	s_wait_xcnt 0x1
	s_delay_alu instid0(VALU_DEP_1)
	v_cvt_f64_f32_e32 v[12:13], v1
.LBB143_2388:
	s_cbranch_execnz .LBB143_2408
.LBB143_2389:
	s_cmp_lt_i32 s8, 2
	s_cbranch_scc1 .LBB143_2393
; %bb.2390:
	s_cmp_lt_i32 s8, 3
	s_cbranch_scc1 .LBB143_2394
; %bb.2391:
	s_cmp_gt_i32 s8, 3
	s_cbranch_scc0 .LBB143_2395
; %bb.2392:
	s_wait_loadcnt 0x0
	global_load_b64 v[12:13], v[32:33], off
	s_mov_b32 s9, 0
	s_wait_loadcnt 0x0
	v_cvt_f64_i32_e32 v[34:35], v13
	v_cvt_f64_u32_e32 v[12:13], v12
	s_delay_alu instid0(VALU_DEP_2) | instskip(NEXT) | instid1(VALU_DEP_1)
	v_ldexp_f64 v[34:35], v[34:35], 32
	v_add_f64_e32 v[12:13], v[34:35], v[12:13]
	s_branch .LBB143_2396
.LBB143_2393:
	s_mov_b32 s9, -1
                                        ; implicit-def: $vgpr12_vgpr13
	s_branch .LBB143_2402
.LBB143_2394:
	s_mov_b32 s9, -1
                                        ; implicit-def: $vgpr12_vgpr13
	s_branch .LBB143_2399
.LBB143_2395:
	s_mov_b32 s9, -1
                                        ; implicit-def: $vgpr12_vgpr13
.LBB143_2396:
	s_delay_alu instid0(SALU_CYCLE_1)
	s_and_not1_b32 vcc_lo, exec_lo, s9
	s_cbranch_vccnz .LBB143_2398
; %bb.2397:
	global_load_b32 v1, v[32:33], off
	s_wait_loadcnt 0x0
	s_wait_xcnt 0x1
	v_cvt_f64_i32_e32 v[12:13], v1
.LBB143_2398:
	s_mov_b32 s9, 0
.LBB143_2399:
	s_delay_alu instid0(SALU_CYCLE_1)
	s_and_not1_b32 vcc_lo, exec_lo, s9
	s_cbranch_vccnz .LBB143_2401
; %bb.2400:
	global_load_i16 v1, v[32:33], off
	s_wait_loadcnt 0x0
	s_wait_xcnt 0x1
	v_cvt_f64_i32_e32 v[12:13], v1
.LBB143_2401:
	s_mov_b32 s9, 0
.LBB143_2402:
	s_delay_alu instid0(SALU_CYCLE_1)
	s_and_not1_b32 vcc_lo, exec_lo, s9
	s_cbranch_vccnz .LBB143_2408
; %bb.2403:
	s_cmp_gt_i32 s8, 0
	s_mov_b32 s8, 0
	s_cbranch_scc0 .LBB143_2405
; %bb.2404:
	global_load_i8 v1, v[32:33], off
	s_wait_loadcnt 0x0
	s_wait_xcnt 0x1
	v_cvt_f64_i32_e32 v[12:13], v1
	s_branch .LBB143_2406
.LBB143_2405:
	s_mov_b32 s8, -1
                                        ; implicit-def: $vgpr12_vgpr13
.LBB143_2406:
	s_delay_alu instid0(SALU_CYCLE_1)
	s_and_not1_b32 vcc_lo, exec_lo, s8
	s_cbranch_vccnz .LBB143_2408
; %bb.2407:
	global_load_u8 v1, v[32:33], off
	s_wait_loadcnt 0x0
	s_wait_xcnt 0x1
	v_cvt_f64_u32_e32 v[12:13], v1
.LBB143_2408:
.LBB143_2409:
	s_clause 0x1
	s_load_b64 s[8:9], s[2:3], 0x1e0
	s_load_b32 s15, s[2:3], 0x1ec
	v_mov_b32_e32 v19, 0
	s_wait_kmcnt 0x0
	s_delay_alu instid0(VALU_DEP_1) | instskip(SKIP_1) | instid1(SALU_CYCLE_1)
	v_add_nc_u64_e32 v[32:33], s[8:9], v[18:19]
	s_and_b32 s15, s15, 0xff
	s_cmp_lt_i32 s15, 11
	s_cbranch_scc1 .LBB143_2416
; %bb.2410:
	s_and_b32 s16, 0xffff, s15
	s_mov_b32 s18, 0
	s_cmp_gt_i32 s16, 25
	s_cbranch_scc0 .LBB143_2418
; %bb.2411:
	s_cmp_gt_i32 s16, 28
	s_cbranch_scc0 .LBB143_2419
; %bb.2412:
	;; [unrolled: 3-line block ×4, first 2 shown]
	s_cmp_eq_u32 s16, 46
	s_mov_b32 s20, 0
	s_cbranch_scc0 .LBB143_2423
; %bb.2415:
	global_load_b32 v1, v[32:33], off
	s_mov_b32 s17, 0
	s_mov_b32 s19, -1
	s_wait_loadcnt 0x0
	v_lshlrev_b32_e32 v1, 16, v1
	s_delay_alu instid0(VALU_DEP_1)
	v_cvt_f64_f32_e32 v[18:19], v1
	s_branch .LBB143_2425
.LBB143_2416:
	s_mov_b32 s19, 0
                                        ; implicit-def: $vgpr18_vgpr19
	s_cbranch_execnz .LBB143_2491
.LBB143_2417:
	s_and_not1_b32 vcc_lo, exec_lo, s19
	s_cbranch_vccnz .LBB143_4155
	s_branch .LBB143_2539
.LBB143_2418:
	s_mov_b32 s20, -1
	s_mov_b32 s19, 0
	s_mov_b32 s17, 0
                                        ; implicit-def: $vgpr18_vgpr19
	s_branch .LBB143_2454
.LBB143_2419:
	s_mov_b32 s20, -1
	s_mov_b32 s19, 0
	s_mov_b32 s17, 0
                                        ; implicit-def: $vgpr18_vgpr19
	s_branch .LBB143_2435
.LBB143_2420:
	s_mov_b32 s20, -1
	s_mov_b32 s19, 0
	s_mov_b32 s17, 0
                                        ; implicit-def: $vgpr18_vgpr19
	s_branch .LBB143_2430
.LBB143_2421:
	s_or_b32 s12, s12, exec_lo
	s_trap 2
	s_cbranch_execz .LBB143_2360
	s_branch .LBB143_2361
.LBB143_2422:
	s_mov_b32 s20, -1
	s_mov_b32 s19, 0
	s_mov_b32 s17, 0
	s_branch .LBB143_2424
.LBB143_2423:
	s_mov_b32 s17, -1
	s_mov_b32 s19, 0
.LBB143_2424:
                                        ; implicit-def: $vgpr18_vgpr19
.LBB143_2425:
	s_and_b32 vcc_lo, exec_lo, s20
	s_cbranch_vccz .LBB143_2429
; %bb.2426:
	s_cmp_eq_u32 s16, 44
	s_cbranch_scc0 .LBB143_2428
; %bb.2427:
	global_load_u8 v1, v[32:33], off
	s_mov_b32 s17, 0
	s_mov_b32 s19, -1
	s_wait_loadcnt 0x0
	v_lshlrev_b32_e32 v5, 23, v1
	v_cmp_ne_u32_e32 vcc_lo, 0xff, v1
	s_delay_alu instid0(VALU_DEP_2) | instskip(NEXT) | instid1(VALU_DEP_1)
	v_cvt_f64_f32_e32 v[18:19], v5
	v_cndmask_b32_e32 v5, 0x20000000, v18, vcc_lo
	s_delay_alu instid0(VALU_DEP_2) | instskip(SKIP_1) | instid1(VALU_DEP_2)
	v_cndmask_b32_e32 v7, 0x7ff80000, v19, vcc_lo
	v_cmp_ne_u32_e32 vcc_lo, 0, v1
	v_cndmask_b32_e32 v19, 0x38000000, v7, vcc_lo
	s_delay_alu instid0(VALU_DEP_4)
	v_cndmask_b32_e32 v18, 0, v5, vcc_lo
	s_branch .LBB143_2429
.LBB143_2428:
	s_mov_b32 s17, -1
                                        ; implicit-def: $vgpr18_vgpr19
.LBB143_2429:
	s_mov_b32 s20, 0
.LBB143_2430:
	s_delay_alu instid0(SALU_CYCLE_1)
	s_and_b32 vcc_lo, exec_lo, s20
	s_cbranch_vccz .LBB143_2434
; %bb.2431:
	s_cmp_eq_u32 s16, 29
	s_cbranch_scc0 .LBB143_2433
; %bb.2432:
	global_load_b64 v[18:19], v[32:33], off
	s_mov_b32 s17, 0
	s_mov_b32 s19, -1
	s_mov_b32 s20, 0
	s_wait_loadcnt 0x0
	v_cvt_f64_u32_e32 v[34:35], v19
	v_cvt_f64_u32_e32 v[18:19], v18
	s_delay_alu instid0(VALU_DEP_2) | instskip(NEXT) | instid1(VALU_DEP_1)
	v_ldexp_f64 v[34:35], v[34:35], 32
	v_add_f64_e32 v[18:19], v[34:35], v[18:19]
	s_branch .LBB143_2435
.LBB143_2433:
	s_mov_b32 s17, -1
                                        ; implicit-def: $vgpr18_vgpr19
.LBB143_2434:
	s_mov_b32 s20, 0
.LBB143_2435:
	s_delay_alu instid0(SALU_CYCLE_1)
	s_and_b32 vcc_lo, exec_lo, s20
	s_cbranch_vccz .LBB143_2453
; %bb.2436:
	s_cmp_lt_i32 s16, 27
	s_cbranch_scc1 .LBB143_2439
; %bb.2437:
	s_cmp_gt_i32 s16, 27
	s_cbranch_scc0 .LBB143_2440
; %bb.2438:
	global_load_b32 v1, v[32:33], off
	s_mov_b32 s19, 0
	s_wait_loadcnt 0x0
	v_cvt_f64_u32_e32 v[18:19], v1
	s_branch .LBB143_2441
.LBB143_2439:
	s_mov_b32 s19, -1
                                        ; implicit-def: $vgpr18_vgpr19
	s_branch .LBB143_2444
.LBB143_2440:
	s_mov_b32 s19, -1
                                        ; implicit-def: $vgpr18_vgpr19
.LBB143_2441:
	s_delay_alu instid0(SALU_CYCLE_1)
	s_and_not1_b32 vcc_lo, exec_lo, s19
	s_cbranch_vccnz .LBB143_2443
; %bb.2442:
	global_load_u16 v1, v[32:33], off
	s_wait_loadcnt 0x0
	v_cvt_f64_u32_e32 v[18:19], v1
.LBB143_2443:
	s_mov_b32 s19, 0
.LBB143_2444:
	s_delay_alu instid0(SALU_CYCLE_1)
	s_and_not1_b32 vcc_lo, exec_lo, s19
	s_cbranch_vccnz .LBB143_2452
; %bb.2445:
	global_load_u8 v1, v[32:33], off
	s_mov_b32 s19, 0
	s_mov_b32 s20, exec_lo
	s_wait_loadcnt 0x0
	v_cmpx_lt_i16_e32 0x7f, v1
	s_xor_b32 s20, exec_lo, s20
	s_cbranch_execz .LBB143_2466
; %bb.2446:
	s_mov_b32 s19, -1
	s_mov_b32 s21, exec_lo
	v_cmpx_eq_u16_e32 0x80, v1
; %bb.2447:
	s_xor_b32 s19, exec_lo, -1
; %bb.2448:
	s_or_b32 exec_lo, exec_lo, s21
	s_delay_alu instid0(SALU_CYCLE_1)
	s_and_b32 s19, s19, exec_lo
	s_or_saveexec_b32 s20, s20
	v_mov_b64_e32 v[18:19], 0x7ff8000020000000
	s_xor_b32 exec_lo, exec_lo, s20
	s_cbranch_execnz .LBB143_2467
.LBB143_2449:
	s_or_b32 exec_lo, exec_lo, s20
	s_and_saveexec_b32 s20, s19
	s_cbranch_execz .LBB143_2451
.LBB143_2450:
	v_and_b32_e32 v5, 0xffff, v1
	v_lshlrev_b32_e32 v1, 24, v1
	s_delay_alu instid0(VALU_DEP_2) | instskip(SKIP_1) | instid1(VALU_DEP_3)
	v_and_b32_e32 v7, 7, v5
	v_bfe_u32 v15, v5, 3, 4
	v_and_b32_e32 v1, 0x80000000, v1
	s_delay_alu instid0(VALU_DEP_3) | instskip(NEXT) | instid1(VALU_DEP_3)
	v_clz_i32_u32_e32 v9, v7
	v_cmp_eq_u32_e32 vcc_lo, 0, v15
	s_delay_alu instid0(VALU_DEP_2) | instskip(NEXT) | instid1(VALU_DEP_1)
	v_min_u32_e32 v9, 32, v9
	v_subrev_nc_u32_e32 v11, 28, v9
	v_sub_nc_u32_e32 v9, 29, v9
	s_delay_alu instid0(VALU_DEP_2) | instskip(NEXT) | instid1(VALU_DEP_2)
	v_lshlrev_b32_e32 v5, v11, v5
	v_cndmask_b32_e32 v9, v15, v9, vcc_lo
	s_delay_alu instid0(VALU_DEP_2) | instskip(NEXT) | instid1(VALU_DEP_1)
	v_and_b32_e32 v5, 7, v5
	v_cndmask_b32_e32 v5, v7, v5, vcc_lo
	s_delay_alu instid0(VALU_DEP_3) | instskip(NEXT) | instid1(VALU_DEP_2)
	v_lshl_add_u32 v7, v9, 23, 0x3b800000
	v_lshlrev_b32_e32 v5, 20, v5
	s_delay_alu instid0(VALU_DEP_1) | instskip(NEXT) | instid1(VALU_DEP_1)
	v_or3_b32 v1, v1, v7, v5
	v_cvt_f64_f32_e32 v[18:19], v1
.LBB143_2451:
	s_or_b32 exec_lo, exec_lo, s20
.LBB143_2452:
	s_mov_b32 s19, -1
.LBB143_2453:
	s_mov_b32 s20, 0
.LBB143_2454:
	s_delay_alu instid0(SALU_CYCLE_1)
	s_and_b32 vcc_lo, exec_lo, s20
	s_cbranch_vccz .LBB143_2487
; %bb.2455:
	s_cmp_gt_i32 s16, 22
	s_cbranch_scc0 .LBB143_2465
; %bb.2456:
	s_cmp_lt_i32 s16, 24
	s_cbranch_scc1 .LBB143_2468
; %bb.2457:
	s_cmp_gt_i32 s16, 24
	s_cbranch_scc0 .LBB143_2469
; %bb.2458:
	global_load_u8 v1, v[32:33], off
	s_mov_b32 s19, exec_lo
	s_wait_loadcnt 0x0
	v_cmpx_lt_i16_e32 0x7f, v1
	s_xor_b32 s19, exec_lo, s19
	s_cbranch_execz .LBB143_2481
; %bb.2459:
	s_mov_b32 s18, -1
	s_mov_b32 s20, exec_lo
	v_cmpx_eq_u16_e32 0x80, v1
; %bb.2460:
	s_xor_b32 s18, exec_lo, -1
; %bb.2461:
	s_or_b32 exec_lo, exec_lo, s20
	s_delay_alu instid0(SALU_CYCLE_1)
	s_and_b32 s18, s18, exec_lo
	s_or_saveexec_b32 s19, s19
	v_mov_b64_e32 v[18:19], 0x7ff8000020000000
	s_xor_b32 exec_lo, exec_lo, s19
	s_cbranch_execnz .LBB143_2482
.LBB143_2462:
	s_or_b32 exec_lo, exec_lo, s19
	s_and_saveexec_b32 s19, s18
	s_cbranch_execz .LBB143_2464
.LBB143_2463:
	v_and_b32_e32 v5, 0xffff, v1
	v_lshlrev_b32_e32 v1, 24, v1
	s_delay_alu instid0(VALU_DEP_2) | instskip(SKIP_1) | instid1(VALU_DEP_3)
	v_and_b32_e32 v7, 3, v5
	v_bfe_u32 v15, v5, 2, 5
	v_and_b32_e32 v1, 0x80000000, v1
	s_delay_alu instid0(VALU_DEP_3) | instskip(NEXT) | instid1(VALU_DEP_3)
	v_clz_i32_u32_e32 v9, v7
	v_cmp_eq_u32_e32 vcc_lo, 0, v15
	s_delay_alu instid0(VALU_DEP_2) | instskip(NEXT) | instid1(VALU_DEP_1)
	v_min_u32_e32 v9, 32, v9
	v_subrev_nc_u32_e32 v11, 29, v9
	v_sub_nc_u32_e32 v9, 30, v9
	s_delay_alu instid0(VALU_DEP_2) | instskip(NEXT) | instid1(VALU_DEP_2)
	v_lshlrev_b32_e32 v5, v11, v5
	v_cndmask_b32_e32 v9, v15, v9, vcc_lo
	s_delay_alu instid0(VALU_DEP_2) | instskip(NEXT) | instid1(VALU_DEP_1)
	v_and_b32_e32 v5, 3, v5
	v_cndmask_b32_e32 v5, v7, v5, vcc_lo
	s_delay_alu instid0(VALU_DEP_3) | instskip(NEXT) | instid1(VALU_DEP_2)
	v_lshl_add_u32 v7, v9, 23, 0x37800000
	v_lshlrev_b32_e32 v5, 21, v5
	s_delay_alu instid0(VALU_DEP_1) | instskip(NEXT) | instid1(VALU_DEP_1)
	v_or3_b32 v1, v1, v7, v5
	v_cvt_f64_f32_e32 v[18:19], v1
.LBB143_2464:
	s_or_b32 exec_lo, exec_lo, s19
	s_mov_b32 s18, 0
	s_branch .LBB143_2470
.LBB143_2465:
	s_mov_b32 s18, -1
                                        ; implicit-def: $vgpr18_vgpr19
	s_branch .LBB143_2476
.LBB143_2466:
	s_or_saveexec_b32 s20, s20
	v_mov_b64_e32 v[18:19], 0x7ff8000020000000
	s_xor_b32 exec_lo, exec_lo, s20
	s_cbranch_execz .LBB143_2449
.LBB143_2467:
	v_cmp_ne_u16_e32 vcc_lo, 0, v1
	v_mov_b64_e32 v[18:19], 0
	s_and_not1_b32 s19, s19, exec_lo
	s_and_b32 s21, vcc_lo, exec_lo
	s_delay_alu instid0(SALU_CYCLE_1)
	s_or_b32 s19, s19, s21
	s_or_b32 exec_lo, exec_lo, s20
	s_and_saveexec_b32 s20, s19
	s_cbranch_execnz .LBB143_2450
	s_branch .LBB143_2451
.LBB143_2468:
	s_mov_b32 s18, -1
                                        ; implicit-def: $vgpr18_vgpr19
	s_branch .LBB143_2473
.LBB143_2469:
	s_mov_b32 s18, -1
                                        ; implicit-def: $vgpr18_vgpr19
.LBB143_2470:
	s_delay_alu instid0(SALU_CYCLE_1)
	s_and_b32 vcc_lo, exec_lo, s18
	s_cbranch_vccz .LBB143_2472
; %bb.2471:
	global_load_u8 v1, v[32:33], off
	s_wait_loadcnt 0x0
	v_lshlrev_b32_e32 v1, 24, v1
	s_delay_alu instid0(VALU_DEP_1) | instskip(NEXT) | instid1(VALU_DEP_1)
	v_and_b32_e32 v5, 0x7f000000, v1
	v_clz_i32_u32_e32 v7, v5
	v_cmp_ne_u32_e32 vcc_lo, 0, v5
	v_add_nc_u32_e32 v11, 0x1000000, v5
	s_delay_alu instid0(VALU_DEP_3) | instskip(NEXT) | instid1(VALU_DEP_1)
	v_min_u32_e32 v7, 32, v7
	v_sub_nc_u32_e64 v7, v7, 4 clamp
	s_delay_alu instid0(VALU_DEP_1) | instskip(NEXT) | instid1(VALU_DEP_1)
	v_dual_lshlrev_b32 v9, v7, v5 :: v_dual_lshlrev_b32 v7, 23, v7
	v_lshrrev_b32_e32 v9, 4, v9
	s_delay_alu instid0(VALU_DEP_1) | instskip(SKIP_1) | instid1(VALU_DEP_2)
	v_sub_nc_u32_e32 v7, v9, v7
	v_ashrrev_i32_e32 v9, 8, v11
	v_add_nc_u32_e32 v7, 0x3c000000, v7
	s_delay_alu instid0(VALU_DEP_1) | instskip(NEXT) | instid1(VALU_DEP_1)
	v_and_or_b32 v7, 0x7f800000, v9, v7
	v_cndmask_b32_e32 v5, 0, v7, vcc_lo
	s_delay_alu instid0(VALU_DEP_1) | instskip(NEXT) | instid1(VALU_DEP_1)
	v_and_or_b32 v1, 0x80000000, v1, v5
	v_cvt_f64_f32_e32 v[18:19], v1
.LBB143_2472:
	s_mov_b32 s18, 0
.LBB143_2473:
	s_delay_alu instid0(SALU_CYCLE_1)
	s_and_not1_b32 vcc_lo, exec_lo, s18
	s_cbranch_vccnz .LBB143_2475
; %bb.2474:
	global_load_u8 v1, v[32:33], off
	s_wait_loadcnt 0x0
	v_lshlrev_b32_e32 v5, 25, v1
	v_lshlrev_b16 v1, 8, v1
	s_delay_alu instid0(VALU_DEP_2) | instskip(NEXT) | instid1(VALU_DEP_2)
	v_lshrrev_b32_e32 v7, 4, v5
	v_and_or_b32 v9, 0x7f00, v1, 0.5
	v_cmp_gt_u32_e32 vcc_lo, 0x8000000, v5
	v_bfe_i32 v1, v1, 0, 16
	s_delay_alu instid0(VALU_DEP_4) | instskip(NEXT) | instid1(VALU_DEP_4)
	v_or_b32_e32 v7, 0x70000000, v7
	v_add_f32_e32 v9, -0.5, v9
	s_delay_alu instid0(VALU_DEP_2) | instskip(NEXT) | instid1(VALU_DEP_1)
	v_mul_f32_e32 v7, 0x7800000, v7
	v_cndmask_b32_e32 v5, v7, v9, vcc_lo
	s_delay_alu instid0(VALU_DEP_1) | instskip(NEXT) | instid1(VALU_DEP_1)
	v_and_or_b32 v1, 0x80000000, v1, v5
	v_cvt_f64_f32_e32 v[18:19], v1
.LBB143_2475:
	s_mov_b32 s18, 0
	s_mov_b32 s19, -1
.LBB143_2476:
	s_and_not1_b32 vcc_lo, exec_lo, s18
	s_mov_b32 s18, 0
	s_cbranch_vccnz .LBB143_2487
; %bb.2477:
	s_cmp_gt_i32 s16, 14
	s_cbranch_scc0 .LBB143_2480
; %bb.2478:
	s_cmp_eq_u32 s16, 15
	s_cbranch_scc0 .LBB143_2483
; %bb.2479:
	global_load_u16 v1, v[32:33], off
	s_mov_b32 s17, 0
	s_mov_b32 s19, -1
	s_wait_loadcnt 0x0
	v_lshlrev_b32_e32 v1, 16, v1
	s_delay_alu instid0(VALU_DEP_1)
	v_cvt_f64_f32_e32 v[18:19], v1
	s_branch .LBB143_2485
.LBB143_2480:
	s_mov_b32 s18, -1
	s_branch .LBB143_2484
.LBB143_2481:
	s_or_saveexec_b32 s19, s19
	v_mov_b64_e32 v[18:19], 0x7ff8000020000000
	s_xor_b32 exec_lo, exec_lo, s19
	s_cbranch_execz .LBB143_2462
.LBB143_2482:
	v_cmp_ne_u16_e32 vcc_lo, 0, v1
	v_mov_b64_e32 v[18:19], 0
	s_and_not1_b32 s18, s18, exec_lo
	s_and_b32 s20, vcc_lo, exec_lo
	s_delay_alu instid0(SALU_CYCLE_1)
	s_or_b32 s18, s18, s20
	s_or_b32 exec_lo, exec_lo, s19
	s_and_saveexec_b32 s19, s18
	s_cbranch_execnz .LBB143_2463
	s_branch .LBB143_2464
.LBB143_2483:
	s_mov_b32 s17, -1
.LBB143_2484:
                                        ; implicit-def: $vgpr18_vgpr19
.LBB143_2485:
	s_and_b32 vcc_lo, exec_lo, s18
	s_mov_b32 s18, 0
	s_cbranch_vccz .LBB143_2487
; %bb.2486:
	s_cmp_lg_u32 s16, 11
	s_mov_b32 s18, -1
	s_cselect_b32 s17, -1, 0
.LBB143_2487:
	s_delay_alu instid0(SALU_CYCLE_1)
	s_and_b32 vcc_lo, exec_lo, s17
	s_cbranch_vccnz .LBB143_2550
; %bb.2488:
	s_and_not1_b32 vcc_lo, exec_lo, s18
	s_cbranch_vccnz .LBB143_2490
.LBB143_2489:
	global_load_u8 v1, v[32:33], off
	v_mov_b32_e32 v18, 0
	s_mov_b32 s19, -1
	s_wait_loadcnt 0x0
	v_cmp_ne_u16_e32 vcc_lo, 0, v1
	v_cndmask_b32_e64 v19, 0, 0x3ff00000, vcc_lo
.LBB143_2490:
	s_branch .LBB143_2417
.LBB143_2491:
	s_and_b32 s16, 0xffff, s15
	s_delay_alu instid0(SALU_CYCLE_1)
	s_cmp_lt_i32 s16, 5
	s_cbranch_scc1 .LBB143_2496
; %bb.2492:
	s_cmp_lt_i32 s16, 8
	s_cbranch_scc1 .LBB143_2497
; %bb.2493:
	;; [unrolled: 3-line block ×3, first 2 shown]
	s_cmp_gt_i32 s16, 9
	s_cbranch_scc0 .LBB143_2499
; %bb.2495:
	global_load_b64 v[18:19], v[32:33], off
	s_mov_b32 s17, 0
	s_branch .LBB143_2500
.LBB143_2496:
	s_mov_b32 s17, -1
                                        ; implicit-def: $vgpr18_vgpr19
	s_branch .LBB143_2518
.LBB143_2497:
	s_mov_b32 s17, -1
                                        ; implicit-def: $vgpr18_vgpr19
	s_branch .LBB143_2506
.LBB143_2498:
	s_mov_b32 s17, -1
                                        ; implicit-def: $vgpr18_vgpr19
	s_branch .LBB143_2503
.LBB143_2499:
	s_mov_b32 s17, -1
                                        ; implicit-def: $vgpr18_vgpr19
.LBB143_2500:
	s_delay_alu instid0(SALU_CYCLE_1)
	s_and_not1_b32 vcc_lo, exec_lo, s17
	s_cbranch_vccnz .LBB143_2502
; %bb.2501:
	global_load_b32 v1, v[32:33], off
	s_wait_loadcnt 0x0
	v_cvt_f64_f32_e32 v[18:19], v1
.LBB143_2502:
	s_mov_b32 s17, 0
.LBB143_2503:
	s_delay_alu instid0(SALU_CYCLE_1)
	s_and_not1_b32 vcc_lo, exec_lo, s17
	s_cbranch_vccnz .LBB143_2505
; %bb.2504:
	global_load_b32 v1, v[32:33], off
	s_wait_loadcnt 0x0
	v_cvt_f32_f16_e32 v1, v1
	s_delay_alu instid0(VALU_DEP_1)
	v_cvt_f64_f32_e32 v[18:19], v1
.LBB143_2505:
	s_mov_b32 s17, 0
.LBB143_2506:
	s_delay_alu instid0(SALU_CYCLE_1)
	s_and_not1_b32 vcc_lo, exec_lo, s17
	s_cbranch_vccnz .LBB143_2517
; %bb.2507:
	s_cmp_lt_i32 s16, 6
	s_cbranch_scc1 .LBB143_2510
; %bb.2508:
	s_cmp_gt_i32 s16, 6
	s_cbranch_scc0 .LBB143_2511
; %bb.2509:
	s_wait_loadcnt 0x0
	global_load_b64 v[18:19], v[32:33], off
	s_mov_b32 s17, 0
	s_branch .LBB143_2512
.LBB143_2510:
	s_mov_b32 s17, -1
                                        ; implicit-def: $vgpr18_vgpr19
	s_branch .LBB143_2515
.LBB143_2511:
	s_mov_b32 s17, -1
                                        ; implicit-def: $vgpr18_vgpr19
.LBB143_2512:
	s_delay_alu instid0(SALU_CYCLE_1)
	s_and_not1_b32 vcc_lo, exec_lo, s17
	s_cbranch_vccnz .LBB143_2514
; %bb.2513:
	global_load_b32 v1, v[32:33], off
	s_wait_loadcnt 0x0
	v_cvt_f64_f32_e32 v[18:19], v1
.LBB143_2514:
	s_mov_b32 s17, 0
.LBB143_2515:
	s_delay_alu instid0(SALU_CYCLE_1)
	s_and_not1_b32 vcc_lo, exec_lo, s17
	s_cbranch_vccnz .LBB143_2517
; %bb.2516:
	global_load_u16 v1, v[32:33], off
	s_wait_loadcnt 0x0
	v_cvt_f32_f16_e32 v1, v1
	s_delay_alu instid0(VALU_DEP_1)
	v_cvt_f64_f32_e32 v[18:19], v1
.LBB143_2517:
	s_mov_b32 s17, 0
.LBB143_2518:
	s_delay_alu instid0(SALU_CYCLE_1)
	s_and_not1_b32 vcc_lo, exec_lo, s17
	s_cbranch_vccnz .LBB143_2538
; %bb.2519:
	s_cmp_lt_i32 s16, 2
	s_cbranch_scc1 .LBB143_2523
; %bb.2520:
	s_cmp_lt_i32 s16, 3
	s_cbranch_scc1 .LBB143_2524
; %bb.2521:
	s_cmp_gt_i32 s16, 3
	s_cbranch_scc0 .LBB143_2525
; %bb.2522:
	s_wait_loadcnt 0x0
	global_load_b64 v[18:19], v[32:33], off
	s_mov_b32 s17, 0
	s_wait_loadcnt 0x0
	v_cvt_f64_i32_e32 v[34:35], v19
	v_cvt_f64_u32_e32 v[18:19], v18
	s_delay_alu instid0(VALU_DEP_2) | instskip(NEXT) | instid1(VALU_DEP_1)
	v_ldexp_f64 v[34:35], v[34:35], 32
	v_add_f64_e32 v[18:19], v[34:35], v[18:19]
	s_branch .LBB143_2526
.LBB143_2523:
	s_mov_b32 s17, -1
                                        ; implicit-def: $vgpr18_vgpr19
	s_branch .LBB143_2532
.LBB143_2524:
	s_mov_b32 s17, -1
                                        ; implicit-def: $vgpr18_vgpr19
	s_branch .LBB143_2529
.LBB143_2525:
	s_mov_b32 s17, -1
                                        ; implicit-def: $vgpr18_vgpr19
.LBB143_2526:
	s_delay_alu instid0(SALU_CYCLE_1)
	s_and_not1_b32 vcc_lo, exec_lo, s17
	s_cbranch_vccnz .LBB143_2528
; %bb.2527:
	global_load_b32 v1, v[32:33], off
	s_wait_loadcnt 0x0
	v_cvt_f64_i32_e32 v[18:19], v1
.LBB143_2528:
	s_mov_b32 s17, 0
.LBB143_2529:
	s_delay_alu instid0(SALU_CYCLE_1)
	s_and_not1_b32 vcc_lo, exec_lo, s17
	s_cbranch_vccnz .LBB143_2531
; %bb.2530:
	global_load_i16 v1, v[32:33], off
	s_wait_loadcnt 0x0
	v_cvt_f64_i32_e32 v[18:19], v1
.LBB143_2531:
	s_mov_b32 s17, 0
.LBB143_2532:
	s_delay_alu instid0(SALU_CYCLE_1)
	s_and_not1_b32 vcc_lo, exec_lo, s17
	s_cbranch_vccnz .LBB143_2538
; %bb.2533:
	s_cmp_gt_i32 s16, 0
	s_mov_b32 s16, 0
	s_cbranch_scc0 .LBB143_2535
; %bb.2534:
	global_load_i8 v1, v[32:33], off
	s_wait_loadcnt 0x0
	v_cvt_f64_i32_e32 v[18:19], v1
	s_branch .LBB143_2536
.LBB143_2535:
	s_mov_b32 s16, -1
                                        ; implicit-def: $vgpr18_vgpr19
.LBB143_2536:
	s_delay_alu instid0(SALU_CYCLE_1)
	s_and_not1_b32 vcc_lo, exec_lo, s16
	s_cbranch_vccnz .LBB143_2538
; %bb.2537:
	global_load_u8 v1, v[32:33], off
	s_wait_loadcnt 0x0
	v_cvt_f64_u32_e32 v[18:19], v1
.LBB143_2538:
.LBB143_2539:
	v_mov_b32_e32 v17, 0
	s_and_b32 s13, 0xffff, s13
	s_delay_alu instid0(SALU_CYCLE_1) | instskip(SKIP_1) | instid1(VALU_DEP_1)
	s_cmp_lt_i32 s13, 11
	s_wait_xcnt 0x0
	v_add_nc_u64_e32 v[32:33], s[6:7], v[16:17]
	s_cbranch_scc1 .LBB143_2546
; %bb.2540:
	s_cmp_gt_i32 s13, 25
	s_mov_b32 s17, 0
	s_cbranch_scc0 .LBB143_2547
; %bb.2541:
	s_cmp_gt_i32 s13, 28
	s_cbranch_scc0 .LBB143_2548
; %bb.2542:
	s_cmp_gt_i32 s13, 43
	;; [unrolled: 3-line block ×3, first 2 shown]
	s_cbranch_scc0 .LBB143_2551
; %bb.2544:
	s_cmp_eq_u32 s13, 46
	s_mov_b32 s19, 0
	s_cbranch_scc0 .LBB143_2552
; %bb.2545:
	global_load_b32 v1, v[32:33], off
	s_mov_b32 s16, 0
	s_mov_b32 s18, -1
	s_wait_loadcnt 0x0
	v_lshlrev_b32_e32 v1, 16, v1
	s_delay_alu instid0(VALU_DEP_1)
	v_cvt_f64_f32_e32 v[16:17], v1
	s_branch .LBB143_2554
.LBB143_2546:
	s_mov_b32 s16, -1
	s_mov_b32 s18, 0
                                        ; implicit-def: $vgpr16_vgpr17
	s_branch .LBB143_2620
.LBB143_2547:
	s_mov_b32 s19, -1
	s_mov_b32 s18, 0
	s_mov_b32 s16, 0
                                        ; implicit-def: $vgpr16_vgpr17
	s_branch .LBB143_2583
.LBB143_2548:
	s_mov_b32 s19, -1
	s_mov_b32 s18, 0
	s_mov_b32 s16, 0
                                        ; implicit-def: $vgpr16_vgpr17
	s_branch .LBB143_2564
.LBB143_2549:
	s_mov_b32 s19, -1
	s_mov_b32 s18, 0
	s_mov_b32 s16, 0
                                        ; implicit-def: $vgpr16_vgpr17
	s_branch .LBB143_2559
.LBB143_2550:
	s_or_b32 s12, s12, exec_lo
	s_trap 2
	s_cbranch_execz .LBB143_2489
	s_branch .LBB143_2490
.LBB143_2551:
	s_mov_b32 s19, -1
	s_mov_b32 s18, 0
	s_mov_b32 s16, 0
	s_branch .LBB143_2553
.LBB143_2552:
	s_mov_b32 s16, -1
	s_mov_b32 s18, 0
.LBB143_2553:
                                        ; implicit-def: $vgpr16_vgpr17
.LBB143_2554:
	s_and_b32 vcc_lo, exec_lo, s19
	s_cbranch_vccz .LBB143_2558
; %bb.2555:
	s_cmp_eq_u32 s13, 44
	s_cbranch_scc0 .LBB143_2557
; %bb.2556:
	global_load_u8 v1, v[32:33], off
	s_mov_b32 s16, 0
	s_mov_b32 s18, -1
	s_wait_loadcnt 0x0
	v_lshlrev_b32_e32 v5, 23, v1
	v_cmp_ne_u32_e32 vcc_lo, 0xff, v1
	s_delay_alu instid0(VALU_DEP_2) | instskip(NEXT) | instid1(VALU_DEP_1)
	v_cvt_f64_f32_e32 v[16:17], v5
	v_cndmask_b32_e32 v5, 0x20000000, v16, vcc_lo
	s_delay_alu instid0(VALU_DEP_2) | instskip(SKIP_1) | instid1(VALU_DEP_2)
	v_cndmask_b32_e32 v7, 0x7ff80000, v17, vcc_lo
	v_cmp_ne_u32_e32 vcc_lo, 0, v1
	v_cndmask_b32_e32 v17, 0x38000000, v7, vcc_lo
	s_delay_alu instid0(VALU_DEP_4)
	v_cndmask_b32_e32 v16, 0, v5, vcc_lo
	s_branch .LBB143_2558
.LBB143_2557:
	s_mov_b32 s16, -1
                                        ; implicit-def: $vgpr16_vgpr17
.LBB143_2558:
	s_mov_b32 s19, 0
.LBB143_2559:
	s_delay_alu instid0(SALU_CYCLE_1)
	s_and_b32 vcc_lo, exec_lo, s19
	s_cbranch_vccz .LBB143_2563
; %bb.2560:
	s_cmp_eq_u32 s13, 29
	s_cbranch_scc0 .LBB143_2562
; %bb.2561:
	global_load_b64 v[16:17], v[32:33], off
	s_mov_b32 s16, 0
	s_mov_b32 s18, -1
	s_mov_b32 s19, 0
	s_wait_loadcnt 0x0
	v_cvt_f64_u32_e32 v[34:35], v17
	v_cvt_f64_u32_e32 v[16:17], v16
	s_delay_alu instid0(VALU_DEP_2) | instskip(NEXT) | instid1(VALU_DEP_1)
	v_ldexp_f64 v[34:35], v[34:35], 32
	v_add_f64_e32 v[16:17], v[34:35], v[16:17]
	s_branch .LBB143_2564
.LBB143_2562:
	s_mov_b32 s16, -1
                                        ; implicit-def: $vgpr16_vgpr17
.LBB143_2563:
	s_mov_b32 s19, 0
.LBB143_2564:
	s_delay_alu instid0(SALU_CYCLE_1)
	s_and_b32 vcc_lo, exec_lo, s19
	s_cbranch_vccz .LBB143_2582
; %bb.2565:
	s_cmp_lt_i32 s13, 27
	s_cbranch_scc1 .LBB143_2568
; %bb.2566:
	s_cmp_gt_i32 s13, 27
	s_cbranch_scc0 .LBB143_2569
; %bb.2567:
	global_load_b32 v1, v[32:33], off
	s_mov_b32 s18, 0
	s_wait_loadcnt 0x0
	v_cvt_f64_u32_e32 v[16:17], v1
	s_branch .LBB143_2570
.LBB143_2568:
	s_mov_b32 s18, -1
                                        ; implicit-def: $vgpr16_vgpr17
	s_branch .LBB143_2573
.LBB143_2569:
	s_mov_b32 s18, -1
                                        ; implicit-def: $vgpr16_vgpr17
.LBB143_2570:
	s_delay_alu instid0(SALU_CYCLE_1)
	s_and_not1_b32 vcc_lo, exec_lo, s18
	s_cbranch_vccnz .LBB143_2572
; %bb.2571:
	global_load_u16 v1, v[32:33], off
	s_wait_loadcnt 0x0
	v_cvt_f64_u32_e32 v[16:17], v1
.LBB143_2572:
	s_mov_b32 s18, 0
.LBB143_2573:
	s_delay_alu instid0(SALU_CYCLE_1)
	s_and_not1_b32 vcc_lo, exec_lo, s18
	s_cbranch_vccnz .LBB143_2581
; %bb.2574:
	global_load_u8 v1, v[32:33], off
	s_mov_b32 s18, 0
	s_mov_b32 s19, exec_lo
	s_wait_loadcnt 0x0
	v_cmpx_lt_i16_e32 0x7f, v1
	s_xor_b32 s19, exec_lo, s19
	s_cbranch_execz .LBB143_2595
; %bb.2575:
	s_mov_b32 s18, -1
	s_mov_b32 s20, exec_lo
	v_cmpx_eq_u16_e32 0x80, v1
; %bb.2576:
	s_xor_b32 s18, exec_lo, -1
; %bb.2577:
	s_or_b32 exec_lo, exec_lo, s20
	s_delay_alu instid0(SALU_CYCLE_1)
	s_and_b32 s18, s18, exec_lo
	s_or_saveexec_b32 s19, s19
	v_mov_b64_e32 v[16:17], 0x7ff8000020000000
	s_xor_b32 exec_lo, exec_lo, s19
	s_cbranch_execnz .LBB143_2596
.LBB143_2578:
	s_or_b32 exec_lo, exec_lo, s19
	s_and_saveexec_b32 s19, s18
	s_cbranch_execz .LBB143_2580
.LBB143_2579:
	v_and_b32_e32 v5, 0xffff, v1
	v_lshlrev_b32_e32 v1, 24, v1
	s_delay_alu instid0(VALU_DEP_2) | instskip(SKIP_1) | instid1(VALU_DEP_3)
	v_and_b32_e32 v7, 7, v5
	v_bfe_u32 v15, v5, 3, 4
	v_and_b32_e32 v1, 0x80000000, v1
	s_delay_alu instid0(VALU_DEP_3) | instskip(NEXT) | instid1(VALU_DEP_3)
	v_clz_i32_u32_e32 v9, v7
	v_cmp_eq_u32_e32 vcc_lo, 0, v15
	s_delay_alu instid0(VALU_DEP_2) | instskip(NEXT) | instid1(VALU_DEP_1)
	v_min_u32_e32 v9, 32, v9
	v_subrev_nc_u32_e32 v11, 28, v9
	v_sub_nc_u32_e32 v9, 29, v9
	s_delay_alu instid0(VALU_DEP_2) | instskip(NEXT) | instid1(VALU_DEP_2)
	v_lshlrev_b32_e32 v5, v11, v5
	v_cndmask_b32_e32 v9, v15, v9, vcc_lo
	s_delay_alu instid0(VALU_DEP_2) | instskip(NEXT) | instid1(VALU_DEP_1)
	v_and_b32_e32 v5, 7, v5
	v_cndmask_b32_e32 v5, v7, v5, vcc_lo
	s_delay_alu instid0(VALU_DEP_3) | instskip(NEXT) | instid1(VALU_DEP_2)
	v_lshl_add_u32 v7, v9, 23, 0x3b800000
	v_lshlrev_b32_e32 v5, 20, v5
	s_delay_alu instid0(VALU_DEP_1) | instskip(NEXT) | instid1(VALU_DEP_1)
	v_or3_b32 v1, v1, v7, v5
	v_cvt_f64_f32_e32 v[16:17], v1
.LBB143_2580:
	s_or_b32 exec_lo, exec_lo, s19
.LBB143_2581:
	s_mov_b32 s18, -1
.LBB143_2582:
	s_mov_b32 s19, 0
.LBB143_2583:
	s_delay_alu instid0(SALU_CYCLE_1)
	s_and_b32 vcc_lo, exec_lo, s19
	s_cbranch_vccz .LBB143_2616
; %bb.2584:
	s_cmp_gt_i32 s13, 22
	s_cbranch_scc0 .LBB143_2594
; %bb.2585:
	s_cmp_lt_i32 s13, 24
	s_cbranch_scc1 .LBB143_2597
; %bb.2586:
	s_cmp_gt_i32 s13, 24
	s_cbranch_scc0 .LBB143_2598
; %bb.2587:
	global_load_u8 v1, v[32:33], off
	s_mov_b32 s18, exec_lo
	s_wait_loadcnt 0x0
	v_cmpx_lt_i16_e32 0x7f, v1
	s_xor_b32 s18, exec_lo, s18
	s_cbranch_execz .LBB143_2610
; %bb.2588:
	s_mov_b32 s17, -1
	s_mov_b32 s19, exec_lo
	v_cmpx_eq_u16_e32 0x80, v1
; %bb.2589:
	s_xor_b32 s17, exec_lo, -1
; %bb.2590:
	s_or_b32 exec_lo, exec_lo, s19
	s_delay_alu instid0(SALU_CYCLE_1)
	s_and_b32 s17, s17, exec_lo
	s_or_saveexec_b32 s18, s18
	v_mov_b64_e32 v[16:17], 0x7ff8000020000000
	s_xor_b32 exec_lo, exec_lo, s18
	s_cbranch_execnz .LBB143_2611
.LBB143_2591:
	s_or_b32 exec_lo, exec_lo, s18
	s_and_saveexec_b32 s18, s17
	s_cbranch_execz .LBB143_2593
.LBB143_2592:
	v_and_b32_e32 v5, 0xffff, v1
	v_lshlrev_b32_e32 v1, 24, v1
	s_delay_alu instid0(VALU_DEP_2) | instskip(SKIP_1) | instid1(VALU_DEP_3)
	v_and_b32_e32 v7, 3, v5
	v_bfe_u32 v15, v5, 2, 5
	v_and_b32_e32 v1, 0x80000000, v1
	s_delay_alu instid0(VALU_DEP_3) | instskip(NEXT) | instid1(VALU_DEP_3)
	v_clz_i32_u32_e32 v9, v7
	v_cmp_eq_u32_e32 vcc_lo, 0, v15
	s_delay_alu instid0(VALU_DEP_2) | instskip(NEXT) | instid1(VALU_DEP_1)
	v_min_u32_e32 v9, 32, v9
	v_subrev_nc_u32_e32 v11, 29, v9
	v_sub_nc_u32_e32 v9, 30, v9
	s_delay_alu instid0(VALU_DEP_2) | instskip(NEXT) | instid1(VALU_DEP_2)
	v_lshlrev_b32_e32 v5, v11, v5
	v_cndmask_b32_e32 v9, v15, v9, vcc_lo
	s_delay_alu instid0(VALU_DEP_2) | instskip(NEXT) | instid1(VALU_DEP_1)
	v_and_b32_e32 v5, 3, v5
	v_cndmask_b32_e32 v5, v7, v5, vcc_lo
	s_delay_alu instid0(VALU_DEP_3) | instskip(NEXT) | instid1(VALU_DEP_2)
	v_lshl_add_u32 v7, v9, 23, 0x37800000
	v_lshlrev_b32_e32 v5, 21, v5
	s_delay_alu instid0(VALU_DEP_1) | instskip(NEXT) | instid1(VALU_DEP_1)
	v_or3_b32 v1, v1, v7, v5
	v_cvt_f64_f32_e32 v[16:17], v1
.LBB143_2593:
	s_or_b32 exec_lo, exec_lo, s18
	s_mov_b32 s17, 0
	s_branch .LBB143_2599
.LBB143_2594:
	s_mov_b32 s17, -1
                                        ; implicit-def: $vgpr16_vgpr17
	s_branch .LBB143_2605
.LBB143_2595:
	s_or_saveexec_b32 s19, s19
	v_mov_b64_e32 v[16:17], 0x7ff8000020000000
	s_xor_b32 exec_lo, exec_lo, s19
	s_cbranch_execz .LBB143_2578
.LBB143_2596:
	v_cmp_ne_u16_e32 vcc_lo, 0, v1
	v_mov_b64_e32 v[16:17], 0
	s_and_not1_b32 s18, s18, exec_lo
	s_and_b32 s20, vcc_lo, exec_lo
	s_delay_alu instid0(SALU_CYCLE_1)
	s_or_b32 s18, s18, s20
	s_or_b32 exec_lo, exec_lo, s19
	s_and_saveexec_b32 s19, s18
	s_cbranch_execnz .LBB143_2579
	s_branch .LBB143_2580
.LBB143_2597:
	s_mov_b32 s17, -1
                                        ; implicit-def: $vgpr16_vgpr17
	s_branch .LBB143_2602
.LBB143_2598:
	s_mov_b32 s17, -1
                                        ; implicit-def: $vgpr16_vgpr17
.LBB143_2599:
	s_delay_alu instid0(SALU_CYCLE_1)
	s_and_b32 vcc_lo, exec_lo, s17
	s_cbranch_vccz .LBB143_2601
; %bb.2600:
	global_load_u8 v1, v[32:33], off
	s_wait_loadcnt 0x0
	v_lshlrev_b32_e32 v1, 24, v1
	s_delay_alu instid0(VALU_DEP_1) | instskip(NEXT) | instid1(VALU_DEP_1)
	v_and_b32_e32 v5, 0x7f000000, v1
	v_clz_i32_u32_e32 v7, v5
	v_cmp_ne_u32_e32 vcc_lo, 0, v5
	v_add_nc_u32_e32 v11, 0x1000000, v5
	s_delay_alu instid0(VALU_DEP_3) | instskip(NEXT) | instid1(VALU_DEP_1)
	v_min_u32_e32 v7, 32, v7
	v_sub_nc_u32_e64 v7, v7, 4 clamp
	s_delay_alu instid0(VALU_DEP_1) | instskip(NEXT) | instid1(VALU_DEP_1)
	v_dual_lshlrev_b32 v9, v7, v5 :: v_dual_lshlrev_b32 v7, 23, v7
	v_lshrrev_b32_e32 v9, 4, v9
	s_delay_alu instid0(VALU_DEP_1) | instskip(SKIP_1) | instid1(VALU_DEP_2)
	v_sub_nc_u32_e32 v7, v9, v7
	v_ashrrev_i32_e32 v9, 8, v11
	v_add_nc_u32_e32 v7, 0x3c000000, v7
	s_delay_alu instid0(VALU_DEP_1) | instskip(NEXT) | instid1(VALU_DEP_1)
	v_and_or_b32 v7, 0x7f800000, v9, v7
	v_cndmask_b32_e32 v5, 0, v7, vcc_lo
	s_delay_alu instid0(VALU_DEP_1) | instskip(NEXT) | instid1(VALU_DEP_1)
	v_and_or_b32 v1, 0x80000000, v1, v5
	v_cvt_f64_f32_e32 v[16:17], v1
.LBB143_2601:
	s_mov_b32 s17, 0
.LBB143_2602:
	s_delay_alu instid0(SALU_CYCLE_1)
	s_and_not1_b32 vcc_lo, exec_lo, s17
	s_cbranch_vccnz .LBB143_2604
; %bb.2603:
	global_load_u8 v1, v[32:33], off
	s_wait_loadcnt 0x0
	v_lshlrev_b32_e32 v5, 25, v1
	v_lshlrev_b16 v1, 8, v1
	s_delay_alu instid0(VALU_DEP_2) | instskip(NEXT) | instid1(VALU_DEP_2)
	v_lshrrev_b32_e32 v7, 4, v5
	v_and_or_b32 v9, 0x7f00, v1, 0.5
	v_cmp_gt_u32_e32 vcc_lo, 0x8000000, v5
	v_bfe_i32 v1, v1, 0, 16
	s_delay_alu instid0(VALU_DEP_4) | instskip(NEXT) | instid1(VALU_DEP_4)
	v_or_b32_e32 v7, 0x70000000, v7
	v_add_f32_e32 v9, -0.5, v9
	s_delay_alu instid0(VALU_DEP_2) | instskip(NEXT) | instid1(VALU_DEP_1)
	v_mul_f32_e32 v7, 0x7800000, v7
	v_cndmask_b32_e32 v5, v7, v9, vcc_lo
	s_delay_alu instid0(VALU_DEP_1) | instskip(NEXT) | instid1(VALU_DEP_1)
	v_and_or_b32 v1, 0x80000000, v1, v5
	v_cvt_f64_f32_e32 v[16:17], v1
.LBB143_2604:
	s_mov_b32 s17, 0
	s_mov_b32 s18, -1
.LBB143_2605:
	s_and_not1_b32 vcc_lo, exec_lo, s17
	s_mov_b32 s17, 0
	s_cbranch_vccnz .LBB143_2616
; %bb.2606:
	s_cmp_gt_i32 s13, 14
	s_cbranch_scc0 .LBB143_2609
; %bb.2607:
	s_cmp_eq_u32 s13, 15
	s_cbranch_scc0 .LBB143_2612
; %bb.2608:
	global_load_u16 v1, v[32:33], off
	s_mov_b32 s16, 0
	s_mov_b32 s18, -1
	s_wait_loadcnt 0x0
	v_lshlrev_b32_e32 v1, 16, v1
	s_delay_alu instid0(VALU_DEP_1)
	v_cvt_f64_f32_e32 v[16:17], v1
	s_branch .LBB143_2614
.LBB143_2609:
	s_mov_b32 s17, -1
	s_branch .LBB143_2613
.LBB143_2610:
	s_or_saveexec_b32 s18, s18
	v_mov_b64_e32 v[16:17], 0x7ff8000020000000
	s_xor_b32 exec_lo, exec_lo, s18
	s_cbranch_execz .LBB143_2591
.LBB143_2611:
	v_cmp_ne_u16_e32 vcc_lo, 0, v1
	v_mov_b64_e32 v[16:17], 0
	s_and_not1_b32 s17, s17, exec_lo
	s_and_b32 s19, vcc_lo, exec_lo
	s_delay_alu instid0(SALU_CYCLE_1)
	s_or_b32 s17, s17, s19
	s_or_b32 exec_lo, exec_lo, s18
	s_and_saveexec_b32 s18, s17
	s_cbranch_execnz .LBB143_2592
	s_branch .LBB143_2593
.LBB143_2612:
	s_mov_b32 s16, -1
.LBB143_2613:
                                        ; implicit-def: $vgpr16_vgpr17
.LBB143_2614:
	s_and_b32 vcc_lo, exec_lo, s17
	s_mov_b32 s17, 0
	s_cbranch_vccz .LBB143_2616
; %bb.2615:
	s_cmp_lg_u32 s13, 11
	s_mov_b32 s17, -1
	s_cselect_b32 s16, -1, 0
.LBB143_2616:
	s_delay_alu instid0(SALU_CYCLE_1)
	s_and_b32 vcc_lo, exec_lo, s16
	s_cbranch_vccnz .LBB143_2681
; %bb.2617:
	s_and_not1_b32 vcc_lo, exec_lo, s17
	s_cbranch_vccnz .LBB143_2619
.LBB143_2618:
	global_load_u8 v1, v[32:33], off
	v_mov_b32_e32 v16, 0
	s_mov_b32 s18, -1
	s_wait_loadcnt 0x0
	v_cmp_ne_u16_e32 vcc_lo, 0, v1
	v_cndmask_b32_e64 v17, 0, 0x3ff00000, vcc_lo
.LBB143_2619:
	s_mov_b32 s16, 0
.LBB143_2620:
	s_delay_alu instid0(SALU_CYCLE_1)
	s_and_b32 vcc_lo, exec_lo, s16
	s_cbranch_vccz .LBB143_2669
; %bb.2621:
	s_cmp_lt_i32 s13, 5
	s_cbranch_scc1 .LBB143_2626
; %bb.2622:
	s_cmp_lt_i32 s13, 8
	s_cbranch_scc1 .LBB143_2627
	;; [unrolled: 3-line block ×3, first 2 shown]
; %bb.2624:
	s_cmp_gt_i32 s13, 9
	s_cbranch_scc0 .LBB143_2629
; %bb.2625:
	global_load_b64 v[16:17], v[32:33], off
	s_mov_b32 s16, 0
	s_branch .LBB143_2630
.LBB143_2626:
	s_mov_b32 s16, -1
                                        ; implicit-def: $vgpr16_vgpr17
	s_branch .LBB143_2648
.LBB143_2627:
	s_mov_b32 s16, -1
                                        ; implicit-def: $vgpr16_vgpr17
	s_branch .LBB143_2636
.LBB143_2628:
	s_mov_b32 s16, -1
                                        ; implicit-def: $vgpr16_vgpr17
	s_branch .LBB143_2633
.LBB143_2629:
	s_mov_b32 s16, -1
                                        ; implicit-def: $vgpr16_vgpr17
.LBB143_2630:
	s_delay_alu instid0(SALU_CYCLE_1)
	s_and_not1_b32 vcc_lo, exec_lo, s16
	s_cbranch_vccnz .LBB143_2632
; %bb.2631:
	global_load_b32 v1, v[32:33], off
	s_wait_loadcnt 0x0
	v_cvt_f64_f32_e32 v[16:17], v1
.LBB143_2632:
	s_mov_b32 s16, 0
.LBB143_2633:
	s_delay_alu instid0(SALU_CYCLE_1)
	s_and_not1_b32 vcc_lo, exec_lo, s16
	s_cbranch_vccnz .LBB143_2635
; %bb.2634:
	global_load_b32 v1, v[32:33], off
	s_wait_loadcnt 0x0
	v_cvt_f32_f16_e32 v1, v1
	s_delay_alu instid0(VALU_DEP_1)
	v_cvt_f64_f32_e32 v[16:17], v1
.LBB143_2635:
	s_mov_b32 s16, 0
.LBB143_2636:
	s_delay_alu instid0(SALU_CYCLE_1)
	s_and_not1_b32 vcc_lo, exec_lo, s16
	s_cbranch_vccnz .LBB143_2647
; %bb.2637:
	s_cmp_lt_i32 s13, 6
	s_cbranch_scc1 .LBB143_2640
; %bb.2638:
	s_cmp_gt_i32 s13, 6
	s_cbranch_scc0 .LBB143_2641
; %bb.2639:
	s_wait_loadcnt 0x0
	global_load_b64 v[16:17], v[32:33], off
	s_mov_b32 s16, 0
	s_branch .LBB143_2642
.LBB143_2640:
	s_mov_b32 s16, -1
                                        ; implicit-def: $vgpr16_vgpr17
	s_branch .LBB143_2645
.LBB143_2641:
	s_mov_b32 s16, -1
                                        ; implicit-def: $vgpr16_vgpr17
.LBB143_2642:
	s_delay_alu instid0(SALU_CYCLE_1)
	s_and_not1_b32 vcc_lo, exec_lo, s16
	s_cbranch_vccnz .LBB143_2644
; %bb.2643:
	global_load_b32 v1, v[32:33], off
	s_wait_loadcnt 0x0
	v_cvt_f64_f32_e32 v[16:17], v1
.LBB143_2644:
	s_mov_b32 s16, 0
.LBB143_2645:
	s_delay_alu instid0(SALU_CYCLE_1)
	s_and_not1_b32 vcc_lo, exec_lo, s16
	s_cbranch_vccnz .LBB143_2647
; %bb.2646:
	global_load_u16 v1, v[32:33], off
	s_wait_loadcnt 0x0
	v_cvt_f32_f16_e32 v1, v1
	s_delay_alu instid0(VALU_DEP_1)
	v_cvt_f64_f32_e32 v[16:17], v1
.LBB143_2647:
	s_mov_b32 s16, 0
.LBB143_2648:
	s_delay_alu instid0(SALU_CYCLE_1)
	s_and_not1_b32 vcc_lo, exec_lo, s16
	s_cbranch_vccnz .LBB143_2668
; %bb.2649:
	s_cmp_lt_i32 s13, 2
	s_cbranch_scc1 .LBB143_2653
; %bb.2650:
	s_cmp_lt_i32 s13, 3
	s_cbranch_scc1 .LBB143_2654
; %bb.2651:
	s_cmp_gt_i32 s13, 3
	s_cbranch_scc0 .LBB143_2655
; %bb.2652:
	s_wait_loadcnt 0x0
	global_load_b64 v[16:17], v[32:33], off
	s_mov_b32 s16, 0
	s_wait_loadcnt 0x0
	v_cvt_f64_i32_e32 v[34:35], v17
	v_cvt_f64_u32_e32 v[16:17], v16
	s_delay_alu instid0(VALU_DEP_2) | instskip(NEXT) | instid1(VALU_DEP_1)
	v_ldexp_f64 v[34:35], v[34:35], 32
	v_add_f64_e32 v[16:17], v[34:35], v[16:17]
	s_branch .LBB143_2656
.LBB143_2653:
	s_mov_b32 s16, -1
                                        ; implicit-def: $vgpr16_vgpr17
	s_branch .LBB143_2662
.LBB143_2654:
	s_mov_b32 s16, -1
                                        ; implicit-def: $vgpr16_vgpr17
	s_branch .LBB143_2659
.LBB143_2655:
	s_mov_b32 s16, -1
                                        ; implicit-def: $vgpr16_vgpr17
.LBB143_2656:
	s_delay_alu instid0(SALU_CYCLE_1)
	s_and_not1_b32 vcc_lo, exec_lo, s16
	s_cbranch_vccnz .LBB143_2658
; %bb.2657:
	global_load_b32 v1, v[32:33], off
	s_wait_loadcnt 0x0
	v_cvt_f64_i32_e32 v[16:17], v1
.LBB143_2658:
	s_mov_b32 s16, 0
.LBB143_2659:
	s_delay_alu instid0(SALU_CYCLE_1)
	s_and_not1_b32 vcc_lo, exec_lo, s16
	s_cbranch_vccnz .LBB143_2661
; %bb.2660:
	global_load_i16 v1, v[32:33], off
	s_wait_loadcnt 0x0
	v_cvt_f64_i32_e32 v[16:17], v1
.LBB143_2661:
	s_mov_b32 s16, 0
.LBB143_2662:
	s_delay_alu instid0(SALU_CYCLE_1)
	s_and_not1_b32 vcc_lo, exec_lo, s16
	s_cbranch_vccnz .LBB143_2668
; %bb.2663:
	s_cmp_gt_i32 s13, 0
	s_mov_b32 s16, 0
	s_cbranch_scc0 .LBB143_2665
; %bb.2664:
	global_load_i8 v1, v[32:33], off
	s_wait_loadcnt 0x0
	v_cvt_f64_i32_e32 v[16:17], v1
	s_branch .LBB143_2666
.LBB143_2665:
	s_mov_b32 s16, -1
                                        ; implicit-def: $vgpr16_vgpr17
.LBB143_2666:
	s_delay_alu instid0(SALU_CYCLE_1)
	s_and_not1_b32 vcc_lo, exec_lo, s16
	s_cbranch_vccnz .LBB143_2668
; %bb.2667:
	global_load_u8 v1, v[32:33], off
	s_wait_loadcnt 0x0
	v_cvt_f64_u32_e32 v[16:17], v1
.LBB143_2668:
	s_mov_b32 s18, -1
.LBB143_2669:
	s_delay_alu instid0(SALU_CYCLE_1)
	s_and_not1_b32 vcc_lo, exec_lo, s18
	s_cbranch_vccnz .LBB143_4155
; %bb.2670:
	v_mov_b32_e32 v23, 0
	s_and_b32 s14, 0xffff, s14
	s_delay_alu instid0(SALU_CYCLE_1) | instskip(SKIP_1) | instid1(VALU_DEP_1)
	s_cmp_lt_i32 s14, 11
	s_wait_xcnt 0x0
	v_add_nc_u64_e32 v[32:33], s[0:1], v[22:23]
	s_cbranch_scc1 .LBB143_2677
; %bb.2671:
	s_cmp_gt_i32 s14, 25
	s_mov_b32 s17, 0
	s_cbranch_scc0 .LBB143_2678
; %bb.2672:
	s_cmp_gt_i32 s14, 28
	s_cbranch_scc0 .LBB143_2679
; %bb.2673:
	s_cmp_gt_i32 s14, 43
	;; [unrolled: 3-line block ×3, first 2 shown]
	s_cbranch_scc0 .LBB143_2682
; %bb.2675:
	s_cmp_eq_u32 s14, 46
	s_mov_b32 s19, 0
	s_cbranch_scc0 .LBB143_2683
; %bb.2676:
	global_load_b32 v1, v[32:33], off
	s_mov_b32 s16, 0
	s_mov_b32 s18, -1
	s_wait_loadcnt 0x0
	v_lshlrev_b32_e32 v1, 16, v1
	s_delay_alu instid0(VALU_DEP_1)
	v_cvt_f64_f32_e32 v[22:23], v1
	s_branch .LBB143_2685
.LBB143_2677:
	s_mov_b32 s16, -1
	s_mov_b32 s18, 0
                                        ; implicit-def: $vgpr22_vgpr23
	s_branch .LBB143_2751
.LBB143_2678:
	s_mov_b32 s19, -1
	s_mov_b32 s18, 0
	s_mov_b32 s16, 0
                                        ; implicit-def: $vgpr22_vgpr23
	s_branch .LBB143_2714
.LBB143_2679:
	s_mov_b32 s19, -1
	s_mov_b32 s18, 0
	s_mov_b32 s16, 0
                                        ; implicit-def: $vgpr22_vgpr23
	s_branch .LBB143_2695
.LBB143_2680:
	s_mov_b32 s19, -1
	s_mov_b32 s18, 0
	s_mov_b32 s16, 0
                                        ; implicit-def: $vgpr22_vgpr23
	s_branch .LBB143_2690
.LBB143_2681:
	s_or_b32 s12, s12, exec_lo
	s_trap 2
	s_cbranch_execz .LBB143_2618
	s_branch .LBB143_2619
.LBB143_2682:
	s_mov_b32 s19, -1
	s_mov_b32 s18, 0
	s_mov_b32 s16, 0
	s_branch .LBB143_2684
.LBB143_2683:
	s_mov_b32 s16, -1
	s_mov_b32 s18, 0
.LBB143_2684:
                                        ; implicit-def: $vgpr22_vgpr23
.LBB143_2685:
	s_and_b32 vcc_lo, exec_lo, s19
	s_cbranch_vccz .LBB143_2689
; %bb.2686:
	s_cmp_eq_u32 s14, 44
	s_cbranch_scc0 .LBB143_2688
; %bb.2687:
	global_load_u8 v1, v[32:33], off
	s_mov_b32 s16, 0
	s_mov_b32 s18, -1
	s_wait_loadcnt 0x0
	v_lshlrev_b32_e32 v5, 23, v1
	v_cmp_ne_u32_e32 vcc_lo, 0xff, v1
	s_delay_alu instid0(VALU_DEP_2) | instskip(NEXT) | instid1(VALU_DEP_1)
	v_cvt_f64_f32_e32 v[22:23], v5
	v_cndmask_b32_e32 v5, 0x20000000, v22, vcc_lo
	s_delay_alu instid0(VALU_DEP_2) | instskip(SKIP_1) | instid1(VALU_DEP_2)
	v_cndmask_b32_e32 v7, 0x7ff80000, v23, vcc_lo
	v_cmp_ne_u32_e32 vcc_lo, 0, v1
	v_cndmask_b32_e32 v23, 0x38000000, v7, vcc_lo
	s_delay_alu instid0(VALU_DEP_4)
	v_cndmask_b32_e32 v22, 0, v5, vcc_lo
	s_branch .LBB143_2689
.LBB143_2688:
	s_mov_b32 s16, -1
                                        ; implicit-def: $vgpr22_vgpr23
.LBB143_2689:
	s_mov_b32 s19, 0
.LBB143_2690:
	s_delay_alu instid0(SALU_CYCLE_1)
	s_and_b32 vcc_lo, exec_lo, s19
	s_cbranch_vccz .LBB143_2694
; %bb.2691:
	s_cmp_eq_u32 s14, 29
	s_cbranch_scc0 .LBB143_2693
; %bb.2692:
	global_load_b64 v[22:23], v[32:33], off
	s_mov_b32 s16, 0
	s_mov_b32 s18, -1
	s_mov_b32 s19, 0
	s_wait_loadcnt 0x0
	v_cvt_f64_u32_e32 v[34:35], v23
	v_cvt_f64_u32_e32 v[22:23], v22
	s_delay_alu instid0(VALU_DEP_2) | instskip(NEXT) | instid1(VALU_DEP_1)
	v_ldexp_f64 v[34:35], v[34:35], 32
	v_add_f64_e32 v[22:23], v[34:35], v[22:23]
	s_branch .LBB143_2695
.LBB143_2693:
	s_mov_b32 s16, -1
                                        ; implicit-def: $vgpr22_vgpr23
.LBB143_2694:
	s_mov_b32 s19, 0
.LBB143_2695:
	s_delay_alu instid0(SALU_CYCLE_1)
	s_and_b32 vcc_lo, exec_lo, s19
	s_cbranch_vccz .LBB143_2713
; %bb.2696:
	s_cmp_lt_i32 s14, 27
	s_cbranch_scc1 .LBB143_2699
; %bb.2697:
	s_cmp_gt_i32 s14, 27
	s_cbranch_scc0 .LBB143_2700
; %bb.2698:
	global_load_b32 v1, v[32:33], off
	s_mov_b32 s18, 0
	s_wait_loadcnt 0x0
	v_cvt_f64_u32_e32 v[22:23], v1
	s_branch .LBB143_2701
.LBB143_2699:
	s_mov_b32 s18, -1
                                        ; implicit-def: $vgpr22_vgpr23
	s_branch .LBB143_2704
.LBB143_2700:
	s_mov_b32 s18, -1
                                        ; implicit-def: $vgpr22_vgpr23
.LBB143_2701:
	s_delay_alu instid0(SALU_CYCLE_1)
	s_and_not1_b32 vcc_lo, exec_lo, s18
	s_cbranch_vccnz .LBB143_2703
; %bb.2702:
	global_load_u16 v1, v[32:33], off
	s_wait_loadcnt 0x0
	v_cvt_f64_u32_e32 v[22:23], v1
.LBB143_2703:
	s_mov_b32 s18, 0
.LBB143_2704:
	s_delay_alu instid0(SALU_CYCLE_1)
	s_and_not1_b32 vcc_lo, exec_lo, s18
	s_cbranch_vccnz .LBB143_2712
; %bb.2705:
	global_load_u8 v1, v[32:33], off
	s_mov_b32 s18, 0
	s_mov_b32 s19, exec_lo
	s_wait_loadcnt 0x0
	v_cmpx_lt_i16_e32 0x7f, v1
	s_xor_b32 s19, exec_lo, s19
	s_cbranch_execz .LBB143_2726
; %bb.2706:
	s_mov_b32 s18, -1
	s_mov_b32 s20, exec_lo
	v_cmpx_eq_u16_e32 0x80, v1
; %bb.2707:
	s_xor_b32 s18, exec_lo, -1
; %bb.2708:
	s_or_b32 exec_lo, exec_lo, s20
	s_delay_alu instid0(SALU_CYCLE_1)
	s_and_b32 s18, s18, exec_lo
	s_or_saveexec_b32 s19, s19
	v_mov_b64_e32 v[22:23], 0x7ff8000020000000
	s_xor_b32 exec_lo, exec_lo, s19
	s_cbranch_execnz .LBB143_2727
.LBB143_2709:
	s_or_b32 exec_lo, exec_lo, s19
	s_and_saveexec_b32 s19, s18
	s_cbranch_execz .LBB143_2711
.LBB143_2710:
	v_and_b32_e32 v5, 0xffff, v1
	v_lshlrev_b32_e32 v1, 24, v1
	s_delay_alu instid0(VALU_DEP_2) | instskip(SKIP_1) | instid1(VALU_DEP_3)
	v_and_b32_e32 v7, 7, v5
	v_bfe_u32 v15, v5, 3, 4
	v_and_b32_e32 v1, 0x80000000, v1
	s_delay_alu instid0(VALU_DEP_3) | instskip(NEXT) | instid1(VALU_DEP_3)
	v_clz_i32_u32_e32 v9, v7
	v_cmp_eq_u32_e32 vcc_lo, 0, v15
	s_delay_alu instid0(VALU_DEP_2) | instskip(NEXT) | instid1(VALU_DEP_1)
	v_min_u32_e32 v9, 32, v9
	v_subrev_nc_u32_e32 v11, 28, v9
	v_sub_nc_u32_e32 v9, 29, v9
	s_delay_alu instid0(VALU_DEP_2) | instskip(NEXT) | instid1(VALU_DEP_2)
	v_lshlrev_b32_e32 v5, v11, v5
	v_cndmask_b32_e32 v9, v15, v9, vcc_lo
	s_delay_alu instid0(VALU_DEP_2) | instskip(NEXT) | instid1(VALU_DEP_1)
	v_and_b32_e32 v5, 7, v5
	v_cndmask_b32_e32 v5, v7, v5, vcc_lo
	s_delay_alu instid0(VALU_DEP_3) | instskip(NEXT) | instid1(VALU_DEP_2)
	v_lshl_add_u32 v7, v9, 23, 0x3b800000
	v_lshlrev_b32_e32 v5, 20, v5
	s_delay_alu instid0(VALU_DEP_1) | instskip(NEXT) | instid1(VALU_DEP_1)
	v_or3_b32 v1, v1, v7, v5
	v_cvt_f64_f32_e32 v[22:23], v1
.LBB143_2711:
	s_or_b32 exec_lo, exec_lo, s19
.LBB143_2712:
	s_mov_b32 s18, -1
.LBB143_2713:
	s_mov_b32 s19, 0
.LBB143_2714:
	s_delay_alu instid0(SALU_CYCLE_1)
	s_and_b32 vcc_lo, exec_lo, s19
	s_cbranch_vccz .LBB143_2747
; %bb.2715:
	s_cmp_gt_i32 s14, 22
	s_cbranch_scc0 .LBB143_2725
; %bb.2716:
	s_cmp_lt_i32 s14, 24
	s_cbranch_scc1 .LBB143_2728
; %bb.2717:
	s_cmp_gt_i32 s14, 24
	s_cbranch_scc0 .LBB143_2729
; %bb.2718:
	global_load_u8 v1, v[32:33], off
	s_mov_b32 s18, exec_lo
	s_wait_loadcnt 0x0
	v_cmpx_lt_i16_e32 0x7f, v1
	s_xor_b32 s18, exec_lo, s18
	s_cbranch_execz .LBB143_2741
; %bb.2719:
	s_mov_b32 s17, -1
	s_mov_b32 s19, exec_lo
	v_cmpx_eq_u16_e32 0x80, v1
; %bb.2720:
	s_xor_b32 s17, exec_lo, -1
; %bb.2721:
	s_or_b32 exec_lo, exec_lo, s19
	s_delay_alu instid0(SALU_CYCLE_1)
	s_and_b32 s17, s17, exec_lo
	s_or_saveexec_b32 s18, s18
	v_mov_b64_e32 v[22:23], 0x7ff8000020000000
	s_xor_b32 exec_lo, exec_lo, s18
	s_cbranch_execnz .LBB143_2742
.LBB143_2722:
	s_or_b32 exec_lo, exec_lo, s18
	s_and_saveexec_b32 s18, s17
	s_cbranch_execz .LBB143_2724
.LBB143_2723:
	v_and_b32_e32 v5, 0xffff, v1
	v_lshlrev_b32_e32 v1, 24, v1
	s_delay_alu instid0(VALU_DEP_2) | instskip(SKIP_1) | instid1(VALU_DEP_3)
	v_and_b32_e32 v7, 3, v5
	v_bfe_u32 v15, v5, 2, 5
	v_and_b32_e32 v1, 0x80000000, v1
	s_delay_alu instid0(VALU_DEP_3) | instskip(NEXT) | instid1(VALU_DEP_3)
	v_clz_i32_u32_e32 v9, v7
	v_cmp_eq_u32_e32 vcc_lo, 0, v15
	s_delay_alu instid0(VALU_DEP_2) | instskip(NEXT) | instid1(VALU_DEP_1)
	v_min_u32_e32 v9, 32, v9
	v_subrev_nc_u32_e32 v11, 29, v9
	v_sub_nc_u32_e32 v9, 30, v9
	s_delay_alu instid0(VALU_DEP_2) | instskip(NEXT) | instid1(VALU_DEP_2)
	v_lshlrev_b32_e32 v5, v11, v5
	v_cndmask_b32_e32 v9, v15, v9, vcc_lo
	s_delay_alu instid0(VALU_DEP_2) | instskip(NEXT) | instid1(VALU_DEP_1)
	v_and_b32_e32 v5, 3, v5
	v_cndmask_b32_e32 v5, v7, v5, vcc_lo
	s_delay_alu instid0(VALU_DEP_3) | instskip(NEXT) | instid1(VALU_DEP_2)
	v_lshl_add_u32 v7, v9, 23, 0x37800000
	v_lshlrev_b32_e32 v5, 21, v5
	s_delay_alu instid0(VALU_DEP_1) | instskip(NEXT) | instid1(VALU_DEP_1)
	v_or3_b32 v1, v1, v7, v5
	v_cvt_f64_f32_e32 v[22:23], v1
.LBB143_2724:
	s_or_b32 exec_lo, exec_lo, s18
	s_mov_b32 s17, 0
	s_branch .LBB143_2730
.LBB143_2725:
	s_mov_b32 s17, -1
                                        ; implicit-def: $vgpr22_vgpr23
	s_branch .LBB143_2736
.LBB143_2726:
	s_or_saveexec_b32 s19, s19
	v_mov_b64_e32 v[22:23], 0x7ff8000020000000
	s_xor_b32 exec_lo, exec_lo, s19
	s_cbranch_execz .LBB143_2709
.LBB143_2727:
	v_cmp_ne_u16_e32 vcc_lo, 0, v1
	v_mov_b64_e32 v[22:23], 0
	s_and_not1_b32 s18, s18, exec_lo
	s_and_b32 s20, vcc_lo, exec_lo
	s_delay_alu instid0(SALU_CYCLE_1)
	s_or_b32 s18, s18, s20
	s_or_b32 exec_lo, exec_lo, s19
	s_and_saveexec_b32 s19, s18
	s_cbranch_execnz .LBB143_2710
	s_branch .LBB143_2711
.LBB143_2728:
	s_mov_b32 s17, -1
                                        ; implicit-def: $vgpr22_vgpr23
	s_branch .LBB143_2733
.LBB143_2729:
	s_mov_b32 s17, -1
                                        ; implicit-def: $vgpr22_vgpr23
.LBB143_2730:
	s_delay_alu instid0(SALU_CYCLE_1)
	s_and_b32 vcc_lo, exec_lo, s17
	s_cbranch_vccz .LBB143_2732
; %bb.2731:
	global_load_u8 v1, v[32:33], off
	s_wait_loadcnt 0x0
	v_lshlrev_b32_e32 v1, 24, v1
	s_delay_alu instid0(VALU_DEP_1) | instskip(NEXT) | instid1(VALU_DEP_1)
	v_and_b32_e32 v5, 0x7f000000, v1
	v_clz_i32_u32_e32 v7, v5
	v_cmp_ne_u32_e32 vcc_lo, 0, v5
	v_add_nc_u32_e32 v11, 0x1000000, v5
	s_delay_alu instid0(VALU_DEP_3) | instskip(NEXT) | instid1(VALU_DEP_1)
	v_min_u32_e32 v7, 32, v7
	v_sub_nc_u32_e64 v7, v7, 4 clamp
	s_delay_alu instid0(VALU_DEP_1) | instskip(NEXT) | instid1(VALU_DEP_1)
	v_dual_lshlrev_b32 v9, v7, v5 :: v_dual_lshlrev_b32 v7, 23, v7
	v_lshrrev_b32_e32 v9, 4, v9
	s_delay_alu instid0(VALU_DEP_1) | instskip(SKIP_1) | instid1(VALU_DEP_2)
	v_sub_nc_u32_e32 v7, v9, v7
	v_ashrrev_i32_e32 v9, 8, v11
	v_add_nc_u32_e32 v7, 0x3c000000, v7
	s_delay_alu instid0(VALU_DEP_1) | instskip(NEXT) | instid1(VALU_DEP_1)
	v_and_or_b32 v7, 0x7f800000, v9, v7
	v_cndmask_b32_e32 v5, 0, v7, vcc_lo
	s_delay_alu instid0(VALU_DEP_1) | instskip(NEXT) | instid1(VALU_DEP_1)
	v_and_or_b32 v1, 0x80000000, v1, v5
	v_cvt_f64_f32_e32 v[22:23], v1
.LBB143_2732:
	s_mov_b32 s17, 0
.LBB143_2733:
	s_delay_alu instid0(SALU_CYCLE_1)
	s_and_not1_b32 vcc_lo, exec_lo, s17
	s_cbranch_vccnz .LBB143_2735
; %bb.2734:
	global_load_u8 v1, v[32:33], off
	s_wait_loadcnt 0x0
	v_lshlrev_b32_e32 v5, 25, v1
	v_lshlrev_b16 v1, 8, v1
	s_delay_alu instid0(VALU_DEP_2) | instskip(NEXT) | instid1(VALU_DEP_2)
	v_lshrrev_b32_e32 v7, 4, v5
	v_and_or_b32 v9, 0x7f00, v1, 0.5
	v_cmp_gt_u32_e32 vcc_lo, 0x8000000, v5
	v_bfe_i32 v1, v1, 0, 16
	s_delay_alu instid0(VALU_DEP_4) | instskip(NEXT) | instid1(VALU_DEP_4)
	v_or_b32_e32 v7, 0x70000000, v7
	v_add_f32_e32 v9, -0.5, v9
	s_delay_alu instid0(VALU_DEP_2) | instskip(NEXT) | instid1(VALU_DEP_1)
	v_mul_f32_e32 v7, 0x7800000, v7
	v_cndmask_b32_e32 v5, v7, v9, vcc_lo
	s_delay_alu instid0(VALU_DEP_1) | instskip(NEXT) | instid1(VALU_DEP_1)
	v_and_or_b32 v1, 0x80000000, v1, v5
	v_cvt_f64_f32_e32 v[22:23], v1
.LBB143_2735:
	s_mov_b32 s17, 0
	s_mov_b32 s18, -1
.LBB143_2736:
	s_and_not1_b32 vcc_lo, exec_lo, s17
	s_mov_b32 s17, 0
	s_cbranch_vccnz .LBB143_2747
; %bb.2737:
	s_cmp_gt_i32 s14, 14
	s_cbranch_scc0 .LBB143_2740
; %bb.2738:
	s_cmp_eq_u32 s14, 15
	s_cbranch_scc0 .LBB143_2743
; %bb.2739:
	global_load_u16 v1, v[32:33], off
	s_mov_b32 s16, 0
	s_mov_b32 s18, -1
	s_wait_loadcnt 0x0
	v_lshlrev_b32_e32 v1, 16, v1
	s_delay_alu instid0(VALU_DEP_1)
	v_cvt_f64_f32_e32 v[22:23], v1
	s_branch .LBB143_2745
.LBB143_2740:
	s_mov_b32 s17, -1
	s_branch .LBB143_2744
.LBB143_2741:
	s_or_saveexec_b32 s18, s18
	v_mov_b64_e32 v[22:23], 0x7ff8000020000000
	s_xor_b32 exec_lo, exec_lo, s18
	s_cbranch_execz .LBB143_2722
.LBB143_2742:
	v_cmp_ne_u16_e32 vcc_lo, 0, v1
	v_mov_b64_e32 v[22:23], 0
	s_and_not1_b32 s17, s17, exec_lo
	s_and_b32 s19, vcc_lo, exec_lo
	s_delay_alu instid0(SALU_CYCLE_1)
	s_or_b32 s17, s17, s19
	s_or_b32 exec_lo, exec_lo, s18
	s_and_saveexec_b32 s18, s17
	s_cbranch_execnz .LBB143_2723
	s_branch .LBB143_2724
.LBB143_2743:
	s_mov_b32 s16, -1
.LBB143_2744:
                                        ; implicit-def: $vgpr22_vgpr23
.LBB143_2745:
	s_and_b32 vcc_lo, exec_lo, s17
	s_mov_b32 s17, 0
	s_cbranch_vccz .LBB143_2747
; %bb.2746:
	s_cmp_lg_u32 s14, 11
	s_mov_b32 s17, -1
	s_cselect_b32 s16, -1, 0
.LBB143_2747:
	s_delay_alu instid0(SALU_CYCLE_1)
	s_and_b32 vcc_lo, exec_lo, s16
	s_cbranch_vccnz .LBB143_2812
; %bb.2748:
	s_and_not1_b32 vcc_lo, exec_lo, s17
	s_cbranch_vccnz .LBB143_2750
.LBB143_2749:
	global_load_u8 v1, v[32:33], off
	v_mov_b32_e32 v22, 0
	s_mov_b32 s18, -1
	s_wait_loadcnt 0x0
	v_cmp_ne_u16_e32 vcc_lo, 0, v1
	v_cndmask_b32_e64 v23, 0, 0x3ff00000, vcc_lo
.LBB143_2750:
	s_mov_b32 s16, 0
.LBB143_2751:
	s_delay_alu instid0(SALU_CYCLE_1)
	s_and_b32 vcc_lo, exec_lo, s16
	s_cbranch_vccz .LBB143_2800
; %bb.2752:
	s_cmp_lt_i32 s14, 5
	s_cbranch_scc1 .LBB143_2757
; %bb.2753:
	s_cmp_lt_i32 s14, 8
	s_cbranch_scc1 .LBB143_2758
	;; [unrolled: 3-line block ×3, first 2 shown]
; %bb.2755:
	s_cmp_gt_i32 s14, 9
	s_cbranch_scc0 .LBB143_2760
; %bb.2756:
	global_load_b64 v[22:23], v[32:33], off
	s_mov_b32 s16, 0
	s_branch .LBB143_2761
.LBB143_2757:
	s_mov_b32 s16, -1
                                        ; implicit-def: $vgpr22_vgpr23
	s_branch .LBB143_2779
.LBB143_2758:
	s_mov_b32 s16, -1
                                        ; implicit-def: $vgpr22_vgpr23
	s_branch .LBB143_2767
.LBB143_2759:
	s_mov_b32 s16, -1
                                        ; implicit-def: $vgpr22_vgpr23
	s_branch .LBB143_2764
.LBB143_2760:
	s_mov_b32 s16, -1
                                        ; implicit-def: $vgpr22_vgpr23
.LBB143_2761:
	s_delay_alu instid0(SALU_CYCLE_1)
	s_and_not1_b32 vcc_lo, exec_lo, s16
	s_cbranch_vccnz .LBB143_2763
; %bb.2762:
	global_load_b32 v1, v[32:33], off
	s_wait_loadcnt 0x0
	v_cvt_f64_f32_e32 v[22:23], v1
.LBB143_2763:
	s_mov_b32 s16, 0
.LBB143_2764:
	s_delay_alu instid0(SALU_CYCLE_1)
	s_and_not1_b32 vcc_lo, exec_lo, s16
	s_cbranch_vccnz .LBB143_2766
; %bb.2765:
	global_load_b32 v1, v[32:33], off
	s_wait_loadcnt 0x0
	v_cvt_f32_f16_e32 v1, v1
	s_delay_alu instid0(VALU_DEP_1)
	v_cvt_f64_f32_e32 v[22:23], v1
.LBB143_2766:
	s_mov_b32 s16, 0
.LBB143_2767:
	s_delay_alu instid0(SALU_CYCLE_1)
	s_and_not1_b32 vcc_lo, exec_lo, s16
	s_cbranch_vccnz .LBB143_2778
; %bb.2768:
	s_cmp_lt_i32 s14, 6
	s_cbranch_scc1 .LBB143_2771
; %bb.2769:
	s_cmp_gt_i32 s14, 6
	s_cbranch_scc0 .LBB143_2772
; %bb.2770:
	s_wait_loadcnt 0x0
	global_load_b64 v[22:23], v[32:33], off
	s_mov_b32 s16, 0
	s_branch .LBB143_2773
.LBB143_2771:
	s_mov_b32 s16, -1
                                        ; implicit-def: $vgpr22_vgpr23
	s_branch .LBB143_2776
.LBB143_2772:
	s_mov_b32 s16, -1
                                        ; implicit-def: $vgpr22_vgpr23
.LBB143_2773:
	s_delay_alu instid0(SALU_CYCLE_1)
	s_and_not1_b32 vcc_lo, exec_lo, s16
	s_cbranch_vccnz .LBB143_2775
; %bb.2774:
	global_load_b32 v1, v[32:33], off
	s_wait_loadcnt 0x0
	v_cvt_f64_f32_e32 v[22:23], v1
.LBB143_2775:
	s_mov_b32 s16, 0
.LBB143_2776:
	s_delay_alu instid0(SALU_CYCLE_1)
	s_and_not1_b32 vcc_lo, exec_lo, s16
	s_cbranch_vccnz .LBB143_2778
; %bb.2777:
	global_load_u16 v1, v[32:33], off
	s_wait_loadcnt 0x0
	v_cvt_f32_f16_e32 v1, v1
	s_delay_alu instid0(VALU_DEP_1)
	v_cvt_f64_f32_e32 v[22:23], v1
.LBB143_2778:
	s_mov_b32 s16, 0
.LBB143_2779:
	s_delay_alu instid0(SALU_CYCLE_1)
	s_and_not1_b32 vcc_lo, exec_lo, s16
	s_cbranch_vccnz .LBB143_2799
; %bb.2780:
	s_cmp_lt_i32 s14, 2
	s_cbranch_scc1 .LBB143_2784
; %bb.2781:
	s_cmp_lt_i32 s14, 3
	s_cbranch_scc1 .LBB143_2785
; %bb.2782:
	s_cmp_gt_i32 s14, 3
	s_cbranch_scc0 .LBB143_2786
; %bb.2783:
	s_wait_loadcnt 0x0
	global_load_b64 v[22:23], v[32:33], off
	s_mov_b32 s16, 0
	s_wait_loadcnt 0x0
	v_cvt_f64_i32_e32 v[34:35], v23
	v_cvt_f64_u32_e32 v[22:23], v22
	s_delay_alu instid0(VALU_DEP_2) | instskip(NEXT) | instid1(VALU_DEP_1)
	v_ldexp_f64 v[34:35], v[34:35], 32
	v_add_f64_e32 v[22:23], v[34:35], v[22:23]
	s_branch .LBB143_2787
.LBB143_2784:
	s_mov_b32 s16, -1
                                        ; implicit-def: $vgpr22_vgpr23
	s_branch .LBB143_2793
.LBB143_2785:
	s_mov_b32 s16, -1
                                        ; implicit-def: $vgpr22_vgpr23
	s_branch .LBB143_2790
.LBB143_2786:
	s_mov_b32 s16, -1
                                        ; implicit-def: $vgpr22_vgpr23
.LBB143_2787:
	s_delay_alu instid0(SALU_CYCLE_1)
	s_and_not1_b32 vcc_lo, exec_lo, s16
	s_cbranch_vccnz .LBB143_2789
; %bb.2788:
	global_load_b32 v1, v[32:33], off
	s_wait_loadcnt 0x0
	v_cvt_f64_i32_e32 v[22:23], v1
.LBB143_2789:
	s_mov_b32 s16, 0
.LBB143_2790:
	s_delay_alu instid0(SALU_CYCLE_1)
	s_and_not1_b32 vcc_lo, exec_lo, s16
	s_cbranch_vccnz .LBB143_2792
; %bb.2791:
	global_load_i16 v1, v[32:33], off
	s_wait_loadcnt 0x0
	v_cvt_f64_i32_e32 v[22:23], v1
.LBB143_2792:
	s_mov_b32 s16, 0
.LBB143_2793:
	s_delay_alu instid0(SALU_CYCLE_1)
	s_and_not1_b32 vcc_lo, exec_lo, s16
	s_cbranch_vccnz .LBB143_2799
; %bb.2794:
	s_cmp_gt_i32 s14, 0
	s_mov_b32 s16, 0
	s_cbranch_scc0 .LBB143_2796
; %bb.2795:
	global_load_i8 v1, v[32:33], off
	s_wait_loadcnt 0x0
	v_cvt_f64_i32_e32 v[22:23], v1
	s_branch .LBB143_2797
.LBB143_2796:
	s_mov_b32 s16, -1
                                        ; implicit-def: $vgpr22_vgpr23
.LBB143_2797:
	s_delay_alu instid0(SALU_CYCLE_1)
	s_and_not1_b32 vcc_lo, exec_lo, s16
	s_cbranch_vccnz .LBB143_2799
; %bb.2798:
	global_load_u8 v1, v[32:33], off
	s_wait_loadcnt 0x0
	v_cvt_f64_u32_e32 v[22:23], v1
.LBB143_2799:
	s_mov_b32 s18, -1
.LBB143_2800:
	s_delay_alu instid0(SALU_CYCLE_1)
	s_and_not1_b32 vcc_lo, exec_lo, s18
	s_cbranch_vccnz .LBB143_4155
; %bb.2801:
	v_mov_b32_e32 v29, 0
	s_and_b32 s15, 0xffff, s15
	s_delay_alu instid0(SALU_CYCLE_1) | instskip(SKIP_1) | instid1(VALU_DEP_1)
	s_cmp_lt_i32 s15, 11
	s_wait_xcnt 0x0
	v_add_nc_u64_e32 v[32:33], s[8:9], v[28:29]
	s_cbranch_scc1 .LBB143_2808
; %bb.2802:
	s_cmp_gt_i32 s15, 25
	s_mov_b32 s17, 0
	s_cbranch_scc0 .LBB143_2809
; %bb.2803:
	s_cmp_gt_i32 s15, 28
	s_cbranch_scc0 .LBB143_2810
; %bb.2804:
	s_cmp_gt_i32 s15, 43
	;; [unrolled: 3-line block ×3, first 2 shown]
	s_cbranch_scc0 .LBB143_2813
; %bb.2806:
	s_cmp_eq_u32 s15, 46
	s_mov_b32 s19, 0
	s_cbranch_scc0 .LBB143_2816
; %bb.2807:
	global_load_b32 v1, v[32:33], off
	s_mov_b32 s16, 0
	s_mov_b32 s18, -1
	s_wait_loadcnt 0x0
	v_lshlrev_b32_e32 v1, 16, v1
	s_delay_alu instid0(VALU_DEP_1)
	v_cvt_f64_f32_e32 v[28:29], v1
	s_branch .LBB143_2818
.LBB143_2808:
	s_mov_b32 s16, -1
	s_mov_b32 s18, 0
                                        ; implicit-def: $vgpr28_vgpr29
	s_branch .LBB143_2884
.LBB143_2809:
	s_mov_b32 s19, -1
	s_mov_b32 s18, 0
	s_mov_b32 s16, 0
                                        ; implicit-def: $vgpr28_vgpr29
	s_branch .LBB143_2847
.LBB143_2810:
	s_mov_b32 s19, -1
	s_mov_b32 s18, 0
	s_mov_b32 s16, 0
                                        ; implicit-def: $vgpr28_vgpr29
	s_branch .LBB143_2828
.LBB143_2811:
	s_mov_b32 s19, -1
	s_mov_b32 s18, 0
	s_mov_b32 s16, 0
                                        ; implicit-def: $vgpr28_vgpr29
	s_branch .LBB143_2823
.LBB143_2812:
	s_or_b32 s12, s12, exec_lo
	s_trap 2
	s_cbranch_execz .LBB143_2749
	s_branch .LBB143_2750
.LBB143_2813:
	s_mov_b32 s19, -1
	s_mov_b32 s18, 0
	s_mov_b32 s16, 0
	s_branch .LBB143_2817
.LBB143_2814:
	s_and_not1_saveexec_b32 s59, s59
	s_cbranch_execz .LBB143_1498
.LBB143_2815:
	v_add_f32_e64 v3, 0x46000000, |v2|
	s_and_not1_b32 s58, s58, exec_lo
	s_delay_alu instid0(VALU_DEP_1) | instskip(NEXT) | instid1(VALU_DEP_1)
	v_and_b32_e32 v3, 0xff, v3
	v_cmp_ne_u32_e32 vcc_lo, 0, v3
	s_and_b32 s60, vcc_lo, exec_lo
	s_delay_alu instid0(SALU_CYCLE_1)
	s_or_b32 s58, s58, s60
	s_or_b32 exec_lo, exec_lo, s59
	v_mov_b32_e32 v5, 0
	s_and_saveexec_b32 s59, s58
	s_cbranch_execnz .LBB143_1499
	s_branch .LBB143_1500
.LBB143_2816:
	s_mov_b32 s16, -1
	s_mov_b32 s18, 0
.LBB143_2817:
                                        ; implicit-def: $vgpr28_vgpr29
.LBB143_2818:
	s_and_b32 vcc_lo, exec_lo, s19
	s_cbranch_vccz .LBB143_2822
; %bb.2819:
	s_cmp_eq_u32 s15, 44
	s_cbranch_scc0 .LBB143_2821
; %bb.2820:
	global_load_u8 v1, v[32:33], off
	s_mov_b32 s16, 0
	s_mov_b32 s18, -1
	s_wait_loadcnt 0x0
	v_lshlrev_b32_e32 v5, 23, v1
	v_cmp_ne_u32_e32 vcc_lo, 0xff, v1
	s_delay_alu instid0(VALU_DEP_2) | instskip(NEXT) | instid1(VALU_DEP_1)
	v_cvt_f64_f32_e32 v[28:29], v5
	v_cndmask_b32_e32 v5, 0x20000000, v28, vcc_lo
	s_delay_alu instid0(VALU_DEP_2) | instskip(SKIP_1) | instid1(VALU_DEP_2)
	v_cndmask_b32_e32 v7, 0x7ff80000, v29, vcc_lo
	v_cmp_ne_u32_e32 vcc_lo, 0, v1
	v_cndmask_b32_e32 v29, 0x38000000, v7, vcc_lo
	s_delay_alu instid0(VALU_DEP_4)
	v_cndmask_b32_e32 v28, 0, v5, vcc_lo
	s_branch .LBB143_2822
.LBB143_2821:
	s_mov_b32 s16, -1
                                        ; implicit-def: $vgpr28_vgpr29
.LBB143_2822:
	s_mov_b32 s19, 0
.LBB143_2823:
	s_delay_alu instid0(SALU_CYCLE_1)
	s_and_b32 vcc_lo, exec_lo, s19
	s_cbranch_vccz .LBB143_2827
; %bb.2824:
	s_cmp_eq_u32 s15, 29
	s_cbranch_scc0 .LBB143_2826
; %bb.2825:
	global_load_b64 v[28:29], v[32:33], off
	s_mov_b32 s16, 0
	s_mov_b32 s18, -1
	s_mov_b32 s19, 0
	s_wait_loadcnt 0x0
	v_cvt_f64_u32_e32 v[34:35], v29
	v_cvt_f64_u32_e32 v[28:29], v28
	s_delay_alu instid0(VALU_DEP_2) | instskip(NEXT) | instid1(VALU_DEP_1)
	v_ldexp_f64 v[34:35], v[34:35], 32
	v_add_f64_e32 v[28:29], v[34:35], v[28:29]
	s_branch .LBB143_2828
.LBB143_2826:
	s_mov_b32 s16, -1
                                        ; implicit-def: $vgpr28_vgpr29
.LBB143_2827:
	s_mov_b32 s19, 0
.LBB143_2828:
	s_delay_alu instid0(SALU_CYCLE_1)
	s_and_b32 vcc_lo, exec_lo, s19
	s_cbranch_vccz .LBB143_2846
; %bb.2829:
	s_cmp_lt_i32 s15, 27
	s_cbranch_scc1 .LBB143_2832
; %bb.2830:
	s_cmp_gt_i32 s15, 27
	s_cbranch_scc0 .LBB143_2833
; %bb.2831:
	global_load_b32 v1, v[32:33], off
	s_mov_b32 s18, 0
	s_wait_loadcnt 0x0
	v_cvt_f64_u32_e32 v[28:29], v1
	s_branch .LBB143_2834
.LBB143_2832:
	s_mov_b32 s18, -1
                                        ; implicit-def: $vgpr28_vgpr29
	s_branch .LBB143_2837
.LBB143_2833:
	s_mov_b32 s18, -1
                                        ; implicit-def: $vgpr28_vgpr29
.LBB143_2834:
	s_delay_alu instid0(SALU_CYCLE_1)
	s_and_not1_b32 vcc_lo, exec_lo, s18
	s_cbranch_vccnz .LBB143_2836
; %bb.2835:
	global_load_u16 v1, v[32:33], off
	s_wait_loadcnt 0x0
	v_cvt_f64_u32_e32 v[28:29], v1
.LBB143_2836:
	s_mov_b32 s18, 0
.LBB143_2837:
	s_delay_alu instid0(SALU_CYCLE_1)
	s_and_not1_b32 vcc_lo, exec_lo, s18
	s_cbranch_vccnz .LBB143_2845
; %bb.2838:
	global_load_u8 v1, v[32:33], off
	s_mov_b32 s18, 0
	s_mov_b32 s19, exec_lo
	s_wait_loadcnt 0x0
	v_cmpx_lt_i16_e32 0x7f, v1
	s_xor_b32 s19, exec_lo, s19
	s_cbranch_execz .LBB143_2859
; %bb.2839:
	s_mov_b32 s18, -1
	s_mov_b32 s20, exec_lo
	v_cmpx_eq_u16_e32 0x80, v1
; %bb.2840:
	s_xor_b32 s18, exec_lo, -1
; %bb.2841:
	s_or_b32 exec_lo, exec_lo, s20
	s_delay_alu instid0(SALU_CYCLE_1)
	s_and_b32 s18, s18, exec_lo
	s_or_saveexec_b32 s19, s19
	v_mov_b64_e32 v[28:29], 0x7ff8000020000000
	s_xor_b32 exec_lo, exec_lo, s19
	s_cbranch_execnz .LBB143_2860
.LBB143_2842:
	s_or_b32 exec_lo, exec_lo, s19
	s_and_saveexec_b32 s19, s18
	s_cbranch_execz .LBB143_2844
.LBB143_2843:
	v_and_b32_e32 v5, 0xffff, v1
	v_lshlrev_b32_e32 v1, 24, v1
	s_delay_alu instid0(VALU_DEP_2) | instskip(SKIP_1) | instid1(VALU_DEP_3)
	v_and_b32_e32 v7, 7, v5
	v_bfe_u32 v15, v5, 3, 4
	v_and_b32_e32 v1, 0x80000000, v1
	s_delay_alu instid0(VALU_DEP_3) | instskip(NEXT) | instid1(VALU_DEP_3)
	v_clz_i32_u32_e32 v9, v7
	v_cmp_eq_u32_e32 vcc_lo, 0, v15
	s_delay_alu instid0(VALU_DEP_2) | instskip(NEXT) | instid1(VALU_DEP_1)
	v_min_u32_e32 v9, 32, v9
	v_subrev_nc_u32_e32 v11, 28, v9
	v_sub_nc_u32_e32 v9, 29, v9
	s_delay_alu instid0(VALU_DEP_2) | instskip(NEXT) | instid1(VALU_DEP_2)
	v_lshlrev_b32_e32 v5, v11, v5
	v_cndmask_b32_e32 v9, v15, v9, vcc_lo
	s_delay_alu instid0(VALU_DEP_2) | instskip(NEXT) | instid1(VALU_DEP_1)
	v_and_b32_e32 v5, 7, v5
	v_cndmask_b32_e32 v5, v7, v5, vcc_lo
	s_delay_alu instid0(VALU_DEP_3) | instskip(NEXT) | instid1(VALU_DEP_2)
	v_lshl_add_u32 v7, v9, 23, 0x3b800000
	v_lshlrev_b32_e32 v5, 20, v5
	s_delay_alu instid0(VALU_DEP_1) | instskip(NEXT) | instid1(VALU_DEP_1)
	v_or3_b32 v1, v1, v7, v5
	v_cvt_f64_f32_e32 v[28:29], v1
.LBB143_2844:
	s_or_b32 exec_lo, exec_lo, s19
.LBB143_2845:
	s_mov_b32 s18, -1
.LBB143_2846:
	s_mov_b32 s19, 0
.LBB143_2847:
	s_delay_alu instid0(SALU_CYCLE_1)
	s_and_b32 vcc_lo, exec_lo, s19
	s_cbranch_vccz .LBB143_2880
; %bb.2848:
	s_cmp_gt_i32 s15, 22
	s_cbranch_scc0 .LBB143_2858
; %bb.2849:
	s_cmp_lt_i32 s15, 24
	s_cbranch_scc1 .LBB143_2861
; %bb.2850:
	s_cmp_gt_i32 s15, 24
	s_cbranch_scc0 .LBB143_2862
; %bb.2851:
	global_load_u8 v1, v[32:33], off
	s_mov_b32 s18, exec_lo
	s_wait_loadcnt 0x0
	v_cmpx_lt_i16_e32 0x7f, v1
	s_xor_b32 s18, exec_lo, s18
	s_cbranch_execz .LBB143_2874
; %bb.2852:
	s_mov_b32 s17, -1
	s_mov_b32 s19, exec_lo
	v_cmpx_eq_u16_e32 0x80, v1
; %bb.2853:
	s_xor_b32 s17, exec_lo, -1
; %bb.2854:
	s_or_b32 exec_lo, exec_lo, s19
	s_delay_alu instid0(SALU_CYCLE_1)
	s_and_b32 s17, s17, exec_lo
	s_or_saveexec_b32 s18, s18
	v_mov_b64_e32 v[28:29], 0x7ff8000020000000
	s_xor_b32 exec_lo, exec_lo, s18
	s_cbranch_execnz .LBB143_2875
.LBB143_2855:
	s_or_b32 exec_lo, exec_lo, s18
	s_and_saveexec_b32 s18, s17
	s_cbranch_execz .LBB143_2857
.LBB143_2856:
	v_and_b32_e32 v5, 0xffff, v1
	v_lshlrev_b32_e32 v1, 24, v1
	s_delay_alu instid0(VALU_DEP_2) | instskip(SKIP_1) | instid1(VALU_DEP_3)
	v_and_b32_e32 v7, 3, v5
	v_bfe_u32 v15, v5, 2, 5
	v_and_b32_e32 v1, 0x80000000, v1
	s_delay_alu instid0(VALU_DEP_3) | instskip(NEXT) | instid1(VALU_DEP_3)
	v_clz_i32_u32_e32 v9, v7
	v_cmp_eq_u32_e32 vcc_lo, 0, v15
	s_delay_alu instid0(VALU_DEP_2) | instskip(NEXT) | instid1(VALU_DEP_1)
	v_min_u32_e32 v9, 32, v9
	v_subrev_nc_u32_e32 v11, 29, v9
	v_sub_nc_u32_e32 v9, 30, v9
	s_delay_alu instid0(VALU_DEP_2) | instskip(NEXT) | instid1(VALU_DEP_2)
	v_lshlrev_b32_e32 v5, v11, v5
	v_cndmask_b32_e32 v9, v15, v9, vcc_lo
	s_delay_alu instid0(VALU_DEP_2) | instskip(NEXT) | instid1(VALU_DEP_1)
	v_and_b32_e32 v5, 3, v5
	v_cndmask_b32_e32 v5, v7, v5, vcc_lo
	s_delay_alu instid0(VALU_DEP_3) | instskip(NEXT) | instid1(VALU_DEP_2)
	v_lshl_add_u32 v7, v9, 23, 0x37800000
	v_lshlrev_b32_e32 v5, 21, v5
	s_delay_alu instid0(VALU_DEP_1) | instskip(NEXT) | instid1(VALU_DEP_1)
	v_or3_b32 v1, v1, v7, v5
	v_cvt_f64_f32_e32 v[28:29], v1
.LBB143_2857:
	s_or_b32 exec_lo, exec_lo, s18
	s_mov_b32 s17, 0
	s_branch .LBB143_2863
.LBB143_2858:
	s_mov_b32 s17, -1
                                        ; implicit-def: $vgpr28_vgpr29
	s_branch .LBB143_2869
.LBB143_2859:
	s_or_saveexec_b32 s19, s19
	v_mov_b64_e32 v[28:29], 0x7ff8000020000000
	s_xor_b32 exec_lo, exec_lo, s19
	s_cbranch_execz .LBB143_2842
.LBB143_2860:
	v_cmp_ne_u16_e32 vcc_lo, 0, v1
	v_mov_b64_e32 v[28:29], 0
	s_and_not1_b32 s18, s18, exec_lo
	s_and_b32 s20, vcc_lo, exec_lo
	s_delay_alu instid0(SALU_CYCLE_1)
	s_or_b32 s18, s18, s20
	s_or_b32 exec_lo, exec_lo, s19
	s_and_saveexec_b32 s19, s18
	s_cbranch_execnz .LBB143_2843
	s_branch .LBB143_2844
.LBB143_2861:
	s_mov_b32 s17, -1
                                        ; implicit-def: $vgpr28_vgpr29
	s_branch .LBB143_2866
.LBB143_2862:
	s_mov_b32 s17, -1
                                        ; implicit-def: $vgpr28_vgpr29
.LBB143_2863:
	s_delay_alu instid0(SALU_CYCLE_1)
	s_and_b32 vcc_lo, exec_lo, s17
	s_cbranch_vccz .LBB143_2865
; %bb.2864:
	global_load_u8 v1, v[32:33], off
	s_wait_loadcnt 0x0
	v_lshlrev_b32_e32 v1, 24, v1
	s_delay_alu instid0(VALU_DEP_1) | instskip(NEXT) | instid1(VALU_DEP_1)
	v_and_b32_e32 v5, 0x7f000000, v1
	v_clz_i32_u32_e32 v7, v5
	v_cmp_ne_u32_e32 vcc_lo, 0, v5
	v_add_nc_u32_e32 v11, 0x1000000, v5
	s_delay_alu instid0(VALU_DEP_3) | instskip(NEXT) | instid1(VALU_DEP_1)
	v_min_u32_e32 v7, 32, v7
	v_sub_nc_u32_e64 v7, v7, 4 clamp
	s_delay_alu instid0(VALU_DEP_1) | instskip(NEXT) | instid1(VALU_DEP_1)
	v_dual_lshlrev_b32 v9, v7, v5 :: v_dual_lshlrev_b32 v7, 23, v7
	v_lshrrev_b32_e32 v9, 4, v9
	s_delay_alu instid0(VALU_DEP_1) | instskip(SKIP_1) | instid1(VALU_DEP_2)
	v_sub_nc_u32_e32 v7, v9, v7
	v_ashrrev_i32_e32 v9, 8, v11
	v_add_nc_u32_e32 v7, 0x3c000000, v7
	s_delay_alu instid0(VALU_DEP_1) | instskip(NEXT) | instid1(VALU_DEP_1)
	v_and_or_b32 v7, 0x7f800000, v9, v7
	v_cndmask_b32_e32 v5, 0, v7, vcc_lo
	s_delay_alu instid0(VALU_DEP_1) | instskip(NEXT) | instid1(VALU_DEP_1)
	v_and_or_b32 v1, 0x80000000, v1, v5
	v_cvt_f64_f32_e32 v[28:29], v1
.LBB143_2865:
	s_mov_b32 s17, 0
.LBB143_2866:
	s_delay_alu instid0(SALU_CYCLE_1)
	s_and_not1_b32 vcc_lo, exec_lo, s17
	s_cbranch_vccnz .LBB143_2868
; %bb.2867:
	global_load_u8 v1, v[32:33], off
	s_wait_loadcnt 0x0
	v_lshlrev_b32_e32 v5, 25, v1
	v_lshlrev_b16 v1, 8, v1
	s_delay_alu instid0(VALU_DEP_2) | instskip(NEXT) | instid1(VALU_DEP_2)
	v_lshrrev_b32_e32 v7, 4, v5
	v_and_or_b32 v9, 0x7f00, v1, 0.5
	v_cmp_gt_u32_e32 vcc_lo, 0x8000000, v5
	v_bfe_i32 v1, v1, 0, 16
	s_delay_alu instid0(VALU_DEP_4) | instskip(NEXT) | instid1(VALU_DEP_4)
	v_or_b32_e32 v7, 0x70000000, v7
	v_add_f32_e32 v9, -0.5, v9
	s_delay_alu instid0(VALU_DEP_2) | instskip(NEXT) | instid1(VALU_DEP_1)
	v_mul_f32_e32 v7, 0x7800000, v7
	v_cndmask_b32_e32 v5, v7, v9, vcc_lo
	s_delay_alu instid0(VALU_DEP_1) | instskip(NEXT) | instid1(VALU_DEP_1)
	v_and_or_b32 v1, 0x80000000, v1, v5
	v_cvt_f64_f32_e32 v[28:29], v1
.LBB143_2868:
	s_mov_b32 s17, 0
	s_mov_b32 s18, -1
.LBB143_2869:
	s_and_not1_b32 vcc_lo, exec_lo, s17
	s_mov_b32 s17, 0
	s_cbranch_vccnz .LBB143_2880
; %bb.2870:
	s_cmp_gt_i32 s15, 14
	s_cbranch_scc0 .LBB143_2873
; %bb.2871:
	s_cmp_eq_u32 s15, 15
	s_cbranch_scc0 .LBB143_2876
; %bb.2872:
	global_load_u16 v1, v[32:33], off
	s_mov_b32 s16, 0
	s_mov_b32 s18, -1
	s_wait_loadcnt 0x0
	v_lshlrev_b32_e32 v1, 16, v1
	s_delay_alu instid0(VALU_DEP_1)
	v_cvt_f64_f32_e32 v[28:29], v1
	s_branch .LBB143_2878
.LBB143_2873:
	s_mov_b32 s17, -1
	s_branch .LBB143_2877
.LBB143_2874:
	s_or_saveexec_b32 s18, s18
	v_mov_b64_e32 v[28:29], 0x7ff8000020000000
	s_xor_b32 exec_lo, exec_lo, s18
	s_cbranch_execz .LBB143_2855
.LBB143_2875:
	v_cmp_ne_u16_e32 vcc_lo, 0, v1
	v_mov_b64_e32 v[28:29], 0
	s_and_not1_b32 s17, s17, exec_lo
	s_and_b32 s19, vcc_lo, exec_lo
	s_delay_alu instid0(SALU_CYCLE_1)
	s_or_b32 s17, s17, s19
	s_or_b32 exec_lo, exec_lo, s18
	s_and_saveexec_b32 s18, s17
	s_cbranch_execnz .LBB143_2856
	s_branch .LBB143_2857
.LBB143_2876:
	s_mov_b32 s16, -1
.LBB143_2877:
                                        ; implicit-def: $vgpr28_vgpr29
.LBB143_2878:
	s_and_b32 vcc_lo, exec_lo, s17
	s_mov_b32 s17, 0
	s_cbranch_vccz .LBB143_2880
; %bb.2879:
	s_cmp_lg_u32 s15, 11
	s_mov_b32 s17, -1
	s_cselect_b32 s16, -1, 0
.LBB143_2880:
	s_delay_alu instid0(SALU_CYCLE_1)
	s_and_b32 vcc_lo, exec_lo, s16
	s_cbranch_vccnz .LBB143_2945
; %bb.2881:
	s_and_not1_b32 vcc_lo, exec_lo, s17
	s_cbranch_vccnz .LBB143_2883
.LBB143_2882:
	global_load_u8 v1, v[32:33], off
	v_mov_b32_e32 v28, 0
	s_mov_b32 s18, -1
	s_wait_loadcnt 0x0
	v_cmp_ne_u16_e32 vcc_lo, 0, v1
	v_cndmask_b32_e64 v29, 0, 0x3ff00000, vcc_lo
.LBB143_2883:
	s_mov_b32 s16, 0
.LBB143_2884:
	s_delay_alu instid0(SALU_CYCLE_1)
	s_and_b32 vcc_lo, exec_lo, s16
	s_cbranch_vccz .LBB143_2933
; %bb.2885:
	s_cmp_lt_i32 s15, 5
	s_cbranch_scc1 .LBB143_2890
; %bb.2886:
	s_cmp_lt_i32 s15, 8
	s_cbranch_scc1 .LBB143_2891
	;; [unrolled: 3-line block ×3, first 2 shown]
; %bb.2888:
	s_cmp_gt_i32 s15, 9
	s_cbranch_scc0 .LBB143_2893
; %bb.2889:
	global_load_b64 v[28:29], v[32:33], off
	s_mov_b32 s16, 0
	s_branch .LBB143_2894
.LBB143_2890:
	s_mov_b32 s16, -1
                                        ; implicit-def: $vgpr28_vgpr29
	s_branch .LBB143_2912
.LBB143_2891:
	s_mov_b32 s16, -1
                                        ; implicit-def: $vgpr28_vgpr29
	s_branch .LBB143_2900
.LBB143_2892:
	s_mov_b32 s16, -1
                                        ; implicit-def: $vgpr28_vgpr29
	s_branch .LBB143_2897
.LBB143_2893:
	s_mov_b32 s16, -1
                                        ; implicit-def: $vgpr28_vgpr29
.LBB143_2894:
	s_delay_alu instid0(SALU_CYCLE_1)
	s_and_not1_b32 vcc_lo, exec_lo, s16
	s_cbranch_vccnz .LBB143_2896
; %bb.2895:
	global_load_b32 v1, v[32:33], off
	s_wait_loadcnt 0x0
	v_cvt_f64_f32_e32 v[28:29], v1
.LBB143_2896:
	s_mov_b32 s16, 0
.LBB143_2897:
	s_delay_alu instid0(SALU_CYCLE_1)
	s_and_not1_b32 vcc_lo, exec_lo, s16
	s_cbranch_vccnz .LBB143_2899
; %bb.2898:
	global_load_b32 v1, v[32:33], off
	s_wait_loadcnt 0x0
	v_cvt_f32_f16_e32 v1, v1
	s_delay_alu instid0(VALU_DEP_1)
	v_cvt_f64_f32_e32 v[28:29], v1
.LBB143_2899:
	s_mov_b32 s16, 0
.LBB143_2900:
	s_delay_alu instid0(SALU_CYCLE_1)
	s_and_not1_b32 vcc_lo, exec_lo, s16
	s_cbranch_vccnz .LBB143_2911
; %bb.2901:
	s_cmp_lt_i32 s15, 6
	s_cbranch_scc1 .LBB143_2904
; %bb.2902:
	s_cmp_gt_i32 s15, 6
	s_cbranch_scc0 .LBB143_2905
; %bb.2903:
	s_wait_loadcnt 0x0
	global_load_b64 v[28:29], v[32:33], off
	s_mov_b32 s16, 0
	s_branch .LBB143_2906
.LBB143_2904:
	s_mov_b32 s16, -1
                                        ; implicit-def: $vgpr28_vgpr29
	s_branch .LBB143_2909
.LBB143_2905:
	s_mov_b32 s16, -1
                                        ; implicit-def: $vgpr28_vgpr29
.LBB143_2906:
	s_delay_alu instid0(SALU_CYCLE_1)
	s_and_not1_b32 vcc_lo, exec_lo, s16
	s_cbranch_vccnz .LBB143_2908
; %bb.2907:
	global_load_b32 v1, v[32:33], off
	s_wait_loadcnt 0x0
	v_cvt_f64_f32_e32 v[28:29], v1
.LBB143_2908:
	s_mov_b32 s16, 0
.LBB143_2909:
	s_delay_alu instid0(SALU_CYCLE_1)
	s_and_not1_b32 vcc_lo, exec_lo, s16
	s_cbranch_vccnz .LBB143_2911
; %bb.2910:
	global_load_u16 v1, v[32:33], off
	s_wait_loadcnt 0x0
	v_cvt_f32_f16_e32 v1, v1
	s_delay_alu instid0(VALU_DEP_1)
	v_cvt_f64_f32_e32 v[28:29], v1
.LBB143_2911:
	s_mov_b32 s16, 0
.LBB143_2912:
	s_delay_alu instid0(SALU_CYCLE_1)
	s_and_not1_b32 vcc_lo, exec_lo, s16
	s_cbranch_vccnz .LBB143_2932
; %bb.2913:
	s_cmp_lt_i32 s15, 2
	s_cbranch_scc1 .LBB143_2917
; %bb.2914:
	s_cmp_lt_i32 s15, 3
	s_cbranch_scc1 .LBB143_2918
; %bb.2915:
	s_cmp_gt_i32 s15, 3
	s_cbranch_scc0 .LBB143_2919
; %bb.2916:
	s_wait_loadcnt 0x0
	global_load_b64 v[28:29], v[32:33], off
	s_mov_b32 s16, 0
	s_wait_loadcnt 0x0
	v_cvt_f64_i32_e32 v[34:35], v29
	v_cvt_f64_u32_e32 v[28:29], v28
	s_delay_alu instid0(VALU_DEP_2) | instskip(NEXT) | instid1(VALU_DEP_1)
	v_ldexp_f64 v[34:35], v[34:35], 32
	v_add_f64_e32 v[28:29], v[34:35], v[28:29]
	s_branch .LBB143_2920
.LBB143_2917:
	s_mov_b32 s16, -1
                                        ; implicit-def: $vgpr28_vgpr29
	s_branch .LBB143_2926
.LBB143_2918:
	s_mov_b32 s16, -1
                                        ; implicit-def: $vgpr28_vgpr29
	s_branch .LBB143_2923
.LBB143_2919:
	s_mov_b32 s16, -1
                                        ; implicit-def: $vgpr28_vgpr29
.LBB143_2920:
	s_delay_alu instid0(SALU_CYCLE_1)
	s_and_not1_b32 vcc_lo, exec_lo, s16
	s_cbranch_vccnz .LBB143_2922
; %bb.2921:
	global_load_b32 v1, v[32:33], off
	s_wait_loadcnt 0x0
	v_cvt_f64_i32_e32 v[28:29], v1
.LBB143_2922:
	s_mov_b32 s16, 0
.LBB143_2923:
	s_delay_alu instid0(SALU_CYCLE_1)
	s_and_not1_b32 vcc_lo, exec_lo, s16
	s_cbranch_vccnz .LBB143_2925
; %bb.2924:
	global_load_i16 v1, v[32:33], off
	s_wait_loadcnt 0x0
	v_cvt_f64_i32_e32 v[28:29], v1
.LBB143_2925:
	s_mov_b32 s16, 0
.LBB143_2926:
	s_delay_alu instid0(SALU_CYCLE_1)
	s_and_not1_b32 vcc_lo, exec_lo, s16
	s_cbranch_vccnz .LBB143_2932
; %bb.2927:
	s_cmp_gt_i32 s15, 0
	s_mov_b32 s16, 0
	s_cbranch_scc0 .LBB143_2929
; %bb.2928:
	global_load_i8 v1, v[32:33], off
	s_wait_loadcnt 0x0
	v_cvt_f64_i32_e32 v[28:29], v1
	s_branch .LBB143_2930
.LBB143_2929:
	s_mov_b32 s16, -1
                                        ; implicit-def: $vgpr28_vgpr29
.LBB143_2930:
	s_delay_alu instid0(SALU_CYCLE_1)
	s_and_not1_b32 vcc_lo, exec_lo, s16
	s_cbranch_vccnz .LBB143_2932
; %bb.2931:
	global_load_u8 v1, v[32:33], off
	s_wait_loadcnt 0x0
	v_cvt_f64_u32_e32 v[28:29], v1
.LBB143_2932:
	s_mov_b32 s18, -1
.LBB143_2933:
	s_delay_alu instid0(SALU_CYCLE_1)
	s_and_not1_b32 vcc_lo, exec_lo, s18
	s_cbranch_vccnz .LBB143_4155
; %bb.2934:
	v_mov_b32_e32 v27, 0
	s_cmp_lt_i32 s13, 11
	s_wait_xcnt 0x0
	s_delay_alu instid0(VALU_DEP_1)
	v_add_nc_u64_e32 v[32:33], s[6:7], v[26:27]
	s_cbranch_scc1 .LBB143_2941
; %bb.2935:
	s_cmp_gt_i32 s13, 25
	s_mov_b32 s17, 0
	s_cbranch_scc0 .LBB143_2942
; %bb.2936:
	s_cmp_gt_i32 s13, 28
	s_cbranch_scc0 .LBB143_2943
; %bb.2937:
	s_cmp_gt_i32 s13, 43
	;; [unrolled: 3-line block ×3, first 2 shown]
	s_cbranch_scc0 .LBB143_2946
; %bb.2939:
	s_cmp_eq_u32 s13, 46
	s_mov_b32 s19, 0
	s_cbranch_scc0 .LBB143_2949
; %bb.2940:
	global_load_b32 v1, v[32:33], off
	s_mov_b32 s16, 0
	s_mov_b32 s18, -1
	s_wait_loadcnt 0x0
	v_lshlrev_b32_e32 v1, 16, v1
	s_delay_alu instid0(VALU_DEP_1)
	v_cvt_f64_f32_e32 v[26:27], v1
	s_branch .LBB143_2951
.LBB143_2941:
	s_mov_b32 s16, -1
	s_mov_b32 s18, 0
                                        ; implicit-def: $vgpr26_vgpr27
	s_branch .LBB143_3017
.LBB143_2942:
	s_mov_b32 s19, -1
	s_mov_b32 s18, 0
	s_mov_b32 s16, 0
                                        ; implicit-def: $vgpr26_vgpr27
	s_branch .LBB143_2980
.LBB143_2943:
	s_mov_b32 s19, -1
	s_mov_b32 s18, 0
	s_mov_b32 s16, 0
                                        ; implicit-def: $vgpr26_vgpr27
	s_branch .LBB143_2961
.LBB143_2944:
	s_mov_b32 s19, -1
	s_mov_b32 s18, 0
	s_mov_b32 s16, 0
                                        ; implicit-def: $vgpr26_vgpr27
	s_branch .LBB143_2956
.LBB143_2945:
	s_or_b32 s12, s12, exec_lo
	s_trap 2
	s_cbranch_execz .LBB143_2882
	s_branch .LBB143_2883
.LBB143_2946:
	s_mov_b32 s19, -1
	s_mov_b32 s18, 0
	s_mov_b32 s16, 0
	s_branch .LBB143_2950
.LBB143_2947:
	s_and_not1_saveexec_b32 s59, s59
	s_cbranch_execz .LBB143_1511
.LBB143_2948:
	v_add_f32_e64 v3, 0x42800000, |v2|
	s_and_not1_b32 s58, s58, exec_lo
	s_delay_alu instid0(VALU_DEP_1) | instskip(NEXT) | instid1(VALU_DEP_1)
	v_and_b32_e32 v3, 0xff, v3
	v_cmp_ne_u32_e32 vcc_lo, 0, v3
	s_and_b32 s60, vcc_lo, exec_lo
	s_delay_alu instid0(SALU_CYCLE_1)
	s_or_b32 s58, s58, s60
	s_or_b32 exec_lo, exec_lo, s59
	v_mov_b32_e32 v5, 0
	s_and_saveexec_b32 s59, s58
	s_cbranch_execnz .LBB143_1512
	s_branch .LBB143_1513
.LBB143_2949:
	s_mov_b32 s16, -1
	s_mov_b32 s18, 0
.LBB143_2950:
                                        ; implicit-def: $vgpr26_vgpr27
.LBB143_2951:
	s_and_b32 vcc_lo, exec_lo, s19
	s_cbranch_vccz .LBB143_2955
; %bb.2952:
	s_cmp_eq_u32 s13, 44
	s_cbranch_scc0 .LBB143_2954
; %bb.2953:
	global_load_u8 v1, v[32:33], off
	s_mov_b32 s16, 0
	s_mov_b32 s18, -1
	s_wait_loadcnt 0x0
	v_lshlrev_b32_e32 v5, 23, v1
	v_cmp_ne_u32_e32 vcc_lo, 0xff, v1
	s_delay_alu instid0(VALU_DEP_2) | instskip(NEXT) | instid1(VALU_DEP_1)
	v_cvt_f64_f32_e32 v[26:27], v5
	v_cndmask_b32_e32 v5, 0x20000000, v26, vcc_lo
	s_delay_alu instid0(VALU_DEP_2) | instskip(SKIP_1) | instid1(VALU_DEP_2)
	v_cndmask_b32_e32 v7, 0x7ff80000, v27, vcc_lo
	v_cmp_ne_u32_e32 vcc_lo, 0, v1
	v_cndmask_b32_e32 v27, 0x38000000, v7, vcc_lo
	s_delay_alu instid0(VALU_DEP_4)
	v_cndmask_b32_e32 v26, 0, v5, vcc_lo
	s_branch .LBB143_2955
.LBB143_2954:
	s_mov_b32 s16, -1
                                        ; implicit-def: $vgpr26_vgpr27
.LBB143_2955:
	s_mov_b32 s19, 0
.LBB143_2956:
	s_delay_alu instid0(SALU_CYCLE_1)
	s_and_b32 vcc_lo, exec_lo, s19
	s_cbranch_vccz .LBB143_2960
; %bb.2957:
	s_cmp_eq_u32 s13, 29
	s_cbranch_scc0 .LBB143_2959
; %bb.2958:
	global_load_b64 v[26:27], v[32:33], off
	s_mov_b32 s16, 0
	s_mov_b32 s18, -1
	s_mov_b32 s19, 0
	s_wait_loadcnt 0x0
	v_cvt_f64_u32_e32 v[34:35], v27
	v_cvt_f64_u32_e32 v[26:27], v26
	s_delay_alu instid0(VALU_DEP_2) | instskip(NEXT) | instid1(VALU_DEP_1)
	v_ldexp_f64 v[34:35], v[34:35], 32
	v_add_f64_e32 v[26:27], v[34:35], v[26:27]
	s_branch .LBB143_2961
.LBB143_2959:
	s_mov_b32 s16, -1
                                        ; implicit-def: $vgpr26_vgpr27
.LBB143_2960:
	s_mov_b32 s19, 0
.LBB143_2961:
	s_delay_alu instid0(SALU_CYCLE_1)
	s_and_b32 vcc_lo, exec_lo, s19
	s_cbranch_vccz .LBB143_2979
; %bb.2962:
	s_cmp_lt_i32 s13, 27
	s_cbranch_scc1 .LBB143_2965
; %bb.2963:
	s_cmp_gt_i32 s13, 27
	s_cbranch_scc0 .LBB143_2966
; %bb.2964:
	global_load_b32 v1, v[32:33], off
	s_mov_b32 s18, 0
	s_wait_loadcnt 0x0
	v_cvt_f64_u32_e32 v[26:27], v1
	s_branch .LBB143_2967
.LBB143_2965:
	s_mov_b32 s18, -1
                                        ; implicit-def: $vgpr26_vgpr27
	s_branch .LBB143_2970
.LBB143_2966:
	s_mov_b32 s18, -1
                                        ; implicit-def: $vgpr26_vgpr27
.LBB143_2967:
	s_delay_alu instid0(SALU_CYCLE_1)
	s_and_not1_b32 vcc_lo, exec_lo, s18
	s_cbranch_vccnz .LBB143_2969
; %bb.2968:
	global_load_u16 v1, v[32:33], off
	s_wait_loadcnt 0x0
	v_cvt_f64_u32_e32 v[26:27], v1
.LBB143_2969:
	s_mov_b32 s18, 0
.LBB143_2970:
	s_delay_alu instid0(SALU_CYCLE_1)
	s_and_not1_b32 vcc_lo, exec_lo, s18
	s_cbranch_vccnz .LBB143_2978
; %bb.2971:
	global_load_u8 v1, v[32:33], off
	s_mov_b32 s18, 0
	s_mov_b32 s19, exec_lo
	s_wait_loadcnt 0x0
	v_cmpx_lt_i16_e32 0x7f, v1
	s_xor_b32 s19, exec_lo, s19
	s_cbranch_execz .LBB143_2992
; %bb.2972:
	s_mov_b32 s18, -1
	s_mov_b32 s20, exec_lo
	v_cmpx_eq_u16_e32 0x80, v1
; %bb.2973:
	s_xor_b32 s18, exec_lo, -1
; %bb.2974:
	s_or_b32 exec_lo, exec_lo, s20
	s_delay_alu instid0(SALU_CYCLE_1)
	s_and_b32 s18, s18, exec_lo
	s_or_saveexec_b32 s19, s19
	v_mov_b64_e32 v[26:27], 0x7ff8000020000000
	s_xor_b32 exec_lo, exec_lo, s19
	s_cbranch_execnz .LBB143_2993
.LBB143_2975:
	s_or_b32 exec_lo, exec_lo, s19
	s_and_saveexec_b32 s19, s18
	s_cbranch_execz .LBB143_2977
.LBB143_2976:
	v_and_b32_e32 v5, 0xffff, v1
	v_lshlrev_b32_e32 v1, 24, v1
	s_delay_alu instid0(VALU_DEP_2) | instskip(SKIP_1) | instid1(VALU_DEP_3)
	v_and_b32_e32 v7, 7, v5
	v_bfe_u32 v15, v5, 3, 4
	v_and_b32_e32 v1, 0x80000000, v1
	s_delay_alu instid0(VALU_DEP_3) | instskip(NEXT) | instid1(VALU_DEP_3)
	v_clz_i32_u32_e32 v9, v7
	v_cmp_eq_u32_e32 vcc_lo, 0, v15
	s_delay_alu instid0(VALU_DEP_2) | instskip(NEXT) | instid1(VALU_DEP_1)
	v_min_u32_e32 v9, 32, v9
	v_subrev_nc_u32_e32 v11, 28, v9
	v_sub_nc_u32_e32 v9, 29, v9
	s_delay_alu instid0(VALU_DEP_2) | instskip(NEXT) | instid1(VALU_DEP_2)
	v_lshlrev_b32_e32 v5, v11, v5
	v_cndmask_b32_e32 v9, v15, v9, vcc_lo
	s_delay_alu instid0(VALU_DEP_2) | instskip(NEXT) | instid1(VALU_DEP_1)
	v_and_b32_e32 v5, 7, v5
	v_cndmask_b32_e32 v5, v7, v5, vcc_lo
	s_delay_alu instid0(VALU_DEP_3) | instskip(NEXT) | instid1(VALU_DEP_2)
	v_lshl_add_u32 v7, v9, 23, 0x3b800000
	v_lshlrev_b32_e32 v5, 20, v5
	s_delay_alu instid0(VALU_DEP_1) | instskip(NEXT) | instid1(VALU_DEP_1)
	v_or3_b32 v1, v1, v7, v5
	v_cvt_f64_f32_e32 v[26:27], v1
.LBB143_2977:
	s_or_b32 exec_lo, exec_lo, s19
.LBB143_2978:
	s_mov_b32 s18, -1
.LBB143_2979:
	s_mov_b32 s19, 0
.LBB143_2980:
	s_delay_alu instid0(SALU_CYCLE_1)
	s_and_b32 vcc_lo, exec_lo, s19
	s_cbranch_vccz .LBB143_3013
; %bb.2981:
	s_cmp_gt_i32 s13, 22
	s_cbranch_scc0 .LBB143_2991
; %bb.2982:
	s_cmp_lt_i32 s13, 24
	s_cbranch_scc1 .LBB143_2994
; %bb.2983:
	s_cmp_gt_i32 s13, 24
	s_cbranch_scc0 .LBB143_2995
; %bb.2984:
	global_load_u8 v1, v[32:33], off
	s_mov_b32 s18, exec_lo
	s_wait_loadcnt 0x0
	v_cmpx_lt_i16_e32 0x7f, v1
	s_xor_b32 s18, exec_lo, s18
	s_cbranch_execz .LBB143_3007
; %bb.2985:
	s_mov_b32 s17, -1
	s_mov_b32 s19, exec_lo
	v_cmpx_eq_u16_e32 0x80, v1
; %bb.2986:
	s_xor_b32 s17, exec_lo, -1
; %bb.2987:
	s_or_b32 exec_lo, exec_lo, s19
	s_delay_alu instid0(SALU_CYCLE_1)
	s_and_b32 s17, s17, exec_lo
	s_or_saveexec_b32 s18, s18
	v_mov_b64_e32 v[26:27], 0x7ff8000020000000
	s_xor_b32 exec_lo, exec_lo, s18
	s_cbranch_execnz .LBB143_3008
.LBB143_2988:
	s_or_b32 exec_lo, exec_lo, s18
	s_and_saveexec_b32 s18, s17
	s_cbranch_execz .LBB143_2990
.LBB143_2989:
	v_and_b32_e32 v5, 0xffff, v1
	v_lshlrev_b32_e32 v1, 24, v1
	s_delay_alu instid0(VALU_DEP_2) | instskip(SKIP_1) | instid1(VALU_DEP_3)
	v_and_b32_e32 v7, 3, v5
	v_bfe_u32 v15, v5, 2, 5
	v_and_b32_e32 v1, 0x80000000, v1
	s_delay_alu instid0(VALU_DEP_3) | instskip(NEXT) | instid1(VALU_DEP_3)
	v_clz_i32_u32_e32 v9, v7
	v_cmp_eq_u32_e32 vcc_lo, 0, v15
	s_delay_alu instid0(VALU_DEP_2) | instskip(NEXT) | instid1(VALU_DEP_1)
	v_min_u32_e32 v9, 32, v9
	v_subrev_nc_u32_e32 v11, 29, v9
	v_sub_nc_u32_e32 v9, 30, v9
	s_delay_alu instid0(VALU_DEP_2) | instskip(NEXT) | instid1(VALU_DEP_2)
	v_lshlrev_b32_e32 v5, v11, v5
	v_cndmask_b32_e32 v9, v15, v9, vcc_lo
	s_delay_alu instid0(VALU_DEP_2) | instskip(NEXT) | instid1(VALU_DEP_1)
	v_and_b32_e32 v5, 3, v5
	v_cndmask_b32_e32 v5, v7, v5, vcc_lo
	s_delay_alu instid0(VALU_DEP_3) | instskip(NEXT) | instid1(VALU_DEP_2)
	v_lshl_add_u32 v7, v9, 23, 0x37800000
	v_lshlrev_b32_e32 v5, 21, v5
	s_delay_alu instid0(VALU_DEP_1) | instskip(NEXT) | instid1(VALU_DEP_1)
	v_or3_b32 v1, v1, v7, v5
	v_cvt_f64_f32_e32 v[26:27], v1
.LBB143_2990:
	s_or_b32 exec_lo, exec_lo, s18
	s_mov_b32 s17, 0
	s_branch .LBB143_2996
.LBB143_2991:
	s_mov_b32 s17, -1
                                        ; implicit-def: $vgpr26_vgpr27
	s_branch .LBB143_3002
.LBB143_2992:
	s_or_saveexec_b32 s19, s19
	v_mov_b64_e32 v[26:27], 0x7ff8000020000000
	s_xor_b32 exec_lo, exec_lo, s19
	s_cbranch_execz .LBB143_2975
.LBB143_2993:
	v_cmp_ne_u16_e32 vcc_lo, 0, v1
	v_mov_b64_e32 v[26:27], 0
	s_and_not1_b32 s18, s18, exec_lo
	s_and_b32 s20, vcc_lo, exec_lo
	s_delay_alu instid0(SALU_CYCLE_1)
	s_or_b32 s18, s18, s20
	s_or_b32 exec_lo, exec_lo, s19
	s_and_saveexec_b32 s19, s18
	s_cbranch_execnz .LBB143_2976
	s_branch .LBB143_2977
.LBB143_2994:
	s_mov_b32 s17, -1
                                        ; implicit-def: $vgpr26_vgpr27
	s_branch .LBB143_2999
.LBB143_2995:
	s_mov_b32 s17, -1
                                        ; implicit-def: $vgpr26_vgpr27
.LBB143_2996:
	s_delay_alu instid0(SALU_CYCLE_1)
	s_and_b32 vcc_lo, exec_lo, s17
	s_cbranch_vccz .LBB143_2998
; %bb.2997:
	global_load_u8 v1, v[32:33], off
	s_wait_loadcnt 0x0
	v_lshlrev_b32_e32 v1, 24, v1
	s_delay_alu instid0(VALU_DEP_1) | instskip(NEXT) | instid1(VALU_DEP_1)
	v_and_b32_e32 v5, 0x7f000000, v1
	v_clz_i32_u32_e32 v7, v5
	v_cmp_ne_u32_e32 vcc_lo, 0, v5
	v_add_nc_u32_e32 v11, 0x1000000, v5
	s_delay_alu instid0(VALU_DEP_3) | instskip(NEXT) | instid1(VALU_DEP_1)
	v_min_u32_e32 v7, 32, v7
	v_sub_nc_u32_e64 v7, v7, 4 clamp
	s_delay_alu instid0(VALU_DEP_1) | instskip(NEXT) | instid1(VALU_DEP_1)
	v_dual_lshlrev_b32 v9, v7, v5 :: v_dual_lshlrev_b32 v7, 23, v7
	v_lshrrev_b32_e32 v9, 4, v9
	s_delay_alu instid0(VALU_DEP_1) | instskip(SKIP_1) | instid1(VALU_DEP_2)
	v_sub_nc_u32_e32 v7, v9, v7
	v_ashrrev_i32_e32 v9, 8, v11
	v_add_nc_u32_e32 v7, 0x3c000000, v7
	s_delay_alu instid0(VALU_DEP_1) | instskip(NEXT) | instid1(VALU_DEP_1)
	v_and_or_b32 v7, 0x7f800000, v9, v7
	v_cndmask_b32_e32 v5, 0, v7, vcc_lo
	s_delay_alu instid0(VALU_DEP_1) | instskip(NEXT) | instid1(VALU_DEP_1)
	v_and_or_b32 v1, 0x80000000, v1, v5
	v_cvt_f64_f32_e32 v[26:27], v1
.LBB143_2998:
	s_mov_b32 s17, 0
.LBB143_2999:
	s_delay_alu instid0(SALU_CYCLE_1)
	s_and_not1_b32 vcc_lo, exec_lo, s17
	s_cbranch_vccnz .LBB143_3001
; %bb.3000:
	global_load_u8 v1, v[32:33], off
	s_wait_loadcnt 0x0
	v_lshlrev_b32_e32 v5, 25, v1
	v_lshlrev_b16 v1, 8, v1
	s_delay_alu instid0(VALU_DEP_2) | instskip(NEXT) | instid1(VALU_DEP_2)
	v_lshrrev_b32_e32 v7, 4, v5
	v_and_or_b32 v9, 0x7f00, v1, 0.5
	v_cmp_gt_u32_e32 vcc_lo, 0x8000000, v5
	v_bfe_i32 v1, v1, 0, 16
	s_delay_alu instid0(VALU_DEP_4) | instskip(NEXT) | instid1(VALU_DEP_4)
	v_or_b32_e32 v7, 0x70000000, v7
	v_add_f32_e32 v9, -0.5, v9
	s_delay_alu instid0(VALU_DEP_2) | instskip(NEXT) | instid1(VALU_DEP_1)
	v_mul_f32_e32 v7, 0x7800000, v7
	v_cndmask_b32_e32 v5, v7, v9, vcc_lo
	s_delay_alu instid0(VALU_DEP_1) | instskip(NEXT) | instid1(VALU_DEP_1)
	v_and_or_b32 v1, 0x80000000, v1, v5
	v_cvt_f64_f32_e32 v[26:27], v1
.LBB143_3001:
	s_mov_b32 s17, 0
	s_mov_b32 s18, -1
.LBB143_3002:
	s_and_not1_b32 vcc_lo, exec_lo, s17
	s_mov_b32 s17, 0
	s_cbranch_vccnz .LBB143_3013
; %bb.3003:
	s_cmp_gt_i32 s13, 14
	s_cbranch_scc0 .LBB143_3006
; %bb.3004:
	s_cmp_eq_u32 s13, 15
	s_cbranch_scc0 .LBB143_3009
; %bb.3005:
	global_load_u16 v1, v[32:33], off
	s_mov_b32 s16, 0
	s_mov_b32 s18, -1
	s_wait_loadcnt 0x0
	v_lshlrev_b32_e32 v1, 16, v1
	s_delay_alu instid0(VALU_DEP_1)
	v_cvt_f64_f32_e32 v[26:27], v1
	s_branch .LBB143_3011
.LBB143_3006:
	s_mov_b32 s17, -1
	s_branch .LBB143_3010
.LBB143_3007:
	s_or_saveexec_b32 s18, s18
	v_mov_b64_e32 v[26:27], 0x7ff8000020000000
	s_xor_b32 exec_lo, exec_lo, s18
	s_cbranch_execz .LBB143_2988
.LBB143_3008:
	v_cmp_ne_u16_e32 vcc_lo, 0, v1
	v_mov_b64_e32 v[26:27], 0
	s_and_not1_b32 s17, s17, exec_lo
	s_and_b32 s19, vcc_lo, exec_lo
	s_delay_alu instid0(SALU_CYCLE_1)
	s_or_b32 s17, s17, s19
	s_or_b32 exec_lo, exec_lo, s18
	s_and_saveexec_b32 s18, s17
	s_cbranch_execnz .LBB143_2989
	s_branch .LBB143_2990
.LBB143_3009:
	s_mov_b32 s16, -1
.LBB143_3010:
                                        ; implicit-def: $vgpr26_vgpr27
.LBB143_3011:
	s_and_b32 vcc_lo, exec_lo, s17
	s_mov_b32 s17, 0
	s_cbranch_vccz .LBB143_3013
; %bb.3012:
	s_cmp_lg_u32 s13, 11
	s_mov_b32 s17, -1
	s_cselect_b32 s16, -1, 0
.LBB143_3013:
	s_delay_alu instid0(SALU_CYCLE_1)
	s_and_b32 vcc_lo, exec_lo, s16
	s_cbranch_vccnz .LBB143_3078
; %bb.3014:
	s_and_not1_b32 vcc_lo, exec_lo, s17
	s_cbranch_vccnz .LBB143_3016
.LBB143_3015:
	global_load_u8 v1, v[32:33], off
	v_mov_b32_e32 v26, 0
	s_mov_b32 s18, -1
	s_wait_loadcnt 0x0
	v_cmp_ne_u16_e32 vcc_lo, 0, v1
	v_cndmask_b32_e64 v27, 0, 0x3ff00000, vcc_lo
.LBB143_3016:
	s_mov_b32 s16, 0
.LBB143_3017:
	s_delay_alu instid0(SALU_CYCLE_1)
	s_and_b32 vcc_lo, exec_lo, s16
	s_cbranch_vccz .LBB143_3066
; %bb.3018:
	s_cmp_lt_i32 s13, 5
	s_cbranch_scc1 .LBB143_3023
; %bb.3019:
	s_cmp_lt_i32 s13, 8
	s_cbranch_scc1 .LBB143_3024
	;; [unrolled: 3-line block ×3, first 2 shown]
; %bb.3021:
	s_cmp_gt_i32 s13, 9
	s_cbranch_scc0 .LBB143_3026
; %bb.3022:
	global_load_b64 v[26:27], v[32:33], off
	s_mov_b32 s16, 0
	s_branch .LBB143_3027
.LBB143_3023:
	s_mov_b32 s16, -1
                                        ; implicit-def: $vgpr26_vgpr27
	s_branch .LBB143_3045
.LBB143_3024:
	s_mov_b32 s16, -1
                                        ; implicit-def: $vgpr26_vgpr27
	s_branch .LBB143_3033
.LBB143_3025:
	s_mov_b32 s16, -1
                                        ; implicit-def: $vgpr26_vgpr27
	s_branch .LBB143_3030
.LBB143_3026:
	s_mov_b32 s16, -1
                                        ; implicit-def: $vgpr26_vgpr27
.LBB143_3027:
	s_delay_alu instid0(SALU_CYCLE_1)
	s_and_not1_b32 vcc_lo, exec_lo, s16
	s_cbranch_vccnz .LBB143_3029
; %bb.3028:
	global_load_b32 v1, v[32:33], off
	s_wait_loadcnt 0x0
	v_cvt_f64_f32_e32 v[26:27], v1
.LBB143_3029:
	s_mov_b32 s16, 0
.LBB143_3030:
	s_delay_alu instid0(SALU_CYCLE_1)
	s_and_not1_b32 vcc_lo, exec_lo, s16
	s_cbranch_vccnz .LBB143_3032
; %bb.3031:
	global_load_b32 v1, v[32:33], off
	s_wait_loadcnt 0x0
	v_cvt_f32_f16_e32 v1, v1
	s_delay_alu instid0(VALU_DEP_1)
	v_cvt_f64_f32_e32 v[26:27], v1
.LBB143_3032:
	s_mov_b32 s16, 0
.LBB143_3033:
	s_delay_alu instid0(SALU_CYCLE_1)
	s_and_not1_b32 vcc_lo, exec_lo, s16
	s_cbranch_vccnz .LBB143_3044
; %bb.3034:
	s_cmp_lt_i32 s13, 6
	s_cbranch_scc1 .LBB143_3037
; %bb.3035:
	s_cmp_gt_i32 s13, 6
	s_cbranch_scc0 .LBB143_3038
; %bb.3036:
	s_wait_loadcnt 0x0
	global_load_b64 v[26:27], v[32:33], off
	s_mov_b32 s16, 0
	s_branch .LBB143_3039
.LBB143_3037:
	s_mov_b32 s16, -1
                                        ; implicit-def: $vgpr26_vgpr27
	s_branch .LBB143_3042
.LBB143_3038:
	s_mov_b32 s16, -1
                                        ; implicit-def: $vgpr26_vgpr27
.LBB143_3039:
	s_delay_alu instid0(SALU_CYCLE_1)
	s_and_not1_b32 vcc_lo, exec_lo, s16
	s_cbranch_vccnz .LBB143_3041
; %bb.3040:
	global_load_b32 v1, v[32:33], off
	s_wait_loadcnt 0x0
	v_cvt_f64_f32_e32 v[26:27], v1
.LBB143_3041:
	s_mov_b32 s16, 0
.LBB143_3042:
	s_delay_alu instid0(SALU_CYCLE_1)
	s_and_not1_b32 vcc_lo, exec_lo, s16
	s_cbranch_vccnz .LBB143_3044
; %bb.3043:
	global_load_u16 v1, v[32:33], off
	s_wait_loadcnt 0x0
	v_cvt_f32_f16_e32 v1, v1
	s_delay_alu instid0(VALU_DEP_1)
	v_cvt_f64_f32_e32 v[26:27], v1
.LBB143_3044:
	s_mov_b32 s16, 0
.LBB143_3045:
	s_delay_alu instid0(SALU_CYCLE_1)
	s_and_not1_b32 vcc_lo, exec_lo, s16
	s_cbranch_vccnz .LBB143_3065
; %bb.3046:
	s_cmp_lt_i32 s13, 2
	s_cbranch_scc1 .LBB143_3050
; %bb.3047:
	s_cmp_lt_i32 s13, 3
	s_cbranch_scc1 .LBB143_3051
; %bb.3048:
	s_cmp_gt_i32 s13, 3
	s_cbranch_scc0 .LBB143_3052
; %bb.3049:
	s_wait_loadcnt 0x0
	global_load_b64 v[26:27], v[32:33], off
	s_mov_b32 s16, 0
	s_wait_loadcnt 0x0
	v_cvt_f64_i32_e32 v[34:35], v27
	v_cvt_f64_u32_e32 v[26:27], v26
	s_delay_alu instid0(VALU_DEP_2) | instskip(NEXT) | instid1(VALU_DEP_1)
	v_ldexp_f64 v[34:35], v[34:35], 32
	v_add_f64_e32 v[26:27], v[34:35], v[26:27]
	s_branch .LBB143_3053
.LBB143_3050:
	s_mov_b32 s16, -1
                                        ; implicit-def: $vgpr26_vgpr27
	s_branch .LBB143_3059
.LBB143_3051:
	s_mov_b32 s16, -1
                                        ; implicit-def: $vgpr26_vgpr27
	s_branch .LBB143_3056
.LBB143_3052:
	s_mov_b32 s16, -1
                                        ; implicit-def: $vgpr26_vgpr27
.LBB143_3053:
	s_delay_alu instid0(SALU_CYCLE_1)
	s_and_not1_b32 vcc_lo, exec_lo, s16
	s_cbranch_vccnz .LBB143_3055
; %bb.3054:
	global_load_b32 v1, v[32:33], off
	s_wait_loadcnt 0x0
	v_cvt_f64_i32_e32 v[26:27], v1
.LBB143_3055:
	s_mov_b32 s16, 0
.LBB143_3056:
	s_delay_alu instid0(SALU_CYCLE_1)
	s_and_not1_b32 vcc_lo, exec_lo, s16
	s_cbranch_vccnz .LBB143_3058
; %bb.3057:
	global_load_i16 v1, v[32:33], off
	s_wait_loadcnt 0x0
	v_cvt_f64_i32_e32 v[26:27], v1
.LBB143_3058:
	s_mov_b32 s16, 0
.LBB143_3059:
	s_delay_alu instid0(SALU_CYCLE_1)
	s_and_not1_b32 vcc_lo, exec_lo, s16
	s_cbranch_vccnz .LBB143_3065
; %bb.3060:
	s_cmp_gt_i32 s13, 0
	s_mov_b32 s16, 0
	s_cbranch_scc0 .LBB143_3062
; %bb.3061:
	global_load_i8 v1, v[32:33], off
	s_wait_loadcnt 0x0
	v_cvt_f64_i32_e32 v[26:27], v1
	s_branch .LBB143_3063
.LBB143_3062:
	s_mov_b32 s16, -1
                                        ; implicit-def: $vgpr26_vgpr27
.LBB143_3063:
	s_delay_alu instid0(SALU_CYCLE_1)
	s_and_not1_b32 vcc_lo, exec_lo, s16
	s_cbranch_vccnz .LBB143_3065
; %bb.3064:
	global_load_u8 v1, v[32:33], off
	s_wait_loadcnt 0x0
	v_cvt_f64_u32_e32 v[26:27], v1
.LBB143_3065:
	s_mov_b32 s18, -1
.LBB143_3066:
	s_delay_alu instid0(SALU_CYCLE_1)
	s_and_not1_b32 vcc_lo, exec_lo, s18
	s_cbranch_vccnz .LBB143_4155
; %bb.3067:
	v_mov_b32_e32 v31, 0
	s_cmp_lt_i32 s14, 11
	s_wait_xcnt 0x0
	s_delay_alu instid0(VALU_DEP_1)
	v_add_nc_u64_e32 v[32:33], s[0:1], v[30:31]
	s_cbranch_scc1 .LBB143_3074
; %bb.3068:
	s_cmp_gt_i32 s14, 25
	s_mov_b32 s17, 0
	s_cbranch_scc0 .LBB143_3075
; %bb.3069:
	s_cmp_gt_i32 s14, 28
	s_cbranch_scc0 .LBB143_3076
; %bb.3070:
	s_cmp_gt_i32 s14, 43
	;; [unrolled: 3-line block ×3, first 2 shown]
	s_cbranch_scc0 .LBB143_3079
; %bb.3072:
	s_cmp_eq_u32 s14, 46
	s_mov_b32 s19, 0
	s_cbranch_scc0 .LBB143_3080
; %bb.3073:
	global_load_b32 v1, v[32:33], off
	s_mov_b32 s16, 0
	s_mov_b32 s18, -1
	s_wait_loadcnt 0x0
	v_lshlrev_b32_e32 v1, 16, v1
	s_delay_alu instid0(VALU_DEP_1)
	v_cvt_f64_f32_e32 v[30:31], v1
	s_branch .LBB143_3082
.LBB143_3074:
	s_mov_b32 s16, -1
	s_mov_b32 s18, 0
                                        ; implicit-def: $vgpr30_vgpr31
	s_branch .LBB143_3148
.LBB143_3075:
	s_mov_b32 s19, -1
	s_mov_b32 s18, 0
	s_mov_b32 s16, 0
                                        ; implicit-def: $vgpr30_vgpr31
	s_branch .LBB143_3111
.LBB143_3076:
	s_mov_b32 s19, -1
	s_mov_b32 s18, 0
	s_mov_b32 s16, 0
                                        ; implicit-def: $vgpr30_vgpr31
	s_branch .LBB143_3092
.LBB143_3077:
	s_mov_b32 s19, -1
	s_mov_b32 s18, 0
	s_mov_b32 s16, 0
                                        ; implicit-def: $vgpr30_vgpr31
	s_branch .LBB143_3087
.LBB143_3078:
	s_or_b32 s12, s12, exec_lo
	s_trap 2
	s_cbranch_execz .LBB143_3015
	s_branch .LBB143_3016
.LBB143_3079:
	s_mov_b32 s19, -1
	s_mov_b32 s18, 0
	s_mov_b32 s16, 0
	s_branch .LBB143_3081
.LBB143_3080:
	s_mov_b32 s16, -1
	s_mov_b32 s18, 0
.LBB143_3081:
                                        ; implicit-def: $vgpr30_vgpr31
.LBB143_3082:
	s_and_b32 vcc_lo, exec_lo, s19
	s_cbranch_vccz .LBB143_3086
; %bb.3083:
	s_cmp_eq_u32 s14, 44
	s_cbranch_scc0 .LBB143_3085
; %bb.3084:
	global_load_u8 v1, v[32:33], off
	s_mov_b32 s16, 0
	s_mov_b32 s18, -1
	s_wait_loadcnt 0x0
	v_lshlrev_b32_e32 v5, 23, v1
	v_cmp_ne_u32_e32 vcc_lo, 0xff, v1
	s_delay_alu instid0(VALU_DEP_2) | instskip(NEXT) | instid1(VALU_DEP_1)
	v_cvt_f64_f32_e32 v[30:31], v5
	v_cndmask_b32_e32 v5, 0x20000000, v30, vcc_lo
	s_delay_alu instid0(VALU_DEP_2) | instskip(SKIP_1) | instid1(VALU_DEP_2)
	v_cndmask_b32_e32 v7, 0x7ff80000, v31, vcc_lo
	v_cmp_ne_u32_e32 vcc_lo, 0, v1
	v_cndmask_b32_e32 v31, 0x38000000, v7, vcc_lo
	s_delay_alu instid0(VALU_DEP_4)
	v_cndmask_b32_e32 v30, 0, v5, vcc_lo
	s_branch .LBB143_3086
.LBB143_3085:
	s_mov_b32 s16, -1
                                        ; implicit-def: $vgpr30_vgpr31
.LBB143_3086:
	s_mov_b32 s19, 0
.LBB143_3087:
	s_delay_alu instid0(SALU_CYCLE_1)
	s_and_b32 vcc_lo, exec_lo, s19
	s_cbranch_vccz .LBB143_3091
; %bb.3088:
	s_cmp_eq_u32 s14, 29
	s_cbranch_scc0 .LBB143_3090
; %bb.3089:
	global_load_b64 v[30:31], v[32:33], off
	s_mov_b32 s16, 0
	s_mov_b32 s18, -1
	s_mov_b32 s19, 0
	s_wait_loadcnt 0x0
	v_cvt_f64_u32_e32 v[34:35], v31
	v_cvt_f64_u32_e32 v[30:31], v30
	s_delay_alu instid0(VALU_DEP_2) | instskip(NEXT) | instid1(VALU_DEP_1)
	v_ldexp_f64 v[34:35], v[34:35], 32
	v_add_f64_e32 v[30:31], v[34:35], v[30:31]
	s_branch .LBB143_3092
.LBB143_3090:
	s_mov_b32 s16, -1
                                        ; implicit-def: $vgpr30_vgpr31
.LBB143_3091:
	s_mov_b32 s19, 0
.LBB143_3092:
	s_delay_alu instid0(SALU_CYCLE_1)
	s_and_b32 vcc_lo, exec_lo, s19
	s_cbranch_vccz .LBB143_3110
; %bb.3093:
	s_cmp_lt_i32 s14, 27
	s_cbranch_scc1 .LBB143_3096
; %bb.3094:
	s_cmp_gt_i32 s14, 27
	s_cbranch_scc0 .LBB143_3097
; %bb.3095:
	global_load_b32 v1, v[32:33], off
	s_mov_b32 s18, 0
	s_wait_loadcnt 0x0
	v_cvt_f64_u32_e32 v[30:31], v1
	s_branch .LBB143_3098
.LBB143_3096:
	s_mov_b32 s18, -1
                                        ; implicit-def: $vgpr30_vgpr31
	s_branch .LBB143_3101
.LBB143_3097:
	s_mov_b32 s18, -1
                                        ; implicit-def: $vgpr30_vgpr31
.LBB143_3098:
	s_delay_alu instid0(SALU_CYCLE_1)
	s_and_not1_b32 vcc_lo, exec_lo, s18
	s_cbranch_vccnz .LBB143_3100
; %bb.3099:
	global_load_u16 v1, v[32:33], off
	s_wait_loadcnt 0x0
	v_cvt_f64_u32_e32 v[30:31], v1
.LBB143_3100:
	s_mov_b32 s18, 0
.LBB143_3101:
	s_delay_alu instid0(SALU_CYCLE_1)
	s_and_not1_b32 vcc_lo, exec_lo, s18
	s_cbranch_vccnz .LBB143_3109
; %bb.3102:
	global_load_u8 v1, v[32:33], off
	s_mov_b32 s18, 0
	s_mov_b32 s19, exec_lo
	s_wait_loadcnt 0x0
	v_cmpx_lt_i16_e32 0x7f, v1
	s_xor_b32 s19, exec_lo, s19
	s_cbranch_execz .LBB143_3123
; %bb.3103:
	s_mov_b32 s18, -1
	s_mov_b32 s20, exec_lo
	v_cmpx_eq_u16_e32 0x80, v1
; %bb.3104:
	s_xor_b32 s18, exec_lo, -1
; %bb.3105:
	s_or_b32 exec_lo, exec_lo, s20
	s_delay_alu instid0(SALU_CYCLE_1)
	s_and_b32 s18, s18, exec_lo
	s_or_saveexec_b32 s19, s19
	v_mov_b64_e32 v[30:31], 0x7ff8000020000000
	s_xor_b32 exec_lo, exec_lo, s19
	s_cbranch_execnz .LBB143_3124
.LBB143_3106:
	s_or_b32 exec_lo, exec_lo, s19
	s_and_saveexec_b32 s19, s18
	s_cbranch_execz .LBB143_3108
.LBB143_3107:
	v_and_b32_e32 v5, 0xffff, v1
	v_lshlrev_b32_e32 v1, 24, v1
	s_delay_alu instid0(VALU_DEP_2) | instskip(SKIP_1) | instid1(VALU_DEP_3)
	v_and_b32_e32 v7, 7, v5
	v_bfe_u32 v15, v5, 3, 4
	v_and_b32_e32 v1, 0x80000000, v1
	s_delay_alu instid0(VALU_DEP_3) | instskip(NEXT) | instid1(VALU_DEP_3)
	v_clz_i32_u32_e32 v9, v7
	v_cmp_eq_u32_e32 vcc_lo, 0, v15
	s_delay_alu instid0(VALU_DEP_2) | instskip(NEXT) | instid1(VALU_DEP_1)
	v_min_u32_e32 v9, 32, v9
	v_subrev_nc_u32_e32 v11, 28, v9
	v_sub_nc_u32_e32 v9, 29, v9
	s_delay_alu instid0(VALU_DEP_2) | instskip(NEXT) | instid1(VALU_DEP_2)
	v_lshlrev_b32_e32 v5, v11, v5
	v_cndmask_b32_e32 v9, v15, v9, vcc_lo
	s_delay_alu instid0(VALU_DEP_2) | instskip(NEXT) | instid1(VALU_DEP_1)
	v_and_b32_e32 v5, 7, v5
	v_cndmask_b32_e32 v5, v7, v5, vcc_lo
	s_delay_alu instid0(VALU_DEP_3) | instskip(NEXT) | instid1(VALU_DEP_2)
	v_lshl_add_u32 v7, v9, 23, 0x3b800000
	v_lshlrev_b32_e32 v5, 20, v5
	s_delay_alu instid0(VALU_DEP_1) | instskip(NEXT) | instid1(VALU_DEP_1)
	v_or3_b32 v1, v1, v7, v5
	v_cvt_f64_f32_e32 v[30:31], v1
.LBB143_3108:
	s_or_b32 exec_lo, exec_lo, s19
.LBB143_3109:
	s_mov_b32 s18, -1
.LBB143_3110:
	s_mov_b32 s19, 0
.LBB143_3111:
	s_delay_alu instid0(SALU_CYCLE_1)
	s_and_b32 vcc_lo, exec_lo, s19
	s_cbranch_vccz .LBB143_3144
; %bb.3112:
	s_cmp_gt_i32 s14, 22
	s_cbranch_scc0 .LBB143_3122
; %bb.3113:
	s_cmp_lt_i32 s14, 24
	s_cbranch_scc1 .LBB143_3125
; %bb.3114:
	s_cmp_gt_i32 s14, 24
	s_cbranch_scc0 .LBB143_3126
; %bb.3115:
	global_load_u8 v1, v[32:33], off
	s_mov_b32 s18, exec_lo
	s_wait_loadcnt 0x0
	v_cmpx_lt_i16_e32 0x7f, v1
	s_xor_b32 s18, exec_lo, s18
	s_cbranch_execz .LBB143_3138
; %bb.3116:
	s_mov_b32 s17, -1
	s_mov_b32 s19, exec_lo
	v_cmpx_eq_u16_e32 0x80, v1
; %bb.3117:
	s_xor_b32 s17, exec_lo, -1
; %bb.3118:
	s_or_b32 exec_lo, exec_lo, s19
	s_delay_alu instid0(SALU_CYCLE_1)
	s_and_b32 s17, s17, exec_lo
	s_or_saveexec_b32 s18, s18
	v_mov_b64_e32 v[30:31], 0x7ff8000020000000
	s_xor_b32 exec_lo, exec_lo, s18
	s_cbranch_execnz .LBB143_3139
.LBB143_3119:
	s_or_b32 exec_lo, exec_lo, s18
	s_and_saveexec_b32 s18, s17
	s_cbranch_execz .LBB143_3121
.LBB143_3120:
	v_and_b32_e32 v5, 0xffff, v1
	v_lshlrev_b32_e32 v1, 24, v1
	s_delay_alu instid0(VALU_DEP_2) | instskip(SKIP_1) | instid1(VALU_DEP_3)
	v_and_b32_e32 v7, 3, v5
	v_bfe_u32 v15, v5, 2, 5
	v_and_b32_e32 v1, 0x80000000, v1
	s_delay_alu instid0(VALU_DEP_3) | instskip(NEXT) | instid1(VALU_DEP_3)
	v_clz_i32_u32_e32 v9, v7
	v_cmp_eq_u32_e32 vcc_lo, 0, v15
	s_delay_alu instid0(VALU_DEP_2) | instskip(NEXT) | instid1(VALU_DEP_1)
	v_min_u32_e32 v9, 32, v9
	v_subrev_nc_u32_e32 v11, 29, v9
	v_sub_nc_u32_e32 v9, 30, v9
	s_delay_alu instid0(VALU_DEP_2) | instskip(NEXT) | instid1(VALU_DEP_2)
	v_lshlrev_b32_e32 v5, v11, v5
	v_cndmask_b32_e32 v9, v15, v9, vcc_lo
	s_delay_alu instid0(VALU_DEP_2) | instskip(NEXT) | instid1(VALU_DEP_1)
	v_and_b32_e32 v5, 3, v5
	v_cndmask_b32_e32 v5, v7, v5, vcc_lo
	s_delay_alu instid0(VALU_DEP_3) | instskip(NEXT) | instid1(VALU_DEP_2)
	v_lshl_add_u32 v7, v9, 23, 0x37800000
	v_lshlrev_b32_e32 v5, 21, v5
	s_delay_alu instid0(VALU_DEP_1) | instskip(NEXT) | instid1(VALU_DEP_1)
	v_or3_b32 v1, v1, v7, v5
	v_cvt_f64_f32_e32 v[30:31], v1
.LBB143_3121:
	s_or_b32 exec_lo, exec_lo, s18
	s_mov_b32 s17, 0
	s_branch .LBB143_3127
.LBB143_3122:
	s_mov_b32 s17, -1
                                        ; implicit-def: $vgpr30_vgpr31
	s_branch .LBB143_3133
.LBB143_3123:
	s_or_saveexec_b32 s19, s19
	v_mov_b64_e32 v[30:31], 0x7ff8000020000000
	s_xor_b32 exec_lo, exec_lo, s19
	s_cbranch_execz .LBB143_3106
.LBB143_3124:
	v_cmp_ne_u16_e32 vcc_lo, 0, v1
	v_mov_b64_e32 v[30:31], 0
	s_and_not1_b32 s18, s18, exec_lo
	s_and_b32 s20, vcc_lo, exec_lo
	s_delay_alu instid0(SALU_CYCLE_1)
	s_or_b32 s18, s18, s20
	s_or_b32 exec_lo, exec_lo, s19
	s_and_saveexec_b32 s19, s18
	s_cbranch_execnz .LBB143_3107
	s_branch .LBB143_3108
.LBB143_3125:
	s_mov_b32 s17, -1
                                        ; implicit-def: $vgpr30_vgpr31
	s_branch .LBB143_3130
.LBB143_3126:
	s_mov_b32 s17, -1
                                        ; implicit-def: $vgpr30_vgpr31
.LBB143_3127:
	s_delay_alu instid0(SALU_CYCLE_1)
	s_and_b32 vcc_lo, exec_lo, s17
	s_cbranch_vccz .LBB143_3129
; %bb.3128:
	global_load_u8 v1, v[32:33], off
	s_wait_loadcnt 0x0
	v_lshlrev_b32_e32 v1, 24, v1
	s_delay_alu instid0(VALU_DEP_1) | instskip(NEXT) | instid1(VALU_DEP_1)
	v_and_b32_e32 v5, 0x7f000000, v1
	v_clz_i32_u32_e32 v7, v5
	v_cmp_ne_u32_e32 vcc_lo, 0, v5
	v_add_nc_u32_e32 v11, 0x1000000, v5
	s_delay_alu instid0(VALU_DEP_3) | instskip(NEXT) | instid1(VALU_DEP_1)
	v_min_u32_e32 v7, 32, v7
	v_sub_nc_u32_e64 v7, v7, 4 clamp
	s_delay_alu instid0(VALU_DEP_1) | instskip(NEXT) | instid1(VALU_DEP_1)
	v_dual_lshlrev_b32 v9, v7, v5 :: v_dual_lshlrev_b32 v7, 23, v7
	v_lshrrev_b32_e32 v9, 4, v9
	s_delay_alu instid0(VALU_DEP_1) | instskip(SKIP_1) | instid1(VALU_DEP_2)
	v_sub_nc_u32_e32 v7, v9, v7
	v_ashrrev_i32_e32 v9, 8, v11
	v_add_nc_u32_e32 v7, 0x3c000000, v7
	s_delay_alu instid0(VALU_DEP_1) | instskip(NEXT) | instid1(VALU_DEP_1)
	v_and_or_b32 v7, 0x7f800000, v9, v7
	v_cndmask_b32_e32 v5, 0, v7, vcc_lo
	s_delay_alu instid0(VALU_DEP_1) | instskip(NEXT) | instid1(VALU_DEP_1)
	v_and_or_b32 v1, 0x80000000, v1, v5
	v_cvt_f64_f32_e32 v[30:31], v1
.LBB143_3129:
	s_mov_b32 s17, 0
.LBB143_3130:
	s_delay_alu instid0(SALU_CYCLE_1)
	s_and_not1_b32 vcc_lo, exec_lo, s17
	s_cbranch_vccnz .LBB143_3132
; %bb.3131:
	global_load_u8 v1, v[32:33], off
	s_wait_loadcnt 0x0
	v_lshlrev_b32_e32 v5, 25, v1
	v_lshlrev_b16 v1, 8, v1
	s_delay_alu instid0(VALU_DEP_2) | instskip(NEXT) | instid1(VALU_DEP_2)
	v_lshrrev_b32_e32 v7, 4, v5
	v_and_or_b32 v9, 0x7f00, v1, 0.5
	v_cmp_gt_u32_e32 vcc_lo, 0x8000000, v5
	v_bfe_i32 v1, v1, 0, 16
	s_delay_alu instid0(VALU_DEP_4) | instskip(NEXT) | instid1(VALU_DEP_4)
	v_or_b32_e32 v7, 0x70000000, v7
	v_add_f32_e32 v9, -0.5, v9
	s_delay_alu instid0(VALU_DEP_2) | instskip(NEXT) | instid1(VALU_DEP_1)
	v_mul_f32_e32 v7, 0x7800000, v7
	v_cndmask_b32_e32 v5, v7, v9, vcc_lo
	s_delay_alu instid0(VALU_DEP_1) | instskip(NEXT) | instid1(VALU_DEP_1)
	v_and_or_b32 v1, 0x80000000, v1, v5
	v_cvt_f64_f32_e32 v[30:31], v1
.LBB143_3132:
	s_mov_b32 s17, 0
	s_mov_b32 s18, -1
.LBB143_3133:
	s_and_not1_b32 vcc_lo, exec_lo, s17
	s_mov_b32 s17, 0
	s_cbranch_vccnz .LBB143_3144
; %bb.3134:
	s_cmp_gt_i32 s14, 14
	s_cbranch_scc0 .LBB143_3137
; %bb.3135:
	s_cmp_eq_u32 s14, 15
	s_cbranch_scc0 .LBB143_3140
; %bb.3136:
	global_load_u16 v1, v[32:33], off
	s_mov_b32 s16, 0
	s_mov_b32 s18, -1
	s_wait_loadcnt 0x0
	v_lshlrev_b32_e32 v1, 16, v1
	s_delay_alu instid0(VALU_DEP_1)
	v_cvt_f64_f32_e32 v[30:31], v1
	s_branch .LBB143_3142
.LBB143_3137:
	s_mov_b32 s17, -1
	s_branch .LBB143_3141
.LBB143_3138:
	s_or_saveexec_b32 s18, s18
	v_mov_b64_e32 v[30:31], 0x7ff8000020000000
	s_xor_b32 exec_lo, exec_lo, s18
	s_cbranch_execz .LBB143_3119
.LBB143_3139:
	v_cmp_ne_u16_e32 vcc_lo, 0, v1
	v_mov_b64_e32 v[30:31], 0
	s_and_not1_b32 s17, s17, exec_lo
	s_and_b32 s19, vcc_lo, exec_lo
	s_delay_alu instid0(SALU_CYCLE_1)
	s_or_b32 s17, s17, s19
	s_or_b32 exec_lo, exec_lo, s18
	s_and_saveexec_b32 s18, s17
	s_cbranch_execnz .LBB143_3120
	s_branch .LBB143_3121
.LBB143_3140:
	s_mov_b32 s16, -1
.LBB143_3141:
                                        ; implicit-def: $vgpr30_vgpr31
.LBB143_3142:
	s_and_b32 vcc_lo, exec_lo, s17
	s_mov_b32 s17, 0
	s_cbranch_vccz .LBB143_3144
; %bb.3143:
	s_cmp_lg_u32 s14, 11
	s_mov_b32 s17, -1
	s_cselect_b32 s16, -1, 0
.LBB143_3144:
	s_delay_alu instid0(SALU_CYCLE_1)
	s_and_b32 vcc_lo, exec_lo, s16
	s_cbranch_vccnz .LBB143_3209
; %bb.3145:
	s_and_not1_b32 vcc_lo, exec_lo, s17
	s_cbranch_vccnz .LBB143_3147
.LBB143_3146:
	global_load_u8 v1, v[32:33], off
	v_mov_b32_e32 v30, 0
	s_mov_b32 s18, -1
	s_wait_loadcnt 0x0
	v_cmp_ne_u16_e32 vcc_lo, 0, v1
	v_cndmask_b32_e64 v31, 0, 0x3ff00000, vcc_lo
.LBB143_3147:
	s_mov_b32 s16, 0
.LBB143_3148:
	s_delay_alu instid0(SALU_CYCLE_1)
	s_and_b32 vcc_lo, exec_lo, s16
	s_cbranch_vccz .LBB143_3197
; %bb.3149:
	s_cmp_lt_i32 s14, 5
	s_cbranch_scc1 .LBB143_3154
; %bb.3150:
	s_cmp_lt_i32 s14, 8
	s_cbranch_scc1 .LBB143_3155
	;; [unrolled: 3-line block ×3, first 2 shown]
; %bb.3152:
	s_cmp_gt_i32 s14, 9
	s_cbranch_scc0 .LBB143_3157
; %bb.3153:
	global_load_b64 v[30:31], v[32:33], off
	s_mov_b32 s16, 0
	s_branch .LBB143_3158
.LBB143_3154:
	s_mov_b32 s16, -1
                                        ; implicit-def: $vgpr30_vgpr31
	s_branch .LBB143_3176
.LBB143_3155:
	s_mov_b32 s16, -1
                                        ; implicit-def: $vgpr30_vgpr31
	s_branch .LBB143_3164
.LBB143_3156:
	s_mov_b32 s16, -1
                                        ; implicit-def: $vgpr30_vgpr31
	s_branch .LBB143_3161
.LBB143_3157:
	s_mov_b32 s16, -1
                                        ; implicit-def: $vgpr30_vgpr31
.LBB143_3158:
	s_delay_alu instid0(SALU_CYCLE_1)
	s_and_not1_b32 vcc_lo, exec_lo, s16
	s_cbranch_vccnz .LBB143_3160
; %bb.3159:
	global_load_b32 v1, v[32:33], off
	s_wait_loadcnt 0x0
	v_cvt_f64_f32_e32 v[30:31], v1
.LBB143_3160:
	s_mov_b32 s16, 0
.LBB143_3161:
	s_delay_alu instid0(SALU_CYCLE_1)
	s_and_not1_b32 vcc_lo, exec_lo, s16
	s_cbranch_vccnz .LBB143_3163
; %bb.3162:
	global_load_b32 v1, v[32:33], off
	s_wait_loadcnt 0x0
	v_cvt_f32_f16_e32 v1, v1
	s_delay_alu instid0(VALU_DEP_1)
	v_cvt_f64_f32_e32 v[30:31], v1
.LBB143_3163:
	s_mov_b32 s16, 0
.LBB143_3164:
	s_delay_alu instid0(SALU_CYCLE_1)
	s_and_not1_b32 vcc_lo, exec_lo, s16
	s_cbranch_vccnz .LBB143_3175
; %bb.3165:
	s_cmp_lt_i32 s14, 6
	s_cbranch_scc1 .LBB143_3168
; %bb.3166:
	s_cmp_gt_i32 s14, 6
	s_cbranch_scc0 .LBB143_3169
; %bb.3167:
	s_wait_loadcnt 0x0
	global_load_b64 v[30:31], v[32:33], off
	s_mov_b32 s16, 0
	s_branch .LBB143_3170
.LBB143_3168:
	s_mov_b32 s16, -1
                                        ; implicit-def: $vgpr30_vgpr31
	s_branch .LBB143_3173
.LBB143_3169:
	s_mov_b32 s16, -1
                                        ; implicit-def: $vgpr30_vgpr31
.LBB143_3170:
	s_delay_alu instid0(SALU_CYCLE_1)
	s_and_not1_b32 vcc_lo, exec_lo, s16
	s_cbranch_vccnz .LBB143_3172
; %bb.3171:
	global_load_b32 v1, v[32:33], off
	s_wait_loadcnt 0x0
	v_cvt_f64_f32_e32 v[30:31], v1
.LBB143_3172:
	s_mov_b32 s16, 0
.LBB143_3173:
	s_delay_alu instid0(SALU_CYCLE_1)
	s_and_not1_b32 vcc_lo, exec_lo, s16
	s_cbranch_vccnz .LBB143_3175
; %bb.3174:
	global_load_u16 v1, v[32:33], off
	s_wait_loadcnt 0x0
	v_cvt_f32_f16_e32 v1, v1
	s_delay_alu instid0(VALU_DEP_1)
	v_cvt_f64_f32_e32 v[30:31], v1
.LBB143_3175:
	s_mov_b32 s16, 0
.LBB143_3176:
	s_delay_alu instid0(SALU_CYCLE_1)
	s_and_not1_b32 vcc_lo, exec_lo, s16
	s_cbranch_vccnz .LBB143_3196
; %bb.3177:
	s_cmp_lt_i32 s14, 2
	s_cbranch_scc1 .LBB143_3181
; %bb.3178:
	s_cmp_lt_i32 s14, 3
	s_cbranch_scc1 .LBB143_3182
; %bb.3179:
	s_cmp_gt_i32 s14, 3
	s_cbranch_scc0 .LBB143_3183
; %bb.3180:
	s_wait_loadcnt 0x0
	global_load_b64 v[30:31], v[32:33], off
	s_mov_b32 s16, 0
	s_wait_loadcnt 0x0
	v_cvt_f64_i32_e32 v[34:35], v31
	v_cvt_f64_u32_e32 v[30:31], v30
	s_delay_alu instid0(VALU_DEP_2) | instskip(NEXT) | instid1(VALU_DEP_1)
	v_ldexp_f64 v[34:35], v[34:35], 32
	v_add_f64_e32 v[30:31], v[34:35], v[30:31]
	s_branch .LBB143_3184
.LBB143_3181:
	s_mov_b32 s16, -1
                                        ; implicit-def: $vgpr30_vgpr31
	s_branch .LBB143_3190
.LBB143_3182:
	s_mov_b32 s16, -1
                                        ; implicit-def: $vgpr30_vgpr31
	s_branch .LBB143_3187
.LBB143_3183:
	s_mov_b32 s16, -1
                                        ; implicit-def: $vgpr30_vgpr31
.LBB143_3184:
	s_delay_alu instid0(SALU_CYCLE_1)
	s_and_not1_b32 vcc_lo, exec_lo, s16
	s_cbranch_vccnz .LBB143_3186
; %bb.3185:
	global_load_b32 v1, v[32:33], off
	s_wait_loadcnt 0x0
	v_cvt_f64_i32_e32 v[30:31], v1
.LBB143_3186:
	s_mov_b32 s16, 0
.LBB143_3187:
	s_delay_alu instid0(SALU_CYCLE_1)
	s_and_not1_b32 vcc_lo, exec_lo, s16
	s_cbranch_vccnz .LBB143_3189
; %bb.3188:
	global_load_i16 v1, v[32:33], off
	s_wait_loadcnt 0x0
	v_cvt_f64_i32_e32 v[30:31], v1
.LBB143_3189:
	s_mov_b32 s16, 0
.LBB143_3190:
	s_delay_alu instid0(SALU_CYCLE_1)
	s_and_not1_b32 vcc_lo, exec_lo, s16
	s_cbranch_vccnz .LBB143_3196
; %bb.3191:
	s_cmp_gt_i32 s14, 0
	s_mov_b32 s16, 0
	s_cbranch_scc0 .LBB143_3193
; %bb.3192:
	global_load_i8 v1, v[32:33], off
	s_wait_loadcnt 0x0
	v_cvt_f64_i32_e32 v[30:31], v1
	s_branch .LBB143_3194
.LBB143_3193:
	s_mov_b32 s16, -1
                                        ; implicit-def: $vgpr30_vgpr31
.LBB143_3194:
	s_delay_alu instid0(SALU_CYCLE_1)
	s_and_not1_b32 vcc_lo, exec_lo, s16
	s_cbranch_vccnz .LBB143_3196
; %bb.3195:
	global_load_u8 v1, v[32:33], off
	s_wait_loadcnt 0x0
	v_cvt_f64_u32_e32 v[30:31], v1
.LBB143_3196:
	s_mov_b32 s18, -1
.LBB143_3197:
	s_delay_alu instid0(SALU_CYCLE_1)
	s_and_not1_b32 vcc_lo, exec_lo, s18
	s_cbranch_vccnz .LBB143_4155
; %bb.3198:
	v_mov_b32_e32 v25, 0
	s_cmp_lt_i32 s15, 11
	s_wait_xcnt 0x0
	s_delay_alu instid0(VALU_DEP_1)
	v_add_nc_u64_e32 v[32:33], s[8:9], v[24:25]
	s_cbranch_scc1 .LBB143_3205
; %bb.3199:
	s_cmp_gt_i32 s15, 25
	s_mov_b32 s17, 0
	s_cbranch_scc0 .LBB143_3206
; %bb.3200:
	s_cmp_gt_i32 s15, 28
	s_cbranch_scc0 .LBB143_3207
; %bb.3201:
	s_cmp_gt_i32 s15, 43
	;; [unrolled: 3-line block ×3, first 2 shown]
	s_cbranch_scc0 .LBB143_3210
; %bb.3203:
	s_cmp_eq_u32 s15, 46
	s_mov_b32 s19, 0
	s_cbranch_scc0 .LBB143_3211
; %bb.3204:
	global_load_b32 v1, v[32:33], off
	s_mov_b32 s16, 0
	s_mov_b32 s18, -1
	s_wait_loadcnt 0x0
	v_lshlrev_b32_e32 v1, 16, v1
	s_delay_alu instid0(VALU_DEP_1)
	v_cvt_f64_f32_e32 v[24:25], v1
	s_branch .LBB143_3213
.LBB143_3205:
	s_mov_b32 s16, -1
	s_mov_b32 s18, 0
                                        ; implicit-def: $vgpr24_vgpr25
	s_branch .LBB143_3279
.LBB143_3206:
	s_mov_b32 s19, -1
	s_mov_b32 s18, 0
	s_mov_b32 s16, 0
                                        ; implicit-def: $vgpr24_vgpr25
	s_branch .LBB143_3242
.LBB143_3207:
	s_mov_b32 s19, -1
	s_mov_b32 s18, 0
	s_mov_b32 s16, 0
                                        ; implicit-def: $vgpr24_vgpr25
	s_branch .LBB143_3223
.LBB143_3208:
	s_mov_b32 s19, -1
	s_mov_b32 s18, 0
	s_mov_b32 s16, 0
                                        ; implicit-def: $vgpr24_vgpr25
	s_branch .LBB143_3218
.LBB143_3209:
	s_or_b32 s12, s12, exec_lo
	s_trap 2
	s_cbranch_execz .LBB143_3146
	s_branch .LBB143_3147
.LBB143_3210:
	s_mov_b32 s19, -1
	s_mov_b32 s18, 0
	s_mov_b32 s16, 0
	s_branch .LBB143_3212
.LBB143_3211:
	s_mov_b32 s16, -1
	s_mov_b32 s18, 0
.LBB143_3212:
                                        ; implicit-def: $vgpr24_vgpr25
.LBB143_3213:
	s_and_b32 vcc_lo, exec_lo, s19
	s_cbranch_vccz .LBB143_3217
; %bb.3214:
	s_cmp_eq_u32 s15, 44
	s_cbranch_scc0 .LBB143_3216
; %bb.3215:
	global_load_u8 v1, v[32:33], off
	s_mov_b32 s16, 0
	s_mov_b32 s18, -1
	s_wait_loadcnt 0x0
	v_lshlrev_b32_e32 v5, 23, v1
	v_cmp_ne_u32_e32 vcc_lo, 0xff, v1
	s_delay_alu instid0(VALU_DEP_2) | instskip(NEXT) | instid1(VALU_DEP_1)
	v_cvt_f64_f32_e32 v[24:25], v5
	v_cndmask_b32_e32 v5, 0x20000000, v24, vcc_lo
	s_delay_alu instid0(VALU_DEP_2) | instskip(SKIP_1) | instid1(VALU_DEP_2)
	v_cndmask_b32_e32 v7, 0x7ff80000, v25, vcc_lo
	v_cmp_ne_u32_e32 vcc_lo, 0, v1
	v_cndmask_b32_e32 v25, 0x38000000, v7, vcc_lo
	s_delay_alu instid0(VALU_DEP_4)
	v_cndmask_b32_e32 v24, 0, v5, vcc_lo
	s_branch .LBB143_3217
.LBB143_3216:
	s_mov_b32 s16, -1
                                        ; implicit-def: $vgpr24_vgpr25
.LBB143_3217:
	s_mov_b32 s19, 0
.LBB143_3218:
	s_delay_alu instid0(SALU_CYCLE_1)
	s_and_b32 vcc_lo, exec_lo, s19
	s_cbranch_vccz .LBB143_3222
; %bb.3219:
	s_cmp_eq_u32 s15, 29
	s_cbranch_scc0 .LBB143_3221
; %bb.3220:
	global_load_b64 v[24:25], v[32:33], off
	s_mov_b32 s16, 0
	s_mov_b32 s18, -1
	s_mov_b32 s19, 0
	s_wait_loadcnt 0x0
	v_cvt_f64_u32_e32 v[34:35], v25
	v_cvt_f64_u32_e32 v[24:25], v24
	s_delay_alu instid0(VALU_DEP_2) | instskip(NEXT) | instid1(VALU_DEP_1)
	v_ldexp_f64 v[34:35], v[34:35], 32
	v_add_f64_e32 v[24:25], v[34:35], v[24:25]
	s_branch .LBB143_3223
.LBB143_3221:
	s_mov_b32 s16, -1
                                        ; implicit-def: $vgpr24_vgpr25
.LBB143_3222:
	s_mov_b32 s19, 0
.LBB143_3223:
	s_delay_alu instid0(SALU_CYCLE_1)
	s_and_b32 vcc_lo, exec_lo, s19
	s_cbranch_vccz .LBB143_3241
; %bb.3224:
	s_cmp_lt_i32 s15, 27
	s_cbranch_scc1 .LBB143_3227
; %bb.3225:
	s_cmp_gt_i32 s15, 27
	s_cbranch_scc0 .LBB143_3228
; %bb.3226:
	global_load_b32 v1, v[32:33], off
	s_mov_b32 s18, 0
	s_wait_loadcnt 0x0
	v_cvt_f64_u32_e32 v[24:25], v1
	s_branch .LBB143_3229
.LBB143_3227:
	s_mov_b32 s18, -1
                                        ; implicit-def: $vgpr24_vgpr25
	s_branch .LBB143_3232
.LBB143_3228:
	s_mov_b32 s18, -1
                                        ; implicit-def: $vgpr24_vgpr25
.LBB143_3229:
	s_delay_alu instid0(SALU_CYCLE_1)
	s_and_not1_b32 vcc_lo, exec_lo, s18
	s_cbranch_vccnz .LBB143_3231
; %bb.3230:
	global_load_u16 v1, v[32:33], off
	s_wait_loadcnt 0x0
	v_cvt_f64_u32_e32 v[24:25], v1
.LBB143_3231:
	s_mov_b32 s18, 0
.LBB143_3232:
	s_delay_alu instid0(SALU_CYCLE_1)
	s_and_not1_b32 vcc_lo, exec_lo, s18
	s_cbranch_vccnz .LBB143_3240
; %bb.3233:
	global_load_u8 v1, v[32:33], off
	s_mov_b32 s18, 0
	s_mov_b32 s19, exec_lo
	s_wait_loadcnt 0x0
	v_cmpx_lt_i16_e32 0x7f, v1
	s_xor_b32 s19, exec_lo, s19
	s_cbranch_execz .LBB143_3254
; %bb.3234:
	s_mov_b32 s18, -1
	s_mov_b32 s20, exec_lo
	v_cmpx_eq_u16_e32 0x80, v1
; %bb.3235:
	s_xor_b32 s18, exec_lo, -1
; %bb.3236:
	s_or_b32 exec_lo, exec_lo, s20
	s_delay_alu instid0(SALU_CYCLE_1)
	s_and_b32 s18, s18, exec_lo
	s_or_saveexec_b32 s19, s19
	v_mov_b64_e32 v[24:25], 0x7ff8000020000000
	s_xor_b32 exec_lo, exec_lo, s19
	s_cbranch_execnz .LBB143_3255
.LBB143_3237:
	s_or_b32 exec_lo, exec_lo, s19
	s_and_saveexec_b32 s19, s18
	s_cbranch_execz .LBB143_3239
.LBB143_3238:
	v_and_b32_e32 v5, 0xffff, v1
	v_lshlrev_b32_e32 v1, 24, v1
	s_delay_alu instid0(VALU_DEP_2) | instskip(SKIP_1) | instid1(VALU_DEP_3)
	v_and_b32_e32 v7, 7, v5
	v_bfe_u32 v15, v5, 3, 4
	v_and_b32_e32 v1, 0x80000000, v1
	s_delay_alu instid0(VALU_DEP_3) | instskip(NEXT) | instid1(VALU_DEP_3)
	v_clz_i32_u32_e32 v9, v7
	v_cmp_eq_u32_e32 vcc_lo, 0, v15
	s_delay_alu instid0(VALU_DEP_2) | instskip(NEXT) | instid1(VALU_DEP_1)
	v_min_u32_e32 v9, 32, v9
	v_subrev_nc_u32_e32 v11, 28, v9
	v_sub_nc_u32_e32 v9, 29, v9
	s_delay_alu instid0(VALU_DEP_2) | instskip(NEXT) | instid1(VALU_DEP_2)
	v_lshlrev_b32_e32 v5, v11, v5
	v_cndmask_b32_e32 v9, v15, v9, vcc_lo
	s_delay_alu instid0(VALU_DEP_2) | instskip(NEXT) | instid1(VALU_DEP_1)
	v_and_b32_e32 v5, 7, v5
	v_cndmask_b32_e32 v5, v7, v5, vcc_lo
	s_delay_alu instid0(VALU_DEP_3) | instskip(NEXT) | instid1(VALU_DEP_2)
	v_lshl_add_u32 v7, v9, 23, 0x3b800000
	v_lshlrev_b32_e32 v5, 20, v5
	s_delay_alu instid0(VALU_DEP_1) | instskip(NEXT) | instid1(VALU_DEP_1)
	v_or3_b32 v1, v1, v7, v5
	v_cvt_f64_f32_e32 v[24:25], v1
.LBB143_3239:
	s_or_b32 exec_lo, exec_lo, s19
.LBB143_3240:
	s_mov_b32 s18, -1
.LBB143_3241:
	s_mov_b32 s19, 0
.LBB143_3242:
	s_delay_alu instid0(SALU_CYCLE_1)
	s_and_b32 vcc_lo, exec_lo, s19
	s_cbranch_vccz .LBB143_3275
; %bb.3243:
	s_cmp_gt_i32 s15, 22
	s_cbranch_scc0 .LBB143_3253
; %bb.3244:
	s_cmp_lt_i32 s15, 24
	s_cbranch_scc1 .LBB143_3256
; %bb.3245:
	s_cmp_gt_i32 s15, 24
	s_cbranch_scc0 .LBB143_3257
; %bb.3246:
	global_load_u8 v1, v[32:33], off
	s_mov_b32 s18, exec_lo
	s_wait_loadcnt 0x0
	v_cmpx_lt_i16_e32 0x7f, v1
	s_xor_b32 s18, exec_lo, s18
	s_cbranch_execz .LBB143_3269
; %bb.3247:
	s_mov_b32 s17, -1
	s_mov_b32 s19, exec_lo
	v_cmpx_eq_u16_e32 0x80, v1
; %bb.3248:
	s_xor_b32 s17, exec_lo, -1
; %bb.3249:
	s_or_b32 exec_lo, exec_lo, s19
	s_delay_alu instid0(SALU_CYCLE_1)
	s_and_b32 s17, s17, exec_lo
	s_or_saveexec_b32 s18, s18
	v_mov_b64_e32 v[24:25], 0x7ff8000020000000
	s_xor_b32 exec_lo, exec_lo, s18
	s_cbranch_execnz .LBB143_3270
.LBB143_3250:
	s_or_b32 exec_lo, exec_lo, s18
	s_and_saveexec_b32 s18, s17
	s_cbranch_execz .LBB143_3252
.LBB143_3251:
	v_and_b32_e32 v5, 0xffff, v1
	v_lshlrev_b32_e32 v1, 24, v1
	s_delay_alu instid0(VALU_DEP_2) | instskip(SKIP_1) | instid1(VALU_DEP_3)
	v_and_b32_e32 v7, 3, v5
	v_bfe_u32 v15, v5, 2, 5
	v_and_b32_e32 v1, 0x80000000, v1
	s_delay_alu instid0(VALU_DEP_3) | instskip(NEXT) | instid1(VALU_DEP_3)
	v_clz_i32_u32_e32 v9, v7
	v_cmp_eq_u32_e32 vcc_lo, 0, v15
	s_delay_alu instid0(VALU_DEP_2) | instskip(NEXT) | instid1(VALU_DEP_1)
	v_min_u32_e32 v9, 32, v9
	v_subrev_nc_u32_e32 v11, 29, v9
	v_sub_nc_u32_e32 v9, 30, v9
	s_delay_alu instid0(VALU_DEP_2) | instskip(NEXT) | instid1(VALU_DEP_2)
	v_lshlrev_b32_e32 v5, v11, v5
	v_cndmask_b32_e32 v9, v15, v9, vcc_lo
	s_delay_alu instid0(VALU_DEP_2) | instskip(NEXT) | instid1(VALU_DEP_1)
	v_and_b32_e32 v5, 3, v5
	v_cndmask_b32_e32 v5, v7, v5, vcc_lo
	s_delay_alu instid0(VALU_DEP_3) | instskip(NEXT) | instid1(VALU_DEP_2)
	v_lshl_add_u32 v7, v9, 23, 0x37800000
	v_lshlrev_b32_e32 v5, 21, v5
	s_delay_alu instid0(VALU_DEP_1) | instskip(NEXT) | instid1(VALU_DEP_1)
	v_or3_b32 v1, v1, v7, v5
	v_cvt_f64_f32_e32 v[24:25], v1
.LBB143_3252:
	s_or_b32 exec_lo, exec_lo, s18
	s_mov_b32 s17, 0
	s_branch .LBB143_3258
.LBB143_3253:
	s_mov_b32 s17, -1
                                        ; implicit-def: $vgpr24_vgpr25
	s_branch .LBB143_3264
.LBB143_3254:
	s_or_saveexec_b32 s19, s19
	v_mov_b64_e32 v[24:25], 0x7ff8000020000000
	s_xor_b32 exec_lo, exec_lo, s19
	s_cbranch_execz .LBB143_3237
.LBB143_3255:
	v_cmp_ne_u16_e32 vcc_lo, 0, v1
	v_mov_b64_e32 v[24:25], 0
	s_and_not1_b32 s18, s18, exec_lo
	s_and_b32 s20, vcc_lo, exec_lo
	s_delay_alu instid0(SALU_CYCLE_1)
	s_or_b32 s18, s18, s20
	s_or_b32 exec_lo, exec_lo, s19
	s_and_saveexec_b32 s19, s18
	s_cbranch_execnz .LBB143_3238
	s_branch .LBB143_3239
.LBB143_3256:
	s_mov_b32 s17, -1
                                        ; implicit-def: $vgpr24_vgpr25
	s_branch .LBB143_3261
.LBB143_3257:
	s_mov_b32 s17, -1
                                        ; implicit-def: $vgpr24_vgpr25
.LBB143_3258:
	s_delay_alu instid0(SALU_CYCLE_1)
	s_and_b32 vcc_lo, exec_lo, s17
	s_cbranch_vccz .LBB143_3260
; %bb.3259:
	global_load_u8 v1, v[32:33], off
	s_wait_loadcnt 0x0
	v_lshlrev_b32_e32 v1, 24, v1
	s_delay_alu instid0(VALU_DEP_1) | instskip(NEXT) | instid1(VALU_DEP_1)
	v_and_b32_e32 v5, 0x7f000000, v1
	v_clz_i32_u32_e32 v7, v5
	v_cmp_ne_u32_e32 vcc_lo, 0, v5
	v_add_nc_u32_e32 v11, 0x1000000, v5
	s_delay_alu instid0(VALU_DEP_3) | instskip(NEXT) | instid1(VALU_DEP_1)
	v_min_u32_e32 v7, 32, v7
	v_sub_nc_u32_e64 v7, v7, 4 clamp
	s_delay_alu instid0(VALU_DEP_1) | instskip(NEXT) | instid1(VALU_DEP_1)
	v_dual_lshlrev_b32 v9, v7, v5 :: v_dual_lshlrev_b32 v7, 23, v7
	v_lshrrev_b32_e32 v9, 4, v9
	s_delay_alu instid0(VALU_DEP_1) | instskip(SKIP_1) | instid1(VALU_DEP_2)
	v_sub_nc_u32_e32 v7, v9, v7
	v_ashrrev_i32_e32 v9, 8, v11
	v_add_nc_u32_e32 v7, 0x3c000000, v7
	s_delay_alu instid0(VALU_DEP_1) | instskip(NEXT) | instid1(VALU_DEP_1)
	v_and_or_b32 v7, 0x7f800000, v9, v7
	v_cndmask_b32_e32 v5, 0, v7, vcc_lo
	s_delay_alu instid0(VALU_DEP_1) | instskip(NEXT) | instid1(VALU_DEP_1)
	v_and_or_b32 v1, 0x80000000, v1, v5
	v_cvt_f64_f32_e32 v[24:25], v1
.LBB143_3260:
	s_mov_b32 s17, 0
.LBB143_3261:
	s_delay_alu instid0(SALU_CYCLE_1)
	s_and_not1_b32 vcc_lo, exec_lo, s17
	s_cbranch_vccnz .LBB143_3263
; %bb.3262:
	global_load_u8 v1, v[32:33], off
	s_wait_loadcnt 0x0
	v_lshlrev_b32_e32 v5, 25, v1
	v_lshlrev_b16 v1, 8, v1
	s_delay_alu instid0(VALU_DEP_2) | instskip(NEXT) | instid1(VALU_DEP_2)
	v_lshrrev_b32_e32 v7, 4, v5
	v_and_or_b32 v9, 0x7f00, v1, 0.5
	v_cmp_gt_u32_e32 vcc_lo, 0x8000000, v5
	v_bfe_i32 v1, v1, 0, 16
	s_delay_alu instid0(VALU_DEP_4) | instskip(NEXT) | instid1(VALU_DEP_4)
	v_or_b32_e32 v7, 0x70000000, v7
	v_add_f32_e32 v9, -0.5, v9
	s_delay_alu instid0(VALU_DEP_2) | instskip(NEXT) | instid1(VALU_DEP_1)
	v_mul_f32_e32 v7, 0x7800000, v7
	v_cndmask_b32_e32 v5, v7, v9, vcc_lo
	s_delay_alu instid0(VALU_DEP_1) | instskip(NEXT) | instid1(VALU_DEP_1)
	v_and_or_b32 v1, 0x80000000, v1, v5
	v_cvt_f64_f32_e32 v[24:25], v1
.LBB143_3263:
	s_mov_b32 s17, 0
	s_mov_b32 s18, -1
.LBB143_3264:
	s_and_not1_b32 vcc_lo, exec_lo, s17
	s_mov_b32 s17, 0
	s_cbranch_vccnz .LBB143_3275
; %bb.3265:
	s_cmp_gt_i32 s15, 14
	s_cbranch_scc0 .LBB143_3268
; %bb.3266:
	s_cmp_eq_u32 s15, 15
	s_cbranch_scc0 .LBB143_3271
; %bb.3267:
	global_load_u16 v1, v[32:33], off
	s_mov_b32 s16, 0
	s_mov_b32 s18, -1
	s_wait_loadcnt 0x0
	v_lshlrev_b32_e32 v1, 16, v1
	s_delay_alu instid0(VALU_DEP_1)
	v_cvt_f64_f32_e32 v[24:25], v1
	s_branch .LBB143_3273
.LBB143_3268:
	s_mov_b32 s17, -1
	s_branch .LBB143_3272
.LBB143_3269:
	s_or_saveexec_b32 s18, s18
	v_mov_b64_e32 v[24:25], 0x7ff8000020000000
	s_xor_b32 exec_lo, exec_lo, s18
	s_cbranch_execz .LBB143_3250
.LBB143_3270:
	v_cmp_ne_u16_e32 vcc_lo, 0, v1
	v_mov_b64_e32 v[24:25], 0
	s_and_not1_b32 s17, s17, exec_lo
	s_and_b32 s19, vcc_lo, exec_lo
	s_delay_alu instid0(SALU_CYCLE_1)
	s_or_b32 s17, s17, s19
	s_or_b32 exec_lo, exec_lo, s18
	s_and_saveexec_b32 s18, s17
	s_cbranch_execnz .LBB143_3251
	s_branch .LBB143_3252
.LBB143_3271:
	s_mov_b32 s16, -1
.LBB143_3272:
                                        ; implicit-def: $vgpr24_vgpr25
.LBB143_3273:
	s_and_b32 vcc_lo, exec_lo, s17
	s_mov_b32 s17, 0
	s_cbranch_vccz .LBB143_3275
; %bb.3274:
	s_cmp_lg_u32 s15, 11
	s_mov_b32 s17, -1
	s_cselect_b32 s16, -1, 0
.LBB143_3275:
	s_delay_alu instid0(SALU_CYCLE_1)
	s_and_b32 vcc_lo, exec_lo, s16
	s_cbranch_vccnz .LBB143_3340
; %bb.3276:
	s_and_not1_b32 vcc_lo, exec_lo, s17
	s_cbranch_vccnz .LBB143_3278
.LBB143_3277:
	global_load_u8 v1, v[32:33], off
	v_mov_b32_e32 v24, 0
	s_mov_b32 s18, -1
	s_wait_loadcnt 0x0
	v_cmp_ne_u16_e32 vcc_lo, 0, v1
	v_cndmask_b32_e64 v25, 0, 0x3ff00000, vcc_lo
.LBB143_3278:
	s_mov_b32 s16, 0
.LBB143_3279:
	s_delay_alu instid0(SALU_CYCLE_1)
	s_and_b32 vcc_lo, exec_lo, s16
	s_cbranch_vccz .LBB143_3328
; %bb.3280:
	s_cmp_lt_i32 s15, 5
	s_cbranch_scc1 .LBB143_3285
; %bb.3281:
	s_cmp_lt_i32 s15, 8
	s_cbranch_scc1 .LBB143_3286
	;; [unrolled: 3-line block ×3, first 2 shown]
; %bb.3283:
	s_cmp_gt_i32 s15, 9
	s_cbranch_scc0 .LBB143_3288
; %bb.3284:
	global_load_b64 v[24:25], v[32:33], off
	s_mov_b32 s16, 0
	s_branch .LBB143_3289
.LBB143_3285:
	s_mov_b32 s16, -1
                                        ; implicit-def: $vgpr24_vgpr25
	s_branch .LBB143_3307
.LBB143_3286:
	s_mov_b32 s16, -1
                                        ; implicit-def: $vgpr24_vgpr25
	s_branch .LBB143_3295
.LBB143_3287:
	s_mov_b32 s16, -1
                                        ; implicit-def: $vgpr24_vgpr25
	s_branch .LBB143_3292
.LBB143_3288:
	s_mov_b32 s16, -1
                                        ; implicit-def: $vgpr24_vgpr25
.LBB143_3289:
	s_delay_alu instid0(SALU_CYCLE_1)
	s_and_not1_b32 vcc_lo, exec_lo, s16
	s_cbranch_vccnz .LBB143_3291
; %bb.3290:
	global_load_b32 v1, v[32:33], off
	s_wait_loadcnt 0x0
	v_cvt_f64_f32_e32 v[24:25], v1
.LBB143_3291:
	s_mov_b32 s16, 0
.LBB143_3292:
	s_delay_alu instid0(SALU_CYCLE_1)
	s_and_not1_b32 vcc_lo, exec_lo, s16
	s_cbranch_vccnz .LBB143_3294
; %bb.3293:
	global_load_b32 v1, v[32:33], off
	s_wait_loadcnt 0x0
	v_cvt_f32_f16_e32 v1, v1
	s_delay_alu instid0(VALU_DEP_1)
	v_cvt_f64_f32_e32 v[24:25], v1
.LBB143_3294:
	s_mov_b32 s16, 0
.LBB143_3295:
	s_delay_alu instid0(SALU_CYCLE_1)
	s_and_not1_b32 vcc_lo, exec_lo, s16
	s_cbranch_vccnz .LBB143_3306
; %bb.3296:
	s_cmp_lt_i32 s15, 6
	s_cbranch_scc1 .LBB143_3299
; %bb.3297:
	s_cmp_gt_i32 s15, 6
	s_cbranch_scc0 .LBB143_3300
; %bb.3298:
	s_wait_loadcnt 0x0
	global_load_b64 v[24:25], v[32:33], off
	s_mov_b32 s16, 0
	s_branch .LBB143_3301
.LBB143_3299:
	s_mov_b32 s16, -1
                                        ; implicit-def: $vgpr24_vgpr25
	s_branch .LBB143_3304
.LBB143_3300:
	s_mov_b32 s16, -1
                                        ; implicit-def: $vgpr24_vgpr25
.LBB143_3301:
	s_delay_alu instid0(SALU_CYCLE_1)
	s_and_not1_b32 vcc_lo, exec_lo, s16
	s_cbranch_vccnz .LBB143_3303
; %bb.3302:
	global_load_b32 v1, v[32:33], off
	s_wait_loadcnt 0x0
	v_cvt_f64_f32_e32 v[24:25], v1
.LBB143_3303:
	s_mov_b32 s16, 0
.LBB143_3304:
	s_delay_alu instid0(SALU_CYCLE_1)
	s_and_not1_b32 vcc_lo, exec_lo, s16
	s_cbranch_vccnz .LBB143_3306
; %bb.3305:
	global_load_u16 v1, v[32:33], off
	s_wait_loadcnt 0x0
	v_cvt_f32_f16_e32 v1, v1
	s_delay_alu instid0(VALU_DEP_1)
	v_cvt_f64_f32_e32 v[24:25], v1
.LBB143_3306:
	s_mov_b32 s16, 0
.LBB143_3307:
	s_delay_alu instid0(SALU_CYCLE_1)
	s_and_not1_b32 vcc_lo, exec_lo, s16
	s_cbranch_vccnz .LBB143_3327
; %bb.3308:
	s_cmp_lt_i32 s15, 2
	s_cbranch_scc1 .LBB143_3312
; %bb.3309:
	s_cmp_lt_i32 s15, 3
	s_cbranch_scc1 .LBB143_3313
; %bb.3310:
	s_cmp_gt_i32 s15, 3
	s_cbranch_scc0 .LBB143_3314
; %bb.3311:
	s_wait_loadcnt 0x0
	global_load_b64 v[24:25], v[32:33], off
	s_mov_b32 s16, 0
	s_wait_loadcnt 0x0
	v_cvt_f64_i32_e32 v[34:35], v25
	v_cvt_f64_u32_e32 v[24:25], v24
	s_delay_alu instid0(VALU_DEP_2) | instskip(NEXT) | instid1(VALU_DEP_1)
	v_ldexp_f64 v[34:35], v[34:35], 32
	v_add_f64_e32 v[24:25], v[34:35], v[24:25]
	s_branch .LBB143_3315
.LBB143_3312:
	s_mov_b32 s16, -1
                                        ; implicit-def: $vgpr24_vgpr25
	s_branch .LBB143_3321
.LBB143_3313:
	s_mov_b32 s16, -1
                                        ; implicit-def: $vgpr24_vgpr25
	s_branch .LBB143_3318
.LBB143_3314:
	s_mov_b32 s16, -1
                                        ; implicit-def: $vgpr24_vgpr25
.LBB143_3315:
	s_delay_alu instid0(SALU_CYCLE_1)
	s_and_not1_b32 vcc_lo, exec_lo, s16
	s_cbranch_vccnz .LBB143_3317
; %bb.3316:
	global_load_b32 v1, v[32:33], off
	s_wait_loadcnt 0x0
	v_cvt_f64_i32_e32 v[24:25], v1
.LBB143_3317:
	s_mov_b32 s16, 0
.LBB143_3318:
	s_delay_alu instid0(SALU_CYCLE_1)
	s_and_not1_b32 vcc_lo, exec_lo, s16
	s_cbranch_vccnz .LBB143_3320
; %bb.3319:
	global_load_i16 v1, v[32:33], off
	s_wait_loadcnt 0x0
	v_cvt_f64_i32_e32 v[24:25], v1
.LBB143_3320:
	s_mov_b32 s16, 0
.LBB143_3321:
	s_delay_alu instid0(SALU_CYCLE_1)
	s_and_not1_b32 vcc_lo, exec_lo, s16
	s_cbranch_vccnz .LBB143_3327
; %bb.3322:
	s_cmp_gt_i32 s15, 0
	s_mov_b32 s16, 0
	s_cbranch_scc0 .LBB143_3324
; %bb.3323:
	global_load_i8 v1, v[32:33], off
	s_wait_loadcnt 0x0
	v_cvt_f64_i32_e32 v[24:25], v1
	s_branch .LBB143_3325
.LBB143_3324:
	s_mov_b32 s16, -1
                                        ; implicit-def: $vgpr24_vgpr25
.LBB143_3325:
	s_delay_alu instid0(SALU_CYCLE_1)
	s_and_not1_b32 vcc_lo, exec_lo, s16
	s_cbranch_vccnz .LBB143_3327
; %bb.3326:
	global_load_u8 v1, v[32:33], off
	s_wait_loadcnt 0x0
	v_cvt_f64_u32_e32 v[24:25], v1
.LBB143_3327:
	s_mov_b32 s18, -1
.LBB143_3328:
	s_delay_alu instid0(SALU_CYCLE_1)
	s_and_not1_b32 vcc_lo, exec_lo, s18
	s_cbranch_vccnz .LBB143_4155
; %bb.3329:
	v_mov_b32_e32 v21, 0
	s_cmp_lt_i32 s13, 11
	s_wait_xcnt 0x0
	s_delay_alu instid0(VALU_DEP_1)
	v_add_nc_u64_e32 v[32:33], s[6:7], v[20:21]
	s_cbranch_scc1 .LBB143_3336
; %bb.3330:
	s_cmp_gt_i32 s13, 25
	s_mov_b32 s7, 0
	s_cbranch_scc0 .LBB143_3337
; %bb.3331:
	s_cmp_gt_i32 s13, 28
	s_cbranch_scc0 .LBB143_3338
; %bb.3332:
	s_cmp_gt_i32 s13, 43
	;; [unrolled: 3-line block ×3, first 2 shown]
	s_cbranch_scc0 .LBB143_3341
; %bb.3334:
	s_cmp_eq_u32 s13, 46
	s_mov_b32 s17, 0
	s_cbranch_scc0 .LBB143_3342
; %bb.3335:
	global_load_b32 v1, v[32:33], off
	s_mov_b32 s6, 0
	s_mov_b32 s16, -1
	s_wait_loadcnt 0x0
	v_lshlrev_b32_e32 v1, 16, v1
	s_delay_alu instid0(VALU_DEP_1)
	v_cvt_f64_f32_e32 v[20:21], v1
	s_branch .LBB143_3344
.LBB143_3336:
	s_mov_b32 s6, -1
	s_mov_b32 s16, 0
                                        ; implicit-def: $vgpr20_vgpr21
	s_branch .LBB143_3410
.LBB143_3337:
	s_mov_b32 s17, -1
	s_mov_b32 s16, 0
	s_mov_b32 s6, 0
                                        ; implicit-def: $vgpr20_vgpr21
	s_branch .LBB143_3373
.LBB143_3338:
	s_mov_b32 s17, -1
	s_mov_b32 s16, 0
	s_mov_b32 s6, 0
                                        ; implicit-def: $vgpr20_vgpr21
	s_branch .LBB143_3354
.LBB143_3339:
	s_mov_b32 s17, -1
	s_mov_b32 s16, 0
	s_mov_b32 s6, 0
                                        ; implicit-def: $vgpr20_vgpr21
	s_branch .LBB143_3349
.LBB143_3340:
	s_or_b32 s12, s12, exec_lo
	s_trap 2
	s_cbranch_execz .LBB143_3277
	s_branch .LBB143_3278
.LBB143_3341:
	s_mov_b32 s17, -1
	s_mov_b32 s16, 0
	s_mov_b32 s6, 0
	s_branch .LBB143_3343
.LBB143_3342:
	s_mov_b32 s6, -1
	s_mov_b32 s16, 0
.LBB143_3343:
                                        ; implicit-def: $vgpr20_vgpr21
.LBB143_3344:
	s_and_b32 vcc_lo, exec_lo, s17
	s_cbranch_vccz .LBB143_3348
; %bb.3345:
	s_cmp_eq_u32 s13, 44
	s_cbranch_scc0 .LBB143_3347
; %bb.3346:
	global_load_u8 v1, v[32:33], off
	s_mov_b32 s6, 0
	s_mov_b32 s16, -1
	s_wait_loadcnt 0x0
	v_lshlrev_b32_e32 v5, 23, v1
	v_cmp_ne_u32_e32 vcc_lo, 0xff, v1
	s_delay_alu instid0(VALU_DEP_2) | instskip(NEXT) | instid1(VALU_DEP_1)
	v_cvt_f64_f32_e32 v[20:21], v5
	v_cndmask_b32_e32 v5, 0x20000000, v20, vcc_lo
	s_delay_alu instid0(VALU_DEP_2) | instskip(SKIP_1) | instid1(VALU_DEP_2)
	v_cndmask_b32_e32 v7, 0x7ff80000, v21, vcc_lo
	v_cmp_ne_u32_e32 vcc_lo, 0, v1
	v_cndmask_b32_e32 v21, 0x38000000, v7, vcc_lo
	s_delay_alu instid0(VALU_DEP_4)
	v_cndmask_b32_e32 v20, 0, v5, vcc_lo
	s_branch .LBB143_3348
.LBB143_3347:
	s_mov_b32 s6, -1
                                        ; implicit-def: $vgpr20_vgpr21
.LBB143_3348:
	s_mov_b32 s17, 0
.LBB143_3349:
	s_delay_alu instid0(SALU_CYCLE_1)
	s_and_b32 vcc_lo, exec_lo, s17
	s_cbranch_vccz .LBB143_3353
; %bb.3350:
	s_cmp_eq_u32 s13, 29
	s_cbranch_scc0 .LBB143_3352
; %bb.3351:
	global_load_b64 v[20:21], v[32:33], off
	s_mov_b32 s6, 0
	s_mov_b32 s16, -1
	s_mov_b32 s17, 0
	s_wait_loadcnt 0x0
	v_cvt_f64_u32_e32 v[34:35], v21
	v_cvt_f64_u32_e32 v[20:21], v20
	s_delay_alu instid0(VALU_DEP_2) | instskip(NEXT) | instid1(VALU_DEP_1)
	v_ldexp_f64 v[34:35], v[34:35], 32
	v_add_f64_e32 v[20:21], v[34:35], v[20:21]
	s_branch .LBB143_3354
.LBB143_3352:
	s_mov_b32 s6, -1
                                        ; implicit-def: $vgpr20_vgpr21
.LBB143_3353:
	s_mov_b32 s17, 0
.LBB143_3354:
	s_delay_alu instid0(SALU_CYCLE_1)
	s_and_b32 vcc_lo, exec_lo, s17
	s_cbranch_vccz .LBB143_3372
; %bb.3355:
	s_cmp_lt_i32 s13, 27
	s_cbranch_scc1 .LBB143_3358
; %bb.3356:
	s_cmp_gt_i32 s13, 27
	s_cbranch_scc0 .LBB143_3359
; %bb.3357:
	global_load_b32 v1, v[32:33], off
	s_mov_b32 s16, 0
	s_wait_loadcnt 0x0
	v_cvt_f64_u32_e32 v[20:21], v1
	s_branch .LBB143_3360
.LBB143_3358:
	s_mov_b32 s16, -1
                                        ; implicit-def: $vgpr20_vgpr21
	s_branch .LBB143_3363
.LBB143_3359:
	s_mov_b32 s16, -1
                                        ; implicit-def: $vgpr20_vgpr21
.LBB143_3360:
	s_delay_alu instid0(SALU_CYCLE_1)
	s_and_not1_b32 vcc_lo, exec_lo, s16
	s_cbranch_vccnz .LBB143_3362
; %bb.3361:
	global_load_u16 v1, v[32:33], off
	s_wait_loadcnt 0x0
	v_cvt_f64_u32_e32 v[20:21], v1
.LBB143_3362:
	s_mov_b32 s16, 0
.LBB143_3363:
	s_delay_alu instid0(SALU_CYCLE_1)
	s_and_not1_b32 vcc_lo, exec_lo, s16
	s_cbranch_vccnz .LBB143_3371
; %bb.3364:
	global_load_u8 v1, v[32:33], off
	s_mov_b32 s16, 0
	s_mov_b32 s17, exec_lo
	s_wait_loadcnt 0x0
	v_cmpx_lt_i16_e32 0x7f, v1
	s_xor_b32 s17, exec_lo, s17
	s_cbranch_execz .LBB143_3385
; %bb.3365:
	s_mov_b32 s16, -1
	s_mov_b32 s18, exec_lo
	v_cmpx_eq_u16_e32 0x80, v1
; %bb.3366:
	s_xor_b32 s16, exec_lo, -1
; %bb.3367:
	s_or_b32 exec_lo, exec_lo, s18
	s_delay_alu instid0(SALU_CYCLE_1)
	s_and_b32 s16, s16, exec_lo
	s_or_saveexec_b32 s17, s17
	v_mov_b64_e32 v[20:21], 0x7ff8000020000000
	s_xor_b32 exec_lo, exec_lo, s17
	s_cbranch_execnz .LBB143_3386
.LBB143_3368:
	s_or_b32 exec_lo, exec_lo, s17
	s_and_saveexec_b32 s17, s16
	s_cbranch_execz .LBB143_3370
.LBB143_3369:
	v_and_b32_e32 v5, 0xffff, v1
	v_lshlrev_b32_e32 v1, 24, v1
	s_delay_alu instid0(VALU_DEP_2) | instskip(SKIP_1) | instid1(VALU_DEP_3)
	v_and_b32_e32 v7, 7, v5
	v_bfe_u32 v15, v5, 3, 4
	v_and_b32_e32 v1, 0x80000000, v1
	s_delay_alu instid0(VALU_DEP_3) | instskip(NEXT) | instid1(VALU_DEP_3)
	v_clz_i32_u32_e32 v9, v7
	v_cmp_eq_u32_e32 vcc_lo, 0, v15
	s_delay_alu instid0(VALU_DEP_2) | instskip(NEXT) | instid1(VALU_DEP_1)
	v_min_u32_e32 v9, 32, v9
	v_subrev_nc_u32_e32 v11, 28, v9
	v_sub_nc_u32_e32 v9, 29, v9
	s_delay_alu instid0(VALU_DEP_2) | instskip(NEXT) | instid1(VALU_DEP_2)
	v_lshlrev_b32_e32 v5, v11, v5
	v_cndmask_b32_e32 v9, v15, v9, vcc_lo
	s_delay_alu instid0(VALU_DEP_2) | instskip(NEXT) | instid1(VALU_DEP_1)
	v_and_b32_e32 v5, 7, v5
	v_cndmask_b32_e32 v5, v7, v5, vcc_lo
	s_delay_alu instid0(VALU_DEP_3) | instskip(NEXT) | instid1(VALU_DEP_2)
	v_lshl_add_u32 v7, v9, 23, 0x3b800000
	v_lshlrev_b32_e32 v5, 20, v5
	s_delay_alu instid0(VALU_DEP_1) | instskip(NEXT) | instid1(VALU_DEP_1)
	v_or3_b32 v1, v1, v7, v5
	v_cvt_f64_f32_e32 v[20:21], v1
.LBB143_3370:
	s_or_b32 exec_lo, exec_lo, s17
.LBB143_3371:
	s_mov_b32 s16, -1
.LBB143_3372:
	s_mov_b32 s17, 0
.LBB143_3373:
	s_delay_alu instid0(SALU_CYCLE_1)
	s_and_b32 vcc_lo, exec_lo, s17
	s_cbranch_vccz .LBB143_3406
; %bb.3374:
	s_cmp_gt_i32 s13, 22
	s_cbranch_scc0 .LBB143_3384
; %bb.3375:
	s_cmp_lt_i32 s13, 24
	s_cbranch_scc1 .LBB143_3387
; %bb.3376:
	s_cmp_gt_i32 s13, 24
	s_cbranch_scc0 .LBB143_3388
; %bb.3377:
	global_load_u8 v1, v[32:33], off
	s_mov_b32 s16, exec_lo
	s_wait_loadcnt 0x0
	v_cmpx_lt_i16_e32 0x7f, v1
	s_xor_b32 s16, exec_lo, s16
	s_cbranch_execz .LBB143_3400
; %bb.3378:
	s_mov_b32 s7, -1
	s_mov_b32 s17, exec_lo
	v_cmpx_eq_u16_e32 0x80, v1
; %bb.3379:
	s_xor_b32 s7, exec_lo, -1
; %bb.3380:
	s_or_b32 exec_lo, exec_lo, s17
	s_delay_alu instid0(SALU_CYCLE_1)
	s_and_b32 s7, s7, exec_lo
	s_or_saveexec_b32 s16, s16
	v_mov_b64_e32 v[20:21], 0x7ff8000020000000
	s_xor_b32 exec_lo, exec_lo, s16
	s_cbranch_execnz .LBB143_3401
.LBB143_3381:
	s_or_b32 exec_lo, exec_lo, s16
	s_and_saveexec_b32 s16, s7
	s_cbranch_execz .LBB143_3383
.LBB143_3382:
	v_and_b32_e32 v5, 0xffff, v1
	v_lshlrev_b32_e32 v1, 24, v1
	s_delay_alu instid0(VALU_DEP_2) | instskip(SKIP_1) | instid1(VALU_DEP_3)
	v_and_b32_e32 v7, 3, v5
	v_bfe_u32 v15, v5, 2, 5
	v_and_b32_e32 v1, 0x80000000, v1
	s_delay_alu instid0(VALU_DEP_3) | instskip(NEXT) | instid1(VALU_DEP_3)
	v_clz_i32_u32_e32 v9, v7
	v_cmp_eq_u32_e32 vcc_lo, 0, v15
	s_delay_alu instid0(VALU_DEP_2) | instskip(NEXT) | instid1(VALU_DEP_1)
	v_min_u32_e32 v9, 32, v9
	v_subrev_nc_u32_e32 v11, 29, v9
	v_sub_nc_u32_e32 v9, 30, v9
	s_delay_alu instid0(VALU_DEP_2) | instskip(NEXT) | instid1(VALU_DEP_2)
	v_lshlrev_b32_e32 v5, v11, v5
	v_cndmask_b32_e32 v9, v15, v9, vcc_lo
	s_delay_alu instid0(VALU_DEP_2) | instskip(NEXT) | instid1(VALU_DEP_1)
	v_and_b32_e32 v5, 3, v5
	v_cndmask_b32_e32 v5, v7, v5, vcc_lo
	s_delay_alu instid0(VALU_DEP_3) | instskip(NEXT) | instid1(VALU_DEP_2)
	v_lshl_add_u32 v7, v9, 23, 0x37800000
	v_lshlrev_b32_e32 v5, 21, v5
	s_delay_alu instid0(VALU_DEP_1) | instskip(NEXT) | instid1(VALU_DEP_1)
	v_or3_b32 v1, v1, v7, v5
	v_cvt_f64_f32_e32 v[20:21], v1
.LBB143_3383:
	s_or_b32 exec_lo, exec_lo, s16
	s_mov_b32 s7, 0
	s_branch .LBB143_3389
.LBB143_3384:
	s_mov_b32 s7, -1
                                        ; implicit-def: $vgpr20_vgpr21
	s_branch .LBB143_3395
.LBB143_3385:
	s_or_saveexec_b32 s17, s17
	v_mov_b64_e32 v[20:21], 0x7ff8000020000000
	s_xor_b32 exec_lo, exec_lo, s17
	s_cbranch_execz .LBB143_3368
.LBB143_3386:
	v_cmp_ne_u16_e32 vcc_lo, 0, v1
	v_mov_b64_e32 v[20:21], 0
	s_and_not1_b32 s16, s16, exec_lo
	s_and_b32 s18, vcc_lo, exec_lo
	s_delay_alu instid0(SALU_CYCLE_1)
	s_or_b32 s16, s16, s18
	s_or_b32 exec_lo, exec_lo, s17
	s_and_saveexec_b32 s17, s16
	s_cbranch_execnz .LBB143_3369
	s_branch .LBB143_3370
.LBB143_3387:
	s_mov_b32 s7, -1
                                        ; implicit-def: $vgpr20_vgpr21
	s_branch .LBB143_3392
.LBB143_3388:
	s_mov_b32 s7, -1
                                        ; implicit-def: $vgpr20_vgpr21
.LBB143_3389:
	s_delay_alu instid0(SALU_CYCLE_1)
	s_and_b32 vcc_lo, exec_lo, s7
	s_cbranch_vccz .LBB143_3391
; %bb.3390:
	global_load_u8 v1, v[32:33], off
	s_wait_loadcnt 0x0
	v_lshlrev_b32_e32 v1, 24, v1
	s_delay_alu instid0(VALU_DEP_1) | instskip(NEXT) | instid1(VALU_DEP_1)
	v_and_b32_e32 v5, 0x7f000000, v1
	v_clz_i32_u32_e32 v7, v5
	v_cmp_ne_u32_e32 vcc_lo, 0, v5
	v_add_nc_u32_e32 v11, 0x1000000, v5
	s_delay_alu instid0(VALU_DEP_3) | instskip(NEXT) | instid1(VALU_DEP_1)
	v_min_u32_e32 v7, 32, v7
	v_sub_nc_u32_e64 v7, v7, 4 clamp
	s_delay_alu instid0(VALU_DEP_1) | instskip(NEXT) | instid1(VALU_DEP_1)
	v_dual_lshlrev_b32 v9, v7, v5 :: v_dual_lshlrev_b32 v7, 23, v7
	v_lshrrev_b32_e32 v9, 4, v9
	s_delay_alu instid0(VALU_DEP_1) | instskip(SKIP_1) | instid1(VALU_DEP_2)
	v_sub_nc_u32_e32 v7, v9, v7
	v_ashrrev_i32_e32 v9, 8, v11
	v_add_nc_u32_e32 v7, 0x3c000000, v7
	s_delay_alu instid0(VALU_DEP_1) | instskip(NEXT) | instid1(VALU_DEP_1)
	v_and_or_b32 v7, 0x7f800000, v9, v7
	v_cndmask_b32_e32 v5, 0, v7, vcc_lo
	s_delay_alu instid0(VALU_DEP_1) | instskip(NEXT) | instid1(VALU_DEP_1)
	v_and_or_b32 v1, 0x80000000, v1, v5
	v_cvt_f64_f32_e32 v[20:21], v1
.LBB143_3391:
	s_mov_b32 s7, 0
.LBB143_3392:
	s_delay_alu instid0(SALU_CYCLE_1)
	s_and_not1_b32 vcc_lo, exec_lo, s7
	s_cbranch_vccnz .LBB143_3394
; %bb.3393:
	global_load_u8 v1, v[32:33], off
	s_wait_loadcnt 0x0
	v_lshlrev_b32_e32 v5, 25, v1
	v_lshlrev_b16 v1, 8, v1
	s_delay_alu instid0(VALU_DEP_2) | instskip(NEXT) | instid1(VALU_DEP_2)
	v_lshrrev_b32_e32 v7, 4, v5
	v_and_or_b32 v9, 0x7f00, v1, 0.5
	v_cmp_gt_u32_e32 vcc_lo, 0x8000000, v5
	v_bfe_i32 v1, v1, 0, 16
	s_delay_alu instid0(VALU_DEP_4) | instskip(NEXT) | instid1(VALU_DEP_4)
	v_or_b32_e32 v7, 0x70000000, v7
	v_add_f32_e32 v9, -0.5, v9
	s_delay_alu instid0(VALU_DEP_2) | instskip(NEXT) | instid1(VALU_DEP_1)
	v_mul_f32_e32 v7, 0x7800000, v7
	v_cndmask_b32_e32 v5, v7, v9, vcc_lo
	s_delay_alu instid0(VALU_DEP_1) | instskip(NEXT) | instid1(VALU_DEP_1)
	v_and_or_b32 v1, 0x80000000, v1, v5
	v_cvt_f64_f32_e32 v[20:21], v1
.LBB143_3394:
	s_mov_b32 s7, 0
	s_mov_b32 s16, -1
.LBB143_3395:
	s_and_not1_b32 vcc_lo, exec_lo, s7
	s_mov_b32 s7, 0
	s_cbranch_vccnz .LBB143_3406
; %bb.3396:
	s_cmp_gt_i32 s13, 14
	s_cbranch_scc0 .LBB143_3399
; %bb.3397:
	s_cmp_eq_u32 s13, 15
	s_cbranch_scc0 .LBB143_3402
; %bb.3398:
	global_load_u16 v1, v[32:33], off
	s_mov_b32 s6, 0
	s_mov_b32 s16, -1
	s_wait_loadcnt 0x0
	v_lshlrev_b32_e32 v1, 16, v1
	s_delay_alu instid0(VALU_DEP_1)
	v_cvt_f64_f32_e32 v[20:21], v1
	s_branch .LBB143_3404
.LBB143_3399:
	s_mov_b32 s7, -1
	s_branch .LBB143_3403
.LBB143_3400:
	s_or_saveexec_b32 s16, s16
	v_mov_b64_e32 v[20:21], 0x7ff8000020000000
	s_xor_b32 exec_lo, exec_lo, s16
	s_cbranch_execz .LBB143_3381
.LBB143_3401:
	v_cmp_ne_u16_e32 vcc_lo, 0, v1
	v_mov_b64_e32 v[20:21], 0
	s_and_not1_b32 s7, s7, exec_lo
	s_and_b32 s17, vcc_lo, exec_lo
	s_delay_alu instid0(SALU_CYCLE_1)
	s_or_b32 s7, s7, s17
	s_or_b32 exec_lo, exec_lo, s16
	s_and_saveexec_b32 s16, s7
	s_cbranch_execnz .LBB143_3382
	s_branch .LBB143_3383
.LBB143_3402:
	s_mov_b32 s6, -1
.LBB143_3403:
                                        ; implicit-def: $vgpr20_vgpr21
.LBB143_3404:
	s_and_b32 vcc_lo, exec_lo, s7
	s_mov_b32 s7, 0
	s_cbranch_vccz .LBB143_3406
; %bb.3405:
	s_cmp_lg_u32 s13, 11
	s_mov_b32 s7, -1
	s_cselect_b32 s6, -1, 0
.LBB143_3406:
	s_delay_alu instid0(SALU_CYCLE_1)
	s_and_b32 vcc_lo, exec_lo, s6
	s_cbranch_vccnz .LBB143_3471
; %bb.3407:
	s_and_not1_b32 vcc_lo, exec_lo, s7
	s_cbranch_vccnz .LBB143_3409
.LBB143_3408:
	global_load_u8 v1, v[32:33], off
	v_mov_b32_e32 v20, 0
	s_mov_b32 s16, -1
	s_wait_loadcnt 0x0
	v_cmp_ne_u16_e32 vcc_lo, 0, v1
	v_cndmask_b32_e64 v21, 0, 0x3ff00000, vcc_lo
.LBB143_3409:
	s_mov_b32 s6, 0
.LBB143_3410:
	s_delay_alu instid0(SALU_CYCLE_1)
	s_and_b32 vcc_lo, exec_lo, s6
	s_cbranch_vccz .LBB143_3459
; %bb.3411:
	s_cmp_lt_i32 s13, 5
	s_cbranch_scc1 .LBB143_3416
; %bb.3412:
	s_cmp_lt_i32 s13, 8
	s_cbranch_scc1 .LBB143_3417
	;; [unrolled: 3-line block ×3, first 2 shown]
; %bb.3414:
	s_cmp_gt_i32 s13, 9
	s_cbranch_scc0 .LBB143_3419
; %bb.3415:
	global_load_b64 v[20:21], v[32:33], off
	s_mov_b32 s6, 0
	s_branch .LBB143_3420
.LBB143_3416:
	s_mov_b32 s6, -1
                                        ; implicit-def: $vgpr20_vgpr21
	s_branch .LBB143_3438
.LBB143_3417:
	s_mov_b32 s6, -1
                                        ; implicit-def: $vgpr20_vgpr21
	s_branch .LBB143_3426
.LBB143_3418:
	s_mov_b32 s6, -1
                                        ; implicit-def: $vgpr20_vgpr21
	s_branch .LBB143_3423
.LBB143_3419:
	s_mov_b32 s6, -1
                                        ; implicit-def: $vgpr20_vgpr21
.LBB143_3420:
	s_delay_alu instid0(SALU_CYCLE_1)
	s_and_not1_b32 vcc_lo, exec_lo, s6
	s_cbranch_vccnz .LBB143_3422
; %bb.3421:
	global_load_b32 v1, v[32:33], off
	s_wait_loadcnt 0x0
	v_cvt_f64_f32_e32 v[20:21], v1
.LBB143_3422:
	s_mov_b32 s6, 0
.LBB143_3423:
	s_delay_alu instid0(SALU_CYCLE_1)
	s_and_not1_b32 vcc_lo, exec_lo, s6
	s_cbranch_vccnz .LBB143_3425
; %bb.3424:
	global_load_b32 v1, v[32:33], off
	s_wait_loadcnt 0x0
	v_cvt_f32_f16_e32 v1, v1
	s_delay_alu instid0(VALU_DEP_1)
	v_cvt_f64_f32_e32 v[20:21], v1
.LBB143_3425:
	s_mov_b32 s6, 0
.LBB143_3426:
	s_delay_alu instid0(SALU_CYCLE_1)
	s_and_not1_b32 vcc_lo, exec_lo, s6
	s_cbranch_vccnz .LBB143_3437
; %bb.3427:
	s_cmp_lt_i32 s13, 6
	s_cbranch_scc1 .LBB143_3430
; %bb.3428:
	s_cmp_gt_i32 s13, 6
	s_cbranch_scc0 .LBB143_3431
; %bb.3429:
	s_wait_loadcnt 0x0
	global_load_b64 v[20:21], v[32:33], off
	s_mov_b32 s6, 0
	s_branch .LBB143_3432
.LBB143_3430:
	s_mov_b32 s6, -1
                                        ; implicit-def: $vgpr20_vgpr21
	s_branch .LBB143_3435
.LBB143_3431:
	s_mov_b32 s6, -1
                                        ; implicit-def: $vgpr20_vgpr21
.LBB143_3432:
	s_delay_alu instid0(SALU_CYCLE_1)
	s_and_not1_b32 vcc_lo, exec_lo, s6
	s_cbranch_vccnz .LBB143_3434
; %bb.3433:
	global_load_b32 v1, v[32:33], off
	s_wait_loadcnt 0x0
	v_cvt_f64_f32_e32 v[20:21], v1
.LBB143_3434:
	s_mov_b32 s6, 0
.LBB143_3435:
	s_delay_alu instid0(SALU_CYCLE_1)
	s_and_not1_b32 vcc_lo, exec_lo, s6
	s_cbranch_vccnz .LBB143_3437
; %bb.3436:
	global_load_u16 v1, v[32:33], off
	s_wait_loadcnt 0x0
	v_cvt_f32_f16_e32 v1, v1
	s_delay_alu instid0(VALU_DEP_1)
	v_cvt_f64_f32_e32 v[20:21], v1
.LBB143_3437:
	s_mov_b32 s6, 0
.LBB143_3438:
	s_delay_alu instid0(SALU_CYCLE_1)
	s_and_not1_b32 vcc_lo, exec_lo, s6
	s_cbranch_vccnz .LBB143_3458
; %bb.3439:
	s_cmp_lt_i32 s13, 2
	s_cbranch_scc1 .LBB143_3443
; %bb.3440:
	s_cmp_lt_i32 s13, 3
	s_cbranch_scc1 .LBB143_3444
; %bb.3441:
	s_cmp_gt_i32 s13, 3
	s_cbranch_scc0 .LBB143_3445
; %bb.3442:
	s_wait_loadcnt 0x0
	global_load_b64 v[20:21], v[32:33], off
	s_mov_b32 s6, 0
	s_wait_loadcnt 0x0
	v_cvt_f64_i32_e32 v[34:35], v21
	v_cvt_f64_u32_e32 v[20:21], v20
	s_delay_alu instid0(VALU_DEP_2) | instskip(NEXT) | instid1(VALU_DEP_1)
	v_ldexp_f64 v[34:35], v[34:35], 32
	v_add_f64_e32 v[20:21], v[34:35], v[20:21]
	s_branch .LBB143_3446
.LBB143_3443:
	s_mov_b32 s6, -1
                                        ; implicit-def: $vgpr20_vgpr21
	s_branch .LBB143_3452
.LBB143_3444:
	s_mov_b32 s6, -1
                                        ; implicit-def: $vgpr20_vgpr21
	s_branch .LBB143_3449
.LBB143_3445:
	s_mov_b32 s6, -1
                                        ; implicit-def: $vgpr20_vgpr21
.LBB143_3446:
	s_delay_alu instid0(SALU_CYCLE_1)
	s_and_not1_b32 vcc_lo, exec_lo, s6
	s_cbranch_vccnz .LBB143_3448
; %bb.3447:
	global_load_b32 v1, v[32:33], off
	s_wait_loadcnt 0x0
	v_cvt_f64_i32_e32 v[20:21], v1
.LBB143_3448:
	s_mov_b32 s6, 0
.LBB143_3449:
	s_delay_alu instid0(SALU_CYCLE_1)
	s_and_not1_b32 vcc_lo, exec_lo, s6
	s_cbranch_vccnz .LBB143_3451
; %bb.3450:
	global_load_i16 v1, v[32:33], off
	s_wait_loadcnt 0x0
	v_cvt_f64_i32_e32 v[20:21], v1
.LBB143_3451:
	s_mov_b32 s6, 0
.LBB143_3452:
	s_delay_alu instid0(SALU_CYCLE_1)
	s_and_not1_b32 vcc_lo, exec_lo, s6
	s_cbranch_vccnz .LBB143_3458
; %bb.3453:
	s_cmp_gt_i32 s13, 0
	s_mov_b32 s6, 0
	s_cbranch_scc0 .LBB143_3455
; %bb.3454:
	global_load_i8 v1, v[32:33], off
	s_wait_loadcnt 0x0
	v_cvt_f64_i32_e32 v[20:21], v1
	s_branch .LBB143_3456
.LBB143_3455:
	s_mov_b32 s6, -1
                                        ; implicit-def: $vgpr20_vgpr21
.LBB143_3456:
	s_delay_alu instid0(SALU_CYCLE_1)
	s_and_not1_b32 vcc_lo, exec_lo, s6
	s_cbranch_vccnz .LBB143_3458
; %bb.3457:
	global_load_u8 v1, v[32:33], off
	s_wait_loadcnt 0x0
	v_cvt_f64_u32_e32 v[20:21], v1
.LBB143_3458:
	s_mov_b32 s16, -1
.LBB143_3459:
	s_delay_alu instid0(SALU_CYCLE_1)
	s_and_not1_b32 vcc_lo, exec_lo, s16
	s_cbranch_vccnz .LBB143_4155
; %bb.3460:
	v_mov_b32_e32 v15, 0
	s_cmp_lt_i32 s14, 11
	s_wait_xcnt 0x0
	s_delay_alu instid0(VALU_DEP_1)
	v_add_nc_u64_e32 v[32:33], s[0:1], v[14:15]
	s_cbranch_scc1 .LBB143_3467
; %bb.3461:
	s_cmp_gt_i32 s14, 25
	s_mov_b32 s1, 0
	s_cbranch_scc0 .LBB143_3468
; %bb.3462:
	s_cmp_gt_i32 s14, 28
	s_cbranch_scc0 .LBB143_3469
; %bb.3463:
	s_cmp_gt_i32 s14, 43
	;; [unrolled: 3-line block ×3, first 2 shown]
	s_cbranch_scc0 .LBB143_3472
; %bb.3465:
	s_cmp_eq_u32 s14, 46
	s_mov_b32 s7, 0
	s_cbranch_scc0 .LBB143_3473
; %bb.3466:
	global_load_b32 v1, v[32:33], off
	s_mov_b32 s0, 0
	s_mov_b32 s6, -1
	s_wait_loadcnt 0x0
	v_lshlrev_b32_e32 v1, 16, v1
	s_delay_alu instid0(VALU_DEP_1)
	v_cvt_f64_f32_e32 v[14:15], v1
	s_branch .LBB143_3475
.LBB143_3467:
	s_mov_b32 s0, -1
	s_mov_b32 s6, 0
                                        ; implicit-def: $vgpr14_vgpr15
	s_branch .LBB143_3541
.LBB143_3468:
	s_mov_b32 s7, -1
	s_mov_b32 s6, 0
	s_mov_b32 s0, 0
                                        ; implicit-def: $vgpr14_vgpr15
	s_branch .LBB143_3504
.LBB143_3469:
	s_mov_b32 s7, -1
	s_mov_b32 s6, 0
	s_mov_b32 s0, 0
                                        ; implicit-def: $vgpr14_vgpr15
	s_branch .LBB143_3485
.LBB143_3470:
	s_mov_b32 s7, -1
	s_mov_b32 s6, 0
	s_mov_b32 s0, 0
                                        ; implicit-def: $vgpr14_vgpr15
	s_branch .LBB143_3480
.LBB143_3471:
	s_or_b32 s12, s12, exec_lo
	s_trap 2
	s_cbranch_execz .LBB143_3408
	s_branch .LBB143_3409
.LBB143_3472:
	s_mov_b32 s7, -1
	s_mov_b32 s6, 0
	s_mov_b32 s0, 0
	s_branch .LBB143_3474
.LBB143_3473:
	s_mov_b32 s0, -1
	s_mov_b32 s6, 0
.LBB143_3474:
                                        ; implicit-def: $vgpr14_vgpr15
.LBB143_3475:
	s_and_b32 vcc_lo, exec_lo, s7
	s_cbranch_vccz .LBB143_3479
; %bb.3476:
	s_cmp_eq_u32 s14, 44
	s_cbranch_scc0 .LBB143_3478
; %bb.3477:
	global_load_u8 v1, v[32:33], off
	s_mov_b32 s0, 0
	s_mov_b32 s6, -1
	s_wait_loadcnt 0x0
	v_lshlrev_b32_e32 v5, 23, v1
	v_cmp_ne_u32_e32 vcc_lo, 0xff, v1
	s_delay_alu instid0(VALU_DEP_2) | instskip(NEXT) | instid1(VALU_DEP_1)
	v_cvt_f64_f32_e32 v[14:15], v5
	v_cndmask_b32_e32 v5, 0x20000000, v14, vcc_lo
	s_delay_alu instid0(VALU_DEP_2) | instskip(SKIP_1) | instid1(VALU_DEP_2)
	v_cndmask_b32_e32 v7, 0x7ff80000, v15, vcc_lo
	v_cmp_ne_u32_e32 vcc_lo, 0, v1
	v_cndmask_b32_e32 v15, 0x38000000, v7, vcc_lo
	s_delay_alu instid0(VALU_DEP_4)
	v_cndmask_b32_e32 v14, 0, v5, vcc_lo
	s_branch .LBB143_3479
.LBB143_3478:
	s_mov_b32 s0, -1
                                        ; implicit-def: $vgpr14_vgpr15
.LBB143_3479:
	s_mov_b32 s7, 0
.LBB143_3480:
	s_delay_alu instid0(SALU_CYCLE_1)
	s_and_b32 vcc_lo, exec_lo, s7
	s_cbranch_vccz .LBB143_3484
; %bb.3481:
	s_cmp_eq_u32 s14, 29
	s_cbranch_scc0 .LBB143_3483
; %bb.3482:
	global_load_b64 v[14:15], v[32:33], off
	s_mov_b32 s0, 0
	s_mov_b32 s6, -1
	s_mov_b32 s7, 0
	s_wait_loadcnt 0x0
	v_cvt_f64_u32_e32 v[34:35], v15
	v_cvt_f64_u32_e32 v[14:15], v14
	s_delay_alu instid0(VALU_DEP_2) | instskip(NEXT) | instid1(VALU_DEP_1)
	v_ldexp_f64 v[34:35], v[34:35], 32
	v_add_f64_e32 v[14:15], v[34:35], v[14:15]
	s_branch .LBB143_3485
.LBB143_3483:
	s_mov_b32 s0, -1
                                        ; implicit-def: $vgpr14_vgpr15
.LBB143_3484:
	s_mov_b32 s7, 0
.LBB143_3485:
	s_delay_alu instid0(SALU_CYCLE_1)
	s_and_b32 vcc_lo, exec_lo, s7
	s_cbranch_vccz .LBB143_3503
; %bb.3486:
	s_cmp_lt_i32 s14, 27
	s_cbranch_scc1 .LBB143_3489
; %bb.3487:
	s_cmp_gt_i32 s14, 27
	s_cbranch_scc0 .LBB143_3490
; %bb.3488:
	global_load_b32 v1, v[32:33], off
	s_mov_b32 s6, 0
	s_wait_loadcnt 0x0
	v_cvt_f64_u32_e32 v[14:15], v1
	s_branch .LBB143_3491
.LBB143_3489:
	s_mov_b32 s6, -1
                                        ; implicit-def: $vgpr14_vgpr15
	s_branch .LBB143_3494
.LBB143_3490:
	s_mov_b32 s6, -1
                                        ; implicit-def: $vgpr14_vgpr15
.LBB143_3491:
	s_delay_alu instid0(SALU_CYCLE_1)
	s_and_not1_b32 vcc_lo, exec_lo, s6
	s_cbranch_vccnz .LBB143_3493
; %bb.3492:
	global_load_u16 v1, v[32:33], off
	s_wait_loadcnt 0x0
	v_cvt_f64_u32_e32 v[14:15], v1
.LBB143_3493:
	s_mov_b32 s6, 0
.LBB143_3494:
	s_delay_alu instid0(SALU_CYCLE_1)
	s_and_not1_b32 vcc_lo, exec_lo, s6
	s_cbranch_vccnz .LBB143_3502
; %bb.3495:
	global_load_u8 v1, v[32:33], off
	s_mov_b32 s6, 0
	s_mov_b32 s7, exec_lo
	s_wait_loadcnt 0x0
	v_cmpx_lt_i16_e32 0x7f, v1
	s_xor_b32 s7, exec_lo, s7
	s_cbranch_execz .LBB143_3516
; %bb.3496:
	s_mov_b32 s6, -1
	s_mov_b32 s13, exec_lo
	v_cmpx_eq_u16_e32 0x80, v1
; %bb.3497:
	s_xor_b32 s6, exec_lo, -1
; %bb.3498:
	s_or_b32 exec_lo, exec_lo, s13
	s_delay_alu instid0(SALU_CYCLE_1)
	s_and_b32 s6, s6, exec_lo
	s_or_saveexec_b32 s7, s7
	v_mov_b64_e32 v[14:15], 0x7ff8000020000000
	s_xor_b32 exec_lo, exec_lo, s7
	s_cbranch_execnz .LBB143_3517
.LBB143_3499:
	s_or_b32 exec_lo, exec_lo, s7
	s_and_saveexec_b32 s7, s6
	s_cbranch_execz .LBB143_3501
.LBB143_3500:
	v_and_b32_e32 v5, 0xffff, v1
	v_lshlrev_b32_e32 v1, 24, v1
	s_delay_alu instid0(VALU_DEP_2) | instskip(SKIP_1) | instid1(VALU_DEP_3)
	v_and_b32_e32 v7, 7, v5
	v_bfe_u32 v14, v5, 3, 4
	v_and_b32_e32 v1, 0x80000000, v1
	s_delay_alu instid0(VALU_DEP_3) | instskip(NEXT) | instid1(VALU_DEP_3)
	v_clz_i32_u32_e32 v9, v7
	v_cmp_eq_u32_e32 vcc_lo, 0, v14
	s_delay_alu instid0(VALU_DEP_2) | instskip(NEXT) | instid1(VALU_DEP_1)
	v_min_u32_e32 v9, 32, v9
	v_subrev_nc_u32_e32 v11, 28, v9
	v_sub_nc_u32_e32 v9, 29, v9
	s_delay_alu instid0(VALU_DEP_2) | instskip(NEXT) | instid1(VALU_DEP_2)
	v_lshlrev_b32_e32 v5, v11, v5
	v_cndmask_b32_e32 v9, v14, v9, vcc_lo
	s_delay_alu instid0(VALU_DEP_2) | instskip(NEXT) | instid1(VALU_DEP_1)
	v_and_b32_e32 v5, 7, v5
	v_cndmask_b32_e32 v5, v7, v5, vcc_lo
	s_delay_alu instid0(VALU_DEP_3) | instskip(NEXT) | instid1(VALU_DEP_2)
	v_lshl_add_u32 v7, v9, 23, 0x3b800000
	v_lshlrev_b32_e32 v5, 20, v5
	s_delay_alu instid0(VALU_DEP_1) | instskip(NEXT) | instid1(VALU_DEP_1)
	v_or3_b32 v1, v1, v7, v5
	v_cvt_f64_f32_e32 v[14:15], v1
.LBB143_3501:
	s_or_b32 exec_lo, exec_lo, s7
.LBB143_3502:
	s_mov_b32 s6, -1
.LBB143_3503:
	s_mov_b32 s7, 0
.LBB143_3504:
	s_delay_alu instid0(SALU_CYCLE_1)
	s_and_b32 vcc_lo, exec_lo, s7
	s_cbranch_vccz .LBB143_3537
; %bb.3505:
	s_cmp_gt_i32 s14, 22
	s_cbranch_scc0 .LBB143_3515
; %bb.3506:
	s_cmp_lt_i32 s14, 24
	s_cbranch_scc1 .LBB143_3518
; %bb.3507:
	s_cmp_gt_i32 s14, 24
	s_cbranch_scc0 .LBB143_3519
; %bb.3508:
	global_load_u8 v1, v[32:33], off
	s_mov_b32 s6, exec_lo
	s_wait_loadcnt 0x0
	v_cmpx_lt_i16_e32 0x7f, v1
	s_xor_b32 s6, exec_lo, s6
	s_cbranch_execz .LBB143_3531
; %bb.3509:
	s_mov_b32 s1, -1
	s_mov_b32 s7, exec_lo
	v_cmpx_eq_u16_e32 0x80, v1
; %bb.3510:
	s_xor_b32 s1, exec_lo, -1
; %bb.3511:
	s_or_b32 exec_lo, exec_lo, s7
	s_delay_alu instid0(SALU_CYCLE_1)
	s_and_b32 s1, s1, exec_lo
	s_or_saveexec_b32 s6, s6
	v_mov_b64_e32 v[14:15], 0x7ff8000020000000
	s_xor_b32 exec_lo, exec_lo, s6
	s_cbranch_execnz .LBB143_3532
.LBB143_3512:
	s_or_b32 exec_lo, exec_lo, s6
	s_and_saveexec_b32 s6, s1
	s_cbranch_execz .LBB143_3514
.LBB143_3513:
	v_and_b32_e32 v5, 0xffff, v1
	v_lshlrev_b32_e32 v1, 24, v1
	s_delay_alu instid0(VALU_DEP_2) | instskip(SKIP_1) | instid1(VALU_DEP_3)
	v_and_b32_e32 v7, 3, v5
	v_bfe_u32 v14, v5, 2, 5
	v_and_b32_e32 v1, 0x80000000, v1
	s_delay_alu instid0(VALU_DEP_3) | instskip(NEXT) | instid1(VALU_DEP_3)
	v_clz_i32_u32_e32 v9, v7
	v_cmp_eq_u32_e32 vcc_lo, 0, v14
	s_delay_alu instid0(VALU_DEP_2) | instskip(NEXT) | instid1(VALU_DEP_1)
	v_min_u32_e32 v9, 32, v9
	v_subrev_nc_u32_e32 v11, 29, v9
	v_sub_nc_u32_e32 v9, 30, v9
	s_delay_alu instid0(VALU_DEP_2) | instskip(NEXT) | instid1(VALU_DEP_2)
	v_lshlrev_b32_e32 v5, v11, v5
	v_cndmask_b32_e32 v9, v14, v9, vcc_lo
	s_delay_alu instid0(VALU_DEP_2) | instskip(NEXT) | instid1(VALU_DEP_1)
	v_and_b32_e32 v5, 3, v5
	v_cndmask_b32_e32 v5, v7, v5, vcc_lo
	s_delay_alu instid0(VALU_DEP_3) | instskip(NEXT) | instid1(VALU_DEP_2)
	v_lshl_add_u32 v7, v9, 23, 0x37800000
	v_lshlrev_b32_e32 v5, 21, v5
	s_delay_alu instid0(VALU_DEP_1) | instskip(NEXT) | instid1(VALU_DEP_1)
	v_or3_b32 v1, v1, v7, v5
	v_cvt_f64_f32_e32 v[14:15], v1
.LBB143_3514:
	s_or_b32 exec_lo, exec_lo, s6
	s_mov_b32 s1, 0
	s_branch .LBB143_3520
.LBB143_3515:
	s_mov_b32 s1, -1
                                        ; implicit-def: $vgpr14_vgpr15
	s_branch .LBB143_3526
.LBB143_3516:
	s_or_saveexec_b32 s7, s7
	v_mov_b64_e32 v[14:15], 0x7ff8000020000000
	s_xor_b32 exec_lo, exec_lo, s7
	s_cbranch_execz .LBB143_3499
.LBB143_3517:
	v_cmp_ne_u16_e32 vcc_lo, 0, v1
	v_mov_b64_e32 v[14:15], 0
	s_and_not1_b32 s6, s6, exec_lo
	s_and_b32 s13, vcc_lo, exec_lo
	s_delay_alu instid0(SALU_CYCLE_1)
	s_or_b32 s6, s6, s13
	s_or_b32 exec_lo, exec_lo, s7
	s_and_saveexec_b32 s7, s6
	s_cbranch_execnz .LBB143_3500
	s_branch .LBB143_3501
.LBB143_3518:
	s_mov_b32 s1, -1
                                        ; implicit-def: $vgpr14_vgpr15
	s_branch .LBB143_3523
.LBB143_3519:
	s_mov_b32 s1, -1
                                        ; implicit-def: $vgpr14_vgpr15
.LBB143_3520:
	s_delay_alu instid0(SALU_CYCLE_1)
	s_and_b32 vcc_lo, exec_lo, s1
	s_cbranch_vccz .LBB143_3522
; %bb.3521:
	global_load_u8 v1, v[32:33], off
	s_wait_loadcnt 0x0
	v_lshlrev_b32_e32 v1, 24, v1
	s_delay_alu instid0(VALU_DEP_1) | instskip(NEXT) | instid1(VALU_DEP_1)
	v_and_b32_e32 v5, 0x7f000000, v1
	v_clz_i32_u32_e32 v7, v5
	v_cmp_ne_u32_e32 vcc_lo, 0, v5
	v_add_nc_u32_e32 v11, 0x1000000, v5
	s_delay_alu instid0(VALU_DEP_3) | instskip(NEXT) | instid1(VALU_DEP_1)
	v_min_u32_e32 v7, 32, v7
	v_sub_nc_u32_e64 v7, v7, 4 clamp
	s_delay_alu instid0(VALU_DEP_1) | instskip(NEXT) | instid1(VALU_DEP_1)
	v_dual_lshlrev_b32 v9, v7, v5 :: v_dual_lshlrev_b32 v7, 23, v7
	v_lshrrev_b32_e32 v9, 4, v9
	s_delay_alu instid0(VALU_DEP_1) | instskip(SKIP_1) | instid1(VALU_DEP_2)
	v_sub_nc_u32_e32 v7, v9, v7
	v_ashrrev_i32_e32 v9, 8, v11
	v_add_nc_u32_e32 v7, 0x3c000000, v7
	s_delay_alu instid0(VALU_DEP_1) | instskip(NEXT) | instid1(VALU_DEP_1)
	v_and_or_b32 v7, 0x7f800000, v9, v7
	v_cndmask_b32_e32 v5, 0, v7, vcc_lo
	s_delay_alu instid0(VALU_DEP_1) | instskip(NEXT) | instid1(VALU_DEP_1)
	v_and_or_b32 v1, 0x80000000, v1, v5
	v_cvt_f64_f32_e32 v[14:15], v1
.LBB143_3522:
	s_mov_b32 s1, 0
.LBB143_3523:
	s_delay_alu instid0(SALU_CYCLE_1)
	s_and_not1_b32 vcc_lo, exec_lo, s1
	s_cbranch_vccnz .LBB143_3525
; %bb.3524:
	global_load_u8 v1, v[32:33], off
	s_wait_loadcnt 0x0
	v_lshlrev_b32_e32 v5, 25, v1
	v_lshlrev_b16 v1, 8, v1
	s_delay_alu instid0(VALU_DEP_2) | instskip(NEXT) | instid1(VALU_DEP_2)
	v_lshrrev_b32_e32 v7, 4, v5
	v_and_or_b32 v9, 0x7f00, v1, 0.5
	v_cmp_gt_u32_e32 vcc_lo, 0x8000000, v5
	v_bfe_i32 v1, v1, 0, 16
	s_delay_alu instid0(VALU_DEP_4) | instskip(NEXT) | instid1(VALU_DEP_4)
	v_or_b32_e32 v7, 0x70000000, v7
	v_add_f32_e32 v9, -0.5, v9
	s_delay_alu instid0(VALU_DEP_2) | instskip(NEXT) | instid1(VALU_DEP_1)
	v_mul_f32_e32 v7, 0x7800000, v7
	v_cndmask_b32_e32 v5, v7, v9, vcc_lo
	s_delay_alu instid0(VALU_DEP_1) | instskip(NEXT) | instid1(VALU_DEP_1)
	v_and_or_b32 v1, 0x80000000, v1, v5
	v_cvt_f64_f32_e32 v[14:15], v1
.LBB143_3525:
	s_mov_b32 s1, 0
	s_mov_b32 s6, -1
.LBB143_3526:
	s_and_not1_b32 vcc_lo, exec_lo, s1
	s_mov_b32 s1, 0
	s_cbranch_vccnz .LBB143_3537
; %bb.3527:
	s_cmp_gt_i32 s14, 14
	s_cbranch_scc0 .LBB143_3530
; %bb.3528:
	s_cmp_eq_u32 s14, 15
	s_cbranch_scc0 .LBB143_3533
; %bb.3529:
	global_load_u16 v1, v[32:33], off
	s_mov_b32 s0, 0
	s_mov_b32 s6, -1
	s_wait_loadcnt 0x0
	v_lshlrev_b32_e32 v1, 16, v1
	s_delay_alu instid0(VALU_DEP_1)
	v_cvt_f64_f32_e32 v[14:15], v1
	s_branch .LBB143_3535
.LBB143_3530:
	s_mov_b32 s1, -1
	s_branch .LBB143_3534
.LBB143_3531:
	s_or_saveexec_b32 s6, s6
	v_mov_b64_e32 v[14:15], 0x7ff8000020000000
	s_xor_b32 exec_lo, exec_lo, s6
	s_cbranch_execz .LBB143_3512
.LBB143_3532:
	v_cmp_ne_u16_e32 vcc_lo, 0, v1
	v_mov_b64_e32 v[14:15], 0
	s_and_not1_b32 s1, s1, exec_lo
	s_and_b32 s7, vcc_lo, exec_lo
	s_delay_alu instid0(SALU_CYCLE_1)
	s_or_b32 s1, s1, s7
	s_or_b32 exec_lo, exec_lo, s6
	s_and_saveexec_b32 s6, s1
	s_cbranch_execnz .LBB143_3513
	s_branch .LBB143_3514
.LBB143_3533:
	s_mov_b32 s0, -1
.LBB143_3534:
                                        ; implicit-def: $vgpr14_vgpr15
.LBB143_3535:
	s_and_b32 vcc_lo, exec_lo, s1
	s_mov_b32 s1, 0
	s_cbranch_vccz .LBB143_3537
; %bb.3536:
	s_cmp_lg_u32 s14, 11
	s_mov_b32 s1, -1
	s_cselect_b32 s0, -1, 0
.LBB143_3537:
	s_delay_alu instid0(SALU_CYCLE_1)
	s_and_b32 vcc_lo, exec_lo, s0
	s_cbranch_vccnz .LBB143_3602
; %bb.3538:
	s_and_not1_b32 vcc_lo, exec_lo, s1
	s_cbranch_vccnz .LBB143_3540
.LBB143_3539:
	global_load_u8 v1, v[32:33], off
	v_mov_b32_e32 v14, 0
	s_mov_b32 s6, -1
	s_wait_loadcnt 0x0
	v_cmp_ne_u16_e32 vcc_lo, 0, v1
	v_cndmask_b32_e64 v15, 0, 0x3ff00000, vcc_lo
.LBB143_3540:
	s_mov_b32 s0, 0
.LBB143_3541:
	s_delay_alu instid0(SALU_CYCLE_1)
	s_and_b32 vcc_lo, exec_lo, s0
	s_cbranch_vccz .LBB143_3590
; %bb.3542:
	s_cmp_lt_i32 s14, 5
	s_cbranch_scc1 .LBB143_3547
; %bb.3543:
	s_cmp_lt_i32 s14, 8
	s_cbranch_scc1 .LBB143_3548
	;; [unrolled: 3-line block ×3, first 2 shown]
; %bb.3545:
	s_cmp_gt_i32 s14, 9
	s_cbranch_scc0 .LBB143_3550
; %bb.3546:
	global_load_b64 v[14:15], v[32:33], off
	s_mov_b32 s0, 0
	s_branch .LBB143_3551
.LBB143_3547:
	s_mov_b32 s0, -1
                                        ; implicit-def: $vgpr14_vgpr15
	s_branch .LBB143_3569
.LBB143_3548:
	s_mov_b32 s0, -1
                                        ; implicit-def: $vgpr14_vgpr15
	s_branch .LBB143_3557
.LBB143_3549:
	s_mov_b32 s0, -1
                                        ; implicit-def: $vgpr14_vgpr15
	s_branch .LBB143_3554
.LBB143_3550:
	s_mov_b32 s0, -1
                                        ; implicit-def: $vgpr14_vgpr15
.LBB143_3551:
	s_delay_alu instid0(SALU_CYCLE_1)
	s_and_not1_b32 vcc_lo, exec_lo, s0
	s_cbranch_vccnz .LBB143_3553
; %bb.3552:
	global_load_b32 v1, v[32:33], off
	s_wait_loadcnt 0x0
	v_cvt_f64_f32_e32 v[14:15], v1
.LBB143_3553:
	s_mov_b32 s0, 0
.LBB143_3554:
	s_delay_alu instid0(SALU_CYCLE_1)
	s_and_not1_b32 vcc_lo, exec_lo, s0
	s_cbranch_vccnz .LBB143_3556
; %bb.3555:
	global_load_b32 v1, v[32:33], off
	s_wait_loadcnt 0x0
	v_cvt_f32_f16_e32 v1, v1
	s_delay_alu instid0(VALU_DEP_1)
	v_cvt_f64_f32_e32 v[14:15], v1
.LBB143_3556:
	s_mov_b32 s0, 0
.LBB143_3557:
	s_delay_alu instid0(SALU_CYCLE_1)
	s_and_not1_b32 vcc_lo, exec_lo, s0
	s_cbranch_vccnz .LBB143_3568
; %bb.3558:
	s_cmp_lt_i32 s14, 6
	s_cbranch_scc1 .LBB143_3561
; %bb.3559:
	s_cmp_gt_i32 s14, 6
	s_cbranch_scc0 .LBB143_3562
; %bb.3560:
	s_wait_loadcnt 0x0
	global_load_b64 v[14:15], v[32:33], off
	s_mov_b32 s0, 0
	s_branch .LBB143_3563
.LBB143_3561:
	s_mov_b32 s0, -1
                                        ; implicit-def: $vgpr14_vgpr15
	s_branch .LBB143_3566
.LBB143_3562:
	s_mov_b32 s0, -1
                                        ; implicit-def: $vgpr14_vgpr15
.LBB143_3563:
	s_delay_alu instid0(SALU_CYCLE_1)
	s_and_not1_b32 vcc_lo, exec_lo, s0
	s_cbranch_vccnz .LBB143_3565
; %bb.3564:
	global_load_b32 v1, v[32:33], off
	s_wait_loadcnt 0x0
	v_cvt_f64_f32_e32 v[14:15], v1
.LBB143_3565:
	s_mov_b32 s0, 0
.LBB143_3566:
	s_delay_alu instid0(SALU_CYCLE_1)
	s_and_not1_b32 vcc_lo, exec_lo, s0
	s_cbranch_vccnz .LBB143_3568
; %bb.3567:
	global_load_u16 v1, v[32:33], off
	s_wait_loadcnt 0x0
	v_cvt_f32_f16_e32 v1, v1
	s_delay_alu instid0(VALU_DEP_1)
	v_cvt_f64_f32_e32 v[14:15], v1
.LBB143_3568:
	s_mov_b32 s0, 0
.LBB143_3569:
	s_delay_alu instid0(SALU_CYCLE_1)
	s_and_not1_b32 vcc_lo, exec_lo, s0
	s_cbranch_vccnz .LBB143_3589
; %bb.3570:
	s_cmp_lt_i32 s14, 2
	s_cbranch_scc1 .LBB143_3574
; %bb.3571:
	s_cmp_lt_i32 s14, 3
	s_cbranch_scc1 .LBB143_3575
; %bb.3572:
	s_cmp_gt_i32 s14, 3
	s_cbranch_scc0 .LBB143_3576
; %bb.3573:
	s_wait_loadcnt 0x0
	global_load_b64 v[14:15], v[32:33], off
	s_mov_b32 s0, 0
	s_wait_loadcnt 0x0
	v_cvt_f64_i32_e32 v[34:35], v15
	v_cvt_f64_u32_e32 v[14:15], v14
	s_delay_alu instid0(VALU_DEP_2) | instskip(NEXT) | instid1(VALU_DEP_1)
	v_ldexp_f64 v[34:35], v[34:35], 32
	v_add_f64_e32 v[14:15], v[34:35], v[14:15]
	s_branch .LBB143_3577
.LBB143_3574:
	s_mov_b32 s0, -1
                                        ; implicit-def: $vgpr14_vgpr15
	s_branch .LBB143_3583
.LBB143_3575:
	s_mov_b32 s0, -1
                                        ; implicit-def: $vgpr14_vgpr15
	s_branch .LBB143_3580
.LBB143_3576:
	s_mov_b32 s0, -1
                                        ; implicit-def: $vgpr14_vgpr15
.LBB143_3577:
	s_delay_alu instid0(SALU_CYCLE_1)
	s_and_not1_b32 vcc_lo, exec_lo, s0
	s_cbranch_vccnz .LBB143_3579
; %bb.3578:
	global_load_b32 v1, v[32:33], off
	s_wait_loadcnt 0x0
	v_cvt_f64_i32_e32 v[14:15], v1
.LBB143_3579:
	s_mov_b32 s0, 0
.LBB143_3580:
	s_delay_alu instid0(SALU_CYCLE_1)
	s_and_not1_b32 vcc_lo, exec_lo, s0
	s_cbranch_vccnz .LBB143_3582
; %bb.3581:
	global_load_i16 v1, v[32:33], off
	s_wait_loadcnt 0x0
	v_cvt_f64_i32_e32 v[14:15], v1
.LBB143_3582:
	s_mov_b32 s0, 0
.LBB143_3583:
	s_delay_alu instid0(SALU_CYCLE_1)
	s_and_not1_b32 vcc_lo, exec_lo, s0
	s_cbranch_vccnz .LBB143_3589
; %bb.3584:
	s_cmp_gt_i32 s14, 0
	s_mov_b32 s0, 0
	s_cbranch_scc0 .LBB143_3586
; %bb.3585:
	global_load_i8 v1, v[32:33], off
	s_wait_loadcnt 0x0
	v_cvt_f64_i32_e32 v[14:15], v1
	s_branch .LBB143_3587
.LBB143_3586:
	s_mov_b32 s0, -1
                                        ; implicit-def: $vgpr14_vgpr15
.LBB143_3587:
	s_delay_alu instid0(SALU_CYCLE_1)
	s_and_not1_b32 vcc_lo, exec_lo, s0
	s_cbranch_vccnz .LBB143_3589
; %bb.3588:
	global_load_u8 v1, v[32:33], off
	s_wait_loadcnt 0x0
	v_cvt_f64_u32_e32 v[14:15], v1
.LBB143_3589:
	s_mov_b32 s6, -1
.LBB143_3590:
	s_delay_alu instid0(SALU_CYCLE_1)
	s_and_not1_b32 vcc_lo, exec_lo, s6
	s_cbranch_vccnz .LBB143_4155
; %bb.3591:
	v_mov_b32_e32 v11, 0
	s_cmp_lt_i32 s15, 11
	s_wait_xcnt 0x0
	s_delay_alu instid0(VALU_DEP_1)
	v_add_nc_u64_e32 v[32:33], s[8:9], v[10:11]
	s_cbranch_scc1 .LBB143_3598
; %bb.3592:
	s_cmp_gt_i32 s15, 25
	s_mov_b32 s1, 0
	s_cbranch_scc0 .LBB143_3599
; %bb.3593:
	s_cmp_gt_i32 s15, 28
	s_cbranch_scc0 .LBB143_3600
; %bb.3594:
	s_cmp_gt_i32 s15, 43
	;; [unrolled: 3-line block ×3, first 2 shown]
	s_cbranch_scc0 .LBB143_3603
; %bb.3596:
	s_cmp_eq_u32 s15, 46
	s_mov_b32 s7, 0
	s_cbranch_scc0 .LBB143_3604
; %bb.3597:
	global_load_b32 v1, v[32:33], off
	s_mov_b32 s0, 0
	s_mov_b32 s6, -1
	s_wait_loadcnt 0x0
	v_lshlrev_b32_e32 v1, 16, v1
	s_delay_alu instid0(VALU_DEP_1)
	v_cvt_f64_f32_e32 v[10:11], v1
	s_branch .LBB143_3606
.LBB143_3598:
	s_mov_b32 s0, -1
	s_mov_b32 s6, 0
                                        ; implicit-def: $vgpr10_vgpr11
	s_branch .LBB143_3672
.LBB143_3599:
	s_mov_b32 s7, -1
	s_mov_b32 s6, 0
	s_mov_b32 s0, 0
                                        ; implicit-def: $vgpr10_vgpr11
	s_branch .LBB143_3635
.LBB143_3600:
	s_mov_b32 s7, -1
	s_mov_b32 s6, 0
	s_mov_b32 s0, 0
                                        ; implicit-def: $vgpr10_vgpr11
	s_branch .LBB143_3616
.LBB143_3601:
	s_mov_b32 s7, -1
	s_mov_b32 s6, 0
	s_mov_b32 s0, 0
                                        ; implicit-def: $vgpr10_vgpr11
	s_branch .LBB143_3611
.LBB143_3602:
	s_or_b32 s12, s12, exec_lo
	s_trap 2
	s_cbranch_execz .LBB143_3539
	s_branch .LBB143_3540
.LBB143_3603:
	s_mov_b32 s7, -1
	s_mov_b32 s6, 0
	s_mov_b32 s0, 0
	s_branch .LBB143_3605
.LBB143_3604:
	s_mov_b32 s0, -1
	s_mov_b32 s6, 0
.LBB143_3605:
                                        ; implicit-def: $vgpr10_vgpr11
.LBB143_3606:
	s_and_b32 vcc_lo, exec_lo, s7
	s_cbranch_vccz .LBB143_3610
; %bb.3607:
	s_cmp_eq_u32 s15, 44
	s_cbranch_scc0 .LBB143_3609
; %bb.3608:
	global_load_u8 v1, v[32:33], off
	s_mov_b32 s0, 0
	s_mov_b32 s6, -1
	s_wait_loadcnt 0x0
	v_lshlrev_b32_e32 v5, 23, v1
	v_cmp_ne_u32_e32 vcc_lo, 0xff, v1
	s_delay_alu instid0(VALU_DEP_2) | instskip(NEXT) | instid1(VALU_DEP_1)
	v_cvt_f64_f32_e32 v[10:11], v5
	v_cndmask_b32_e32 v5, 0x20000000, v10, vcc_lo
	s_delay_alu instid0(VALU_DEP_2) | instskip(SKIP_1) | instid1(VALU_DEP_2)
	v_cndmask_b32_e32 v7, 0x7ff80000, v11, vcc_lo
	v_cmp_ne_u32_e32 vcc_lo, 0, v1
	v_cndmask_b32_e32 v11, 0x38000000, v7, vcc_lo
	s_delay_alu instid0(VALU_DEP_4)
	v_cndmask_b32_e32 v10, 0, v5, vcc_lo
	s_branch .LBB143_3610
.LBB143_3609:
	s_mov_b32 s0, -1
                                        ; implicit-def: $vgpr10_vgpr11
.LBB143_3610:
	s_mov_b32 s7, 0
.LBB143_3611:
	s_delay_alu instid0(SALU_CYCLE_1)
	s_and_b32 vcc_lo, exec_lo, s7
	s_cbranch_vccz .LBB143_3615
; %bb.3612:
	s_cmp_eq_u32 s15, 29
	s_cbranch_scc0 .LBB143_3614
; %bb.3613:
	global_load_b64 v[10:11], v[32:33], off
	s_mov_b32 s0, 0
	s_mov_b32 s6, -1
	s_mov_b32 s7, 0
	s_wait_loadcnt 0x0
	v_cvt_f64_u32_e32 v[34:35], v11
	v_cvt_f64_u32_e32 v[10:11], v10
	s_delay_alu instid0(VALU_DEP_2) | instskip(NEXT) | instid1(VALU_DEP_1)
	v_ldexp_f64 v[34:35], v[34:35], 32
	v_add_f64_e32 v[10:11], v[34:35], v[10:11]
	s_branch .LBB143_3616
.LBB143_3614:
	s_mov_b32 s0, -1
                                        ; implicit-def: $vgpr10_vgpr11
.LBB143_3615:
	s_mov_b32 s7, 0
.LBB143_3616:
	s_delay_alu instid0(SALU_CYCLE_1)
	s_and_b32 vcc_lo, exec_lo, s7
	s_cbranch_vccz .LBB143_3634
; %bb.3617:
	s_cmp_lt_i32 s15, 27
	s_cbranch_scc1 .LBB143_3620
; %bb.3618:
	s_cmp_gt_i32 s15, 27
	s_cbranch_scc0 .LBB143_3621
; %bb.3619:
	global_load_b32 v1, v[32:33], off
	s_mov_b32 s6, 0
	s_wait_loadcnt 0x0
	v_cvt_f64_u32_e32 v[10:11], v1
	s_branch .LBB143_3622
.LBB143_3620:
	s_mov_b32 s6, -1
                                        ; implicit-def: $vgpr10_vgpr11
	s_branch .LBB143_3625
.LBB143_3621:
	s_mov_b32 s6, -1
                                        ; implicit-def: $vgpr10_vgpr11
.LBB143_3622:
	s_delay_alu instid0(SALU_CYCLE_1)
	s_and_not1_b32 vcc_lo, exec_lo, s6
	s_cbranch_vccnz .LBB143_3624
; %bb.3623:
	global_load_u16 v1, v[32:33], off
	s_wait_loadcnt 0x0
	v_cvt_f64_u32_e32 v[10:11], v1
.LBB143_3624:
	s_mov_b32 s6, 0
.LBB143_3625:
	s_delay_alu instid0(SALU_CYCLE_1)
	s_and_not1_b32 vcc_lo, exec_lo, s6
	s_cbranch_vccnz .LBB143_3633
; %bb.3626:
	global_load_u8 v1, v[32:33], off
	s_mov_b32 s6, 0
	s_mov_b32 s7, exec_lo
	s_wait_loadcnt 0x0
	v_cmpx_lt_i16_e32 0x7f, v1
	s_xor_b32 s7, exec_lo, s7
	s_cbranch_execz .LBB143_3647
; %bb.3627:
	s_mov_b32 s6, -1
	s_mov_b32 s8, exec_lo
	v_cmpx_eq_u16_e32 0x80, v1
; %bb.3628:
	s_xor_b32 s6, exec_lo, -1
; %bb.3629:
	s_or_b32 exec_lo, exec_lo, s8
	s_delay_alu instid0(SALU_CYCLE_1)
	s_and_b32 s6, s6, exec_lo
	s_or_saveexec_b32 s7, s7
	v_mov_b64_e32 v[10:11], 0x7ff8000020000000
	s_xor_b32 exec_lo, exec_lo, s7
	s_cbranch_execnz .LBB143_3648
.LBB143_3630:
	s_or_b32 exec_lo, exec_lo, s7
	s_and_saveexec_b32 s7, s6
	s_cbranch_execz .LBB143_3632
.LBB143_3631:
	v_and_b32_e32 v5, 0xffff, v1
	v_lshlrev_b32_e32 v1, 24, v1
	s_delay_alu instid0(VALU_DEP_2) | instskip(SKIP_1) | instid1(VALU_DEP_3)
	v_and_b32_e32 v7, 7, v5
	v_bfe_u32 v11, v5, 3, 4
	v_and_b32_e32 v1, 0x80000000, v1
	s_delay_alu instid0(VALU_DEP_3) | instskip(NEXT) | instid1(VALU_DEP_3)
	v_clz_i32_u32_e32 v9, v7
	v_cmp_eq_u32_e32 vcc_lo, 0, v11
	s_delay_alu instid0(VALU_DEP_2) | instskip(NEXT) | instid1(VALU_DEP_1)
	v_min_u32_e32 v9, 32, v9
	v_subrev_nc_u32_e32 v10, 28, v9
	v_sub_nc_u32_e32 v9, 29, v9
	s_delay_alu instid0(VALU_DEP_2) | instskip(NEXT) | instid1(VALU_DEP_2)
	v_lshlrev_b32_e32 v5, v10, v5
	v_cndmask_b32_e32 v9, v11, v9, vcc_lo
	s_delay_alu instid0(VALU_DEP_2) | instskip(NEXT) | instid1(VALU_DEP_1)
	v_and_b32_e32 v5, 7, v5
	v_cndmask_b32_e32 v5, v7, v5, vcc_lo
	s_delay_alu instid0(VALU_DEP_3) | instskip(NEXT) | instid1(VALU_DEP_2)
	v_lshl_add_u32 v7, v9, 23, 0x3b800000
	v_lshlrev_b32_e32 v5, 20, v5
	s_delay_alu instid0(VALU_DEP_1) | instskip(NEXT) | instid1(VALU_DEP_1)
	v_or3_b32 v1, v1, v7, v5
	v_cvt_f64_f32_e32 v[10:11], v1
.LBB143_3632:
	s_or_b32 exec_lo, exec_lo, s7
.LBB143_3633:
	s_mov_b32 s6, -1
.LBB143_3634:
	s_mov_b32 s7, 0
.LBB143_3635:
	s_delay_alu instid0(SALU_CYCLE_1)
	s_and_b32 vcc_lo, exec_lo, s7
	s_cbranch_vccz .LBB143_3668
; %bb.3636:
	s_cmp_gt_i32 s15, 22
	s_cbranch_scc0 .LBB143_3646
; %bb.3637:
	s_cmp_lt_i32 s15, 24
	s_cbranch_scc1 .LBB143_3649
; %bb.3638:
	s_cmp_gt_i32 s15, 24
	s_cbranch_scc0 .LBB143_3650
; %bb.3639:
	global_load_u8 v1, v[32:33], off
	s_mov_b32 s6, exec_lo
	s_wait_loadcnt 0x0
	v_cmpx_lt_i16_e32 0x7f, v1
	s_xor_b32 s6, exec_lo, s6
	s_cbranch_execz .LBB143_3662
; %bb.3640:
	s_mov_b32 s1, -1
	s_mov_b32 s7, exec_lo
	v_cmpx_eq_u16_e32 0x80, v1
; %bb.3641:
	s_xor_b32 s1, exec_lo, -1
; %bb.3642:
	s_or_b32 exec_lo, exec_lo, s7
	s_delay_alu instid0(SALU_CYCLE_1)
	s_and_b32 s1, s1, exec_lo
	s_or_saveexec_b32 s6, s6
	v_mov_b64_e32 v[10:11], 0x7ff8000020000000
	s_xor_b32 exec_lo, exec_lo, s6
	s_cbranch_execnz .LBB143_3663
.LBB143_3643:
	s_or_b32 exec_lo, exec_lo, s6
	s_and_saveexec_b32 s6, s1
	s_cbranch_execz .LBB143_3645
.LBB143_3644:
	v_and_b32_e32 v5, 0xffff, v1
	v_lshlrev_b32_e32 v1, 24, v1
	s_delay_alu instid0(VALU_DEP_2) | instskip(SKIP_1) | instid1(VALU_DEP_3)
	v_and_b32_e32 v7, 3, v5
	v_bfe_u32 v11, v5, 2, 5
	v_and_b32_e32 v1, 0x80000000, v1
	s_delay_alu instid0(VALU_DEP_3) | instskip(NEXT) | instid1(VALU_DEP_3)
	v_clz_i32_u32_e32 v9, v7
	v_cmp_eq_u32_e32 vcc_lo, 0, v11
	s_delay_alu instid0(VALU_DEP_2) | instskip(NEXT) | instid1(VALU_DEP_1)
	v_min_u32_e32 v9, 32, v9
	v_subrev_nc_u32_e32 v10, 29, v9
	v_sub_nc_u32_e32 v9, 30, v9
	s_delay_alu instid0(VALU_DEP_2) | instskip(NEXT) | instid1(VALU_DEP_2)
	v_lshlrev_b32_e32 v5, v10, v5
	v_cndmask_b32_e32 v9, v11, v9, vcc_lo
	s_delay_alu instid0(VALU_DEP_2) | instskip(NEXT) | instid1(VALU_DEP_1)
	v_and_b32_e32 v5, 3, v5
	v_cndmask_b32_e32 v5, v7, v5, vcc_lo
	s_delay_alu instid0(VALU_DEP_3) | instskip(NEXT) | instid1(VALU_DEP_2)
	v_lshl_add_u32 v7, v9, 23, 0x37800000
	v_lshlrev_b32_e32 v5, 21, v5
	s_delay_alu instid0(VALU_DEP_1) | instskip(NEXT) | instid1(VALU_DEP_1)
	v_or3_b32 v1, v1, v7, v5
	v_cvt_f64_f32_e32 v[10:11], v1
.LBB143_3645:
	s_or_b32 exec_lo, exec_lo, s6
	s_mov_b32 s1, 0
	s_branch .LBB143_3651
.LBB143_3646:
	s_mov_b32 s1, -1
                                        ; implicit-def: $vgpr10_vgpr11
	s_branch .LBB143_3657
.LBB143_3647:
	s_or_saveexec_b32 s7, s7
	v_mov_b64_e32 v[10:11], 0x7ff8000020000000
	s_xor_b32 exec_lo, exec_lo, s7
	s_cbranch_execz .LBB143_3630
.LBB143_3648:
	v_cmp_ne_u16_e32 vcc_lo, 0, v1
	v_mov_b64_e32 v[10:11], 0
	s_and_not1_b32 s6, s6, exec_lo
	s_and_b32 s8, vcc_lo, exec_lo
	s_delay_alu instid0(SALU_CYCLE_1)
	s_or_b32 s6, s6, s8
	s_or_b32 exec_lo, exec_lo, s7
	s_and_saveexec_b32 s7, s6
	s_cbranch_execnz .LBB143_3631
	s_branch .LBB143_3632
.LBB143_3649:
	s_mov_b32 s1, -1
                                        ; implicit-def: $vgpr10_vgpr11
	s_branch .LBB143_3654
.LBB143_3650:
	s_mov_b32 s1, -1
                                        ; implicit-def: $vgpr10_vgpr11
.LBB143_3651:
	s_delay_alu instid0(SALU_CYCLE_1)
	s_and_b32 vcc_lo, exec_lo, s1
	s_cbranch_vccz .LBB143_3653
; %bb.3652:
	global_load_u8 v1, v[32:33], off
	s_wait_loadcnt 0x0
	v_lshlrev_b32_e32 v1, 24, v1
	s_delay_alu instid0(VALU_DEP_1) | instskip(NEXT) | instid1(VALU_DEP_1)
	v_and_b32_e32 v5, 0x7f000000, v1
	v_clz_i32_u32_e32 v7, v5
	v_cmp_ne_u32_e32 vcc_lo, 0, v5
	v_add_nc_u32_e32 v10, 0x1000000, v5
	s_delay_alu instid0(VALU_DEP_3) | instskip(NEXT) | instid1(VALU_DEP_1)
	v_min_u32_e32 v7, 32, v7
	v_sub_nc_u32_e64 v7, v7, 4 clamp
	s_delay_alu instid0(VALU_DEP_1) | instskip(NEXT) | instid1(VALU_DEP_1)
	v_dual_lshlrev_b32 v9, v7, v5 :: v_dual_lshlrev_b32 v7, 23, v7
	v_lshrrev_b32_e32 v9, 4, v9
	s_delay_alu instid0(VALU_DEP_1) | instskip(NEXT) | instid1(VALU_DEP_1)
	v_dual_sub_nc_u32 v7, v9, v7 :: v_dual_ashrrev_i32 v9, 8, v10
	v_add_nc_u32_e32 v7, 0x3c000000, v7
	s_delay_alu instid0(VALU_DEP_1) | instskip(NEXT) | instid1(VALU_DEP_1)
	v_and_or_b32 v7, 0x7f800000, v9, v7
	v_cndmask_b32_e32 v5, 0, v7, vcc_lo
	s_delay_alu instid0(VALU_DEP_1) | instskip(NEXT) | instid1(VALU_DEP_1)
	v_and_or_b32 v1, 0x80000000, v1, v5
	v_cvt_f64_f32_e32 v[10:11], v1
.LBB143_3653:
	s_mov_b32 s1, 0
.LBB143_3654:
	s_delay_alu instid0(SALU_CYCLE_1)
	s_and_not1_b32 vcc_lo, exec_lo, s1
	s_cbranch_vccnz .LBB143_3656
; %bb.3655:
	global_load_u8 v1, v[32:33], off
	s_wait_loadcnt 0x0
	v_lshlrev_b32_e32 v5, 25, v1
	v_lshlrev_b16 v1, 8, v1
	s_delay_alu instid0(VALU_DEP_2) | instskip(NEXT) | instid1(VALU_DEP_2)
	v_lshrrev_b32_e32 v7, 4, v5
	v_and_or_b32 v9, 0x7f00, v1, 0.5
	v_cmp_gt_u32_e32 vcc_lo, 0x8000000, v5
	v_bfe_i32 v1, v1, 0, 16
	s_delay_alu instid0(VALU_DEP_4) | instskip(NEXT) | instid1(VALU_DEP_4)
	v_or_b32_e32 v7, 0x70000000, v7
	v_add_f32_e32 v9, -0.5, v9
	s_delay_alu instid0(VALU_DEP_2) | instskip(NEXT) | instid1(VALU_DEP_1)
	v_mul_f32_e32 v7, 0x7800000, v7
	v_cndmask_b32_e32 v5, v7, v9, vcc_lo
	s_delay_alu instid0(VALU_DEP_1) | instskip(NEXT) | instid1(VALU_DEP_1)
	v_and_or_b32 v1, 0x80000000, v1, v5
	v_cvt_f64_f32_e32 v[10:11], v1
.LBB143_3656:
	s_mov_b32 s1, 0
	s_mov_b32 s6, -1
.LBB143_3657:
	s_and_not1_b32 vcc_lo, exec_lo, s1
	s_mov_b32 s1, 0
	s_cbranch_vccnz .LBB143_3668
; %bb.3658:
	s_cmp_gt_i32 s15, 14
	s_cbranch_scc0 .LBB143_3661
; %bb.3659:
	s_cmp_eq_u32 s15, 15
	s_cbranch_scc0 .LBB143_3664
; %bb.3660:
	global_load_u16 v1, v[32:33], off
	s_mov_b32 s0, 0
	s_mov_b32 s6, -1
	s_wait_loadcnt 0x0
	v_lshlrev_b32_e32 v1, 16, v1
	s_delay_alu instid0(VALU_DEP_1)
	v_cvt_f64_f32_e32 v[10:11], v1
	s_branch .LBB143_3666
.LBB143_3661:
	s_mov_b32 s1, -1
	s_branch .LBB143_3665
.LBB143_3662:
	s_or_saveexec_b32 s6, s6
	v_mov_b64_e32 v[10:11], 0x7ff8000020000000
	s_xor_b32 exec_lo, exec_lo, s6
	s_cbranch_execz .LBB143_3643
.LBB143_3663:
	v_cmp_ne_u16_e32 vcc_lo, 0, v1
	v_mov_b64_e32 v[10:11], 0
	s_and_not1_b32 s1, s1, exec_lo
	s_and_b32 s7, vcc_lo, exec_lo
	s_delay_alu instid0(SALU_CYCLE_1)
	s_or_b32 s1, s1, s7
	s_or_b32 exec_lo, exec_lo, s6
	s_and_saveexec_b32 s6, s1
	s_cbranch_execnz .LBB143_3644
	s_branch .LBB143_3645
.LBB143_3664:
	s_mov_b32 s0, -1
.LBB143_3665:
                                        ; implicit-def: $vgpr10_vgpr11
.LBB143_3666:
	s_and_b32 vcc_lo, exec_lo, s1
	s_mov_b32 s1, 0
	s_cbranch_vccz .LBB143_3668
; %bb.3667:
	s_cmp_lg_u32 s15, 11
	s_mov_b32 s1, -1
	s_cselect_b32 s0, -1, 0
.LBB143_3668:
	s_delay_alu instid0(SALU_CYCLE_1)
	s_and_b32 vcc_lo, exec_lo, s0
	s_cbranch_vccnz .LBB143_4201
; %bb.3669:
	s_and_not1_b32 vcc_lo, exec_lo, s1
	s_cbranch_vccnz .LBB143_3671
.LBB143_3670:
	global_load_u8 v1, v[32:33], off
	v_mov_b32_e32 v10, 0
	s_mov_b32 s6, -1
	s_wait_loadcnt 0x0
	v_cmp_ne_u16_e32 vcc_lo, 0, v1
	v_cndmask_b32_e64 v11, 0, 0x3ff00000, vcc_lo
.LBB143_3671:
	s_mov_b32 s0, 0
.LBB143_3672:
	s_delay_alu instid0(SALU_CYCLE_1)
	s_and_b32 vcc_lo, exec_lo, s0
	s_cbranch_vccz .LBB143_3721
; %bb.3673:
	s_cmp_lt_i32 s15, 5
	s_cbranch_scc1 .LBB143_3678
; %bb.3674:
	s_cmp_lt_i32 s15, 8
	s_cbranch_scc1 .LBB143_3679
	;; [unrolled: 3-line block ×3, first 2 shown]
; %bb.3676:
	s_cmp_gt_i32 s15, 9
	s_cbranch_scc0 .LBB143_3681
; %bb.3677:
	global_load_b64 v[10:11], v[32:33], off
	s_mov_b32 s0, 0
	s_branch .LBB143_3682
.LBB143_3678:
	s_mov_b32 s0, -1
                                        ; implicit-def: $vgpr10_vgpr11
	s_branch .LBB143_3700
.LBB143_3679:
	s_mov_b32 s0, -1
                                        ; implicit-def: $vgpr10_vgpr11
	s_branch .LBB143_3688
.LBB143_3680:
	s_mov_b32 s0, -1
                                        ; implicit-def: $vgpr10_vgpr11
	s_branch .LBB143_3685
.LBB143_3681:
	s_mov_b32 s0, -1
                                        ; implicit-def: $vgpr10_vgpr11
.LBB143_3682:
	s_delay_alu instid0(SALU_CYCLE_1)
	s_and_not1_b32 vcc_lo, exec_lo, s0
	s_cbranch_vccnz .LBB143_3684
; %bb.3683:
	global_load_b32 v1, v[32:33], off
	s_wait_loadcnt 0x0
	v_cvt_f64_f32_e32 v[10:11], v1
.LBB143_3684:
	s_mov_b32 s0, 0
.LBB143_3685:
	s_delay_alu instid0(SALU_CYCLE_1)
	s_and_not1_b32 vcc_lo, exec_lo, s0
	s_cbranch_vccnz .LBB143_3687
; %bb.3686:
	global_load_b32 v1, v[32:33], off
	s_wait_loadcnt 0x0
	v_cvt_f32_f16_e32 v1, v1
	s_delay_alu instid0(VALU_DEP_1)
	v_cvt_f64_f32_e32 v[10:11], v1
.LBB143_3687:
	s_mov_b32 s0, 0
.LBB143_3688:
	s_delay_alu instid0(SALU_CYCLE_1)
	s_and_not1_b32 vcc_lo, exec_lo, s0
	s_cbranch_vccnz .LBB143_3699
; %bb.3689:
	s_cmp_lt_i32 s15, 6
	s_cbranch_scc1 .LBB143_3692
; %bb.3690:
	s_cmp_gt_i32 s15, 6
	s_cbranch_scc0 .LBB143_3693
; %bb.3691:
	s_wait_loadcnt 0x0
	global_load_b64 v[10:11], v[32:33], off
	s_mov_b32 s0, 0
	s_branch .LBB143_3694
.LBB143_3692:
	s_mov_b32 s0, -1
                                        ; implicit-def: $vgpr10_vgpr11
	s_branch .LBB143_3697
.LBB143_3693:
	s_mov_b32 s0, -1
                                        ; implicit-def: $vgpr10_vgpr11
.LBB143_3694:
	s_delay_alu instid0(SALU_CYCLE_1)
	s_and_not1_b32 vcc_lo, exec_lo, s0
	s_cbranch_vccnz .LBB143_3696
; %bb.3695:
	global_load_b32 v1, v[32:33], off
	s_wait_loadcnt 0x0
	v_cvt_f64_f32_e32 v[10:11], v1
.LBB143_3696:
	s_mov_b32 s0, 0
.LBB143_3697:
	s_delay_alu instid0(SALU_CYCLE_1)
	s_and_not1_b32 vcc_lo, exec_lo, s0
	s_cbranch_vccnz .LBB143_3699
; %bb.3698:
	global_load_u16 v1, v[32:33], off
	s_wait_loadcnt 0x0
	v_cvt_f32_f16_e32 v1, v1
	s_delay_alu instid0(VALU_DEP_1)
	v_cvt_f64_f32_e32 v[10:11], v1
.LBB143_3699:
	s_mov_b32 s0, 0
.LBB143_3700:
	s_delay_alu instid0(SALU_CYCLE_1)
	s_and_not1_b32 vcc_lo, exec_lo, s0
	s_cbranch_vccnz .LBB143_3720
; %bb.3701:
	s_cmp_lt_i32 s15, 2
	s_cbranch_scc1 .LBB143_3705
; %bb.3702:
	s_cmp_lt_i32 s15, 3
	s_cbranch_scc1 .LBB143_3706
; %bb.3703:
	s_cmp_gt_i32 s15, 3
	s_cbranch_scc0 .LBB143_3707
; %bb.3704:
	s_wait_loadcnt 0x0
	global_load_b64 v[10:11], v[32:33], off
	s_mov_b32 s0, 0
	s_wait_loadcnt 0x0
	v_cvt_f64_i32_e32 v[34:35], v11
	v_cvt_f64_u32_e32 v[10:11], v10
	s_delay_alu instid0(VALU_DEP_2) | instskip(NEXT) | instid1(VALU_DEP_1)
	v_ldexp_f64 v[34:35], v[34:35], 32
	v_add_f64_e32 v[10:11], v[34:35], v[10:11]
	s_branch .LBB143_3708
.LBB143_3705:
	s_mov_b32 s0, -1
                                        ; implicit-def: $vgpr10_vgpr11
	s_branch .LBB143_3714
.LBB143_3706:
	s_mov_b32 s0, -1
                                        ; implicit-def: $vgpr10_vgpr11
	s_branch .LBB143_3711
.LBB143_3707:
	s_mov_b32 s0, -1
                                        ; implicit-def: $vgpr10_vgpr11
.LBB143_3708:
	s_delay_alu instid0(SALU_CYCLE_1)
	s_and_not1_b32 vcc_lo, exec_lo, s0
	s_cbranch_vccnz .LBB143_3710
; %bb.3709:
	global_load_b32 v1, v[32:33], off
	s_wait_loadcnt 0x0
	v_cvt_f64_i32_e32 v[10:11], v1
.LBB143_3710:
	s_mov_b32 s0, 0
.LBB143_3711:
	s_delay_alu instid0(SALU_CYCLE_1)
	s_and_not1_b32 vcc_lo, exec_lo, s0
	s_cbranch_vccnz .LBB143_3713
; %bb.3712:
	global_load_i16 v1, v[32:33], off
	s_wait_loadcnt 0x0
	v_cvt_f64_i32_e32 v[10:11], v1
.LBB143_3713:
	s_mov_b32 s0, 0
.LBB143_3714:
	s_delay_alu instid0(SALU_CYCLE_1)
	s_and_not1_b32 vcc_lo, exec_lo, s0
	s_cbranch_vccnz .LBB143_3720
; %bb.3715:
	s_cmp_gt_i32 s15, 0
	s_mov_b32 s0, 0
	s_cbranch_scc0 .LBB143_3717
; %bb.3716:
	global_load_i8 v1, v[32:33], off
	s_wait_loadcnt 0x0
	v_cvt_f64_i32_e32 v[10:11], v1
	s_branch .LBB143_3718
.LBB143_3717:
	s_mov_b32 s0, -1
                                        ; implicit-def: $vgpr10_vgpr11
.LBB143_3718:
	s_delay_alu instid0(SALU_CYCLE_1)
	s_and_not1_b32 vcc_lo, exec_lo, s0
	s_cbranch_vccnz .LBB143_3720
; %bb.3719:
	global_load_u8 v1, v[32:33], off
	s_wait_loadcnt 0x0
	v_cvt_f64_u32_e32 v[10:11], v1
.LBB143_3720:
	s_mov_b32 s6, -1
.LBB143_3721:
	s_delay_alu instid0(SALU_CYCLE_1)
	s_and_not1_b32 vcc_lo, exec_lo, s6
	s_cbranch_vccnz .LBB143_4155
; %bb.3722:
	s_wait_loadcnt 0x0
	v_dual_max_num_f64 v[32:33], v[12:13], v[12:13] :: v_dual_mov_b32 v1, 0
	v_max_num_f64_e32 v[34:35], v[2:3], v[2:3]
	v_cmp_u_f64_e32 vcc_lo, v[18:19], v[18:19]
	global_load_u8 v5, v1, s[2:3] offset:489
	v_max_num_f64_e32 v[32:33], v[34:35], v[32:33]
	v_max_num_f64_e32 v[34:35], v[18:19], v[18:19]
	s_delay_alu instid0(VALU_DEP_1) | instskip(NEXT) | instid1(VALU_DEP_1)
	v_min_num_f64_e32 v[32:33], v[32:33], v[34:35]
	v_dual_cndmask_b32 v7, v33, v19, vcc_lo :: v_dual_cndmask_b32 v9, v32, v18, vcc_lo
	v_cmp_u_f64_e32 vcc_lo, v[12:13], v[12:13]
	s_delay_alu instid0(VALU_DEP_2) | instskip(SKIP_4) | instid1(VALU_DEP_2)
	v_dual_cndmask_b32 v9, v9, v12, vcc_lo :: v_dual_cndmask_b32 v7, v7, v13, vcc_lo
	v_cmp_u_f64_e32 vcc_lo, v[2:3], v[2:3]
	s_wait_loadcnt 0x0
	v_and_b32_e32 v12, 0xffff, v5
	v_readfirstlane_b32 s1, v5
	v_cmp_gt_i32_e64 s0, 11, v12
	v_add_nc_u64_e32 v[12:13], s[4:5], v[0:1]
	s_wait_xcnt 0x0
	v_dual_cndmask_b32 v1, v7, v3 :: v_dual_cndmask_b32 v0, v9, v2
	s_and_b32 vcc_lo, exec_lo, s0
	s_cbranch_vccnz .LBB143_3800
; %bb.3723:
	s_and_b32 s2, 0xffff, s1
	s_mov_b32 s7, -1
	s_mov_b32 s3, 0
	s_cmp_gt_i32 s2, 25
	s_mov_b32 s6, 0
	s_mov_b32 s0, 0
	s_cbranch_scc0 .LBB143_3756
; %bb.3724:
	s_cmp_gt_i32 s2, 28
	s_cbranch_scc0 .LBB143_3739
; %bb.3725:
	s_cmp_gt_i32 s2, 43
	;; [unrolled: 3-line block ×3, first 2 shown]
	s_cbranch_scc0 .LBB143_3729
; %bb.3727:
	s_mov_b32 s0, -1
	s_mov_b32 s7, 0
	s_cmp_eq_u32 s2, 46
	s_cbranch_scc0 .LBB143_3729
; %bb.3728:
	v_cvt_f32_f64_e32 v2, v[0:1]
	s_mov_b32 s0, 0
	s_mov_b32 s6, -1
	s_delay_alu instid0(VALU_DEP_1) | instskip(SKIP_1) | instid1(VALU_DEP_2)
	v_bfe_u32 v3, v2, 16, 1
	v_cmp_o_f32_e32 vcc_lo, v2, v2
	v_add3_u32 v3, v2, v3, 0x7fff
	s_delay_alu instid0(VALU_DEP_1) | instskip(NEXT) | instid1(VALU_DEP_1)
	v_lshrrev_b32_e32 v3, 16, v3
	v_cndmask_b32_e32 v2, 0x7fc0, v3, vcc_lo
	global_store_b32 v[12:13], v2, off
.LBB143_3729:
	s_and_b32 vcc_lo, exec_lo, s7
	s_cbranch_vccz .LBB143_3734
; %bb.3730:
	s_cmp_eq_u32 s2, 44
	s_mov_b32 s0, -1
	s_cbranch_scc0 .LBB143_3734
; %bb.3731:
	s_wait_xcnt 0x0
	v_cvt_f32_f64_e32 v2, v[0:1]
	v_mov_b32_e32 v3, 0xff
	s_mov_b32 s6, exec_lo
	s_delay_alu instid0(VALU_DEP_2) | instskip(NEXT) | instid1(VALU_DEP_1)
	v_bfe_u32 v5, v2, 23, 8
	v_cmpx_ne_u32_e32 0xff, v5
	s_cbranch_execz .LBB143_3733
; %bb.3732:
	v_and_b32_e32 v3, 0x400000, v2
	v_and_or_b32 v5, 0x3fffff, v2, v5
	v_lshrrev_b32_e32 v2, 23, v2
	s_delay_alu instid0(VALU_DEP_3) | instskip(NEXT) | instid1(VALU_DEP_3)
	v_cmp_ne_u32_e32 vcc_lo, 0, v3
	v_cmp_ne_u32_e64 s0, 0, v5
	s_and_b32 s0, vcc_lo, s0
	s_delay_alu instid0(SALU_CYCLE_1) | instskip(NEXT) | instid1(VALU_DEP_1)
	v_cndmask_b32_e64 v3, 0, 1, s0
	v_add_nc_u32_e32 v3, v2, v3
.LBB143_3733:
	s_or_b32 exec_lo, exec_lo, s6
	s_mov_b32 s0, 0
	s_mov_b32 s6, -1
	global_store_b8 v[12:13], v3, off
.LBB143_3734:
	s_mov_b32 s7, 0
.LBB143_3735:
	s_delay_alu instid0(SALU_CYCLE_1)
	s_and_b32 vcc_lo, exec_lo, s7
	s_cbranch_vccz .LBB143_3738
; %bb.3736:
	s_cmp_eq_u32 s2, 29
	s_mov_b32 s0, -1
	s_cbranch_scc0 .LBB143_3738
; %bb.3737:
	s_wait_xcnt 0x0
	v_trunc_f64_e32 v[2:3], v[0:1]
	s_mov_b32 s0, 0
	s_mov_b32 s6, -1
	s_delay_alu instid0(VALU_DEP_1) | instskip(NEXT) | instid1(VALU_DEP_1)
	v_ldexp_f64 v[18:19], v[2:3], 0xffffffe0
	v_floor_f64_e32 v[18:19], v[18:19]
	s_delay_alu instid0(VALU_DEP_1) | instskip(SKIP_1) | instid1(VALU_DEP_2)
	v_fmamk_f64 v[2:3], v[18:19], 0xc1f00000, v[2:3]
	v_cvt_u32_f64_e32 v19, v[18:19]
	v_cvt_u32_f64_e32 v18, v[2:3]
	global_store_b64 v[12:13], v[18:19], off
.LBB143_3738:
	s_mov_b32 s7, 0
.LBB143_3739:
	s_delay_alu instid0(SALU_CYCLE_1)
	s_and_b32 vcc_lo, exec_lo, s7
	s_cbranch_vccz .LBB143_3755
; %bb.3740:
	s_cmp_lt_i32 s2, 27
	s_mov_b32 s6, -1
	s_cbranch_scc1 .LBB143_3746
; %bb.3741:
	s_wait_xcnt 0x0
	v_cvt_u32_f64_e32 v2, v[0:1]
	s_cmp_gt_i32 s2, 27
	s_cbranch_scc0 .LBB143_3743
; %bb.3742:
	s_mov_b32 s6, 0
	global_store_b32 v[12:13], v2, off
.LBB143_3743:
	s_and_not1_b32 vcc_lo, exec_lo, s6
	s_cbranch_vccnz .LBB143_3745
; %bb.3744:
	global_store_b16 v[12:13], v2, off
.LBB143_3745:
	s_mov_b32 s6, 0
.LBB143_3746:
	s_delay_alu instid0(SALU_CYCLE_1)
	s_and_not1_b32 vcc_lo, exec_lo, s6
	s_cbranch_vccnz .LBB143_3754
; %bb.3747:
	s_wait_xcnt 0x0
	v_cvt_f32_f64_e32 v2, v[0:1]
	v_mov_b32_e32 v5, 0x80
	s_mov_b32 s6, exec_lo
	s_delay_alu instid0(VALU_DEP_2) | instskip(NEXT) | instid1(VALU_DEP_1)
	v_and_b32_e32 v3, 0x7fffffff, v2
	v_cmpx_gt_u32_e32 0x43800000, v3
	s_cbranch_execz .LBB143_3753
; %bb.3748:
	v_cmp_lt_u32_e32 vcc_lo, 0x3bffffff, v3
	s_mov_b32 s7, 0
                                        ; implicit-def: $vgpr3
	s_and_saveexec_b32 s8, vcc_lo
	s_delay_alu instid0(SALU_CYCLE_1)
	s_xor_b32 s8, exec_lo, s8
	s_cbranch_execz .LBB143_4202
; %bb.3749:
	v_bfe_u32 v3, v2, 20, 1
	s_mov_b32 s7, exec_lo
	s_delay_alu instid0(VALU_DEP_1) | instskip(NEXT) | instid1(VALU_DEP_1)
	v_add3_u32 v3, v2, v3, 0x487ffff
	v_lshrrev_b32_e32 v3, 20, v3
	s_and_not1_saveexec_b32 s8, s8
	s_cbranch_execnz .LBB143_4203
.LBB143_3750:
	s_or_b32 exec_lo, exec_lo, s8
	v_mov_b32_e32 v5, 0
	s_and_saveexec_b32 s8, s7
.LBB143_3751:
	v_lshrrev_b32_e32 v2, 24, v2
	s_delay_alu instid0(VALU_DEP_1)
	v_and_or_b32 v5, 0x80, v2, v3
.LBB143_3752:
	s_or_b32 exec_lo, exec_lo, s8
.LBB143_3753:
	s_delay_alu instid0(SALU_CYCLE_1)
	s_or_b32 exec_lo, exec_lo, s6
	global_store_b8 v[12:13], v5, off
.LBB143_3754:
	s_mov_b32 s6, -1
.LBB143_3755:
	s_mov_b32 s7, 0
.LBB143_3756:
	s_delay_alu instid0(SALU_CYCLE_1)
	s_and_b32 vcc_lo, exec_lo, s7
	s_cbranch_vccz .LBB143_3796
; %bb.3757:
	s_cmp_gt_i32 s2, 22
	s_mov_b32 s3, -1
	s_cbranch_scc0 .LBB143_3789
; %bb.3758:
	s_cmp_lt_i32 s2, 24
	s_cbranch_scc1 .LBB143_3778
; %bb.3759:
	s_cmp_gt_i32 s2, 24
	s_cbranch_scc0 .LBB143_3767
; %bb.3760:
	s_wait_xcnt 0x0
	v_cvt_f32_f64_e32 v2, v[0:1]
	v_mov_b32_e32 v5, 0x80
	s_mov_b32 s3, exec_lo
	s_delay_alu instid0(VALU_DEP_2) | instskip(NEXT) | instid1(VALU_DEP_1)
	v_and_b32_e32 v3, 0x7fffffff, v2
	v_cmpx_gt_u32_e32 0x47800000, v3
	s_cbranch_execz .LBB143_3766
; %bb.3761:
	v_cmp_lt_u32_e32 vcc_lo, 0x37ffffff, v3
	s_mov_b32 s6, 0
                                        ; implicit-def: $vgpr3
	s_and_saveexec_b32 s7, vcc_lo
	s_delay_alu instid0(SALU_CYCLE_1)
	s_xor_b32 s7, exec_lo, s7
	s_cbranch_execz .LBB143_4205
; %bb.3762:
	v_bfe_u32 v3, v2, 21, 1
	s_mov_b32 s6, exec_lo
	s_delay_alu instid0(VALU_DEP_1) | instskip(NEXT) | instid1(VALU_DEP_1)
	v_add3_u32 v3, v2, v3, 0x88fffff
	v_lshrrev_b32_e32 v3, 21, v3
	s_and_not1_saveexec_b32 s7, s7
	s_cbranch_execnz .LBB143_4206
.LBB143_3763:
	s_or_b32 exec_lo, exec_lo, s7
	v_mov_b32_e32 v5, 0
	s_and_saveexec_b32 s7, s6
.LBB143_3764:
	v_lshrrev_b32_e32 v2, 24, v2
	s_delay_alu instid0(VALU_DEP_1)
	v_and_or_b32 v5, 0x80, v2, v3
.LBB143_3765:
	s_or_b32 exec_lo, exec_lo, s7
.LBB143_3766:
	s_delay_alu instid0(SALU_CYCLE_1)
	s_or_b32 exec_lo, exec_lo, s3
	s_mov_b32 s3, 0
	global_store_b8 v[12:13], v5, off
.LBB143_3767:
	s_and_b32 vcc_lo, exec_lo, s3
	s_cbranch_vccz .LBB143_3777
; %bb.3768:
	s_wait_xcnt 0x0
	v_cvt_f32_f64_e32 v2, v[0:1]
	s_mov_b32 s3, exec_lo
                                        ; implicit-def: $vgpr3
	s_delay_alu instid0(VALU_DEP_1) | instskip(NEXT) | instid1(VALU_DEP_1)
	v_and_b32_e32 v5, 0x7fffffff, v2
	v_cmpx_gt_u32_e32 0x43f00000, v5
	s_xor_b32 s3, exec_lo, s3
	s_cbranch_execz .LBB143_3774
; %bb.3769:
	s_mov_b32 s6, exec_lo
                                        ; implicit-def: $vgpr3
	v_cmpx_lt_u32_e32 0x3c7fffff, v5
	s_xor_b32 s6, exec_lo, s6
; %bb.3770:
	v_bfe_u32 v3, v2, 20, 1
	s_delay_alu instid0(VALU_DEP_1) | instskip(NEXT) | instid1(VALU_DEP_1)
	v_add3_u32 v3, v2, v3, 0x407ffff
	v_and_b32_e32 v5, 0xff00000, v3
	v_lshrrev_b32_e32 v3, 20, v3
	s_delay_alu instid0(VALU_DEP_2) | instskip(NEXT) | instid1(VALU_DEP_2)
	v_cmp_ne_u32_e32 vcc_lo, 0x7f00000, v5
	v_cndmask_b32_e32 v3, 0x7e, v3, vcc_lo
; %bb.3771:
	s_and_not1_saveexec_b32 s6, s6
; %bb.3772:
	v_add_f32_e64 v3, 0x46800000, |v2|
; %bb.3773:
	s_or_b32 exec_lo, exec_lo, s6
                                        ; implicit-def: $vgpr5
.LBB143_3774:
	s_and_not1_saveexec_b32 s3, s3
; %bb.3775:
	v_mov_b32_e32 v3, 0x7f
	v_cmp_lt_u32_e32 vcc_lo, 0x7f800000, v5
	s_delay_alu instid0(VALU_DEP_2)
	v_cndmask_b32_e32 v3, 0x7e, v3, vcc_lo
; %bb.3776:
	s_or_b32 exec_lo, exec_lo, s3
	v_lshrrev_b32_e32 v2, 24, v2
	s_delay_alu instid0(VALU_DEP_1)
	v_and_or_b32 v2, 0x80, v2, v3
	global_store_b8 v[12:13], v2, off
.LBB143_3777:
	s_mov_b32 s3, 0
.LBB143_3778:
	s_delay_alu instid0(SALU_CYCLE_1)
	s_and_not1_b32 vcc_lo, exec_lo, s3
	s_cbranch_vccnz .LBB143_3788
; %bb.3779:
	s_wait_xcnt 0x0
	v_cvt_f32_f64_e32 v2, v[0:1]
	s_mov_b32 s3, exec_lo
                                        ; implicit-def: $vgpr3
	s_delay_alu instid0(VALU_DEP_1) | instskip(NEXT) | instid1(VALU_DEP_1)
	v_and_b32_e32 v5, 0x7fffffff, v2
	v_cmpx_gt_u32_e32 0x47800000, v5
	s_xor_b32 s3, exec_lo, s3
	s_cbranch_execz .LBB143_3785
; %bb.3780:
	s_mov_b32 s6, exec_lo
                                        ; implicit-def: $vgpr3
	v_cmpx_lt_u32_e32 0x387fffff, v5
	s_xor_b32 s6, exec_lo, s6
; %bb.3781:
	v_bfe_u32 v3, v2, 21, 1
	s_delay_alu instid0(VALU_DEP_1) | instskip(NEXT) | instid1(VALU_DEP_1)
	v_add3_u32 v3, v2, v3, 0x80fffff
	v_lshrrev_b32_e32 v3, 21, v3
; %bb.3782:
	s_and_not1_saveexec_b32 s6, s6
; %bb.3783:
	v_add_f32_e64 v3, 0x43000000, |v2|
; %bb.3784:
	s_or_b32 exec_lo, exec_lo, s6
                                        ; implicit-def: $vgpr5
.LBB143_3785:
	s_and_not1_saveexec_b32 s3, s3
; %bb.3786:
	v_mov_b32_e32 v3, 0x7f
	v_cmp_lt_u32_e32 vcc_lo, 0x7f800000, v5
	s_delay_alu instid0(VALU_DEP_2)
	v_cndmask_b32_e32 v3, 0x7c, v3, vcc_lo
; %bb.3787:
	s_or_b32 exec_lo, exec_lo, s3
	v_lshrrev_b32_e32 v2, 24, v2
	s_delay_alu instid0(VALU_DEP_1)
	v_and_or_b32 v2, 0x80, v2, v3
	global_store_b8 v[12:13], v2, off
.LBB143_3788:
	s_mov_b32 s3, 0
	s_mov_b32 s6, -1
.LBB143_3789:
	s_and_not1_b32 vcc_lo, exec_lo, s3
	s_mov_b32 s3, 0
	s_cbranch_vccnz .LBB143_3796
; %bb.3790:
	s_cmp_gt_i32 s2, 14
	s_mov_b32 s3, -1
	s_cbranch_scc0 .LBB143_3794
; %bb.3791:
	s_cmp_eq_u32 s2, 15
	s_mov_b32 s0, -1
	s_cbranch_scc0 .LBB143_3793
; %bb.3792:
	s_wait_xcnt 0x0
	v_cvt_f32_f64_e32 v2, v[0:1]
	s_mov_b32 s0, 0
	s_mov_b32 s6, -1
	s_delay_alu instid0(VALU_DEP_1) | instskip(SKIP_1) | instid1(VALU_DEP_2)
	v_bfe_u32 v3, v2, 16, 1
	v_cmp_o_f32_e32 vcc_lo, v2, v2
	v_add3_u32 v3, v2, v3, 0x7fff
	s_delay_alu instid0(VALU_DEP_1) | instskip(NEXT) | instid1(VALU_DEP_1)
	v_lshrrev_b32_e32 v3, 16, v3
	v_cndmask_b32_e32 v2, 0x7fc0, v3, vcc_lo
	global_store_b16 v[12:13], v2, off
.LBB143_3793:
	s_mov_b32 s3, 0
.LBB143_3794:
	s_delay_alu instid0(SALU_CYCLE_1)
	s_and_b32 vcc_lo, exec_lo, s3
	s_mov_b32 s3, 0
	s_cbranch_vccz .LBB143_3796
; %bb.3795:
	s_cmp_lg_u32 s2, 11
	s_mov_b32 s3, -1
	s_cselect_b32 s0, -1, 0
.LBB143_3796:
	s_delay_alu instid0(SALU_CYCLE_1)
	s_and_b32 vcc_lo, exec_lo, s0
	s_cbranch_vccnz .LBB143_4204
; %bb.3797:
	s_and_not1_b32 vcc_lo, exec_lo, s3
	s_cbranch_vccnz .LBB143_3799
.LBB143_3798:
	v_cmp_neq_f64_e32 vcc_lo, 0, v[0:1]
	s_mov_b32 s6, -1
	s_wait_xcnt 0x0
	v_cndmask_b32_e64 v2, 0, 1, vcc_lo
	global_store_b8 v[12:13], v2, off
.LBB143_3799:
	s_mov_b32 s0, 0
	s_branch .LBB143_3801
.LBB143_3800:
	s_mov_b32 s0, -1
	s_mov_b32 s6, 0
.LBB143_3801:
	s_and_b32 vcc_lo, exec_lo, s0
	s_cbranch_vccz .LBB143_3840
; %bb.3802:
	s_and_b32 s0, 0xffff, s1
	s_mov_b32 s2, -1
	s_cmp_lt_i32 s0, 5
	s_cbranch_scc1 .LBB143_3823
; %bb.3803:
	s_cmp_lt_i32 s0, 8
	s_cbranch_scc1 .LBB143_3813
; %bb.3804:
	;; [unrolled: 3-line block ×3, first 2 shown]
	s_cmp_gt_i32 s0, 9
	s_cbranch_scc0 .LBB143_3807
; %bb.3806:
	s_wait_xcnt 0x0
	v_mov_b32_e32 v2, 0
	s_mov_b32 s2, 0
	s_delay_alu instid0(VALU_DEP_1)
	v_mov_b32_e32 v3, v2
	global_store_b128 v[12:13], v[0:3], off
.LBB143_3807:
	s_and_not1_b32 vcc_lo, exec_lo, s2
	s_cbranch_vccnz .LBB143_3809
; %bb.3808:
	s_wait_xcnt 0x0
	v_cvt_f32_f64_e32 v2, v[0:1]
	v_mov_b32_e32 v3, 0
	global_store_b64 v[12:13], v[2:3], off
.LBB143_3809:
	s_mov_b32 s2, 0
.LBB143_3810:
	s_delay_alu instid0(SALU_CYCLE_1)
	s_and_not1_b32 vcc_lo, exec_lo, s2
	s_cbranch_vccnz .LBB143_3812
; %bb.3811:
	s_wait_xcnt 0x0
	v_and_or_b32 v2, 0x1ff, v1, v0
	v_lshrrev_b32_e32 v3, 8, v1
	v_bfe_u32 v5, v1, 20, 11
	s_delay_alu instid0(VALU_DEP_3) | instskip(NEXT) | instid1(VALU_DEP_2)
	v_cmp_ne_u32_e32 vcc_lo, 0, v2
	v_sub_nc_u32_e32 v7, 0x3f1, v5
	v_add_nc_u32_e32 v5, 0xfffffc10, v5
	v_cndmask_b32_e64 v2, 0, 1, vcc_lo
	s_delay_alu instid0(VALU_DEP_1) | instskip(NEXT) | instid1(VALU_DEP_4)
	v_and_or_b32 v2, 0xffe, v3, v2
	v_med3_i32 v3, v7, 0, 13
	s_delay_alu instid0(VALU_DEP_2) | instskip(NEXT) | instid1(VALU_DEP_1)
	v_or_b32_e32 v7, 0x1000, v2
	v_lshrrev_b32_e32 v9, v3, v7
	s_delay_alu instid0(VALU_DEP_1) | instskip(NEXT) | instid1(VALU_DEP_1)
	v_lshlrev_b32_e32 v3, v3, v9
	v_cmp_ne_u32_e32 vcc_lo, v3, v7
	v_lshl_or_b32 v7, v5, 12, v2
	v_cndmask_b32_e64 v3, 0, 1, vcc_lo
	v_cmp_gt_i32_e32 vcc_lo, 1, v5
	s_delay_alu instid0(VALU_DEP_2) | instskip(NEXT) | instid1(VALU_DEP_1)
	v_or_b32_e32 v3, v9, v3
	v_cndmask_b32_e32 v3, v7, v3, vcc_lo
	s_delay_alu instid0(VALU_DEP_1) | instskip(NEXT) | instid1(VALU_DEP_1)
	v_and_b32_e32 v7, 7, v3
	v_cmp_lt_i32_e32 vcc_lo, 5, v7
	v_cndmask_b32_e64 v9, 0, 1, vcc_lo
	v_cmp_eq_u32_e32 vcc_lo, 3, v7
	v_cndmask_b32_e64 v7, 0, 1, vcc_lo
	v_cmp_ne_u32_e32 vcc_lo, 0, v2
	s_delay_alu instid0(VALU_DEP_2) | instskip(SKIP_1) | instid1(VALU_DEP_1)
	v_dual_lshrrev_b32 v3, 2, v3 :: v_dual_bitop2_b32 v7, v7, v9 bitop3:0x54
	v_mov_b32_e32 v9, 0x7e00
	v_dual_cndmask_b32 v2, 0x7c00, v9 :: v_dual_add_nc_u32 v3, v3, v7
	v_cmp_gt_i32_e32 vcc_lo, 31, v5
	v_lshrrev_b32_e32 v7, 16, v1
	s_delay_alu instid0(VALU_DEP_3) | instskip(SKIP_1) | instid1(VALU_DEP_2)
	v_cndmask_b32_e32 v3, 0x7c00, v3, vcc_lo
	v_cmp_eq_u32_e32 vcc_lo, 0x40f, v5
	v_cndmask_b32_e32 v2, v3, v2, vcc_lo
	s_delay_alu instid0(VALU_DEP_4) | instskip(NEXT) | instid1(VALU_DEP_1)
	v_and_b32_e32 v3, 0x8000, v7
	v_bitop3_b32 v2, v3, 0xffff, v2 bitop3:0xc8
	global_store_b32 v[12:13], v2, off
.LBB143_3812:
	s_mov_b32 s2, 0
.LBB143_3813:
	s_delay_alu instid0(SALU_CYCLE_1)
	s_and_not1_b32 vcc_lo, exec_lo, s2
	s_cbranch_vccnz .LBB143_3822
; %bb.3814:
	s_cmp_lt_i32 s0, 6
	s_mov_b32 s2, -1
	s_cbranch_scc1 .LBB143_3820
; %bb.3815:
	s_cmp_gt_i32 s0, 6
	s_cbranch_scc0 .LBB143_3817
; %bb.3816:
	s_mov_b32 s2, 0
	global_store_b64 v[12:13], v[0:1], off
.LBB143_3817:
	s_and_not1_b32 vcc_lo, exec_lo, s2
	s_cbranch_vccnz .LBB143_3819
; %bb.3818:
	s_wait_xcnt 0x0
	v_cvt_f32_f64_e32 v2, v[0:1]
	global_store_b32 v[12:13], v2, off
.LBB143_3819:
	s_mov_b32 s2, 0
.LBB143_3820:
	s_delay_alu instid0(SALU_CYCLE_1)
	s_and_not1_b32 vcc_lo, exec_lo, s2
	s_cbranch_vccnz .LBB143_3822
; %bb.3821:
	s_wait_xcnt 0x0
	v_and_or_b32 v2, 0x1ff, v1, v0
	v_lshrrev_b32_e32 v3, 8, v1
	v_bfe_u32 v5, v1, 20, 11
	s_delay_alu instid0(VALU_DEP_3) | instskip(NEXT) | instid1(VALU_DEP_2)
	v_cmp_ne_u32_e32 vcc_lo, 0, v2
	v_sub_nc_u32_e32 v7, 0x3f1, v5
	v_add_nc_u32_e32 v5, 0xfffffc10, v5
	v_cndmask_b32_e64 v2, 0, 1, vcc_lo
	s_delay_alu instid0(VALU_DEP_1) | instskip(NEXT) | instid1(VALU_DEP_4)
	v_and_or_b32 v2, 0xffe, v3, v2
	v_med3_i32 v3, v7, 0, 13
	s_delay_alu instid0(VALU_DEP_2) | instskip(NEXT) | instid1(VALU_DEP_1)
	v_or_b32_e32 v7, 0x1000, v2
	v_lshrrev_b32_e32 v9, v3, v7
	s_delay_alu instid0(VALU_DEP_1) | instskip(NEXT) | instid1(VALU_DEP_1)
	v_lshlrev_b32_e32 v3, v3, v9
	v_cmp_ne_u32_e32 vcc_lo, v3, v7
	v_lshl_or_b32 v7, v5, 12, v2
	v_cndmask_b32_e64 v3, 0, 1, vcc_lo
	v_cmp_gt_i32_e32 vcc_lo, 1, v5
	s_delay_alu instid0(VALU_DEP_2) | instskip(NEXT) | instid1(VALU_DEP_1)
	v_or_b32_e32 v3, v9, v3
	v_cndmask_b32_e32 v3, v7, v3, vcc_lo
	s_delay_alu instid0(VALU_DEP_1) | instskip(NEXT) | instid1(VALU_DEP_1)
	v_and_b32_e32 v7, 7, v3
	v_cmp_lt_i32_e32 vcc_lo, 5, v7
	v_cndmask_b32_e64 v9, 0, 1, vcc_lo
	v_cmp_eq_u32_e32 vcc_lo, 3, v7
	v_cndmask_b32_e64 v7, 0, 1, vcc_lo
	v_cmp_ne_u32_e32 vcc_lo, 0, v2
	s_delay_alu instid0(VALU_DEP_2) | instskip(SKIP_1) | instid1(VALU_DEP_1)
	v_dual_lshrrev_b32 v3, 2, v3 :: v_dual_bitop2_b32 v7, v7, v9 bitop3:0x54
	v_mov_b32_e32 v9, 0x7e00
	v_dual_cndmask_b32 v2, 0x7c00, v9 :: v_dual_add_nc_u32 v3, v3, v7
	v_cmp_gt_i32_e32 vcc_lo, 31, v5
	s_delay_alu instid0(VALU_DEP_2) | instskip(SKIP_1) | instid1(VALU_DEP_2)
	v_cndmask_b32_e32 v3, 0x7c00, v3, vcc_lo
	v_cmp_eq_u32_e32 vcc_lo, 0x40f, v5
	v_dual_cndmask_b32 v2, v3, v2 :: v_dual_lshrrev_b32 v3, 16, v1
	s_delay_alu instid0(VALU_DEP_1)
	v_and_or_b32 v2, 0x8000, v3, v2
	global_store_b16 v[12:13], v2, off
.LBB143_3822:
	s_mov_b32 s2, 0
.LBB143_3823:
	s_delay_alu instid0(SALU_CYCLE_1)
	s_and_not1_b32 vcc_lo, exec_lo, s2
	s_cbranch_vccnz .LBB143_3839
; %bb.3824:
	s_cmp_lt_i32 s0, 2
	s_mov_b32 s2, -1
	s_cbranch_scc1 .LBB143_3834
; %bb.3825:
	s_cmp_lt_i32 s0, 3
	s_cbranch_scc1 .LBB143_3831
; %bb.3826:
	s_cmp_gt_i32 s0, 3
	s_cbranch_scc0 .LBB143_3828
; %bb.3827:
	s_wait_xcnt 0x0
	v_trunc_f64_e32 v[2:3], v[0:1]
	s_mov_b32 s2, 0
	s_delay_alu instid0(VALU_DEP_1) | instskip(NEXT) | instid1(VALU_DEP_1)
	v_ldexp_f64 v[18:19], v[2:3], 0xffffffe0
	v_floor_f64_e32 v[18:19], v[18:19]
	s_delay_alu instid0(VALU_DEP_1) | instskip(SKIP_1) | instid1(VALU_DEP_2)
	v_fmamk_f64 v[2:3], v[18:19], 0xc1f00000, v[2:3]
	v_cvt_i32_f64_e32 v19, v[18:19]
	v_cvt_u32_f64_e32 v18, v[2:3]
	global_store_b64 v[12:13], v[18:19], off
.LBB143_3828:
	s_and_not1_b32 vcc_lo, exec_lo, s2
	s_cbranch_vccnz .LBB143_3830
; %bb.3829:
	s_wait_xcnt 0x0
	v_cvt_i32_f64_e32 v2, v[0:1]
	global_store_b32 v[12:13], v2, off
.LBB143_3830:
	s_mov_b32 s2, 0
.LBB143_3831:
	s_delay_alu instid0(SALU_CYCLE_1)
	s_and_not1_b32 vcc_lo, exec_lo, s2
	s_cbranch_vccnz .LBB143_3833
; %bb.3832:
	s_wait_xcnt 0x0
	v_cvt_i32_f64_e32 v2, v[0:1]
	global_store_b16 v[12:13], v2, off
.LBB143_3833:
	s_mov_b32 s2, 0
.LBB143_3834:
	s_delay_alu instid0(SALU_CYCLE_1)
	s_and_not1_b32 vcc_lo, exec_lo, s2
	s_cbranch_vccnz .LBB143_3839
; %bb.3835:
	s_cmp_gt_i32 s0, 0
	s_mov_b32 s0, -1
	s_cbranch_scc0 .LBB143_3837
; %bb.3836:
	s_wait_xcnt 0x0
	v_cvt_i32_f64_e32 v2, v[0:1]
	s_mov_b32 s0, 0
	global_store_b8 v[12:13], v2, off
.LBB143_3837:
	s_and_not1_b32 vcc_lo, exec_lo, s0
	s_cbranch_vccnz .LBB143_3839
; %bb.3838:
	s_wait_xcnt 0x0
	v_trunc_f64_e32 v[0:1], v[0:1]
	s_delay_alu instid0(VALU_DEP_1) | instskip(NEXT) | instid1(VALU_DEP_1)
	v_ldexp_f64 v[2:3], v[0:1], 0xffffffe0
	v_floor_f64_e32 v[2:3], v[2:3]
	s_delay_alu instid0(VALU_DEP_1) | instskip(NEXT) | instid1(VALU_DEP_1)
	v_fmamk_f64 v[0:1], v[2:3], 0xc1f00000, v[0:1]
	v_cvt_u32_f64_e32 v0, v[0:1]
	global_store_b8 v[12:13], v0, off
.LBB143_3839:
	s_mov_b32 s6, -1
.LBB143_3840:
	s_delay_alu instid0(SALU_CYCLE_1)
	s_and_not1_b32 vcc_lo, exec_lo, s6
	s_cbranch_vccnz .LBB143_4155
; %bb.3841:
	s_wait_xcnt 0x0
	v_dual_max_num_f64 v[0:1], v[22:23], v[22:23] :: v_dual_mov_b32 v9, 0
	v_max_num_f64_e32 v[2:3], v[16:17], v[16:17]
	v_max_num_f64_e32 v[12:13], v[28:29], v[28:29]
	v_cmp_u_f64_e32 vcc_lo, v[28:29], v[28:29]
	s_and_b32 s2, 0xffff, s1
	v_add_nc_u64_e32 v[8:9], s[4:5], v[8:9]
	s_cmp_lt_i32 s2, 11
	s_delay_alu instid0(VALU_DEP_4) | instskip(NEXT) | instid1(VALU_DEP_1)
	v_max_num_f64_e32 v[0:1], v[2:3], v[0:1]
	v_min_num_f64_e32 v[0:1], v[0:1], v[12:13]
	s_delay_alu instid0(VALU_DEP_1) | instskip(SKIP_1) | instid1(VALU_DEP_2)
	v_dual_cndmask_b32 v1, v1, v29 :: v_dual_cndmask_b32 v0, v0, v28
	v_cmp_u_f64_e32 vcc_lo, v[22:23], v[22:23]
	v_dual_cndmask_b32 v0, v0, v22 :: v_dual_cndmask_b32 v1, v1, v23
	v_cmp_u_f64_e32 vcc_lo, v[16:17], v[16:17]
	s_delay_alu instid0(VALU_DEP_2)
	v_dual_cndmask_b32 v1, v1, v17 :: v_dual_cndmask_b32 v0, v0, v16
	s_cbranch_scc1 .LBB143_3919
; %bb.3842:
	s_mov_b32 s7, -1
	s_mov_b32 s3, 0
	s_cmp_gt_i32 s2, 25
	s_mov_b32 s6, 0
	s_mov_b32 s0, 0
	s_cbranch_scc0 .LBB143_3875
; %bb.3843:
	s_cmp_gt_i32 s2, 28
	s_cbranch_scc0 .LBB143_3858
; %bb.3844:
	s_cmp_gt_i32 s2, 43
	;; [unrolled: 3-line block ×3, first 2 shown]
	s_cbranch_scc0 .LBB143_3848
; %bb.3846:
	s_mov_b32 s0, -1
	s_mov_b32 s7, 0
	s_cmp_eq_u32 s2, 46
	s_cbranch_scc0 .LBB143_3848
; %bb.3847:
	v_cvt_f32_f64_e32 v2, v[0:1]
	s_mov_b32 s0, 0
	s_mov_b32 s6, -1
	s_delay_alu instid0(VALU_DEP_1) | instskip(SKIP_1) | instid1(VALU_DEP_2)
	v_bfe_u32 v3, v2, 16, 1
	v_cmp_o_f32_e32 vcc_lo, v2, v2
	v_add3_u32 v3, v2, v3, 0x7fff
	s_delay_alu instid0(VALU_DEP_1) | instskip(NEXT) | instid1(VALU_DEP_1)
	v_lshrrev_b32_e32 v3, 16, v3
	v_cndmask_b32_e32 v2, 0x7fc0, v3, vcc_lo
	global_store_b32 v[8:9], v2, off
.LBB143_3848:
	s_and_b32 vcc_lo, exec_lo, s7
	s_cbranch_vccz .LBB143_3853
; %bb.3849:
	s_cmp_eq_u32 s2, 44
	s_mov_b32 s0, -1
	s_cbranch_scc0 .LBB143_3853
; %bb.3850:
	s_wait_xcnt 0x0
	v_cvt_f32_f64_e32 v2, v[0:1]
	v_mov_b32_e32 v3, 0xff
	s_mov_b32 s6, exec_lo
	s_delay_alu instid0(VALU_DEP_2) | instskip(NEXT) | instid1(VALU_DEP_1)
	v_bfe_u32 v5, v2, 23, 8
	v_cmpx_ne_u32_e32 0xff, v5
	s_cbranch_execz .LBB143_3852
; %bb.3851:
	v_and_b32_e32 v3, 0x400000, v2
	v_and_or_b32 v5, 0x3fffff, v2, v5
	v_lshrrev_b32_e32 v2, 23, v2
	s_delay_alu instid0(VALU_DEP_3) | instskip(NEXT) | instid1(VALU_DEP_3)
	v_cmp_ne_u32_e32 vcc_lo, 0, v3
	v_cmp_ne_u32_e64 s0, 0, v5
	s_and_b32 s0, vcc_lo, s0
	s_delay_alu instid0(SALU_CYCLE_1) | instskip(NEXT) | instid1(VALU_DEP_1)
	v_cndmask_b32_e64 v3, 0, 1, s0
	v_add_nc_u32_e32 v3, v2, v3
.LBB143_3852:
	s_or_b32 exec_lo, exec_lo, s6
	s_mov_b32 s0, 0
	s_mov_b32 s6, -1
	global_store_b8 v[8:9], v3, off
.LBB143_3853:
	s_mov_b32 s7, 0
.LBB143_3854:
	s_delay_alu instid0(SALU_CYCLE_1)
	s_and_b32 vcc_lo, exec_lo, s7
	s_cbranch_vccz .LBB143_3857
; %bb.3855:
	s_cmp_eq_u32 s2, 29
	s_mov_b32 s0, -1
	s_cbranch_scc0 .LBB143_3857
; %bb.3856:
	s_wait_xcnt 0x0
	v_trunc_f64_e32 v[2:3], v[0:1]
	s_mov_b32 s0, 0
	s_mov_b32 s6, -1
	s_delay_alu instid0(VALU_DEP_1) | instskip(NEXT) | instid1(VALU_DEP_1)
	v_ldexp_f64 v[12:13], v[2:3], 0xffffffe0
	v_floor_f64_e32 v[12:13], v[12:13]
	s_delay_alu instid0(VALU_DEP_1) | instskip(SKIP_1) | instid1(VALU_DEP_2)
	v_fmamk_f64 v[2:3], v[12:13], 0xc1f00000, v[2:3]
	v_cvt_u32_f64_e32 v13, v[12:13]
	v_cvt_u32_f64_e32 v12, v[2:3]
	global_store_b64 v[8:9], v[12:13], off
.LBB143_3857:
	s_mov_b32 s7, 0
.LBB143_3858:
	s_delay_alu instid0(SALU_CYCLE_1)
	s_and_b32 vcc_lo, exec_lo, s7
	s_cbranch_vccz .LBB143_3874
; %bb.3859:
	s_cmp_lt_i32 s2, 27
	s_mov_b32 s6, -1
	s_cbranch_scc1 .LBB143_3865
; %bb.3860:
	s_cmp_gt_i32 s2, 27
	s_cbranch_scc0 .LBB143_3862
; %bb.3861:
	s_wait_xcnt 0x0
	v_cvt_u32_f64_e32 v2, v[0:1]
	s_mov_b32 s6, 0
	global_store_b32 v[8:9], v2, off
.LBB143_3862:
	s_and_not1_b32 vcc_lo, exec_lo, s6
	s_cbranch_vccnz .LBB143_3864
; %bb.3863:
	s_wait_xcnt 0x0
	v_cvt_u32_f64_e32 v2, v[0:1]
	global_store_b16 v[8:9], v2, off
.LBB143_3864:
	s_mov_b32 s6, 0
.LBB143_3865:
	s_delay_alu instid0(SALU_CYCLE_1)
	s_and_not1_b32 vcc_lo, exec_lo, s6
	s_cbranch_vccnz .LBB143_3873
; %bb.3866:
	s_wait_xcnt 0x0
	v_cvt_f32_f64_e32 v2, v[0:1]
	v_mov_b32_e32 v5, 0x80
	s_mov_b32 s6, exec_lo
	s_delay_alu instid0(VALU_DEP_2) | instskip(NEXT) | instid1(VALU_DEP_1)
	v_and_b32_e32 v3, 0x7fffffff, v2
	v_cmpx_gt_u32_e32 0x43800000, v3
	s_cbranch_execz .LBB143_3872
; %bb.3867:
	v_cmp_lt_u32_e32 vcc_lo, 0x3bffffff, v3
	s_mov_b32 s7, 0
                                        ; implicit-def: $vgpr3
	s_and_saveexec_b32 s8, vcc_lo
	s_delay_alu instid0(SALU_CYCLE_1)
	s_xor_b32 s8, exec_lo, s8
	s_cbranch_execz .LBB143_4207
; %bb.3868:
	v_bfe_u32 v3, v2, 20, 1
	s_mov_b32 s7, exec_lo
	s_delay_alu instid0(VALU_DEP_1) | instskip(NEXT) | instid1(VALU_DEP_1)
	v_add3_u32 v3, v2, v3, 0x487ffff
	v_lshrrev_b32_e32 v3, 20, v3
	s_and_not1_saveexec_b32 s8, s8
	s_cbranch_execnz .LBB143_4208
.LBB143_3869:
	s_or_b32 exec_lo, exec_lo, s8
	v_mov_b32_e32 v5, 0
	s_and_saveexec_b32 s8, s7
.LBB143_3870:
	v_lshrrev_b32_e32 v2, 24, v2
	s_delay_alu instid0(VALU_DEP_1)
	v_and_or_b32 v5, 0x80, v2, v3
.LBB143_3871:
	s_or_b32 exec_lo, exec_lo, s8
.LBB143_3872:
	s_delay_alu instid0(SALU_CYCLE_1)
	s_or_b32 exec_lo, exec_lo, s6
	global_store_b8 v[8:9], v5, off
.LBB143_3873:
	s_mov_b32 s6, -1
.LBB143_3874:
	s_mov_b32 s7, 0
.LBB143_3875:
	s_delay_alu instid0(SALU_CYCLE_1)
	s_and_b32 vcc_lo, exec_lo, s7
	s_cbranch_vccz .LBB143_3915
; %bb.3876:
	s_cmp_gt_i32 s2, 22
	s_mov_b32 s3, -1
	s_cbranch_scc0 .LBB143_3908
; %bb.3877:
	s_cmp_lt_i32 s2, 24
	s_cbranch_scc1 .LBB143_3897
; %bb.3878:
	s_cmp_gt_i32 s2, 24
	s_cbranch_scc0 .LBB143_3886
; %bb.3879:
	s_wait_xcnt 0x0
	v_cvt_f32_f64_e32 v2, v[0:1]
	v_mov_b32_e32 v5, 0x80
	s_mov_b32 s3, exec_lo
	s_delay_alu instid0(VALU_DEP_2) | instskip(NEXT) | instid1(VALU_DEP_1)
	v_and_b32_e32 v3, 0x7fffffff, v2
	v_cmpx_gt_u32_e32 0x47800000, v3
	s_cbranch_execz .LBB143_3885
; %bb.3880:
	v_cmp_lt_u32_e32 vcc_lo, 0x37ffffff, v3
	s_mov_b32 s6, 0
                                        ; implicit-def: $vgpr3
	s_and_saveexec_b32 s7, vcc_lo
	s_delay_alu instid0(SALU_CYCLE_1)
	s_xor_b32 s7, exec_lo, s7
	s_cbranch_execz .LBB143_4210
; %bb.3881:
	v_bfe_u32 v3, v2, 21, 1
	s_mov_b32 s6, exec_lo
	s_delay_alu instid0(VALU_DEP_1) | instskip(NEXT) | instid1(VALU_DEP_1)
	v_add3_u32 v3, v2, v3, 0x88fffff
	v_lshrrev_b32_e32 v3, 21, v3
	s_and_not1_saveexec_b32 s7, s7
	s_cbranch_execnz .LBB143_4211
.LBB143_3882:
	s_or_b32 exec_lo, exec_lo, s7
	v_mov_b32_e32 v5, 0
	s_and_saveexec_b32 s7, s6
.LBB143_3883:
	v_lshrrev_b32_e32 v2, 24, v2
	s_delay_alu instid0(VALU_DEP_1)
	v_and_or_b32 v5, 0x80, v2, v3
.LBB143_3884:
	s_or_b32 exec_lo, exec_lo, s7
.LBB143_3885:
	s_delay_alu instid0(SALU_CYCLE_1)
	s_or_b32 exec_lo, exec_lo, s3
	s_mov_b32 s3, 0
	global_store_b8 v[8:9], v5, off
.LBB143_3886:
	s_and_b32 vcc_lo, exec_lo, s3
	s_cbranch_vccz .LBB143_3896
; %bb.3887:
	s_wait_xcnt 0x0
	v_cvt_f32_f64_e32 v2, v[0:1]
	s_mov_b32 s3, exec_lo
                                        ; implicit-def: $vgpr3
	s_delay_alu instid0(VALU_DEP_1) | instskip(NEXT) | instid1(VALU_DEP_1)
	v_and_b32_e32 v5, 0x7fffffff, v2
	v_cmpx_gt_u32_e32 0x43f00000, v5
	s_xor_b32 s3, exec_lo, s3
	s_cbranch_execz .LBB143_3893
; %bb.3888:
	s_mov_b32 s6, exec_lo
                                        ; implicit-def: $vgpr3
	v_cmpx_lt_u32_e32 0x3c7fffff, v5
	s_xor_b32 s6, exec_lo, s6
; %bb.3889:
	v_bfe_u32 v3, v2, 20, 1
	s_delay_alu instid0(VALU_DEP_1) | instskip(NEXT) | instid1(VALU_DEP_1)
	v_add3_u32 v3, v2, v3, 0x407ffff
	v_and_b32_e32 v5, 0xff00000, v3
	v_lshrrev_b32_e32 v3, 20, v3
	s_delay_alu instid0(VALU_DEP_2) | instskip(NEXT) | instid1(VALU_DEP_2)
	v_cmp_ne_u32_e32 vcc_lo, 0x7f00000, v5
	v_cndmask_b32_e32 v3, 0x7e, v3, vcc_lo
; %bb.3890:
	s_and_not1_saveexec_b32 s6, s6
; %bb.3891:
	v_add_f32_e64 v3, 0x46800000, |v2|
; %bb.3892:
	s_or_b32 exec_lo, exec_lo, s6
                                        ; implicit-def: $vgpr5
.LBB143_3893:
	s_and_not1_saveexec_b32 s3, s3
; %bb.3894:
	v_mov_b32_e32 v3, 0x7f
	v_cmp_lt_u32_e32 vcc_lo, 0x7f800000, v5
	s_delay_alu instid0(VALU_DEP_2)
	v_cndmask_b32_e32 v3, 0x7e, v3, vcc_lo
; %bb.3895:
	s_or_b32 exec_lo, exec_lo, s3
	v_lshrrev_b32_e32 v2, 24, v2
	s_delay_alu instid0(VALU_DEP_1)
	v_and_or_b32 v2, 0x80, v2, v3
	global_store_b8 v[8:9], v2, off
.LBB143_3896:
	s_mov_b32 s3, 0
.LBB143_3897:
	s_delay_alu instid0(SALU_CYCLE_1)
	s_and_not1_b32 vcc_lo, exec_lo, s3
	s_cbranch_vccnz .LBB143_3907
; %bb.3898:
	s_wait_xcnt 0x0
	v_cvt_f32_f64_e32 v2, v[0:1]
	s_mov_b32 s3, exec_lo
                                        ; implicit-def: $vgpr3
	s_delay_alu instid0(VALU_DEP_1) | instskip(NEXT) | instid1(VALU_DEP_1)
	v_and_b32_e32 v5, 0x7fffffff, v2
	v_cmpx_gt_u32_e32 0x47800000, v5
	s_xor_b32 s3, exec_lo, s3
	s_cbranch_execz .LBB143_3904
; %bb.3899:
	s_mov_b32 s6, exec_lo
                                        ; implicit-def: $vgpr3
	v_cmpx_lt_u32_e32 0x387fffff, v5
	s_xor_b32 s6, exec_lo, s6
; %bb.3900:
	v_bfe_u32 v3, v2, 21, 1
	s_delay_alu instid0(VALU_DEP_1) | instskip(NEXT) | instid1(VALU_DEP_1)
	v_add3_u32 v3, v2, v3, 0x80fffff
	v_lshrrev_b32_e32 v3, 21, v3
; %bb.3901:
	s_and_not1_saveexec_b32 s6, s6
; %bb.3902:
	v_add_f32_e64 v3, 0x43000000, |v2|
; %bb.3903:
	s_or_b32 exec_lo, exec_lo, s6
                                        ; implicit-def: $vgpr5
.LBB143_3904:
	s_and_not1_saveexec_b32 s3, s3
; %bb.3905:
	v_mov_b32_e32 v3, 0x7f
	v_cmp_lt_u32_e32 vcc_lo, 0x7f800000, v5
	s_delay_alu instid0(VALU_DEP_2)
	v_cndmask_b32_e32 v3, 0x7c, v3, vcc_lo
; %bb.3906:
	s_or_b32 exec_lo, exec_lo, s3
	v_lshrrev_b32_e32 v2, 24, v2
	s_delay_alu instid0(VALU_DEP_1)
	v_and_or_b32 v2, 0x80, v2, v3
	global_store_b8 v[8:9], v2, off
.LBB143_3907:
	s_mov_b32 s3, 0
	s_mov_b32 s6, -1
.LBB143_3908:
	s_and_not1_b32 vcc_lo, exec_lo, s3
	s_mov_b32 s3, 0
	s_cbranch_vccnz .LBB143_3915
; %bb.3909:
	s_cmp_gt_i32 s2, 14
	s_mov_b32 s3, -1
	s_cbranch_scc0 .LBB143_3913
; %bb.3910:
	s_cmp_eq_u32 s2, 15
	s_mov_b32 s0, -1
	s_cbranch_scc0 .LBB143_3912
; %bb.3911:
	s_wait_xcnt 0x0
	v_cvt_f32_f64_e32 v2, v[0:1]
	s_mov_b32 s0, 0
	s_mov_b32 s6, -1
	s_delay_alu instid0(VALU_DEP_1) | instskip(SKIP_1) | instid1(VALU_DEP_2)
	v_bfe_u32 v3, v2, 16, 1
	v_cmp_o_f32_e32 vcc_lo, v2, v2
	v_add3_u32 v3, v2, v3, 0x7fff
	s_delay_alu instid0(VALU_DEP_1) | instskip(NEXT) | instid1(VALU_DEP_1)
	v_lshrrev_b32_e32 v3, 16, v3
	v_cndmask_b32_e32 v2, 0x7fc0, v3, vcc_lo
	global_store_b16 v[8:9], v2, off
.LBB143_3912:
	s_mov_b32 s3, 0
.LBB143_3913:
	s_delay_alu instid0(SALU_CYCLE_1)
	s_and_b32 vcc_lo, exec_lo, s3
	s_mov_b32 s3, 0
	s_cbranch_vccz .LBB143_3915
; %bb.3914:
	s_cmp_lg_u32 s2, 11
	s_mov_b32 s3, -1
	s_cselect_b32 s0, -1, 0
.LBB143_3915:
	s_delay_alu instid0(SALU_CYCLE_1)
	s_and_b32 vcc_lo, exec_lo, s0
	s_cbranch_vccnz .LBB143_4209
; %bb.3916:
	s_and_not1_b32 vcc_lo, exec_lo, s3
	s_cbranch_vccnz .LBB143_3918
.LBB143_3917:
	v_cmp_neq_f64_e32 vcc_lo, 0, v[0:1]
	s_mov_b32 s6, -1
	s_wait_xcnt 0x0
	v_cndmask_b32_e64 v2, 0, 1, vcc_lo
	global_store_b8 v[8:9], v2, off
.LBB143_3918:
	s_mov_b32 s0, 0
	s_branch .LBB143_3920
.LBB143_3919:
	s_mov_b32 s0, -1
	s_mov_b32 s6, 0
.LBB143_3920:
	s_and_b32 vcc_lo, exec_lo, s0
	s_cbranch_vccz .LBB143_3959
; %bb.3921:
	s_cmp_lt_i32 s2, 5
	s_mov_b32 s0, -1
	s_cbranch_scc1 .LBB143_3942
; %bb.3922:
	s_cmp_lt_i32 s2, 8
	s_cbranch_scc1 .LBB143_3932
; %bb.3923:
	s_cmp_lt_i32 s2, 9
	s_cbranch_scc1 .LBB143_3929
; %bb.3924:
	s_cmp_gt_i32 s2, 9
	s_cbranch_scc0 .LBB143_3926
; %bb.3925:
	s_wait_xcnt 0x0
	v_mov_b32_e32 v2, 0
	s_mov_b32 s0, 0
	s_delay_alu instid0(VALU_DEP_1)
	v_mov_b32_e32 v3, v2
	global_store_b128 v[8:9], v[0:3], off
.LBB143_3926:
	s_and_not1_b32 vcc_lo, exec_lo, s0
	s_cbranch_vccnz .LBB143_3928
; %bb.3927:
	s_wait_xcnt 0x0
	v_cvt_f32_f64_e32 v2, v[0:1]
	v_mov_b32_e32 v3, 0
	global_store_b64 v[8:9], v[2:3], off
.LBB143_3928:
	s_mov_b32 s0, 0
.LBB143_3929:
	s_delay_alu instid0(SALU_CYCLE_1)
	s_and_not1_b32 vcc_lo, exec_lo, s0
	s_cbranch_vccnz .LBB143_3931
; %bb.3930:
	s_wait_xcnt 0x0
	v_and_or_b32 v2, 0x1ff, v1, v0
	v_lshrrev_b32_e32 v3, 8, v1
	v_bfe_u32 v5, v1, 20, 11
	s_delay_alu instid0(VALU_DEP_3) | instskip(NEXT) | instid1(VALU_DEP_2)
	v_cmp_ne_u32_e32 vcc_lo, 0, v2
	v_sub_nc_u32_e32 v7, 0x3f1, v5
	v_add_nc_u32_e32 v5, 0xfffffc10, v5
	v_cndmask_b32_e64 v2, 0, 1, vcc_lo
	s_delay_alu instid0(VALU_DEP_1) | instskip(NEXT) | instid1(VALU_DEP_4)
	v_and_or_b32 v2, 0xffe, v3, v2
	v_med3_i32 v3, v7, 0, 13
	s_delay_alu instid0(VALU_DEP_2) | instskip(NEXT) | instid1(VALU_DEP_1)
	v_or_b32_e32 v7, 0x1000, v2
	v_lshrrev_b32_e32 v12, v3, v7
	s_delay_alu instid0(VALU_DEP_1) | instskip(NEXT) | instid1(VALU_DEP_1)
	v_lshlrev_b32_e32 v3, v3, v12
	v_cmp_ne_u32_e32 vcc_lo, v3, v7
	v_lshl_or_b32 v7, v5, 12, v2
	v_cndmask_b32_e64 v3, 0, 1, vcc_lo
	v_cmp_gt_i32_e32 vcc_lo, 1, v5
	s_delay_alu instid0(VALU_DEP_2) | instskip(NEXT) | instid1(VALU_DEP_1)
	v_or_b32_e32 v3, v12, v3
	v_cndmask_b32_e32 v3, v7, v3, vcc_lo
	s_delay_alu instid0(VALU_DEP_1) | instskip(NEXT) | instid1(VALU_DEP_1)
	v_dual_lshrrev_b32 v3, 2, v3 :: v_dual_bitop2_b32 v7, 7, v3 bitop3:0x40
	v_cmp_lt_i32_e32 vcc_lo, 5, v7
	v_cndmask_b32_e64 v12, 0, 1, vcc_lo
	v_cmp_eq_u32_e32 vcc_lo, 3, v7
	v_cndmask_b32_e64 v7, 0, 1, vcc_lo
	v_cmp_ne_u32_e32 vcc_lo, 0, v2
	s_delay_alu instid0(VALU_DEP_2) | instskip(NEXT) | instid1(VALU_DEP_1)
	v_or_b32_e32 v7, v7, v12
	v_dual_mov_b32 v12, 0x7e00 :: v_dual_add_nc_u32 v3, v3, v7
	s_delay_alu instid0(VALU_DEP_1) | instskip(SKIP_2) | instid1(VALU_DEP_4)
	v_cndmask_b32_e32 v2, 0x7c00, v12, vcc_lo
	v_cmp_gt_i32_e32 vcc_lo, 31, v5
	v_lshrrev_b32_e32 v7, 16, v1
	v_cndmask_b32_e32 v3, 0x7c00, v3, vcc_lo
	v_cmp_eq_u32_e32 vcc_lo, 0x40f, v5
	s_delay_alu instid0(VALU_DEP_2) | instskip(NEXT) | instid1(VALU_DEP_4)
	v_cndmask_b32_e32 v2, v3, v2, vcc_lo
	v_and_b32_e32 v3, 0x8000, v7
	s_delay_alu instid0(VALU_DEP_1)
	v_bitop3_b32 v2, v3, 0xffff, v2 bitop3:0xc8
	global_store_b32 v[8:9], v2, off
.LBB143_3931:
	s_mov_b32 s0, 0
.LBB143_3932:
	s_delay_alu instid0(SALU_CYCLE_1)
	s_and_not1_b32 vcc_lo, exec_lo, s0
	s_cbranch_vccnz .LBB143_3941
; %bb.3933:
	s_cmp_lt_i32 s2, 6
	s_mov_b32 s0, -1
	s_cbranch_scc1 .LBB143_3939
; %bb.3934:
	s_cmp_gt_i32 s2, 6
	s_cbranch_scc0 .LBB143_3936
; %bb.3935:
	s_mov_b32 s0, 0
	global_store_b64 v[8:9], v[0:1], off
.LBB143_3936:
	s_and_not1_b32 vcc_lo, exec_lo, s0
	s_cbranch_vccnz .LBB143_3938
; %bb.3937:
	s_wait_xcnt 0x0
	v_cvt_f32_f64_e32 v2, v[0:1]
	global_store_b32 v[8:9], v2, off
.LBB143_3938:
	s_mov_b32 s0, 0
.LBB143_3939:
	s_delay_alu instid0(SALU_CYCLE_1)
	s_and_not1_b32 vcc_lo, exec_lo, s0
	s_cbranch_vccnz .LBB143_3941
; %bb.3940:
	s_wait_xcnt 0x0
	v_and_or_b32 v2, 0x1ff, v1, v0
	v_lshrrev_b32_e32 v3, 8, v1
	v_bfe_u32 v5, v1, 20, 11
	s_delay_alu instid0(VALU_DEP_3) | instskip(NEXT) | instid1(VALU_DEP_2)
	v_cmp_ne_u32_e32 vcc_lo, 0, v2
	v_sub_nc_u32_e32 v7, 0x3f1, v5
	v_add_nc_u32_e32 v5, 0xfffffc10, v5
	v_cndmask_b32_e64 v2, 0, 1, vcc_lo
	s_delay_alu instid0(VALU_DEP_1) | instskip(NEXT) | instid1(VALU_DEP_4)
	v_and_or_b32 v2, 0xffe, v3, v2
	v_med3_i32 v3, v7, 0, 13
	s_delay_alu instid0(VALU_DEP_2) | instskip(NEXT) | instid1(VALU_DEP_1)
	v_or_b32_e32 v7, 0x1000, v2
	v_lshrrev_b32_e32 v12, v3, v7
	s_delay_alu instid0(VALU_DEP_1) | instskip(NEXT) | instid1(VALU_DEP_1)
	v_lshlrev_b32_e32 v3, v3, v12
	v_cmp_ne_u32_e32 vcc_lo, v3, v7
	v_lshl_or_b32 v7, v5, 12, v2
	v_cndmask_b32_e64 v3, 0, 1, vcc_lo
	v_cmp_gt_i32_e32 vcc_lo, 1, v5
	s_delay_alu instid0(VALU_DEP_2) | instskip(NEXT) | instid1(VALU_DEP_1)
	v_or_b32_e32 v3, v12, v3
	v_cndmask_b32_e32 v3, v7, v3, vcc_lo
	s_delay_alu instid0(VALU_DEP_1) | instskip(NEXT) | instid1(VALU_DEP_1)
	v_dual_lshrrev_b32 v3, 2, v3 :: v_dual_bitop2_b32 v7, 7, v3 bitop3:0x40
	v_cmp_lt_i32_e32 vcc_lo, 5, v7
	v_cndmask_b32_e64 v12, 0, 1, vcc_lo
	v_cmp_eq_u32_e32 vcc_lo, 3, v7
	v_cndmask_b32_e64 v7, 0, 1, vcc_lo
	v_cmp_ne_u32_e32 vcc_lo, 0, v2
	s_delay_alu instid0(VALU_DEP_2) | instskip(NEXT) | instid1(VALU_DEP_1)
	v_or_b32_e32 v7, v7, v12
	v_dual_mov_b32 v12, 0x7e00 :: v_dual_add_nc_u32 v3, v3, v7
	s_delay_alu instid0(VALU_DEP_1) | instskip(SKIP_1) | instid1(VALU_DEP_3)
	v_cndmask_b32_e32 v2, 0x7c00, v12, vcc_lo
	v_cmp_gt_i32_e32 vcc_lo, 31, v5
	v_cndmask_b32_e32 v3, 0x7c00, v3, vcc_lo
	v_cmp_eq_u32_e32 vcc_lo, 0x40f, v5
	s_delay_alu instid0(VALU_DEP_2) | instskip(NEXT) | instid1(VALU_DEP_1)
	v_dual_cndmask_b32 v2, v3, v2 :: v_dual_lshrrev_b32 v3, 16, v1
	v_and_or_b32 v2, 0x8000, v3, v2
	global_store_b16 v[8:9], v2, off
.LBB143_3941:
	s_mov_b32 s0, 0
.LBB143_3942:
	s_delay_alu instid0(SALU_CYCLE_1)
	s_and_not1_b32 vcc_lo, exec_lo, s0
	s_cbranch_vccnz .LBB143_3958
; %bb.3943:
	s_cmp_lt_i32 s2, 2
	s_mov_b32 s0, -1
	s_cbranch_scc1 .LBB143_3953
; %bb.3944:
	s_cmp_lt_i32 s2, 3
	s_cbranch_scc1 .LBB143_3950
; %bb.3945:
	s_cmp_gt_i32 s2, 3
	s_cbranch_scc0 .LBB143_3947
; %bb.3946:
	s_wait_xcnt 0x0
	v_trunc_f64_e32 v[2:3], v[0:1]
	s_mov_b32 s0, 0
	s_delay_alu instid0(VALU_DEP_1) | instskip(NEXT) | instid1(VALU_DEP_1)
	v_ldexp_f64 v[12:13], v[2:3], 0xffffffe0
	v_floor_f64_e32 v[12:13], v[12:13]
	s_delay_alu instid0(VALU_DEP_1) | instskip(SKIP_1) | instid1(VALU_DEP_2)
	v_fmamk_f64 v[2:3], v[12:13], 0xc1f00000, v[2:3]
	v_cvt_i32_f64_e32 v13, v[12:13]
	v_cvt_u32_f64_e32 v12, v[2:3]
	global_store_b64 v[8:9], v[12:13], off
.LBB143_3947:
	s_and_not1_b32 vcc_lo, exec_lo, s0
	s_cbranch_vccnz .LBB143_3949
; %bb.3948:
	s_wait_xcnt 0x0
	v_cvt_i32_f64_e32 v2, v[0:1]
	global_store_b32 v[8:9], v2, off
.LBB143_3949:
	s_mov_b32 s0, 0
.LBB143_3950:
	s_delay_alu instid0(SALU_CYCLE_1)
	s_and_not1_b32 vcc_lo, exec_lo, s0
	s_cbranch_vccnz .LBB143_3952
; %bb.3951:
	s_wait_xcnt 0x0
	v_cvt_i32_f64_e32 v2, v[0:1]
	global_store_b16 v[8:9], v2, off
.LBB143_3952:
	s_mov_b32 s0, 0
.LBB143_3953:
	s_delay_alu instid0(SALU_CYCLE_1)
	s_and_not1_b32 vcc_lo, exec_lo, s0
	s_cbranch_vccnz .LBB143_3958
; %bb.3954:
	s_cmp_gt_i32 s2, 0
	s_mov_b32 s0, -1
	s_cbranch_scc0 .LBB143_3956
; %bb.3955:
	s_wait_xcnt 0x0
	v_cvt_i32_f64_e32 v2, v[0:1]
	s_mov_b32 s0, 0
	global_store_b8 v[8:9], v2, off
.LBB143_3956:
	s_and_not1_b32 vcc_lo, exec_lo, s0
	s_cbranch_vccnz .LBB143_3958
; %bb.3957:
	s_wait_xcnt 0x0
	v_trunc_f64_e32 v[0:1], v[0:1]
	s_delay_alu instid0(VALU_DEP_1) | instskip(NEXT) | instid1(VALU_DEP_1)
	v_ldexp_f64 v[2:3], v[0:1], 0xffffffe0
	v_floor_f64_e32 v[2:3], v[2:3]
	s_delay_alu instid0(VALU_DEP_1) | instskip(NEXT) | instid1(VALU_DEP_1)
	v_fmamk_f64 v[0:1], v[2:3], 0xc1f00000, v[0:1]
	v_cvt_u32_f64_e32 v0, v[0:1]
	global_store_b8 v[8:9], v0, off
.LBB143_3958:
	s_mov_b32 s6, -1
.LBB143_3959:
	s_delay_alu instid0(SALU_CYCLE_1)
	s_and_not1_b32 vcc_lo, exec_lo, s6
	s_cbranch_vccnz .LBB143_4155
; %bb.3960:
	s_wait_xcnt 0x0
	v_dual_max_num_f64 v[0:1], v[30:31], v[30:31] :: v_dual_mov_b32 v7, 0
	v_cmp_u_f64_e32 vcc_lo, v[24:25], v[24:25]
	v_max_num_f64_e32 v[2:3], v[26:27], v[26:27]
	v_max_num_f64_e32 v[8:9], v[24:25], v[24:25]
	s_cmp_lt_i32 s2, 11
	v_add_nc_u64_e32 v[6:7], s[4:5], v[6:7]
	s_delay_alu instid0(VALU_DEP_3) | instskip(NEXT) | instid1(VALU_DEP_1)
	v_max_num_f64_e32 v[0:1], v[2:3], v[0:1]
	v_min_num_f64_e32 v[0:1], v[0:1], v[8:9]
	s_delay_alu instid0(VALU_DEP_1) | instskip(SKIP_1) | instid1(VALU_DEP_2)
	v_dual_cndmask_b32 v1, v1, v25 :: v_dual_cndmask_b32 v0, v0, v24
	v_cmp_u_f64_e32 vcc_lo, v[30:31], v[30:31]
	v_dual_cndmask_b32 v1, v1, v31 :: v_dual_cndmask_b32 v0, v0, v30
	v_cmp_u_f64_e32 vcc_lo, v[26:27], v[26:27]
	s_delay_alu instid0(VALU_DEP_2)
	v_dual_cndmask_b32 v1, v1, v27 :: v_dual_cndmask_b32 v0, v0, v26
	s_cbranch_scc1 .LBB143_4038
; %bb.3961:
	s_mov_b32 s7, -1
	s_mov_b32 s3, 0
	s_cmp_gt_i32 s2, 25
	s_mov_b32 s6, 0
	s_mov_b32 s0, 0
	s_cbranch_scc0 .LBB143_3994
; %bb.3962:
	s_cmp_gt_i32 s2, 28
	s_cbranch_scc0 .LBB143_3977
; %bb.3963:
	s_cmp_gt_i32 s2, 43
	;; [unrolled: 3-line block ×3, first 2 shown]
	s_cbranch_scc0 .LBB143_3967
; %bb.3965:
	s_mov_b32 s0, -1
	s_mov_b32 s7, 0
	s_cmp_eq_u32 s2, 46
	s_cbranch_scc0 .LBB143_3967
; %bb.3966:
	v_cvt_f32_f64_e32 v2, v[0:1]
	s_mov_b32 s0, 0
	s_mov_b32 s6, -1
	s_delay_alu instid0(VALU_DEP_1) | instskip(SKIP_1) | instid1(VALU_DEP_2)
	v_bfe_u32 v3, v2, 16, 1
	v_cmp_o_f32_e32 vcc_lo, v2, v2
	v_add3_u32 v3, v2, v3, 0x7fff
	s_delay_alu instid0(VALU_DEP_1) | instskip(NEXT) | instid1(VALU_DEP_1)
	v_lshrrev_b32_e32 v3, 16, v3
	v_cndmask_b32_e32 v2, 0x7fc0, v3, vcc_lo
	global_store_b32 v[6:7], v2, off
.LBB143_3967:
	s_and_b32 vcc_lo, exec_lo, s7
	s_cbranch_vccz .LBB143_3972
; %bb.3968:
	s_cmp_eq_u32 s2, 44
	s_mov_b32 s0, -1
	s_cbranch_scc0 .LBB143_3972
; %bb.3969:
	s_wait_xcnt 0x0
	v_cvt_f32_f64_e32 v2, v[0:1]
	v_mov_b32_e32 v3, 0xff
	s_mov_b32 s6, exec_lo
	s_delay_alu instid0(VALU_DEP_2) | instskip(NEXT) | instid1(VALU_DEP_1)
	v_bfe_u32 v5, v2, 23, 8
	v_cmpx_ne_u32_e32 0xff, v5
	s_cbranch_execz .LBB143_3971
; %bb.3970:
	v_and_b32_e32 v3, 0x400000, v2
	v_and_or_b32 v5, 0x3fffff, v2, v5
	v_lshrrev_b32_e32 v2, 23, v2
	s_delay_alu instid0(VALU_DEP_3) | instskip(NEXT) | instid1(VALU_DEP_3)
	v_cmp_ne_u32_e32 vcc_lo, 0, v3
	v_cmp_ne_u32_e64 s0, 0, v5
	s_and_b32 s0, vcc_lo, s0
	s_delay_alu instid0(SALU_CYCLE_1) | instskip(NEXT) | instid1(VALU_DEP_1)
	v_cndmask_b32_e64 v3, 0, 1, s0
	v_add_nc_u32_e32 v3, v2, v3
.LBB143_3971:
	s_or_b32 exec_lo, exec_lo, s6
	s_mov_b32 s0, 0
	s_mov_b32 s6, -1
	global_store_b8 v[6:7], v3, off
.LBB143_3972:
	s_mov_b32 s7, 0
.LBB143_3973:
	s_delay_alu instid0(SALU_CYCLE_1)
	s_and_b32 vcc_lo, exec_lo, s7
	s_cbranch_vccz .LBB143_3976
; %bb.3974:
	s_cmp_eq_u32 s2, 29
	s_mov_b32 s0, -1
	s_cbranch_scc0 .LBB143_3976
; %bb.3975:
	s_wait_xcnt 0x0
	v_trunc_f64_e32 v[2:3], v[0:1]
	s_mov_b32 s0, 0
	s_mov_b32 s6, -1
	s_delay_alu instid0(VALU_DEP_1) | instskip(NEXT) | instid1(VALU_DEP_1)
	v_ldexp_f64 v[8:9], v[2:3], 0xffffffe0
	v_floor_f64_e32 v[8:9], v[8:9]
	s_delay_alu instid0(VALU_DEP_1) | instskip(SKIP_1) | instid1(VALU_DEP_2)
	v_fmamk_f64 v[2:3], v[8:9], 0xc1f00000, v[2:3]
	v_cvt_u32_f64_e32 v9, v[8:9]
	v_cvt_u32_f64_e32 v8, v[2:3]
	global_store_b64 v[6:7], v[8:9], off
.LBB143_3976:
	s_mov_b32 s7, 0
.LBB143_3977:
	s_delay_alu instid0(SALU_CYCLE_1)
	s_and_b32 vcc_lo, exec_lo, s7
	s_cbranch_vccz .LBB143_3993
; %bb.3978:
	s_cmp_lt_i32 s2, 27
	s_mov_b32 s6, -1
	s_cbranch_scc1 .LBB143_3984
; %bb.3979:
	s_cmp_gt_i32 s2, 27
	s_cbranch_scc0 .LBB143_3981
; %bb.3980:
	s_wait_xcnt 0x0
	v_cvt_u32_f64_e32 v2, v[0:1]
	s_mov_b32 s6, 0
	global_store_b32 v[6:7], v2, off
.LBB143_3981:
	s_and_not1_b32 vcc_lo, exec_lo, s6
	s_cbranch_vccnz .LBB143_3983
; %bb.3982:
	s_wait_xcnt 0x0
	v_cvt_u32_f64_e32 v2, v[0:1]
	global_store_b16 v[6:7], v2, off
.LBB143_3983:
	s_mov_b32 s6, 0
.LBB143_3984:
	s_delay_alu instid0(SALU_CYCLE_1)
	s_and_not1_b32 vcc_lo, exec_lo, s6
	s_cbranch_vccnz .LBB143_3992
; %bb.3985:
	s_wait_xcnt 0x0
	v_cvt_f32_f64_e32 v2, v[0:1]
	v_mov_b32_e32 v5, 0x80
	s_mov_b32 s6, exec_lo
	s_delay_alu instid0(VALU_DEP_2) | instskip(NEXT) | instid1(VALU_DEP_1)
	v_and_b32_e32 v3, 0x7fffffff, v2
	v_cmpx_gt_u32_e32 0x43800000, v3
	s_cbranch_execz .LBB143_3991
; %bb.3986:
	v_cmp_lt_u32_e32 vcc_lo, 0x3bffffff, v3
	s_mov_b32 s7, 0
                                        ; implicit-def: $vgpr3
	s_and_saveexec_b32 s8, vcc_lo
	s_delay_alu instid0(SALU_CYCLE_1)
	s_xor_b32 s8, exec_lo, s8
	s_cbranch_execz .LBB143_4212
; %bb.3987:
	v_bfe_u32 v3, v2, 20, 1
	s_mov_b32 s7, exec_lo
	s_delay_alu instid0(VALU_DEP_1) | instskip(NEXT) | instid1(VALU_DEP_1)
	v_add3_u32 v3, v2, v3, 0x487ffff
	v_lshrrev_b32_e32 v3, 20, v3
	s_and_not1_saveexec_b32 s8, s8
	s_cbranch_execnz .LBB143_4213
.LBB143_3988:
	s_or_b32 exec_lo, exec_lo, s8
	v_mov_b32_e32 v5, 0
	s_and_saveexec_b32 s8, s7
.LBB143_3989:
	v_lshrrev_b32_e32 v2, 24, v2
	s_delay_alu instid0(VALU_DEP_1)
	v_and_or_b32 v5, 0x80, v2, v3
.LBB143_3990:
	s_or_b32 exec_lo, exec_lo, s8
.LBB143_3991:
	s_delay_alu instid0(SALU_CYCLE_1)
	s_or_b32 exec_lo, exec_lo, s6
	global_store_b8 v[6:7], v5, off
.LBB143_3992:
	s_mov_b32 s6, -1
.LBB143_3993:
	s_mov_b32 s7, 0
.LBB143_3994:
	s_delay_alu instid0(SALU_CYCLE_1)
	s_and_b32 vcc_lo, exec_lo, s7
	s_cbranch_vccz .LBB143_4034
; %bb.3995:
	s_cmp_gt_i32 s2, 22
	s_mov_b32 s3, -1
	s_cbranch_scc0 .LBB143_4027
; %bb.3996:
	s_cmp_lt_i32 s2, 24
	s_cbranch_scc1 .LBB143_4016
; %bb.3997:
	s_cmp_gt_i32 s2, 24
	s_cbranch_scc0 .LBB143_4005
; %bb.3998:
	s_wait_xcnt 0x0
	v_cvt_f32_f64_e32 v2, v[0:1]
	v_mov_b32_e32 v5, 0x80
	s_mov_b32 s3, exec_lo
	s_delay_alu instid0(VALU_DEP_2) | instskip(NEXT) | instid1(VALU_DEP_1)
	v_and_b32_e32 v3, 0x7fffffff, v2
	v_cmpx_gt_u32_e32 0x47800000, v3
	s_cbranch_execz .LBB143_4004
; %bb.3999:
	v_cmp_lt_u32_e32 vcc_lo, 0x37ffffff, v3
	s_mov_b32 s6, 0
                                        ; implicit-def: $vgpr3
	s_and_saveexec_b32 s7, vcc_lo
	s_delay_alu instid0(SALU_CYCLE_1)
	s_xor_b32 s7, exec_lo, s7
	s_cbranch_execz .LBB143_4215
; %bb.4000:
	v_bfe_u32 v3, v2, 21, 1
	s_mov_b32 s6, exec_lo
	s_delay_alu instid0(VALU_DEP_1) | instskip(NEXT) | instid1(VALU_DEP_1)
	v_add3_u32 v3, v2, v3, 0x88fffff
	v_lshrrev_b32_e32 v3, 21, v3
	s_and_not1_saveexec_b32 s7, s7
	s_cbranch_execnz .LBB143_4216
.LBB143_4001:
	s_or_b32 exec_lo, exec_lo, s7
	v_mov_b32_e32 v5, 0
	s_and_saveexec_b32 s7, s6
.LBB143_4002:
	v_lshrrev_b32_e32 v2, 24, v2
	s_delay_alu instid0(VALU_DEP_1)
	v_and_or_b32 v5, 0x80, v2, v3
.LBB143_4003:
	s_or_b32 exec_lo, exec_lo, s7
.LBB143_4004:
	s_delay_alu instid0(SALU_CYCLE_1)
	s_or_b32 exec_lo, exec_lo, s3
	s_mov_b32 s3, 0
	global_store_b8 v[6:7], v5, off
.LBB143_4005:
	s_and_b32 vcc_lo, exec_lo, s3
	s_cbranch_vccz .LBB143_4015
; %bb.4006:
	s_wait_xcnt 0x0
	v_cvt_f32_f64_e32 v2, v[0:1]
	s_mov_b32 s3, exec_lo
                                        ; implicit-def: $vgpr3
	s_delay_alu instid0(VALU_DEP_1) | instskip(NEXT) | instid1(VALU_DEP_1)
	v_and_b32_e32 v5, 0x7fffffff, v2
	v_cmpx_gt_u32_e32 0x43f00000, v5
	s_xor_b32 s3, exec_lo, s3
	s_cbranch_execz .LBB143_4012
; %bb.4007:
	s_mov_b32 s6, exec_lo
                                        ; implicit-def: $vgpr3
	v_cmpx_lt_u32_e32 0x3c7fffff, v5
	s_xor_b32 s6, exec_lo, s6
; %bb.4008:
	v_bfe_u32 v3, v2, 20, 1
	s_delay_alu instid0(VALU_DEP_1) | instskip(NEXT) | instid1(VALU_DEP_1)
	v_add3_u32 v3, v2, v3, 0x407ffff
	v_and_b32_e32 v5, 0xff00000, v3
	v_lshrrev_b32_e32 v3, 20, v3
	s_delay_alu instid0(VALU_DEP_2) | instskip(NEXT) | instid1(VALU_DEP_2)
	v_cmp_ne_u32_e32 vcc_lo, 0x7f00000, v5
	v_cndmask_b32_e32 v3, 0x7e, v3, vcc_lo
; %bb.4009:
	s_and_not1_saveexec_b32 s6, s6
; %bb.4010:
	v_add_f32_e64 v3, 0x46800000, |v2|
; %bb.4011:
	s_or_b32 exec_lo, exec_lo, s6
                                        ; implicit-def: $vgpr5
.LBB143_4012:
	s_and_not1_saveexec_b32 s3, s3
; %bb.4013:
	v_mov_b32_e32 v3, 0x7f
	v_cmp_lt_u32_e32 vcc_lo, 0x7f800000, v5
	s_delay_alu instid0(VALU_DEP_2)
	v_cndmask_b32_e32 v3, 0x7e, v3, vcc_lo
; %bb.4014:
	s_or_b32 exec_lo, exec_lo, s3
	v_lshrrev_b32_e32 v2, 24, v2
	s_delay_alu instid0(VALU_DEP_1)
	v_and_or_b32 v2, 0x80, v2, v3
	global_store_b8 v[6:7], v2, off
.LBB143_4015:
	s_mov_b32 s3, 0
.LBB143_4016:
	s_delay_alu instid0(SALU_CYCLE_1)
	s_and_not1_b32 vcc_lo, exec_lo, s3
	s_cbranch_vccnz .LBB143_4026
; %bb.4017:
	s_wait_xcnt 0x0
	v_cvt_f32_f64_e32 v2, v[0:1]
	s_mov_b32 s3, exec_lo
                                        ; implicit-def: $vgpr3
	s_delay_alu instid0(VALU_DEP_1) | instskip(NEXT) | instid1(VALU_DEP_1)
	v_and_b32_e32 v5, 0x7fffffff, v2
	v_cmpx_gt_u32_e32 0x47800000, v5
	s_xor_b32 s3, exec_lo, s3
	s_cbranch_execz .LBB143_4023
; %bb.4018:
	s_mov_b32 s6, exec_lo
                                        ; implicit-def: $vgpr3
	v_cmpx_lt_u32_e32 0x387fffff, v5
	s_xor_b32 s6, exec_lo, s6
; %bb.4019:
	v_bfe_u32 v3, v2, 21, 1
	s_delay_alu instid0(VALU_DEP_1) | instskip(NEXT) | instid1(VALU_DEP_1)
	v_add3_u32 v3, v2, v3, 0x80fffff
	v_lshrrev_b32_e32 v3, 21, v3
; %bb.4020:
	s_and_not1_saveexec_b32 s6, s6
; %bb.4021:
	v_add_f32_e64 v3, 0x43000000, |v2|
; %bb.4022:
	s_or_b32 exec_lo, exec_lo, s6
                                        ; implicit-def: $vgpr5
.LBB143_4023:
	s_and_not1_saveexec_b32 s3, s3
; %bb.4024:
	v_mov_b32_e32 v3, 0x7f
	v_cmp_lt_u32_e32 vcc_lo, 0x7f800000, v5
	s_delay_alu instid0(VALU_DEP_2)
	v_cndmask_b32_e32 v3, 0x7c, v3, vcc_lo
; %bb.4025:
	s_or_b32 exec_lo, exec_lo, s3
	v_lshrrev_b32_e32 v2, 24, v2
	s_delay_alu instid0(VALU_DEP_1)
	v_and_or_b32 v2, 0x80, v2, v3
	global_store_b8 v[6:7], v2, off
.LBB143_4026:
	s_mov_b32 s3, 0
	s_mov_b32 s6, -1
.LBB143_4027:
	s_and_not1_b32 vcc_lo, exec_lo, s3
	s_mov_b32 s3, 0
	s_cbranch_vccnz .LBB143_4034
; %bb.4028:
	s_cmp_gt_i32 s2, 14
	s_mov_b32 s3, -1
	s_cbranch_scc0 .LBB143_4032
; %bb.4029:
	s_cmp_eq_u32 s2, 15
	s_mov_b32 s0, -1
	s_cbranch_scc0 .LBB143_4031
; %bb.4030:
	s_wait_xcnt 0x0
	v_cvt_f32_f64_e32 v2, v[0:1]
	s_mov_b32 s0, 0
	s_mov_b32 s6, -1
	s_delay_alu instid0(VALU_DEP_1) | instskip(SKIP_1) | instid1(VALU_DEP_2)
	v_bfe_u32 v3, v2, 16, 1
	v_cmp_o_f32_e32 vcc_lo, v2, v2
	v_add3_u32 v3, v2, v3, 0x7fff
	s_delay_alu instid0(VALU_DEP_1) | instskip(NEXT) | instid1(VALU_DEP_1)
	v_lshrrev_b32_e32 v3, 16, v3
	v_cndmask_b32_e32 v2, 0x7fc0, v3, vcc_lo
	global_store_b16 v[6:7], v2, off
.LBB143_4031:
	s_mov_b32 s3, 0
.LBB143_4032:
	s_delay_alu instid0(SALU_CYCLE_1)
	s_and_b32 vcc_lo, exec_lo, s3
	s_mov_b32 s3, 0
	s_cbranch_vccz .LBB143_4034
; %bb.4033:
	s_cmp_lg_u32 s2, 11
	s_mov_b32 s3, -1
	s_cselect_b32 s0, -1, 0
.LBB143_4034:
	s_delay_alu instid0(SALU_CYCLE_1)
	s_and_b32 vcc_lo, exec_lo, s0
	s_cbranch_vccnz .LBB143_4214
; %bb.4035:
	s_and_not1_b32 vcc_lo, exec_lo, s3
	s_cbranch_vccnz .LBB143_4037
.LBB143_4036:
	v_cmp_neq_f64_e32 vcc_lo, 0, v[0:1]
	s_mov_b32 s6, -1
	s_wait_xcnt 0x0
	v_cndmask_b32_e64 v2, 0, 1, vcc_lo
	global_store_b8 v[6:7], v2, off
.LBB143_4037:
	s_mov_b32 s0, 0
	s_branch .LBB143_4039
.LBB143_4038:
	s_mov_b32 s0, -1
	s_mov_b32 s6, 0
.LBB143_4039:
	s_and_b32 vcc_lo, exec_lo, s0
	s_cbranch_vccz .LBB143_4078
; %bb.4040:
	s_cmp_lt_i32 s2, 5
	s_mov_b32 s0, -1
	s_cbranch_scc1 .LBB143_4061
; %bb.4041:
	s_cmp_lt_i32 s2, 8
	s_cbranch_scc1 .LBB143_4051
; %bb.4042:
	s_cmp_lt_i32 s2, 9
	s_cbranch_scc1 .LBB143_4048
; %bb.4043:
	s_cmp_gt_i32 s2, 9
	s_cbranch_scc0 .LBB143_4045
; %bb.4044:
	s_wait_xcnt 0x0
	v_mov_b32_e32 v2, 0
	s_mov_b32 s0, 0
	s_delay_alu instid0(VALU_DEP_1)
	v_mov_b32_e32 v3, v2
	global_store_b128 v[6:7], v[0:3], off
.LBB143_4045:
	s_and_not1_b32 vcc_lo, exec_lo, s0
	s_cbranch_vccnz .LBB143_4047
; %bb.4046:
	s_wait_xcnt 0x0
	v_cvt_f32_f64_e32 v2, v[0:1]
	v_mov_b32_e32 v3, 0
	global_store_b64 v[6:7], v[2:3], off
.LBB143_4047:
	s_mov_b32 s0, 0
.LBB143_4048:
	s_delay_alu instid0(SALU_CYCLE_1)
	s_and_not1_b32 vcc_lo, exec_lo, s0
	s_cbranch_vccnz .LBB143_4050
; %bb.4049:
	s_wait_xcnt 0x0
	v_and_or_b32 v2, 0x1ff, v1, v0
	v_lshrrev_b32_e32 v3, 8, v1
	v_bfe_u32 v5, v1, 20, 11
	s_delay_alu instid0(VALU_DEP_3) | instskip(NEXT) | instid1(VALU_DEP_2)
	v_cmp_ne_u32_e32 vcc_lo, 0, v2
	v_sub_nc_u32_e32 v8, 0x3f1, v5
	v_add_nc_u32_e32 v5, 0xfffffc10, v5
	v_cndmask_b32_e64 v2, 0, 1, vcc_lo
	s_delay_alu instid0(VALU_DEP_1) | instskip(NEXT) | instid1(VALU_DEP_4)
	v_and_or_b32 v2, 0xffe, v3, v2
	v_med3_i32 v3, v8, 0, 13
	s_delay_alu instid0(VALU_DEP_2) | instskip(NEXT) | instid1(VALU_DEP_1)
	v_or_b32_e32 v8, 0x1000, v2
	v_lshrrev_b32_e32 v9, v3, v8
	s_delay_alu instid0(VALU_DEP_1) | instskip(NEXT) | instid1(VALU_DEP_1)
	v_lshlrev_b32_e32 v3, v3, v9
	v_cmp_ne_u32_e32 vcc_lo, v3, v8
	v_lshl_or_b32 v8, v5, 12, v2
	v_cndmask_b32_e64 v3, 0, 1, vcc_lo
	v_cmp_gt_i32_e32 vcc_lo, 1, v5
	s_delay_alu instid0(VALU_DEP_2) | instskip(NEXT) | instid1(VALU_DEP_1)
	v_or_b32_e32 v3, v9, v3
	v_cndmask_b32_e32 v3, v8, v3, vcc_lo
	s_delay_alu instid0(VALU_DEP_1) | instskip(NEXT) | instid1(VALU_DEP_1)
	v_dual_lshrrev_b32 v3, 2, v3 :: v_dual_bitop2_b32 v8, 7, v3 bitop3:0x40
	v_cmp_lt_i32_e32 vcc_lo, 5, v8
	v_cndmask_b32_e64 v9, 0, 1, vcc_lo
	v_cmp_eq_u32_e32 vcc_lo, 3, v8
	v_cndmask_b32_e64 v8, 0, 1, vcc_lo
	v_cmp_ne_u32_e32 vcc_lo, 0, v2
	s_delay_alu instid0(VALU_DEP_2) | instskip(SKIP_1) | instid1(VALU_DEP_1)
	v_or_b32_e32 v8, v8, v9
	v_mov_b32_e32 v9, 0x7e00
	v_dual_cndmask_b32 v2, 0x7c00, v9 :: v_dual_add_nc_u32 v3, v3, v8
	v_cmp_gt_i32_e32 vcc_lo, 31, v5
	s_delay_alu instid0(VALU_DEP_2) | instskip(SKIP_1) | instid1(VALU_DEP_2)
	v_dual_cndmask_b32 v3, 0x7c00, v3 :: v_dual_lshrrev_b32 v8, 16, v1
	v_cmp_eq_u32_e32 vcc_lo, 0x40f, v5
	v_cndmask_b32_e32 v2, v3, v2, vcc_lo
	s_delay_alu instid0(VALU_DEP_3) | instskip(NEXT) | instid1(VALU_DEP_1)
	v_and_b32_e32 v3, 0x8000, v8
	v_bitop3_b32 v2, v3, 0xffff, v2 bitop3:0xc8
	global_store_b32 v[6:7], v2, off
.LBB143_4050:
	s_mov_b32 s0, 0
.LBB143_4051:
	s_delay_alu instid0(SALU_CYCLE_1)
	s_and_not1_b32 vcc_lo, exec_lo, s0
	s_cbranch_vccnz .LBB143_4060
; %bb.4052:
	s_cmp_lt_i32 s2, 6
	s_mov_b32 s0, -1
	s_cbranch_scc1 .LBB143_4058
; %bb.4053:
	s_cmp_gt_i32 s2, 6
	s_cbranch_scc0 .LBB143_4055
; %bb.4054:
	s_mov_b32 s0, 0
	global_store_b64 v[6:7], v[0:1], off
.LBB143_4055:
	s_and_not1_b32 vcc_lo, exec_lo, s0
	s_cbranch_vccnz .LBB143_4057
; %bb.4056:
	s_wait_xcnt 0x0
	v_cvt_f32_f64_e32 v2, v[0:1]
	global_store_b32 v[6:7], v2, off
.LBB143_4057:
	s_mov_b32 s0, 0
.LBB143_4058:
	s_delay_alu instid0(SALU_CYCLE_1)
	s_and_not1_b32 vcc_lo, exec_lo, s0
	s_cbranch_vccnz .LBB143_4060
; %bb.4059:
	s_wait_xcnt 0x0
	v_and_or_b32 v2, 0x1ff, v1, v0
	v_lshrrev_b32_e32 v3, 8, v1
	v_bfe_u32 v5, v1, 20, 11
	s_delay_alu instid0(VALU_DEP_3) | instskip(NEXT) | instid1(VALU_DEP_2)
	v_cmp_ne_u32_e32 vcc_lo, 0, v2
	v_sub_nc_u32_e32 v8, 0x3f1, v5
	v_add_nc_u32_e32 v5, 0xfffffc10, v5
	v_cndmask_b32_e64 v2, 0, 1, vcc_lo
	s_delay_alu instid0(VALU_DEP_1) | instskip(NEXT) | instid1(VALU_DEP_4)
	v_and_or_b32 v2, 0xffe, v3, v2
	v_med3_i32 v3, v8, 0, 13
	s_delay_alu instid0(VALU_DEP_2) | instskip(NEXT) | instid1(VALU_DEP_1)
	v_or_b32_e32 v8, 0x1000, v2
	v_lshrrev_b32_e32 v9, v3, v8
	s_delay_alu instid0(VALU_DEP_1) | instskip(NEXT) | instid1(VALU_DEP_1)
	v_lshlrev_b32_e32 v3, v3, v9
	v_cmp_ne_u32_e32 vcc_lo, v3, v8
	v_lshl_or_b32 v8, v5, 12, v2
	v_cndmask_b32_e64 v3, 0, 1, vcc_lo
	v_cmp_gt_i32_e32 vcc_lo, 1, v5
	s_delay_alu instid0(VALU_DEP_2) | instskip(NEXT) | instid1(VALU_DEP_1)
	v_or_b32_e32 v3, v9, v3
	v_cndmask_b32_e32 v3, v8, v3, vcc_lo
	s_delay_alu instid0(VALU_DEP_1) | instskip(NEXT) | instid1(VALU_DEP_1)
	v_dual_lshrrev_b32 v3, 2, v3 :: v_dual_bitop2_b32 v8, 7, v3 bitop3:0x40
	v_cmp_lt_i32_e32 vcc_lo, 5, v8
	v_cndmask_b32_e64 v9, 0, 1, vcc_lo
	v_cmp_eq_u32_e32 vcc_lo, 3, v8
	v_cndmask_b32_e64 v8, 0, 1, vcc_lo
	v_cmp_ne_u32_e32 vcc_lo, 0, v2
	s_delay_alu instid0(VALU_DEP_2) | instskip(SKIP_1) | instid1(VALU_DEP_1)
	v_or_b32_e32 v8, v8, v9
	v_mov_b32_e32 v9, 0x7e00
	v_dual_cndmask_b32 v2, 0x7c00, v9 :: v_dual_add_nc_u32 v3, v3, v8
	v_cmp_gt_i32_e32 vcc_lo, 31, v5
	s_delay_alu instid0(VALU_DEP_2) | instskip(SKIP_1) | instid1(VALU_DEP_2)
	v_cndmask_b32_e32 v3, 0x7c00, v3, vcc_lo
	v_cmp_eq_u32_e32 vcc_lo, 0x40f, v5
	v_dual_cndmask_b32 v2, v3, v2 :: v_dual_lshrrev_b32 v3, 16, v1
	s_delay_alu instid0(VALU_DEP_1)
	v_and_or_b32 v2, 0x8000, v3, v2
	global_store_b16 v[6:7], v2, off
.LBB143_4060:
	s_mov_b32 s0, 0
.LBB143_4061:
	s_delay_alu instid0(SALU_CYCLE_1)
	s_and_not1_b32 vcc_lo, exec_lo, s0
	s_cbranch_vccnz .LBB143_4077
; %bb.4062:
	s_cmp_lt_i32 s2, 2
	s_mov_b32 s0, -1
	s_cbranch_scc1 .LBB143_4072
; %bb.4063:
	s_cmp_lt_i32 s2, 3
	s_cbranch_scc1 .LBB143_4069
; %bb.4064:
	s_cmp_gt_i32 s2, 3
	s_cbranch_scc0 .LBB143_4066
; %bb.4065:
	s_wait_xcnt 0x0
	v_trunc_f64_e32 v[2:3], v[0:1]
	s_mov_b32 s0, 0
	s_delay_alu instid0(VALU_DEP_1) | instskip(NEXT) | instid1(VALU_DEP_1)
	v_ldexp_f64 v[8:9], v[2:3], 0xffffffe0
	v_floor_f64_e32 v[8:9], v[8:9]
	s_delay_alu instid0(VALU_DEP_1) | instskip(SKIP_1) | instid1(VALU_DEP_2)
	v_fmamk_f64 v[2:3], v[8:9], 0xc1f00000, v[2:3]
	v_cvt_i32_f64_e32 v9, v[8:9]
	v_cvt_u32_f64_e32 v8, v[2:3]
	global_store_b64 v[6:7], v[8:9], off
.LBB143_4066:
	s_and_not1_b32 vcc_lo, exec_lo, s0
	s_cbranch_vccnz .LBB143_4068
; %bb.4067:
	s_wait_xcnt 0x0
	v_cvt_i32_f64_e32 v2, v[0:1]
	global_store_b32 v[6:7], v2, off
.LBB143_4068:
	s_mov_b32 s0, 0
.LBB143_4069:
	s_delay_alu instid0(SALU_CYCLE_1)
	s_and_not1_b32 vcc_lo, exec_lo, s0
	s_cbranch_vccnz .LBB143_4071
; %bb.4070:
	s_wait_xcnt 0x0
	v_cvt_i32_f64_e32 v2, v[0:1]
	global_store_b16 v[6:7], v2, off
.LBB143_4071:
	s_mov_b32 s0, 0
.LBB143_4072:
	s_delay_alu instid0(SALU_CYCLE_1)
	s_and_not1_b32 vcc_lo, exec_lo, s0
	s_cbranch_vccnz .LBB143_4077
; %bb.4073:
	s_cmp_gt_i32 s2, 0
	s_mov_b32 s0, -1
	s_cbranch_scc0 .LBB143_4075
; %bb.4074:
	s_wait_xcnt 0x0
	v_cvt_i32_f64_e32 v2, v[0:1]
	s_mov_b32 s0, 0
	global_store_b8 v[6:7], v2, off
.LBB143_4075:
	s_and_not1_b32 vcc_lo, exec_lo, s0
	s_cbranch_vccnz .LBB143_4077
; %bb.4076:
	s_wait_xcnt 0x0
	v_trunc_f64_e32 v[0:1], v[0:1]
	s_delay_alu instid0(VALU_DEP_1) | instskip(NEXT) | instid1(VALU_DEP_1)
	v_ldexp_f64 v[2:3], v[0:1], 0xffffffe0
	v_floor_f64_e32 v[2:3], v[2:3]
	s_delay_alu instid0(VALU_DEP_1) | instskip(NEXT) | instid1(VALU_DEP_1)
	v_fmamk_f64 v[0:1], v[2:3], 0xc1f00000, v[0:1]
	v_cvt_u32_f64_e32 v0, v[0:1]
	global_store_b8 v[6:7], v0, off
.LBB143_4077:
	s_mov_b32 s6, -1
.LBB143_4078:
	s_delay_alu instid0(SALU_CYCLE_1)
	s_and_not1_b32 vcc_lo, exec_lo, s6
	s_cbranch_vccnz .LBB143_4155
; %bb.4079:
	s_wait_xcnt 0x0
	v_dual_max_num_f64 v[0:1], v[14:15], v[14:15] :: v_dual_mov_b32 v5, 0
	v_max_num_f64_e32 v[2:3], v[20:21], v[20:21]
	v_max_num_f64_e32 v[6:7], v[10:11], v[10:11]
	v_cmp_u_f64_e32 vcc_lo, v[10:11], v[10:11]
	s_cmp_lt_i32 s2, 11
	s_delay_alu instid0(VALU_DEP_3) | instskip(NEXT) | instid1(VALU_DEP_1)
	v_max_num_f64_e32 v[0:1], v[2:3], v[0:1]
	v_min_num_f64_e32 v[0:1], v[0:1], v[6:7]
	v_add_nc_u64_e32 v[6:7], s[4:5], v[4:5]
	s_delay_alu instid0(VALU_DEP_2) | instskip(SKIP_1) | instid1(VALU_DEP_2)
	v_dual_cndmask_b32 v1, v1, v11 :: v_dual_cndmask_b32 v0, v0, v10
	v_cmp_u_f64_e32 vcc_lo, v[14:15], v[14:15]
	v_dual_cndmask_b32 v0, v0, v14 :: v_dual_cndmask_b32 v1, v1, v15
	v_cmp_u_f64_e32 vcc_lo, v[20:21], v[20:21]
	s_delay_alu instid0(VALU_DEP_2)
	v_dual_cndmask_b32 v1, v1, v21 :: v_dual_cndmask_b32 v0, v0, v20
	s_cbranch_scc1 .LBB143_4200
; %bb.4080:
	s_mov_b32 s4, -1
	s_mov_b32 s3, 0
	s_cmp_gt_i32 s2, 25
	s_mov_b32 s0, 0
	s_cbranch_scc0 .LBB143_4113
; %bb.4081:
	s_cmp_gt_i32 s2, 28
	s_cbranch_scc0 .LBB143_4097
; %bb.4082:
	s_cmp_gt_i32 s2, 43
	;; [unrolled: 3-line block ×3, first 2 shown]
	s_cbranch_scc0 .LBB143_4087
; %bb.4084:
	s_cmp_eq_u32 s2, 46
	s_mov_b32 s0, -1
	s_cbranch_scc0 .LBB143_4086
; %bb.4085:
	v_cvt_f32_f64_e32 v2, v[0:1]
	s_mov_b32 s0, 0
	s_delay_alu instid0(VALU_DEP_1) | instskip(SKIP_1) | instid1(VALU_DEP_2)
	v_bfe_u32 v3, v2, 16, 1
	v_cmp_o_f32_e32 vcc_lo, v2, v2
	v_add3_u32 v3, v2, v3, 0x7fff
	s_delay_alu instid0(VALU_DEP_1) | instskip(NEXT) | instid1(VALU_DEP_1)
	v_lshrrev_b32_e32 v3, 16, v3
	v_cndmask_b32_e32 v2, 0x7fc0, v3, vcc_lo
	global_store_b32 v[6:7], v2, off
.LBB143_4086:
	s_mov_b32 s4, 0
.LBB143_4087:
	s_delay_alu instid0(SALU_CYCLE_1)
	s_and_b32 vcc_lo, exec_lo, s4
	s_cbranch_vccz .LBB143_4092
; %bb.4088:
	s_cmp_eq_u32 s2, 44
	s_mov_b32 s0, -1
	s_cbranch_scc0 .LBB143_4092
; %bb.4089:
	s_wait_xcnt 0x0
	v_cvt_f32_f64_e32 v2, v[0:1]
	v_mov_b32_e32 v3, 0xff
	s_mov_b32 s4, exec_lo
	s_delay_alu instid0(VALU_DEP_2) | instskip(NEXT) | instid1(VALU_DEP_1)
	v_bfe_u32 v4, v2, 23, 8
	v_cmpx_ne_u32_e32 0xff, v4
	s_cbranch_execz .LBB143_4091
; %bb.4090:
	v_and_b32_e32 v3, 0x400000, v2
	v_and_or_b32 v4, 0x3fffff, v2, v4
	v_lshrrev_b32_e32 v2, 23, v2
	s_delay_alu instid0(VALU_DEP_3) | instskip(NEXT) | instid1(VALU_DEP_3)
	v_cmp_ne_u32_e32 vcc_lo, 0, v3
	v_cmp_ne_u32_e64 s0, 0, v4
	s_and_b32 s0, vcc_lo, s0
	s_delay_alu instid0(SALU_CYCLE_1) | instskip(NEXT) | instid1(VALU_DEP_1)
	v_cndmask_b32_e64 v3, 0, 1, s0
	v_add_nc_u32_e32 v3, v2, v3
.LBB143_4091:
	s_or_b32 exec_lo, exec_lo, s4
	s_mov_b32 s0, 0
	global_store_b8 v[6:7], v3, off
.LBB143_4092:
	s_mov_b32 s4, 0
.LBB143_4093:
	s_delay_alu instid0(SALU_CYCLE_1)
	s_and_b32 vcc_lo, exec_lo, s4
	s_cbranch_vccz .LBB143_4096
; %bb.4094:
	s_cmp_eq_u32 s2, 29
	s_mov_b32 s0, -1
	s_cbranch_scc0 .LBB143_4096
; %bb.4095:
	s_wait_xcnt 0x0
	v_trunc_f64_e32 v[2:3], v[0:1]
	s_mov_b32 s0, 0
	s_delay_alu instid0(VALU_DEP_1) | instskip(NEXT) | instid1(VALU_DEP_1)
	v_ldexp_f64 v[4:5], v[2:3], 0xffffffe0
	v_floor_f64_e32 v[4:5], v[4:5]
	s_delay_alu instid0(VALU_DEP_1) | instskip(SKIP_1) | instid1(VALU_DEP_2)
	v_fmamk_f64 v[2:3], v[4:5], 0xc1f00000, v[2:3]
	v_cvt_u32_f64_e32 v5, v[4:5]
	v_cvt_u32_f64_e32 v4, v[2:3]
	global_store_b64 v[6:7], v[4:5], off
.LBB143_4096:
	s_mov_b32 s4, 0
.LBB143_4097:
	s_delay_alu instid0(SALU_CYCLE_1)
	s_and_b32 vcc_lo, exec_lo, s4
	s_cbranch_vccz .LBB143_4112
; %bb.4098:
	s_cmp_lt_i32 s2, 27
	s_mov_b32 s4, -1
	s_cbranch_scc1 .LBB143_4104
; %bb.4099:
	s_wait_xcnt 0x0
	v_cvt_u32_f64_e32 v2, v[0:1]
	s_cmp_gt_i32 s2, 27
	s_cbranch_scc0 .LBB143_4101
; %bb.4100:
	s_mov_b32 s4, 0
	global_store_b32 v[6:7], v2, off
.LBB143_4101:
	s_and_not1_b32 vcc_lo, exec_lo, s4
	s_cbranch_vccnz .LBB143_4103
; %bb.4102:
	global_store_b16 v[6:7], v2, off
.LBB143_4103:
	s_mov_b32 s4, 0
.LBB143_4104:
	s_delay_alu instid0(SALU_CYCLE_1)
	s_and_not1_b32 vcc_lo, exec_lo, s4
	s_cbranch_vccnz .LBB143_4112
; %bb.4105:
	s_wait_xcnt 0x0
	v_cvt_f32_f64_e32 v2, v[0:1]
	v_mov_b32_e32 v4, 0x80
	s_mov_b32 s4, exec_lo
	s_delay_alu instid0(VALU_DEP_2) | instskip(NEXT) | instid1(VALU_DEP_1)
	v_and_b32_e32 v3, 0x7fffffff, v2
	v_cmpx_gt_u32_e32 0x43800000, v3
	s_cbranch_execz .LBB143_4111
; %bb.4106:
	v_cmp_lt_u32_e32 vcc_lo, 0x3bffffff, v3
	s_mov_b32 s5, 0
                                        ; implicit-def: $vgpr3
	s_and_saveexec_b32 s6, vcc_lo
	s_delay_alu instid0(SALU_CYCLE_1)
	s_xor_b32 s6, exec_lo, s6
	s_cbranch_execz .LBB143_4217
; %bb.4107:
	v_bfe_u32 v3, v2, 20, 1
	s_mov_b32 s5, exec_lo
	s_delay_alu instid0(VALU_DEP_1) | instskip(NEXT) | instid1(VALU_DEP_1)
	v_add3_u32 v3, v2, v3, 0x487ffff
	v_lshrrev_b32_e32 v3, 20, v3
	s_and_not1_saveexec_b32 s6, s6
	s_cbranch_execnz .LBB143_4218
.LBB143_4108:
	s_or_b32 exec_lo, exec_lo, s6
	v_mov_b32_e32 v4, 0
	s_and_saveexec_b32 s6, s5
.LBB143_4109:
	v_lshrrev_b32_e32 v2, 24, v2
	s_delay_alu instid0(VALU_DEP_1)
	v_and_or_b32 v4, 0x80, v2, v3
.LBB143_4110:
	s_or_b32 exec_lo, exec_lo, s6
.LBB143_4111:
	s_delay_alu instid0(SALU_CYCLE_1)
	s_or_b32 exec_lo, exec_lo, s4
	global_store_b8 v[6:7], v4, off
.LBB143_4112:
	s_mov_b32 s4, 0
.LBB143_4113:
	s_delay_alu instid0(SALU_CYCLE_1)
	s_and_b32 vcc_lo, exec_lo, s4
	s_cbranch_vccz .LBB143_4153
; %bb.4114:
	s_cmp_gt_i32 s2, 22
	s_mov_b32 s3, -1
	s_cbranch_scc0 .LBB143_4146
; %bb.4115:
	s_cmp_lt_i32 s2, 24
	s_cbranch_scc1 .LBB143_4135
; %bb.4116:
	s_cmp_gt_i32 s2, 24
	s_cbranch_scc0 .LBB143_4124
; %bb.4117:
	s_wait_xcnt 0x0
	v_cvt_f32_f64_e32 v2, v[0:1]
	v_mov_b32_e32 v4, 0x80
	s_mov_b32 s3, exec_lo
	s_delay_alu instid0(VALU_DEP_2) | instskip(NEXT) | instid1(VALU_DEP_1)
	v_and_b32_e32 v3, 0x7fffffff, v2
	v_cmpx_gt_u32_e32 0x47800000, v3
	s_cbranch_execz .LBB143_4123
; %bb.4118:
	v_cmp_lt_u32_e32 vcc_lo, 0x37ffffff, v3
	s_mov_b32 s4, 0
                                        ; implicit-def: $vgpr3
	s_and_saveexec_b32 s5, vcc_lo
	s_delay_alu instid0(SALU_CYCLE_1)
	s_xor_b32 s5, exec_lo, s5
	s_cbranch_execz .LBB143_4220
; %bb.4119:
	v_bfe_u32 v3, v2, 21, 1
	s_mov_b32 s4, exec_lo
	s_delay_alu instid0(VALU_DEP_1) | instskip(NEXT) | instid1(VALU_DEP_1)
	v_add3_u32 v3, v2, v3, 0x88fffff
	v_lshrrev_b32_e32 v3, 21, v3
	s_and_not1_saveexec_b32 s5, s5
	s_cbranch_execnz .LBB143_4221
.LBB143_4120:
	s_or_b32 exec_lo, exec_lo, s5
	v_mov_b32_e32 v4, 0
	s_and_saveexec_b32 s5, s4
.LBB143_4121:
	v_lshrrev_b32_e32 v2, 24, v2
	s_delay_alu instid0(VALU_DEP_1)
	v_and_or_b32 v4, 0x80, v2, v3
.LBB143_4122:
	s_or_b32 exec_lo, exec_lo, s5
.LBB143_4123:
	s_delay_alu instid0(SALU_CYCLE_1)
	s_or_b32 exec_lo, exec_lo, s3
	s_mov_b32 s3, 0
	global_store_b8 v[6:7], v4, off
.LBB143_4124:
	s_and_b32 vcc_lo, exec_lo, s3
	s_cbranch_vccz .LBB143_4134
; %bb.4125:
	s_wait_xcnt 0x0
	v_cvt_f32_f64_e32 v2, v[0:1]
	s_mov_b32 s3, exec_lo
                                        ; implicit-def: $vgpr3
	s_delay_alu instid0(VALU_DEP_1) | instskip(NEXT) | instid1(VALU_DEP_1)
	v_and_b32_e32 v4, 0x7fffffff, v2
	v_cmpx_gt_u32_e32 0x43f00000, v4
	s_xor_b32 s3, exec_lo, s3
	s_cbranch_execz .LBB143_4131
; %bb.4126:
	s_mov_b32 s4, exec_lo
                                        ; implicit-def: $vgpr3
	v_cmpx_lt_u32_e32 0x3c7fffff, v4
	s_xor_b32 s4, exec_lo, s4
; %bb.4127:
	v_bfe_u32 v3, v2, 20, 1
	s_delay_alu instid0(VALU_DEP_1) | instskip(NEXT) | instid1(VALU_DEP_1)
	v_add3_u32 v3, v2, v3, 0x407ffff
	v_and_b32_e32 v4, 0xff00000, v3
	v_lshrrev_b32_e32 v3, 20, v3
	s_delay_alu instid0(VALU_DEP_2) | instskip(NEXT) | instid1(VALU_DEP_2)
	v_cmp_ne_u32_e32 vcc_lo, 0x7f00000, v4
	v_cndmask_b32_e32 v3, 0x7e, v3, vcc_lo
; %bb.4128:
	s_and_not1_saveexec_b32 s4, s4
; %bb.4129:
	v_add_f32_e64 v3, 0x46800000, |v2|
; %bb.4130:
	s_or_b32 exec_lo, exec_lo, s4
                                        ; implicit-def: $vgpr4
.LBB143_4131:
	s_and_not1_saveexec_b32 s3, s3
; %bb.4132:
	v_mov_b32_e32 v3, 0x7f
	v_cmp_lt_u32_e32 vcc_lo, 0x7f800000, v4
	s_delay_alu instid0(VALU_DEP_2)
	v_cndmask_b32_e32 v3, 0x7e, v3, vcc_lo
; %bb.4133:
	s_or_b32 exec_lo, exec_lo, s3
	v_lshrrev_b32_e32 v2, 24, v2
	s_delay_alu instid0(VALU_DEP_1)
	v_and_or_b32 v2, 0x80, v2, v3
	global_store_b8 v[6:7], v2, off
.LBB143_4134:
	s_mov_b32 s3, 0
.LBB143_4135:
	s_delay_alu instid0(SALU_CYCLE_1)
	s_and_not1_b32 vcc_lo, exec_lo, s3
	s_cbranch_vccnz .LBB143_4145
; %bb.4136:
	s_wait_xcnt 0x0
	v_cvt_f32_f64_e32 v2, v[0:1]
	s_mov_b32 s3, exec_lo
                                        ; implicit-def: $vgpr3
	s_delay_alu instid0(VALU_DEP_1) | instskip(NEXT) | instid1(VALU_DEP_1)
	v_and_b32_e32 v4, 0x7fffffff, v2
	v_cmpx_gt_u32_e32 0x47800000, v4
	s_xor_b32 s3, exec_lo, s3
	s_cbranch_execz .LBB143_4142
; %bb.4137:
	s_mov_b32 s4, exec_lo
                                        ; implicit-def: $vgpr3
	v_cmpx_lt_u32_e32 0x387fffff, v4
	s_xor_b32 s4, exec_lo, s4
; %bb.4138:
	v_bfe_u32 v3, v2, 21, 1
	s_delay_alu instid0(VALU_DEP_1) | instskip(NEXT) | instid1(VALU_DEP_1)
	v_add3_u32 v3, v2, v3, 0x80fffff
	v_lshrrev_b32_e32 v3, 21, v3
; %bb.4139:
	s_and_not1_saveexec_b32 s4, s4
; %bb.4140:
	v_add_f32_e64 v3, 0x43000000, |v2|
; %bb.4141:
	s_or_b32 exec_lo, exec_lo, s4
                                        ; implicit-def: $vgpr4
.LBB143_4142:
	s_and_not1_saveexec_b32 s3, s3
; %bb.4143:
	v_mov_b32_e32 v3, 0x7f
	v_cmp_lt_u32_e32 vcc_lo, 0x7f800000, v4
	s_delay_alu instid0(VALU_DEP_2)
	v_cndmask_b32_e32 v3, 0x7c, v3, vcc_lo
; %bb.4144:
	s_or_b32 exec_lo, exec_lo, s3
	v_lshrrev_b32_e32 v2, 24, v2
	s_delay_alu instid0(VALU_DEP_1)
	v_and_or_b32 v2, 0x80, v2, v3
	global_store_b8 v[6:7], v2, off
.LBB143_4145:
	s_mov_b32 s3, 0
.LBB143_4146:
	s_delay_alu instid0(SALU_CYCLE_1)
	s_and_not1_b32 vcc_lo, exec_lo, s3
	s_mov_b32 s3, 0
	s_cbranch_vccnz .LBB143_4153
; %bb.4147:
	s_cmp_gt_i32 s2, 14
	s_mov_b32 s3, -1
	s_cbranch_scc0 .LBB143_4151
; %bb.4148:
	s_cmp_eq_u32 s2, 15
	s_mov_b32 s0, -1
	s_cbranch_scc0 .LBB143_4150
; %bb.4149:
	s_wait_xcnt 0x0
	v_cvt_f32_f64_e32 v2, v[0:1]
	s_mov_b32 s0, 0
	s_delay_alu instid0(VALU_DEP_1) | instskip(SKIP_1) | instid1(VALU_DEP_2)
	v_bfe_u32 v3, v2, 16, 1
	v_cmp_o_f32_e32 vcc_lo, v2, v2
	v_add3_u32 v3, v2, v3, 0x7fff
	s_delay_alu instid0(VALU_DEP_1) | instskip(NEXT) | instid1(VALU_DEP_1)
	v_lshrrev_b32_e32 v3, 16, v3
	v_cndmask_b32_e32 v2, 0x7fc0, v3, vcc_lo
	global_store_b16 v[6:7], v2, off
.LBB143_4150:
	s_mov_b32 s3, 0
.LBB143_4151:
	s_delay_alu instid0(SALU_CYCLE_1)
	s_and_b32 vcc_lo, exec_lo, s3
	s_mov_b32 s3, 0
	s_cbranch_vccz .LBB143_4153
; %bb.4152:
	s_cmp_lg_u32 s2, 11
	s_mov_b32 s3, -1
	s_cselect_b32 s0, -1, 0
.LBB143_4153:
	s_delay_alu instid0(SALU_CYCLE_1)
	s_and_b32 vcc_lo, exec_lo, s0
	s_cbranch_vccnz .LBB143_4219
.LBB143_4154:
	s_mov_b32 s0, 0
	s_branch .LBB143_4156
.LBB143_4155:
	s_mov_b32 s0, 0
	s_wait_xcnt 0x0
	s_mov_b32 s3, 0
                                        ; implicit-def: $vgpr6_vgpr7
                                        ; implicit-def: $sgpr1
                                        ; implicit-def: $vgpr0_vgpr1
.LBB143_4156:
	s_and_not1_b32 s2, s10, exec_lo
	s_and_b32 s4, s12, exec_lo
	s_and_b32 s0, s0, exec_lo
	;; [unrolled: 1-line block ×3, first 2 shown]
	s_or_b32 s10, s2, s4
.LBB143_4157:
	s_wait_xcnt 0x0
	s_or_b32 exec_lo, exec_lo, s11
	s_and_saveexec_b32 s2, s10
	s_cbranch_execz .LBB143_4160
; %bb.4158:
	; divergent unreachable
	s_or_b32 exec_lo, exec_lo, s2
	s_and_saveexec_b32 s2, s35
	s_delay_alu instid0(SALU_CYCLE_1)
	s_xor_b32 s2, exec_lo, s2
	s_cbranch_execnz .LBB143_4161
.LBB143_4159:
	s_or_b32 exec_lo, exec_lo, s2
	s_and_saveexec_b32 s2, s0
	s_cbranch_execnz .LBB143_4162
	s_branch .LBB143_4199
.LBB143_4160:
	s_or_b32 exec_lo, exec_lo, s2
	s_and_saveexec_b32 s2, s35
	s_delay_alu instid0(SALU_CYCLE_1)
	s_xor_b32 s2, exec_lo, s2
	s_cbranch_execz .LBB143_4159
.LBB143_4161:
	v_cmp_neq_f64_e32 vcc_lo, 0, v[0:1]
	s_wait_loadcnt 0x0
	v_cndmask_b32_e64 v2, 0, 1, vcc_lo
	global_store_b8 v[6:7], v2, off
	s_wait_xcnt 0x0
	s_or_b32 exec_lo, exec_lo, s2
	s_and_saveexec_b32 s2, s0
	s_cbranch_execz .LBB143_4199
.LBB143_4162:
	s_sext_i32_i16 s2, s1
	s_mov_b32 s0, -1
	s_cmp_lt_i32 s2, 5
	s_cbranch_scc1 .LBB143_4183
; %bb.4163:
	s_cmp_lt_i32 s2, 8
	s_cbranch_scc1 .LBB143_4173
; %bb.4164:
	;; [unrolled: 3-line block ×3, first 2 shown]
	s_cmp_gt_i32 s2, 9
	s_cbranch_scc0 .LBB143_4167
; %bb.4166:
	s_wait_loadcnt 0x0
	v_mov_b32_e32 v2, 0
	s_mov_b32 s0, 0
	s_delay_alu instid0(VALU_DEP_1)
	v_mov_b32_e32 v3, v2
	global_store_b128 v[6:7], v[0:3], off
.LBB143_4167:
	s_and_not1_b32 vcc_lo, exec_lo, s0
	s_cbranch_vccnz .LBB143_4169
; %bb.4168:
	s_wait_loadcnt 0x0
	v_cvt_f32_f64_e32 v2, v[0:1]
	v_mov_b32_e32 v3, 0
	global_store_b64 v[6:7], v[2:3], off
.LBB143_4169:
	s_mov_b32 s0, 0
.LBB143_4170:
	s_delay_alu instid0(SALU_CYCLE_1)
	s_and_not1_b32 vcc_lo, exec_lo, s0
	s_cbranch_vccnz .LBB143_4172
; %bb.4171:
	s_wait_loadcnt 0x0
	v_and_or_b32 v2, 0x1ff, v1, v0
	v_lshrrev_b32_e32 v3, 8, v1
	v_bfe_u32 v4, v1, 20, 11
	s_delay_alu instid0(VALU_DEP_3) | instskip(NEXT) | instid1(VALU_DEP_2)
	v_cmp_ne_u32_e32 vcc_lo, 0, v2
	v_sub_nc_u32_e32 v5, 0x3f1, v4
	v_add_nc_u32_e32 v4, 0xfffffc10, v4
	v_cndmask_b32_e64 v2, 0, 1, vcc_lo
	s_delay_alu instid0(VALU_DEP_1) | instskip(NEXT) | instid1(VALU_DEP_4)
	v_and_or_b32 v2, 0xffe, v3, v2
	v_med3_i32 v3, v5, 0, 13
	s_delay_alu instid0(VALU_DEP_2) | instskip(NEXT) | instid1(VALU_DEP_1)
	v_or_b32_e32 v5, 0x1000, v2
	v_lshrrev_b32_e32 v8, v3, v5
	s_delay_alu instid0(VALU_DEP_1) | instskip(NEXT) | instid1(VALU_DEP_1)
	v_lshlrev_b32_e32 v3, v3, v8
	v_cmp_ne_u32_e32 vcc_lo, v3, v5
	v_lshl_or_b32 v5, v4, 12, v2
	v_cndmask_b32_e64 v3, 0, 1, vcc_lo
	v_cmp_gt_i32_e32 vcc_lo, 1, v4
	s_delay_alu instid0(VALU_DEP_2) | instskip(NEXT) | instid1(VALU_DEP_1)
	v_or_b32_e32 v3, v8, v3
	v_cndmask_b32_e32 v3, v5, v3, vcc_lo
	s_delay_alu instid0(VALU_DEP_1) | instskip(NEXT) | instid1(VALU_DEP_1)
	v_dual_lshrrev_b32 v3, 2, v3 :: v_dual_bitop2_b32 v5, 7, v3 bitop3:0x40
	v_cmp_lt_i32_e32 vcc_lo, 5, v5
	v_cndmask_b32_e64 v8, 0, 1, vcc_lo
	v_cmp_eq_u32_e32 vcc_lo, 3, v5
	v_cndmask_b32_e64 v5, 0, 1, vcc_lo
	v_cmp_ne_u32_e32 vcc_lo, 0, v2
	s_delay_alu instid0(VALU_DEP_2) | instskip(NEXT) | instid1(VALU_DEP_1)
	v_or_b32_e32 v5, v5, v8
	v_dual_mov_b32 v8, 0x7e00 :: v_dual_add_nc_u32 v3, v3, v5
	s_delay_alu instid0(VALU_DEP_1) | instskip(SKIP_2) | instid1(VALU_DEP_4)
	v_cndmask_b32_e32 v2, 0x7c00, v8, vcc_lo
	v_cmp_gt_i32_e32 vcc_lo, 31, v4
	v_lshrrev_b32_e32 v5, 16, v1
	v_cndmask_b32_e32 v3, 0x7c00, v3, vcc_lo
	v_cmp_eq_u32_e32 vcc_lo, 0x40f, v4
	s_delay_alu instid0(VALU_DEP_2) | instskip(NEXT) | instid1(VALU_DEP_4)
	v_cndmask_b32_e32 v2, v3, v2, vcc_lo
	v_and_b32_e32 v3, 0x8000, v5
	s_delay_alu instid0(VALU_DEP_1)
	v_bitop3_b32 v2, v3, 0xffff, v2 bitop3:0xc8
	global_store_b32 v[6:7], v2, off
.LBB143_4172:
	s_mov_b32 s0, 0
.LBB143_4173:
	s_delay_alu instid0(SALU_CYCLE_1)
	s_and_not1_b32 vcc_lo, exec_lo, s0
	s_cbranch_vccnz .LBB143_4182
; %bb.4174:
	s_sext_i32_i16 s2, s1
	s_mov_b32 s0, -1
	s_cmp_lt_i32 s2, 6
	s_cbranch_scc1 .LBB143_4180
; %bb.4175:
	s_cmp_gt_i32 s2, 6
	s_cbranch_scc0 .LBB143_4177
; %bb.4176:
	s_mov_b32 s0, 0
	s_wait_loadcnt 0x0
	global_store_b64 v[6:7], v[0:1], off
.LBB143_4177:
	s_and_not1_b32 vcc_lo, exec_lo, s0
	s_cbranch_vccnz .LBB143_4179
; %bb.4178:
	s_wait_loadcnt 0x0
	v_cvt_f32_f64_e32 v2, v[0:1]
	global_store_b32 v[6:7], v2, off
.LBB143_4179:
	s_mov_b32 s0, 0
.LBB143_4180:
	s_delay_alu instid0(SALU_CYCLE_1)
	s_and_not1_b32 vcc_lo, exec_lo, s0
	s_cbranch_vccnz .LBB143_4182
; %bb.4181:
	s_wait_loadcnt 0x0
	v_and_or_b32 v2, 0x1ff, v1, v0
	v_lshrrev_b32_e32 v3, 8, v1
	v_bfe_u32 v4, v1, 20, 11
	s_delay_alu instid0(VALU_DEP_3) | instskip(NEXT) | instid1(VALU_DEP_2)
	v_cmp_ne_u32_e32 vcc_lo, 0, v2
	v_sub_nc_u32_e32 v5, 0x3f1, v4
	v_add_nc_u32_e32 v4, 0xfffffc10, v4
	v_cndmask_b32_e64 v2, 0, 1, vcc_lo
	s_delay_alu instid0(VALU_DEP_1) | instskip(NEXT) | instid1(VALU_DEP_4)
	v_and_or_b32 v2, 0xffe, v3, v2
	v_med3_i32 v3, v5, 0, 13
	s_delay_alu instid0(VALU_DEP_2) | instskip(NEXT) | instid1(VALU_DEP_1)
	v_or_b32_e32 v5, 0x1000, v2
	v_lshrrev_b32_e32 v8, v3, v5
	s_delay_alu instid0(VALU_DEP_1) | instskip(NEXT) | instid1(VALU_DEP_1)
	v_lshlrev_b32_e32 v3, v3, v8
	v_cmp_ne_u32_e32 vcc_lo, v3, v5
	v_lshl_or_b32 v5, v4, 12, v2
	v_cndmask_b32_e64 v3, 0, 1, vcc_lo
	v_cmp_gt_i32_e32 vcc_lo, 1, v4
	s_delay_alu instid0(VALU_DEP_2) | instskip(NEXT) | instid1(VALU_DEP_1)
	v_or_b32_e32 v3, v8, v3
	v_cndmask_b32_e32 v3, v5, v3, vcc_lo
	s_delay_alu instid0(VALU_DEP_1) | instskip(NEXT) | instid1(VALU_DEP_1)
	v_dual_lshrrev_b32 v3, 2, v3 :: v_dual_bitop2_b32 v5, 7, v3 bitop3:0x40
	v_cmp_lt_i32_e32 vcc_lo, 5, v5
	v_cndmask_b32_e64 v8, 0, 1, vcc_lo
	v_cmp_eq_u32_e32 vcc_lo, 3, v5
	v_cndmask_b32_e64 v5, 0, 1, vcc_lo
	v_cmp_ne_u32_e32 vcc_lo, 0, v2
	s_delay_alu instid0(VALU_DEP_2) | instskip(NEXT) | instid1(VALU_DEP_1)
	v_or_b32_e32 v5, v5, v8
	v_dual_mov_b32 v8, 0x7e00 :: v_dual_add_nc_u32 v3, v3, v5
	s_delay_alu instid0(VALU_DEP_1) | instskip(SKIP_1) | instid1(VALU_DEP_3)
	v_cndmask_b32_e32 v2, 0x7c00, v8, vcc_lo
	v_cmp_gt_i32_e32 vcc_lo, 31, v4
	v_cndmask_b32_e32 v3, 0x7c00, v3, vcc_lo
	v_cmp_eq_u32_e32 vcc_lo, 0x40f, v4
	s_delay_alu instid0(VALU_DEP_2) | instskip(NEXT) | instid1(VALU_DEP_1)
	v_dual_cndmask_b32 v2, v3, v2 :: v_dual_lshrrev_b32 v3, 16, v1
	v_and_or_b32 v2, 0x8000, v3, v2
	global_store_b16 v[6:7], v2, off
.LBB143_4182:
	s_mov_b32 s0, 0
.LBB143_4183:
	s_delay_alu instid0(SALU_CYCLE_1)
	s_and_not1_b32 vcc_lo, exec_lo, s0
	s_cbranch_vccnz .LBB143_4199
; %bb.4184:
	s_sext_i32_i16 s2, s1
	s_mov_b32 s0, -1
	s_cmp_lt_i32 s2, 2
	s_cbranch_scc1 .LBB143_4194
; %bb.4185:
	s_cmp_lt_i32 s2, 3
	s_cbranch_scc1 .LBB143_4191
; %bb.4186:
	s_cmp_gt_i32 s2, 3
	s_cbranch_scc0 .LBB143_4188
; %bb.4187:
	s_wait_loadcnt 0x0
	v_trunc_f64_e32 v[2:3], v[0:1]
	s_mov_b32 s0, 0
	s_delay_alu instid0(VALU_DEP_1) | instskip(NEXT) | instid1(VALU_DEP_1)
	v_ldexp_f64 v[4:5], v[2:3], 0xffffffe0
	v_floor_f64_e32 v[4:5], v[4:5]
	s_delay_alu instid0(VALU_DEP_1) | instskip(SKIP_1) | instid1(VALU_DEP_2)
	v_fmamk_f64 v[2:3], v[4:5], 0xc1f00000, v[2:3]
	v_cvt_i32_f64_e32 v5, v[4:5]
	v_cvt_u32_f64_e32 v4, v[2:3]
	global_store_b64 v[6:7], v[4:5], off
.LBB143_4188:
	s_and_not1_b32 vcc_lo, exec_lo, s0
	s_cbranch_vccnz .LBB143_4190
; %bb.4189:
	s_wait_loadcnt 0x0
	v_cvt_i32_f64_e32 v2, v[0:1]
	global_store_b32 v[6:7], v2, off
.LBB143_4190:
	s_mov_b32 s0, 0
.LBB143_4191:
	s_delay_alu instid0(SALU_CYCLE_1)
	s_and_not1_b32 vcc_lo, exec_lo, s0
	s_cbranch_vccnz .LBB143_4193
; %bb.4192:
	s_wait_loadcnt 0x0
	v_cvt_i32_f64_e32 v2, v[0:1]
	global_store_b16 v[6:7], v2, off
.LBB143_4193:
	s_mov_b32 s0, 0
.LBB143_4194:
	s_delay_alu instid0(SALU_CYCLE_1)
	s_and_not1_b32 vcc_lo, exec_lo, s0
	s_cbranch_vccnz .LBB143_4199
; %bb.4195:
	s_sext_i32_i16 s0, s1
	s_delay_alu instid0(SALU_CYCLE_1)
	s_cmp_gt_i32 s0, 0
	s_mov_b32 s0, -1
	s_cbranch_scc0 .LBB143_4197
; %bb.4196:
	s_wait_loadcnt 0x0
	v_cvt_i32_f64_e32 v2, v[0:1]
	s_mov_b32 s0, 0
	global_store_b8 v[6:7], v2, off
.LBB143_4197:
	s_and_not1_b32 vcc_lo, exec_lo, s0
	s_cbranch_vccnz .LBB143_4199
; %bb.4198:
	s_wait_xcnt 0x0
	v_trunc_f64_e32 v[0:1], v[0:1]
	s_wait_loadcnt 0x0
	s_delay_alu instid0(VALU_DEP_1) | instskip(NEXT) | instid1(VALU_DEP_1)
	v_ldexp_f64 v[2:3], v[0:1], 0xffffffe0
	v_floor_f64_e32 v[2:3], v[2:3]
	s_delay_alu instid0(VALU_DEP_1) | instskip(NEXT) | instid1(VALU_DEP_1)
	v_fmamk_f64 v[0:1], v[2:3], 0xc1f00000, v[0:1]
	v_cvt_u32_f64_e32 v0, v[0:1]
	global_store_b8 v[6:7], v0, off
	s_endpgm
.LBB143_4199:
	s_endpgm
.LBB143_4200:
	s_mov_b32 s3, 0
	s_mov_b32 s0, -1
	s_branch .LBB143_4156
.LBB143_4201:
	s_or_b32 s12, s12, exec_lo
	s_trap 2
	s_cbranch_execz .LBB143_3670
	s_branch .LBB143_3671
.LBB143_4202:
	s_and_not1_saveexec_b32 s8, s8
	s_cbranch_execz .LBB143_3750
.LBB143_4203:
	v_add_f32_e64 v3, 0x46000000, |v2|
	s_and_not1_b32 s7, s7, exec_lo
	s_delay_alu instid0(VALU_DEP_1) | instskip(NEXT) | instid1(VALU_DEP_1)
	v_and_b32_e32 v3, 0xff, v3
	v_cmp_ne_u32_e32 vcc_lo, 0, v3
	s_and_b32 s9, vcc_lo, exec_lo
	s_delay_alu instid0(SALU_CYCLE_1)
	s_or_b32 s7, s7, s9
	s_or_b32 exec_lo, exec_lo, s8
	v_mov_b32_e32 v5, 0
	s_and_saveexec_b32 s8, s7
	s_cbranch_execnz .LBB143_3751
	s_branch .LBB143_3752
.LBB143_4204:
	s_or_b32 s12, s12, exec_lo
	s_trap 2
	s_cbranch_execz .LBB143_3798
	s_branch .LBB143_3799
.LBB143_4205:
	s_and_not1_saveexec_b32 s7, s7
	s_cbranch_execz .LBB143_3763
.LBB143_4206:
	v_add_f32_e64 v3, 0x42800000, |v2|
	s_and_not1_b32 s6, s6, exec_lo
	s_delay_alu instid0(VALU_DEP_1) | instskip(NEXT) | instid1(VALU_DEP_1)
	v_and_b32_e32 v3, 0xff, v3
	v_cmp_ne_u32_e32 vcc_lo, 0, v3
	s_and_b32 s8, vcc_lo, exec_lo
	s_delay_alu instid0(SALU_CYCLE_1)
	s_or_b32 s6, s6, s8
	s_or_b32 exec_lo, exec_lo, s7
	v_mov_b32_e32 v5, 0
	s_and_saveexec_b32 s7, s6
	s_cbranch_execnz .LBB143_3764
	s_branch .LBB143_3765
.LBB143_4207:
	s_and_not1_saveexec_b32 s8, s8
	s_cbranch_execz .LBB143_3869
.LBB143_4208:
	v_add_f32_e64 v3, 0x46000000, |v2|
	s_and_not1_b32 s7, s7, exec_lo
	s_delay_alu instid0(VALU_DEP_1) | instskip(NEXT) | instid1(VALU_DEP_1)
	v_and_b32_e32 v3, 0xff, v3
	v_cmp_ne_u32_e32 vcc_lo, 0, v3
	s_and_b32 s9, vcc_lo, exec_lo
	s_delay_alu instid0(SALU_CYCLE_1)
	s_or_b32 s7, s7, s9
	s_or_b32 exec_lo, exec_lo, s8
	v_mov_b32_e32 v5, 0
	s_and_saveexec_b32 s8, s7
	s_cbranch_execnz .LBB143_3870
	s_branch .LBB143_3871
.LBB143_4209:
	s_or_b32 s12, s12, exec_lo
	s_trap 2
	s_cbranch_execz .LBB143_3917
	s_branch .LBB143_3918
.LBB143_4210:
	s_and_not1_saveexec_b32 s7, s7
	s_cbranch_execz .LBB143_3882
.LBB143_4211:
	v_add_f32_e64 v3, 0x42800000, |v2|
	s_and_not1_b32 s6, s6, exec_lo
	s_delay_alu instid0(VALU_DEP_1) | instskip(NEXT) | instid1(VALU_DEP_1)
	v_and_b32_e32 v3, 0xff, v3
	v_cmp_ne_u32_e32 vcc_lo, 0, v3
	s_and_b32 s8, vcc_lo, exec_lo
	s_delay_alu instid0(SALU_CYCLE_1)
	s_or_b32 s6, s6, s8
	s_or_b32 exec_lo, exec_lo, s7
	v_mov_b32_e32 v5, 0
	s_and_saveexec_b32 s7, s6
	s_cbranch_execnz .LBB143_3883
	s_branch .LBB143_3884
.LBB143_4212:
	s_and_not1_saveexec_b32 s8, s8
	s_cbranch_execz .LBB143_3988
.LBB143_4213:
	v_add_f32_e64 v3, 0x46000000, |v2|
	s_and_not1_b32 s7, s7, exec_lo
	s_delay_alu instid0(VALU_DEP_1) | instskip(NEXT) | instid1(VALU_DEP_1)
	v_and_b32_e32 v3, 0xff, v3
	v_cmp_ne_u32_e32 vcc_lo, 0, v3
	s_and_b32 s9, vcc_lo, exec_lo
	s_delay_alu instid0(SALU_CYCLE_1)
	s_or_b32 s7, s7, s9
	s_or_b32 exec_lo, exec_lo, s8
	v_mov_b32_e32 v5, 0
	s_and_saveexec_b32 s8, s7
	s_cbranch_execnz .LBB143_3989
	s_branch .LBB143_3990
.LBB143_4214:
	s_or_b32 s12, s12, exec_lo
	s_trap 2
	s_cbranch_execz .LBB143_4036
	s_branch .LBB143_4037
.LBB143_4215:
	s_and_not1_saveexec_b32 s7, s7
	s_cbranch_execz .LBB143_4001
.LBB143_4216:
	v_add_f32_e64 v3, 0x42800000, |v2|
	s_and_not1_b32 s6, s6, exec_lo
	s_delay_alu instid0(VALU_DEP_1) | instskip(NEXT) | instid1(VALU_DEP_1)
	v_and_b32_e32 v3, 0xff, v3
	v_cmp_ne_u32_e32 vcc_lo, 0, v3
	s_and_b32 s8, vcc_lo, exec_lo
	s_delay_alu instid0(SALU_CYCLE_1)
	s_or_b32 s6, s6, s8
	s_or_b32 exec_lo, exec_lo, s7
	v_mov_b32_e32 v5, 0
	s_and_saveexec_b32 s7, s6
	s_cbranch_execnz .LBB143_4002
	s_branch .LBB143_4003
.LBB143_4217:
	s_and_not1_saveexec_b32 s6, s6
	s_cbranch_execz .LBB143_4108
.LBB143_4218:
	v_add_f32_e64 v3, 0x46000000, |v2|
	s_and_not1_b32 s5, s5, exec_lo
	s_delay_alu instid0(VALU_DEP_1) | instskip(NEXT) | instid1(VALU_DEP_1)
	v_and_b32_e32 v3, 0xff, v3
	v_cmp_ne_u32_e32 vcc_lo, 0, v3
	s_and_b32 s7, vcc_lo, exec_lo
	s_delay_alu instid0(SALU_CYCLE_1)
	s_or_b32 s5, s5, s7
	s_or_b32 exec_lo, exec_lo, s6
	v_mov_b32_e32 v4, 0
	s_and_saveexec_b32 s6, s5
	s_cbranch_execnz .LBB143_4109
	s_branch .LBB143_4110
.LBB143_4219:
	s_mov_b32 s3, 0
	s_or_b32 s12, s12, exec_lo
	s_trap 2
	s_branch .LBB143_4154
.LBB143_4220:
	s_and_not1_saveexec_b32 s5, s5
	s_cbranch_execz .LBB143_4120
.LBB143_4221:
	v_add_f32_e64 v3, 0x42800000, |v2|
	s_and_not1_b32 s4, s4, exec_lo
	s_delay_alu instid0(VALU_DEP_1) | instskip(NEXT) | instid1(VALU_DEP_1)
	v_and_b32_e32 v3, 0xff, v3
	v_cmp_ne_u32_e32 vcc_lo, 0, v3
	s_and_b32 s6, vcc_lo, exec_lo
	s_delay_alu instid0(SALU_CYCLE_1)
	s_or_b32 s4, s4, s6
	s_or_b32 exec_lo, exec_lo, s5
	v_mov_b32_e32 v4, 0
	s_and_saveexec_b32 s5, s4
	s_cbranch_execnz .LBB143_4121
	s_branch .LBB143_4122
	.section	.rodata,"a",@progbits
	.p2align	6, 0x0
	.amdhsa_kernel _ZN2at6native32elementwise_kernel_manual_unrollILi128ELi4EZNS0_15gpu_kernel_implIZZZNS0_12_GLOBAL__N_117clamp_kernel_implERNS_18TensorIteratorBaseEENKUlvE_clEvENKUlvE4_clEvEUldddE_EEvS5_RKT_EUlibE0_EEviT1_
		.amdhsa_group_segment_fixed_size 0
		.amdhsa_private_segment_fixed_size 0
		.amdhsa_kernarg_size 504
		.amdhsa_user_sgpr_count 2
		.amdhsa_user_sgpr_dispatch_ptr 0
		.amdhsa_user_sgpr_queue_ptr 0
		.amdhsa_user_sgpr_kernarg_segment_ptr 1
		.amdhsa_user_sgpr_dispatch_id 0
		.amdhsa_user_sgpr_kernarg_preload_length 0
		.amdhsa_user_sgpr_kernarg_preload_offset 0
		.amdhsa_user_sgpr_private_segment_size 0
		.amdhsa_wavefront_size32 1
		.amdhsa_uses_dynamic_stack 0
		.amdhsa_enable_private_segment 0
		.amdhsa_system_sgpr_workgroup_id_x 1
		.amdhsa_system_sgpr_workgroup_id_y 0
		.amdhsa_system_sgpr_workgroup_id_z 0
		.amdhsa_system_sgpr_workgroup_info 0
		.amdhsa_system_vgpr_workitem_id 0
		.amdhsa_next_free_vgpr 36
		.amdhsa_next_free_sgpr 74
		.amdhsa_named_barrier_count 0
		.amdhsa_reserve_vcc 1
		.amdhsa_float_round_mode_32 0
		.amdhsa_float_round_mode_16_64 0
		.amdhsa_float_denorm_mode_32 3
		.amdhsa_float_denorm_mode_16_64 3
		.amdhsa_fp16_overflow 0
		.amdhsa_memory_ordered 1
		.amdhsa_forward_progress 1
		.amdhsa_inst_pref_size 255
		.amdhsa_round_robin_scheduling 0
		.amdhsa_exception_fp_ieee_invalid_op 0
		.amdhsa_exception_fp_denorm_src 0
		.amdhsa_exception_fp_ieee_div_zero 0
		.amdhsa_exception_fp_ieee_overflow 0
		.amdhsa_exception_fp_ieee_underflow 0
		.amdhsa_exception_fp_ieee_inexact 0
		.amdhsa_exception_int_div_zero 0
	.end_amdhsa_kernel
	.section	.text._ZN2at6native32elementwise_kernel_manual_unrollILi128ELi4EZNS0_15gpu_kernel_implIZZZNS0_12_GLOBAL__N_117clamp_kernel_implERNS_18TensorIteratorBaseEENKUlvE_clEvENKUlvE4_clEvEUldddE_EEvS5_RKT_EUlibE0_EEviT1_,"axG",@progbits,_ZN2at6native32elementwise_kernel_manual_unrollILi128ELi4EZNS0_15gpu_kernel_implIZZZNS0_12_GLOBAL__N_117clamp_kernel_implERNS_18TensorIteratorBaseEENKUlvE_clEvENKUlvE4_clEvEUldddE_EEvS5_RKT_EUlibE0_EEviT1_,comdat
.Lfunc_end143:
	.size	_ZN2at6native32elementwise_kernel_manual_unrollILi128ELi4EZNS0_15gpu_kernel_implIZZZNS0_12_GLOBAL__N_117clamp_kernel_implERNS_18TensorIteratorBaseEENKUlvE_clEvENKUlvE4_clEvEUldddE_EEvS5_RKT_EUlibE0_EEviT1_, .Lfunc_end143-_ZN2at6native32elementwise_kernel_manual_unrollILi128ELi4EZNS0_15gpu_kernel_implIZZZNS0_12_GLOBAL__N_117clamp_kernel_implERNS_18TensorIteratorBaseEENKUlvE_clEvENKUlvE4_clEvEUldddE_EEvS5_RKT_EUlibE0_EEviT1_
                                        ; -- End function
	.set _ZN2at6native32elementwise_kernel_manual_unrollILi128ELi4EZNS0_15gpu_kernel_implIZZZNS0_12_GLOBAL__N_117clamp_kernel_implERNS_18TensorIteratorBaseEENKUlvE_clEvENKUlvE4_clEvEUldddE_EEvS5_RKT_EUlibE0_EEviT1_.num_vgpr, 36
	.set _ZN2at6native32elementwise_kernel_manual_unrollILi128ELi4EZNS0_15gpu_kernel_implIZZZNS0_12_GLOBAL__N_117clamp_kernel_implERNS_18TensorIteratorBaseEENKUlvE_clEvENKUlvE4_clEvEUldddE_EEvS5_RKT_EUlibE0_EEviT1_.num_agpr, 0
	.set _ZN2at6native32elementwise_kernel_manual_unrollILi128ELi4EZNS0_15gpu_kernel_implIZZZNS0_12_GLOBAL__N_117clamp_kernel_implERNS_18TensorIteratorBaseEENKUlvE_clEvENKUlvE4_clEvEUldddE_EEvS5_RKT_EUlibE0_EEviT1_.numbered_sgpr, 74
	.set _ZN2at6native32elementwise_kernel_manual_unrollILi128ELi4EZNS0_15gpu_kernel_implIZZZNS0_12_GLOBAL__N_117clamp_kernel_implERNS_18TensorIteratorBaseEENKUlvE_clEvENKUlvE4_clEvEUldddE_EEvS5_RKT_EUlibE0_EEviT1_.num_named_barrier, 0
	.set _ZN2at6native32elementwise_kernel_manual_unrollILi128ELi4EZNS0_15gpu_kernel_implIZZZNS0_12_GLOBAL__N_117clamp_kernel_implERNS_18TensorIteratorBaseEENKUlvE_clEvENKUlvE4_clEvEUldddE_EEvS5_RKT_EUlibE0_EEviT1_.private_seg_size, 0
	.set _ZN2at6native32elementwise_kernel_manual_unrollILi128ELi4EZNS0_15gpu_kernel_implIZZZNS0_12_GLOBAL__N_117clamp_kernel_implERNS_18TensorIteratorBaseEENKUlvE_clEvENKUlvE4_clEvEUldddE_EEvS5_RKT_EUlibE0_EEviT1_.uses_vcc, 1
	.set _ZN2at6native32elementwise_kernel_manual_unrollILi128ELi4EZNS0_15gpu_kernel_implIZZZNS0_12_GLOBAL__N_117clamp_kernel_implERNS_18TensorIteratorBaseEENKUlvE_clEvENKUlvE4_clEvEUldddE_EEvS5_RKT_EUlibE0_EEviT1_.uses_flat_scratch, 0
	.set _ZN2at6native32elementwise_kernel_manual_unrollILi128ELi4EZNS0_15gpu_kernel_implIZZZNS0_12_GLOBAL__N_117clamp_kernel_implERNS_18TensorIteratorBaseEENKUlvE_clEvENKUlvE4_clEvEUldddE_EEvS5_RKT_EUlibE0_EEviT1_.has_dyn_sized_stack, 0
	.set _ZN2at6native32elementwise_kernel_manual_unrollILi128ELi4EZNS0_15gpu_kernel_implIZZZNS0_12_GLOBAL__N_117clamp_kernel_implERNS_18TensorIteratorBaseEENKUlvE_clEvENKUlvE4_clEvEUldddE_EEvS5_RKT_EUlibE0_EEviT1_.has_recursion, 0
	.set _ZN2at6native32elementwise_kernel_manual_unrollILi128ELi4EZNS0_15gpu_kernel_implIZZZNS0_12_GLOBAL__N_117clamp_kernel_implERNS_18TensorIteratorBaseEENKUlvE_clEvENKUlvE4_clEvEUldddE_EEvS5_RKT_EUlibE0_EEviT1_.has_indirect_call, 0
	.section	.AMDGPU.csdata,"",@progbits
; Kernel info:
; codeLenInByte = 83904
; TotalNumSgprs: 76
; NumVgprs: 36
; ScratchSize: 0
; MemoryBound: 1
; FloatMode: 240
; IeeeMode: 1
; LDSByteSize: 0 bytes/workgroup (compile time only)
; SGPRBlocks: 0
; VGPRBlocks: 2
; NumSGPRsForWavesPerEU: 76
; NumVGPRsForWavesPerEU: 36
; NamedBarCnt: 0
; Occupancy: 16
; WaveLimiterHint : 1
; COMPUTE_PGM_RSRC2:SCRATCH_EN: 0
; COMPUTE_PGM_RSRC2:USER_SGPR: 2
; COMPUTE_PGM_RSRC2:TRAP_HANDLER: 0
; COMPUTE_PGM_RSRC2:TGID_X_EN: 1
; COMPUTE_PGM_RSRC2:TGID_Y_EN: 0
; COMPUTE_PGM_RSRC2:TGID_Z_EN: 0
; COMPUTE_PGM_RSRC2:TIDIG_COMP_CNT: 0
	.section	.text._ZN2at6native29vectorized_elementwise_kernelILi16EZZZNS0_12_GLOBAL__N_117clamp_kernel_implERNS_18TensorIteratorBaseEENKUlvE_clEvENKUlvE5_clEvEUlfffE_St5arrayIPcLm4EEEEviT0_T1_,"axG",@progbits,_ZN2at6native29vectorized_elementwise_kernelILi16EZZZNS0_12_GLOBAL__N_117clamp_kernel_implERNS_18TensorIteratorBaseEENKUlvE_clEvENKUlvE5_clEvEUlfffE_St5arrayIPcLm4EEEEviT0_T1_,comdat
	.globl	_ZN2at6native29vectorized_elementwise_kernelILi16EZZZNS0_12_GLOBAL__N_117clamp_kernel_implERNS_18TensorIteratorBaseEENKUlvE_clEvENKUlvE5_clEvEUlfffE_St5arrayIPcLm4EEEEviT0_T1_ ; -- Begin function _ZN2at6native29vectorized_elementwise_kernelILi16EZZZNS0_12_GLOBAL__N_117clamp_kernel_implERNS_18TensorIteratorBaseEENKUlvE_clEvENKUlvE5_clEvEUlfffE_St5arrayIPcLm4EEEEviT0_T1_
	.p2align	8
	.type	_ZN2at6native29vectorized_elementwise_kernelILi16EZZZNS0_12_GLOBAL__N_117clamp_kernel_implERNS_18TensorIteratorBaseEENKUlvE_clEvENKUlvE5_clEvEUlfffE_St5arrayIPcLm4EEEEviT0_T1_,@function
_ZN2at6native29vectorized_elementwise_kernelILi16EZZZNS0_12_GLOBAL__N_117clamp_kernel_implERNS_18TensorIteratorBaseEENKUlvE_clEvENKUlvE5_clEvEUlfffE_St5arrayIPcLm4EEEEviT0_T1_: ; @_ZN2at6native29vectorized_elementwise_kernelILi16EZZZNS0_12_GLOBAL__N_117clamp_kernel_implERNS_18TensorIteratorBaseEENKUlvE_clEvENKUlvE5_clEvEUlfffE_St5arrayIPcLm4EEEEviT0_T1_
; %bb.0:
	s_clause 0x1
	s_load_b32 s3, s[0:1], 0x0
	s_load_b256 s[4:11], s[0:1], 0x8
	s_wait_xcnt 0x0
	s_bfe_u32 s0, ttmp6, 0x4000c
	s_and_b32 s1, ttmp6, 15
	s_add_co_i32 s0, s0, 1
	s_getreg_b32 s2, hwreg(HW_REG_IB_STS2, 6, 4)
	s_mul_i32 s0, ttmp9, s0
	s_delay_alu instid0(SALU_CYCLE_1) | instskip(SKIP_2) | instid1(SALU_CYCLE_1)
	s_add_co_i32 s1, s1, s0
	s_cmp_eq_u32 s2, 0
	s_cselect_b32 s0, ttmp9, s1
	s_lshl_b32 s2, s0, 10
	s_mov_b32 s0, -1
	s_wait_kmcnt 0x0
	s_sub_co_i32 s1, s3, s2
	s_delay_alu instid0(SALU_CYCLE_1)
	s_cmp_gt_i32 s1, 0x3ff
	s_cbranch_scc0 .LBB144_2
; %bb.1:
	s_ashr_i32 s3, s2, 31
	s_mov_b32 s0, 0
	s_lshl_b64 s[12:13], s[2:3], 2
	s_delay_alu instid0(SALU_CYCLE_1)
	s_add_nc_u64 s[16:17], s[8:9], s[12:13]
	s_add_nc_u64 s[14:15], s[6:7], s[12:13]
	;; [unrolled: 1-line block ×3, first 2 shown]
	s_clause 0x2
	global_load_b128 v[2:5], v0, s[16:17] scale_offset
	global_load_b128 v[6:9], v0, s[14:15] scale_offset
	;; [unrolled: 1-line block ×3, first 2 shown]
	s_add_nc_u64 s[12:13], s[4:5], s[12:13]
	s_wait_loadcnt 0x2
	v_dual_max_num_f32 v1, v2, v2 :: v_dual_max_num_f32 v16, v3, v3
	s_wait_loadcnt 0x1
	v_dual_max_num_f32 v14, v6, v6 :: v_dual_max_num_f32 v17, v7, v7
	;; [unrolled: 2-line block ×3, first 2 shown]
	v_cmp_u_f32_e32 vcc_lo, v11, v11
	v_dual_max_num_f32 v19, v4, v4 :: v_dual_max_num_f32 v22, v5, v5
	v_dual_max_num_f32 v20, v8, v8 :: v_dual_max_num_f32 v23, v9, v9
	s_delay_alu instid0(VALU_DEP_4) | instskip(SKIP_2) | instid1(VALU_DEP_3)
	v_maxmin_num_f32 v16, v17, v16, v18
	v_dual_max_num_f32 v21, v12, v12 :: v_dual_max_num_f32 v24, v13, v13
	v_maxmin_num_f32 v1, v14, v1, v15
	v_cndmask_b32_e32 v11, v16, v11, vcc_lo
	v_cmp_u_f32_e32 vcc_lo, v10, v10
	s_delay_alu instid0(VALU_DEP_4) | instskip(SKIP_3) | instid1(VALU_DEP_4)
	v_maxmin_num_f32 v15, v23, v22, v24
	v_maxmin_num_f32 v14, v20, v19, v21
	v_cndmask_b32_e32 v1, v1, v10, vcc_lo
	v_cmp_u_f32_e32 vcc_lo, v13, v13
	v_cndmask_b32_e32 v10, v15, v13, vcc_lo
	v_cmp_u_f32_e32 vcc_lo, v12, v12
	;; [unrolled: 2-line block ×10, first 2 shown]
	v_cndmask_b32_e32 v4, v4, v8, vcc_lo
	global_store_b128 v0, v[2:5], s[12:13] scale_offset
.LBB144_2:
	s_and_not1_b32 vcc_lo, exec_lo, s0
	s_cbranch_vccnz .LBB144_23
; %bb.3:
	v_cmp_gt_i32_e32 vcc_lo, s1, v0
	s_wait_xcnt 0x0
	v_dual_mov_b32 v3, 0 :: v_dual_bitop2_b32 v1, s2, v0 bitop3:0x54
	v_or_b32_e32 v2, 0x100, v0
	v_dual_mov_b32 v5, 0 :: v_dual_mov_b32 v6, 0
	v_dual_mov_b32 v7, 0 :: v_dual_mov_b32 v15, v0
	s_and_saveexec_b32 s0, vcc_lo
	s_cbranch_execz .LBB144_5
; %bb.4:
	s_clause 0x2
	global_load_b32 v5, v1, s[6:7] scale_offset
	global_load_b32 v6, v1, s[8:9] scale_offset
	global_load_b32 v7, v1, s[10:11] scale_offset
	v_or_b32_e32 v15, 0x100, v0
.LBB144_5:
	s_wait_xcnt 0x0
	s_or_b32 exec_lo, exec_lo, s0
	v_dual_mov_b32 v8, 0 :: v_dual_mov_b32 v10, 0
	s_mov_b32 s3, exec_lo
	v_cmpx_gt_i32_e64 s1, v15
	s_cbranch_execz .LBB144_7
; %bb.6:
	v_add_nc_u32_e32 v4, s2, v15
	v_add_nc_u32_e32 v15, 0x100, v15
	s_clause 0x2
	global_load_b32 v3, v4, s[6:7] scale_offset
	global_load_b32 v8, v4, s[8:9] scale_offset
	;; [unrolled: 1-line block ×3, first 2 shown]
.LBB144_7:
	s_wait_xcnt 0x0
	s_or_b32 exec_lo, exec_lo, s3
	v_dual_mov_b32 v4, 0 :: v_dual_mov_b32 v9, 0
	v_dual_mov_b32 v11, 0 :: v_dual_mov_b32 v12, 0
	s_mov_b32 s3, exec_lo
	v_cmpx_gt_i32_e64 s1, v15
	s_cbranch_execz .LBB144_9
; %bb.8:
	v_add_nc_u32_e32 v13, s2, v15
	v_add_nc_u32_e32 v15, 0x100, v15
	s_clause 0x2
	global_load_b32 v9, v13, s[6:7] scale_offset
	global_load_b32 v11, v13, s[8:9] scale_offset
	;; [unrolled: 1-line block ×3, first 2 shown]
.LBB144_9:
	s_wait_xcnt 0x0
	s_or_b32 exec_lo, exec_lo, s3
	v_dual_mov_b32 v13, 0 :: v_dual_mov_b32 v14, 0
	s_mov_b32 s3, exec_lo
	v_cmpx_gt_i32_e64 s1, v15
	s_cbranch_execz .LBB144_11
; %bb.10:
	v_add_nc_u32_e32 v15, s2, v15
	s_clause 0x2
	global_load_b32 v4, v15, s[6:7] scale_offset
	global_load_b32 v13, v15, s[8:9] scale_offset
	;; [unrolled: 1-line block ×3, first 2 shown]
	s_wait_xcnt 0x0
	s_or_b32 exec_lo, exec_lo, s3
                                        ; implicit-def: $vgpr15
	s_and_saveexec_b32 s3, vcc_lo
	s_cbranch_execz .LBB144_13
	s_branch .LBB144_12
.LBB144_11:
	s_or_b32 exec_lo, exec_lo, s3
                                        ; implicit-def: $vgpr15
	s_and_saveexec_b32 s3, vcc_lo
	s_cbranch_execz .LBB144_13
.LBB144_12:
	s_wait_loadcnt 0x1
	v_dual_max_num_f32 v15, v6, v6 :: v_dual_max_num_f32 v16, v5, v5
	s_wait_loadcnt 0x0
	v_max_num_f32_e32 v17, v7, v7
	v_cmp_u_f32_e64 s0, v7, v7
	s_delay_alu instid0(VALU_DEP_2) | instskip(NEXT) | instid1(VALU_DEP_1)
	v_maxmin_num_f32 v15, v16, v15, v17
	v_cndmask_b32_e64 v7, v15, v7, s0
	v_cmp_u_f32_e64 s0, v6, v6
	s_delay_alu instid0(VALU_DEP_1) | instskip(SKIP_1) | instid1(VALU_DEP_1)
	v_cndmask_b32_e64 v6, v7, v6, s0
	v_cmp_u_f32_e64 s0, v5, v5
	v_cndmask_b32_e64 v15, v6, v5, s0
.LBB144_13:
	s_or_b32 exec_lo, exec_lo, s3
	s_delay_alu instid0(SALU_CYCLE_1)
	s_mov_b32 s3, exec_lo
                                        ; implicit-def: $vgpr5
	v_cmpx_gt_i32_e64 s1, v2
	s_cbranch_execz .LBB144_15
; %bb.14:
	s_wait_loadcnt 0x1
	v_dual_max_num_f32 v5, v8, v8 :: v_dual_max_num_f32 v6, v3, v3
	s_wait_loadcnt 0x0
	v_cmp_u_f32_e64 s0, v10, v10
	v_max_num_f32_e32 v7, v10, v10
	s_delay_alu instid0(VALU_DEP_1) | instskip(NEXT) | instid1(VALU_DEP_1)
	v_maxmin_num_f32 v5, v6, v5, v7
	v_cndmask_b32_e64 v5, v5, v10, s0
	v_cmp_u_f32_e64 s0, v8, v8
	s_delay_alu instid0(VALU_DEP_1) | instskip(SKIP_1) | instid1(VALU_DEP_1)
	v_cndmask_b32_e64 v5, v5, v8, s0
	v_cmp_u_f32_e64 s0, v3, v3
	v_cndmask_b32_e64 v5, v5, v3, s0
.LBB144_15:
	s_or_b32 exec_lo, exec_lo, s3
	s_wait_loadcnt 0x2
	v_or_b32_e32 v3, 0x200, v0
	s_delay_alu instid0(VALU_DEP_1)
	v_cmp_gt_i32_e64 s0, s1, v3
                                        ; implicit-def: $vgpr3
	s_and_saveexec_b32 s3, s0
	s_cbranch_execz .LBB144_17
; %bb.16:
	s_wait_loadcnt 0x1
	v_dual_max_num_f32 v3, v11, v11 :: v_dual_max_num_f32 v6, v9, v9
	s_wait_loadcnt 0x0
	v_cmp_u_f32_e64 s0, v12, v12
	v_max_num_f32_e32 v7, v12, v12
	s_delay_alu instid0(VALU_DEP_1) | instskip(NEXT) | instid1(VALU_DEP_1)
	v_maxmin_num_f32 v3, v6, v3, v7
	v_cndmask_b32_e64 v3, v3, v12, s0
	v_cmp_u_f32_e64 s0, v11, v11
	s_delay_alu instid0(VALU_DEP_1) | instskip(SKIP_1) | instid1(VALU_DEP_1)
	v_cndmask_b32_e64 v3, v3, v11, s0
	v_cmp_u_f32_e64 s0, v9, v9
	v_cndmask_b32_e64 v3, v3, v9, s0
.LBB144_17:
	s_or_b32 exec_lo, exec_lo, s3
	s_wait_loadcnt 0x1
	v_or_b32_e32 v6, 0x300, v0
	s_delay_alu instid0(VALU_DEP_1)
	v_cmp_gt_i32_e64 s0, s1, v6
                                        ; implicit-def: $vgpr6
	s_and_saveexec_b32 s3, s0
	s_cbranch_execz .LBB144_24
; %bb.18:
	s_wait_loadcnt 0x0
	v_dual_max_num_f32 v6, v13, v13 :: v_dual_max_num_f32 v7, v4, v4
	v_max_num_f32_e32 v8, v14, v14
	v_cmp_u_f32_e64 s0, v14, v14
	s_delay_alu instid0(VALU_DEP_2) | instskip(NEXT) | instid1(VALU_DEP_1)
	v_maxmin_num_f32 v6, v7, v6, v8
	v_cndmask_b32_e64 v6, v6, v14, s0
	v_cmp_u_f32_e64 s0, v13, v13
	s_delay_alu instid0(VALU_DEP_1) | instskip(SKIP_1) | instid1(VALU_DEP_1)
	v_cndmask_b32_e64 v6, v6, v13, s0
	v_cmp_u_f32_e64 s0, v4, v4
	v_cndmask_b32_e64 v6, v6, v4, s0
	s_or_b32 exec_lo, exec_lo, s3
	s_and_saveexec_b32 s0, vcc_lo
	s_delay_alu instid0(SALU_CYCLE_1)
	s_xor_b32 s0, exec_lo, s0
	s_cbranch_execnz .LBB144_25
.LBB144_19:
	s_or_b32 exec_lo, exec_lo, s0
	s_delay_alu instid0(SALU_CYCLE_1)
	s_mov_b32 s0, exec_lo
	v_cmpx_gt_i32_e64 s1, v0
	s_cbranch_execz .LBB144_26
.LBB144_20:
	v_add_nc_u32_e32 v1, s2, v0
	v_add_nc_u32_e32 v0, 0x100, v0
	global_store_b32 v1, v5, s[4:5] scale_offset
	s_wait_xcnt 0x0
	s_or_b32 exec_lo, exec_lo, s0
	s_delay_alu instid0(SALU_CYCLE_1)
	s_mov_b32 s0, exec_lo
	v_cmpx_gt_i32_e64 s1, v0
	s_cbranch_execnz .LBB144_27
.LBB144_21:
	s_or_b32 exec_lo, exec_lo, s0
	s_delay_alu instid0(SALU_CYCLE_1)
	s_mov_b32 s0, exec_lo
	v_cmpx_gt_i32_e64 s1, v0
	s_cbranch_execz .LBB144_23
.LBB144_22:
	v_add_nc_u32_e32 v0, s2, v0
	global_store_b32 v0, v6, s[4:5] scale_offset
.LBB144_23:
	s_endpgm
.LBB144_24:
	s_or_b32 exec_lo, exec_lo, s3
	s_and_saveexec_b32 s0, vcc_lo
	s_delay_alu instid0(SALU_CYCLE_1)
	s_xor_b32 s0, exec_lo, s0
	s_cbranch_execz .LBB144_19
.LBB144_25:
	v_mov_b32_e32 v0, v2
	global_store_b32 v1, v15, s[4:5] scale_offset
	s_wait_xcnt 0x0
	s_or_b32 exec_lo, exec_lo, s0
	s_delay_alu instid0(SALU_CYCLE_1)
	s_mov_b32 s0, exec_lo
	v_cmpx_gt_i32_e64 s1, v0
	s_cbranch_execnz .LBB144_20
.LBB144_26:
	s_or_b32 exec_lo, exec_lo, s0
	s_delay_alu instid0(SALU_CYCLE_1)
	s_mov_b32 s0, exec_lo
	v_cmpx_gt_i32_e64 s1, v0
	s_cbranch_execz .LBB144_21
.LBB144_27:
	v_add_nc_u32_e32 v1, s2, v0
	v_add_nc_u32_e32 v0, 0x100, v0
	global_store_b32 v1, v3, s[4:5] scale_offset
	s_wait_xcnt 0x0
	s_or_b32 exec_lo, exec_lo, s0
	s_delay_alu instid0(SALU_CYCLE_1)
	s_mov_b32 s0, exec_lo
	v_cmpx_gt_i32_e64 s1, v0
	s_cbranch_execnz .LBB144_22
	s_branch .LBB144_23
	.section	.rodata,"a",@progbits
	.p2align	6, 0x0
	.amdhsa_kernel _ZN2at6native29vectorized_elementwise_kernelILi16EZZZNS0_12_GLOBAL__N_117clamp_kernel_implERNS_18TensorIteratorBaseEENKUlvE_clEvENKUlvE5_clEvEUlfffE_St5arrayIPcLm4EEEEviT0_T1_
		.amdhsa_group_segment_fixed_size 0
		.amdhsa_private_segment_fixed_size 0
		.amdhsa_kernarg_size 40
		.amdhsa_user_sgpr_count 2
		.amdhsa_user_sgpr_dispatch_ptr 0
		.amdhsa_user_sgpr_queue_ptr 0
		.amdhsa_user_sgpr_kernarg_segment_ptr 1
		.amdhsa_user_sgpr_dispatch_id 0
		.amdhsa_user_sgpr_kernarg_preload_length 0
		.amdhsa_user_sgpr_kernarg_preload_offset 0
		.amdhsa_user_sgpr_private_segment_size 0
		.amdhsa_wavefront_size32 1
		.amdhsa_uses_dynamic_stack 0
		.amdhsa_enable_private_segment 0
		.amdhsa_system_sgpr_workgroup_id_x 1
		.amdhsa_system_sgpr_workgroup_id_y 0
		.amdhsa_system_sgpr_workgroup_id_z 0
		.amdhsa_system_sgpr_workgroup_info 0
		.amdhsa_system_vgpr_workitem_id 0
		.amdhsa_next_free_vgpr 25
		.amdhsa_next_free_sgpr 20
		.amdhsa_named_barrier_count 0
		.amdhsa_reserve_vcc 1
		.amdhsa_float_round_mode_32 0
		.amdhsa_float_round_mode_16_64 0
		.amdhsa_float_denorm_mode_32 3
		.amdhsa_float_denorm_mode_16_64 3
		.amdhsa_fp16_overflow 0
		.amdhsa_memory_ordered 1
		.amdhsa_forward_progress 1
		.amdhsa_inst_pref_size 12
		.amdhsa_round_robin_scheduling 0
		.amdhsa_exception_fp_ieee_invalid_op 0
		.amdhsa_exception_fp_denorm_src 0
		.amdhsa_exception_fp_ieee_div_zero 0
		.amdhsa_exception_fp_ieee_overflow 0
		.amdhsa_exception_fp_ieee_underflow 0
		.amdhsa_exception_fp_ieee_inexact 0
		.amdhsa_exception_int_div_zero 0
	.end_amdhsa_kernel
	.section	.text._ZN2at6native29vectorized_elementwise_kernelILi16EZZZNS0_12_GLOBAL__N_117clamp_kernel_implERNS_18TensorIteratorBaseEENKUlvE_clEvENKUlvE5_clEvEUlfffE_St5arrayIPcLm4EEEEviT0_T1_,"axG",@progbits,_ZN2at6native29vectorized_elementwise_kernelILi16EZZZNS0_12_GLOBAL__N_117clamp_kernel_implERNS_18TensorIteratorBaseEENKUlvE_clEvENKUlvE5_clEvEUlfffE_St5arrayIPcLm4EEEEviT0_T1_,comdat
.Lfunc_end144:
	.size	_ZN2at6native29vectorized_elementwise_kernelILi16EZZZNS0_12_GLOBAL__N_117clamp_kernel_implERNS_18TensorIteratorBaseEENKUlvE_clEvENKUlvE5_clEvEUlfffE_St5arrayIPcLm4EEEEviT0_T1_, .Lfunc_end144-_ZN2at6native29vectorized_elementwise_kernelILi16EZZZNS0_12_GLOBAL__N_117clamp_kernel_implERNS_18TensorIteratorBaseEENKUlvE_clEvENKUlvE5_clEvEUlfffE_St5arrayIPcLm4EEEEviT0_T1_
                                        ; -- End function
	.set _ZN2at6native29vectorized_elementwise_kernelILi16EZZZNS0_12_GLOBAL__N_117clamp_kernel_implERNS_18TensorIteratorBaseEENKUlvE_clEvENKUlvE5_clEvEUlfffE_St5arrayIPcLm4EEEEviT0_T1_.num_vgpr, 25
	.set _ZN2at6native29vectorized_elementwise_kernelILi16EZZZNS0_12_GLOBAL__N_117clamp_kernel_implERNS_18TensorIteratorBaseEENKUlvE_clEvENKUlvE5_clEvEUlfffE_St5arrayIPcLm4EEEEviT0_T1_.num_agpr, 0
	.set _ZN2at6native29vectorized_elementwise_kernelILi16EZZZNS0_12_GLOBAL__N_117clamp_kernel_implERNS_18TensorIteratorBaseEENKUlvE_clEvENKUlvE5_clEvEUlfffE_St5arrayIPcLm4EEEEviT0_T1_.numbered_sgpr, 20
	.set _ZN2at6native29vectorized_elementwise_kernelILi16EZZZNS0_12_GLOBAL__N_117clamp_kernel_implERNS_18TensorIteratorBaseEENKUlvE_clEvENKUlvE5_clEvEUlfffE_St5arrayIPcLm4EEEEviT0_T1_.num_named_barrier, 0
	.set _ZN2at6native29vectorized_elementwise_kernelILi16EZZZNS0_12_GLOBAL__N_117clamp_kernel_implERNS_18TensorIteratorBaseEENKUlvE_clEvENKUlvE5_clEvEUlfffE_St5arrayIPcLm4EEEEviT0_T1_.private_seg_size, 0
	.set _ZN2at6native29vectorized_elementwise_kernelILi16EZZZNS0_12_GLOBAL__N_117clamp_kernel_implERNS_18TensorIteratorBaseEENKUlvE_clEvENKUlvE5_clEvEUlfffE_St5arrayIPcLm4EEEEviT0_T1_.uses_vcc, 1
	.set _ZN2at6native29vectorized_elementwise_kernelILi16EZZZNS0_12_GLOBAL__N_117clamp_kernel_implERNS_18TensorIteratorBaseEENKUlvE_clEvENKUlvE5_clEvEUlfffE_St5arrayIPcLm4EEEEviT0_T1_.uses_flat_scratch, 0
	.set _ZN2at6native29vectorized_elementwise_kernelILi16EZZZNS0_12_GLOBAL__N_117clamp_kernel_implERNS_18TensorIteratorBaseEENKUlvE_clEvENKUlvE5_clEvEUlfffE_St5arrayIPcLm4EEEEviT0_T1_.has_dyn_sized_stack, 0
	.set _ZN2at6native29vectorized_elementwise_kernelILi16EZZZNS0_12_GLOBAL__N_117clamp_kernel_implERNS_18TensorIteratorBaseEENKUlvE_clEvENKUlvE5_clEvEUlfffE_St5arrayIPcLm4EEEEviT0_T1_.has_recursion, 0
	.set _ZN2at6native29vectorized_elementwise_kernelILi16EZZZNS0_12_GLOBAL__N_117clamp_kernel_implERNS_18TensorIteratorBaseEENKUlvE_clEvENKUlvE5_clEvEUlfffE_St5arrayIPcLm4EEEEviT0_T1_.has_indirect_call, 0
	.section	.AMDGPU.csdata,"",@progbits
; Kernel info:
; codeLenInByte = 1488
; TotalNumSgprs: 22
; NumVgprs: 25
; ScratchSize: 0
; MemoryBound: 0
; FloatMode: 240
; IeeeMode: 1
; LDSByteSize: 0 bytes/workgroup (compile time only)
; SGPRBlocks: 0
; VGPRBlocks: 1
; NumSGPRsForWavesPerEU: 22
; NumVGPRsForWavesPerEU: 25
; NamedBarCnt: 0
; Occupancy: 16
; WaveLimiterHint : 0
; COMPUTE_PGM_RSRC2:SCRATCH_EN: 0
; COMPUTE_PGM_RSRC2:USER_SGPR: 2
; COMPUTE_PGM_RSRC2:TRAP_HANDLER: 0
; COMPUTE_PGM_RSRC2:TGID_X_EN: 1
; COMPUTE_PGM_RSRC2:TGID_Y_EN: 0
; COMPUTE_PGM_RSRC2:TGID_Z_EN: 0
; COMPUTE_PGM_RSRC2:TIDIG_COMP_CNT: 0
	.section	.text._ZN2at6native29vectorized_elementwise_kernelILi8EZZZNS0_12_GLOBAL__N_117clamp_kernel_implERNS_18TensorIteratorBaseEENKUlvE_clEvENKUlvE5_clEvEUlfffE_St5arrayIPcLm4EEEEviT0_T1_,"axG",@progbits,_ZN2at6native29vectorized_elementwise_kernelILi8EZZZNS0_12_GLOBAL__N_117clamp_kernel_implERNS_18TensorIteratorBaseEENKUlvE_clEvENKUlvE5_clEvEUlfffE_St5arrayIPcLm4EEEEviT0_T1_,comdat
	.globl	_ZN2at6native29vectorized_elementwise_kernelILi8EZZZNS0_12_GLOBAL__N_117clamp_kernel_implERNS_18TensorIteratorBaseEENKUlvE_clEvENKUlvE5_clEvEUlfffE_St5arrayIPcLm4EEEEviT0_T1_ ; -- Begin function _ZN2at6native29vectorized_elementwise_kernelILi8EZZZNS0_12_GLOBAL__N_117clamp_kernel_implERNS_18TensorIteratorBaseEENKUlvE_clEvENKUlvE5_clEvEUlfffE_St5arrayIPcLm4EEEEviT0_T1_
	.p2align	8
	.type	_ZN2at6native29vectorized_elementwise_kernelILi8EZZZNS0_12_GLOBAL__N_117clamp_kernel_implERNS_18TensorIteratorBaseEENKUlvE_clEvENKUlvE5_clEvEUlfffE_St5arrayIPcLm4EEEEviT0_T1_,@function
_ZN2at6native29vectorized_elementwise_kernelILi8EZZZNS0_12_GLOBAL__N_117clamp_kernel_implERNS_18TensorIteratorBaseEENKUlvE_clEvENKUlvE5_clEvEUlfffE_St5arrayIPcLm4EEEEviT0_T1_: ; @_ZN2at6native29vectorized_elementwise_kernelILi8EZZZNS0_12_GLOBAL__N_117clamp_kernel_implERNS_18TensorIteratorBaseEENKUlvE_clEvENKUlvE5_clEvEUlfffE_St5arrayIPcLm4EEEEviT0_T1_
; %bb.0:
	s_clause 0x1
	s_load_b32 s3, s[0:1], 0x0
	s_load_b256 s[4:11], s[0:1], 0x8
	s_wait_xcnt 0x0
	s_bfe_u32 s0, ttmp6, 0x4000c
	s_and_b32 s1, ttmp6, 15
	s_add_co_i32 s0, s0, 1
	s_getreg_b32 s2, hwreg(HW_REG_IB_STS2, 6, 4)
	s_mul_i32 s0, ttmp9, s0
	s_delay_alu instid0(SALU_CYCLE_1) | instskip(SKIP_2) | instid1(SALU_CYCLE_1)
	s_add_co_i32 s1, s1, s0
	s_cmp_eq_u32 s2, 0
	s_cselect_b32 s0, ttmp9, s1
	s_lshl_b32 s2, s0, 10
	s_mov_b32 s0, -1
	s_wait_kmcnt 0x0
	s_sub_co_i32 s1, s3, s2
	s_delay_alu instid0(SALU_CYCLE_1)
	s_cmp_gt_i32 s1, 0x3ff
	s_cbranch_scc0 .LBB145_2
; %bb.1:
	s_ashr_i32 s3, s2, 31
	s_mov_b32 s0, 0
	s_lshl_b64 s[12:13], s[2:3], 2
	s_delay_alu instid0(SALU_CYCLE_1)
	s_add_nc_u64 s[16:17], s[8:9], s[12:13]
	s_add_nc_u64 s[14:15], s[6:7], s[12:13]
	;; [unrolled: 1-line block ×3, first 2 shown]
	s_clause 0x2
	global_load_b128 v[2:5], v0, s[16:17] scale_offset
	global_load_b128 v[6:9], v0, s[14:15] scale_offset
	;; [unrolled: 1-line block ×3, first 2 shown]
	s_add_nc_u64 s[12:13], s[4:5], s[12:13]
	s_wait_loadcnt 0x2
	v_dual_max_num_f32 v1, v2, v2 :: v_dual_max_num_f32 v16, v3, v3
	s_wait_loadcnt 0x1
	v_dual_max_num_f32 v14, v6, v6 :: v_dual_max_num_f32 v17, v7, v7
	;; [unrolled: 2-line block ×3, first 2 shown]
	v_cmp_u_f32_e32 vcc_lo, v11, v11
	v_dual_max_num_f32 v19, v4, v4 :: v_dual_max_num_f32 v22, v5, v5
	v_dual_max_num_f32 v20, v8, v8 :: v_dual_max_num_f32 v23, v9, v9
	s_delay_alu instid0(VALU_DEP_4) | instskip(SKIP_2) | instid1(VALU_DEP_3)
	v_maxmin_num_f32 v16, v17, v16, v18
	v_dual_max_num_f32 v21, v12, v12 :: v_dual_max_num_f32 v24, v13, v13
	v_maxmin_num_f32 v1, v14, v1, v15
	v_cndmask_b32_e32 v11, v16, v11, vcc_lo
	v_cmp_u_f32_e32 vcc_lo, v10, v10
	s_delay_alu instid0(VALU_DEP_4) | instskip(SKIP_3) | instid1(VALU_DEP_4)
	v_maxmin_num_f32 v15, v23, v22, v24
	v_maxmin_num_f32 v14, v20, v19, v21
	v_cndmask_b32_e32 v1, v1, v10, vcc_lo
	v_cmp_u_f32_e32 vcc_lo, v13, v13
	v_cndmask_b32_e32 v10, v15, v13, vcc_lo
	v_cmp_u_f32_e32 vcc_lo, v12, v12
	;; [unrolled: 2-line block ×10, first 2 shown]
	v_cndmask_b32_e32 v4, v4, v8, vcc_lo
	global_store_b128 v0, v[2:5], s[12:13] scale_offset
.LBB145_2:
	s_and_not1_b32 vcc_lo, exec_lo, s0
	s_cbranch_vccnz .LBB145_23
; %bb.3:
	v_cmp_gt_i32_e32 vcc_lo, s1, v0
	s_wait_xcnt 0x0
	v_dual_mov_b32 v3, 0 :: v_dual_bitop2_b32 v1, s2, v0 bitop3:0x54
	v_or_b32_e32 v2, 0x100, v0
	v_dual_mov_b32 v5, 0 :: v_dual_mov_b32 v6, 0
	v_dual_mov_b32 v7, 0 :: v_dual_mov_b32 v15, v0
	s_and_saveexec_b32 s0, vcc_lo
	s_cbranch_execz .LBB145_5
; %bb.4:
	s_clause 0x2
	global_load_b32 v5, v1, s[6:7] scale_offset
	global_load_b32 v6, v1, s[8:9] scale_offset
	;; [unrolled: 1-line block ×3, first 2 shown]
	v_or_b32_e32 v15, 0x100, v0
.LBB145_5:
	s_wait_xcnt 0x0
	s_or_b32 exec_lo, exec_lo, s0
	v_dual_mov_b32 v8, 0 :: v_dual_mov_b32 v10, 0
	s_mov_b32 s3, exec_lo
	v_cmpx_gt_i32_e64 s1, v15
	s_cbranch_execz .LBB145_7
; %bb.6:
	v_add_nc_u32_e32 v4, s2, v15
	v_add_nc_u32_e32 v15, 0x100, v15
	s_clause 0x2
	global_load_b32 v3, v4, s[6:7] scale_offset
	global_load_b32 v8, v4, s[8:9] scale_offset
	;; [unrolled: 1-line block ×3, first 2 shown]
.LBB145_7:
	s_wait_xcnt 0x0
	s_or_b32 exec_lo, exec_lo, s3
	v_dual_mov_b32 v4, 0 :: v_dual_mov_b32 v9, 0
	v_dual_mov_b32 v11, 0 :: v_dual_mov_b32 v12, 0
	s_mov_b32 s3, exec_lo
	v_cmpx_gt_i32_e64 s1, v15
	s_cbranch_execz .LBB145_9
; %bb.8:
	v_add_nc_u32_e32 v13, s2, v15
	v_add_nc_u32_e32 v15, 0x100, v15
	s_clause 0x2
	global_load_b32 v9, v13, s[6:7] scale_offset
	global_load_b32 v11, v13, s[8:9] scale_offset
	;; [unrolled: 1-line block ×3, first 2 shown]
.LBB145_9:
	s_wait_xcnt 0x0
	s_or_b32 exec_lo, exec_lo, s3
	v_dual_mov_b32 v13, 0 :: v_dual_mov_b32 v14, 0
	s_mov_b32 s3, exec_lo
	v_cmpx_gt_i32_e64 s1, v15
	s_cbranch_execz .LBB145_11
; %bb.10:
	v_add_nc_u32_e32 v15, s2, v15
	s_clause 0x2
	global_load_b32 v4, v15, s[6:7] scale_offset
	global_load_b32 v13, v15, s[8:9] scale_offset
	;; [unrolled: 1-line block ×3, first 2 shown]
	s_wait_xcnt 0x0
	s_or_b32 exec_lo, exec_lo, s3
                                        ; implicit-def: $vgpr15
	s_and_saveexec_b32 s3, vcc_lo
	s_cbranch_execz .LBB145_13
	s_branch .LBB145_12
.LBB145_11:
	s_or_b32 exec_lo, exec_lo, s3
                                        ; implicit-def: $vgpr15
	s_and_saveexec_b32 s3, vcc_lo
	s_cbranch_execz .LBB145_13
.LBB145_12:
	s_wait_loadcnt 0x1
	v_dual_max_num_f32 v15, v6, v6 :: v_dual_max_num_f32 v16, v5, v5
	s_wait_loadcnt 0x0
	v_max_num_f32_e32 v17, v7, v7
	v_cmp_u_f32_e64 s0, v7, v7
	s_delay_alu instid0(VALU_DEP_2) | instskip(NEXT) | instid1(VALU_DEP_1)
	v_maxmin_num_f32 v15, v16, v15, v17
	v_cndmask_b32_e64 v7, v15, v7, s0
	v_cmp_u_f32_e64 s0, v6, v6
	s_delay_alu instid0(VALU_DEP_1) | instskip(SKIP_1) | instid1(VALU_DEP_1)
	v_cndmask_b32_e64 v6, v7, v6, s0
	v_cmp_u_f32_e64 s0, v5, v5
	v_cndmask_b32_e64 v15, v6, v5, s0
.LBB145_13:
	s_or_b32 exec_lo, exec_lo, s3
	s_delay_alu instid0(SALU_CYCLE_1)
	s_mov_b32 s3, exec_lo
                                        ; implicit-def: $vgpr5
	v_cmpx_gt_i32_e64 s1, v2
	s_cbranch_execz .LBB145_15
; %bb.14:
	s_wait_loadcnt 0x1
	v_dual_max_num_f32 v5, v8, v8 :: v_dual_max_num_f32 v6, v3, v3
	s_wait_loadcnt 0x0
	v_cmp_u_f32_e64 s0, v10, v10
	v_max_num_f32_e32 v7, v10, v10
	s_delay_alu instid0(VALU_DEP_1) | instskip(NEXT) | instid1(VALU_DEP_1)
	v_maxmin_num_f32 v5, v6, v5, v7
	v_cndmask_b32_e64 v5, v5, v10, s0
	v_cmp_u_f32_e64 s0, v8, v8
	s_delay_alu instid0(VALU_DEP_1) | instskip(SKIP_1) | instid1(VALU_DEP_1)
	v_cndmask_b32_e64 v5, v5, v8, s0
	v_cmp_u_f32_e64 s0, v3, v3
	v_cndmask_b32_e64 v5, v5, v3, s0
.LBB145_15:
	s_or_b32 exec_lo, exec_lo, s3
	s_wait_loadcnt 0x2
	v_or_b32_e32 v3, 0x200, v0
	s_delay_alu instid0(VALU_DEP_1)
	v_cmp_gt_i32_e64 s0, s1, v3
                                        ; implicit-def: $vgpr3
	s_and_saveexec_b32 s3, s0
	s_cbranch_execz .LBB145_17
; %bb.16:
	s_wait_loadcnt 0x1
	v_dual_max_num_f32 v3, v11, v11 :: v_dual_max_num_f32 v6, v9, v9
	s_wait_loadcnt 0x0
	v_cmp_u_f32_e64 s0, v12, v12
	v_max_num_f32_e32 v7, v12, v12
	s_delay_alu instid0(VALU_DEP_1) | instskip(NEXT) | instid1(VALU_DEP_1)
	v_maxmin_num_f32 v3, v6, v3, v7
	v_cndmask_b32_e64 v3, v3, v12, s0
	v_cmp_u_f32_e64 s0, v11, v11
	s_delay_alu instid0(VALU_DEP_1) | instskip(SKIP_1) | instid1(VALU_DEP_1)
	v_cndmask_b32_e64 v3, v3, v11, s0
	v_cmp_u_f32_e64 s0, v9, v9
	v_cndmask_b32_e64 v3, v3, v9, s0
.LBB145_17:
	s_or_b32 exec_lo, exec_lo, s3
	s_wait_loadcnt 0x1
	v_or_b32_e32 v6, 0x300, v0
	s_delay_alu instid0(VALU_DEP_1)
	v_cmp_gt_i32_e64 s0, s1, v6
                                        ; implicit-def: $vgpr6
	s_and_saveexec_b32 s3, s0
	s_cbranch_execz .LBB145_24
; %bb.18:
	s_wait_loadcnt 0x0
	v_dual_max_num_f32 v6, v13, v13 :: v_dual_max_num_f32 v7, v4, v4
	v_max_num_f32_e32 v8, v14, v14
	v_cmp_u_f32_e64 s0, v14, v14
	s_delay_alu instid0(VALU_DEP_2) | instskip(NEXT) | instid1(VALU_DEP_1)
	v_maxmin_num_f32 v6, v7, v6, v8
	v_cndmask_b32_e64 v6, v6, v14, s0
	v_cmp_u_f32_e64 s0, v13, v13
	s_delay_alu instid0(VALU_DEP_1) | instskip(SKIP_1) | instid1(VALU_DEP_1)
	v_cndmask_b32_e64 v6, v6, v13, s0
	v_cmp_u_f32_e64 s0, v4, v4
	v_cndmask_b32_e64 v6, v6, v4, s0
	s_or_b32 exec_lo, exec_lo, s3
	s_and_saveexec_b32 s0, vcc_lo
	s_delay_alu instid0(SALU_CYCLE_1)
	s_xor_b32 s0, exec_lo, s0
	s_cbranch_execnz .LBB145_25
.LBB145_19:
	s_or_b32 exec_lo, exec_lo, s0
	s_delay_alu instid0(SALU_CYCLE_1)
	s_mov_b32 s0, exec_lo
	v_cmpx_gt_i32_e64 s1, v0
	s_cbranch_execz .LBB145_26
.LBB145_20:
	v_add_nc_u32_e32 v1, s2, v0
	v_add_nc_u32_e32 v0, 0x100, v0
	global_store_b32 v1, v5, s[4:5] scale_offset
	s_wait_xcnt 0x0
	s_or_b32 exec_lo, exec_lo, s0
	s_delay_alu instid0(SALU_CYCLE_1)
	s_mov_b32 s0, exec_lo
	v_cmpx_gt_i32_e64 s1, v0
	s_cbranch_execnz .LBB145_27
.LBB145_21:
	s_or_b32 exec_lo, exec_lo, s0
	s_delay_alu instid0(SALU_CYCLE_1)
	s_mov_b32 s0, exec_lo
	v_cmpx_gt_i32_e64 s1, v0
	s_cbranch_execz .LBB145_23
.LBB145_22:
	v_add_nc_u32_e32 v0, s2, v0
	global_store_b32 v0, v6, s[4:5] scale_offset
.LBB145_23:
	s_endpgm
.LBB145_24:
	s_or_b32 exec_lo, exec_lo, s3
	s_and_saveexec_b32 s0, vcc_lo
	s_delay_alu instid0(SALU_CYCLE_1)
	s_xor_b32 s0, exec_lo, s0
	s_cbranch_execz .LBB145_19
.LBB145_25:
	v_mov_b32_e32 v0, v2
	global_store_b32 v1, v15, s[4:5] scale_offset
	s_wait_xcnt 0x0
	s_or_b32 exec_lo, exec_lo, s0
	s_delay_alu instid0(SALU_CYCLE_1)
	s_mov_b32 s0, exec_lo
	v_cmpx_gt_i32_e64 s1, v0
	s_cbranch_execnz .LBB145_20
.LBB145_26:
	s_or_b32 exec_lo, exec_lo, s0
	s_delay_alu instid0(SALU_CYCLE_1)
	s_mov_b32 s0, exec_lo
	v_cmpx_gt_i32_e64 s1, v0
	s_cbranch_execz .LBB145_21
.LBB145_27:
	v_add_nc_u32_e32 v1, s2, v0
	v_add_nc_u32_e32 v0, 0x100, v0
	global_store_b32 v1, v3, s[4:5] scale_offset
	s_wait_xcnt 0x0
	s_or_b32 exec_lo, exec_lo, s0
	s_delay_alu instid0(SALU_CYCLE_1)
	s_mov_b32 s0, exec_lo
	v_cmpx_gt_i32_e64 s1, v0
	s_cbranch_execnz .LBB145_22
	s_branch .LBB145_23
	.section	.rodata,"a",@progbits
	.p2align	6, 0x0
	.amdhsa_kernel _ZN2at6native29vectorized_elementwise_kernelILi8EZZZNS0_12_GLOBAL__N_117clamp_kernel_implERNS_18TensorIteratorBaseEENKUlvE_clEvENKUlvE5_clEvEUlfffE_St5arrayIPcLm4EEEEviT0_T1_
		.amdhsa_group_segment_fixed_size 0
		.amdhsa_private_segment_fixed_size 0
		.amdhsa_kernarg_size 40
		.amdhsa_user_sgpr_count 2
		.amdhsa_user_sgpr_dispatch_ptr 0
		.amdhsa_user_sgpr_queue_ptr 0
		.amdhsa_user_sgpr_kernarg_segment_ptr 1
		.amdhsa_user_sgpr_dispatch_id 0
		.amdhsa_user_sgpr_kernarg_preload_length 0
		.amdhsa_user_sgpr_kernarg_preload_offset 0
		.amdhsa_user_sgpr_private_segment_size 0
		.amdhsa_wavefront_size32 1
		.amdhsa_uses_dynamic_stack 0
		.amdhsa_enable_private_segment 0
		.amdhsa_system_sgpr_workgroup_id_x 1
		.amdhsa_system_sgpr_workgroup_id_y 0
		.amdhsa_system_sgpr_workgroup_id_z 0
		.amdhsa_system_sgpr_workgroup_info 0
		.amdhsa_system_vgpr_workitem_id 0
		.amdhsa_next_free_vgpr 25
		.amdhsa_next_free_sgpr 20
		.amdhsa_named_barrier_count 0
		.amdhsa_reserve_vcc 1
		.amdhsa_float_round_mode_32 0
		.amdhsa_float_round_mode_16_64 0
		.amdhsa_float_denorm_mode_32 3
		.amdhsa_float_denorm_mode_16_64 3
		.amdhsa_fp16_overflow 0
		.amdhsa_memory_ordered 1
		.amdhsa_forward_progress 1
		.amdhsa_inst_pref_size 12
		.amdhsa_round_robin_scheduling 0
		.amdhsa_exception_fp_ieee_invalid_op 0
		.amdhsa_exception_fp_denorm_src 0
		.amdhsa_exception_fp_ieee_div_zero 0
		.amdhsa_exception_fp_ieee_overflow 0
		.amdhsa_exception_fp_ieee_underflow 0
		.amdhsa_exception_fp_ieee_inexact 0
		.amdhsa_exception_int_div_zero 0
	.end_amdhsa_kernel
	.section	.text._ZN2at6native29vectorized_elementwise_kernelILi8EZZZNS0_12_GLOBAL__N_117clamp_kernel_implERNS_18TensorIteratorBaseEENKUlvE_clEvENKUlvE5_clEvEUlfffE_St5arrayIPcLm4EEEEviT0_T1_,"axG",@progbits,_ZN2at6native29vectorized_elementwise_kernelILi8EZZZNS0_12_GLOBAL__N_117clamp_kernel_implERNS_18TensorIteratorBaseEENKUlvE_clEvENKUlvE5_clEvEUlfffE_St5arrayIPcLm4EEEEviT0_T1_,comdat
.Lfunc_end145:
	.size	_ZN2at6native29vectorized_elementwise_kernelILi8EZZZNS0_12_GLOBAL__N_117clamp_kernel_implERNS_18TensorIteratorBaseEENKUlvE_clEvENKUlvE5_clEvEUlfffE_St5arrayIPcLm4EEEEviT0_T1_, .Lfunc_end145-_ZN2at6native29vectorized_elementwise_kernelILi8EZZZNS0_12_GLOBAL__N_117clamp_kernel_implERNS_18TensorIteratorBaseEENKUlvE_clEvENKUlvE5_clEvEUlfffE_St5arrayIPcLm4EEEEviT0_T1_
                                        ; -- End function
	.set _ZN2at6native29vectorized_elementwise_kernelILi8EZZZNS0_12_GLOBAL__N_117clamp_kernel_implERNS_18TensorIteratorBaseEENKUlvE_clEvENKUlvE5_clEvEUlfffE_St5arrayIPcLm4EEEEviT0_T1_.num_vgpr, 25
	.set _ZN2at6native29vectorized_elementwise_kernelILi8EZZZNS0_12_GLOBAL__N_117clamp_kernel_implERNS_18TensorIteratorBaseEENKUlvE_clEvENKUlvE5_clEvEUlfffE_St5arrayIPcLm4EEEEviT0_T1_.num_agpr, 0
	.set _ZN2at6native29vectorized_elementwise_kernelILi8EZZZNS0_12_GLOBAL__N_117clamp_kernel_implERNS_18TensorIteratorBaseEENKUlvE_clEvENKUlvE5_clEvEUlfffE_St5arrayIPcLm4EEEEviT0_T1_.numbered_sgpr, 20
	.set _ZN2at6native29vectorized_elementwise_kernelILi8EZZZNS0_12_GLOBAL__N_117clamp_kernel_implERNS_18TensorIteratorBaseEENKUlvE_clEvENKUlvE5_clEvEUlfffE_St5arrayIPcLm4EEEEviT0_T1_.num_named_barrier, 0
	.set _ZN2at6native29vectorized_elementwise_kernelILi8EZZZNS0_12_GLOBAL__N_117clamp_kernel_implERNS_18TensorIteratorBaseEENKUlvE_clEvENKUlvE5_clEvEUlfffE_St5arrayIPcLm4EEEEviT0_T1_.private_seg_size, 0
	.set _ZN2at6native29vectorized_elementwise_kernelILi8EZZZNS0_12_GLOBAL__N_117clamp_kernel_implERNS_18TensorIteratorBaseEENKUlvE_clEvENKUlvE5_clEvEUlfffE_St5arrayIPcLm4EEEEviT0_T1_.uses_vcc, 1
	.set _ZN2at6native29vectorized_elementwise_kernelILi8EZZZNS0_12_GLOBAL__N_117clamp_kernel_implERNS_18TensorIteratorBaseEENKUlvE_clEvENKUlvE5_clEvEUlfffE_St5arrayIPcLm4EEEEviT0_T1_.uses_flat_scratch, 0
	.set _ZN2at6native29vectorized_elementwise_kernelILi8EZZZNS0_12_GLOBAL__N_117clamp_kernel_implERNS_18TensorIteratorBaseEENKUlvE_clEvENKUlvE5_clEvEUlfffE_St5arrayIPcLm4EEEEviT0_T1_.has_dyn_sized_stack, 0
	.set _ZN2at6native29vectorized_elementwise_kernelILi8EZZZNS0_12_GLOBAL__N_117clamp_kernel_implERNS_18TensorIteratorBaseEENKUlvE_clEvENKUlvE5_clEvEUlfffE_St5arrayIPcLm4EEEEviT0_T1_.has_recursion, 0
	.set _ZN2at6native29vectorized_elementwise_kernelILi8EZZZNS0_12_GLOBAL__N_117clamp_kernel_implERNS_18TensorIteratorBaseEENKUlvE_clEvENKUlvE5_clEvEUlfffE_St5arrayIPcLm4EEEEviT0_T1_.has_indirect_call, 0
	.section	.AMDGPU.csdata,"",@progbits
; Kernel info:
; codeLenInByte = 1488
; TotalNumSgprs: 22
; NumVgprs: 25
; ScratchSize: 0
; MemoryBound: 0
; FloatMode: 240
; IeeeMode: 1
; LDSByteSize: 0 bytes/workgroup (compile time only)
; SGPRBlocks: 0
; VGPRBlocks: 1
; NumSGPRsForWavesPerEU: 22
; NumVGPRsForWavesPerEU: 25
; NamedBarCnt: 0
; Occupancy: 16
; WaveLimiterHint : 0
; COMPUTE_PGM_RSRC2:SCRATCH_EN: 0
; COMPUTE_PGM_RSRC2:USER_SGPR: 2
; COMPUTE_PGM_RSRC2:TRAP_HANDLER: 0
; COMPUTE_PGM_RSRC2:TGID_X_EN: 1
; COMPUTE_PGM_RSRC2:TGID_Y_EN: 0
; COMPUTE_PGM_RSRC2:TGID_Z_EN: 0
; COMPUTE_PGM_RSRC2:TIDIG_COMP_CNT: 0
	.section	.text._ZN2at6native29vectorized_elementwise_kernelILi4EZZZNS0_12_GLOBAL__N_117clamp_kernel_implERNS_18TensorIteratorBaseEENKUlvE_clEvENKUlvE5_clEvEUlfffE_St5arrayIPcLm4EEEEviT0_T1_,"axG",@progbits,_ZN2at6native29vectorized_elementwise_kernelILi4EZZZNS0_12_GLOBAL__N_117clamp_kernel_implERNS_18TensorIteratorBaseEENKUlvE_clEvENKUlvE5_clEvEUlfffE_St5arrayIPcLm4EEEEviT0_T1_,comdat
	.globl	_ZN2at6native29vectorized_elementwise_kernelILi4EZZZNS0_12_GLOBAL__N_117clamp_kernel_implERNS_18TensorIteratorBaseEENKUlvE_clEvENKUlvE5_clEvEUlfffE_St5arrayIPcLm4EEEEviT0_T1_ ; -- Begin function _ZN2at6native29vectorized_elementwise_kernelILi4EZZZNS0_12_GLOBAL__N_117clamp_kernel_implERNS_18TensorIteratorBaseEENKUlvE_clEvENKUlvE5_clEvEUlfffE_St5arrayIPcLm4EEEEviT0_T1_
	.p2align	8
	.type	_ZN2at6native29vectorized_elementwise_kernelILi4EZZZNS0_12_GLOBAL__N_117clamp_kernel_implERNS_18TensorIteratorBaseEENKUlvE_clEvENKUlvE5_clEvEUlfffE_St5arrayIPcLm4EEEEviT0_T1_,@function
_ZN2at6native29vectorized_elementwise_kernelILi4EZZZNS0_12_GLOBAL__N_117clamp_kernel_implERNS_18TensorIteratorBaseEENKUlvE_clEvENKUlvE5_clEvEUlfffE_St5arrayIPcLm4EEEEviT0_T1_: ; @_ZN2at6native29vectorized_elementwise_kernelILi4EZZZNS0_12_GLOBAL__N_117clamp_kernel_implERNS_18TensorIteratorBaseEENKUlvE_clEvENKUlvE5_clEvEUlfffE_St5arrayIPcLm4EEEEviT0_T1_
; %bb.0:
	s_clause 0x1
	s_load_b32 s3, s[0:1], 0x0
	s_load_b256 s[4:11], s[0:1], 0x8
	s_wait_xcnt 0x0
	s_bfe_u32 s0, ttmp6, 0x4000c
	s_and_b32 s1, ttmp6, 15
	s_add_co_i32 s0, s0, 1
	s_getreg_b32 s2, hwreg(HW_REG_IB_STS2, 6, 4)
	s_mul_i32 s0, ttmp9, s0
	s_delay_alu instid0(SALU_CYCLE_1) | instskip(SKIP_2) | instid1(SALU_CYCLE_1)
	s_add_co_i32 s1, s1, s0
	s_cmp_eq_u32 s2, 0
	s_cselect_b32 s0, ttmp9, s1
	s_lshl_b32 s2, s0, 10
	s_mov_b32 s0, -1
	s_wait_kmcnt 0x0
	s_sub_co_i32 s1, s3, s2
	s_delay_alu instid0(SALU_CYCLE_1)
	s_cmp_gt_i32 s1, 0x3ff
	s_cbranch_scc0 .LBB146_2
; %bb.1:
	s_ashr_i32 s3, s2, 31
	s_mov_b32 s0, 0
	s_lshl_b64 s[12:13], s[2:3], 2
	s_delay_alu instid0(SALU_CYCLE_1)
	s_add_nc_u64 s[16:17], s[8:9], s[12:13]
	s_add_nc_u64 s[14:15], s[6:7], s[12:13]
	;; [unrolled: 1-line block ×3, first 2 shown]
	s_clause 0x2
	global_load_b128 v[2:5], v0, s[16:17] scale_offset
	global_load_b128 v[6:9], v0, s[14:15] scale_offset
	;; [unrolled: 1-line block ×3, first 2 shown]
	s_add_nc_u64 s[12:13], s[4:5], s[12:13]
	s_wait_loadcnt 0x2
	v_dual_max_num_f32 v1, v2, v2 :: v_dual_max_num_f32 v16, v3, v3
	s_wait_loadcnt 0x1
	v_dual_max_num_f32 v14, v6, v6 :: v_dual_max_num_f32 v17, v7, v7
	;; [unrolled: 2-line block ×3, first 2 shown]
	v_cmp_u_f32_e32 vcc_lo, v11, v11
	v_dual_max_num_f32 v19, v4, v4 :: v_dual_max_num_f32 v22, v5, v5
	v_dual_max_num_f32 v20, v8, v8 :: v_dual_max_num_f32 v23, v9, v9
	s_delay_alu instid0(VALU_DEP_4) | instskip(SKIP_2) | instid1(VALU_DEP_3)
	v_maxmin_num_f32 v16, v17, v16, v18
	v_dual_max_num_f32 v21, v12, v12 :: v_dual_max_num_f32 v24, v13, v13
	v_maxmin_num_f32 v1, v14, v1, v15
	v_cndmask_b32_e32 v11, v16, v11, vcc_lo
	v_cmp_u_f32_e32 vcc_lo, v10, v10
	s_delay_alu instid0(VALU_DEP_4) | instskip(SKIP_3) | instid1(VALU_DEP_4)
	v_maxmin_num_f32 v15, v23, v22, v24
	v_maxmin_num_f32 v14, v20, v19, v21
	v_cndmask_b32_e32 v1, v1, v10, vcc_lo
	v_cmp_u_f32_e32 vcc_lo, v13, v13
	v_cndmask_b32_e32 v10, v15, v13, vcc_lo
	v_cmp_u_f32_e32 vcc_lo, v12, v12
	;; [unrolled: 2-line block ×10, first 2 shown]
	v_cndmask_b32_e32 v4, v4, v8, vcc_lo
	global_store_b128 v0, v[2:5], s[12:13] scale_offset
.LBB146_2:
	s_and_not1_b32 vcc_lo, exec_lo, s0
	s_cbranch_vccnz .LBB146_23
; %bb.3:
	v_cmp_gt_i32_e32 vcc_lo, s1, v0
	s_wait_xcnt 0x0
	v_dual_mov_b32 v3, 0 :: v_dual_bitop2_b32 v1, s2, v0 bitop3:0x54
	v_or_b32_e32 v2, 0x100, v0
	v_dual_mov_b32 v5, 0 :: v_dual_mov_b32 v6, 0
	v_dual_mov_b32 v7, 0 :: v_dual_mov_b32 v15, v0
	s_and_saveexec_b32 s0, vcc_lo
	s_cbranch_execz .LBB146_5
; %bb.4:
	s_clause 0x2
	global_load_b32 v5, v1, s[6:7] scale_offset
	global_load_b32 v6, v1, s[8:9] scale_offset
	;; [unrolled: 1-line block ×3, first 2 shown]
	v_or_b32_e32 v15, 0x100, v0
.LBB146_5:
	s_wait_xcnt 0x0
	s_or_b32 exec_lo, exec_lo, s0
	v_dual_mov_b32 v8, 0 :: v_dual_mov_b32 v10, 0
	s_mov_b32 s3, exec_lo
	v_cmpx_gt_i32_e64 s1, v15
	s_cbranch_execz .LBB146_7
; %bb.6:
	v_add_nc_u32_e32 v4, s2, v15
	v_add_nc_u32_e32 v15, 0x100, v15
	s_clause 0x2
	global_load_b32 v3, v4, s[6:7] scale_offset
	global_load_b32 v8, v4, s[8:9] scale_offset
	;; [unrolled: 1-line block ×3, first 2 shown]
.LBB146_7:
	s_wait_xcnt 0x0
	s_or_b32 exec_lo, exec_lo, s3
	v_dual_mov_b32 v4, 0 :: v_dual_mov_b32 v9, 0
	v_dual_mov_b32 v11, 0 :: v_dual_mov_b32 v12, 0
	s_mov_b32 s3, exec_lo
	v_cmpx_gt_i32_e64 s1, v15
	s_cbranch_execz .LBB146_9
; %bb.8:
	v_add_nc_u32_e32 v13, s2, v15
	v_add_nc_u32_e32 v15, 0x100, v15
	s_clause 0x2
	global_load_b32 v9, v13, s[6:7] scale_offset
	global_load_b32 v11, v13, s[8:9] scale_offset
	;; [unrolled: 1-line block ×3, first 2 shown]
.LBB146_9:
	s_wait_xcnt 0x0
	s_or_b32 exec_lo, exec_lo, s3
	v_dual_mov_b32 v13, 0 :: v_dual_mov_b32 v14, 0
	s_mov_b32 s3, exec_lo
	v_cmpx_gt_i32_e64 s1, v15
	s_cbranch_execz .LBB146_11
; %bb.10:
	v_add_nc_u32_e32 v15, s2, v15
	s_clause 0x2
	global_load_b32 v4, v15, s[6:7] scale_offset
	global_load_b32 v13, v15, s[8:9] scale_offset
	;; [unrolled: 1-line block ×3, first 2 shown]
	s_wait_xcnt 0x0
	s_or_b32 exec_lo, exec_lo, s3
                                        ; implicit-def: $vgpr15
	s_and_saveexec_b32 s3, vcc_lo
	s_cbranch_execz .LBB146_13
	s_branch .LBB146_12
.LBB146_11:
	s_or_b32 exec_lo, exec_lo, s3
                                        ; implicit-def: $vgpr15
	s_and_saveexec_b32 s3, vcc_lo
	s_cbranch_execz .LBB146_13
.LBB146_12:
	s_wait_loadcnt 0x1
	v_dual_max_num_f32 v15, v6, v6 :: v_dual_max_num_f32 v16, v5, v5
	s_wait_loadcnt 0x0
	v_max_num_f32_e32 v17, v7, v7
	v_cmp_u_f32_e64 s0, v7, v7
	s_delay_alu instid0(VALU_DEP_2) | instskip(NEXT) | instid1(VALU_DEP_1)
	v_maxmin_num_f32 v15, v16, v15, v17
	v_cndmask_b32_e64 v7, v15, v7, s0
	v_cmp_u_f32_e64 s0, v6, v6
	s_delay_alu instid0(VALU_DEP_1) | instskip(SKIP_1) | instid1(VALU_DEP_1)
	v_cndmask_b32_e64 v6, v7, v6, s0
	v_cmp_u_f32_e64 s0, v5, v5
	v_cndmask_b32_e64 v15, v6, v5, s0
.LBB146_13:
	s_or_b32 exec_lo, exec_lo, s3
	s_delay_alu instid0(SALU_CYCLE_1)
	s_mov_b32 s3, exec_lo
                                        ; implicit-def: $vgpr5
	v_cmpx_gt_i32_e64 s1, v2
	s_cbranch_execz .LBB146_15
; %bb.14:
	s_wait_loadcnt 0x1
	v_dual_max_num_f32 v5, v8, v8 :: v_dual_max_num_f32 v6, v3, v3
	s_wait_loadcnt 0x0
	v_cmp_u_f32_e64 s0, v10, v10
	v_max_num_f32_e32 v7, v10, v10
	s_delay_alu instid0(VALU_DEP_1) | instskip(NEXT) | instid1(VALU_DEP_1)
	v_maxmin_num_f32 v5, v6, v5, v7
	v_cndmask_b32_e64 v5, v5, v10, s0
	v_cmp_u_f32_e64 s0, v8, v8
	s_delay_alu instid0(VALU_DEP_1) | instskip(SKIP_1) | instid1(VALU_DEP_1)
	v_cndmask_b32_e64 v5, v5, v8, s0
	v_cmp_u_f32_e64 s0, v3, v3
	v_cndmask_b32_e64 v5, v5, v3, s0
.LBB146_15:
	s_or_b32 exec_lo, exec_lo, s3
	s_wait_loadcnt 0x2
	v_or_b32_e32 v3, 0x200, v0
	s_delay_alu instid0(VALU_DEP_1)
	v_cmp_gt_i32_e64 s0, s1, v3
                                        ; implicit-def: $vgpr3
	s_and_saveexec_b32 s3, s0
	s_cbranch_execz .LBB146_17
; %bb.16:
	s_wait_loadcnt 0x1
	v_dual_max_num_f32 v3, v11, v11 :: v_dual_max_num_f32 v6, v9, v9
	s_wait_loadcnt 0x0
	v_cmp_u_f32_e64 s0, v12, v12
	v_max_num_f32_e32 v7, v12, v12
	s_delay_alu instid0(VALU_DEP_1) | instskip(NEXT) | instid1(VALU_DEP_1)
	v_maxmin_num_f32 v3, v6, v3, v7
	v_cndmask_b32_e64 v3, v3, v12, s0
	v_cmp_u_f32_e64 s0, v11, v11
	s_delay_alu instid0(VALU_DEP_1) | instskip(SKIP_1) | instid1(VALU_DEP_1)
	v_cndmask_b32_e64 v3, v3, v11, s0
	v_cmp_u_f32_e64 s0, v9, v9
	v_cndmask_b32_e64 v3, v3, v9, s0
.LBB146_17:
	s_or_b32 exec_lo, exec_lo, s3
	s_wait_loadcnt 0x1
	v_or_b32_e32 v6, 0x300, v0
	s_delay_alu instid0(VALU_DEP_1)
	v_cmp_gt_i32_e64 s0, s1, v6
                                        ; implicit-def: $vgpr6
	s_and_saveexec_b32 s3, s0
	s_cbranch_execz .LBB146_24
; %bb.18:
	s_wait_loadcnt 0x0
	v_dual_max_num_f32 v6, v13, v13 :: v_dual_max_num_f32 v7, v4, v4
	v_max_num_f32_e32 v8, v14, v14
	v_cmp_u_f32_e64 s0, v14, v14
	s_delay_alu instid0(VALU_DEP_2) | instskip(NEXT) | instid1(VALU_DEP_1)
	v_maxmin_num_f32 v6, v7, v6, v8
	v_cndmask_b32_e64 v6, v6, v14, s0
	v_cmp_u_f32_e64 s0, v13, v13
	s_delay_alu instid0(VALU_DEP_1) | instskip(SKIP_1) | instid1(VALU_DEP_1)
	v_cndmask_b32_e64 v6, v6, v13, s0
	v_cmp_u_f32_e64 s0, v4, v4
	v_cndmask_b32_e64 v6, v6, v4, s0
	s_or_b32 exec_lo, exec_lo, s3
	s_and_saveexec_b32 s0, vcc_lo
	s_delay_alu instid0(SALU_CYCLE_1)
	s_xor_b32 s0, exec_lo, s0
	s_cbranch_execnz .LBB146_25
.LBB146_19:
	s_or_b32 exec_lo, exec_lo, s0
	s_delay_alu instid0(SALU_CYCLE_1)
	s_mov_b32 s0, exec_lo
	v_cmpx_gt_i32_e64 s1, v0
	s_cbranch_execz .LBB146_26
.LBB146_20:
	v_add_nc_u32_e32 v1, s2, v0
	v_add_nc_u32_e32 v0, 0x100, v0
	global_store_b32 v1, v5, s[4:5] scale_offset
	s_wait_xcnt 0x0
	s_or_b32 exec_lo, exec_lo, s0
	s_delay_alu instid0(SALU_CYCLE_1)
	s_mov_b32 s0, exec_lo
	v_cmpx_gt_i32_e64 s1, v0
	s_cbranch_execnz .LBB146_27
.LBB146_21:
	s_or_b32 exec_lo, exec_lo, s0
	s_delay_alu instid0(SALU_CYCLE_1)
	s_mov_b32 s0, exec_lo
	v_cmpx_gt_i32_e64 s1, v0
	s_cbranch_execz .LBB146_23
.LBB146_22:
	v_add_nc_u32_e32 v0, s2, v0
	global_store_b32 v0, v6, s[4:5] scale_offset
.LBB146_23:
	s_endpgm
.LBB146_24:
	s_or_b32 exec_lo, exec_lo, s3
	s_and_saveexec_b32 s0, vcc_lo
	s_delay_alu instid0(SALU_CYCLE_1)
	s_xor_b32 s0, exec_lo, s0
	s_cbranch_execz .LBB146_19
.LBB146_25:
	v_mov_b32_e32 v0, v2
	global_store_b32 v1, v15, s[4:5] scale_offset
	s_wait_xcnt 0x0
	s_or_b32 exec_lo, exec_lo, s0
	s_delay_alu instid0(SALU_CYCLE_1)
	s_mov_b32 s0, exec_lo
	v_cmpx_gt_i32_e64 s1, v0
	s_cbranch_execnz .LBB146_20
.LBB146_26:
	s_or_b32 exec_lo, exec_lo, s0
	s_delay_alu instid0(SALU_CYCLE_1)
	s_mov_b32 s0, exec_lo
	v_cmpx_gt_i32_e64 s1, v0
	s_cbranch_execz .LBB146_21
.LBB146_27:
	v_add_nc_u32_e32 v1, s2, v0
	v_add_nc_u32_e32 v0, 0x100, v0
	global_store_b32 v1, v3, s[4:5] scale_offset
	s_wait_xcnt 0x0
	s_or_b32 exec_lo, exec_lo, s0
	s_delay_alu instid0(SALU_CYCLE_1)
	s_mov_b32 s0, exec_lo
	v_cmpx_gt_i32_e64 s1, v0
	s_cbranch_execnz .LBB146_22
	s_branch .LBB146_23
	.section	.rodata,"a",@progbits
	.p2align	6, 0x0
	.amdhsa_kernel _ZN2at6native29vectorized_elementwise_kernelILi4EZZZNS0_12_GLOBAL__N_117clamp_kernel_implERNS_18TensorIteratorBaseEENKUlvE_clEvENKUlvE5_clEvEUlfffE_St5arrayIPcLm4EEEEviT0_T1_
		.amdhsa_group_segment_fixed_size 0
		.amdhsa_private_segment_fixed_size 0
		.amdhsa_kernarg_size 40
		.amdhsa_user_sgpr_count 2
		.amdhsa_user_sgpr_dispatch_ptr 0
		.amdhsa_user_sgpr_queue_ptr 0
		.amdhsa_user_sgpr_kernarg_segment_ptr 1
		.amdhsa_user_sgpr_dispatch_id 0
		.amdhsa_user_sgpr_kernarg_preload_length 0
		.amdhsa_user_sgpr_kernarg_preload_offset 0
		.amdhsa_user_sgpr_private_segment_size 0
		.amdhsa_wavefront_size32 1
		.amdhsa_uses_dynamic_stack 0
		.amdhsa_enable_private_segment 0
		.amdhsa_system_sgpr_workgroup_id_x 1
		.amdhsa_system_sgpr_workgroup_id_y 0
		.amdhsa_system_sgpr_workgroup_id_z 0
		.amdhsa_system_sgpr_workgroup_info 0
		.amdhsa_system_vgpr_workitem_id 0
		.amdhsa_next_free_vgpr 25
		.amdhsa_next_free_sgpr 20
		.amdhsa_named_barrier_count 0
		.amdhsa_reserve_vcc 1
		.amdhsa_float_round_mode_32 0
		.amdhsa_float_round_mode_16_64 0
		.amdhsa_float_denorm_mode_32 3
		.amdhsa_float_denorm_mode_16_64 3
		.amdhsa_fp16_overflow 0
		.amdhsa_memory_ordered 1
		.amdhsa_forward_progress 1
		.amdhsa_inst_pref_size 12
		.amdhsa_round_robin_scheduling 0
		.amdhsa_exception_fp_ieee_invalid_op 0
		.amdhsa_exception_fp_denorm_src 0
		.amdhsa_exception_fp_ieee_div_zero 0
		.amdhsa_exception_fp_ieee_overflow 0
		.amdhsa_exception_fp_ieee_underflow 0
		.amdhsa_exception_fp_ieee_inexact 0
		.amdhsa_exception_int_div_zero 0
	.end_amdhsa_kernel
	.section	.text._ZN2at6native29vectorized_elementwise_kernelILi4EZZZNS0_12_GLOBAL__N_117clamp_kernel_implERNS_18TensorIteratorBaseEENKUlvE_clEvENKUlvE5_clEvEUlfffE_St5arrayIPcLm4EEEEviT0_T1_,"axG",@progbits,_ZN2at6native29vectorized_elementwise_kernelILi4EZZZNS0_12_GLOBAL__N_117clamp_kernel_implERNS_18TensorIteratorBaseEENKUlvE_clEvENKUlvE5_clEvEUlfffE_St5arrayIPcLm4EEEEviT0_T1_,comdat
.Lfunc_end146:
	.size	_ZN2at6native29vectorized_elementwise_kernelILi4EZZZNS0_12_GLOBAL__N_117clamp_kernel_implERNS_18TensorIteratorBaseEENKUlvE_clEvENKUlvE5_clEvEUlfffE_St5arrayIPcLm4EEEEviT0_T1_, .Lfunc_end146-_ZN2at6native29vectorized_elementwise_kernelILi4EZZZNS0_12_GLOBAL__N_117clamp_kernel_implERNS_18TensorIteratorBaseEENKUlvE_clEvENKUlvE5_clEvEUlfffE_St5arrayIPcLm4EEEEviT0_T1_
                                        ; -- End function
	.set _ZN2at6native29vectorized_elementwise_kernelILi4EZZZNS0_12_GLOBAL__N_117clamp_kernel_implERNS_18TensorIteratorBaseEENKUlvE_clEvENKUlvE5_clEvEUlfffE_St5arrayIPcLm4EEEEviT0_T1_.num_vgpr, 25
	.set _ZN2at6native29vectorized_elementwise_kernelILi4EZZZNS0_12_GLOBAL__N_117clamp_kernel_implERNS_18TensorIteratorBaseEENKUlvE_clEvENKUlvE5_clEvEUlfffE_St5arrayIPcLm4EEEEviT0_T1_.num_agpr, 0
	.set _ZN2at6native29vectorized_elementwise_kernelILi4EZZZNS0_12_GLOBAL__N_117clamp_kernel_implERNS_18TensorIteratorBaseEENKUlvE_clEvENKUlvE5_clEvEUlfffE_St5arrayIPcLm4EEEEviT0_T1_.numbered_sgpr, 20
	.set _ZN2at6native29vectorized_elementwise_kernelILi4EZZZNS0_12_GLOBAL__N_117clamp_kernel_implERNS_18TensorIteratorBaseEENKUlvE_clEvENKUlvE5_clEvEUlfffE_St5arrayIPcLm4EEEEviT0_T1_.num_named_barrier, 0
	.set _ZN2at6native29vectorized_elementwise_kernelILi4EZZZNS0_12_GLOBAL__N_117clamp_kernel_implERNS_18TensorIteratorBaseEENKUlvE_clEvENKUlvE5_clEvEUlfffE_St5arrayIPcLm4EEEEviT0_T1_.private_seg_size, 0
	.set _ZN2at6native29vectorized_elementwise_kernelILi4EZZZNS0_12_GLOBAL__N_117clamp_kernel_implERNS_18TensorIteratorBaseEENKUlvE_clEvENKUlvE5_clEvEUlfffE_St5arrayIPcLm4EEEEviT0_T1_.uses_vcc, 1
	.set _ZN2at6native29vectorized_elementwise_kernelILi4EZZZNS0_12_GLOBAL__N_117clamp_kernel_implERNS_18TensorIteratorBaseEENKUlvE_clEvENKUlvE5_clEvEUlfffE_St5arrayIPcLm4EEEEviT0_T1_.uses_flat_scratch, 0
	.set _ZN2at6native29vectorized_elementwise_kernelILi4EZZZNS0_12_GLOBAL__N_117clamp_kernel_implERNS_18TensorIteratorBaseEENKUlvE_clEvENKUlvE5_clEvEUlfffE_St5arrayIPcLm4EEEEviT0_T1_.has_dyn_sized_stack, 0
	.set _ZN2at6native29vectorized_elementwise_kernelILi4EZZZNS0_12_GLOBAL__N_117clamp_kernel_implERNS_18TensorIteratorBaseEENKUlvE_clEvENKUlvE5_clEvEUlfffE_St5arrayIPcLm4EEEEviT0_T1_.has_recursion, 0
	.set _ZN2at6native29vectorized_elementwise_kernelILi4EZZZNS0_12_GLOBAL__N_117clamp_kernel_implERNS_18TensorIteratorBaseEENKUlvE_clEvENKUlvE5_clEvEUlfffE_St5arrayIPcLm4EEEEviT0_T1_.has_indirect_call, 0
	.section	.AMDGPU.csdata,"",@progbits
; Kernel info:
; codeLenInByte = 1488
; TotalNumSgprs: 22
; NumVgprs: 25
; ScratchSize: 0
; MemoryBound: 0
; FloatMode: 240
; IeeeMode: 1
; LDSByteSize: 0 bytes/workgroup (compile time only)
; SGPRBlocks: 0
; VGPRBlocks: 1
; NumSGPRsForWavesPerEU: 22
; NumVGPRsForWavesPerEU: 25
; NamedBarCnt: 0
; Occupancy: 16
; WaveLimiterHint : 0
; COMPUTE_PGM_RSRC2:SCRATCH_EN: 0
; COMPUTE_PGM_RSRC2:USER_SGPR: 2
; COMPUTE_PGM_RSRC2:TRAP_HANDLER: 0
; COMPUTE_PGM_RSRC2:TGID_X_EN: 1
; COMPUTE_PGM_RSRC2:TGID_Y_EN: 0
; COMPUTE_PGM_RSRC2:TGID_Z_EN: 0
; COMPUTE_PGM_RSRC2:TIDIG_COMP_CNT: 0
	.section	.text._ZN2at6native29vectorized_elementwise_kernelILi2EZZZNS0_12_GLOBAL__N_117clamp_kernel_implERNS_18TensorIteratorBaseEENKUlvE_clEvENKUlvE5_clEvEUlfffE_St5arrayIPcLm4EEEEviT0_T1_,"axG",@progbits,_ZN2at6native29vectorized_elementwise_kernelILi2EZZZNS0_12_GLOBAL__N_117clamp_kernel_implERNS_18TensorIteratorBaseEENKUlvE_clEvENKUlvE5_clEvEUlfffE_St5arrayIPcLm4EEEEviT0_T1_,comdat
	.globl	_ZN2at6native29vectorized_elementwise_kernelILi2EZZZNS0_12_GLOBAL__N_117clamp_kernel_implERNS_18TensorIteratorBaseEENKUlvE_clEvENKUlvE5_clEvEUlfffE_St5arrayIPcLm4EEEEviT0_T1_ ; -- Begin function _ZN2at6native29vectorized_elementwise_kernelILi2EZZZNS0_12_GLOBAL__N_117clamp_kernel_implERNS_18TensorIteratorBaseEENKUlvE_clEvENKUlvE5_clEvEUlfffE_St5arrayIPcLm4EEEEviT0_T1_
	.p2align	8
	.type	_ZN2at6native29vectorized_elementwise_kernelILi2EZZZNS0_12_GLOBAL__N_117clamp_kernel_implERNS_18TensorIteratorBaseEENKUlvE_clEvENKUlvE5_clEvEUlfffE_St5arrayIPcLm4EEEEviT0_T1_,@function
_ZN2at6native29vectorized_elementwise_kernelILi2EZZZNS0_12_GLOBAL__N_117clamp_kernel_implERNS_18TensorIteratorBaseEENKUlvE_clEvENKUlvE5_clEvEUlfffE_St5arrayIPcLm4EEEEviT0_T1_: ; @_ZN2at6native29vectorized_elementwise_kernelILi2EZZZNS0_12_GLOBAL__N_117clamp_kernel_implERNS_18TensorIteratorBaseEENKUlvE_clEvENKUlvE5_clEvEUlfffE_St5arrayIPcLm4EEEEviT0_T1_
; %bb.0:
	s_clause 0x1
	s_load_b32 s3, s[0:1], 0x0
	s_load_b256 s[4:11], s[0:1], 0x8
	s_wait_xcnt 0x0
	s_bfe_u32 s0, ttmp6, 0x4000c
	s_and_b32 s1, ttmp6, 15
	s_add_co_i32 s0, s0, 1
	s_getreg_b32 s2, hwreg(HW_REG_IB_STS2, 6, 4)
	s_mul_i32 s0, ttmp9, s0
	s_delay_alu instid0(SALU_CYCLE_1) | instskip(SKIP_2) | instid1(SALU_CYCLE_1)
	s_add_co_i32 s1, s1, s0
	s_cmp_eq_u32 s2, 0
	s_cselect_b32 s0, ttmp9, s1
	s_lshl_b32 s2, s0, 10
	s_mov_b32 s0, -1
	s_wait_kmcnt 0x0
	s_sub_co_i32 s1, s3, s2
	s_delay_alu instid0(SALU_CYCLE_1)
	s_cmp_gt_i32 s1, 0x3ff
	s_cbranch_scc0 .LBB147_2
; %bb.1:
	s_ashr_i32 s3, s2, 31
	s_mov_b32 s0, 0
	s_lshl_b64 s[12:13], s[2:3], 2
	s_delay_alu instid0(SALU_CYCLE_1)
	s_add_nc_u64 s[16:17], s[8:9], s[12:13]
	s_add_nc_u64 s[14:15], s[6:7], s[12:13]
	;; [unrolled: 1-line block ×3, first 2 shown]
	s_clause 0x5
	global_load_b64 v[2:3], v0, s[16:17] scale_offset
	global_load_b64 v[4:5], v0, s[14:15] scale_offset
	;; [unrolled: 1-line block ×3, first 2 shown]
	global_load_b64 v[8:9], v0, s[16:17] offset:2048 scale_offset
	global_load_b64 v[10:11], v0, s[14:15] offset:2048 scale_offset
	;; [unrolled: 1-line block ×3, first 2 shown]
	s_add_nc_u64 s[12:13], s[4:5], s[12:13]
	s_wait_loadcnt 0x4
	v_dual_max_num_f32 v1, v2, v2 :: v_dual_max_num_f32 v14, v4, v4
	s_wait_loadcnt 0x3
	v_dual_max_num_f32 v15, v6, v6 :: v_dual_max_num_f32 v16, v3, v3
	v_dual_max_num_f32 v17, v5, v5 :: v_dual_max_num_f32 v18, v7, v7
	v_cmp_u_f32_e32 vcc_lo, v7, v7
	s_wait_loadcnt 0x0
	v_dual_max_num_f32 v21, v12, v12 :: v_dual_max_num_f32 v22, v9, v9
	v_dual_max_num_f32 v23, v11, v11 :: v_dual_max_num_f32 v24, v13, v13
	v_maxmin_num_f32 v16, v17, v16, v18
	v_maxmin_num_f32 v1, v14, v1, v15
	v_dual_max_num_f32 v19, v8, v8 :: v_dual_max_num_f32 v20, v10, v10
	s_delay_alu instid0(VALU_DEP_4) | instskip(NEXT) | instid1(VALU_DEP_4)
	v_maxmin_num_f32 v15, v23, v22, v24
	v_cndmask_b32_e32 v7, v16, v7, vcc_lo
	v_cmp_u_f32_e32 vcc_lo, v6, v6
	s_delay_alu instid0(VALU_DEP_4)
	v_maxmin_num_f32 v14, v20, v19, v21
	v_cndmask_b32_e32 v1, v1, v6, vcc_lo
	v_cmp_u_f32_e32 vcc_lo, v13, v13
	v_cndmask_b32_e32 v6, v15, v13, vcc_lo
	v_cmp_u_f32_e32 vcc_lo, v12, v12
	;; [unrolled: 2-line block ×10, first 2 shown]
	v_cndmask_b32_e32 v4, v7, v10, vcc_lo
	s_clause 0x1
	global_store_b64 v0, v[2:3], s[12:13] scale_offset
	global_store_b64 v0, v[4:5], s[12:13] offset:2048 scale_offset
.LBB147_2:
	s_and_not1_b32 vcc_lo, exec_lo, s0
	s_cbranch_vccnz .LBB147_23
; %bb.3:
	v_cmp_gt_i32_e32 vcc_lo, s1, v0
	s_wait_xcnt 0x1
	v_dual_mov_b32 v3, 0 :: v_dual_bitop2_b32 v1, s2, v0 bitop3:0x54
	v_or_b32_e32 v2, 0x100, v0
	s_wait_xcnt 0x0
	v_dual_mov_b32 v5, 0 :: v_dual_mov_b32 v6, 0
	v_dual_mov_b32 v7, 0 :: v_dual_mov_b32 v15, v0
	s_and_saveexec_b32 s0, vcc_lo
	s_cbranch_execz .LBB147_5
; %bb.4:
	s_clause 0x2
	global_load_b32 v5, v1, s[6:7] scale_offset
	global_load_b32 v6, v1, s[8:9] scale_offset
	;; [unrolled: 1-line block ×3, first 2 shown]
	v_or_b32_e32 v15, 0x100, v0
.LBB147_5:
	s_wait_xcnt 0x0
	s_or_b32 exec_lo, exec_lo, s0
	v_dual_mov_b32 v8, 0 :: v_dual_mov_b32 v10, 0
	s_mov_b32 s3, exec_lo
	v_cmpx_gt_i32_e64 s1, v15
	s_cbranch_execz .LBB147_7
; %bb.6:
	v_add_nc_u32_e32 v4, s2, v15
	v_add_nc_u32_e32 v15, 0x100, v15
	s_clause 0x2
	global_load_b32 v3, v4, s[6:7] scale_offset
	global_load_b32 v8, v4, s[8:9] scale_offset
	;; [unrolled: 1-line block ×3, first 2 shown]
.LBB147_7:
	s_wait_xcnt 0x0
	s_or_b32 exec_lo, exec_lo, s3
	v_dual_mov_b32 v4, 0 :: v_dual_mov_b32 v9, 0
	v_dual_mov_b32 v11, 0 :: v_dual_mov_b32 v12, 0
	s_mov_b32 s3, exec_lo
	v_cmpx_gt_i32_e64 s1, v15
	s_cbranch_execz .LBB147_9
; %bb.8:
	v_add_nc_u32_e32 v13, s2, v15
	v_add_nc_u32_e32 v15, 0x100, v15
	s_clause 0x2
	global_load_b32 v9, v13, s[6:7] scale_offset
	global_load_b32 v11, v13, s[8:9] scale_offset
	;; [unrolled: 1-line block ×3, first 2 shown]
.LBB147_9:
	s_wait_xcnt 0x0
	s_or_b32 exec_lo, exec_lo, s3
	v_dual_mov_b32 v13, 0 :: v_dual_mov_b32 v14, 0
	s_mov_b32 s3, exec_lo
	v_cmpx_gt_i32_e64 s1, v15
	s_cbranch_execz .LBB147_11
; %bb.10:
	v_add_nc_u32_e32 v15, s2, v15
	s_clause 0x2
	global_load_b32 v4, v15, s[6:7] scale_offset
	global_load_b32 v13, v15, s[8:9] scale_offset
	;; [unrolled: 1-line block ×3, first 2 shown]
	s_wait_xcnt 0x0
	s_or_b32 exec_lo, exec_lo, s3
                                        ; implicit-def: $vgpr15
	s_and_saveexec_b32 s3, vcc_lo
	s_cbranch_execz .LBB147_13
	s_branch .LBB147_12
.LBB147_11:
	s_or_b32 exec_lo, exec_lo, s3
                                        ; implicit-def: $vgpr15
	s_and_saveexec_b32 s3, vcc_lo
	s_cbranch_execz .LBB147_13
.LBB147_12:
	s_wait_loadcnt 0x1
	v_dual_max_num_f32 v15, v6, v6 :: v_dual_max_num_f32 v16, v5, v5
	s_wait_loadcnt 0x0
	v_max_num_f32_e32 v17, v7, v7
	v_cmp_u_f32_e64 s0, v7, v7
	s_delay_alu instid0(VALU_DEP_2) | instskip(NEXT) | instid1(VALU_DEP_1)
	v_maxmin_num_f32 v15, v16, v15, v17
	v_cndmask_b32_e64 v7, v15, v7, s0
	v_cmp_u_f32_e64 s0, v6, v6
	s_delay_alu instid0(VALU_DEP_1) | instskip(SKIP_1) | instid1(VALU_DEP_1)
	v_cndmask_b32_e64 v6, v7, v6, s0
	v_cmp_u_f32_e64 s0, v5, v5
	v_cndmask_b32_e64 v15, v6, v5, s0
.LBB147_13:
	s_or_b32 exec_lo, exec_lo, s3
	s_delay_alu instid0(SALU_CYCLE_1)
	s_mov_b32 s3, exec_lo
                                        ; implicit-def: $vgpr5
	v_cmpx_gt_i32_e64 s1, v2
	s_cbranch_execz .LBB147_15
; %bb.14:
	s_wait_loadcnt 0x1
	v_dual_max_num_f32 v5, v8, v8 :: v_dual_max_num_f32 v6, v3, v3
	s_wait_loadcnt 0x0
	v_cmp_u_f32_e64 s0, v10, v10
	v_max_num_f32_e32 v7, v10, v10
	s_delay_alu instid0(VALU_DEP_1) | instskip(NEXT) | instid1(VALU_DEP_1)
	v_maxmin_num_f32 v5, v6, v5, v7
	v_cndmask_b32_e64 v5, v5, v10, s0
	v_cmp_u_f32_e64 s0, v8, v8
	s_delay_alu instid0(VALU_DEP_1) | instskip(SKIP_1) | instid1(VALU_DEP_1)
	v_cndmask_b32_e64 v5, v5, v8, s0
	v_cmp_u_f32_e64 s0, v3, v3
	v_cndmask_b32_e64 v5, v5, v3, s0
.LBB147_15:
	s_or_b32 exec_lo, exec_lo, s3
	s_wait_loadcnt 0x2
	v_or_b32_e32 v3, 0x200, v0
	s_delay_alu instid0(VALU_DEP_1)
	v_cmp_gt_i32_e64 s0, s1, v3
                                        ; implicit-def: $vgpr3
	s_and_saveexec_b32 s3, s0
	s_cbranch_execz .LBB147_17
; %bb.16:
	s_wait_loadcnt 0x1
	v_dual_max_num_f32 v3, v11, v11 :: v_dual_max_num_f32 v6, v9, v9
	s_wait_loadcnt 0x0
	v_cmp_u_f32_e64 s0, v12, v12
	v_max_num_f32_e32 v7, v12, v12
	s_delay_alu instid0(VALU_DEP_1) | instskip(NEXT) | instid1(VALU_DEP_1)
	v_maxmin_num_f32 v3, v6, v3, v7
	v_cndmask_b32_e64 v3, v3, v12, s0
	v_cmp_u_f32_e64 s0, v11, v11
	s_delay_alu instid0(VALU_DEP_1) | instskip(SKIP_1) | instid1(VALU_DEP_1)
	v_cndmask_b32_e64 v3, v3, v11, s0
	v_cmp_u_f32_e64 s0, v9, v9
	v_cndmask_b32_e64 v3, v3, v9, s0
.LBB147_17:
	s_or_b32 exec_lo, exec_lo, s3
	s_wait_loadcnt 0x1
	v_or_b32_e32 v6, 0x300, v0
	s_delay_alu instid0(VALU_DEP_1)
	v_cmp_gt_i32_e64 s0, s1, v6
                                        ; implicit-def: $vgpr6
	s_and_saveexec_b32 s3, s0
	s_cbranch_execz .LBB147_24
; %bb.18:
	s_wait_loadcnt 0x0
	v_dual_max_num_f32 v6, v13, v13 :: v_dual_max_num_f32 v7, v4, v4
	v_max_num_f32_e32 v8, v14, v14
	v_cmp_u_f32_e64 s0, v14, v14
	s_delay_alu instid0(VALU_DEP_2) | instskip(NEXT) | instid1(VALU_DEP_1)
	v_maxmin_num_f32 v6, v7, v6, v8
	v_cndmask_b32_e64 v6, v6, v14, s0
	v_cmp_u_f32_e64 s0, v13, v13
	s_delay_alu instid0(VALU_DEP_1) | instskip(SKIP_1) | instid1(VALU_DEP_1)
	v_cndmask_b32_e64 v6, v6, v13, s0
	v_cmp_u_f32_e64 s0, v4, v4
	v_cndmask_b32_e64 v6, v6, v4, s0
	s_or_b32 exec_lo, exec_lo, s3
	s_and_saveexec_b32 s0, vcc_lo
	s_delay_alu instid0(SALU_CYCLE_1)
	s_xor_b32 s0, exec_lo, s0
	s_cbranch_execnz .LBB147_25
.LBB147_19:
	s_or_b32 exec_lo, exec_lo, s0
	s_delay_alu instid0(SALU_CYCLE_1)
	s_mov_b32 s0, exec_lo
	v_cmpx_gt_i32_e64 s1, v0
	s_cbranch_execz .LBB147_26
.LBB147_20:
	v_add_nc_u32_e32 v1, s2, v0
	v_add_nc_u32_e32 v0, 0x100, v0
	global_store_b32 v1, v5, s[4:5] scale_offset
	s_wait_xcnt 0x0
	s_or_b32 exec_lo, exec_lo, s0
	s_delay_alu instid0(SALU_CYCLE_1)
	s_mov_b32 s0, exec_lo
	v_cmpx_gt_i32_e64 s1, v0
	s_cbranch_execnz .LBB147_27
.LBB147_21:
	s_or_b32 exec_lo, exec_lo, s0
	s_delay_alu instid0(SALU_CYCLE_1)
	s_mov_b32 s0, exec_lo
	v_cmpx_gt_i32_e64 s1, v0
	s_cbranch_execz .LBB147_23
.LBB147_22:
	v_add_nc_u32_e32 v0, s2, v0
	global_store_b32 v0, v6, s[4:5] scale_offset
.LBB147_23:
	s_endpgm
.LBB147_24:
	s_or_b32 exec_lo, exec_lo, s3
	s_and_saveexec_b32 s0, vcc_lo
	s_delay_alu instid0(SALU_CYCLE_1)
	s_xor_b32 s0, exec_lo, s0
	s_cbranch_execz .LBB147_19
.LBB147_25:
	v_mov_b32_e32 v0, v2
	global_store_b32 v1, v15, s[4:5] scale_offset
	s_wait_xcnt 0x0
	s_or_b32 exec_lo, exec_lo, s0
	s_delay_alu instid0(SALU_CYCLE_1)
	s_mov_b32 s0, exec_lo
	v_cmpx_gt_i32_e64 s1, v0
	s_cbranch_execnz .LBB147_20
.LBB147_26:
	s_or_b32 exec_lo, exec_lo, s0
	s_delay_alu instid0(SALU_CYCLE_1)
	s_mov_b32 s0, exec_lo
	v_cmpx_gt_i32_e64 s1, v0
	s_cbranch_execz .LBB147_21
.LBB147_27:
	v_add_nc_u32_e32 v1, s2, v0
	v_add_nc_u32_e32 v0, 0x100, v0
	global_store_b32 v1, v3, s[4:5] scale_offset
	s_wait_xcnt 0x0
	s_or_b32 exec_lo, exec_lo, s0
	s_delay_alu instid0(SALU_CYCLE_1)
	s_mov_b32 s0, exec_lo
	v_cmpx_gt_i32_e64 s1, v0
	s_cbranch_execnz .LBB147_22
	s_branch .LBB147_23
	.section	.rodata,"a",@progbits
	.p2align	6, 0x0
	.amdhsa_kernel _ZN2at6native29vectorized_elementwise_kernelILi2EZZZNS0_12_GLOBAL__N_117clamp_kernel_implERNS_18TensorIteratorBaseEENKUlvE_clEvENKUlvE5_clEvEUlfffE_St5arrayIPcLm4EEEEviT0_T1_
		.amdhsa_group_segment_fixed_size 0
		.amdhsa_private_segment_fixed_size 0
		.amdhsa_kernarg_size 40
		.amdhsa_user_sgpr_count 2
		.amdhsa_user_sgpr_dispatch_ptr 0
		.amdhsa_user_sgpr_queue_ptr 0
		.amdhsa_user_sgpr_kernarg_segment_ptr 1
		.amdhsa_user_sgpr_dispatch_id 0
		.amdhsa_user_sgpr_kernarg_preload_length 0
		.amdhsa_user_sgpr_kernarg_preload_offset 0
		.amdhsa_user_sgpr_private_segment_size 0
		.amdhsa_wavefront_size32 1
		.amdhsa_uses_dynamic_stack 0
		.amdhsa_enable_private_segment 0
		.amdhsa_system_sgpr_workgroup_id_x 1
		.amdhsa_system_sgpr_workgroup_id_y 0
		.amdhsa_system_sgpr_workgroup_id_z 0
		.amdhsa_system_sgpr_workgroup_info 0
		.amdhsa_system_vgpr_workitem_id 0
		.amdhsa_next_free_vgpr 25
		.amdhsa_next_free_sgpr 20
		.amdhsa_named_barrier_count 0
		.amdhsa_reserve_vcc 1
		.amdhsa_float_round_mode_32 0
		.amdhsa_float_round_mode_16_64 0
		.amdhsa_float_denorm_mode_32 3
		.amdhsa_float_denorm_mode_16_64 3
		.amdhsa_fp16_overflow 0
		.amdhsa_memory_ordered 1
		.amdhsa_forward_progress 1
		.amdhsa_inst_pref_size 13
		.amdhsa_round_robin_scheduling 0
		.amdhsa_exception_fp_ieee_invalid_op 0
		.amdhsa_exception_fp_denorm_src 0
		.amdhsa_exception_fp_ieee_div_zero 0
		.amdhsa_exception_fp_ieee_overflow 0
		.amdhsa_exception_fp_ieee_underflow 0
		.amdhsa_exception_fp_ieee_inexact 0
		.amdhsa_exception_int_div_zero 0
	.end_amdhsa_kernel
	.section	.text._ZN2at6native29vectorized_elementwise_kernelILi2EZZZNS0_12_GLOBAL__N_117clamp_kernel_implERNS_18TensorIteratorBaseEENKUlvE_clEvENKUlvE5_clEvEUlfffE_St5arrayIPcLm4EEEEviT0_T1_,"axG",@progbits,_ZN2at6native29vectorized_elementwise_kernelILi2EZZZNS0_12_GLOBAL__N_117clamp_kernel_implERNS_18TensorIteratorBaseEENKUlvE_clEvENKUlvE5_clEvEUlfffE_St5arrayIPcLm4EEEEviT0_T1_,comdat
.Lfunc_end147:
	.size	_ZN2at6native29vectorized_elementwise_kernelILi2EZZZNS0_12_GLOBAL__N_117clamp_kernel_implERNS_18TensorIteratorBaseEENKUlvE_clEvENKUlvE5_clEvEUlfffE_St5arrayIPcLm4EEEEviT0_T1_, .Lfunc_end147-_ZN2at6native29vectorized_elementwise_kernelILi2EZZZNS0_12_GLOBAL__N_117clamp_kernel_implERNS_18TensorIteratorBaseEENKUlvE_clEvENKUlvE5_clEvEUlfffE_St5arrayIPcLm4EEEEviT0_T1_
                                        ; -- End function
	.set _ZN2at6native29vectorized_elementwise_kernelILi2EZZZNS0_12_GLOBAL__N_117clamp_kernel_implERNS_18TensorIteratorBaseEENKUlvE_clEvENKUlvE5_clEvEUlfffE_St5arrayIPcLm4EEEEviT0_T1_.num_vgpr, 25
	.set _ZN2at6native29vectorized_elementwise_kernelILi2EZZZNS0_12_GLOBAL__N_117clamp_kernel_implERNS_18TensorIteratorBaseEENKUlvE_clEvENKUlvE5_clEvEUlfffE_St5arrayIPcLm4EEEEviT0_T1_.num_agpr, 0
	.set _ZN2at6native29vectorized_elementwise_kernelILi2EZZZNS0_12_GLOBAL__N_117clamp_kernel_implERNS_18TensorIteratorBaseEENKUlvE_clEvENKUlvE5_clEvEUlfffE_St5arrayIPcLm4EEEEviT0_T1_.numbered_sgpr, 20
	.set _ZN2at6native29vectorized_elementwise_kernelILi2EZZZNS0_12_GLOBAL__N_117clamp_kernel_implERNS_18TensorIteratorBaseEENKUlvE_clEvENKUlvE5_clEvEUlfffE_St5arrayIPcLm4EEEEviT0_T1_.num_named_barrier, 0
	.set _ZN2at6native29vectorized_elementwise_kernelILi2EZZZNS0_12_GLOBAL__N_117clamp_kernel_implERNS_18TensorIteratorBaseEENKUlvE_clEvENKUlvE5_clEvEUlfffE_St5arrayIPcLm4EEEEviT0_T1_.private_seg_size, 0
	.set _ZN2at6native29vectorized_elementwise_kernelILi2EZZZNS0_12_GLOBAL__N_117clamp_kernel_implERNS_18TensorIteratorBaseEENKUlvE_clEvENKUlvE5_clEvEUlfffE_St5arrayIPcLm4EEEEviT0_T1_.uses_vcc, 1
	.set _ZN2at6native29vectorized_elementwise_kernelILi2EZZZNS0_12_GLOBAL__N_117clamp_kernel_implERNS_18TensorIteratorBaseEENKUlvE_clEvENKUlvE5_clEvEUlfffE_St5arrayIPcLm4EEEEviT0_T1_.uses_flat_scratch, 0
	.set _ZN2at6native29vectorized_elementwise_kernelILi2EZZZNS0_12_GLOBAL__N_117clamp_kernel_implERNS_18TensorIteratorBaseEENKUlvE_clEvENKUlvE5_clEvEUlfffE_St5arrayIPcLm4EEEEviT0_T1_.has_dyn_sized_stack, 0
	.set _ZN2at6native29vectorized_elementwise_kernelILi2EZZZNS0_12_GLOBAL__N_117clamp_kernel_implERNS_18TensorIteratorBaseEENKUlvE_clEvENKUlvE5_clEvEUlfffE_St5arrayIPcLm4EEEEviT0_T1_.has_recursion, 0
	.set _ZN2at6native29vectorized_elementwise_kernelILi2EZZZNS0_12_GLOBAL__N_117clamp_kernel_implERNS_18TensorIteratorBaseEENKUlvE_clEvENKUlvE5_clEvEUlfffE_St5arrayIPcLm4EEEEviT0_T1_.has_indirect_call, 0
	.section	.AMDGPU.csdata,"",@progbits
; Kernel info:
; codeLenInByte = 1544
; TotalNumSgprs: 22
; NumVgprs: 25
; ScratchSize: 0
; MemoryBound: 0
; FloatMode: 240
; IeeeMode: 1
; LDSByteSize: 0 bytes/workgroup (compile time only)
; SGPRBlocks: 0
; VGPRBlocks: 1
; NumSGPRsForWavesPerEU: 22
; NumVGPRsForWavesPerEU: 25
; NamedBarCnt: 0
; Occupancy: 16
; WaveLimiterHint : 1
; COMPUTE_PGM_RSRC2:SCRATCH_EN: 0
; COMPUTE_PGM_RSRC2:USER_SGPR: 2
; COMPUTE_PGM_RSRC2:TRAP_HANDLER: 0
; COMPUTE_PGM_RSRC2:TGID_X_EN: 1
; COMPUTE_PGM_RSRC2:TGID_Y_EN: 0
; COMPUTE_PGM_RSRC2:TGID_Z_EN: 0
; COMPUTE_PGM_RSRC2:TIDIG_COMP_CNT: 0
	.section	.text._ZN2at6native27unrolled_elementwise_kernelIZZZNS0_12_GLOBAL__N_117clamp_kernel_implERNS_18TensorIteratorBaseEENKUlvE_clEvENKUlvE5_clEvEUlfffE_St5arrayIPcLm4EELi4E23TrivialOffsetCalculatorILi3EjESB_ILi1EjENS0_6memory15LoadWithoutCastENSE_16StoreWithoutCastEEEviT_T0_T2_T3_T4_T5_,"axG",@progbits,_ZN2at6native27unrolled_elementwise_kernelIZZZNS0_12_GLOBAL__N_117clamp_kernel_implERNS_18TensorIteratorBaseEENKUlvE_clEvENKUlvE5_clEvEUlfffE_St5arrayIPcLm4EELi4E23TrivialOffsetCalculatorILi3EjESB_ILi1EjENS0_6memory15LoadWithoutCastENSE_16StoreWithoutCastEEEviT_T0_T2_T3_T4_T5_,comdat
	.globl	_ZN2at6native27unrolled_elementwise_kernelIZZZNS0_12_GLOBAL__N_117clamp_kernel_implERNS_18TensorIteratorBaseEENKUlvE_clEvENKUlvE5_clEvEUlfffE_St5arrayIPcLm4EELi4E23TrivialOffsetCalculatorILi3EjESB_ILi1EjENS0_6memory15LoadWithoutCastENSE_16StoreWithoutCastEEEviT_T0_T2_T3_T4_T5_ ; -- Begin function _ZN2at6native27unrolled_elementwise_kernelIZZZNS0_12_GLOBAL__N_117clamp_kernel_implERNS_18TensorIteratorBaseEENKUlvE_clEvENKUlvE5_clEvEUlfffE_St5arrayIPcLm4EELi4E23TrivialOffsetCalculatorILi3EjESB_ILi1EjENS0_6memory15LoadWithoutCastENSE_16StoreWithoutCastEEEviT_T0_T2_T3_T4_T5_
	.p2align	8
	.type	_ZN2at6native27unrolled_elementwise_kernelIZZZNS0_12_GLOBAL__N_117clamp_kernel_implERNS_18TensorIteratorBaseEENKUlvE_clEvENKUlvE5_clEvEUlfffE_St5arrayIPcLm4EELi4E23TrivialOffsetCalculatorILi3EjESB_ILi1EjENS0_6memory15LoadWithoutCastENSE_16StoreWithoutCastEEEviT_T0_T2_T3_T4_T5_,@function
_ZN2at6native27unrolled_elementwise_kernelIZZZNS0_12_GLOBAL__N_117clamp_kernel_implERNS_18TensorIteratorBaseEENKUlvE_clEvENKUlvE5_clEvEUlfffE_St5arrayIPcLm4EELi4E23TrivialOffsetCalculatorILi3EjESB_ILi1EjENS0_6memory15LoadWithoutCastENSE_16StoreWithoutCastEEEviT_T0_T2_T3_T4_T5_: ; @_ZN2at6native27unrolled_elementwise_kernelIZZZNS0_12_GLOBAL__N_117clamp_kernel_implERNS_18TensorIteratorBaseEENKUlvE_clEvENKUlvE5_clEvEUlfffE_St5arrayIPcLm4EELi4E23TrivialOffsetCalculatorILi3EjESB_ILi1EjENS0_6memory15LoadWithoutCastENSE_16StoreWithoutCastEEEviT_T0_T2_T3_T4_T5_
; %bb.0:
	s_load_b32 s2, s[0:1], 0x0
	s_bfe_u32 s12, ttmp6, 0x4000c
	s_load_b256 s[4:11], s[0:1], 0x8
	s_add_co_i32 s12, s12, 1
	s_and_b32 s3, ttmp6, 15
	s_wait_xcnt 0x0
	s_mul_i32 s0, ttmp9, s12
	s_getreg_b32 s13, hwreg(HW_REG_IB_STS2, 6, 4)
	s_add_co_i32 s3, s3, s0
	s_cmp_eq_u32 s13, 0
	v_dual_mov_b32 v3, 0 :: v_dual_mov_b32 v5, 0
	s_cselect_b32 s0, ttmp9, s3
	v_dual_mov_b32 v6, 0 :: v_dual_mov_b32 v7, 0
	s_lshl_b32 s1, s0, 10
	v_or_b32_e32 v1, 0x100, v0
	v_dual_mov_b32 v15, v0 :: v_dual_bitop2_b32 v2, s1, v0 bitop3:0x54
	s_wait_kmcnt 0x0
	s_sub_co_i32 s2, s2, s1
	s_delay_alu instid0(SALU_CYCLE_1)
	v_cmp_gt_i32_e32 vcc_lo, s2, v0
	s_and_saveexec_b32 s0, vcc_lo
	s_cbranch_execz .LBB148_2
; %bb.1:
	s_clause 0x2
	global_load_b32 v5, v2, s[6:7] scale_offset
	global_load_b32 v6, v2, s[8:9] scale_offset
	;; [unrolled: 1-line block ×3, first 2 shown]
	v_or_b32_e32 v15, 0x100, v0
.LBB148_2:
	s_wait_xcnt 0x0
	s_or_b32 exec_lo, exec_lo, s0
	v_dual_mov_b32 v8, 0 :: v_dual_mov_b32 v10, 0
	s_mov_b32 s3, exec_lo
	v_cmpx_gt_i32_e64 s2, v15
	s_cbranch_execz .LBB148_4
; %bb.3:
	v_add_nc_u32_e32 v4, s1, v15
	v_add_nc_u32_e32 v15, 0x100, v15
	s_clause 0x2
	global_load_b32 v3, v4, s[6:7] scale_offset
	global_load_b32 v8, v4, s[8:9] scale_offset
	;; [unrolled: 1-line block ×3, first 2 shown]
.LBB148_4:
	s_wait_xcnt 0x0
	s_or_b32 exec_lo, exec_lo, s3
	v_dual_mov_b32 v4, 0 :: v_dual_mov_b32 v9, 0
	v_dual_mov_b32 v11, 0 :: v_dual_mov_b32 v12, 0
	s_mov_b32 s3, exec_lo
	v_cmpx_gt_i32_e64 s2, v15
	s_cbranch_execz .LBB148_6
; %bb.5:
	v_add_nc_u32_e32 v13, s1, v15
	v_add_nc_u32_e32 v15, 0x100, v15
	s_clause 0x2
	global_load_b32 v9, v13, s[6:7] scale_offset
	global_load_b32 v11, v13, s[8:9] scale_offset
	;; [unrolled: 1-line block ×3, first 2 shown]
.LBB148_6:
	s_wait_xcnt 0x0
	s_or_b32 exec_lo, exec_lo, s3
	v_dual_mov_b32 v13, 0 :: v_dual_mov_b32 v14, 0
	s_mov_b32 s3, exec_lo
	v_cmpx_gt_i32_e64 s2, v15
	s_cbranch_execz .LBB148_8
; %bb.7:
	v_add_nc_u32_e32 v15, s1, v15
	s_clause 0x2
	global_load_b32 v4, v15, s[6:7] scale_offset
	global_load_b32 v13, v15, s[8:9] scale_offset
	;; [unrolled: 1-line block ×3, first 2 shown]
	s_wait_xcnt 0x0
	s_or_b32 exec_lo, exec_lo, s3
                                        ; implicit-def: $vgpr15
	s_and_saveexec_b32 s3, vcc_lo
	s_cbranch_execz .LBB148_10
	s_branch .LBB148_9
.LBB148_8:
	s_or_b32 exec_lo, exec_lo, s3
                                        ; implicit-def: $vgpr15
	s_and_saveexec_b32 s3, vcc_lo
	s_cbranch_execz .LBB148_10
.LBB148_9:
	s_wait_loadcnt 0x1
	v_dual_max_num_f32 v15, v6, v6 :: v_dual_max_num_f32 v16, v5, v5
	s_wait_loadcnt 0x0
	v_max_num_f32_e32 v17, v7, v7
	v_cmp_u_f32_e64 s0, v7, v7
	s_delay_alu instid0(VALU_DEP_2) | instskip(NEXT) | instid1(VALU_DEP_1)
	v_maxmin_num_f32 v15, v16, v15, v17
	v_cndmask_b32_e64 v7, v15, v7, s0
	v_cmp_u_f32_e64 s0, v6, v6
	s_delay_alu instid0(VALU_DEP_1) | instskip(SKIP_1) | instid1(VALU_DEP_1)
	v_cndmask_b32_e64 v6, v7, v6, s0
	v_cmp_u_f32_e64 s0, v5, v5
	v_cndmask_b32_e64 v15, v6, v5, s0
.LBB148_10:
	s_or_b32 exec_lo, exec_lo, s3
	s_delay_alu instid0(SALU_CYCLE_1)
	s_mov_b32 s3, exec_lo
                                        ; implicit-def: $vgpr5
	v_cmpx_gt_i32_e64 s2, v1
	s_cbranch_execz .LBB148_12
; %bb.11:
	s_wait_loadcnt 0x1
	v_dual_max_num_f32 v5, v8, v8 :: v_dual_max_num_f32 v6, v3, v3
	s_wait_loadcnt 0x0
	v_cmp_u_f32_e64 s0, v10, v10
	v_max_num_f32_e32 v7, v10, v10
	s_delay_alu instid0(VALU_DEP_1) | instskip(NEXT) | instid1(VALU_DEP_1)
	v_maxmin_num_f32 v5, v6, v5, v7
	v_cndmask_b32_e64 v5, v5, v10, s0
	v_cmp_u_f32_e64 s0, v8, v8
	s_delay_alu instid0(VALU_DEP_1) | instskip(SKIP_1) | instid1(VALU_DEP_1)
	v_cndmask_b32_e64 v5, v5, v8, s0
	v_cmp_u_f32_e64 s0, v3, v3
	v_cndmask_b32_e64 v5, v5, v3, s0
.LBB148_12:
	s_or_b32 exec_lo, exec_lo, s3
	s_wait_loadcnt 0x2
	v_or_b32_e32 v3, 0x200, v0
	s_delay_alu instid0(VALU_DEP_1)
	v_cmp_gt_i32_e64 s0, s2, v3
                                        ; implicit-def: $vgpr3
	s_and_saveexec_b32 s3, s0
	s_cbranch_execz .LBB148_14
; %bb.13:
	s_wait_loadcnt 0x1
	v_dual_max_num_f32 v3, v11, v11 :: v_dual_max_num_f32 v6, v9, v9
	s_wait_loadcnt 0x0
	v_cmp_u_f32_e64 s0, v12, v12
	v_max_num_f32_e32 v7, v12, v12
	s_delay_alu instid0(VALU_DEP_1) | instskip(NEXT) | instid1(VALU_DEP_1)
	v_maxmin_num_f32 v3, v6, v3, v7
	v_cndmask_b32_e64 v3, v3, v12, s0
	v_cmp_u_f32_e64 s0, v11, v11
	s_delay_alu instid0(VALU_DEP_1) | instskip(SKIP_1) | instid1(VALU_DEP_1)
	v_cndmask_b32_e64 v3, v3, v11, s0
	v_cmp_u_f32_e64 s0, v9, v9
	v_cndmask_b32_e64 v3, v3, v9, s0
.LBB148_14:
	s_or_b32 exec_lo, exec_lo, s3
	s_wait_loadcnt 0x1
	v_or_b32_e32 v6, 0x300, v0
	s_delay_alu instid0(VALU_DEP_1)
	v_cmp_gt_i32_e64 s0, s2, v6
                                        ; implicit-def: $vgpr6
	s_and_saveexec_b32 s3, s0
	s_cbranch_execz .LBB148_20
; %bb.15:
	s_wait_loadcnt 0x0
	v_dual_max_num_f32 v6, v13, v13 :: v_dual_max_num_f32 v7, v4, v4
	v_max_num_f32_e32 v8, v14, v14
	v_cmp_u_f32_e64 s0, v14, v14
	s_delay_alu instid0(VALU_DEP_2) | instskip(NEXT) | instid1(VALU_DEP_1)
	v_maxmin_num_f32 v6, v7, v6, v8
	v_cndmask_b32_e64 v6, v6, v14, s0
	v_cmp_u_f32_e64 s0, v13, v13
	s_delay_alu instid0(VALU_DEP_1) | instskip(SKIP_1) | instid1(VALU_DEP_1)
	v_cndmask_b32_e64 v6, v6, v13, s0
	v_cmp_u_f32_e64 s0, v4, v4
	v_cndmask_b32_e64 v6, v6, v4, s0
	s_or_b32 exec_lo, exec_lo, s3
	s_and_saveexec_b32 s0, vcc_lo
	s_delay_alu instid0(SALU_CYCLE_1)
	s_xor_b32 s0, exec_lo, s0
	s_cbranch_execnz .LBB148_21
.LBB148_16:
	s_or_b32 exec_lo, exec_lo, s0
	s_delay_alu instid0(SALU_CYCLE_1)
	s_mov_b32 s0, exec_lo
	v_cmpx_gt_i32_e64 s2, v0
	s_cbranch_execz .LBB148_22
.LBB148_17:
	v_add_nc_u32_e32 v1, 0x100, v0
	s_delay_alu instid0(VALU_DEP_1) | instskip(SKIP_3) | instid1(SALU_CYCLE_1)
	v_dual_add_nc_u32 v2, s1, v0 :: v_dual_mov_b32 v0, v1
	global_store_b32 v2, v5, s[4:5] scale_offset
	s_wait_xcnt 0x0
	s_or_b32 exec_lo, exec_lo, s0
	s_mov_b32 s0, exec_lo
	v_cmpx_gt_i32_e64 s2, v0
	s_cbranch_execnz .LBB148_23
.LBB148_18:
	s_or_b32 exec_lo, exec_lo, s0
	s_delay_alu instid0(SALU_CYCLE_1)
	s_mov_b32 s0, exec_lo
	v_cmpx_gt_i32_e64 s2, v0
	s_cbranch_execz .LBB148_24
.LBB148_19:
	v_add_nc_u32_e32 v0, s1, v0
	global_store_b32 v0, v6, s[4:5] scale_offset
	s_endpgm
.LBB148_20:
	s_or_b32 exec_lo, exec_lo, s3
	s_and_saveexec_b32 s0, vcc_lo
	s_delay_alu instid0(SALU_CYCLE_1)
	s_xor_b32 s0, exec_lo, s0
	s_cbranch_execz .LBB148_16
.LBB148_21:
	v_mov_b32_e32 v0, v1
	global_store_b32 v2, v15, s[4:5] scale_offset
	s_wait_xcnt 0x0
	s_or_b32 exec_lo, exec_lo, s0
	s_delay_alu instid0(SALU_CYCLE_1)
	s_mov_b32 s0, exec_lo
	v_cmpx_gt_i32_e64 s2, v0
	s_cbranch_execnz .LBB148_17
.LBB148_22:
	s_or_b32 exec_lo, exec_lo, s0
	s_delay_alu instid0(SALU_CYCLE_1)
	s_mov_b32 s0, exec_lo
	v_cmpx_gt_i32_e64 s2, v0
	s_cbranch_execz .LBB148_18
.LBB148_23:
	v_add_nc_u32_e32 v1, 0x100, v0
	s_delay_alu instid0(VALU_DEP_1) | instskip(SKIP_3) | instid1(SALU_CYCLE_1)
	v_dual_add_nc_u32 v2, s1, v0 :: v_dual_mov_b32 v0, v1
	global_store_b32 v2, v3, s[4:5] scale_offset
	s_wait_xcnt 0x0
	s_or_b32 exec_lo, exec_lo, s0
	s_mov_b32 s0, exec_lo
	v_cmpx_gt_i32_e64 s2, v0
	s_cbranch_execnz .LBB148_19
.LBB148_24:
	s_endpgm
	.section	.rodata,"a",@progbits
	.p2align	6, 0x0
	.amdhsa_kernel _ZN2at6native27unrolled_elementwise_kernelIZZZNS0_12_GLOBAL__N_117clamp_kernel_implERNS_18TensorIteratorBaseEENKUlvE_clEvENKUlvE5_clEvEUlfffE_St5arrayIPcLm4EELi4E23TrivialOffsetCalculatorILi3EjESB_ILi1EjENS0_6memory15LoadWithoutCastENSE_16StoreWithoutCastEEEviT_T0_T2_T3_T4_T5_
		.amdhsa_group_segment_fixed_size 0
		.amdhsa_private_segment_fixed_size 0
		.amdhsa_kernarg_size 44
		.amdhsa_user_sgpr_count 2
		.amdhsa_user_sgpr_dispatch_ptr 0
		.amdhsa_user_sgpr_queue_ptr 0
		.amdhsa_user_sgpr_kernarg_segment_ptr 1
		.amdhsa_user_sgpr_dispatch_id 0
		.amdhsa_user_sgpr_kernarg_preload_length 0
		.amdhsa_user_sgpr_kernarg_preload_offset 0
		.amdhsa_user_sgpr_private_segment_size 0
		.amdhsa_wavefront_size32 1
		.amdhsa_uses_dynamic_stack 0
		.amdhsa_enable_private_segment 0
		.amdhsa_system_sgpr_workgroup_id_x 1
		.amdhsa_system_sgpr_workgroup_id_y 0
		.amdhsa_system_sgpr_workgroup_id_z 0
		.amdhsa_system_sgpr_workgroup_info 0
		.amdhsa_system_vgpr_workitem_id 0
		.amdhsa_next_free_vgpr 18
		.amdhsa_next_free_sgpr 14
		.amdhsa_named_barrier_count 0
		.amdhsa_reserve_vcc 1
		.amdhsa_float_round_mode_32 0
		.amdhsa_float_round_mode_16_64 0
		.amdhsa_float_denorm_mode_32 3
		.amdhsa_float_denorm_mode_16_64 3
		.amdhsa_fp16_overflow 0
		.amdhsa_memory_ordered 1
		.amdhsa_forward_progress 1
		.amdhsa_inst_pref_size 10
		.amdhsa_round_robin_scheduling 0
		.amdhsa_exception_fp_ieee_invalid_op 0
		.amdhsa_exception_fp_denorm_src 0
		.amdhsa_exception_fp_ieee_div_zero 0
		.amdhsa_exception_fp_ieee_overflow 0
		.amdhsa_exception_fp_ieee_underflow 0
		.amdhsa_exception_fp_ieee_inexact 0
		.amdhsa_exception_int_div_zero 0
	.end_amdhsa_kernel
	.section	.text._ZN2at6native27unrolled_elementwise_kernelIZZZNS0_12_GLOBAL__N_117clamp_kernel_implERNS_18TensorIteratorBaseEENKUlvE_clEvENKUlvE5_clEvEUlfffE_St5arrayIPcLm4EELi4E23TrivialOffsetCalculatorILi3EjESB_ILi1EjENS0_6memory15LoadWithoutCastENSE_16StoreWithoutCastEEEviT_T0_T2_T3_T4_T5_,"axG",@progbits,_ZN2at6native27unrolled_elementwise_kernelIZZZNS0_12_GLOBAL__N_117clamp_kernel_implERNS_18TensorIteratorBaseEENKUlvE_clEvENKUlvE5_clEvEUlfffE_St5arrayIPcLm4EELi4E23TrivialOffsetCalculatorILi3EjESB_ILi1EjENS0_6memory15LoadWithoutCastENSE_16StoreWithoutCastEEEviT_T0_T2_T3_T4_T5_,comdat
.Lfunc_end148:
	.size	_ZN2at6native27unrolled_elementwise_kernelIZZZNS0_12_GLOBAL__N_117clamp_kernel_implERNS_18TensorIteratorBaseEENKUlvE_clEvENKUlvE5_clEvEUlfffE_St5arrayIPcLm4EELi4E23TrivialOffsetCalculatorILi3EjESB_ILi1EjENS0_6memory15LoadWithoutCastENSE_16StoreWithoutCastEEEviT_T0_T2_T3_T4_T5_, .Lfunc_end148-_ZN2at6native27unrolled_elementwise_kernelIZZZNS0_12_GLOBAL__N_117clamp_kernel_implERNS_18TensorIteratorBaseEENKUlvE_clEvENKUlvE5_clEvEUlfffE_St5arrayIPcLm4EELi4E23TrivialOffsetCalculatorILi3EjESB_ILi1EjENS0_6memory15LoadWithoutCastENSE_16StoreWithoutCastEEEviT_T0_T2_T3_T4_T5_
                                        ; -- End function
	.set _ZN2at6native27unrolled_elementwise_kernelIZZZNS0_12_GLOBAL__N_117clamp_kernel_implERNS_18TensorIteratorBaseEENKUlvE_clEvENKUlvE5_clEvEUlfffE_St5arrayIPcLm4EELi4E23TrivialOffsetCalculatorILi3EjESB_ILi1EjENS0_6memory15LoadWithoutCastENSE_16StoreWithoutCastEEEviT_T0_T2_T3_T4_T5_.num_vgpr, 18
	.set _ZN2at6native27unrolled_elementwise_kernelIZZZNS0_12_GLOBAL__N_117clamp_kernel_implERNS_18TensorIteratorBaseEENKUlvE_clEvENKUlvE5_clEvEUlfffE_St5arrayIPcLm4EELi4E23TrivialOffsetCalculatorILi3EjESB_ILi1EjENS0_6memory15LoadWithoutCastENSE_16StoreWithoutCastEEEviT_T0_T2_T3_T4_T5_.num_agpr, 0
	.set _ZN2at6native27unrolled_elementwise_kernelIZZZNS0_12_GLOBAL__N_117clamp_kernel_implERNS_18TensorIteratorBaseEENKUlvE_clEvENKUlvE5_clEvEUlfffE_St5arrayIPcLm4EELi4E23TrivialOffsetCalculatorILi3EjESB_ILi1EjENS0_6memory15LoadWithoutCastENSE_16StoreWithoutCastEEEviT_T0_T2_T3_T4_T5_.numbered_sgpr, 14
	.set _ZN2at6native27unrolled_elementwise_kernelIZZZNS0_12_GLOBAL__N_117clamp_kernel_implERNS_18TensorIteratorBaseEENKUlvE_clEvENKUlvE5_clEvEUlfffE_St5arrayIPcLm4EELi4E23TrivialOffsetCalculatorILi3EjESB_ILi1EjENS0_6memory15LoadWithoutCastENSE_16StoreWithoutCastEEEviT_T0_T2_T3_T4_T5_.num_named_barrier, 0
	.set _ZN2at6native27unrolled_elementwise_kernelIZZZNS0_12_GLOBAL__N_117clamp_kernel_implERNS_18TensorIteratorBaseEENKUlvE_clEvENKUlvE5_clEvEUlfffE_St5arrayIPcLm4EELi4E23TrivialOffsetCalculatorILi3EjESB_ILi1EjENS0_6memory15LoadWithoutCastENSE_16StoreWithoutCastEEEviT_T0_T2_T3_T4_T5_.private_seg_size, 0
	.set _ZN2at6native27unrolled_elementwise_kernelIZZZNS0_12_GLOBAL__N_117clamp_kernel_implERNS_18TensorIteratorBaseEENKUlvE_clEvENKUlvE5_clEvEUlfffE_St5arrayIPcLm4EELi4E23TrivialOffsetCalculatorILi3EjESB_ILi1EjENS0_6memory15LoadWithoutCastENSE_16StoreWithoutCastEEEviT_T0_T2_T3_T4_T5_.uses_vcc, 1
	.set _ZN2at6native27unrolled_elementwise_kernelIZZZNS0_12_GLOBAL__N_117clamp_kernel_implERNS_18TensorIteratorBaseEENKUlvE_clEvENKUlvE5_clEvEUlfffE_St5arrayIPcLm4EELi4E23TrivialOffsetCalculatorILi3EjESB_ILi1EjENS0_6memory15LoadWithoutCastENSE_16StoreWithoutCastEEEviT_T0_T2_T3_T4_T5_.uses_flat_scratch, 0
	.set _ZN2at6native27unrolled_elementwise_kernelIZZZNS0_12_GLOBAL__N_117clamp_kernel_implERNS_18TensorIteratorBaseEENKUlvE_clEvENKUlvE5_clEvEUlfffE_St5arrayIPcLm4EELi4E23TrivialOffsetCalculatorILi3EjESB_ILi1EjENS0_6memory15LoadWithoutCastENSE_16StoreWithoutCastEEEviT_T0_T2_T3_T4_T5_.has_dyn_sized_stack, 0
	.set _ZN2at6native27unrolled_elementwise_kernelIZZZNS0_12_GLOBAL__N_117clamp_kernel_implERNS_18TensorIteratorBaseEENKUlvE_clEvENKUlvE5_clEvEUlfffE_St5arrayIPcLm4EELi4E23TrivialOffsetCalculatorILi3EjESB_ILi1EjENS0_6memory15LoadWithoutCastENSE_16StoreWithoutCastEEEviT_T0_T2_T3_T4_T5_.has_recursion, 0
	.set _ZN2at6native27unrolled_elementwise_kernelIZZZNS0_12_GLOBAL__N_117clamp_kernel_implERNS_18TensorIteratorBaseEENKUlvE_clEvENKUlvE5_clEvEUlfffE_St5arrayIPcLm4EELi4E23TrivialOffsetCalculatorILi3EjESB_ILi1EjENS0_6memory15LoadWithoutCastENSE_16StoreWithoutCastEEEviT_T0_T2_T3_T4_T5_.has_indirect_call, 0
	.section	.AMDGPU.csdata,"",@progbits
; Kernel info:
; codeLenInByte = 1188
; TotalNumSgprs: 16
; NumVgprs: 18
; ScratchSize: 0
; MemoryBound: 0
; FloatMode: 240
; IeeeMode: 1
; LDSByteSize: 0 bytes/workgroup (compile time only)
; SGPRBlocks: 0
; VGPRBlocks: 1
; NumSGPRsForWavesPerEU: 16
; NumVGPRsForWavesPerEU: 18
; NamedBarCnt: 0
; Occupancy: 16
; WaveLimiterHint : 0
; COMPUTE_PGM_RSRC2:SCRATCH_EN: 0
; COMPUTE_PGM_RSRC2:USER_SGPR: 2
; COMPUTE_PGM_RSRC2:TRAP_HANDLER: 0
; COMPUTE_PGM_RSRC2:TGID_X_EN: 1
; COMPUTE_PGM_RSRC2:TGID_Y_EN: 0
; COMPUTE_PGM_RSRC2:TGID_Z_EN: 0
; COMPUTE_PGM_RSRC2:TIDIG_COMP_CNT: 0
	.section	.text._ZN2at6native32elementwise_kernel_manual_unrollILi128ELi4EZNS0_22gpu_kernel_impl_nocastIZZZNS0_12_GLOBAL__N_117clamp_kernel_implERNS_18TensorIteratorBaseEENKUlvE_clEvENKUlvE5_clEvEUlfffE_EEvS5_RKT_EUlibE_EEviT1_,"axG",@progbits,_ZN2at6native32elementwise_kernel_manual_unrollILi128ELi4EZNS0_22gpu_kernel_impl_nocastIZZZNS0_12_GLOBAL__N_117clamp_kernel_implERNS_18TensorIteratorBaseEENKUlvE_clEvENKUlvE5_clEvEUlfffE_EEvS5_RKT_EUlibE_EEviT1_,comdat
	.globl	_ZN2at6native32elementwise_kernel_manual_unrollILi128ELi4EZNS0_22gpu_kernel_impl_nocastIZZZNS0_12_GLOBAL__N_117clamp_kernel_implERNS_18TensorIteratorBaseEENKUlvE_clEvENKUlvE5_clEvEUlfffE_EEvS5_RKT_EUlibE_EEviT1_ ; -- Begin function _ZN2at6native32elementwise_kernel_manual_unrollILi128ELi4EZNS0_22gpu_kernel_impl_nocastIZZZNS0_12_GLOBAL__N_117clamp_kernel_implERNS_18TensorIteratorBaseEENKUlvE_clEvENKUlvE5_clEvEUlfffE_EEvS5_RKT_EUlibE_EEviT1_
	.p2align	8
	.type	_ZN2at6native32elementwise_kernel_manual_unrollILi128ELi4EZNS0_22gpu_kernel_impl_nocastIZZZNS0_12_GLOBAL__N_117clamp_kernel_implERNS_18TensorIteratorBaseEENKUlvE_clEvENKUlvE5_clEvEUlfffE_EEvS5_RKT_EUlibE_EEviT1_,@function
_ZN2at6native32elementwise_kernel_manual_unrollILi128ELi4EZNS0_22gpu_kernel_impl_nocastIZZZNS0_12_GLOBAL__N_117clamp_kernel_implERNS_18TensorIteratorBaseEENKUlvE_clEvENKUlvE5_clEvEUlfffE_EEvS5_RKT_EUlibE_EEviT1_: ; @_ZN2at6native32elementwise_kernel_manual_unrollILi128ELi4EZNS0_22gpu_kernel_impl_nocastIZZZNS0_12_GLOBAL__N_117clamp_kernel_implERNS_18TensorIteratorBaseEENKUlvE_clEvENKUlvE5_clEvEUlfffE_EEvS5_RKT_EUlibE_EEviT1_
; %bb.0:
	s_clause 0x1
	s_load_b32 s33, s[0:1], 0x8
	s_load_b32 s39, s[0:1], 0x0
	s_bfe_u32 s2, ttmp6, 0x4000c
	s_and_b32 s3, ttmp6, 15
	s_add_co_i32 s2, s2, 1
	s_getreg_b32 s4, hwreg(HW_REG_IB_STS2, 6, 4)
	s_mul_i32 s2, ttmp9, s2
	s_add_nc_u64 s[20:21], s[0:1], 8
	s_add_co_i32 s3, s3, s2
	s_cmp_eq_u32 s4, 0
	s_mov_b32 s25, 0
	s_cselect_b32 s2, ttmp9, s3
	s_wait_xcnt 0x0
	s_mov_b32 s0, exec_lo
	v_lshl_or_b32 v0, s2, 9, v0
	s_delay_alu instid0(VALU_DEP_1) | instskip(SKIP_2) | instid1(SALU_CYCLE_1)
	v_or_b32_e32 v5, 0x180, v0
	s_wait_kmcnt 0x0
	s_add_co_i32 s34, s33, -1
	s_cmp_gt_u32 s34, 1
	s_cselect_b32 s35, -1, 0
	v_cmpx_le_i32_e64 s39, v5
	s_xor_b32 s36, exec_lo, s0
	s_cbranch_execz .LBB149_54
; %bb.1:
	s_clause 0x3
	s_load_b128 s[16:19], s[20:21], 0x4
	s_load_b64 s[22:23], s[20:21], 0x14
	s_load_b256 s[8:15], s[20:21], 0xc4
	s_load_b256 s[0:7], s[20:21], 0x1c8
	s_cmp_lg_u32 s33, 0
	s_mov_b32 s27, s25
	s_cselect_b32 s40, -1, 0
	s_min_u32 s38, s34, 15
	s_cmp_gt_u32 s33, 1
	s_cselect_b32 s37, -1, 0
	s_wait_kmcnt 0x0
	s_mov_b32 s24, s17
	s_mov_b32 s26, s22
	s_mov_b32 s17, exec_lo
	v_cmpx_gt_i32_e64 s39, v0
	s_cbranch_execnz .LBB149_5
; %bb.2:
	s_or_b32 exec_lo, exec_lo, s17
	s_delay_alu instid0(SALU_CYCLE_1)
	s_mov_b32 s17, exec_lo
	v_cmpx_gt_i32_e64 s39, v0
	s_cbranch_execnz .LBB149_17
.LBB149_3:
	s_or_b32 exec_lo, exec_lo, s17
	s_delay_alu instid0(SALU_CYCLE_1)
	s_mov_b32 s17, exec_lo
	v_cmpx_gt_i32_e64 s39, v0
	s_cbranch_execnz .LBB149_29
.LBB149_4:
	s_or_b32 exec_lo, exec_lo, s17
	s_delay_alu instid0(SALU_CYCLE_1)
	s_mov_b32 s17, exec_lo
	v_cmpx_gt_i32_e64 s39, v0
	s_cbranch_execnz .LBB149_41
	s_branch .LBB149_53
.LBB149_5:
	s_and_not1_b32 vcc_lo, exec_lo, s35
	s_cbranch_vccnz .LBB149_11
; %bb.6:
	s_and_not1_b32 vcc_lo, exec_lo, s40
	s_cbranch_vccnz .LBB149_12
; %bb.7:
	v_dual_mov_b32 v6, 0 :: v_dual_mov_b32 v1, v0
	v_dual_mov_b32 v7, 0 :: v_dual_mov_b32 v4, 0
	v_mov_b32_e32 v5, 0
	s_add_co_i32 s22, s38, 1
	s_mov_b64 s[28:29], 0xffffffffffffffe0
	s_and_b32 s22, s22, 30
	s_add_nc_u64 s[28:29], s[20:21], s[28:29]
	s_mov_b64 s[30:31], s[20:21]
.LBB149_8:                              ; =>This Inner Loop Header: Depth=1
	s_clause 0x1
	s_load_b128 s[52:55], s[30:31], 0x4
	s_load_b64 s[42:43], s[30:31], 0x14
	s_load_b256 s[44:51], s[28:29], 0xe4
	s_add_co_i32 s22, s22, -2
	s_wait_xcnt 0x0
	s_add_nc_u64 s[30:31], s[30:31], 24
	s_cmp_lg_u32 s22, 0
	s_add_nc_u64 s[28:29], s[28:29], 32
	s_wait_kmcnt 0x0
	v_mul_hi_u32 v2, s53, v1
	s_delay_alu instid0(VALU_DEP_1) | instskip(NEXT) | instid1(VALU_DEP_1)
	v_add_nc_u32_e32 v2, v1, v2
	v_lshrrev_b32_e32 v2, s54, v2
	s_delay_alu instid0(VALU_DEP_1) | instskip(SKIP_1) | instid1(VALU_DEP_1)
	v_mul_hi_u32 v3, s42, v2
	v_mul_lo_u32 v8, v2, s52
	v_dual_add_nc_u32 v3, v2, v3 :: v_dual_sub_nc_u32 v8, v1, v8
	s_delay_alu instid0(VALU_DEP_1) | instskip(NEXT) | instid1(VALU_DEP_2)
	v_lshrrev_b32_e32 v1, s43, v3
	v_mad_u32 v5, v8, s45, v5
	v_mad_u32 v4, v8, s44, v4
	;; [unrolled: 1-line block ×4, first 2 shown]
	v_mul_lo_u32 v3, v1, s55
	s_delay_alu instid0(VALU_DEP_1) | instskip(NEXT) | instid1(VALU_DEP_1)
	v_sub_nc_u32_e32 v2, v2, v3
	v_mad_u32 v5, v2, s49, v5
	v_mad_u32 v4, v2, s48, v4
	;; [unrolled: 1-line block ×4, first 2 shown]
	s_cbranch_scc1 .LBB149_8
; %bb.9:
	s_bitcmp1_b32 s38, 0
	s_cselect_b32 s22, -1, 0
	s_delay_alu instid0(SALU_CYCLE_1)
	s_and_b32 vcc_lo, exec_lo, s22
	s_cbranch_vccnz .LBB149_13
; %bb.10:
	s_load_b96 s[48:50], s[30:31], 0x4
	s_load_b128 s[44:47], s[28:29], 0xe4
	s_wait_kmcnt 0x0
	v_mul_hi_u32 v2, s49, v1
	s_delay_alu instid0(VALU_DEP_1) | instskip(NEXT) | instid1(VALU_DEP_1)
	v_add_nc_u32_e32 v2, v1, v2
	v_lshrrev_b32_e32 v2, s50, v2
	s_delay_alu instid0(VALU_DEP_1) | instskip(NEXT) | instid1(VALU_DEP_1)
	v_mul_lo_u32 v2, v2, s48
	v_sub_nc_u32_e32 v1, v1, v2
	s_delay_alu instid0(VALU_DEP_1)
	v_mad_u32 v4, v1, s44, v4
	v_mad_u32 v5, v1, s45, v5
	;; [unrolled: 1-line block ×4, first 2 shown]
	s_cbranch_execz .LBB149_14
	s_branch .LBB149_16
.LBB149_11:
                                        ; implicit-def: $vgpr5
                                        ; implicit-def: $vgpr4
                                        ; implicit-def: $vgpr7
                                        ; implicit-def: $vgpr6
	s_branch .LBB149_14
.LBB149_12:
	v_dual_mov_b32 v5, 0 :: v_dual_mov_b32 v4, 0
	v_dual_mov_b32 v7, 0 :: v_dual_mov_b32 v6, 0
.LBB149_13:
	s_cbranch_execnz .LBB149_16
.LBB149_14:
	v_mov_b32_e32 v1, 0
	s_and_not1_b32 vcc_lo, exec_lo, s37
	s_delay_alu instid0(VALU_DEP_1) | instskip(NEXT) | instid1(VALU_DEP_1)
	v_mul_u64_e32 v[2:3], s[24:25], v[0:1]
	v_add_nc_u32_e32 v2, v0, v3
	s_delay_alu instid0(VALU_DEP_1) | instskip(NEXT) | instid1(VALU_DEP_1)
	v_lshrrev_b32_e32 v2, s18, v2
	v_mul_lo_u32 v3, v2, s16
	s_delay_alu instid0(VALU_DEP_1) | instskip(NEXT) | instid1(VALU_DEP_1)
	v_sub_nc_u32_e32 v3, v0, v3
	v_mul_lo_u32 v5, v3, s9
	v_mul_lo_u32 v4, v3, s8
	;; [unrolled: 1-line block ×4, first 2 shown]
	s_cbranch_vccnz .LBB149_16
; %bb.15:
	v_mov_b32_e32 v3, v1
	s_delay_alu instid0(VALU_DEP_1) | instskip(NEXT) | instid1(VALU_DEP_1)
	v_mul_u64_e32 v[8:9], s[26:27], v[2:3]
	v_add_nc_u32_e32 v1, v2, v9
	s_delay_alu instid0(VALU_DEP_1) | instskip(NEXT) | instid1(VALU_DEP_1)
	v_lshrrev_b32_e32 v1, s23, v1
	v_mul_lo_u32 v1, v1, s19
	s_delay_alu instid0(VALU_DEP_1) | instskip(NEXT) | instid1(VALU_DEP_1)
	v_sub_nc_u32_e32 v1, v2, v1
	v_mad_u32 v4, v1, s12, v4
	v_mad_u32 v5, v1, s13, v5
	;; [unrolled: 1-line block ×4, first 2 shown]
.LBB149_16:
	global_load_b32 v1, v6, s[4:5]
	global_load_b32 v2, v5, s[2:3]
	;; [unrolled: 1-line block ×3, first 2 shown]
	s_wait_loadcnt 0x2
	s_wait_xcnt 0x1
	v_dual_max_num_f32 v5, v1, v1 :: v_dual_add_nc_u32 v0, 0x80, v0
	s_wait_loadcnt 0x1
	v_max_num_f32_e32 v6, v2, v2
	s_wait_loadcnt 0x0
	v_cmp_u_f32_e32 vcc_lo, v3, v3
	v_max_num_f32_e32 v7, v3, v3
	s_delay_alu instid0(VALU_DEP_1) | instskip(NEXT) | instid1(VALU_DEP_1)
	v_maxmin_num_f32 v5, v6, v5, v7
	v_cndmask_b32_e32 v3, v5, v3, vcc_lo
	v_cmp_u_f32_e32 vcc_lo, v1, v1
	s_delay_alu instid0(VALU_DEP_2) | instskip(SKIP_1) | instid1(VALU_DEP_2)
	v_cndmask_b32_e32 v1, v3, v1, vcc_lo
	v_cmp_u_f32_e32 vcc_lo, v2, v2
	v_cndmask_b32_e32 v1, v1, v2, vcc_lo
	global_store_b32 v4, v1, s[0:1]
	s_wait_xcnt 0x0
	s_or_b32 exec_lo, exec_lo, s17
	s_delay_alu instid0(SALU_CYCLE_1)
	s_mov_b32 s17, exec_lo
	v_cmpx_gt_i32_e64 s39, v0
	s_cbranch_execz .LBB149_3
.LBB149_17:
	s_and_not1_b32 vcc_lo, exec_lo, s35
	s_cbranch_vccnz .LBB149_23
; %bb.18:
	s_and_not1_b32 vcc_lo, exec_lo, s40
	s_cbranch_vccnz .LBB149_24
; %bb.19:
	v_dual_mov_b32 v5, 0 :: v_dual_mov_b32 v1, v0
	v_dual_mov_b32 v7, 0 :: v_dual_mov_b32 v4, 0
	v_mov_b32_e32 v6, 0
	s_add_co_i32 s22, s38, 1
	s_mov_b64 s[28:29], 0xffffffffffffffe0
	s_and_b32 s22, s22, 30
	s_add_nc_u64 s[28:29], s[20:21], s[28:29]
	s_mov_b64 s[30:31], s[20:21]
.LBB149_20:                             ; =>This Inner Loop Header: Depth=1
	s_clause 0x1
	s_load_b128 s[52:55], s[30:31], 0x4
	s_load_b64 s[42:43], s[30:31], 0x14
	s_load_b256 s[44:51], s[28:29], 0xe4
	s_add_co_i32 s22, s22, -2
	s_wait_xcnt 0x0
	s_add_nc_u64 s[30:31], s[30:31], 24
	s_cmp_eq_u32 s22, 0
	s_add_nc_u64 s[28:29], s[28:29], 32
	s_wait_kmcnt 0x0
	v_mul_hi_u32 v2, s53, v1
	s_delay_alu instid0(VALU_DEP_1) | instskip(NEXT) | instid1(VALU_DEP_1)
	v_add_nc_u32_e32 v2, v1, v2
	v_lshrrev_b32_e32 v2, s54, v2
	s_delay_alu instid0(VALU_DEP_1) | instskip(SKIP_1) | instid1(VALU_DEP_1)
	v_mul_hi_u32 v3, s42, v2
	v_mul_lo_u32 v8, v2, s52
	v_dual_add_nc_u32 v3, v2, v3 :: v_dual_sub_nc_u32 v8, v1, v8
	s_delay_alu instid0(VALU_DEP_1) | instskip(NEXT) | instid1(VALU_DEP_2)
	v_lshrrev_b32_e32 v1, s43, v3
	v_mad_u32 v6, v8, s45, v6
	v_mad_u32 v4, v8, s44, v4
	;; [unrolled: 1-line block ×4, first 2 shown]
	v_mul_lo_u32 v3, v1, s55
	s_delay_alu instid0(VALU_DEP_1) | instskip(NEXT) | instid1(VALU_DEP_1)
	v_sub_nc_u32_e32 v2, v2, v3
	v_mad_u32 v6, v2, s49, v6
	v_mad_u32 v4, v2, s48, v4
	;; [unrolled: 1-line block ×4, first 2 shown]
	s_cbranch_scc0 .LBB149_20
; %bb.21:
	s_bitcmp1_b32 s38, 0
	s_cselect_b32 s22, -1, 0
	s_delay_alu instid0(SALU_CYCLE_1)
	s_and_b32 vcc_lo, exec_lo, s22
	s_cbranch_vccnz .LBB149_25
; %bb.22:
	s_load_b96 s[48:50], s[30:31], 0x4
	s_load_b128 s[44:47], s[28:29], 0xe4
	s_wait_kmcnt 0x0
	v_mul_hi_u32 v2, s49, v1
	s_delay_alu instid0(VALU_DEP_1) | instskip(NEXT) | instid1(VALU_DEP_1)
	v_add_nc_u32_e32 v2, v1, v2
	v_lshrrev_b32_e32 v2, s50, v2
	s_delay_alu instid0(VALU_DEP_1) | instskip(NEXT) | instid1(VALU_DEP_1)
	v_mul_lo_u32 v2, v2, s48
	v_sub_nc_u32_e32 v1, v1, v2
	s_delay_alu instid0(VALU_DEP_1)
	v_mad_u32 v4, v1, s44, v4
	v_mad_u32 v6, v1, s45, v6
	;; [unrolled: 1-line block ×4, first 2 shown]
	s_branch .LBB149_25
.LBB149_23:
                                        ; implicit-def: $vgpr6
                                        ; implicit-def: $vgpr4
                                        ; implicit-def: $vgpr7
                                        ; implicit-def: $vgpr5
	s_branch .LBB149_26
.LBB149_24:
	v_dual_mov_b32 v6, 0 :: v_dual_mov_b32 v4, 0
	v_dual_mov_b32 v7, 0 :: v_dual_mov_b32 v5, 0
.LBB149_25:
	s_cbranch_execnz .LBB149_28
.LBB149_26:
	v_mov_b32_e32 v1, 0
	s_and_not1_b32 vcc_lo, exec_lo, s37
	s_delay_alu instid0(VALU_DEP_1) | instskip(NEXT) | instid1(VALU_DEP_1)
	v_mul_u64_e32 v[2:3], s[24:25], v[0:1]
	v_add_nc_u32_e32 v2, v0, v3
	s_delay_alu instid0(VALU_DEP_1) | instskip(NEXT) | instid1(VALU_DEP_1)
	v_lshrrev_b32_e32 v2, s18, v2
	v_mul_lo_u32 v3, v2, s16
	s_delay_alu instid0(VALU_DEP_1) | instskip(NEXT) | instid1(VALU_DEP_1)
	v_sub_nc_u32_e32 v3, v0, v3
	v_mul_lo_u32 v6, v3, s9
	v_mul_lo_u32 v4, v3, s8
	;; [unrolled: 1-line block ×4, first 2 shown]
	s_cbranch_vccnz .LBB149_28
; %bb.27:
	v_mov_b32_e32 v3, v1
	s_delay_alu instid0(VALU_DEP_1) | instskip(NEXT) | instid1(VALU_DEP_1)
	v_mul_u64_e32 v[8:9], s[26:27], v[2:3]
	v_add_nc_u32_e32 v1, v2, v9
	s_delay_alu instid0(VALU_DEP_1) | instskip(NEXT) | instid1(VALU_DEP_1)
	v_lshrrev_b32_e32 v1, s23, v1
	v_mul_lo_u32 v1, v1, s19
	s_delay_alu instid0(VALU_DEP_1) | instskip(NEXT) | instid1(VALU_DEP_1)
	v_sub_nc_u32_e32 v1, v2, v1
	v_mad_u32 v4, v1, s12, v4
	v_mad_u32 v6, v1, s13, v6
	;; [unrolled: 1-line block ×4, first 2 shown]
.LBB149_28:
	global_load_b32 v1, v5, s[4:5]
	global_load_b32 v2, v6, s[2:3]
	;; [unrolled: 1-line block ×3, first 2 shown]
	s_wait_loadcnt 0x2
	s_wait_xcnt 0x2
	v_dual_max_num_f32 v5, v1, v1 :: v_dual_add_nc_u32 v0, 0x80, v0
	s_wait_loadcnt 0x1
	s_wait_xcnt 0x1
	v_max_num_f32_e32 v6, v2, v2
	s_wait_loadcnt 0x0
	v_cmp_u_f32_e32 vcc_lo, v3, v3
	s_wait_xcnt 0x0
	v_max_num_f32_e32 v7, v3, v3
	s_delay_alu instid0(VALU_DEP_1) | instskip(NEXT) | instid1(VALU_DEP_1)
	v_maxmin_num_f32 v5, v6, v5, v7
	v_cndmask_b32_e32 v3, v5, v3, vcc_lo
	v_cmp_u_f32_e32 vcc_lo, v1, v1
	s_delay_alu instid0(VALU_DEP_2) | instskip(SKIP_1) | instid1(VALU_DEP_2)
	v_cndmask_b32_e32 v1, v3, v1, vcc_lo
	v_cmp_u_f32_e32 vcc_lo, v2, v2
	v_cndmask_b32_e32 v1, v1, v2, vcc_lo
	global_store_b32 v4, v1, s[0:1]
	s_wait_xcnt 0x0
	s_or_b32 exec_lo, exec_lo, s17
	s_delay_alu instid0(SALU_CYCLE_1)
	s_mov_b32 s17, exec_lo
	v_cmpx_gt_i32_e64 s39, v0
	s_cbranch_execz .LBB149_4
.LBB149_29:
	s_and_not1_b32 vcc_lo, exec_lo, s35
	s_cbranch_vccnz .LBB149_35
; %bb.30:
	s_and_not1_b32 vcc_lo, exec_lo, s40
	s_cbranch_vccnz .LBB149_36
; %bb.31:
	v_dual_mov_b32 v6, 0 :: v_dual_mov_b32 v1, v0
	v_dual_mov_b32 v7, 0 :: v_dual_mov_b32 v4, 0
	v_mov_b32_e32 v5, 0
	s_add_co_i32 s22, s38, 1
	s_mov_b64 s[28:29], 0xffffffffffffffe0
	s_and_b32 s22, s22, 30
	s_add_nc_u64 s[28:29], s[20:21], s[28:29]
	s_mov_b64 s[30:31], s[20:21]
.LBB149_32:                             ; =>This Inner Loop Header: Depth=1
	s_clause 0x1
	s_load_b128 s[52:55], s[30:31], 0x4
	s_load_b64 s[42:43], s[30:31], 0x14
	s_load_b256 s[44:51], s[28:29], 0xe4
	s_add_co_i32 s22, s22, -2
	s_wait_xcnt 0x0
	s_add_nc_u64 s[30:31], s[30:31], 24
	s_cmp_eq_u32 s22, 0
	s_add_nc_u64 s[28:29], s[28:29], 32
	s_wait_kmcnt 0x0
	v_mul_hi_u32 v2, s53, v1
	s_delay_alu instid0(VALU_DEP_1) | instskip(NEXT) | instid1(VALU_DEP_1)
	v_add_nc_u32_e32 v2, v1, v2
	v_lshrrev_b32_e32 v2, s54, v2
	s_delay_alu instid0(VALU_DEP_1) | instskip(SKIP_1) | instid1(VALU_DEP_1)
	v_mul_hi_u32 v3, s42, v2
	v_mul_lo_u32 v8, v2, s52
	v_dual_add_nc_u32 v3, v2, v3 :: v_dual_sub_nc_u32 v8, v1, v8
	s_delay_alu instid0(VALU_DEP_1) | instskip(NEXT) | instid1(VALU_DEP_2)
	v_lshrrev_b32_e32 v1, s43, v3
	v_mad_u32 v5, v8, s45, v5
	v_mad_u32 v4, v8, s44, v4
	;; [unrolled: 1-line block ×4, first 2 shown]
	v_mul_lo_u32 v3, v1, s55
	s_delay_alu instid0(VALU_DEP_1) | instskip(NEXT) | instid1(VALU_DEP_1)
	v_sub_nc_u32_e32 v2, v2, v3
	v_mad_u32 v5, v2, s49, v5
	v_mad_u32 v4, v2, s48, v4
	;; [unrolled: 1-line block ×4, first 2 shown]
	s_cbranch_scc0 .LBB149_32
; %bb.33:
	s_bitcmp1_b32 s38, 0
	s_cselect_b32 s22, -1, 0
	s_delay_alu instid0(SALU_CYCLE_1)
	s_and_b32 vcc_lo, exec_lo, s22
	s_cbranch_vccnz .LBB149_37
; %bb.34:
	s_load_b96 s[48:50], s[30:31], 0x4
	s_load_b128 s[44:47], s[28:29], 0xe4
	s_wait_kmcnt 0x0
	v_mul_hi_u32 v2, s49, v1
	s_delay_alu instid0(VALU_DEP_1) | instskip(NEXT) | instid1(VALU_DEP_1)
	v_add_nc_u32_e32 v2, v1, v2
	v_lshrrev_b32_e32 v2, s50, v2
	s_delay_alu instid0(VALU_DEP_1) | instskip(NEXT) | instid1(VALU_DEP_1)
	v_mul_lo_u32 v2, v2, s48
	v_sub_nc_u32_e32 v1, v1, v2
	s_delay_alu instid0(VALU_DEP_1)
	v_mad_u32 v4, v1, s44, v4
	v_mad_u32 v5, v1, s45, v5
	;; [unrolled: 1-line block ×4, first 2 shown]
	s_branch .LBB149_37
.LBB149_35:
                                        ; implicit-def: $vgpr5
                                        ; implicit-def: $vgpr4
                                        ; implicit-def: $vgpr7
                                        ; implicit-def: $vgpr6
	s_branch .LBB149_38
.LBB149_36:
	v_dual_mov_b32 v5, 0 :: v_dual_mov_b32 v4, 0
	v_dual_mov_b32 v7, 0 :: v_dual_mov_b32 v6, 0
.LBB149_37:
	s_cbranch_execnz .LBB149_40
.LBB149_38:
	v_mov_b32_e32 v1, 0
	s_and_not1_b32 vcc_lo, exec_lo, s37
	s_delay_alu instid0(VALU_DEP_1) | instskip(NEXT) | instid1(VALU_DEP_1)
	v_mul_u64_e32 v[2:3], s[24:25], v[0:1]
	v_add_nc_u32_e32 v2, v0, v3
	s_delay_alu instid0(VALU_DEP_1) | instskip(NEXT) | instid1(VALU_DEP_1)
	v_lshrrev_b32_e32 v2, s18, v2
	v_mul_lo_u32 v3, v2, s16
	s_delay_alu instid0(VALU_DEP_1) | instskip(NEXT) | instid1(VALU_DEP_1)
	v_sub_nc_u32_e32 v3, v0, v3
	v_mul_lo_u32 v5, v3, s9
	v_mul_lo_u32 v4, v3, s8
	v_mul_lo_u32 v7, v3, s11
	v_mul_lo_u32 v6, v3, s10
	s_cbranch_vccnz .LBB149_40
; %bb.39:
	v_mov_b32_e32 v3, v1
	s_delay_alu instid0(VALU_DEP_1) | instskip(NEXT) | instid1(VALU_DEP_1)
	v_mul_u64_e32 v[8:9], s[26:27], v[2:3]
	v_add_nc_u32_e32 v1, v2, v9
	s_delay_alu instid0(VALU_DEP_1) | instskip(NEXT) | instid1(VALU_DEP_1)
	v_lshrrev_b32_e32 v1, s23, v1
	v_mul_lo_u32 v1, v1, s19
	s_delay_alu instid0(VALU_DEP_1) | instskip(NEXT) | instid1(VALU_DEP_1)
	v_sub_nc_u32_e32 v1, v2, v1
	v_mad_u32 v4, v1, s12, v4
	v_mad_u32 v5, v1, s13, v5
	;; [unrolled: 1-line block ×4, first 2 shown]
.LBB149_40:
	global_load_b32 v1, v6, s[4:5]
	global_load_b32 v2, v5, s[2:3]
	;; [unrolled: 1-line block ×3, first 2 shown]
	s_wait_loadcnt 0x2
	s_wait_xcnt 0x1
	v_dual_max_num_f32 v5, v1, v1 :: v_dual_add_nc_u32 v0, 0x80, v0
	s_wait_loadcnt 0x1
	v_max_num_f32_e32 v6, v2, v2
	s_wait_loadcnt 0x0
	v_cmp_u_f32_e32 vcc_lo, v3, v3
	s_wait_xcnt 0x0
	v_max_num_f32_e32 v7, v3, v3
	s_delay_alu instid0(VALU_DEP_1) | instskip(NEXT) | instid1(VALU_DEP_1)
	v_maxmin_num_f32 v5, v6, v5, v7
	v_cndmask_b32_e32 v3, v5, v3, vcc_lo
	v_cmp_u_f32_e32 vcc_lo, v1, v1
	s_delay_alu instid0(VALU_DEP_2) | instskip(SKIP_1) | instid1(VALU_DEP_2)
	v_cndmask_b32_e32 v1, v3, v1, vcc_lo
	v_cmp_u_f32_e32 vcc_lo, v2, v2
	v_cndmask_b32_e32 v1, v1, v2, vcc_lo
	global_store_b32 v4, v1, s[0:1]
	s_wait_xcnt 0x0
	s_or_b32 exec_lo, exec_lo, s17
	s_delay_alu instid0(SALU_CYCLE_1)
	s_mov_b32 s17, exec_lo
	v_cmpx_gt_i32_e64 s39, v0
	s_cbranch_execz .LBB149_53
.LBB149_41:
	s_and_not1_b32 vcc_lo, exec_lo, s35
	s_cbranch_vccnz .LBB149_47
; %bb.42:
	s_and_not1_b32 vcc_lo, exec_lo, s40
	s_cbranch_vccnz .LBB149_48
; %bb.43:
	v_dual_mov_b32 v5, 0 :: v_dual_mov_b32 v1, v0
	v_dual_mov_b32 v7, 0 :: v_dual_mov_b32 v4, 0
	v_mov_b32_e32 v6, 0
	s_add_co_i32 s22, s38, 1
	s_mov_b64 s[28:29], 0xffffffffffffffe0
	s_and_b32 s22, s22, 30
	s_add_nc_u64 s[28:29], s[20:21], s[28:29]
	s_mov_b64 s[30:31], s[20:21]
.LBB149_44:                             ; =>This Inner Loop Header: Depth=1
	s_clause 0x1
	s_load_b128 s[48:51], s[30:31], 0x4
	s_load_b64 s[52:53], s[30:31], 0x14
	s_load_b256 s[40:47], s[28:29], 0xe4
	s_add_co_i32 s22, s22, -2
	s_wait_xcnt 0x0
	s_add_nc_u64 s[30:31], s[30:31], 24
	s_cmp_eq_u32 s22, 0
	s_add_nc_u64 s[28:29], s[28:29], 32
	s_wait_kmcnt 0x0
	v_mul_hi_u32 v2, s49, v1
	s_delay_alu instid0(VALU_DEP_1) | instskip(NEXT) | instid1(VALU_DEP_1)
	v_add_nc_u32_e32 v2, v1, v2
	v_lshrrev_b32_e32 v2, s50, v2
	s_delay_alu instid0(VALU_DEP_1) | instskip(SKIP_1) | instid1(VALU_DEP_1)
	v_mul_hi_u32 v3, s52, v2
	v_mul_lo_u32 v8, v2, s48
	v_dual_add_nc_u32 v3, v2, v3 :: v_dual_sub_nc_u32 v8, v1, v8
	s_delay_alu instid0(VALU_DEP_1) | instskip(NEXT) | instid1(VALU_DEP_2)
	v_lshrrev_b32_e32 v1, s53, v3
	v_mad_u32 v6, v8, s41, v6
	v_mad_u32 v4, v8, s40, v4
	;; [unrolled: 1-line block ×4, first 2 shown]
	v_mul_lo_u32 v3, v1, s51
	s_delay_alu instid0(VALU_DEP_1) | instskip(NEXT) | instid1(VALU_DEP_1)
	v_sub_nc_u32_e32 v2, v2, v3
	v_mad_u32 v6, v2, s45, v6
	v_mad_u32 v4, v2, s44, v4
	;; [unrolled: 1-line block ×4, first 2 shown]
	s_cbranch_scc0 .LBB149_44
; %bb.45:
	s_bitcmp1_b32 s38, 0
	s_cselect_b32 s22, -1, 0
	s_delay_alu instid0(SALU_CYCLE_1)
	s_and_b32 vcc_lo, exec_lo, s22
	s_cbranch_vccnz .LBB149_49
; %bb.46:
	s_load_b96 s[44:46], s[30:31], 0x4
	s_load_b128 s[40:43], s[28:29], 0xe4
	s_wait_kmcnt 0x0
	v_mul_hi_u32 v2, s45, v1
	s_delay_alu instid0(VALU_DEP_1) | instskip(NEXT) | instid1(VALU_DEP_1)
	v_add_nc_u32_e32 v2, v1, v2
	v_lshrrev_b32_e32 v2, s46, v2
	s_delay_alu instid0(VALU_DEP_1) | instskip(NEXT) | instid1(VALU_DEP_1)
	v_mul_lo_u32 v2, v2, s44
	v_sub_nc_u32_e32 v1, v1, v2
	s_delay_alu instid0(VALU_DEP_1)
	v_mad_u32 v4, v1, s40, v4
	v_mad_u32 v6, v1, s41, v6
	;; [unrolled: 1-line block ×4, first 2 shown]
	s_branch .LBB149_49
.LBB149_47:
                                        ; implicit-def: $vgpr6
                                        ; implicit-def: $vgpr4
                                        ; implicit-def: $vgpr7
                                        ; implicit-def: $vgpr5
	s_branch .LBB149_50
.LBB149_48:
	v_dual_mov_b32 v6, 0 :: v_dual_mov_b32 v4, 0
	v_dual_mov_b32 v7, 0 :: v_dual_mov_b32 v5, 0
.LBB149_49:
	s_cbranch_execnz .LBB149_52
.LBB149_50:
	v_mov_b32_e32 v1, 0
	s_and_not1_b32 vcc_lo, exec_lo, s37
	s_delay_alu instid0(VALU_DEP_1) | instskip(NEXT) | instid1(VALU_DEP_1)
	v_mul_u64_e32 v[2:3], s[24:25], v[0:1]
	v_add_nc_u32_e32 v2, v0, v3
	s_delay_alu instid0(VALU_DEP_1) | instskip(NEXT) | instid1(VALU_DEP_1)
	v_lshrrev_b32_e32 v2, s18, v2
	v_mul_lo_u32 v3, v2, s16
	s_delay_alu instid0(VALU_DEP_1) | instskip(NEXT) | instid1(VALU_DEP_1)
	v_sub_nc_u32_e32 v0, v0, v3
	v_mul_lo_u32 v6, v0, s9
	v_mul_lo_u32 v4, v0, s8
	;; [unrolled: 1-line block ×4, first 2 shown]
	s_cbranch_vccnz .LBB149_52
; %bb.51:
	v_mov_b32_e32 v3, v1
	s_delay_alu instid0(VALU_DEP_1) | instskip(NEXT) | instid1(VALU_DEP_1)
	v_mul_u64_e32 v[0:1], s[26:27], v[2:3]
	v_add_nc_u32_e32 v0, v2, v1
	s_delay_alu instid0(VALU_DEP_1) | instskip(NEXT) | instid1(VALU_DEP_1)
	v_lshrrev_b32_e32 v0, s23, v0
	v_mul_lo_u32 v0, v0, s19
	s_delay_alu instid0(VALU_DEP_1) | instskip(NEXT) | instid1(VALU_DEP_1)
	v_sub_nc_u32_e32 v0, v2, v0
	v_mad_u32 v4, v0, s12, v4
	v_mad_u32 v6, v0, s13, v6
	;; [unrolled: 1-line block ×4, first 2 shown]
.LBB149_52:
	global_load_b32 v0, v5, s[4:5]
	global_load_b32 v1, v6, s[2:3]
	;; [unrolled: 1-line block ×3, first 2 shown]
	s_wait_loadcnt 0x1
	s_wait_xcnt 0x2
	v_dual_max_num_f32 v3, v0, v0 :: v_dual_max_num_f32 v5, v1, v1
	s_wait_loadcnt 0x0
	v_cmp_u_f32_e32 vcc_lo, v2, v2
	s_wait_xcnt 0x1
	v_max_num_f32_e32 v6, v2, v2
	s_delay_alu instid0(VALU_DEP_1) | instskip(NEXT) | instid1(VALU_DEP_1)
	v_maxmin_num_f32 v3, v5, v3, v6
	v_cndmask_b32_e32 v2, v3, v2, vcc_lo
	v_cmp_u_f32_e32 vcc_lo, v0, v0
	s_delay_alu instid0(VALU_DEP_2) | instskip(SKIP_1) | instid1(VALU_DEP_2)
	v_cndmask_b32_e32 v0, v2, v0, vcc_lo
	v_cmp_u_f32_e32 vcc_lo, v1, v1
	v_cndmask_b32_e32 v0, v0, v1, vcc_lo
	global_store_b32 v4, v0, s[0:1]
.LBB149_53:
	s_wait_xcnt 0x0
	s_or_b32 exec_lo, exec_lo, s17
                                        ; implicit-def: $vgpr5
                                        ; implicit-def: $vgpr0
.LBB149_54:
	s_and_not1_saveexec_b32 s0, s36
	s_cbranch_execz .LBB149_61
; %bb.55:
	v_cndmask_b32_e64 v10, 0, 1, s35
	s_and_not1_b32 vcc_lo, exec_lo, s35
	s_cbranch_vccnz .LBB149_62
; %bb.56:
	s_cmp_lg_u32 s33, 0
	s_mov_b32 s4, 0
	s_cbranch_scc0 .LBB149_66
; %bb.57:
	s_min_u32 s5, s34, 15
	v_dual_mov_b32 v2, 0 :: v_dual_mov_b32 v6, v0
	v_dual_mov_b32 v4, 0 :: v_dual_mov_b32 v1, 0
	v_mov_b32_e32 v3, 0
	s_add_co_i32 s2, s5, 1
	s_mov_b64 s[0:1], 0xffffffffffffffe0
	s_and_b32 s6, s2, 30
	s_add_nc_u64 s[0:1], s[20:21], s[0:1]
	s_mov_b64 s[2:3], s[20:21]
.LBB149_58:                             ; =>This Inner Loop Header: Depth=1
	s_clause 0x1
	s_load_b128 s[16:19], s[2:3], 0x4
	s_load_b64 s[22:23], s[2:3], 0x14
	s_load_b256 s[8:15], s[0:1], 0xe4
	s_add_co_i32 s6, s6, -2
	s_wait_xcnt 0x0
	s_add_nc_u64 s[2:3], s[2:3], 24
	s_cmp_lg_u32 s6, 0
	s_add_nc_u64 s[0:1], s[0:1], 32
	s_wait_kmcnt 0x0
	v_mul_hi_u32 v7, s17, v6
	s_delay_alu instid0(VALU_DEP_1) | instskip(NEXT) | instid1(VALU_DEP_1)
	v_add_nc_u32_e32 v7, v6, v7
	v_lshrrev_b32_e32 v7, s18, v7
	s_delay_alu instid0(VALU_DEP_1) | instskip(SKIP_1) | instid1(VALU_DEP_1)
	v_mul_hi_u32 v8, s22, v7
	v_mul_lo_u32 v9, v7, s16
	v_dual_add_nc_u32 v8, v7, v8 :: v_dual_sub_nc_u32 v9, v6, v9
	s_delay_alu instid0(VALU_DEP_1) | instskip(NEXT) | instid1(VALU_DEP_2)
	v_lshrrev_b32_e32 v6, s23, v8
	v_mad_u32 v3, v9, s9, v3
	v_mad_u32 v1, v9, s8, v1
	;; [unrolled: 1-line block ×4, first 2 shown]
	v_mul_lo_u32 v8, v6, s19
	s_delay_alu instid0(VALU_DEP_1) | instskip(NEXT) | instid1(VALU_DEP_1)
	v_sub_nc_u32_e32 v7, v7, v8
	v_mad_u32 v3, v7, s13, v3
	v_mad_u32 v1, v7, s12, v1
	;; [unrolled: 1-line block ×4, first 2 shown]
	s_cbranch_scc1 .LBB149_58
; %bb.59:
	s_bitcmp1_b32 s5, 0
	s_cselect_b32 s5, -1, 0
	s_delay_alu instid0(SALU_CYCLE_1)
	s_and_b32 vcc_lo, exec_lo, s5
	s_cbranch_vccnz .LBB149_63
; %bb.60:
	s_load_b96 s[12:14], s[2:3], 0x4
	s_load_b128 s[8:11], s[0:1], 0xe4
	s_wait_kmcnt 0x0
	v_mul_hi_u32 v7, s13, v6
	s_delay_alu instid0(VALU_DEP_1) | instskip(NEXT) | instid1(VALU_DEP_1)
	v_add_nc_u32_e32 v7, v6, v7
	v_lshrrev_b32_e32 v7, s14, v7
	s_delay_alu instid0(VALU_DEP_1) | instskip(NEXT) | instid1(VALU_DEP_1)
	v_mul_lo_u32 v7, v7, s12
	v_sub_nc_u32_e32 v6, v6, v7
	s_delay_alu instid0(VALU_DEP_1)
	v_mad_u32 v1, v6, s8, v1
	v_mad_u32 v3, v6, s9, v3
	;; [unrolled: 1-line block ×4, first 2 shown]
	s_and_not1_b32 vcc_lo, exec_lo, s4
	s_cbranch_vccz .LBB149_64
	s_branch .LBB149_67
.LBB149_61:
	s_endpgm
.LBB149_62:
	s_mov_b32 s4, -1
                                        ; implicit-def: $vgpr3
                                        ; implicit-def: $vgpr1
                                        ; implicit-def: $vgpr4
                                        ; implicit-def: $vgpr2
.LBB149_63:
	s_delay_alu instid0(SALU_CYCLE_1)
	s_and_not1_b32 vcc_lo, exec_lo, s4
	s_cbranch_vccnz .LBB149_67
.LBB149_64:
	s_clause 0x1
	s_load_b96 s[4:6], s[20:21], 0x4
	s_load_b128 s[0:3], s[20:21], 0xc4
	s_cmp_lt_u32 s33, 2
	s_wait_kmcnt 0x0
	v_mul_hi_u32 v1, s5, v0
	s_delay_alu instid0(VALU_DEP_1) | instskip(NEXT) | instid1(VALU_DEP_1)
	v_add_nc_u32_e32 v1, v0, v1
	v_lshrrev_b32_e32 v6, s6, v1
	s_delay_alu instid0(VALU_DEP_1) | instskip(NEXT) | instid1(VALU_DEP_1)
	v_mul_lo_u32 v1, v6, s4
	v_sub_nc_u32_e32 v2, v0, v1
	s_delay_alu instid0(VALU_DEP_1)
	v_mul_lo_u32 v3, v2, s1
	v_mul_lo_u32 v1, v2, s0
	;; [unrolled: 1-line block ×4, first 2 shown]
	s_cbranch_scc1 .LBB149_67
; %bb.65:
	s_clause 0x1
	s_load_b96 s[4:6], s[20:21], 0x10
	s_load_b128 s[0:3], s[20:21], 0xd4
	s_wait_kmcnt 0x0
	v_mul_hi_u32 v7, s5, v6
	s_delay_alu instid0(VALU_DEP_1) | instskip(NEXT) | instid1(VALU_DEP_1)
	v_add_nc_u32_e32 v7, v6, v7
	v_lshrrev_b32_e32 v7, s6, v7
	s_delay_alu instid0(VALU_DEP_1) | instskip(NEXT) | instid1(VALU_DEP_1)
	v_mul_lo_u32 v7, v7, s4
	v_sub_nc_u32_e32 v6, v6, v7
	s_delay_alu instid0(VALU_DEP_1)
	v_mad_u32 v1, v6, s0, v1
	v_mad_u32 v3, v6, s1, v3
	v_mad_u32 v2, v6, s2, v2
	v_mad_u32 v4, v6, s3, v4
	s_branch .LBB149_67
.LBB149_66:
	v_dual_mov_b32 v3, 0 :: v_dual_mov_b32 v1, 0
	v_dual_mov_b32 v4, 0 :: v_dual_mov_b32 v2, 0
	s_and_not1_b32 vcc_lo, exec_lo, s4
	s_cbranch_vccz .LBB149_64
.LBB149_67:
	v_cmp_ne_u32_e32 vcc_lo, 1, v10
	v_add_nc_u32_e32 v11, 0x80, v0
	s_cbranch_vccnz .LBB149_73
; %bb.68:
	s_cmp_lg_u32 s33, 0
	s_mov_b32 s4, 0
	s_cbranch_scc0 .LBB149_77
; %bb.69:
	s_min_u32 s5, s34, 15
	v_dual_mov_b32 v9, 0 :: v_dual_mov_b32 v12, v11
	v_dual_mov_b32 v8, 0 :: v_dual_mov_b32 v6, 0
	v_mov_b32_e32 v7, 0
	s_add_co_i32 s2, s5, 1
	s_mov_b64 s[0:1], 0xffffffffffffffe0
	s_and_b32 s6, s2, 30
	s_add_nc_u64 s[0:1], s[20:21], s[0:1]
	s_mov_b64 s[2:3], s[20:21]
.LBB149_70:                             ; =>This Inner Loop Header: Depth=1
	s_clause 0x1
	s_load_b128 s[16:19], s[2:3], 0x4
	s_load_b64 s[22:23], s[2:3], 0x14
	s_load_b256 s[8:15], s[0:1], 0xe4
	s_add_co_i32 s6, s6, -2
	s_wait_xcnt 0x0
	s_add_nc_u64 s[2:3], s[2:3], 24
	s_cmp_lg_u32 s6, 0
	s_add_nc_u64 s[0:1], s[0:1], 32
	s_wait_kmcnt 0x0
	v_mul_hi_u32 v13, s17, v12
	s_delay_alu instid0(VALU_DEP_1) | instskip(NEXT) | instid1(VALU_DEP_1)
	v_add_nc_u32_e32 v13, v12, v13
	v_lshrrev_b32_e32 v13, s18, v13
	s_delay_alu instid0(VALU_DEP_1) | instskip(SKIP_1) | instid1(VALU_DEP_1)
	v_mul_hi_u32 v14, s22, v13
	v_mul_lo_u32 v15, v13, s16
	v_dual_add_nc_u32 v14, v13, v14 :: v_dual_sub_nc_u32 v15, v12, v15
	s_delay_alu instid0(VALU_DEP_1) | instskip(NEXT) | instid1(VALU_DEP_2)
	v_lshrrev_b32_e32 v12, s23, v14
	v_mad_u32 v7, v15, s9, v7
	v_mad_u32 v6, v15, s8, v6
	;; [unrolled: 1-line block ×4, first 2 shown]
	v_mul_lo_u32 v14, v12, s19
	s_delay_alu instid0(VALU_DEP_1) | instskip(NEXT) | instid1(VALU_DEP_1)
	v_sub_nc_u32_e32 v13, v13, v14
	v_mad_u32 v7, v13, s13, v7
	v_mad_u32 v6, v13, s12, v6
	v_mad_u32 v8, v13, s15, v8
	v_mad_u32 v9, v13, s14, v9
	s_cbranch_scc1 .LBB149_70
; %bb.71:
	s_bitcmp1_b32 s5, 0
	s_cselect_b32 s5, -1, 0
	s_delay_alu instid0(SALU_CYCLE_1)
	s_and_b32 vcc_lo, exec_lo, s5
	s_cbranch_vccnz .LBB149_74
; %bb.72:
	s_load_b96 s[12:14], s[2:3], 0x4
	s_load_b128 s[8:11], s[0:1], 0xe4
	s_wait_kmcnt 0x0
	v_mul_hi_u32 v13, s13, v12
	s_delay_alu instid0(VALU_DEP_1) | instskip(NEXT) | instid1(VALU_DEP_1)
	v_add_nc_u32_e32 v13, v12, v13
	v_lshrrev_b32_e32 v13, s14, v13
	s_delay_alu instid0(VALU_DEP_1) | instskip(NEXT) | instid1(VALU_DEP_1)
	v_mul_lo_u32 v13, v13, s12
	v_sub_nc_u32_e32 v12, v12, v13
	s_delay_alu instid0(VALU_DEP_1)
	v_mad_u32 v6, v12, s8, v6
	v_mad_u32 v7, v12, s9, v7
	;; [unrolled: 1-line block ×4, first 2 shown]
	s_and_not1_b32 vcc_lo, exec_lo, s4
	s_cbranch_vccz .LBB149_75
	s_branch .LBB149_78
.LBB149_73:
	s_mov_b32 s4, -1
                                        ; implicit-def: $vgpr7
                                        ; implicit-def: $vgpr6
                                        ; implicit-def: $vgpr8
                                        ; implicit-def: $vgpr9
.LBB149_74:
	s_delay_alu instid0(SALU_CYCLE_1)
	s_and_not1_b32 vcc_lo, exec_lo, s4
	s_cbranch_vccnz .LBB149_78
.LBB149_75:
	s_clause 0x1
	s_load_b96 s[4:6], s[20:21], 0x4
	s_load_b128 s[0:3], s[20:21], 0xc4
	s_cmp_lt_u32 s33, 2
	s_wait_kmcnt 0x0
	v_mul_hi_u32 v6, s5, v11
	s_delay_alu instid0(VALU_DEP_1) | instskip(NEXT) | instid1(VALU_DEP_1)
	v_add_nc_u32_e32 v6, v11, v6
	v_lshrrev_b32_e32 v12, s6, v6
	s_delay_alu instid0(VALU_DEP_1) | instskip(NEXT) | instid1(VALU_DEP_1)
	v_mul_lo_u32 v6, v12, s4
	v_sub_nc_u32_e32 v9, v11, v6
	s_delay_alu instid0(VALU_DEP_1)
	v_mul_lo_u32 v7, v9, s1
	v_mul_lo_u32 v6, v9, s0
	;; [unrolled: 1-line block ×4, first 2 shown]
	s_cbranch_scc1 .LBB149_78
; %bb.76:
	s_clause 0x1
	s_load_b96 s[4:6], s[20:21], 0x10
	s_load_b128 s[0:3], s[20:21], 0xd4
	s_wait_kmcnt 0x0
	v_mul_hi_u32 v11, s5, v12
	s_delay_alu instid0(VALU_DEP_1) | instskip(NEXT) | instid1(VALU_DEP_1)
	v_add_nc_u32_e32 v11, v12, v11
	v_lshrrev_b32_e32 v11, s6, v11
	s_delay_alu instid0(VALU_DEP_1) | instskip(NEXT) | instid1(VALU_DEP_1)
	v_mul_lo_u32 v11, v11, s4
	v_sub_nc_u32_e32 v11, v12, v11
	s_delay_alu instid0(VALU_DEP_1)
	v_mad_u32 v6, v11, s0, v6
	v_mad_u32 v7, v11, s1, v7
	;; [unrolled: 1-line block ×4, first 2 shown]
	s_branch .LBB149_78
.LBB149_77:
	v_dual_mov_b32 v7, 0 :: v_dual_mov_b32 v6, 0
	v_dual_mov_b32 v8, 0 :: v_dual_mov_b32 v9, 0
	s_and_not1_b32 vcc_lo, exec_lo, s4
	s_cbranch_vccz .LBB149_75
.LBB149_78:
	v_cmp_ne_u32_e32 vcc_lo, 1, v10
	v_add_nc_u32_e32 v14, 0x100, v0
	s_cbranch_vccnz .LBB149_84
; %bb.79:
	s_cmp_lg_u32 s33, 0
	s_mov_b32 s4, 0
	s_cbranch_scc0 .LBB149_88
; %bb.80:
	s_min_u32 s5, s34, 15
	v_dual_mov_b32 v13, 0 :: v_dual_mov_b32 v15, v14
	v_dual_mov_b32 v12, 0 :: v_dual_mov_b32 v0, 0
	v_mov_b32_e32 v11, 0
	s_add_co_i32 s2, s5, 1
	s_mov_b64 s[0:1], 0xffffffffffffffe0
	s_and_b32 s6, s2, 30
	s_add_nc_u64 s[0:1], s[20:21], s[0:1]
	s_mov_b64 s[2:3], s[20:21]
.LBB149_81:                             ; =>This Inner Loop Header: Depth=1
	s_clause 0x1
	s_load_b128 s[16:19], s[2:3], 0x4
	s_load_b64 s[22:23], s[2:3], 0x14
	s_load_b256 s[8:15], s[0:1], 0xe4
	s_add_co_i32 s6, s6, -2
	s_wait_xcnt 0x0
	s_add_nc_u64 s[2:3], s[2:3], 24
	s_cmp_lg_u32 s6, 0
	s_add_nc_u64 s[0:1], s[0:1], 32
	s_wait_kmcnt 0x0
	v_mul_hi_u32 v16, s17, v15
	s_delay_alu instid0(VALU_DEP_1) | instskip(NEXT) | instid1(VALU_DEP_1)
	v_add_nc_u32_e32 v16, v15, v16
	v_lshrrev_b32_e32 v16, s18, v16
	s_delay_alu instid0(VALU_DEP_1) | instskip(SKIP_1) | instid1(VALU_DEP_1)
	v_mul_hi_u32 v17, s22, v16
	v_mul_lo_u32 v18, v16, s16
	v_dual_add_nc_u32 v17, v16, v17 :: v_dual_sub_nc_u32 v18, v15, v18
	s_delay_alu instid0(VALU_DEP_1) | instskip(NEXT) | instid1(VALU_DEP_2)
	v_lshrrev_b32_e32 v15, s23, v17
	v_mad_u32 v11, v18, s9, v11
	v_mad_u32 v0, v18, s8, v0
	;; [unrolled: 1-line block ×4, first 2 shown]
	v_mul_lo_u32 v17, v15, s19
	s_delay_alu instid0(VALU_DEP_1) | instskip(NEXT) | instid1(VALU_DEP_1)
	v_sub_nc_u32_e32 v16, v16, v17
	v_mad_u32 v11, v16, s13, v11
	v_mad_u32 v0, v16, s12, v0
	;; [unrolled: 1-line block ×4, first 2 shown]
	s_cbranch_scc1 .LBB149_81
; %bb.82:
	s_bitcmp1_b32 s5, 0
	s_cselect_b32 s5, -1, 0
	s_delay_alu instid0(SALU_CYCLE_1)
	s_and_b32 vcc_lo, exec_lo, s5
	s_cbranch_vccnz .LBB149_85
; %bb.83:
	s_load_b96 s[12:14], s[2:3], 0x4
	s_load_b128 s[8:11], s[0:1], 0xe4
	s_wait_kmcnt 0x0
	v_mul_hi_u32 v16, s13, v15
	s_delay_alu instid0(VALU_DEP_1) | instskip(NEXT) | instid1(VALU_DEP_1)
	v_add_nc_u32_e32 v16, v15, v16
	v_lshrrev_b32_e32 v16, s14, v16
	s_delay_alu instid0(VALU_DEP_1) | instskip(NEXT) | instid1(VALU_DEP_1)
	v_mul_lo_u32 v16, v16, s12
	v_sub_nc_u32_e32 v15, v15, v16
	s_delay_alu instid0(VALU_DEP_1)
	v_mad_u32 v0, v15, s8, v0
	v_mad_u32 v11, v15, s9, v11
	v_mad_u32 v13, v15, s10, v13
	v_mad_u32 v12, v15, s11, v12
	s_and_not1_b32 vcc_lo, exec_lo, s4
	s_cbranch_vccz .LBB149_86
	s_branch .LBB149_89
.LBB149_84:
	s_mov_b32 s4, -1
                                        ; implicit-def: $vgpr11
                                        ; implicit-def: $vgpr0
                                        ; implicit-def: $vgpr12
                                        ; implicit-def: $vgpr13
.LBB149_85:
	s_delay_alu instid0(SALU_CYCLE_1)
	s_and_not1_b32 vcc_lo, exec_lo, s4
	s_cbranch_vccnz .LBB149_89
.LBB149_86:
	s_clause 0x1
	s_load_b96 s[4:6], s[20:21], 0x4
	s_load_b128 s[0:3], s[20:21], 0xc4
	s_cmp_lt_u32 s33, 2
	s_wait_kmcnt 0x0
	v_mul_hi_u32 v0, s5, v14
	s_delay_alu instid0(VALU_DEP_1) | instskip(NEXT) | instid1(VALU_DEP_1)
	v_add_nc_u32_e32 v0, v14, v0
	v_lshrrev_b32_e32 v15, s6, v0
	s_delay_alu instid0(VALU_DEP_1) | instskip(NEXT) | instid1(VALU_DEP_1)
	v_mul_lo_u32 v0, v15, s4
	v_sub_nc_u32_e32 v13, v14, v0
	s_delay_alu instid0(VALU_DEP_1)
	v_mul_lo_u32 v11, v13, s1
	v_mul_lo_u32 v0, v13, s0
	;; [unrolled: 1-line block ×4, first 2 shown]
	s_cbranch_scc1 .LBB149_89
; %bb.87:
	s_clause 0x1
	s_load_b96 s[4:6], s[20:21], 0x10
	s_load_b128 s[0:3], s[20:21], 0xd4
	s_wait_kmcnt 0x0
	v_mul_hi_u32 v14, s5, v15
	s_delay_alu instid0(VALU_DEP_1) | instskip(NEXT) | instid1(VALU_DEP_1)
	v_add_nc_u32_e32 v14, v15, v14
	v_lshrrev_b32_e32 v14, s6, v14
	s_delay_alu instid0(VALU_DEP_1) | instskip(NEXT) | instid1(VALU_DEP_1)
	v_mul_lo_u32 v14, v14, s4
	v_sub_nc_u32_e32 v14, v15, v14
	s_delay_alu instid0(VALU_DEP_1)
	v_mad_u32 v0, v14, s0, v0
	v_mad_u32 v11, v14, s1, v11
	;; [unrolled: 1-line block ×4, first 2 shown]
	s_branch .LBB149_89
.LBB149_88:
	v_dual_mov_b32 v11, 0 :: v_dual_mov_b32 v0, 0
	v_dual_mov_b32 v12, 0 :: v_dual_mov_b32 v13, 0
	s_and_not1_b32 vcc_lo, exec_lo, s4
	s_cbranch_vccz .LBB149_86
.LBB149_89:
	v_cmp_ne_u32_e32 vcc_lo, 1, v10
	s_cbranch_vccnz .LBB149_95
; %bb.90:
	s_cmp_lg_u32 s33, 0
	s_mov_b32 s4, 0
	s_cbranch_scc0 .LBB149_99
; %bb.91:
	s_min_u32 s5, s34, 15
	v_dual_mov_b32 v15, 0 :: v_dual_mov_b32 v17, v5
	v_dual_mov_b32 v16, 0 :: v_dual_mov_b32 v10, 0
	v_mov_b32_e32 v14, 0
	s_add_co_i32 s2, s5, 1
	s_mov_b64 s[0:1], 0xffffffffffffffe0
	s_and_b32 s6, s2, 30
	s_add_nc_u64 s[0:1], s[20:21], s[0:1]
	s_mov_b64 s[2:3], s[20:21]
.LBB149_92:                             ; =>This Inner Loop Header: Depth=1
	s_clause 0x1
	s_load_b128 s[16:19], s[2:3], 0x4
	s_load_b64 s[22:23], s[2:3], 0x14
	s_load_b256 s[8:15], s[0:1], 0xe4
	s_add_co_i32 s6, s6, -2
	s_wait_xcnt 0x0
	s_add_nc_u64 s[2:3], s[2:3], 24
	s_cmp_lg_u32 s6, 0
	s_add_nc_u64 s[0:1], s[0:1], 32
	s_wait_kmcnt 0x0
	v_mul_hi_u32 v18, s17, v17
	s_delay_alu instid0(VALU_DEP_1) | instskip(NEXT) | instid1(VALU_DEP_1)
	v_add_nc_u32_e32 v18, v17, v18
	v_lshrrev_b32_e32 v18, s18, v18
	s_delay_alu instid0(VALU_DEP_1) | instskip(SKIP_1) | instid1(VALU_DEP_1)
	v_mul_hi_u32 v19, s22, v18
	v_mul_lo_u32 v20, v18, s16
	v_dual_add_nc_u32 v19, v18, v19 :: v_dual_sub_nc_u32 v20, v17, v20
	s_delay_alu instid0(VALU_DEP_1) | instskip(NEXT) | instid1(VALU_DEP_2)
	v_lshrrev_b32_e32 v17, s23, v19
	v_mad_u32 v14, v20, s9, v14
	v_mad_u32 v10, v20, s8, v10
	v_mad_u32 v16, v20, s11, v16
	v_mad_u32 v15, v20, s10, v15
	v_mul_lo_u32 v19, v17, s19
	s_delay_alu instid0(VALU_DEP_1) | instskip(NEXT) | instid1(VALU_DEP_1)
	v_sub_nc_u32_e32 v18, v18, v19
	v_mad_u32 v14, v18, s13, v14
	v_mad_u32 v10, v18, s12, v10
	;; [unrolled: 1-line block ×4, first 2 shown]
	s_cbranch_scc1 .LBB149_92
; %bb.93:
	s_bitcmp1_b32 s5, 0
	s_cselect_b32 s5, -1, 0
	s_delay_alu instid0(SALU_CYCLE_1)
	s_and_b32 vcc_lo, exec_lo, s5
	s_cbranch_vccnz .LBB149_96
; %bb.94:
	s_load_b96 s[12:14], s[2:3], 0x4
	s_load_b128 s[8:11], s[0:1], 0xe4
	s_wait_kmcnt 0x0
	v_mul_hi_u32 v18, s13, v17
	s_delay_alu instid0(VALU_DEP_1) | instskip(NEXT) | instid1(VALU_DEP_1)
	v_add_nc_u32_e32 v18, v17, v18
	v_lshrrev_b32_e32 v18, s14, v18
	s_delay_alu instid0(VALU_DEP_1) | instskip(NEXT) | instid1(VALU_DEP_1)
	v_mul_lo_u32 v18, v18, s12
	v_sub_nc_u32_e32 v17, v17, v18
	s_delay_alu instid0(VALU_DEP_1)
	v_mad_u32 v10, v17, s8, v10
	v_mad_u32 v14, v17, s9, v14
	;; [unrolled: 1-line block ×4, first 2 shown]
	s_and_not1_b32 vcc_lo, exec_lo, s4
	s_cbranch_vccz .LBB149_97
	s_branch .LBB149_100
.LBB149_95:
	s_mov_b32 s4, -1
                                        ; implicit-def: $vgpr14
                                        ; implicit-def: $vgpr10
                                        ; implicit-def: $vgpr16
                                        ; implicit-def: $vgpr15
.LBB149_96:
	s_delay_alu instid0(SALU_CYCLE_1)
	s_and_not1_b32 vcc_lo, exec_lo, s4
	s_cbranch_vccnz .LBB149_100
.LBB149_97:
	s_clause 0x1
	s_load_b96 s[4:6], s[20:21], 0x4
	s_load_b128 s[0:3], s[20:21], 0xc4
	s_cmp_lt_u32 s33, 2
	s_wait_kmcnt 0x0
	v_mul_hi_u32 v10, s5, v5
	s_delay_alu instid0(VALU_DEP_1) | instskip(NEXT) | instid1(VALU_DEP_1)
	v_add_nc_u32_e32 v10, v5, v10
	v_lshrrev_b32_e32 v17, s6, v10
	s_delay_alu instid0(VALU_DEP_1) | instskip(NEXT) | instid1(VALU_DEP_1)
	v_mul_lo_u32 v10, v17, s4
	v_sub_nc_u32_e32 v5, v5, v10
	s_delay_alu instid0(VALU_DEP_1)
	v_mul_lo_u32 v14, v5, s1
	v_mul_lo_u32 v10, v5, s0
	;; [unrolled: 1-line block ×4, first 2 shown]
	s_cbranch_scc1 .LBB149_100
; %bb.98:
	s_clause 0x1
	s_load_b96 s[4:6], s[20:21], 0x10
	s_load_b128 s[0:3], s[20:21], 0xd4
	s_wait_kmcnt 0x0
	v_mul_hi_u32 v5, s5, v17
	s_delay_alu instid0(VALU_DEP_1) | instskip(NEXT) | instid1(VALU_DEP_1)
	v_add_nc_u32_e32 v5, v17, v5
	v_lshrrev_b32_e32 v5, s6, v5
	s_delay_alu instid0(VALU_DEP_1) | instskip(NEXT) | instid1(VALU_DEP_1)
	v_mul_lo_u32 v5, v5, s4
	v_sub_nc_u32_e32 v5, v17, v5
	s_delay_alu instid0(VALU_DEP_1)
	v_mad_u32 v10, v5, s0, v10
	v_mad_u32 v14, v5, s1, v14
	;; [unrolled: 1-line block ×4, first 2 shown]
	s_branch .LBB149_100
.LBB149_99:
	v_dual_mov_b32 v14, 0 :: v_dual_mov_b32 v10, 0
	v_dual_mov_b32 v16, 0 :: v_dual_mov_b32 v15, 0
	s_and_not1_b32 vcc_lo, exec_lo, s4
	s_cbranch_vccz .LBB149_97
.LBB149_100:
	s_load_b256 s[0:7], s[20:21], 0x1c8
	s_wait_kmcnt 0x0
	global_load_b32 v5, v2, s[4:5]
	global_load_b32 v17, v3, s[2:3]
	;; [unrolled: 1-line block ×12, first 2 shown]
	s_wait_loadcnt 0xb
	s_wait_xcnt 0xb
	v_max_num_f32_e32 v2, v5, v5
	s_wait_loadcnt 0x9
	s_wait_xcnt 0x9
	v_dual_max_num_f32 v3, v17, v17 :: v_dual_max_num_f32 v4, v18, v18
	s_wait_loadcnt 0x7
	s_wait_xcnt 0x6
	v_dual_max_num_f32 v7, v19, v19 :: v_dual_max_num_f32 v8, v20, v20
	s_wait_loadcnt 0x6
	v_max_num_f32_e32 v9, v21, v21
	v_cmp_u_f32_e32 vcc_lo, v18, v18
	v_maxmin_num_f32 v2, v3, v2, v4
	s_wait_loadcnt 0x4
	s_wait_xcnt 0x3
	v_dual_max_num_f32 v11, v22, v22 :: v_dual_max_num_f32 v12, v23, v23
	s_wait_loadcnt 0x2
	s_wait_xcnt 0x1
	v_dual_max_num_f32 v13, v24, v24 :: v_dual_max_num_f32 v14, v25, v25
	v_maxmin_num_f32 v3, v8, v7, v9
	v_cndmask_b32_e32 v2, v2, v18, vcc_lo
	v_cmp_u_f32_e32 vcc_lo, v21, v21
	s_wait_loadcnt 0x0
	v_dual_max_num_f32 v15, v26, v26 :: v_dual_max_num_f32 v16, v27, v27
	v_maxmin_num_f32 v4, v12, v11, v13
	v_cndmask_b32_e32 v3, v3, v21, vcc_lo
	v_cmp_u_f32_e32 vcc_lo, v24, v24
	s_delay_alu instid0(VALU_DEP_4) | instskip(NEXT) | instid1(VALU_DEP_4)
	v_maxmin_num_f32 v7, v15, v14, v16
	v_cndmask_b32_e32 v4, v4, v24, vcc_lo
	v_cmp_u_f32_e32 vcc_lo, v27, v27
	s_delay_alu instid0(VALU_DEP_3)
	v_cndmask_b32_e32 v7, v7, v27, vcc_lo
	v_cmp_u_f32_e32 vcc_lo, v5, v5
	v_cndmask_b32_e32 v2, v2, v5, vcc_lo
	v_cmp_u_f32_e32 vcc_lo, v19, v19
	v_cndmask_b32_e32 v3, v3, v19, vcc_lo
	v_cmp_u_f32_e32 vcc_lo, v22, v22
	v_cndmask_b32_e32 v4, v4, v22, vcc_lo
	v_cmp_u_f32_e32 vcc_lo, v25, v25
	v_cndmask_b32_e32 v5, v7, v25, vcc_lo
	v_cmp_u_f32_e32 vcc_lo, v17, v17
	v_cndmask_b32_e32 v2, v2, v17, vcc_lo
	v_cmp_u_f32_e32 vcc_lo, v20, v20
	v_cndmask_b32_e32 v3, v3, v20, vcc_lo
	v_cmp_u_f32_e32 vcc_lo, v23, v23
	v_cndmask_b32_e32 v4, v4, v23, vcc_lo
	v_cmp_u_f32_e32 vcc_lo, v26, v26
	v_cndmask_b32_e32 v5, v5, v26, vcc_lo
	s_clause 0x3
	global_store_b32 v1, v2, s[0:1]
	global_store_b32 v6, v3, s[0:1]
	;; [unrolled: 1-line block ×4, first 2 shown]
	s_endpgm
	.section	.rodata,"a",@progbits
	.p2align	6, 0x0
	.amdhsa_kernel _ZN2at6native32elementwise_kernel_manual_unrollILi128ELi4EZNS0_22gpu_kernel_impl_nocastIZZZNS0_12_GLOBAL__N_117clamp_kernel_implERNS_18TensorIteratorBaseEENKUlvE_clEvENKUlvE5_clEvEUlfffE_EEvS5_RKT_EUlibE_EEviT1_
		.amdhsa_group_segment_fixed_size 0
		.amdhsa_private_segment_fixed_size 0
		.amdhsa_kernarg_size 504
		.amdhsa_user_sgpr_count 2
		.amdhsa_user_sgpr_dispatch_ptr 0
		.amdhsa_user_sgpr_queue_ptr 0
		.amdhsa_user_sgpr_kernarg_segment_ptr 1
		.amdhsa_user_sgpr_dispatch_id 0
		.amdhsa_user_sgpr_kernarg_preload_length 0
		.amdhsa_user_sgpr_kernarg_preload_offset 0
		.amdhsa_user_sgpr_private_segment_size 0
		.amdhsa_wavefront_size32 1
		.amdhsa_uses_dynamic_stack 0
		.amdhsa_enable_private_segment 0
		.amdhsa_system_sgpr_workgroup_id_x 1
		.amdhsa_system_sgpr_workgroup_id_y 0
		.amdhsa_system_sgpr_workgroup_id_z 0
		.amdhsa_system_sgpr_workgroup_info 0
		.amdhsa_system_vgpr_workitem_id 0
		.amdhsa_next_free_vgpr 28
		.amdhsa_next_free_sgpr 56
		.amdhsa_named_barrier_count 0
		.amdhsa_reserve_vcc 1
		.amdhsa_float_round_mode_32 0
		.amdhsa_float_round_mode_16_64 0
		.amdhsa_float_denorm_mode_32 3
		.amdhsa_float_denorm_mode_16_64 3
		.amdhsa_fp16_overflow 0
		.amdhsa_memory_ordered 1
		.amdhsa_forward_progress 1
		.amdhsa_inst_pref_size 49
		.amdhsa_round_robin_scheduling 0
		.amdhsa_exception_fp_ieee_invalid_op 0
		.amdhsa_exception_fp_denorm_src 0
		.amdhsa_exception_fp_ieee_div_zero 0
		.amdhsa_exception_fp_ieee_overflow 0
		.amdhsa_exception_fp_ieee_underflow 0
		.amdhsa_exception_fp_ieee_inexact 0
		.amdhsa_exception_int_div_zero 0
	.end_amdhsa_kernel
	.section	.text._ZN2at6native32elementwise_kernel_manual_unrollILi128ELi4EZNS0_22gpu_kernel_impl_nocastIZZZNS0_12_GLOBAL__N_117clamp_kernel_implERNS_18TensorIteratorBaseEENKUlvE_clEvENKUlvE5_clEvEUlfffE_EEvS5_RKT_EUlibE_EEviT1_,"axG",@progbits,_ZN2at6native32elementwise_kernel_manual_unrollILi128ELi4EZNS0_22gpu_kernel_impl_nocastIZZZNS0_12_GLOBAL__N_117clamp_kernel_implERNS_18TensorIteratorBaseEENKUlvE_clEvENKUlvE5_clEvEUlfffE_EEvS5_RKT_EUlibE_EEviT1_,comdat
.Lfunc_end149:
	.size	_ZN2at6native32elementwise_kernel_manual_unrollILi128ELi4EZNS0_22gpu_kernel_impl_nocastIZZZNS0_12_GLOBAL__N_117clamp_kernel_implERNS_18TensorIteratorBaseEENKUlvE_clEvENKUlvE5_clEvEUlfffE_EEvS5_RKT_EUlibE_EEviT1_, .Lfunc_end149-_ZN2at6native32elementwise_kernel_manual_unrollILi128ELi4EZNS0_22gpu_kernel_impl_nocastIZZZNS0_12_GLOBAL__N_117clamp_kernel_implERNS_18TensorIteratorBaseEENKUlvE_clEvENKUlvE5_clEvEUlfffE_EEvS5_RKT_EUlibE_EEviT1_
                                        ; -- End function
	.set _ZN2at6native32elementwise_kernel_manual_unrollILi128ELi4EZNS0_22gpu_kernel_impl_nocastIZZZNS0_12_GLOBAL__N_117clamp_kernel_implERNS_18TensorIteratorBaseEENKUlvE_clEvENKUlvE5_clEvEUlfffE_EEvS5_RKT_EUlibE_EEviT1_.num_vgpr, 28
	.set _ZN2at6native32elementwise_kernel_manual_unrollILi128ELi4EZNS0_22gpu_kernel_impl_nocastIZZZNS0_12_GLOBAL__N_117clamp_kernel_implERNS_18TensorIteratorBaseEENKUlvE_clEvENKUlvE5_clEvEUlfffE_EEvS5_RKT_EUlibE_EEviT1_.num_agpr, 0
	.set _ZN2at6native32elementwise_kernel_manual_unrollILi128ELi4EZNS0_22gpu_kernel_impl_nocastIZZZNS0_12_GLOBAL__N_117clamp_kernel_implERNS_18TensorIteratorBaseEENKUlvE_clEvENKUlvE5_clEvEUlfffE_EEvS5_RKT_EUlibE_EEviT1_.numbered_sgpr, 56
	.set _ZN2at6native32elementwise_kernel_manual_unrollILi128ELi4EZNS0_22gpu_kernel_impl_nocastIZZZNS0_12_GLOBAL__N_117clamp_kernel_implERNS_18TensorIteratorBaseEENKUlvE_clEvENKUlvE5_clEvEUlfffE_EEvS5_RKT_EUlibE_EEviT1_.num_named_barrier, 0
	.set _ZN2at6native32elementwise_kernel_manual_unrollILi128ELi4EZNS0_22gpu_kernel_impl_nocastIZZZNS0_12_GLOBAL__N_117clamp_kernel_implERNS_18TensorIteratorBaseEENKUlvE_clEvENKUlvE5_clEvEUlfffE_EEvS5_RKT_EUlibE_EEviT1_.private_seg_size, 0
	.set _ZN2at6native32elementwise_kernel_manual_unrollILi128ELi4EZNS0_22gpu_kernel_impl_nocastIZZZNS0_12_GLOBAL__N_117clamp_kernel_implERNS_18TensorIteratorBaseEENKUlvE_clEvENKUlvE5_clEvEUlfffE_EEvS5_RKT_EUlibE_EEviT1_.uses_vcc, 1
	.set _ZN2at6native32elementwise_kernel_manual_unrollILi128ELi4EZNS0_22gpu_kernel_impl_nocastIZZZNS0_12_GLOBAL__N_117clamp_kernel_implERNS_18TensorIteratorBaseEENKUlvE_clEvENKUlvE5_clEvEUlfffE_EEvS5_RKT_EUlibE_EEviT1_.uses_flat_scratch, 0
	.set _ZN2at6native32elementwise_kernel_manual_unrollILi128ELi4EZNS0_22gpu_kernel_impl_nocastIZZZNS0_12_GLOBAL__N_117clamp_kernel_implERNS_18TensorIteratorBaseEENKUlvE_clEvENKUlvE5_clEvEUlfffE_EEvS5_RKT_EUlibE_EEviT1_.has_dyn_sized_stack, 0
	.set _ZN2at6native32elementwise_kernel_manual_unrollILi128ELi4EZNS0_22gpu_kernel_impl_nocastIZZZNS0_12_GLOBAL__N_117clamp_kernel_implERNS_18TensorIteratorBaseEENKUlvE_clEvENKUlvE5_clEvEUlfffE_EEvS5_RKT_EUlibE_EEviT1_.has_recursion, 0
	.set _ZN2at6native32elementwise_kernel_manual_unrollILi128ELi4EZNS0_22gpu_kernel_impl_nocastIZZZNS0_12_GLOBAL__N_117clamp_kernel_implERNS_18TensorIteratorBaseEENKUlvE_clEvENKUlvE5_clEvEUlfffE_EEvS5_RKT_EUlibE_EEviT1_.has_indirect_call, 0
	.section	.AMDGPU.csdata,"",@progbits
; Kernel info:
; codeLenInByte = 6148
; TotalNumSgprs: 58
; NumVgprs: 28
; ScratchSize: 0
; MemoryBound: 0
; FloatMode: 240
; IeeeMode: 1
; LDSByteSize: 0 bytes/workgroup (compile time only)
; SGPRBlocks: 0
; VGPRBlocks: 1
; NumSGPRsForWavesPerEU: 58
; NumVGPRsForWavesPerEU: 28
; NamedBarCnt: 0
; Occupancy: 16
; WaveLimiterHint : 1
; COMPUTE_PGM_RSRC2:SCRATCH_EN: 0
; COMPUTE_PGM_RSRC2:USER_SGPR: 2
; COMPUTE_PGM_RSRC2:TRAP_HANDLER: 0
; COMPUTE_PGM_RSRC2:TGID_X_EN: 1
; COMPUTE_PGM_RSRC2:TGID_Y_EN: 0
; COMPUTE_PGM_RSRC2:TGID_Z_EN: 0
; COMPUTE_PGM_RSRC2:TIDIG_COMP_CNT: 0
	.section	.text._ZN2at6native32elementwise_kernel_manual_unrollILi128ELi4EZNS0_15gpu_kernel_implIZZZNS0_12_GLOBAL__N_117clamp_kernel_implERNS_18TensorIteratorBaseEENKUlvE_clEvENKUlvE5_clEvEUlfffE_EEvS5_RKT_EUlibE_EEviT1_,"axG",@progbits,_ZN2at6native32elementwise_kernel_manual_unrollILi128ELi4EZNS0_15gpu_kernel_implIZZZNS0_12_GLOBAL__N_117clamp_kernel_implERNS_18TensorIteratorBaseEENKUlvE_clEvENKUlvE5_clEvEUlfffE_EEvS5_RKT_EUlibE_EEviT1_,comdat
	.globl	_ZN2at6native32elementwise_kernel_manual_unrollILi128ELi4EZNS0_15gpu_kernel_implIZZZNS0_12_GLOBAL__N_117clamp_kernel_implERNS_18TensorIteratorBaseEENKUlvE_clEvENKUlvE5_clEvEUlfffE_EEvS5_RKT_EUlibE_EEviT1_ ; -- Begin function _ZN2at6native32elementwise_kernel_manual_unrollILi128ELi4EZNS0_15gpu_kernel_implIZZZNS0_12_GLOBAL__N_117clamp_kernel_implERNS_18TensorIteratorBaseEENKUlvE_clEvENKUlvE5_clEvEUlfffE_EEvS5_RKT_EUlibE_EEviT1_
	.p2align	8
	.type	_ZN2at6native32elementwise_kernel_manual_unrollILi128ELi4EZNS0_15gpu_kernel_implIZZZNS0_12_GLOBAL__N_117clamp_kernel_implERNS_18TensorIteratorBaseEENKUlvE_clEvENKUlvE5_clEvEUlfffE_EEvS5_RKT_EUlibE_EEviT1_,@function
_ZN2at6native32elementwise_kernel_manual_unrollILi128ELi4EZNS0_15gpu_kernel_implIZZZNS0_12_GLOBAL__N_117clamp_kernel_implERNS_18TensorIteratorBaseEENKUlvE_clEvENKUlvE5_clEvEUlfffE_EEvS5_RKT_EUlibE_EEviT1_: ; @_ZN2at6native32elementwise_kernel_manual_unrollILi128ELi4EZNS0_15gpu_kernel_implIZZZNS0_12_GLOBAL__N_117clamp_kernel_implERNS_18TensorIteratorBaseEENKUlvE_clEvENKUlvE5_clEvEUlfffE_EEvS5_RKT_EUlibE_EEviT1_
; %bb.0:
	v_mov_b32_e32 v1, 0
	s_bfe_u32 s3, ttmp6, 0x4000c
	s_clause 0x1
	s_load_b128 s[12:15], s[0:1], 0x28
	s_load_b256 s[4:11], s[0:1], 0x8
	s_add_co_i32 s3, s3, 1
	global_load_b32 v1, v1, s[0:1] offset:57
	s_load_b32 s20, s[0:1], 0x0
	s_and_b32 s16, ttmp6, 15
	s_wait_xcnt 0x0
	s_mul_i32 s0, ttmp9, s3
	s_getreg_b32 s18, hwreg(HW_REG_IB_STS2, 6, 4)
	s_add_co_i32 s16, s16, s0
	s_mov_b32 s19, 0
	s_wait_loadcnt 0x0
	v_readfirstlane_b32 s2, v1
	s_lshr_b32 s3, s2, 16
	s_lshr_b32 s17, s2, 8
	;; [unrolled: 1-line block ×3, first 2 shown]
	s_cmp_eq_u32 s18, 0
	s_cselect_b32 s0, ttmp9, s16
	s_mov_b32 s16, 0
	v_lshl_or_b32 v8, s0, 9, v0
	s_mov_b32 s0, exec_lo
	s_delay_alu instid0(VALU_DEP_1) | instskip(SKIP_1) | instid1(VALU_DEP_1)
	v_or_b32_e32 v0, 0x180, v8
	s_wait_kmcnt 0x0
	v_cmpx_le_i32_e64 s20, v0
	s_xor_b32 s18, exec_lo, s0
	s_cbranch_execz .LBB150_2063
; %bb.1:
	s_mov_b32 s28, -1
	s_mov_b32 s25, 0
	s_mov_b32 s23, 0
	;; [unrolled: 1-line block ×4, first 2 shown]
	s_mov_b32 s24, exec_lo
	v_cmpx_gt_i32_e64 s20, v8
	s_cbranch_execz .LBB150_512
; %bb.2:
	v_mul_lo_u32 v0, v8, s13
	s_and_b32 s0, s17, 0xff
	s_delay_alu instid0(SALU_CYCLE_1) | instskip(NEXT) | instid1(VALU_DEP_1)
	s_cmp_lt_i32 s0, 11
	v_ashrrev_i32_e32 v1, 31, v0
	s_delay_alu instid0(VALU_DEP_1)
	v_add_nc_u64_e32 v[0:1], s[6:7], v[0:1]
	s_cbranch_scc1 .LBB150_9
; %bb.3:
	s_and_b32 s19, 0xffff, s0
	s_delay_alu instid0(SALU_CYCLE_1)
	s_cmp_gt_i32 s19, 25
	s_cbranch_scc0 .LBB150_18
; %bb.4:
	s_cmp_gt_i32 s19, 28
	s_cbranch_scc0 .LBB150_28
; %bb.5:
	;; [unrolled: 3-line block ×4, first 2 shown]
	s_cmp_eq_u32 s19, 46
	s_cbranch_scc0 .LBB150_37
; %bb.8:
	global_load_b32 v2, v[0:1], off
	s_mov_b32 s21, -1
	s_wait_loadcnt 0x0
	v_lshlrev_b32_e32 v2, 16, v2
	s_branch .LBB150_39
.LBB150_9:
                                        ; implicit-def: $vgpr2
	s_cbranch_execnz .LBB150_105
.LBB150_10:
	s_and_not1_b32 vcc_lo, exec_lo, s21
	s_cbranch_vccnz .LBB150_152
.LBB150_11:
	s_wait_xcnt 0x0
	v_mul_lo_u32 v0, v8, s14
	s_and_b32 s0, s3, 0xff
	s_delay_alu instid0(SALU_CYCLE_1) | instskip(NEXT) | instid1(VALU_DEP_1)
	s_cmp_lt_i32 s0, 11
	v_ashrrev_i32_e32 v1, 31, v0
	s_delay_alu instid0(VALU_DEP_1)
	v_add_nc_u64_e32 v[0:1], s[8:9], v[0:1]
	s_cbranch_scc1 .LBB150_19
; %bb.12:
	s_and_b32 s19, 0xffff, s0
	s_delay_alu instid0(SALU_CYCLE_1)
	s_cmp_gt_i32 s19, 25
	s_cbranch_scc0 .LBB150_29
; %bb.13:
	s_cmp_gt_i32 s19, 28
	s_cbranch_scc0 .LBB150_32
; %bb.14:
	;; [unrolled: 3-line block ×4, first 2 shown]
	s_cmp_eq_u32 s19, 46
	s_mov_b32 s26, 0
	s_cbranch_scc0 .LBB150_153
; %bb.17:
	global_load_b32 v3, v[0:1], off
	s_mov_b32 s21, -1
	s_mov_b32 s22, 0
	s_wait_loadcnt 0x0
	v_lshlrev_b32_e32 v3, 16, v3
	s_branch .LBB150_155
.LBB150_18:
                                        ; implicit-def: $vgpr2
	s_cbranch_execnz .LBB150_70
	s_branch .LBB150_104
.LBB150_19:
	s_mov_b32 s22, 0
	s_mov_b32 s21, 0
                                        ; implicit-def: $vgpr3
	s_cbranch_execnz .LBB150_221
.LBB150_20:
	s_and_not1_b32 vcc_lo, exec_lo, s21
	s_cbranch_vccnz .LBB150_269
.LBB150_21:
	s_wait_xcnt 0x0
	v_mul_lo_u32 v0, v8, s15
	s_and_b32 s0, 0xffff, s1
	s_delay_alu instid0(SALU_CYCLE_1) | instskip(NEXT) | instid1(VALU_DEP_1)
	s_cmp_lt_i32 s0, 11
	v_ashrrev_i32_e32 v1, 31, v0
	s_delay_alu instid0(VALU_DEP_1)
	v_add_nc_u64_e32 v[0:1], s[10:11], v[0:1]
	s_cbranch_scc1 .LBB150_30
; %bb.22:
	s_cmp_gt_i32 s0, 25
	s_cbranch_scc0 .LBB150_33
; %bb.23:
	s_cmp_gt_i32 s0, 28
	s_cbranch_scc0 .LBB150_36
	;; [unrolled: 3-line block ×4, first 2 shown]
; %bb.26:
	s_cmp_eq_u32 s0, 46
	s_mov_b32 s26, 0
	s_cbranch_scc0 .LBB150_270
; %bb.27:
	global_load_b32 v4, v[0:1], off
	s_mov_b32 s19, -1
	s_mov_b32 s21, 0
	s_wait_loadcnt 0x0
	v_lshlrev_b32_e32 v4, 16, v4
	s_branch .LBB150_272
.LBB150_28:
	s_mov_b32 s22, -1
                                        ; implicit-def: $vgpr2
	s_branch .LBB150_51
.LBB150_29:
	s_mov_b32 s26, -1
	s_mov_b32 s22, 0
	s_mov_b32 s21, 0
                                        ; implicit-def: $vgpr3
	s_branch .LBB150_185
.LBB150_30:
	s_mov_b32 s26, -1
	s_mov_b32 s21, 0
	s_mov_b32 s19, 0
                                        ; implicit-def: $vgpr4
	s_branch .LBB150_337
.LBB150_31:
	s_mov_b32 s22, -1
                                        ; implicit-def: $vgpr2
	s_branch .LBB150_46
.LBB150_32:
	s_mov_b32 s26, -1
	s_mov_b32 s22, 0
	s_mov_b32 s21, 0
                                        ; implicit-def: $vgpr3
	s_branch .LBB150_166
.LBB150_33:
	s_mov_b32 s26, -1
	s_mov_b32 s21, 0
	s_mov_b32 s19, 0
                                        ; implicit-def: $vgpr4
	s_branch .LBB150_301
.LBB150_34:
	s_mov_b32 s22, -1
	s_branch .LBB150_38
.LBB150_35:
	s_mov_b32 s26, -1
	s_mov_b32 s22, 0
	s_mov_b32 s21, 0
                                        ; implicit-def: $vgpr3
	s_branch .LBB150_161
.LBB150_36:
	s_mov_b32 s26, -1
	s_mov_b32 s21, 0
	s_mov_b32 s19, 0
                                        ; implicit-def: $vgpr4
	s_branch .LBB150_282
.LBB150_37:
	s_mov_b32 s23, -1
.LBB150_38:
                                        ; implicit-def: $vgpr2
.LBB150_39:
	s_and_b32 vcc_lo, exec_lo, s22
	s_cbranch_vccz .LBB150_45
; %bb.40:
	s_cmp_eq_u32 s19, 44
	s_cbranch_scc0 .LBB150_44
; %bb.41:
	global_load_u8 v2, v[0:1], off
	s_mov_b32 s23, 0
	s_mov_b32 s21, -1
	s_wait_loadcnt 0x0
	v_lshlrev_b32_e32 v3, 23, v2
	v_cmp_ne_u32_e32 vcc_lo, 0xff, v2
	s_delay_alu instid0(VALU_DEP_2) | instskip(SKIP_1) | instid1(VALU_DEP_2)
	v_cndmask_b32_e32 v3, 0x7f800001, v3, vcc_lo
	v_cmp_ne_u32_e32 vcc_lo, 0, v2
	v_cndmask_b32_e32 v2, 0x400000, v3, vcc_lo
	s_branch .LBB150_45
.LBB150_42:
	s_mov_b32 s26, -1
	s_mov_b32 s22, 0
	s_branch .LBB150_154
.LBB150_43:
	s_mov_b32 s26, -1
	s_mov_b32 s21, 0
	s_mov_b32 s19, 0
                                        ; implicit-def: $vgpr4
	s_branch .LBB150_277
.LBB150_44:
	s_mov_b32 s23, -1
                                        ; implicit-def: $vgpr2
.LBB150_45:
	s_mov_b32 s22, 0
.LBB150_46:
	s_delay_alu instid0(SALU_CYCLE_1)
	s_and_b32 vcc_lo, exec_lo, s22
	s_cbranch_vccz .LBB150_50
; %bb.47:
	s_cmp_eq_u32 s19, 29
	s_cbranch_scc0 .LBB150_49
; %bb.48:
	global_load_b64 v[2:3], v[0:1], off
	s_mov_b32 s21, -1
	s_mov_b32 s23, 0
	s_mov_b32 s22, 0
	s_wait_loadcnt 0x0
	v_clz_i32_u32_e32 v4, v3
	s_delay_alu instid0(VALU_DEP_1) | instskip(NEXT) | instid1(VALU_DEP_1)
	v_min_u32_e32 v4, 32, v4
	v_lshlrev_b64_e32 v[2:3], v4, v[2:3]
	s_delay_alu instid0(VALU_DEP_1) | instskip(NEXT) | instid1(VALU_DEP_1)
	v_min_u32_e32 v2, 1, v2
	v_dual_sub_nc_u32 v3, 32, v4 :: v_dual_bitop2_b32 v2, v3, v2 bitop3:0x54
	s_delay_alu instid0(VALU_DEP_1) | instskip(NEXT) | instid1(VALU_DEP_1)
	v_cvt_f32_u32_e32 v2, v2
	v_ldexp_f32 v2, v2, v3
	s_branch .LBB150_51
.LBB150_49:
	s_mov_b32 s23, -1
                                        ; implicit-def: $vgpr2
.LBB150_50:
	s_mov_b32 s22, 0
.LBB150_51:
	s_delay_alu instid0(SALU_CYCLE_1)
	s_and_b32 vcc_lo, exec_lo, s22
	s_cbranch_vccz .LBB150_69
; %bb.52:
	s_cmp_lt_i32 s19, 27
	s_cbranch_scc1 .LBB150_55
; %bb.53:
	s_cmp_gt_i32 s19, 27
	s_cbranch_scc0 .LBB150_56
; %bb.54:
	global_load_b32 v2, v[0:1], off
	s_mov_b32 s21, 0
	s_wait_loadcnt 0x0
	v_cvt_f32_u32_e32 v2, v2
	s_branch .LBB150_57
.LBB150_55:
	s_mov_b32 s21, -1
                                        ; implicit-def: $vgpr2
	s_branch .LBB150_60
.LBB150_56:
	s_mov_b32 s21, -1
                                        ; implicit-def: $vgpr2
.LBB150_57:
	s_delay_alu instid0(SALU_CYCLE_1)
	s_and_not1_b32 vcc_lo, exec_lo, s21
	s_cbranch_vccnz .LBB150_59
; %bb.58:
	global_load_u16 v2, v[0:1], off
	s_wait_loadcnt 0x0
	v_cvt_f32_u32_e32 v2, v2
.LBB150_59:
	s_mov_b32 s21, 0
.LBB150_60:
	s_delay_alu instid0(SALU_CYCLE_1)
	s_and_not1_b32 vcc_lo, exec_lo, s21
	s_cbranch_vccnz .LBB150_68
; %bb.61:
	global_load_u8 v3, v[0:1], off
	s_mov_b32 s21, 0
	s_mov_b32 s22, exec_lo
	s_wait_loadcnt 0x0
	v_cmpx_lt_i16_e32 0x7f, v3
	s_xor_b32 s22, exec_lo, s22
	s_cbranch_execz .LBB150_81
; %bb.62:
	s_mov_b32 s21, -1
	s_mov_b32 s26, exec_lo
	v_cmpx_eq_u16_e32 0x80, v3
; %bb.63:
	s_xor_b32 s21, exec_lo, -1
; %bb.64:
	s_or_b32 exec_lo, exec_lo, s26
	s_delay_alu instid0(SALU_CYCLE_1)
	s_and_b32 s21, s21, exec_lo
	s_or_saveexec_b32 s22, s22
	v_mov_b32_e32 v2, 0x7f800001
	s_xor_b32 exec_lo, exec_lo, s22
	s_cbranch_execnz .LBB150_82
.LBB150_65:
	s_or_b32 exec_lo, exec_lo, s22
	s_and_saveexec_b32 s22, s21
	s_cbranch_execz .LBB150_67
.LBB150_66:
	v_and_b32_e32 v2, 0xffff, v3
	s_delay_alu instid0(VALU_DEP_1) | instskip(SKIP_1) | instid1(VALU_DEP_2)
	v_and_b32_e32 v4, 7, v2
	v_bfe_u32 v7, v2, 3, 4
	v_clz_i32_u32_e32 v5, v4
	s_delay_alu instid0(VALU_DEP_2) | instskip(NEXT) | instid1(VALU_DEP_2)
	v_cmp_eq_u32_e32 vcc_lo, 0, v7
	v_min_u32_e32 v5, 32, v5
	s_delay_alu instid0(VALU_DEP_1) | instskip(NEXT) | instid1(VALU_DEP_1)
	v_subrev_nc_u32_e32 v6, 28, v5
	v_dual_lshlrev_b32 v2, v6, v2 :: v_dual_sub_nc_u32 v5, 29, v5
	s_delay_alu instid0(VALU_DEP_1) | instskip(NEXT) | instid1(VALU_DEP_1)
	v_dual_lshlrev_b32 v3, 24, v3 :: v_dual_bitop2_b32 v2, 7, v2 bitop3:0x40
	v_dual_cndmask_b32 v5, v7, v5 :: v_dual_cndmask_b32 v2, v4, v2
	s_delay_alu instid0(VALU_DEP_2) | instskip(NEXT) | instid1(VALU_DEP_2)
	v_and_b32_e32 v3, 0x80000000, v3
	v_lshl_add_u32 v4, v5, 23, 0x3b800000
	s_delay_alu instid0(VALU_DEP_3) | instskip(NEXT) | instid1(VALU_DEP_1)
	v_lshlrev_b32_e32 v2, 20, v2
	v_or3_b32 v2, v3, v4, v2
.LBB150_67:
	s_or_b32 exec_lo, exec_lo, s22
.LBB150_68:
	s_mov_b32 s21, -1
.LBB150_69:
	s_branch .LBB150_104
.LBB150_70:
	s_cmp_gt_i32 s19, 22
	s_cbranch_scc0 .LBB150_80
; %bb.71:
	s_cmp_lt_i32 s19, 24
	s_cbranch_scc1 .LBB150_83
; %bb.72:
	s_cmp_gt_i32 s19, 24
	s_cbranch_scc0 .LBB150_84
; %bb.73:
	global_load_u8 v3, v[0:1], off
	s_mov_b32 s21, 0
	s_mov_b32 s22, exec_lo
	s_wait_loadcnt 0x0
	v_cmpx_lt_i16_e32 0x7f, v3
	s_xor_b32 s22, exec_lo, s22
	s_cbranch_execz .LBB150_96
; %bb.74:
	s_mov_b32 s21, -1
	s_mov_b32 s26, exec_lo
	v_cmpx_eq_u16_e32 0x80, v3
; %bb.75:
	s_xor_b32 s21, exec_lo, -1
; %bb.76:
	s_or_b32 exec_lo, exec_lo, s26
	s_delay_alu instid0(SALU_CYCLE_1)
	s_and_b32 s21, s21, exec_lo
	s_or_saveexec_b32 s22, s22
	v_mov_b32_e32 v2, 0x7f800001
	s_xor_b32 exec_lo, exec_lo, s22
	s_cbranch_execnz .LBB150_97
.LBB150_77:
	s_or_b32 exec_lo, exec_lo, s22
	s_and_saveexec_b32 s22, s21
	s_cbranch_execz .LBB150_79
.LBB150_78:
	v_and_b32_e32 v2, 0xffff, v3
	s_delay_alu instid0(VALU_DEP_1) | instskip(SKIP_1) | instid1(VALU_DEP_2)
	v_and_b32_e32 v4, 3, v2
	v_bfe_u32 v7, v2, 2, 5
	v_clz_i32_u32_e32 v5, v4
	s_delay_alu instid0(VALU_DEP_2) | instskip(NEXT) | instid1(VALU_DEP_2)
	v_cmp_eq_u32_e32 vcc_lo, 0, v7
	v_min_u32_e32 v5, 32, v5
	s_delay_alu instid0(VALU_DEP_1) | instskip(NEXT) | instid1(VALU_DEP_1)
	v_subrev_nc_u32_e32 v6, 29, v5
	v_dual_lshlrev_b32 v2, v6, v2 :: v_dual_sub_nc_u32 v5, 30, v5
	s_delay_alu instid0(VALU_DEP_1) | instskip(NEXT) | instid1(VALU_DEP_1)
	v_dual_lshlrev_b32 v3, 24, v3 :: v_dual_bitop2_b32 v2, 3, v2 bitop3:0x40
	v_dual_cndmask_b32 v5, v7, v5 :: v_dual_cndmask_b32 v2, v4, v2
	s_delay_alu instid0(VALU_DEP_2) | instskip(NEXT) | instid1(VALU_DEP_2)
	v_and_b32_e32 v3, 0x80000000, v3
	v_lshl_add_u32 v4, v5, 23, 0x37800000
	s_delay_alu instid0(VALU_DEP_3) | instskip(NEXT) | instid1(VALU_DEP_1)
	v_lshlrev_b32_e32 v2, 21, v2
	v_or3_b32 v2, v3, v4, v2
.LBB150_79:
	s_or_b32 exec_lo, exec_lo, s22
	s_mov_b32 s21, 0
	s_branch .LBB150_85
.LBB150_80:
	s_mov_b32 s22, -1
                                        ; implicit-def: $vgpr2
	s_branch .LBB150_91
.LBB150_81:
	s_or_saveexec_b32 s22, s22
	v_mov_b32_e32 v2, 0x7f800001
	s_xor_b32 exec_lo, exec_lo, s22
	s_cbranch_execz .LBB150_65
.LBB150_82:
	v_cmp_ne_u16_e32 vcc_lo, 0, v3
	v_mov_b32_e32 v2, 0
	s_and_not1_b32 s21, s21, exec_lo
	s_and_b32 s26, vcc_lo, exec_lo
	s_delay_alu instid0(SALU_CYCLE_1)
	s_or_b32 s21, s21, s26
	s_or_b32 exec_lo, exec_lo, s22
	s_and_saveexec_b32 s22, s21
	s_cbranch_execnz .LBB150_66
	s_branch .LBB150_67
.LBB150_83:
	s_mov_b32 s21, -1
                                        ; implicit-def: $vgpr2
	s_branch .LBB150_88
.LBB150_84:
	s_mov_b32 s21, -1
                                        ; implicit-def: $vgpr2
.LBB150_85:
	s_delay_alu instid0(SALU_CYCLE_1)
	s_and_b32 vcc_lo, exec_lo, s21
	s_cbranch_vccz .LBB150_87
; %bb.86:
	global_load_u8 v2, v[0:1], off
	s_wait_loadcnt 0x0
	v_lshlrev_b32_e32 v2, 24, v2
	s_delay_alu instid0(VALU_DEP_1) | instskip(NEXT) | instid1(VALU_DEP_1)
	v_and_b32_e32 v3, 0x7f000000, v2
	v_clz_i32_u32_e32 v4, v3
	v_cmp_ne_u32_e32 vcc_lo, 0, v3
	v_add_nc_u32_e32 v6, 0x1000000, v3
	s_delay_alu instid0(VALU_DEP_3) | instskip(NEXT) | instid1(VALU_DEP_1)
	v_min_u32_e32 v4, 32, v4
	v_sub_nc_u32_e64 v4, v4, 4 clamp
	s_delay_alu instid0(VALU_DEP_1) | instskip(NEXT) | instid1(VALU_DEP_1)
	v_dual_lshlrev_b32 v5, v4, v3 :: v_dual_lshlrev_b32 v4, 23, v4
	v_lshrrev_b32_e32 v5, 4, v5
	s_delay_alu instid0(VALU_DEP_1) | instskip(NEXT) | instid1(VALU_DEP_1)
	v_dual_sub_nc_u32 v4, v5, v4 :: v_dual_ashrrev_i32 v5, 8, v6
	v_add_nc_u32_e32 v4, 0x3c000000, v4
	s_delay_alu instid0(VALU_DEP_1) | instskip(NEXT) | instid1(VALU_DEP_1)
	v_and_or_b32 v4, 0x7f800000, v5, v4
	v_cndmask_b32_e32 v3, 0, v4, vcc_lo
	s_delay_alu instid0(VALU_DEP_1)
	v_and_or_b32 v2, 0x80000000, v2, v3
.LBB150_87:
	s_mov_b32 s21, 0
.LBB150_88:
	s_delay_alu instid0(SALU_CYCLE_1)
	s_and_not1_b32 vcc_lo, exec_lo, s21
	s_cbranch_vccnz .LBB150_90
; %bb.89:
	global_load_u8 v2, v[0:1], off
	s_wait_loadcnt 0x0
	v_lshlrev_b32_e32 v3, 25, v2
	v_lshlrev_b16 v2, 8, v2
	s_delay_alu instid0(VALU_DEP_1) | instskip(SKIP_1) | instid1(VALU_DEP_2)
	v_and_or_b32 v5, 0x7f00, v2, 0.5
	v_bfe_i32 v2, v2, 0, 16
	v_dual_add_f32 v5, -0.5, v5 :: v_dual_lshrrev_b32 v4, 4, v3
	v_cmp_gt_u32_e32 vcc_lo, 0x8000000, v3
	s_delay_alu instid0(VALU_DEP_2) | instskip(NEXT) | instid1(VALU_DEP_1)
	v_or_b32_e32 v4, 0x70000000, v4
	v_mul_f32_e32 v4, 0x7800000, v4
	s_delay_alu instid0(VALU_DEP_1) | instskip(NEXT) | instid1(VALU_DEP_1)
	v_cndmask_b32_e32 v3, v4, v5, vcc_lo
	v_and_or_b32 v2, 0x80000000, v2, v3
.LBB150_90:
	s_mov_b32 s22, 0
	s_mov_b32 s21, -1
.LBB150_91:
	s_and_not1_b32 vcc_lo, exec_lo, s22
	s_cbranch_vccnz .LBB150_104
; %bb.92:
	s_cmp_gt_i32 s19, 14
	s_cbranch_scc0 .LBB150_95
; %bb.93:
	s_cmp_eq_u32 s19, 15
	s_cbranch_scc0 .LBB150_98
; %bb.94:
	global_load_u16 v2, v[0:1], off
	s_mov_b32 s21, -1
	s_mov_b32 s23, 0
	s_wait_loadcnt 0x0
	v_lshlrev_b32_e32 v2, 16, v2
	s_branch .LBB150_99
.LBB150_95:
	s_mov_b32 s22, -1
                                        ; implicit-def: $vgpr2
	s_branch .LBB150_100
.LBB150_96:
	s_or_saveexec_b32 s22, s22
	v_mov_b32_e32 v2, 0x7f800001
	s_xor_b32 exec_lo, exec_lo, s22
	s_cbranch_execz .LBB150_77
.LBB150_97:
	v_cmp_ne_u16_e32 vcc_lo, 0, v3
	v_mov_b32_e32 v2, 0
	s_and_not1_b32 s21, s21, exec_lo
	s_and_b32 s26, vcc_lo, exec_lo
	s_delay_alu instid0(SALU_CYCLE_1)
	s_or_b32 s21, s21, s26
	s_or_b32 exec_lo, exec_lo, s22
	s_and_saveexec_b32 s22, s21
	s_cbranch_execnz .LBB150_78
	s_branch .LBB150_79
.LBB150_98:
	s_mov_b32 s23, -1
                                        ; implicit-def: $vgpr2
.LBB150_99:
	s_mov_b32 s22, 0
.LBB150_100:
	s_delay_alu instid0(SALU_CYCLE_1)
	s_and_b32 vcc_lo, exec_lo, s22
	s_cbranch_vccz .LBB150_104
; %bb.101:
	s_cmp_eq_u32 s19, 11
	s_cbranch_scc0 .LBB150_103
; %bb.102:
	global_load_u8 v2, v[0:1], off
	s_mov_b32 s23, 0
	s_mov_b32 s21, -1
	s_wait_loadcnt 0x0
	v_cmp_ne_u16_e32 vcc_lo, 0, v2
	v_cndmask_b32_e64 v2, 0, 1.0, vcc_lo
	s_branch .LBB150_104
.LBB150_103:
	s_mov_b32 s23, -1
                                        ; implicit-def: $vgpr2
.LBB150_104:
	s_branch .LBB150_10
.LBB150_105:
	s_and_b32 s0, 0xffff, s0
	s_delay_alu instid0(SALU_CYCLE_1)
	s_cmp_lt_i32 s0, 5
	s_cbranch_scc1 .LBB150_110
; %bb.106:
	s_cmp_lt_i32 s0, 8
	s_cbranch_scc1 .LBB150_111
; %bb.107:
	s_cmp_lt_i32 s0, 9
	s_cbranch_scc1 .LBB150_112
; %bb.108:
	s_cmp_gt_i32 s0, 9
	s_cbranch_scc0 .LBB150_113
; %bb.109:
	global_load_b64 v[2:3], v[0:1], off
	s_mov_b32 s19, 0
	s_wait_loadcnt 0x0
	v_cvt_f32_f64_e32 v2, v[2:3]
	s_branch .LBB150_114
.LBB150_110:
                                        ; implicit-def: $vgpr2
	s_branch .LBB150_132
.LBB150_111:
	s_mov_b32 s19, -1
                                        ; implicit-def: $vgpr2
	s_branch .LBB150_120
.LBB150_112:
	s_mov_b32 s19, -1
                                        ; implicit-def: $vgpr2
	s_branch .LBB150_117
.LBB150_113:
	s_mov_b32 s19, -1
                                        ; implicit-def: $vgpr2
.LBB150_114:
	s_delay_alu instid0(SALU_CYCLE_1)
	s_and_not1_b32 vcc_lo, exec_lo, s19
	s_cbranch_vccnz .LBB150_116
; %bb.115:
	global_load_b32 v2, v[0:1], off
.LBB150_116:
	s_mov_b32 s19, 0
.LBB150_117:
	s_delay_alu instid0(SALU_CYCLE_1)
	s_and_not1_b32 vcc_lo, exec_lo, s19
	s_cbranch_vccnz .LBB150_119
; %bb.118:
	s_wait_loadcnt 0x0
	global_load_b32 v2, v[0:1], off
	s_wait_loadcnt 0x0
	v_cvt_f32_f16_e32 v2, v2
.LBB150_119:
	s_mov_b32 s19, 0
.LBB150_120:
	s_delay_alu instid0(SALU_CYCLE_1)
	s_and_not1_b32 vcc_lo, exec_lo, s19
	s_cbranch_vccnz .LBB150_131
; %bb.121:
	s_cmp_lt_i32 s0, 6
	s_cbranch_scc1 .LBB150_124
; %bb.122:
	s_cmp_gt_i32 s0, 6
	s_cbranch_scc0 .LBB150_125
; %bb.123:
	s_wait_loadcnt 0x0
	global_load_b64 v[2:3], v[0:1], off
	s_mov_b32 s19, 0
	s_wait_loadcnt 0x0
	v_cvt_f32_f64_e32 v2, v[2:3]
	s_branch .LBB150_126
.LBB150_124:
	s_mov_b32 s19, -1
                                        ; implicit-def: $vgpr2
	s_branch .LBB150_129
.LBB150_125:
	s_mov_b32 s19, -1
                                        ; implicit-def: $vgpr2
.LBB150_126:
	s_delay_alu instid0(SALU_CYCLE_1)
	s_and_not1_b32 vcc_lo, exec_lo, s19
	s_cbranch_vccnz .LBB150_128
; %bb.127:
	s_wait_loadcnt 0x0
	global_load_b32 v2, v[0:1], off
.LBB150_128:
	s_mov_b32 s19, 0
.LBB150_129:
	s_delay_alu instid0(SALU_CYCLE_1)
	s_and_not1_b32 vcc_lo, exec_lo, s19
	s_cbranch_vccnz .LBB150_131
; %bb.130:
	s_wait_loadcnt 0x0
	global_load_u16 v2, v[0:1], off
	s_wait_loadcnt 0x0
	v_cvt_f32_f16_e32 v2, v2
.LBB150_131:
	s_cbranch_execnz .LBB150_151
.LBB150_132:
	s_cmp_lt_i32 s0, 2
	s_cbranch_scc1 .LBB150_136
; %bb.133:
	s_cmp_lt_i32 s0, 3
	s_cbranch_scc1 .LBB150_137
; %bb.134:
	s_cmp_gt_i32 s0, 3
	s_cbranch_scc0 .LBB150_138
; %bb.135:
	s_wait_loadcnt 0x0
	global_load_b64 v[2:3], v[0:1], off
	s_mov_b32 s19, 0
	s_wait_loadcnt 0x0
	v_xor_b32_e32 v4, v2, v3
	v_cls_i32_e32 v5, v3
	s_delay_alu instid0(VALU_DEP_2) | instskip(NEXT) | instid1(VALU_DEP_1)
	v_ashrrev_i32_e32 v4, 31, v4
	v_add_nc_u32_e32 v4, 32, v4
	s_delay_alu instid0(VALU_DEP_1) | instskip(NEXT) | instid1(VALU_DEP_1)
	v_add_min_u32_e64 v4, v5, -1, v4
	v_lshlrev_b64_e32 v[2:3], v4, v[2:3]
	s_delay_alu instid0(VALU_DEP_1) | instskip(NEXT) | instid1(VALU_DEP_1)
	v_min_u32_e32 v2, 1, v2
	v_dual_sub_nc_u32 v3, 32, v4 :: v_dual_bitop2_b32 v2, v3, v2 bitop3:0x54
	s_delay_alu instid0(VALU_DEP_1) | instskip(NEXT) | instid1(VALU_DEP_1)
	v_cvt_f32_i32_e32 v2, v2
	v_ldexp_f32 v2, v2, v3
	s_branch .LBB150_139
.LBB150_136:
	s_mov_b32 s19, -1
                                        ; implicit-def: $vgpr2
	s_branch .LBB150_145
.LBB150_137:
	s_mov_b32 s19, -1
                                        ; implicit-def: $vgpr2
	s_branch .LBB150_142
.LBB150_138:
	s_mov_b32 s19, -1
                                        ; implicit-def: $vgpr2
.LBB150_139:
	s_delay_alu instid0(SALU_CYCLE_1)
	s_and_not1_b32 vcc_lo, exec_lo, s19
	s_cbranch_vccnz .LBB150_141
; %bb.140:
	s_wait_loadcnt 0x0
	global_load_b32 v2, v[0:1], off
	s_wait_loadcnt 0x0
	v_cvt_f32_i32_e32 v2, v2
.LBB150_141:
	s_mov_b32 s19, 0
.LBB150_142:
	s_delay_alu instid0(SALU_CYCLE_1)
	s_and_not1_b32 vcc_lo, exec_lo, s19
	s_cbranch_vccnz .LBB150_144
; %bb.143:
	s_wait_loadcnt 0x0
	global_load_i16 v2, v[0:1], off
	s_wait_loadcnt 0x0
	v_cvt_f32_i32_e32 v2, v2
.LBB150_144:
	s_mov_b32 s19, 0
.LBB150_145:
	s_delay_alu instid0(SALU_CYCLE_1)
	s_and_not1_b32 vcc_lo, exec_lo, s19
	s_cbranch_vccnz .LBB150_151
; %bb.146:
	s_cmp_gt_i32 s0, 0
	s_mov_b32 s0, 0
	s_cbranch_scc0 .LBB150_148
; %bb.147:
	s_wait_loadcnt 0x0
	global_load_i8 v2, v[0:1], off
	s_wait_loadcnt 0x0
	v_cvt_f32_i32_e32 v2, v2
	s_branch .LBB150_149
.LBB150_148:
	s_mov_b32 s0, -1
                                        ; implicit-def: $vgpr2
.LBB150_149:
	s_delay_alu instid0(SALU_CYCLE_1)
	s_and_not1_b32 vcc_lo, exec_lo, s0
	s_cbranch_vccnz .LBB150_151
; %bb.150:
	global_load_u8 v0, v[0:1], off
	s_wait_loadcnt 0x0
	v_cvt_f32_ubyte0_e32 v2, v0
.LBB150_151:
	s_branch .LBB150_11
.LBB150_152:
	s_mov_b32 s0, 0
	s_mov_b32 s21, 0
	;; [unrolled: 1-line block ×3, first 2 shown]
	s_branch .LBB150_510
.LBB150_153:
	s_mov_b32 s22, -1
.LBB150_154:
	s_mov_b32 s21, 0
                                        ; implicit-def: $vgpr3
.LBB150_155:
	s_and_b32 vcc_lo, exec_lo, s26
	s_cbranch_vccz .LBB150_160
; %bb.156:
	s_cmp_eq_u32 s19, 44
	s_cbranch_scc0 .LBB150_159
; %bb.157:
	global_load_u8 v3, v[0:1], off
	s_mov_b32 s22, 0
	s_mov_b32 s21, -1
	s_wait_loadcnt 0x0
	v_lshlrev_b32_e32 v4, 23, v3
	v_cmp_ne_u32_e32 vcc_lo, 0xff, v3
	s_delay_alu instid0(VALU_DEP_2) | instskip(SKIP_1) | instid1(VALU_DEP_2)
	v_cndmask_b32_e32 v4, 0x7f800001, v4, vcc_lo
	v_cmp_ne_u32_e32 vcc_lo, 0, v3
	v_cndmask_b32_e32 v3, 0x400000, v4, vcc_lo
	s_branch .LBB150_160
.LBB150_158:
	s_mov_b32 s26, -1
	s_mov_b32 s21, 0
	s_branch .LBB150_271
.LBB150_159:
	s_mov_b32 s22, -1
                                        ; implicit-def: $vgpr3
.LBB150_160:
	s_mov_b32 s26, 0
.LBB150_161:
	s_delay_alu instid0(SALU_CYCLE_1)
	s_and_b32 vcc_lo, exec_lo, s26
	s_cbranch_vccz .LBB150_165
; %bb.162:
	s_cmp_eq_u32 s19, 29
	s_cbranch_scc0 .LBB150_164
; %bb.163:
	global_load_b64 v[4:5], v[0:1], off
	s_mov_b32 s21, -1
	s_mov_b32 s22, 0
	s_mov_b32 s26, 0
	s_wait_loadcnt 0x0
	v_clz_i32_u32_e32 v3, v5
	s_delay_alu instid0(VALU_DEP_1) | instskip(NEXT) | instid1(VALU_DEP_1)
	v_min_u32_e32 v3, 32, v3
	v_lshlrev_b64_e32 v[4:5], v3, v[4:5]
	v_sub_nc_u32_e32 v3, 32, v3
	s_delay_alu instid0(VALU_DEP_2) | instskip(NEXT) | instid1(VALU_DEP_1)
	v_min_u32_e32 v4, 1, v4
	v_or_b32_e32 v4, v5, v4
	s_delay_alu instid0(VALU_DEP_1) | instskip(NEXT) | instid1(VALU_DEP_1)
	v_cvt_f32_u32_e32 v4, v4
	v_ldexp_f32 v3, v4, v3
	s_branch .LBB150_166
.LBB150_164:
	s_mov_b32 s22, -1
                                        ; implicit-def: $vgpr3
.LBB150_165:
	s_mov_b32 s26, 0
.LBB150_166:
	s_delay_alu instid0(SALU_CYCLE_1)
	s_and_b32 vcc_lo, exec_lo, s26
	s_cbranch_vccz .LBB150_184
; %bb.167:
	s_cmp_lt_i32 s19, 27
	s_cbranch_scc1 .LBB150_170
; %bb.168:
	s_cmp_gt_i32 s19, 27
	s_cbranch_scc0 .LBB150_171
; %bb.169:
	global_load_b32 v3, v[0:1], off
	s_mov_b32 s21, 0
	s_wait_loadcnt 0x0
	v_cvt_f32_u32_e32 v3, v3
	s_branch .LBB150_172
.LBB150_170:
	s_mov_b32 s21, -1
                                        ; implicit-def: $vgpr3
	s_branch .LBB150_175
.LBB150_171:
	s_mov_b32 s21, -1
                                        ; implicit-def: $vgpr3
.LBB150_172:
	s_delay_alu instid0(SALU_CYCLE_1)
	s_and_not1_b32 vcc_lo, exec_lo, s21
	s_cbranch_vccnz .LBB150_174
; %bb.173:
	global_load_u16 v3, v[0:1], off
	s_wait_loadcnt 0x0
	v_cvt_f32_u32_e32 v3, v3
.LBB150_174:
	s_mov_b32 s21, 0
.LBB150_175:
	s_delay_alu instid0(SALU_CYCLE_1)
	s_and_not1_b32 vcc_lo, exec_lo, s21
	s_cbranch_vccnz .LBB150_183
; %bb.176:
	global_load_u8 v4, v[0:1], off
	s_mov_b32 s21, 0
	s_mov_b32 s26, exec_lo
	s_wait_loadcnt 0x0
	v_cmpx_lt_i16_e32 0x7f, v4
	s_xor_b32 s26, exec_lo, s26
	s_cbranch_execz .LBB150_197
; %bb.177:
	s_mov_b32 s21, -1
	s_mov_b32 s27, exec_lo
	v_cmpx_eq_u16_e32 0x80, v4
; %bb.178:
	s_xor_b32 s21, exec_lo, -1
; %bb.179:
	s_or_b32 exec_lo, exec_lo, s27
	s_delay_alu instid0(SALU_CYCLE_1)
	s_and_b32 s21, s21, exec_lo
	s_or_saveexec_b32 s26, s26
	v_mov_b32_e32 v3, 0x7f800001
	s_xor_b32 exec_lo, exec_lo, s26
	s_cbranch_execnz .LBB150_198
.LBB150_180:
	s_or_b32 exec_lo, exec_lo, s26
	s_and_saveexec_b32 s26, s21
	s_cbranch_execz .LBB150_182
.LBB150_181:
	v_and_b32_e32 v3, 0xffff, v4
	s_delay_alu instid0(VALU_DEP_1) | instskip(SKIP_1) | instid1(VALU_DEP_2)
	v_and_b32_e32 v5, 7, v3
	v_bfe_u32 v9, v3, 3, 4
	v_clz_i32_u32_e32 v6, v5
	s_delay_alu instid0(VALU_DEP_2) | instskip(NEXT) | instid1(VALU_DEP_2)
	v_cmp_eq_u32_e32 vcc_lo, 0, v9
	v_min_u32_e32 v6, 32, v6
	s_delay_alu instid0(VALU_DEP_1) | instskip(NEXT) | instid1(VALU_DEP_1)
	v_subrev_nc_u32_e32 v7, 28, v6
	v_dual_lshlrev_b32 v3, v7, v3 :: v_dual_sub_nc_u32 v6, 29, v6
	s_delay_alu instid0(VALU_DEP_1) | instskip(NEXT) | instid1(VALU_DEP_2)
	v_dual_lshlrev_b32 v4, 24, v4 :: v_dual_bitop2_b32 v3, 7, v3 bitop3:0x40
	v_cndmask_b32_e32 v6, v9, v6, vcc_lo
	s_delay_alu instid0(VALU_DEP_2) | instskip(NEXT) | instid1(VALU_DEP_3)
	v_cndmask_b32_e32 v3, v5, v3, vcc_lo
	v_and_b32_e32 v4, 0x80000000, v4
	s_delay_alu instid0(VALU_DEP_3) | instskip(NEXT) | instid1(VALU_DEP_3)
	v_lshl_add_u32 v5, v6, 23, 0x3b800000
	v_lshlrev_b32_e32 v3, 20, v3
	s_delay_alu instid0(VALU_DEP_1)
	v_or3_b32 v3, v4, v5, v3
.LBB150_182:
	s_or_b32 exec_lo, exec_lo, s26
.LBB150_183:
	s_mov_b32 s21, -1
.LBB150_184:
	s_mov_b32 s26, 0
.LBB150_185:
	s_delay_alu instid0(SALU_CYCLE_1)
	s_and_b32 vcc_lo, exec_lo, s26
	s_cbranch_vccz .LBB150_220
; %bb.186:
	s_cmp_gt_i32 s19, 22
	s_cbranch_scc0 .LBB150_196
; %bb.187:
	s_cmp_lt_i32 s19, 24
	s_cbranch_scc1 .LBB150_199
; %bb.188:
	s_cmp_gt_i32 s19, 24
	s_cbranch_scc0 .LBB150_200
; %bb.189:
	global_load_u8 v4, v[0:1], off
	s_mov_b32 s21, 0
	s_mov_b32 s26, exec_lo
	s_wait_loadcnt 0x0
	v_cmpx_lt_i16_e32 0x7f, v4
	s_xor_b32 s26, exec_lo, s26
	s_cbranch_execz .LBB150_212
; %bb.190:
	s_mov_b32 s21, -1
	s_mov_b32 s27, exec_lo
	v_cmpx_eq_u16_e32 0x80, v4
; %bb.191:
	s_xor_b32 s21, exec_lo, -1
; %bb.192:
	s_or_b32 exec_lo, exec_lo, s27
	s_delay_alu instid0(SALU_CYCLE_1)
	s_and_b32 s21, s21, exec_lo
	s_or_saveexec_b32 s26, s26
	v_mov_b32_e32 v3, 0x7f800001
	s_xor_b32 exec_lo, exec_lo, s26
	s_cbranch_execnz .LBB150_213
.LBB150_193:
	s_or_b32 exec_lo, exec_lo, s26
	s_and_saveexec_b32 s26, s21
	s_cbranch_execz .LBB150_195
.LBB150_194:
	v_and_b32_e32 v3, 0xffff, v4
	s_delay_alu instid0(VALU_DEP_1) | instskip(SKIP_1) | instid1(VALU_DEP_2)
	v_and_b32_e32 v5, 3, v3
	v_bfe_u32 v9, v3, 2, 5
	v_clz_i32_u32_e32 v6, v5
	s_delay_alu instid0(VALU_DEP_2) | instskip(NEXT) | instid1(VALU_DEP_2)
	v_cmp_eq_u32_e32 vcc_lo, 0, v9
	v_min_u32_e32 v6, 32, v6
	s_delay_alu instid0(VALU_DEP_1) | instskip(NEXT) | instid1(VALU_DEP_1)
	v_subrev_nc_u32_e32 v7, 29, v6
	v_dual_lshlrev_b32 v3, v7, v3 :: v_dual_sub_nc_u32 v6, 30, v6
	s_delay_alu instid0(VALU_DEP_1) | instskip(NEXT) | instid1(VALU_DEP_2)
	v_dual_lshlrev_b32 v4, 24, v4 :: v_dual_bitop2_b32 v3, 3, v3 bitop3:0x40
	v_cndmask_b32_e32 v6, v9, v6, vcc_lo
	s_delay_alu instid0(VALU_DEP_2) | instskip(NEXT) | instid1(VALU_DEP_3)
	v_cndmask_b32_e32 v3, v5, v3, vcc_lo
	v_and_b32_e32 v4, 0x80000000, v4
	s_delay_alu instid0(VALU_DEP_3) | instskip(NEXT) | instid1(VALU_DEP_3)
	v_lshl_add_u32 v5, v6, 23, 0x37800000
	v_lshlrev_b32_e32 v3, 21, v3
	s_delay_alu instid0(VALU_DEP_1)
	v_or3_b32 v3, v4, v5, v3
.LBB150_195:
	s_or_b32 exec_lo, exec_lo, s26
	s_mov_b32 s21, 0
	s_branch .LBB150_201
.LBB150_196:
	s_mov_b32 s26, -1
                                        ; implicit-def: $vgpr3
	s_branch .LBB150_207
.LBB150_197:
	s_or_saveexec_b32 s26, s26
	v_mov_b32_e32 v3, 0x7f800001
	s_xor_b32 exec_lo, exec_lo, s26
	s_cbranch_execz .LBB150_180
.LBB150_198:
	v_cmp_ne_u16_e32 vcc_lo, 0, v4
	v_mov_b32_e32 v3, 0
	s_and_not1_b32 s21, s21, exec_lo
	s_and_b32 s27, vcc_lo, exec_lo
	s_delay_alu instid0(SALU_CYCLE_1)
	s_or_b32 s21, s21, s27
	s_or_b32 exec_lo, exec_lo, s26
	s_and_saveexec_b32 s26, s21
	s_cbranch_execnz .LBB150_181
	s_branch .LBB150_182
.LBB150_199:
	s_mov_b32 s21, -1
                                        ; implicit-def: $vgpr3
	s_branch .LBB150_204
.LBB150_200:
	s_mov_b32 s21, -1
                                        ; implicit-def: $vgpr3
.LBB150_201:
	s_delay_alu instid0(SALU_CYCLE_1)
	s_and_b32 vcc_lo, exec_lo, s21
	s_cbranch_vccz .LBB150_203
; %bb.202:
	global_load_u8 v3, v[0:1], off
	s_wait_loadcnt 0x0
	v_lshlrev_b32_e32 v3, 24, v3
	s_delay_alu instid0(VALU_DEP_1) | instskip(NEXT) | instid1(VALU_DEP_1)
	v_and_b32_e32 v4, 0x7f000000, v3
	v_clz_i32_u32_e32 v5, v4
	v_cmp_ne_u32_e32 vcc_lo, 0, v4
	v_add_nc_u32_e32 v7, 0x1000000, v4
	s_delay_alu instid0(VALU_DEP_3) | instskip(NEXT) | instid1(VALU_DEP_1)
	v_min_u32_e32 v5, 32, v5
	v_sub_nc_u32_e64 v5, v5, 4 clamp
	s_delay_alu instid0(VALU_DEP_1) | instskip(NEXT) | instid1(VALU_DEP_1)
	v_dual_lshlrev_b32 v6, v5, v4 :: v_dual_lshlrev_b32 v5, 23, v5
	v_lshrrev_b32_e32 v6, 4, v6
	s_delay_alu instid0(VALU_DEP_1) | instskip(NEXT) | instid1(VALU_DEP_1)
	v_dual_sub_nc_u32 v5, v6, v5 :: v_dual_ashrrev_i32 v6, 8, v7
	v_add_nc_u32_e32 v5, 0x3c000000, v5
	s_delay_alu instid0(VALU_DEP_1) | instskip(NEXT) | instid1(VALU_DEP_1)
	v_and_or_b32 v5, 0x7f800000, v6, v5
	v_cndmask_b32_e32 v4, 0, v5, vcc_lo
	s_delay_alu instid0(VALU_DEP_1)
	v_and_or_b32 v3, 0x80000000, v3, v4
.LBB150_203:
	s_mov_b32 s21, 0
.LBB150_204:
	s_delay_alu instid0(SALU_CYCLE_1)
	s_and_not1_b32 vcc_lo, exec_lo, s21
	s_cbranch_vccnz .LBB150_206
; %bb.205:
	global_load_u8 v3, v[0:1], off
	s_wait_loadcnt 0x0
	v_lshlrev_b32_e32 v4, 25, v3
	v_lshlrev_b16 v3, 8, v3
	s_delay_alu instid0(VALU_DEP_1) | instskip(SKIP_1) | instid1(VALU_DEP_2)
	v_and_or_b32 v6, 0x7f00, v3, 0.5
	v_bfe_i32 v3, v3, 0, 16
	v_dual_add_f32 v6, -0.5, v6 :: v_dual_lshrrev_b32 v5, 4, v4
	v_cmp_gt_u32_e32 vcc_lo, 0x8000000, v4
	s_delay_alu instid0(VALU_DEP_2) | instskip(NEXT) | instid1(VALU_DEP_1)
	v_or_b32_e32 v5, 0x70000000, v5
	v_mul_f32_e32 v5, 0x7800000, v5
	s_delay_alu instid0(VALU_DEP_1) | instskip(NEXT) | instid1(VALU_DEP_1)
	v_cndmask_b32_e32 v4, v5, v6, vcc_lo
	v_and_or_b32 v3, 0x80000000, v3, v4
.LBB150_206:
	s_mov_b32 s26, 0
	s_mov_b32 s21, -1
.LBB150_207:
	s_and_not1_b32 vcc_lo, exec_lo, s26
	s_cbranch_vccnz .LBB150_220
; %bb.208:
	s_cmp_gt_i32 s19, 14
	s_cbranch_scc0 .LBB150_211
; %bb.209:
	s_cmp_eq_u32 s19, 15
	s_cbranch_scc0 .LBB150_214
; %bb.210:
	global_load_u16 v3, v[0:1], off
	s_mov_b32 s21, -1
	s_mov_b32 s22, 0
	s_wait_loadcnt 0x0
	v_lshlrev_b32_e32 v3, 16, v3
	s_branch .LBB150_215
.LBB150_211:
	s_mov_b32 s26, -1
                                        ; implicit-def: $vgpr3
	s_branch .LBB150_216
.LBB150_212:
	s_or_saveexec_b32 s26, s26
	v_mov_b32_e32 v3, 0x7f800001
	s_xor_b32 exec_lo, exec_lo, s26
	s_cbranch_execz .LBB150_193
.LBB150_213:
	v_cmp_ne_u16_e32 vcc_lo, 0, v4
	v_mov_b32_e32 v3, 0
	s_and_not1_b32 s21, s21, exec_lo
	s_and_b32 s27, vcc_lo, exec_lo
	s_delay_alu instid0(SALU_CYCLE_1)
	s_or_b32 s21, s21, s27
	s_or_b32 exec_lo, exec_lo, s26
	s_and_saveexec_b32 s26, s21
	s_cbranch_execnz .LBB150_194
	s_branch .LBB150_195
.LBB150_214:
	s_mov_b32 s22, -1
                                        ; implicit-def: $vgpr3
.LBB150_215:
	s_mov_b32 s26, 0
.LBB150_216:
	s_delay_alu instid0(SALU_CYCLE_1)
	s_and_b32 vcc_lo, exec_lo, s26
	s_cbranch_vccz .LBB150_220
; %bb.217:
	s_cmp_eq_u32 s19, 11
	s_cbranch_scc0 .LBB150_219
; %bb.218:
	global_load_u8 v3, v[0:1], off
	s_mov_b32 s22, 0
	s_mov_b32 s21, -1
	s_wait_loadcnt 0x0
	v_cmp_ne_u16_e32 vcc_lo, 0, v3
	v_cndmask_b32_e64 v3, 0, 1.0, vcc_lo
	s_branch .LBB150_220
.LBB150_219:
	s_mov_b32 s22, -1
                                        ; implicit-def: $vgpr3
.LBB150_220:
	s_branch .LBB150_20
.LBB150_221:
	s_and_b32 s0, 0xffff, s0
	s_delay_alu instid0(SALU_CYCLE_1)
	s_cmp_lt_i32 s0, 5
	s_cbranch_scc1 .LBB150_226
; %bb.222:
	s_cmp_lt_i32 s0, 8
	s_cbranch_scc1 .LBB150_227
; %bb.223:
	;; [unrolled: 3-line block ×3, first 2 shown]
	s_cmp_gt_i32 s0, 9
	s_cbranch_scc0 .LBB150_229
; %bb.225:
	global_load_b64 v[4:5], v[0:1], off
	s_mov_b32 s19, 0
	s_wait_loadcnt 0x0
	v_cvt_f32_f64_e32 v3, v[4:5]
	s_branch .LBB150_230
.LBB150_226:
	s_mov_b32 s19, -1
                                        ; implicit-def: $vgpr3
	s_branch .LBB150_248
.LBB150_227:
	s_mov_b32 s19, -1
                                        ; implicit-def: $vgpr3
	s_branch .LBB150_236
.LBB150_228:
	s_mov_b32 s19, -1
                                        ; implicit-def: $vgpr3
	s_branch .LBB150_233
.LBB150_229:
	s_mov_b32 s19, -1
                                        ; implicit-def: $vgpr3
.LBB150_230:
	s_delay_alu instid0(SALU_CYCLE_1)
	s_and_not1_b32 vcc_lo, exec_lo, s19
	s_cbranch_vccnz .LBB150_232
; %bb.231:
	global_load_b32 v3, v[0:1], off
.LBB150_232:
	s_mov_b32 s19, 0
.LBB150_233:
	s_delay_alu instid0(SALU_CYCLE_1)
	s_and_not1_b32 vcc_lo, exec_lo, s19
	s_cbranch_vccnz .LBB150_235
; %bb.234:
	s_wait_loadcnt 0x0
	global_load_b32 v3, v[0:1], off
	s_wait_loadcnt 0x0
	v_cvt_f32_f16_e32 v3, v3
.LBB150_235:
	s_mov_b32 s19, 0
.LBB150_236:
	s_delay_alu instid0(SALU_CYCLE_1)
	s_and_not1_b32 vcc_lo, exec_lo, s19
	s_cbranch_vccnz .LBB150_247
; %bb.237:
	s_cmp_lt_i32 s0, 6
	s_cbranch_scc1 .LBB150_240
; %bb.238:
	s_cmp_gt_i32 s0, 6
	s_cbranch_scc0 .LBB150_241
; %bb.239:
	global_load_b64 v[4:5], v[0:1], off
	s_mov_b32 s19, 0
	s_wait_loadcnt 0x0
	v_cvt_f32_f64_e32 v3, v[4:5]
	s_branch .LBB150_242
.LBB150_240:
	s_mov_b32 s19, -1
                                        ; implicit-def: $vgpr3
	s_branch .LBB150_245
.LBB150_241:
	s_mov_b32 s19, -1
                                        ; implicit-def: $vgpr3
.LBB150_242:
	s_delay_alu instid0(SALU_CYCLE_1)
	s_and_not1_b32 vcc_lo, exec_lo, s19
	s_cbranch_vccnz .LBB150_244
; %bb.243:
	s_wait_loadcnt 0x0
	global_load_b32 v3, v[0:1], off
.LBB150_244:
	s_mov_b32 s19, 0
.LBB150_245:
	s_delay_alu instid0(SALU_CYCLE_1)
	s_and_not1_b32 vcc_lo, exec_lo, s19
	s_cbranch_vccnz .LBB150_247
; %bb.246:
	s_wait_loadcnt 0x0
	global_load_u16 v3, v[0:1], off
	s_wait_loadcnt 0x0
	v_cvt_f32_f16_e32 v3, v3
.LBB150_247:
	s_mov_b32 s19, 0
.LBB150_248:
	s_delay_alu instid0(SALU_CYCLE_1)
	s_and_not1_b32 vcc_lo, exec_lo, s19
	s_cbranch_vccnz .LBB150_268
; %bb.249:
	s_cmp_lt_i32 s0, 2
	s_cbranch_scc1 .LBB150_253
; %bb.250:
	s_cmp_lt_i32 s0, 3
	s_cbranch_scc1 .LBB150_254
; %bb.251:
	s_cmp_gt_i32 s0, 3
	s_cbranch_scc0 .LBB150_255
; %bb.252:
	global_load_b64 v[4:5], v[0:1], off
	s_mov_b32 s19, 0
	s_wait_loadcnt 0x0
	v_xor_b32_e32 v3, v4, v5
	v_cls_i32_e32 v6, v5
	s_delay_alu instid0(VALU_DEP_2) | instskip(NEXT) | instid1(VALU_DEP_1)
	v_ashrrev_i32_e32 v3, 31, v3
	v_add_nc_u32_e32 v3, 32, v3
	s_delay_alu instid0(VALU_DEP_1) | instskip(NEXT) | instid1(VALU_DEP_1)
	v_add_min_u32_e64 v3, v6, -1, v3
	v_lshlrev_b64_e32 v[4:5], v3, v[4:5]
	v_sub_nc_u32_e32 v3, 32, v3
	s_delay_alu instid0(VALU_DEP_2) | instskip(NEXT) | instid1(VALU_DEP_1)
	v_min_u32_e32 v4, 1, v4
	v_or_b32_e32 v4, v5, v4
	s_delay_alu instid0(VALU_DEP_1) | instskip(NEXT) | instid1(VALU_DEP_1)
	v_cvt_f32_i32_e32 v4, v4
	v_ldexp_f32 v3, v4, v3
	s_branch .LBB150_256
.LBB150_253:
	s_mov_b32 s19, -1
                                        ; implicit-def: $vgpr3
	s_branch .LBB150_262
.LBB150_254:
	s_mov_b32 s19, -1
                                        ; implicit-def: $vgpr3
	s_branch .LBB150_259
.LBB150_255:
	s_mov_b32 s19, -1
                                        ; implicit-def: $vgpr3
.LBB150_256:
	s_delay_alu instid0(SALU_CYCLE_1)
	s_and_not1_b32 vcc_lo, exec_lo, s19
	s_cbranch_vccnz .LBB150_258
; %bb.257:
	s_wait_loadcnt 0x0
	global_load_b32 v3, v[0:1], off
	s_wait_loadcnt 0x0
	v_cvt_f32_i32_e32 v3, v3
.LBB150_258:
	s_mov_b32 s19, 0
.LBB150_259:
	s_delay_alu instid0(SALU_CYCLE_1)
	s_and_not1_b32 vcc_lo, exec_lo, s19
	s_cbranch_vccnz .LBB150_261
; %bb.260:
	s_wait_loadcnt 0x0
	global_load_i16 v3, v[0:1], off
	s_wait_loadcnt 0x0
	v_cvt_f32_i32_e32 v3, v3
.LBB150_261:
	s_mov_b32 s19, 0
.LBB150_262:
	s_delay_alu instid0(SALU_CYCLE_1)
	s_and_not1_b32 vcc_lo, exec_lo, s19
	s_cbranch_vccnz .LBB150_268
; %bb.263:
	s_cmp_gt_i32 s0, 0
	s_mov_b32 s0, 0
	s_cbranch_scc0 .LBB150_265
; %bb.264:
	s_wait_loadcnt 0x0
	global_load_i8 v3, v[0:1], off
	s_wait_loadcnt 0x0
	v_cvt_f32_i32_e32 v3, v3
	s_branch .LBB150_266
.LBB150_265:
	s_mov_b32 s0, -1
                                        ; implicit-def: $vgpr3
.LBB150_266:
	s_delay_alu instid0(SALU_CYCLE_1)
	s_and_not1_b32 vcc_lo, exec_lo, s0
	s_cbranch_vccnz .LBB150_268
; %bb.267:
	global_load_u8 v0, v[0:1], off
	s_wait_loadcnt 0x0
	v_cvt_f32_ubyte0_e32 v3, v0
.LBB150_268:
	s_branch .LBB150_21
.LBB150_269:
	s_mov_b32 s0, 0
	s_mov_b32 s21, 0
	s_branch .LBB150_510
.LBB150_270:
	s_mov_b32 s21, -1
.LBB150_271:
	s_mov_b32 s19, 0
                                        ; implicit-def: $vgpr4
.LBB150_272:
	s_and_b32 vcc_lo, exec_lo, s26
	s_cbranch_vccz .LBB150_276
; %bb.273:
	s_cmp_eq_u32 s0, 44
	s_cbranch_scc0 .LBB150_275
; %bb.274:
	global_load_u8 v4, v[0:1], off
	s_mov_b32 s21, 0
	s_mov_b32 s19, -1
	s_wait_loadcnt 0x0
	v_lshlrev_b32_e32 v5, 23, v4
	v_cmp_ne_u32_e32 vcc_lo, 0xff, v4
	s_delay_alu instid0(VALU_DEP_2) | instskip(SKIP_1) | instid1(VALU_DEP_2)
	v_cndmask_b32_e32 v5, 0x7f800001, v5, vcc_lo
	v_cmp_ne_u32_e32 vcc_lo, 0, v4
	v_cndmask_b32_e32 v4, 0x400000, v5, vcc_lo
	s_branch .LBB150_276
.LBB150_275:
	s_mov_b32 s21, -1
                                        ; implicit-def: $vgpr4
.LBB150_276:
	s_mov_b32 s26, 0
.LBB150_277:
	s_delay_alu instid0(SALU_CYCLE_1)
	s_and_b32 vcc_lo, exec_lo, s26
	s_cbranch_vccz .LBB150_281
; %bb.278:
	s_cmp_eq_u32 s0, 29
	s_cbranch_scc0 .LBB150_280
; %bb.279:
	global_load_b64 v[4:5], v[0:1], off
	s_mov_b32 s19, -1
	s_mov_b32 s21, 0
	s_mov_b32 s26, 0
	s_wait_loadcnt 0x0
	v_clz_i32_u32_e32 v6, v5
	s_delay_alu instid0(VALU_DEP_1) | instskip(NEXT) | instid1(VALU_DEP_1)
	v_min_u32_e32 v6, 32, v6
	v_lshlrev_b64_e32 v[4:5], v6, v[4:5]
	s_delay_alu instid0(VALU_DEP_1) | instskip(NEXT) | instid1(VALU_DEP_1)
	v_min_u32_e32 v4, 1, v4
	v_dual_sub_nc_u32 v5, 32, v6 :: v_dual_bitop2_b32 v4, v5, v4 bitop3:0x54
	s_delay_alu instid0(VALU_DEP_1) | instskip(NEXT) | instid1(VALU_DEP_1)
	v_cvt_f32_u32_e32 v4, v4
	v_ldexp_f32 v4, v4, v5
	s_branch .LBB150_282
.LBB150_280:
	s_mov_b32 s21, -1
                                        ; implicit-def: $vgpr4
.LBB150_281:
	s_mov_b32 s26, 0
.LBB150_282:
	s_delay_alu instid0(SALU_CYCLE_1)
	s_and_b32 vcc_lo, exec_lo, s26
	s_cbranch_vccz .LBB150_300
; %bb.283:
	s_cmp_lt_i32 s0, 27
	s_cbranch_scc1 .LBB150_286
; %bb.284:
	s_cmp_gt_i32 s0, 27
	s_cbranch_scc0 .LBB150_287
; %bb.285:
	global_load_b32 v4, v[0:1], off
	s_mov_b32 s19, 0
	s_wait_loadcnt 0x0
	v_cvt_f32_u32_e32 v4, v4
	s_branch .LBB150_288
.LBB150_286:
	s_mov_b32 s19, -1
                                        ; implicit-def: $vgpr4
	s_branch .LBB150_291
.LBB150_287:
	s_mov_b32 s19, -1
                                        ; implicit-def: $vgpr4
.LBB150_288:
	s_delay_alu instid0(SALU_CYCLE_1)
	s_and_not1_b32 vcc_lo, exec_lo, s19
	s_cbranch_vccnz .LBB150_290
; %bb.289:
	global_load_u16 v4, v[0:1], off
	s_wait_loadcnt 0x0
	v_cvt_f32_u32_e32 v4, v4
.LBB150_290:
	s_mov_b32 s19, 0
.LBB150_291:
	s_delay_alu instid0(SALU_CYCLE_1)
	s_and_not1_b32 vcc_lo, exec_lo, s19
	s_cbranch_vccnz .LBB150_299
; %bb.292:
	global_load_u8 v5, v[0:1], off
	s_mov_b32 s19, 0
	s_mov_b32 s26, exec_lo
	s_wait_loadcnt 0x0
	v_cmpx_lt_i16_e32 0x7f, v5
	s_xor_b32 s26, exec_lo, s26
	s_cbranch_execz .LBB150_313
; %bb.293:
	s_mov_b32 s19, -1
	s_mov_b32 s27, exec_lo
	v_cmpx_eq_u16_e32 0x80, v5
; %bb.294:
	s_xor_b32 s19, exec_lo, -1
; %bb.295:
	s_or_b32 exec_lo, exec_lo, s27
	s_delay_alu instid0(SALU_CYCLE_1)
	s_and_b32 s19, s19, exec_lo
	s_or_saveexec_b32 s26, s26
	v_mov_b32_e32 v4, 0x7f800001
	s_xor_b32 exec_lo, exec_lo, s26
	s_cbranch_execnz .LBB150_314
.LBB150_296:
	s_or_b32 exec_lo, exec_lo, s26
	s_and_saveexec_b32 s26, s19
	s_cbranch_execz .LBB150_298
.LBB150_297:
	v_and_b32_e32 v4, 0xffff, v5
	s_delay_alu instid0(VALU_DEP_1) | instskip(SKIP_1) | instid1(VALU_DEP_2)
	v_and_b32_e32 v6, 7, v4
	v_bfe_u32 v10, v4, 3, 4
	v_clz_i32_u32_e32 v7, v6
	s_delay_alu instid0(VALU_DEP_2) | instskip(NEXT) | instid1(VALU_DEP_2)
	v_cmp_eq_u32_e32 vcc_lo, 0, v10
	v_min_u32_e32 v7, 32, v7
	s_delay_alu instid0(VALU_DEP_1) | instskip(NEXT) | instid1(VALU_DEP_1)
	v_subrev_nc_u32_e32 v9, 28, v7
	v_dual_lshlrev_b32 v4, v9, v4 :: v_dual_sub_nc_u32 v7, 29, v7
	s_delay_alu instid0(VALU_DEP_1) | instskip(NEXT) | instid1(VALU_DEP_2)
	v_dual_lshlrev_b32 v5, 24, v5 :: v_dual_bitop2_b32 v4, 7, v4 bitop3:0x40
	v_cndmask_b32_e32 v7, v10, v7, vcc_lo
	s_delay_alu instid0(VALU_DEP_2) | instskip(NEXT) | instid1(VALU_DEP_3)
	v_cndmask_b32_e32 v4, v6, v4, vcc_lo
	v_and_b32_e32 v5, 0x80000000, v5
	s_delay_alu instid0(VALU_DEP_3) | instskip(NEXT) | instid1(VALU_DEP_3)
	v_lshl_add_u32 v6, v7, 23, 0x3b800000
	v_lshlrev_b32_e32 v4, 20, v4
	s_delay_alu instid0(VALU_DEP_1)
	v_or3_b32 v4, v5, v6, v4
.LBB150_298:
	s_or_b32 exec_lo, exec_lo, s26
.LBB150_299:
	s_mov_b32 s19, -1
.LBB150_300:
	s_mov_b32 s26, 0
.LBB150_301:
	s_delay_alu instid0(SALU_CYCLE_1)
	s_and_b32 vcc_lo, exec_lo, s26
	s_cbranch_vccz .LBB150_336
; %bb.302:
	s_cmp_gt_i32 s0, 22
	s_cbranch_scc0 .LBB150_312
; %bb.303:
	s_cmp_lt_i32 s0, 24
	s_cbranch_scc1 .LBB150_315
; %bb.304:
	s_cmp_gt_i32 s0, 24
	s_cbranch_scc0 .LBB150_316
; %bb.305:
	global_load_u8 v5, v[0:1], off
	s_mov_b32 s19, 0
	s_mov_b32 s26, exec_lo
	s_wait_loadcnt 0x0
	v_cmpx_lt_i16_e32 0x7f, v5
	s_xor_b32 s26, exec_lo, s26
	s_cbranch_execz .LBB150_328
; %bb.306:
	s_mov_b32 s19, -1
	s_mov_b32 s27, exec_lo
	v_cmpx_eq_u16_e32 0x80, v5
; %bb.307:
	s_xor_b32 s19, exec_lo, -1
; %bb.308:
	s_or_b32 exec_lo, exec_lo, s27
	s_delay_alu instid0(SALU_CYCLE_1)
	s_and_b32 s19, s19, exec_lo
	s_or_saveexec_b32 s26, s26
	v_mov_b32_e32 v4, 0x7f800001
	s_xor_b32 exec_lo, exec_lo, s26
	s_cbranch_execnz .LBB150_329
.LBB150_309:
	s_or_b32 exec_lo, exec_lo, s26
	s_and_saveexec_b32 s26, s19
	s_cbranch_execz .LBB150_311
.LBB150_310:
	v_and_b32_e32 v4, 0xffff, v5
	s_delay_alu instid0(VALU_DEP_1) | instskip(SKIP_1) | instid1(VALU_DEP_2)
	v_and_b32_e32 v6, 3, v4
	v_bfe_u32 v10, v4, 2, 5
	v_clz_i32_u32_e32 v7, v6
	s_delay_alu instid0(VALU_DEP_2) | instskip(NEXT) | instid1(VALU_DEP_2)
	v_cmp_eq_u32_e32 vcc_lo, 0, v10
	v_min_u32_e32 v7, 32, v7
	s_delay_alu instid0(VALU_DEP_1) | instskip(NEXT) | instid1(VALU_DEP_1)
	v_subrev_nc_u32_e32 v9, 29, v7
	v_dual_lshlrev_b32 v4, v9, v4 :: v_dual_sub_nc_u32 v7, 30, v7
	s_delay_alu instid0(VALU_DEP_1) | instskip(NEXT) | instid1(VALU_DEP_2)
	v_dual_lshlrev_b32 v5, 24, v5 :: v_dual_bitop2_b32 v4, 3, v4 bitop3:0x40
	v_cndmask_b32_e32 v7, v10, v7, vcc_lo
	s_delay_alu instid0(VALU_DEP_2) | instskip(NEXT) | instid1(VALU_DEP_3)
	v_cndmask_b32_e32 v4, v6, v4, vcc_lo
	v_and_b32_e32 v5, 0x80000000, v5
	s_delay_alu instid0(VALU_DEP_3) | instskip(NEXT) | instid1(VALU_DEP_3)
	v_lshl_add_u32 v6, v7, 23, 0x37800000
	v_lshlrev_b32_e32 v4, 21, v4
	s_delay_alu instid0(VALU_DEP_1)
	v_or3_b32 v4, v5, v6, v4
.LBB150_311:
	s_or_b32 exec_lo, exec_lo, s26
	s_mov_b32 s19, 0
	s_branch .LBB150_317
.LBB150_312:
	s_mov_b32 s26, -1
                                        ; implicit-def: $vgpr4
	s_branch .LBB150_323
.LBB150_313:
	s_or_saveexec_b32 s26, s26
	v_mov_b32_e32 v4, 0x7f800001
	s_xor_b32 exec_lo, exec_lo, s26
	s_cbranch_execz .LBB150_296
.LBB150_314:
	v_cmp_ne_u16_e32 vcc_lo, 0, v5
	v_mov_b32_e32 v4, 0
	s_and_not1_b32 s19, s19, exec_lo
	s_and_b32 s27, vcc_lo, exec_lo
	s_delay_alu instid0(SALU_CYCLE_1)
	s_or_b32 s19, s19, s27
	s_or_b32 exec_lo, exec_lo, s26
	s_and_saveexec_b32 s26, s19
	s_cbranch_execnz .LBB150_297
	s_branch .LBB150_298
.LBB150_315:
	s_mov_b32 s19, -1
                                        ; implicit-def: $vgpr4
	s_branch .LBB150_320
.LBB150_316:
	s_mov_b32 s19, -1
                                        ; implicit-def: $vgpr4
.LBB150_317:
	s_delay_alu instid0(SALU_CYCLE_1)
	s_and_b32 vcc_lo, exec_lo, s19
	s_cbranch_vccz .LBB150_319
; %bb.318:
	global_load_u8 v4, v[0:1], off
	s_wait_loadcnt 0x0
	v_lshlrev_b32_e32 v4, 24, v4
	s_delay_alu instid0(VALU_DEP_1) | instskip(NEXT) | instid1(VALU_DEP_1)
	v_and_b32_e32 v5, 0x7f000000, v4
	v_clz_i32_u32_e32 v6, v5
	v_add_nc_u32_e32 v9, 0x1000000, v5
	v_cmp_ne_u32_e32 vcc_lo, 0, v5
	s_delay_alu instid0(VALU_DEP_3) | instskip(NEXT) | instid1(VALU_DEP_1)
	v_min_u32_e32 v6, 32, v6
	v_sub_nc_u32_e64 v6, v6, 4 clamp
	s_delay_alu instid0(VALU_DEP_1) | instskip(NEXT) | instid1(VALU_DEP_1)
	v_dual_lshlrev_b32 v7, v6, v5 :: v_dual_lshlrev_b32 v6, 23, v6
	v_lshrrev_b32_e32 v7, 4, v7
	s_delay_alu instid0(VALU_DEP_1) | instskip(NEXT) | instid1(VALU_DEP_1)
	v_dual_sub_nc_u32 v6, v7, v6 :: v_dual_ashrrev_i32 v7, 8, v9
	v_add_nc_u32_e32 v6, 0x3c000000, v6
	s_delay_alu instid0(VALU_DEP_1) | instskip(NEXT) | instid1(VALU_DEP_1)
	v_and_or_b32 v6, 0x7f800000, v7, v6
	v_cndmask_b32_e32 v5, 0, v6, vcc_lo
	s_delay_alu instid0(VALU_DEP_1)
	v_and_or_b32 v4, 0x80000000, v4, v5
.LBB150_319:
	s_mov_b32 s19, 0
.LBB150_320:
	s_delay_alu instid0(SALU_CYCLE_1)
	s_and_not1_b32 vcc_lo, exec_lo, s19
	s_cbranch_vccnz .LBB150_322
; %bb.321:
	global_load_u8 v4, v[0:1], off
	s_wait_loadcnt 0x0
	v_lshlrev_b32_e32 v5, 25, v4
	v_lshlrev_b16 v4, 8, v4
	s_delay_alu instid0(VALU_DEP_1) | instskip(SKIP_1) | instid1(VALU_DEP_2)
	v_and_or_b32 v7, 0x7f00, v4, 0.5
	v_bfe_i32 v4, v4, 0, 16
	v_dual_add_f32 v7, -0.5, v7 :: v_dual_lshrrev_b32 v6, 4, v5
	v_cmp_gt_u32_e32 vcc_lo, 0x8000000, v5
	s_delay_alu instid0(VALU_DEP_2) | instskip(NEXT) | instid1(VALU_DEP_1)
	v_or_b32_e32 v6, 0x70000000, v6
	v_mul_f32_e32 v6, 0x7800000, v6
	s_delay_alu instid0(VALU_DEP_1) | instskip(NEXT) | instid1(VALU_DEP_1)
	v_cndmask_b32_e32 v5, v6, v7, vcc_lo
	v_and_or_b32 v4, 0x80000000, v4, v5
.LBB150_322:
	s_mov_b32 s26, 0
	s_mov_b32 s19, -1
.LBB150_323:
	s_and_not1_b32 vcc_lo, exec_lo, s26
	s_cbranch_vccnz .LBB150_336
; %bb.324:
	s_cmp_gt_i32 s0, 14
	s_cbranch_scc0 .LBB150_327
; %bb.325:
	s_cmp_eq_u32 s0, 15
	s_cbranch_scc0 .LBB150_330
; %bb.326:
	global_load_u16 v4, v[0:1], off
	s_mov_b32 s19, -1
	s_mov_b32 s21, 0
	s_wait_loadcnt 0x0
	v_lshlrev_b32_e32 v4, 16, v4
	s_branch .LBB150_331
.LBB150_327:
	s_mov_b32 s26, -1
                                        ; implicit-def: $vgpr4
	s_branch .LBB150_332
.LBB150_328:
	s_or_saveexec_b32 s26, s26
	v_mov_b32_e32 v4, 0x7f800001
	s_xor_b32 exec_lo, exec_lo, s26
	s_cbranch_execz .LBB150_309
.LBB150_329:
	v_cmp_ne_u16_e32 vcc_lo, 0, v5
	v_mov_b32_e32 v4, 0
	s_and_not1_b32 s19, s19, exec_lo
	s_and_b32 s27, vcc_lo, exec_lo
	s_delay_alu instid0(SALU_CYCLE_1)
	s_or_b32 s19, s19, s27
	s_or_b32 exec_lo, exec_lo, s26
	s_and_saveexec_b32 s26, s19
	s_cbranch_execnz .LBB150_310
	s_branch .LBB150_311
.LBB150_330:
	s_mov_b32 s21, -1
                                        ; implicit-def: $vgpr4
.LBB150_331:
	s_mov_b32 s26, 0
.LBB150_332:
	s_delay_alu instid0(SALU_CYCLE_1)
	s_and_b32 vcc_lo, exec_lo, s26
	s_cbranch_vccz .LBB150_336
; %bb.333:
	s_cmp_eq_u32 s0, 11
	s_cbranch_scc0 .LBB150_335
; %bb.334:
	global_load_u8 v4, v[0:1], off
	s_mov_b32 s21, 0
	s_mov_b32 s19, -1
	s_wait_loadcnt 0x0
	v_cmp_ne_u16_e32 vcc_lo, 0, v4
	v_cndmask_b32_e64 v4, 0, 1.0, vcc_lo
	s_branch .LBB150_336
.LBB150_335:
	s_mov_b32 s21, -1
                                        ; implicit-def: $vgpr4
.LBB150_336:
	s_mov_b32 s26, 0
.LBB150_337:
	s_delay_alu instid0(SALU_CYCLE_1)
	s_and_b32 vcc_lo, exec_lo, s26
	s_cbranch_vccz .LBB150_386
; %bb.338:
	s_cmp_lt_i32 s0, 5
	s_cbranch_scc1 .LBB150_343
; %bb.339:
	s_cmp_lt_i32 s0, 8
	s_cbranch_scc1 .LBB150_344
	;; [unrolled: 3-line block ×3, first 2 shown]
; %bb.341:
	s_cmp_gt_i32 s0, 9
	s_cbranch_scc0 .LBB150_346
; %bb.342:
	global_load_b64 v[4:5], v[0:1], off
	s_mov_b32 s19, 0
	s_wait_loadcnt 0x0
	v_cvt_f32_f64_e32 v4, v[4:5]
	s_branch .LBB150_347
.LBB150_343:
	s_mov_b32 s19, -1
                                        ; implicit-def: $vgpr4
	s_branch .LBB150_365
.LBB150_344:
	s_mov_b32 s19, -1
                                        ; implicit-def: $vgpr4
	s_branch .LBB150_353
.LBB150_345:
	s_mov_b32 s19, -1
                                        ; implicit-def: $vgpr4
	s_branch .LBB150_350
.LBB150_346:
	s_mov_b32 s19, -1
                                        ; implicit-def: $vgpr4
.LBB150_347:
	s_delay_alu instid0(SALU_CYCLE_1)
	s_and_not1_b32 vcc_lo, exec_lo, s19
	s_cbranch_vccnz .LBB150_349
; %bb.348:
	global_load_b32 v4, v[0:1], off
.LBB150_349:
	s_mov_b32 s19, 0
.LBB150_350:
	s_delay_alu instid0(SALU_CYCLE_1)
	s_and_not1_b32 vcc_lo, exec_lo, s19
	s_cbranch_vccnz .LBB150_352
; %bb.351:
	s_wait_loadcnt 0x0
	global_load_b32 v4, v[0:1], off
	s_wait_loadcnt 0x0
	v_cvt_f32_f16_e32 v4, v4
.LBB150_352:
	s_mov_b32 s19, 0
.LBB150_353:
	s_delay_alu instid0(SALU_CYCLE_1)
	s_and_not1_b32 vcc_lo, exec_lo, s19
	s_cbranch_vccnz .LBB150_364
; %bb.354:
	s_cmp_lt_i32 s0, 6
	s_cbranch_scc1 .LBB150_357
; %bb.355:
	s_cmp_gt_i32 s0, 6
	s_cbranch_scc0 .LBB150_358
; %bb.356:
	s_wait_loadcnt 0x0
	global_load_b64 v[4:5], v[0:1], off
	s_mov_b32 s19, 0
	s_wait_loadcnt 0x0
	v_cvt_f32_f64_e32 v4, v[4:5]
	s_branch .LBB150_359
.LBB150_357:
	s_mov_b32 s19, -1
                                        ; implicit-def: $vgpr4
	s_branch .LBB150_362
.LBB150_358:
	s_mov_b32 s19, -1
                                        ; implicit-def: $vgpr4
.LBB150_359:
	s_delay_alu instid0(SALU_CYCLE_1)
	s_and_not1_b32 vcc_lo, exec_lo, s19
	s_cbranch_vccnz .LBB150_361
; %bb.360:
	s_wait_loadcnt 0x0
	global_load_b32 v4, v[0:1], off
.LBB150_361:
	s_mov_b32 s19, 0
.LBB150_362:
	s_delay_alu instid0(SALU_CYCLE_1)
	s_and_not1_b32 vcc_lo, exec_lo, s19
	s_cbranch_vccnz .LBB150_364
; %bb.363:
	s_wait_loadcnt 0x0
	global_load_u16 v4, v[0:1], off
	s_wait_loadcnt 0x0
	v_cvt_f32_f16_e32 v4, v4
.LBB150_364:
	s_mov_b32 s19, 0
.LBB150_365:
	s_delay_alu instid0(SALU_CYCLE_1)
	s_and_not1_b32 vcc_lo, exec_lo, s19
	s_cbranch_vccnz .LBB150_385
; %bb.366:
	s_cmp_lt_i32 s0, 2
	s_cbranch_scc1 .LBB150_370
; %bb.367:
	s_cmp_lt_i32 s0, 3
	s_cbranch_scc1 .LBB150_371
; %bb.368:
	s_cmp_gt_i32 s0, 3
	s_cbranch_scc0 .LBB150_372
; %bb.369:
	s_wait_loadcnt 0x0
	global_load_b64 v[4:5], v[0:1], off
	s_mov_b32 s19, 0
	s_wait_loadcnt 0x0
	v_xor_b32_e32 v6, v4, v5
	v_cls_i32_e32 v7, v5
	s_delay_alu instid0(VALU_DEP_2) | instskip(NEXT) | instid1(VALU_DEP_1)
	v_ashrrev_i32_e32 v6, 31, v6
	v_add_nc_u32_e32 v6, 32, v6
	s_delay_alu instid0(VALU_DEP_1) | instskip(NEXT) | instid1(VALU_DEP_1)
	v_add_min_u32_e64 v6, v7, -1, v6
	v_lshlrev_b64_e32 v[4:5], v6, v[4:5]
	s_delay_alu instid0(VALU_DEP_1) | instskip(NEXT) | instid1(VALU_DEP_1)
	v_min_u32_e32 v4, 1, v4
	v_dual_sub_nc_u32 v5, 32, v6 :: v_dual_bitop2_b32 v4, v5, v4 bitop3:0x54
	s_delay_alu instid0(VALU_DEP_1) | instskip(NEXT) | instid1(VALU_DEP_1)
	v_cvt_f32_i32_e32 v4, v4
	v_ldexp_f32 v4, v4, v5
	s_branch .LBB150_373
.LBB150_370:
	s_mov_b32 s19, -1
                                        ; implicit-def: $vgpr4
	s_branch .LBB150_379
.LBB150_371:
	s_mov_b32 s19, -1
                                        ; implicit-def: $vgpr4
	s_branch .LBB150_376
.LBB150_372:
	s_mov_b32 s19, -1
                                        ; implicit-def: $vgpr4
.LBB150_373:
	s_delay_alu instid0(SALU_CYCLE_1)
	s_and_not1_b32 vcc_lo, exec_lo, s19
	s_cbranch_vccnz .LBB150_375
; %bb.374:
	s_wait_loadcnt 0x0
	global_load_b32 v4, v[0:1], off
	s_wait_loadcnt 0x0
	v_cvt_f32_i32_e32 v4, v4
.LBB150_375:
	s_mov_b32 s19, 0
.LBB150_376:
	s_delay_alu instid0(SALU_CYCLE_1)
	s_and_not1_b32 vcc_lo, exec_lo, s19
	s_cbranch_vccnz .LBB150_378
; %bb.377:
	s_wait_loadcnt 0x0
	global_load_i16 v4, v[0:1], off
	s_wait_loadcnt 0x0
	v_cvt_f32_i32_e32 v4, v4
.LBB150_378:
	s_mov_b32 s19, 0
.LBB150_379:
	s_delay_alu instid0(SALU_CYCLE_1)
	s_and_not1_b32 vcc_lo, exec_lo, s19
	s_cbranch_vccnz .LBB150_385
; %bb.380:
	s_cmp_gt_i32 s0, 0
	s_mov_b32 s0, 0
	s_cbranch_scc0 .LBB150_382
; %bb.381:
	s_wait_loadcnt 0x0
	global_load_i8 v4, v[0:1], off
	s_wait_loadcnt 0x0
	v_cvt_f32_i32_e32 v4, v4
	s_branch .LBB150_383
.LBB150_382:
	s_mov_b32 s0, -1
                                        ; implicit-def: $vgpr4
.LBB150_383:
	s_delay_alu instid0(SALU_CYCLE_1)
	s_and_not1_b32 vcc_lo, exec_lo, s0
	s_cbranch_vccnz .LBB150_385
; %bb.384:
	global_load_u8 v0, v[0:1], off
	s_wait_loadcnt 0x0
	v_cvt_f32_ubyte0_e32 v4, v0
.LBB150_385:
	s_mov_b32 s19, -1
.LBB150_386:
	s_delay_alu instid0(SALU_CYCLE_1)
	s_and_not1_b32 vcc_lo, exec_lo, s19
	s_cbranch_vccnz .LBB150_394
; %bb.387:
	s_wait_loadcnt 0x0
	s_delay_alu instid0(VALU_DEP_4) | instskip(NEXT) | instid1(VALU_DEP_2)
	v_dual_max_num_f32 v1, v3, v3 :: v_dual_max_num_f32 v5, v2, v2
	v_cmp_u_f32_e32 vcc_lo, v4, v4
	v_max_num_f32_e32 v6, v4, v4
	v_mul_lo_u32 v0, v8, s12
	s_and_b32 s19, s2, 0xff
	s_delay_alu instid0(SALU_CYCLE_1) | instskip(NEXT) | instid1(VALU_DEP_2)
	s_cmp_lt_i32 s19, 11
	v_maxmin_num_f32 v1, v5, v1, v6
	s_delay_alu instid0(VALU_DEP_1) | instskip(SKIP_1) | instid1(VALU_DEP_2)
	v_cndmask_b32_e32 v4, v1, v4, vcc_lo
	v_cmp_u_f32_e32 vcc_lo, v3, v3
	v_dual_ashrrev_i32 v1, 31, v0 :: v_dual_cndmask_b32 v3, v4, v3, vcc_lo
	v_cmp_u_f32_e32 vcc_lo, v2, v2
	s_delay_alu instid0(VALU_DEP_2) | instskip(NEXT) | instid1(VALU_DEP_3)
	v_add_nc_u64_e32 v[0:1], s[4:5], v[0:1]
	v_cndmask_b32_e32 v2, v3, v2, vcc_lo
	s_cbranch_scc1 .LBB150_395
; %bb.388:
	s_and_b32 s26, 0xffff, s19
	s_delay_alu instid0(SALU_CYCLE_1)
	s_cmp_gt_i32 s26, 25
	s_cbranch_scc0 .LBB150_396
; %bb.389:
	s_cmp_gt_i32 s26, 28
	s_cbranch_scc0 .LBB150_397
; %bb.390:
	s_cmp_gt_i32 s26, 43
	s_cbranch_scc0 .LBB150_398
; %bb.391:
	s_cmp_gt_i32 s26, 45
	s_cbranch_scc0 .LBB150_399
; %bb.392:
	s_mov_b32 s28, 0
	s_mov_b32 s0, -1
	s_cmp_eq_u32 s26, 46
	s_mov_b32 s27, 0
	s_cbranch_scc0 .LBB150_400
; %bb.393:
	v_bfe_u32 v3, v2, 16, 1
	v_cmp_o_f32_e32 vcc_lo, v2, v2
	s_mov_b32 s27, -1
	s_mov_b32 s0, 0
	s_delay_alu instid0(VALU_DEP_2) | instskip(NEXT) | instid1(VALU_DEP_1)
	v_add3_u32 v3, v2, v3, 0x7fff
	v_lshrrev_b32_e32 v3, 16, v3
	s_delay_alu instid0(VALU_DEP_1)
	v_cndmask_b32_e32 v3, 0x7fc0, v3, vcc_lo
	global_store_b32 v[0:1], v3, off
	s_branch .LBB150_400
.LBB150_394:
	s_mov_b32 s0, 0
	s_branch .LBB150_510
.LBB150_395:
	s_mov_b32 s26, -1
	s_mov_b32 s0, 0
	s_mov_b32 s27, 0
	s_branch .LBB150_469
.LBB150_396:
	s_mov_b32 s0, 0
	s_mov_b32 s27, 0
	s_branch .LBB150_427
.LBB150_397:
	s_mov_b32 s0, 0
	s_mov_b32 s27, 0
	s_branch .LBB150_410
.LBB150_398:
	s_mov_b32 s0, 0
	s_mov_b32 s27, 0
	s_branch .LBB150_406
.LBB150_399:
	s_mov_b32 s0, 0
	s_mov_b32 s27, 0
.LBB150_400:
	s_and_b32 vcc_lo, exec_lo, s28
	s_cbranch_vccz .LBB150_405
; %bb.401:
	s_cmp_eq_u32 s26, 44
	s_mov_b32 s0, -1
	s_cbranch_scc0 .LBB150_405
; %bb.402:
	v_bfe_u32 v4, v2, 23, 8
	s_wait_xcnt 0x0
	v_mov_b32_e32 v3, 0xff
	s_mov_b32 s27, exec_lo
	s_delay_alu instid0(VALU_DEP_2)
	v_cmpx_ne_u32_e32 0xff, v4
	s_cbranch_execz .LBB150_404
; %bb.403:
	v_and_b32_e32 v3, 0x400000, v2
	v_and_or_b32 v4, 0x3fffff, v2, v4
	s_delay_alu instid0(VALU_DEP_2) | instskip(NEXT) | instid1(VALU_DEP_2)
	v_cmp_ne_u32_e32 vcc_lo, 0, v3
	v_cmp_ne_u32_e64 s0, 0, v4
	v_lshrrev_b32_e32 v3, 23, v2
	s_and_b32 s0, vcc_lo, s0
	s_delay_alu instid0(SALU_CYCLE_1) | instskip(NEXT) | instid1(VALU_DEP_1)
	v_cndmask_b32_e64 v4, 0, 1, s0
	v_add_nc_u32_e32 v3, v3, v4
.LBB150_404:
	s_or_b32 exec_lo, exec_lo, s27
	s_mov_b32 s27, -1
	s_mov_b32 s0, 0
	global_store_b8 v[0:1], v3, off
.LBB150_405:
	s_mov_b32 s28, 0
.LBB150_406:
	s_delay_alu instid0(SALU_CYCLE_1)
	s_and_b32 vcc_lo, exec_lo, s28
	s_cbranch_vccz .LBB150_409
; %bb.407:
	s_cmp_eq_u32 s26, 29
	s_mov_b32 s0, -1
	s_cbranch_scc0 .LBB150_409
; %bb.408:
	s_wait_xcnt 0x0
	v_trunc_f32_e32 v3, v2
	s_mov_b32 s27, -1
	s_mov_b32 s0, 0
	s_mov_b32 s28, 0
	s_delay_alu instid0(VALU_DEP_1) | instskip(NEXT) | instid1(VALU_DEP_1)
	v_mul_f32_e32 v4, 0x2f800000, v3
	v_floor_f32_e32 v4, v4
	s_delay_alu instid0(VALU_DEP_1) | instskip(SKIP_1) | instid1(VALU_DEP_2)
	v_fmamk_f32 v3, v4, 0xcf800000, v3
	v_cvt_u32_f32_e32 v5, v4
	v_cvt_u32_f32_e32 v4, v3
	global_store_b64 v[0:1], v[4:5], off
	s_branch .LBB150_410
.LBB150_409:
	s_mov_b32 s28, 0
.LBB150_410:
	s_delay_alu instid0(SALU_CYCLE_1)
	s_and_b32 vcc_lo, exec_lo, s28
	s_cbranch_vccz .LBB150_426
; %bb.411:
	s_cmp_lt_i32 s26, 27
	s_mov_b32 s27, -1
	s_cbranch_scc1 .LBB150_417
; %bb.412:
	s_wait_xcnt 0x0
	v_cvt_u32_f32_e32 v3, v2
	s_cmp_gt_i32 s26, 27
	s_cbranch_scc0 .LBB150_414
; %bb.413:
	s_mov_b32 s27, 0
	global_store_b32 v[0:1], v3, off
.LBB150_414:
	s_and_not1_b32 vcc_lo, exec_lo, s27
	s_cbranch_vccnz .LBB150_416
; %bb.415:
	global_store_b16 v[0:1], v3, off
.LBB150_416:
	s_mov_b32 s27, 0
.LBB150_417:
	s_delay_alu instid0(SALU_CYCLE_1)
	s_and_not1_b32 vcc_lo, exec_lo, s27
	s_cbranch_vccnz .LBB150_425
; %bb.418:
	s_wait_xcnt 0x0
	v_and_b32_e32 v3, 0x7fffffff, v2
	v_mov_b32_e32 v4, 0x80
	s_mov_b32 s27, exec_lo
	s_delay_alu instid0(VALU_DEP_2)
	v_cmpx_gt_u32_e32 0x43800000, v3
	s_cbranch_execz .LBB150_424
; %bb.419:
	v_cmp_lt_u32_e32 vcc_lo, 0x3bffffff, v3
	s_mov_b32 s28, 0
                                        ; implicit-def: $vgpr3
	s_and_saveexec_b32 s29, vcc_lo
	s_delay_alu instid0(SALU_CYCLE_1)
	s_xor_b32 s29, exec_lo, s29
	s_cbranch_execz .LBB150_658
; %bb.420:
	v_bfe_u32 v3, v2, 20, 1
	s_mov_b32 s28, exec_lo
	s_delay_alu instid0(VALU_DEP_1) | instskip(NEXT) | instid1(VALU_DEP_1)
	v_add3_u32 v3, v2, v3, 0x487ffff
	v_lshrrev_b32_e32 v3, 20, v3
	s_and_not1_saveexec_b32 s29, s29
	s_cbranch_execnz .LBB150_659
.LBB150_421:
	s_or_b32 exec_lo, exec_lo, s29
	v_mov_b32_e32 v4, 0
	s_and_saveexec_b32 s29, s28
.LBB150_422:
	v_lshrrev_b32_e32 v4, 24, v2
	s_delay_alu instid0(VALU_DEP_1)
	v_and_or_b32 v4, 0x80, v4, v3
.LBB150_423:
	s_or_b32 exec_lo, exec_lo, s29
.LBB150_424:
	s_delay_alu instid0(SALU_CYCLE_1)
	s_or_b32 exec_lo, exec_lo, s27
	global_store_b8 v[0:1], v4, off
.LBB150_425:
	s_mov_b32 s27, -1
.LBB150_426:
	s_mov_b32 s28, 0
.LBB150_427:
	s_delay_alu instid0(SALU_CYCLE_1)
	s_and_b32 vcc_lo, exec_lo, s28
	s_cbranch_vccz .LBB150_468
; %bb.428:
	s_cmp_gt_i32 s26, 22
	s_mov_b32 s28, -1
	s_cbranch_scc0 .LBB150_460
; %bb.429:
	s_cmp_lt_i32 s26, 24
	s_mov_b32 s27, -1
	s_cbranch_scc1 .LBB150_449
; %bb.430:
	s_cmp_gt_i32 s26, 24
	s_cbranch_scc0 .LBB150_438
; %bb.431:
	s_wait_xcnt 0x0
	v_and_b32_e32 v3, 0x7fffffff, v2
	v_mov_b32_e32 v4, 0x80
	s_mov_b32 s27, exec_lo
	s_delay_alu instid0(VALU_DEP_2)
	v_cmpx_gt_u32_e32 0x47800000, v3
	s_cbranch_execz .LBB150_437
; %bb.432:
	v_cmp_lt_u32_e32 vcc_lo, 0x37ffffff, v3
	s_mov_b32 s28, 0
                                        ; implicit-def: $vgpr3
	s_and_saveexec_b32 s29, vcc_lo
	s_delay_alu instid0(SALU_CYCLE_1)
	s_xor_b32 s29, exec_lo, s29
	s_cbranch_execz .LBB150_790
; %bb.433:
	v_bfe_u32 v3, v2, 21, 1
	s_mov_b32 s28, exec_lo
	s_delay_alu instid0(VALU_DEP_1) | instskip(NEXT) | instid1(VALU_DEP_1)
	v_add3_u32 v3, v2, v3, 0x88fffff
	v_lshrrev_b32_e32 v3, 21, v3
	s_and_not1_saveexec_b32 s29, s29
	s_cbranch_execnz .LBB150_791
.LBB150_434:
	s_or_b32 exec_lo, exec_lo, s29
	v_mov_b32_e32 v4, 0
	s_and_saveexec_b32 s29, s28
.LBB150_435:
	v_lshrrev_b32_e32 v4, 24, v2
	s_delay_alu instid0(VALU_DEP_1)
	v_and_or_b32 v4, 0x80, v4, v3
.LBB150_436:
	s_or_b32 exec_lo, exec_lo, s29
.LBB150_437:
	s_delay_alu instid0(SALU_CYCLE_1)
	s_or_b32 exec_lo, exec_lo, s27
	s_mov_b32 s27, 0
	global_store_b8 v[0:1], v4, off
.LBB150_438:
	s_and_b32 vcc_lo, exec_lo, s27
	s_cbranch_vccz .LBB150_448
; %bb.439:
	s_wait_xcnt 0x0
	v_and_b32_e32 v4, 0x7fffffff, v2
	s_mov_b32 s27, exec_lo
                                        ; implicit-def: $vgpr3
	s_delay_alu instid0(VALU_DEP_1)
	v_cmpx_gt_u32_e32 0x43f00000, v4
	s_xor_b32 s27, exec_lo, s27
	s_cbranch_execz .LBB150_445
; %bb.440:
	s_mov_b32 s28, exec_lo
                                        ; implicit-def: $vgpr3
	v_cmpx_lt_u32_e32 0x3c7fffff, v4
	s_xor_b32 s28, exec_lo, s28
; %bb.441:
	v_bfe_u32 v3, v2, 20, 1
	s_delay_alu instid0(VALU_DEP_1) | instskip(NEXT) | instid1(VALU_DEP_1)
	v_add3_u32 v3, v2, v3, 0x407ffff
	v_and_b32_e32 v4, 0xff00000, v3
	v_lshrrev_b32_e32 v3, 20, v3
	s_delay_alu instid0(VALU_DEP_2) | instskip(NEXT) | instid1(VALU_DEP_2)
	v_cmp_ne_u32_e32 vcc_lo, 0x7f00000, v4
	v_cndmask_b32_e32 v3, 0x7e, v3, vcc_lo
; %bb.442:
	s_and_not1_saveexec_b32 s28, s28
; %bb.443:
	v_add_f32_e64 v3, 0x46800000, |v2|
; %bb.444:
	s_or_b32 exec_lo, exec_lo, s28
                                        ; implicit-def: $vgpr4
.LBB150_445:
	s_and_not1_saveexec_b32 s27, s27
; %bb.446:
	v_mov_b32_e32 v3, 0x7f
	v_cmp_lt_u32_e32 vcc_lo, 0x7f800000, v4
	s_delay_alu instid0(VALU_DEP_2)
	v_cndmask_b32_e32 v3, 0x7e, v3, vcc_lo
; %bb.447:
	s_or_b32 exec_lo, exec_lo, s27
	v_lshrrev_b32_e32 v4, 24, v2
	s_delay_alu instid0(VALU_DEP_1)
	v_and_or_b32 v3, 0x80, v4, v3
	global_store_b8 v[0:1], v3, off
.LBB150_448:
	s_mov_b32 s27, 0
.LBB150_449:
	s_delay_alu instid0(SALU_CYCLE_1)
	s_and_not1_b32 vcc_lo, exec_lo, s27
	s_cbranch_vccnz .LBB150_459
; %bb.450:
	s_wait_xcnt 0x0
	v_and_b32_e32 v4, 0x7fffffff, v2
	s_mov_b32 s27, exec_lo
                                        ; implicit-def: $vgpr3
	s_delay_alu instid0(VALU_DEP_1)
	v_cmpx_gt_u32_e32 0x47800000, v4
	s_xor_b32 s27, exec_lo, s27
	s_cbranch_execz .LBB150_456
; %bb.451:
	s_mov_b32 s28, exec_lo
                                        ; implicit-def: $vgpr3
	v_cmpx_lt_u32_e32 0x387fffff, v4
	s_xor_b32 s28, exec_lo, s28
; %bb.452:
	v_bfe_u32 v3, v2, 21, 1
	s_delay_alu instid0(VALU_DEP_1) | instskip(NEXT) | instid1(VALU_DEP_1)
	v_add3_u32 v3, v2, v3, 0x80fffff
	v_lshrrev_b32_e32 v3, 21, v3
; %bb.453:
	s_and_not1_saveexec_b32 s28, s28
; %bb.454:
	v_add_f32_e64 v3, 0x43000000, |v2|
; %bb.455:
	s_or_b32 exec_lo, exec_lo, s28
                                        ; implicit-def: $vgpr4
.LBB150_456:
	s_and_not1_saveexec_b32 s27, s27
; %bb.457:
	v_mov_b32_e32 v3, 0x7f
	v_cmp_lt_u32_e32 vcc_lo, 0x7f800000, v4
	s_delay_alu instid0(VALU_DEP_2)
	v_cndmask_b32_e32 v3, 0x7c, v3, vcc_lo
; %bb.458:
	s_or_b32 exec_lo, exec_lo, s27
	v_lshrrev_b32_e32 v4, 24, v2
	s_delay_alu instid0(VALU_DEP_1)
	v_and_or_b32 v3, 0x80, v4, v3
	global_store_b8 v[0:1], v3, off
.LBB150_459:
	s_mov_b32 s28, 0
	s_mov_b32 s27, -1
.LBB150_460:
	s_and_not1_b32 vcc_lo, exec_lo, s28
	s_cbranch_vccnz .LBB150_468
; %bb.461:
	s_cmp_gt_i32 s26, 14
	s_mov_b32 s28, -1
	s_cbranch_scc0 .LBB150_465
; %bb.462:
	s_cmp_eq_u32 s26, 15
	s_mov_b32 s0, -1
	s_cbranch_scc0 .LBB150_464
; %bb.463:
	s_wait_xcnt 0x0
	v_bfe_u32 v3, v2, 16, 1
	v_cmp_o_f32_e32 vcc_lo, v2, v2
	s_mov_b32 s27, -1
	s_mov_b32 s0, 0
	s_delay_alu instid0(VALU_DEP_2) | instskip(NEXT) | instid1(VALU_DEP_1)
	v_add3_u32 v3, v2, v3, 0x7fff
	v_lshrrev_b32_e32 v3, 16, v3
	s_delay_alu instid0(VALU_DEP_1)
	v_cndmask_b32_e32 v3, 0x7fc0, v3, vcc_lo
	global_store_b16 v[0:1], v3, off
.LBB150_464:
	s_mov_b32 s28, 0
.LBB150_465:
	s_delay_alu instid0(SALU_CYCLE_1)
	s_and_b32 vcc_lo, exec_lo, s28
	s_cbranch_vccz .LBB150_468
; %bb.466:
	s_cmp_eq_u32 s26, 11
	s_mov_b32 s0, -1
	s_cbranch_scc0 .LBB150_468
; %bb.467:
	v_cmp_neq_f32_e32 vcc_lo, 0, v2
	s_mov_b32 s0, 0
	s_mov_b32 s27, -1
	s_wait_xcnt 0x0
	v_cndmask_b32_e64 v3, 0, 1, vcc_lo
	global_store_b8 v[0:1], v3, off
.LBB150_468:
	s_mov_b32 s26, 0
.LBB150_469:
	s_delay_alu instid0(SALU_CYCLE_1)
	s_and_b32 vcc_lo, exec_lo, s26
	s_cbranch_vccz .LBB150_508
; %bb.470:
	s_and_b32 s19, 0xffff, s19
	s_mov_b32 s26, -1
	s_cmp_lt_i32 s19, 5
	s_cbranch_scc1 .LBB150_491
; %bb.471:
	s_cmp_lt_i32 s19, 8
	s_cbranch_scc1 .LBB150_481
; %bb.472:
	;; [unrolled: 3-line block ×3, first 2 shown]
	s_cmp_gt_i32 s19, 9
	s_cbranch_scc0 .LBB150_475
; %bb.474:
	s_wait_xcnt 0x0
	v_cvt_f64_f32_e32 v[4:5], v2
	v_mov_b32_e32 v6, 0
	s_mov_b32 s26, 0
	s_delay_alu instid0(VALU_DEP_1)
	v_mov_b32_e32 v7, v6
	global_store_b128 v[0:1], v[4:7], off
.LBB150_475:
	s_and_not1_b32 vcc_lo, exec_lo, s26
	s_cbranch_vccnz .LBB150_477
; %bb.476:
	s_wait_xcnt 0x0
	v_mov_b32_e32 v3, 0
	global_store_b64 v[0:1], v[2:3], off
.LBB150_477:
	s_mov_b32 s26, 0
.LBB150_478:
	s_delay_alu instid0(SALU_CYCLE_1)
	s_and_not1_b32 vcc_lo, exec_lo, s26
	s_cbranch_vccnz .LBB150_480
; %bb.479:
	s_wait_xcnt 0x0
	v_cvt_f16_f32_e32 v3, v2
	s_delay_alu instid0(VALU_DEP_1)
	v_and_b32_e32 v3, 0xffff, v3
	global_store_b32 v[0:1], v3, off
.LBB150_480:
	s_mov_b32 s26, 0
.LBB150_481:
	s_delay_alu instid0(SALU_CYCLE_1)
	s_and_not1_b32 vcc_lo, exec_lo, s26
	s_cbranch_vccnz .LBB150_490
; %bb.482:
	s_cmp_lt_i32 s19, 6
	s_mov_b32 s26, -1
	s_cbranch_scc1 .LBB150_488
; %bb.483:
	s_cmp_gt_i32 s19, 6
	s_cbranch_scc0 .LBB150_485
; %bb.484:
	s_wait_xcnt 0x0
	v_cvt_f64_f32_e32 v[4:5], v2
	s_mov_b32 s26, 0
	global_store_b64 v[0:1], v[4:5], off
.LBB150_485:
	s_and_not1_b32 vcc_lo, exec_lo, s26
	s_cbranch_vccnz .LBB150_487
; %bb.486:
	global_store_b32 v[0:1], v2, off
.LBB150_487:
	s_mov_b32 s26, 0
.LBB150_488:
	s_delay_alu instid0(SALU_CYCLE_1)
	s_and_not1_b32 vcc_lo, exec_lo, s26
	s_cbranch_vccnz .LBB150_490
; %bb.489:
	s_wait_xcnt 0x0
	v_cvt_f16_f32_e32 v3, v2
	global_store_b16 v[0:1], v3, off
.LBB150_490:
	s_mov_b32 s26, 0
.LBB150_491:
	s_delay_alu instid0(SALU_CYCLE_1)
	s_and_not1_b32 vcc_lo, exec_lo, s26
	s_cbranch_vccnz .LBB150_507
; %bb.492:
	s_cmp_lt_i32 s19, 2
	s_mov_b32 s26, -1
	s_cbranch_scc1 .LBB150_502
; %bb.493:
	s_cmp_lt_i32 s19, 3
	s_cbranch_scc1 .LBB150_499
; %bb.494:
	s_cmp_gt_i32 s19, 3
	s_cbranch_scc0 .LBB150_496
; %bb.495:
	s_wait_xcnt 0x0
	v_trunc_f32_e32 v3, v2
	s_mov_b32 s26, 0
	s_delay_alu instid0(VALU_DEP_1) | instskip(NEXT) | instid1(VALU_DEP_1)
	v_mul_f32_e64 v4, 0x2f800000, |v3|
	v_floor_f32_e32 v5, v4
	v_ashrrev_i32_e32 v4, 31, v3
	s_delay_alu instid0(VALU_DEP_2) | instskip(SKIP_1) | instid1(VALU_DEP_3)
	v_fma_f32 v6, 0xcf800000, v5, |v3|
	v_cvt_u32_f32_e32 v3, v5
	v_mov_b32_e32 v5, v4
	s_delay_alu instid0(VALU_DEP_3) | instskip(NEXT) | instid1(VALU_DEP_3)
	v_cvt_u32_f32_e32 v6, v6
	v_xor_b32_e32 v7, v3, v4
	s_delay_alu instid0(VALU_DEP_2) | instskip(NEXT) | instid1(VALU_DEP_1)
	v_xor_b32_e32 v6, v6, v4
	v_sub_nc_u64_e32 v[4:5], v[6:7], v[4:5]
	global_store_b64 v[0:1], v[4:5], off
.LBB150_496:
	s_and_not1_b32 vcc_lo, exec_lo, s26
	s_cbranch_vccnz .LBB150_498
; %bb.497:
	s_wait_xcnt 0x0
	v_cvt_i32_f32_e32 v3, v2
	global_store_b32 v[0:1], v3, off
.LBB150_498:
	s_mov_b32 s26, 0
.LBB150_499:
	s_delay_alu instid0(SALU_CYCLE_1)
	s_and_not1_b32 vcc_lo, exec_lo, s26
	s_cbranch_vccnz .LBB150_501
; %bb.500:
	s_wait_xcnt 0x0
	v_cvt_i32_f32_e32 v3, v2
	global_store_b16 v[0:1], v3, off
.LBB150_501:
	s_mov_b32 s26, 0
.LBB150_502:
	s_delay_alu instid0(SALU_CYCLE_1)
	s_and_not1_b32 vcc_lo, exec_lo, s26
	s_cbranch_vccnz .LBB150_507
; %bb.503:
	s_cmp_gt_i32 s19, 0
	s_mov_b32 s19, -1
	s_cbranch_scc0 .LBB150_505
; %bb.504:
	s_wait_xcnt 0x0
	v_cvt_i32_f32_e32 v3, v2
	s_mov_b32 s19, 0
	global_store_b8 v[0:1], v3, off
.LBB150_505:
	s_and_not1_b32 vcc_lo, exec_lo, s19
	s_cbranch_vccnz .LBB150_507
; %bb.506:
	s_wait_xcnt 0x0
	v_trunc_f32_e32 v2, v2
	s_delay_alu instid0(VALU_DEP_1) | instskip(NEXT) | instid1(VALU_DEP_1)
	v_mul_f32_e64 v3, 0x2f800000, |v2|
	v_floor_f32_e32 v3, v3
	s_delay_alu instid0(VALU_DEP_1) | instskip(SKIP_1) | instid1(VALU_DEP_2)
	v_fma_f32 v3, 0xcf800000, v3, |v2|
	v_ashrrev_i32_e32 v2, 31, v2
	v_cvt_u32_f32_e32 v3, v3
	s_delay_alu instid0(VALU_DEP_1) | instskip(NEXT) | instid1(VALU_DEP_1)
	v_xor_b32_e32 v3, v3, v2
	v_sub_nc_u32_e32 v2, v3, v2
	global_store_b8 v[0:1], v2, off
.LBB150_507:
	s_mov_b32 s27, -1
.LBB150_508:
	s_delay_alu instid0(SALU_CYCLE_1)
	s_and_not1_b32 vcc_lo, exec_lo, s27
	s_cbranch_vccnz .LBB150_510
; %bb.509:
	v_add_nc_u32_e32 v8, 0x80, v8
	s_mov_b32 s26, -1
	s_branch .LBB150_511
.LBB150_510:
	s_mov_b32 s26, 0
                                        ; implicit-def: $vgpr8
.LBB150_511:
	s_and_b32 s19, s0, exec_lo
	s_and_b32 s21, s21, exec_lo
	;; [unrolled: 1-line block ×4, first 2 shown]
	s_or_not1_b32 s28, s26, exec_lo
.LBB150_512:
	s_wait_xcnt 0x0
	s_or_b32 exec_lo, exec_lo, s24
	s_mov_b32 s27, 0
	s_mov_b32 s26, 0
                                        ; implicit-def: $sgpr0
                                        ; implicit-def: $vgpr0_vgpr1
                                        ; implicit-def: $vgpr3
	s_and_saveexec_b32 s24, s28
	s_cbranch_execz .LBB150_521
; %bb.513:
	s_mov_b32 s31, -1
	s_mov_b32 s25, s23
	s_mov_b32 s28, s22
	;; [unrolled: 1-line block ×4, first 2 shown]
	s_mov_b32 s29, exec_lo
	v_cmpx_gt_i32_e64 s20, v8
	s_cbranch_execz .LBB150_1035
; %bb.514:
	v_mul_lo_u32 v0, v8, s13
	s_and_b32 s0, s17, 0xff
	s_delay_alu instid0(SALU_CYCLE_1) | instskip(NEXT) | instid1(VALU_DEP_1)
	s_cmp_lt_i32 s0, 11
	v_ashrrev_i32_e32 v1, 31, v0
	s_delay_alu instid0(VALU_DEP_1)
	v_add_nc_u64_e32 v[0:1], s[6:7], v[0:1]
	s_cbranch_scc1 .LBB150_524
; %bb.515:
	s_and_b32 s26, 0xffff, s0
	s_delay_alu instid0(SALU_CYCLE_1)
	s_cmp_gt_i32 s26, 25
	s_cbranch_scc0 .LBB150_533
; %bb.516:
	s_cmp_gt_i32 s26, 28
	s_cbranch_scc0 .LBB150_535
; %bb.517:
	;; [unrolled: 3-line block ×4, first 2 shown]
	s_cmp_eq_u32 s26, 46
	s_mov_b32 s28, 0
	s_cbranch_scc0 .LBB150_541
; %bb.520:
	s_wait_loadcnt 0x0
	global_load_b32 v2, v[0:1], off
	s_mov_b32 s27, -1
	s_mov_b32 s25, 0
	s_wait_loadcnt 0x0
	v_lshlrev_b32_e32 v2, 16, v2
	s_branch .LBB150_543
.LBB150_521:
	s_or_b32 exec_lo, exec_lo, s24
	s_mov_b32 s20, 0
	s_and_saveexec_b32 s24, s23
	s_cbranch_execnz .LBB150_1639
.LBB150_522:
	s_or_b32 exec_lo, exec_lo, s24
	s_and_saveexec_b32 s23, s25
	s_delay_alu instid0(SALU_CYCLE_1)
	s_xor_b32 s23, exec_lo, s23
	s_cbranch_execz .LBB150_1640
.LBB150_523:
	s_wait_loadcnt 0x0
	global_load_u8 v2, v[0:1], off
	s_or_b32 s26, s26, exec_lo
	s_wait_loadcnt 0x0
	v_cmp_ne_u16_e32 vcc_lo, 0, v2
	v_cndmask_b32_e64 v3, 0, 1.0, vcc_lo
	s_wait_xcnt 0x0
	s_or_b32 exec_lo, exec_lo, s23
	s_and_saveexec_b32 s23, s27
	s_cbranch_execz .LBB150_1686
	s_branch .LBB150_1641
.LBB150_524:
	s_mov_b32 s27, 0
	s_mov_b32 s25, s23
                                        ; implicit-def: $vgpr2
	s_cbranch_execnz .LBB150_609
.LBB150_525:
	s_and_not1_b32 vcc_lo, exec_lo, s27
	s_cbranch_vccnz .LBB150_657
.LBB150_526:
	s_wait_xcnt 0x0
	v_mul_lo_u32 v0, v8, s14
	s_and_b32 s0, s3, 0xff
	s_delay_alu instid0(SALU_CYCLE_1) | instskip(NEXT) | instid1(VALU_DEP_1)
	s_cmp_lt_i32 s0, 11
	v_ashrrev_i32_e32 v1, 31, v0
	s_delay_alu instid0(VALU_DEP_1)
	v_add_nc_u64_e32 v[0:1], s[8:9], v[0:1]
	s_cbranch_scc1 .LBB150_534
; %bb.527:
	s_and_b32 s26, 0xffff, s0
	s_delay_alu instid0(SALU_CYCLE_1)
	s_cmp_gt_i32 s26, 25
	s_cbranch_scc0 .LBB150_536
; %bb.528:
	s_cmp_gt_i32 s26, 28
	s_cbranch_scc0 .LBB150_538
; %bb.529:
	;; [unrolled: 3-line block ×4, first 2 shown]
	s_cmp_eq_u32 s26, 46
	s_mov_b32 s30, 0
	s_cbranch_scc0 .LBB150_660
; %bb.532:
	s_wait_loadcnt 0x0
	global_load_b32 v3, v[0:1], off
	s_mov_b32 s27, -1
	s_mov_b32 s28, 0
	s_wait_loadcnt 0x0
	v_lshlrev_b32_e32 v3, 16, v3
	s_branch .LBB150_662
.LBB150_533:
	s_mov_b32 s28, -1
	s_mov_b32 s27, 0
	s_mov_b32 s25, s23
                                        ; implicit-def: $vgpr2
	s_branch .LBB150_573
.LBB150_534:
	s_mov_b32 s26, -1
	s_mov_b32 s27, 0
	s_mov_b32 s28, s22
                                        ; implicit-def: $vgpr3
	s_branch .LBB150_727
.LBB150_535:
	s_mov_b32 s28, -1
	s_mov_b32 s27, 0
	s_mov_b32 s25, s23
                                        ; implicit-def: $vgpr2
	s_branch .LBB150_554
.LBB150_536:
	s_mov_b32 s30, -1
	s_mov_b32 s27, 0
	s_mov_b32 s28, s22
                                        ; implicit-def: $vgpr3
	s_branch .LBB150_691
.LBB150_537:
	s_mov_b32 s28, -1
	s_mov_b32 s27, 0
	s_mov_b32 s25, s23
                                        ; implicit-def: $vgpr2
	s_branch .LBB150_549
.LBB150_538:
	s_mov_b32 s30, -1
	s_mov_b32 s27, 0
	s_mov_b32 s28, s22
                                        ; implicit-def: $vgpr3
	s_branch .LBB150_672
.LBB150_539:
	s_mov_b32 s28, -1
	s_mov_b32 s27, 0
	s_mov_b32 s25, s23
	s_branch .LBB150_542
.LBB150_540:
	s_mov_b32 s30, -1
	s_mov_b32 s27, 0
	s_mov_b32 s28, s22
                                        ; implicit-def: $vgpr3
	s_branch .LBB150_667
.LBB150_541:
	s_mov_b32 s25, -1
	s_mov_b32 s27, 0
.LBB150_542:
                                        ; implicit-def: $vgpr2
.LBB150_543:
	s_and_b32 vcc_lo, exec_lo, s28
	s_cbranch_vccz .LBB150_548
; %bb.544:
	s_cmp_eq_u32 s26, 44
	s_cbranch_scc0 .LBB150_547
; %bb.545:
	s_wait_loadcnt 0x0
	global_load_u8 v2, v[0:1], off
	s_mov_b32 s25, 0
	s_mov_b32 s27, -1
	s_wait_loadcnt 0x0
	v_lshlrev_b32_e32 v3, 23, v2
	v_cmp_ne_u32_e32 vcc_lo, 0xff, v2
	s_delay_alu instid0(VALU_DEP_2) | instskip(SKIP_1) | instid1(VALU_DEP_2)
	v_cndmask_b32_e32 v3, 0x7f800001, v3, vcc_lo
	v_cmp_ne_u32_e32 vcc_lo, 0, v2
	v_cndmask_b32_e32 v2, 0x400000, v3, vcc_lo
	s_branch .LBB150_548
.LBB150_546:
	s_mov_b32 s30, -1
	s_mov_b32 s27, 0
	s_mov_b32 s28, s22
	s_branch .LBB150_661
.LBB150_547:
	s_mov_b32 s25, -1
                                        ; implicit-def: $vgpr2
.LBB150_548:
	s_mov_b32 s28, 0
.LBB150_549:
	s_delay_alu instid0(SALU_CYCLE_1)
	s_and_b32 vcc_lo, exec_lo, s28
	s_cbranch_vccz .LBB150_553
; %bb.550:
	s_cmp_eq_u32 s26, 29
	s_cbranch_scc0 .LBB150_552
; %bb.551:
	s_wait_loadcnt 0x0
	global_load_b64 v[2:3], v[0:1], off
	s_mov_b32 s27, -1
	s_mov_b32 s25, 0
	s_mov_b32 s28, 0
	s_wait_loadcnt 0x0
	v_clz_i32_u32_e32 v4, v3
	s_delay_alu instid0(VALU_DEP_1) | instskip(NEXT) | instid1(VALU_DEP_1)
	v_min_u32_e32 v4, 32, v4
	v_lshlrev_b64_e32 v[2:3], v4, v[2:3]
	s_delay_alu instid0(VALU_DEP_1) | instskip(NEXT) | instid1(VALU_DEP_1)
	v_min_u32_e32 v2, 1, v2
	v_dual_sub_nc_u32 v3, 32, v4 :: v_dual_bitop2_b32 v2, v3, v2 bitop3:0x54
	s_delay_alu instid0(VALU_DEP_1) | instskip(NEXT) | instid1(VALU_DEP_1)
	v_cvt_f32_u32_e32 v2, v2
	v_ldexp_f32 v2, v2, v3
	s_branch .LBB150_554
.LBB150_552:
	s_mov_b32 s25, -1
                                        ; implicit-def: $vgpr2
.LBB150_553:
	s_mov_b32 s28, 0
.LBB150_554:
	s_delay_alu instid0(SALU_CYCLE_1)
	s_and_b32 vcc_lo, exec_lo, s28
	s_cbranch_vccz .LBB150_572
; %bb.555:
	s_cmp_lt_i32 s26, 27
	s_cbranch_scc1 .LBB150_558
; %bb.556:
	s_cmp_gt_i32 s26, 27
	s_cbranch_scc0 .LBB150_559
; %bb.557:
	s_wait_loadcnt 0x0
	global_load_b32 v2, v[0:1], off
	s_mov_b32 s27, 0
	s_wait_loadcnt 0x0
	v_cvt_f32_u32_e32 v2, v2
	s_branch .LBB150_560
.LBB150_558:
	s_mov_b32 s27, -1
                                        ; implicit-def: $vgpr2
	s_branch .LBB150_563
.LBB150_559:
	s_mov_b32 s27, -1
                                        ; implicit-def: $vgpr2
.LBB150_560:
	s_delay_alu instid0(SALU_CYCLE_1)
	s_and_not1_b32 vcc_lo, exec_lo, s27
	s_cbranch_vccnz .LBB150_562
; %bb.561:
	s_wait_loadcnt 0x0
	global_load_u16 v2, v[0:1], off
	s_wait_loadcnt 0x0
	v_cvt_f32_u32_e32 v2, v2
.LBB150_562:
	s_mov_b32 s27, 0
.LBB150_563:
	s_delay_alu instid0(SALU_CYCLE_1)
	s_and_not1_b32 vcc_lo, exec_lo, s27
	s_cbranch_vccnz .LBB150_571
; %bb.564:
	s_wait_loadcnt 0x0
	global_load_u8 v3, v[0:1], off
	s_mov_b32 s27, 0
	s_mov_b32 s28, exec_lo
	s_wait_loadcnt 0x0
	v_cmpx_lt_i16_e32 0x7f, v3
	s_xor_b32 s28, exec_lo, s28
	s_cbranch_execz .LBB150_585
; %bb.565:
	s_mov_b32 s27, -1
	s_mov_b32 s30, exec_lo
	v_cmpx_eq_u16_e32 0x80, v3
; %bb.566:
	s_xor_b32 s27, exec_lo, -1
; %bb.567:
	s_or_b32 exec_lo, exec_lo, s30
	s_delay_alu instid0(SALU_CYCLE_1)
	s_and_b32 s27, s27, exec_lo
	s_or_saveexec_b32 s28, s28
	v_mov_b32_e32 v2, 0x7f800001
	s_xor_b32 exec_lo, exec_lo, s28
	s_cbranch_execnz .LBB150_586
.LBB150_568:
	s_or_b32 exec_lo, exec_lo, s28
	s_and_saveexec_b32 s28, s27
	s_cbranch_execz .LBB150_570
.LBB150_569:
	v_and_b32_e32 v2, 0xffff, v3
	s_delay_alu instid0(VALU_DEP_1) | instskip(SKIP_1) | instid1(VALU_DEP_2)
	v_and_b32_e32 v4, 7, v2
	v_bfe_u32 v7, v2, 3, 4
	v_clz_i32_u32_e32 v5, v4
	s_delay_alu instid0(VALU_DEP_2) | instskip(NEXT) | instid1(VALU_DEP_2)
	v_cmp_eq_u32_e32 vcc_lo, 0, v7
	v_min_u32_e32 v5, 32, v5
	s_delay_alu instid0(VALU_DEP_1) | instskip(NEXT) | instid1(VALU_DEP_1)
	v_subrev_nc_u32_e32 v6, 28, v5
	v_dual_lshlrev_b32 v2, v6, v2 :: v_dual_sub_nc_u32 v5, 29, v5
	s_delay_alu instid0(VALU_DEP_1) | instskip(NEXT) | instid1(VALU_DEP_1)
	v_dual_lshlrev_b32 v3, 24, v3 :: v_dual_bitop2_b32 v2, 7, v2 bitop3:0x40
	v_dual_cndmask_b32 v5, v7, v5 :: v_dual_cndmask_b32 v2, v4, v2
	s_delay_alu instid0(VALU_DEP_2) | instskip(NEXT) | instid1(VALU_DEP_2)
	v_and_b32_e32 v3, 0x80000000, v3
	v_lshl_add_u32 v4, v5, 23, 0x3b800000
	s_delay_alu instid0(VALU_DEP_3) | instskip(NEXT) | instid1(VALU_DEP_1)
	v_lshlrev_b32_e32 v2, 20, v2
	v_or3_b32 v2, v3, v4, v2
.LBB150_570:
	s_or_b32 exec_lo, exec_lo, s28
.LBB150_571:
	s_mov_b32 s27, -1
.LBB150_572:
	s_mov_b32 s28, 0
.LBB150_573:
	s_delay_alu instid0(SALU_CYCLE_1)
	s_and_b32 vcc_lo, exec_lo, s28
	s_cbranch_vccz .LBB150_608
; %bb.574:
	s_cmp_gt_i32 s26, 22
	s_cbranch_scc0 .LBB150_584
; %bb.575:
	s_cmp_lt_i32 s26, 24
	s_cbranch_scc1 .LBB150_587
; %bb.576:
	s_cmp_gt_i32 s26, 24
	s_cbranch_scc0 .LBB150_588
; %bb.577:
	s_wait_loadcnt 0x0
	global_load_u8 v3, v[0:1], off
	s_mov_b32 s27, 0
	s_mov_b32 s28, exec_lo
	s_wait_loadcnt 0x0
	v_cmpx_lt_i16_e32 0x7f, v3
	s_xor_b32 s28, exec_lo, s28
	s_cbranch_execz .LBB150_600
; %bb.578:
	s_mov_b32 s27, -1
	s_mov_b32 s30, exec_lo
	v_cmpx_eq_u16_e32 0x80, v3
; %bb.579:
	s_xor_b32 s27, exec_lo, -1
; %bb.580:
	s_or_b32 exec_lo, exec_lo, s30
	s_delay_alu instid0(SALU_CYCLE_1)
	s_and_b32 s27, s27, exec_lo
	s_or_saveexec_b32 s28, s28
	v_mov_b32_e32 v2, 0x7f800001
	s_xor_b32 exec_lo, exec_lo, s28
	s_cbranch_execnz .LBB150_601
.LBB150_581:
	s_or_b32 exec_lo, exec_lo, s28
	s_and_saveexec_b32 s28, s27
	s_cbranch_execz .LBB150_583
.LBB150_582:
	v_and_b32_e32 v2, 0xffff, v3
	s_delay_alu instid0(VALU_DEP_1) | instskip(SKIP_1) | instid1(VALU_DEP_2)
	v_and_b32_e32 v4, 3, v2
	v_bfe_u32 v7, v2, 2, 5
	v_clz_i32_u32_e32 v5, v4
	s_delay_alu instid0(VALU_DEP_2) | instskip(NEXT) | instid1(VALU_DEP_2)
	v_cmp_eq_u32_e32 vcc_lo, 0, v7
	v_min_u32_e32 v5, 32, v5
	s_delay_alu instid0(VALU_DEP_1) | instskip(NEXT) | instid1(VALU_DEP_1)
	v_subrev_nc_u32_e32 v6, 29, v5
	v_dual_lshlrev_b32 v2, v6, v2 :: v_dual_sub_nc_u32 v5, 30, v5
	s_delay_alu instid0(VALU_DEP_1) | instskip(NEXT) | instid1(VALU_DEP_1)
	v_dual_lshlrev_b32 v3, 24, v3 :: v_dual_bitop2_b32 v2, 3, v2 bitop3:0x40
	v_dual_cndmask_b32 v5, v7, v5 :: v_dual_cndmask_b32 v2, v4, v2
	s_delay_alu instid0(VALU_DEP_2) | instskip(NEXT) | instid1(VALU_DEP_2)
	v_and_b32_e32 v3, 0x80000000, v3
	v_lshl_add_u32 v4, v5, 23, 0x37800000
	s_delay_alu instid0(VALU_DEP_3) | instskip(NEXT) | instid1(VALU_DEP_1)
	v_lshlrev_b32_e32 v2, 21, v2
	v_or3_b32 v2, v3, v4, v2
.LBB150_583:
	s_or_b32 exec_lo, exec_lo, s28
	s_mov_b32 s27, 0
	s_branch .LBB150_589
.LBB150_584:
	s_mov_b32 s28, -1
                                        ; implicit-def: $vgpr2
	s_branch .LBB150_595
.LBB150_585:
	s_or_saveexec_b32 s28, s28
	v_mov_b32_e32 v2, 0x7f800001
	s_xor_b32 exec_lo, exec_lo, s28
	s_cbranch_execz .LBB150_568
.LBB150_586:
	v_cmp_ne_u16_e32 vcc_lo, 0, v3
	v_mov_b32_e32 v2, 0
	s_and_not1_b32 s27, s27, exec_lo
	s_and_b32 s30, vcc_lo, exec_lo
	s_delay_alu instid0(SALU_CYCLE_1)
	s_or_b32 s27, s27, s30
	s_or_b32 exec_lo, exec_lo, s28
	s_and_saveexec_b32 s28, s27
	s_cbranch_execnz .LBB150_569
	s_branch .LBB150_570
.LBB150_587:
	s_mov_b32 s27, -1
                                        ; implicit-def: $vgpr2
	s_branch .LBB150_592
.LBB150_588:
	s_mov_b32 s27, -1
                                        ; implicit-def: $vgpr2
.LBB150_589:
	s_delay_alu instid0(SALU_CYCLE_1)
	s_and_b32 vcc_lo, exec_lo, s27
	s_cbranch_vccz .LBB150_591
; %bb.590:
	s_wait_loadcnt 0x0
	global_load_u8 v2, v[0:1], off
	s_wait_loadcnt 0x0
	v_lshlrev_b32_e32 v2, 24, v2
	s_delay_alu instid0(VALU_DEP_1) | instskip(NEXT) | instid1(VALU_DEP_1)
	v_and_b32_e32 v3, 0x7f000000, v2
	v_clz_i32_u32_e32 v4, v3
	v_cmp_ne_u32_e32 vcc_lo, 0, v3
	v_add_nc_u32_e32 v6, 0x1000000, v3
	s_delay_alu instid0(VALU_DEP_3) | instskip(NEXT) | instid1(VALU_DEP_1)
	v_min_u32_e32 v4, 32, v4
	v_sub_nc_u32_e64 v4, v4, 4 clamp
	s_delay_alu instid0(VALU_DEP_1) | instskip(NEXT) | instid1(VALU_DEP_1)
	v_dual_lshlrev_b32 v5, v4, v3 :: v_dual_lshlrev_b32 v4, 23, v4
	v_lshrrev_b32_e32 v5, 4, v5
	s_delay_alu instid0(VALU_DEP_1) | instskip(NEXT) | instid1(VALU_DEP_1)
	v_dual_sub_nc_u32 v4, v5, v4 :: v_dual_ashrrev_i32 v5, 8, v6
	v_add_nc_u32_e32 v4, 0x3c000000, v4
	s_delay_alu instid0(VALU_DEP_1) | instskip(NEXT) | instid1(VALU_DEP_1)
	v_and_or_b32 v4, 0x7f800000, v5, v4
	v_cndmask_b32_e32 v3, 0, v4, vcc_lo
	s_delay_alu instid0(VALU_DEP_1)
	v_and_or_b32 v2, 0x80000000, v2, v3
.LBB150_591:
	s_mov_b32 s27, 0
.LBB150_592:
	s_delay_alu instid0(SALU_CYCLE_1)
	s_and_not1_b32 vcc_lo, exec_lo, s27
	s_cbranch_vccnz .LBB150_594
; %bb.593:
	s_wait_loadcnt 0x0
	global_load_u8 v2, v[0:1], off
	s_wait_loadcnt 0x0
	v_lshlrev_b32_e32 v3, 25, v2
	v_lshlrev_b16 v2, 8, v2
	s_delay_alu instid0(VALU_DEP_1) | instskip(SKIP_1) | instid1(VALU_DEP_2)
	v_and_or_b32 v5, 0x7f00, v2, 0.5
	v_bfe_i32 v2, v2, 0, 16
	v_dual_add_f32 v5, -0.5, v5 :: v_dual_lshrrev_b32 v4, 4, v3
	v_cmp_gt_u32_e32 vcc_lo, 0x8000000, v3
	s_delay_alu instid0(VALU_DEP_2) | instskip(NEXT) | instid1(VALU_DEP_1)
	v_or_b32_e32 v4, 0x70000000, v4
	v_mul_f32_e32 v4, 0x7800000, v4
	s_delay_alu instid0(VALU_DEP_1) | instskip(NEXT) | instid1(VALU_DEP_1)
	v_cndmask_b32_e32 v3, v4, v5, vcc_lo
	v_and_or_b32 v2, 0x80000000, v2, v3
.LBB150_594:
	s_mov_b32 s28, 0
	s_mov_b32 s27, -1
.LBB150_595:
	s_and_not1_b32 vcc_lo, exec_lo, s28
	s_cbranch_vccnz .LBB150_608
; %bb.596:
	s_cmp_gt_i32 s26, 14
	s_cbranch_scc0 .LBB150_599
; %bb.597:
	s_cmp_eq_u32 s26, 15
	s_cbranch_scc0 .LBB150_602
; %bb.598:
	s_wait_loadcnt 0x0
	global_load_u16 v2, v[0:1], off
	s_mov_b32 s27, -1
	s_mov_b32 s25, 0
	s_wait_loadcnt 0x0
	v_lshlrev_b32_e32 v2, 16, v2
	s_branch .LBB150_603
.LBB150_599:
	s_mov_b32 s28, -1
                                        ; implicit-def: $vgpr2
	s_branch .LBB150_604
.LBB150_600:
	s_or_saveexec_b32 s28, s28
	v_mov_b32_e32 v2, 0x7f800001
	s_xor_b32 exec_lo, exec_lo, s28
	s_cbranch_execz .LBB150_581
.LBB150_601:
	v_cmp_ne_u16_e32 vcc_lo, 0, v3
	v_mov_b32_e32 v2, 0
	s_and_not1_b32 s27, s27, exec_lo
	s_and_b32 s30, vcc_lo, exec_lo
	s_delay_alu instid0(SALU_CYCLE_1)
	s_or_b32 s27, s27, s30
	s_or_b32 exec_lo, exec_lo, s28
	s_and_saveexec_b32 s28, s27
	s_cbranch_execnz .LBB150_582
	s_branch .LBB150_583
.LBB150_602:
	s_mov_b32 s25, -1
                                        ; implicit-def: $vgpr2
.LBB150_603:
	s_mov_b32 s28, 0
.LBB150_604:
	s_delay_alu instid0(SALU_CYCLE_1)
	s_and_b32 vcc_lo, exec_lo, s28
	s_cbranch_vccz .LBB150_608
; %bb.605:
	s_cmp_eq_u32 s26, 11
	s_cbranch_scc0 .LBB150_607
; %bb.606:
	s_wait_loadcnt 0x0
	global_load_u8 v2, v[0:1], off
	s_mov_b32 s25, 0
	s_mov_b32 s27, -1
	s_wait_loadcnt 0x0
	v_cmp_ne_u16_e32 vcc_lo, 0, v2
	v_cndmask_b32_e64 v2, 0, 1.0, vcc_lo
	s_branch .LBB150_608
.LBB150_607:
	s_mov_b32 s25, -1
                                        ; implicit-def: $vgpr2
.LBB150_608:
	s_branch .LBB150_525
.LBB150_609:
	s_and_b32 s0, 0xffff, s0
	s_delay_alu instid0(SALU_CYCLE_1)
	s_cmp_lt_i32 s0, 5
	s_cbranch_scc1 .LBB150_614
; %bb.610:
	s_cmp_lt_i32 s0, 8
	s_cbranch_scc1 .LBB150_615
; %bb.611:
	;; [unrolled: 3-line block ×3, first 2 shown]
	s_cmp_gt_i32 s0, 9
	s_cbranch_scc0 .LBB150_617
; %bb.613:
	s_wait_loadcnt 0x0
	global_load_b64 v[2:3], v[0:1], off
	s_mov_b32 s26, 0
	s_wait_loadcnt 0x0
	v_cvt_f32_f64_e32 v2, v[2:3]
	s_branch .LBB150_618
.LBB150_614:
	s_mov_b32 s26, -1
                                        ; implicit-def: $vgpr2
	s_branch .LBB150_636
.LBB150_615:
	s_mov_b32 s26, -1
                                        ; implicit-def: $vgpr2
	s_branch .LBB150_624
.LBB150_616:
	s_mov_b32 s26, -1
                                        ; implicit-def: $vgpr2
	s_branch .LBB150_621
.LBB150_617:
	s_mov_b32 s26, -1
                                        ; implicit-def: $vgpr2
.LBB150_618:
	s_delay_alu instid0(SALU_CYCLE_1)
	s_and_not1_b32 vcc_lo, exec_lo, s26
	s_cbranch_vccnz .LBB150_620
; %bb.619:
	s_wait_loadcnt 0x0
	global_load_b32 v2, v[0:1], off
.LBB150_620:
	s_mov_b32 s26, 0
.LBB150_621:
	s_delay_alu instid0(SALU_CYCLE_1)
	s_and_not1_b32 vcc_lo, exec_lo, s26
	s_cbranch_vccnz .LBB150_623
; %bb.622:
	s_wait_loadcnt 0x0
	global_load_b32 v2, v[0:1], off
	s_wait_loadcnt 0x0
	v_cvt_f32_f16_e32 v2, v2
.LBB150_623:
	s_mov_b32 s26, 0
.LBB150_624:
	s_delay_alu instid0(SALU_CYCLE_1)
	s_and_not1_b32 vcc_lo, exec_lo, s26
	s_cbranch_vccnz .LBB150_635
; %bb.625:
	s_cmp_lt_i32 s0, 6
	s_cbranch_scc1 .LBB150_628
; %bb.626:
	s_cmp_gt_i32 s0, 6
	s_cbranch_scc0 .LBB150_629
; %bb.627:
	s_wait_loadcnt 0x0
	global_load_b64 v[2:3], v[0:1], off
	s_mov_b32 s26, 0
	s_wait_loadcnt 0x0
	v_cvt_f32_f64_e32 v2, v[2:3]
	s_branch .LBB150_630
.LBB150_628:
	s_mov_b32 s26, -1
                                        ; implicit-def: $vgpr2
	s_branch .LBB150_633
.LBB150_629:
	s_mov_b32 s26, -1
                                        ; implicit-def: $vgpr2
.LBB150_630:
	s_delay_alu instid0(SALU_CYCLE_1)
	s_and_not1_b32 vcc_lo, exec_lo, s26
	s_cbranch_vccnz .LBB150_632
; %bb.631:
	s_wait_loadcnt 0x0
	global_load_b32 v2, v[0:1], off
.LBB150_632:
	s_mov_b32 s26, 0
.LBB150_633:
	s_delay_alu instid0(SALU_CYCLE_1)
	s_and_not1_b32 vcc_lo, exec_lo, s26
	s_cbranch_vccnz .LBB150_635
; %bb.634:
	s_wait_loadcnt 0x0
	global_load_u16 v2, v[0:1], off
	s_wait_loadcnt 0x0
	v_cvt_f32_f16_e32 v2, v2
.LBB150_635:
	s_mov_b32 s26, 0
.LBB150_636:
	s_delay_alu instid0(SALU_CYCLE_1)
	s_and_not1_b32 vcc_lo, exec_lo, s26
	s_cbranch_vccnz .LBB150_656
; %bb.637:
	s_cmp_lt_i32 s0, 2
	s_cbranch_scc1 .LBB150_641
; %bb.638:
	s_cmp_lt_i32 s0, 3
	s_cbranch_scc1 .LBB150_642
; %bb.639:
	s_cmp_gt_i32 s0, 3
	s_cbranch_scc0 .LBB150_643
; %bb.640:
	s_wait_loadcnt 0x0
	global_load_b64 v[2:3], v[0:1], off
	s_mov_b32 s26, 0
	s_wait_loadcnt 0x0
	v_xor_b32_e32 v4, v2, v3
	v_cls_i32_e32 v5, v3
	s_delay_alu instid0(VALU_DEP_2) | instskip(NEXT) | instid1(VALU_DEP_1)
	v_ashrrev_i32_e32 v4, 31, v4
	v_add_nc_u32_e32 v4, 32, v4
	s_delay_alu instid0(VALU_DEP_1) | instskip(NEXT) | instid1(VALU_DEP_1)
	v_add_min_u32_e64 v4, v5, -1, v4
	v_lshlrev_b64_e32 v[2:3], v4, v[2:3]
	s_delay_alu instid0(VALU_DEP_1) | instskip(NEXT) | instid1(VALU_DEP_1)
	v_min_u32_e32 v2, 1, v2
	v_dual_sub_nc_u32 v3, 32, v4 :: v_dual_bitop2_b32 v2, v3, v2 bitop3:0x54
	s_delay_alu instid0(VALU_DEP_1) | instskip(NEXT) | instid1(VALU_DEP_1)
	v_cvt_f32_i32_e32 v2, v2
	v_ldexp_f32 v2, v2, v3
	s_branch .LBB150_644
.LBB150_641:
	s_mov_b32 s26, -1
                                        ; implicit-def: $vgpr2
	s_branch .LBB150_650
.LBB150_642:
	s_mov_b32 s26, -1
                                        ; implicit-def: $vgpr2
	s_branch .LBB150_647
.LBB150_643:
	s_mov_b32 s26, -1
                                        ; implicit-def: $vgpr2
.LBB150_644:
	s_delay_alu instid0(SALU_CYCLE_1)
	s_and_not1_b32 vcc_lo, exec_lo, s26
	s_cbranch_vccnz .LBB150_646
; %bb.645:
	s_wait_loadcnt 0x0
	global_load_b32 v2, v[0:1], off
	s_wait_loadcnt 0x0
	v_cvt_f32_i32_e32 v2, v2
.LBB150_646:
	s_mov_b32 s26, 0
.LBB150_647:
	s_delay_alu instid0(SALU_CYCLE_1)
	s_and_not1_b32 vcc_lo, exec_lo, s26
	s_cbranch_vccnz .LBB150_649
; %bb.648:
	s_wait_loadcnt 0x0
	global_load_i16 v2, v[0:1], off
	s_wait_loadcnt 0x0
	v_cvt_f32_i32_e32 v2, v2
.LBB150_649:
	s_mov_b32 s26, 0
.LBB150_650:
	s_delay_alu instid0(SALU_CYCLE_1)
	s_and_not1_b32 vcc_lo, exec_lo, s26
	s_cbranch_vccnz .LBB150_656
; %bb.651:
	s_cmp_gt_i32 s0, 0
	s_mov_b32 s0, 0
	s_cbranch_scc0 .LBB150_653
; %bb.652:
	s_wait_loadcnt 0x0
	global_load_i8 v2, v[0:1], off
	s_wait_loadcnt 0x0
	v_cvt_f32_i32_e32 v2, v2
	s_branch .LBB150_654
.LBB150_653:
	s_mov_b32 s0, -1
                                        ; implicit-def: $vgpr2
.LBB150_654:
	s_delay_alu instid0(SALU_CYCLE_1)
	s_and_not1_b32 vcc_lo, exec_lo, s0
	s_cbranch_vccnz .LBB150_656
; %bb.655:
	global_load_u8 v0, v[0:1], off
	s_wait_loadcnt 0x0
	v_cvt_f32_ubyte0_e32 v2, v0
.LBB150_656:
	s_branch .LBB150_526
.LBB150_657:
	s_mov_b32 s30, 0
	s_mov_b32 s0, s19
	;; [unrolled: 1-line block ×4, first 2 shown]
	s_branch .LBB150_1033
.LBB150_658:
	s_and_not1_saveexec_b32 s29, s29
	s_cbranch_execz .LBB150_421
.LBB150_659:
	v_add_f32_e64 v3, 0x46000000, |v2|
	s_and_not1_b32 s28, s28, exec_lo
	s_delay_alu instid0(VALU_DEP_1) | instskip(NEXT) | instid1(VALU_DEP_1)
	v_and_b32_e32 v3, 0xff, v3
	v_cmp_ne_u32_e32 vcc_lo, 0, v3
	s_and_b32 s30, vcc_lo, exec_lo
	s_delay_alu instid0(SALU_CYCLE_1)
	s_or_b32 s28, s28, s30
	s_or_b32 exec_lo, exec_lo, s29
	v_mov_b32_e32 v4, 0
	s_and_saveexec_b32 s29, s28
	s_cbranch_execnz .LBB150_422
	s_branch .LBB150_423
.LBB150_660:
	s_mov_b32 s28, -1
	s_mov_b32 s27, 0
.LBB150_661:
                                        ; implicit-def: $vgpr3
.LBB150_662:
	s_and_b32 vcc_lo, exec_lo, s30
	s_cbranch_vccz .LBB150_666
; %bb.663:
	s_cmp_eq_u32 s26, 44
	s_cbranch_scc0 .LBB150_665
; %bb.664:
	s_wait_loadcnt 0x0
	global_load_u8 v3, v[0:1], off
	s_mov_b32 s28, 0
	s_mov_b32 s27, -1
	s_wait_loadcnt 0x0
	v_lshlrev_b32_e32 v4, 23, v3
	v_cmp_ne_u32_e32 vcc_lo, 0xff, v3
	s_delay_alu instid0(VALU_DEP_2) | instskip(SKIP_1) | instid1(VALU_DEP_2)
	v_cndmask_b32_e32 v4, 0x7f800001, v4, vcc_lo
	v_cmp_ne_u32_e32 vcc_lo, 0, v3
	v_cndmask_b32_e32 v3, 0x400000, v4, vcc_lo
	s_branch .LBB150_666
.LBB150_665:
	s_mov_b32 s28, -1
                                        ; implicit-def: $vgpr3
.LBB150_666:
	s_mov_b32 s30, 0
.LBB150_667:
	s_delay_alu instid0(SALU_CYCLE_1)
	s_and_b32 vcc_lo, exec_lo, s30
	s_cbranch_vccz .LBB150_671
; %bb.668:
	s_cmp_eq_u32 s26, 29
	s_cbranch_scc0 .LBB150_670
; %bb.669:
	s_wait_loadcnt 0x0
	global_load_b64 v[4:5], v[0:1], off
	s_mov_b32 s27, -1
	s_mov_b32 s28, 0
	s_mov_b32 s30, 0
	s_wait_loadcnt 0x0
	v_clz_i32_u32_e32 v3, v5
	s_delay_alu instid0(VALU_DEP_1) | instskip(NEXT) | instid1(VALU_DEP_1)
	v_min_u32_e32 v3, 32, v3
	v_lshlrev_b64_e32 v[4:5], v3, v[4:5]
	v_sub_nc_u32_e32 v3, 32, v3
	s_delay_alu instid0(VALU_DEP_2) | instskip(NEXT) | instid1(VALU_DEP_1)
	v_min_u32_e32 v4, 1, v4
	v_or_b32_e32 v4, v5, v4
	s_delay_alu instid0(VALU_DEP_1) | instskip(NEXT) | instid1(VALU_DEP_1)
	v_cvt_f32_u32_e32 v4, v4
	v_ldexp_f32 v3, v4, v3
	s_branch .LBB150_672
.LBB150_670:
	s_mov_b32 s28, -1
                                        ; implicit-def: $vgpr3
.LBB150_671:
	s_mov_b32 s30, 0
.LBB150_672:
	s_delay_alu instid0(SALU_CYCLE_1)
	s_and_b32 vcc_lo, exec_lo, s30
	s_cbranch_vccz .LBB150_690
; %bb.673:
	s_cmp_lt_i32 s26, 27
	s_cbranch_scc1 .LBB150_676
; %bb.674:
	s_cmp_gt_i32 s26, 27
	s_cbranch_scc0 .LBB150_677
; %bb.675:
	s_wait_loadcnt 0x0
	global_load_b32 v3, v[0:1], off
	s_mov_b32 s27, 0
	s_wait_loadcnt 0x0
	v_cvt_f32_u32_e32 v3, v3
	s_branch .LBB150_678
.LBB150_676:
	s_mov_b32 s27, -1
                                        ; implicit-def: $vgpr3
	s_branch .LBB150_681
.LBB150_677:
	s_mov_b32 s27, -1
                                        ; implicit-def: $vgpr3
.LBB150_678:
	s_delay_alu instid0(SALU_CYCLE_1)
	s_and_not1_b32 vcc_lo, exec_lo, s27
	s_cbranch_vccnz .LBB150_680
; %bb.679:
	s_wait_loadcnt 0x0
	global_load_u16 v3, v[0:1], off
	s_wait_loadcnt 0x0
	v_cvt_f32_u32_e32 v3, v3
.LBB150_680:
	s_mov_b32 s27, 0
.LBB150_681:
	s_delay_alu instid0(SALU_CYCLE_1)
	s_and_not1_b32 vcc_lo, exec_lo, s27
	s_cbranch_vccnz .LBB150_689
; %bb.682:
	s_wait_loadcnt 0x0
	global_load_u8 v4, v[0:1], off
	s_mov_b32 s27, 0
	s_mov_b32 s30, exec_lo
	s_wait_loadcnt 0x0
	v_cmpx_lt_i16_e32 0x7f, v4
	s_xor_b32 s30, exec_lo, s30
	s_cbranch_execz .LBB150_703
; %bb.683:
	s_mov_b32 s27, -1
	s_mov_b32 s31, exec_lo
	v_cmpx_eq_u16_e32 0x80, v4
; %bb.684:
	s_xor_b32 s27, exec_lo, -1
; %bb.685:
	s_or_b32 exec_lo, exec_lo, s31
	s_delay_alu instid0(SALU_CYCLE_1)
	s_and_b32 s27, s27, exec_lo
	s_or_saveexec_b32 s30, s30
	v_mov_b32_e32 v3, 0x7f800001
	s_xor_b32 exec_lo, exec_lo, s30
	s_cbranch_execnz .LBB150_704
.LBB150_686:
	s_or_b32 exec_lo, exec_lo, s30
	s_and_saveexec_b32 s30, s27
	s_cbranch_execz .LBB150_688
.LBB150_687:
	v_and_b32_e32 v3, 0xffff, v4
	s_delay_alu instid0(VALU_DEP_1) | instskip(SKIP_1) | instid1(VALU_DEP_2)
	v_and_b32_e32 v5, 7, v3
	v_bfe_u32 v9, v3, 3, 4
	v_clz_i32_u32_e32 v6, v5
	s_delay_alu instid0(VALU_DEP_2) | instskip(NEXT) | instid1(VALU_DEP_2)
	v_cmp_eq_u32_e32 vcc_lo, 0, v9
	v_min_u32_e32 v6, 32, v6
	s_delay_alu instid0(VALU_DEP_1) | instskip(NEXT) | instid1(VALU_DEP_1)
	v_subrev_nc_u32_e32 v7, 28, v6
	v_dual_lshlrev_b32 v3, v7, v3 :: v_dual_sub_nc_u32 v6, 29, v6
	s_delay_alu instid0(VALU_DEP_1) | instskip(NEXT) | instid1(VALU_DEP_2)
	v_dual_lshlrev_b32 v4, 24, v4 :: v_dual_bitop2_b32 v3, 7, v3 bitop3:0x40
	v_cndmask_b32_e32 v6, v9, v6, vcc_lo
	s_delay_alu instid0(VALU_DEP_2) | instskip(NEXT) | instid1(VALU_DEP_3)
	v_cndmask_b32_e32 v3, v5, v3, vcc_lo
	v_and_b32_e32 v4, 0x80000000, v4
	s_delay_alu instid0(VALU_DEP_3) | instskip(NEXT) | instid1(VALU_DEP_3)
	v_lshl_add_u32 v5, v6, 23, 0x3b800000
	v_lshlrev_b32_e32 v3, 20, v3
	s_delay_alu instid0(VALU_DEP_1)
	v_or3_b32 v3, v4, v5, v3
.LBB150_688:
	s_or_b32 exec_lo, exec_lo, s30
.LBB150_689:
	s_mov_b32 s27, -1
.LBB150_690:
	s_mov_b32 s30, 0
.LBB150_691:
	s_delay_alu instid0(SALU_CYCLE_1)
	s_and_b32 vcc_lo, exec_lo, s30
	s_cbranch_vccz .LBB150_726
; %bb.692:
	s_cmp_gt_i32 s26, 22
	s_cbranch_scc0 .LBB150_702
; %bb.693:
	s_cmp_lt_i32 s26, 24
	s_cbranch_scc1 .LBB150_705
; %bb.694:
	s_cmp_gt_i32 s26, 24
	s_cbranch_scc0 .LBB150_706
; %bb.695:
	s_wait_loadcnt 0x0
	global_load_u8 v4, v[0:1], off
	s_mov_b32 s27, 0
	s_mov_b32 s30, exec_lo
	s_wait_loadcnt 0x0
	v_cmpx_lt_i16_e32 0x7f, v4
	s_xor_b32 s30, exec_lo, s30
	s_cbranch_execz .LBB150_718
; %bb.696:
	s_mov_b32 s27, -1
	s_mov_b32 s31, exec_lo
	v_cmpx_eq_u16_e32 0x80, v4
; %bb.697:
	s_xor_b32 s27, exec_lo, -1
; %bb.698:
	s_or_b32 exec_lo, exec_lo, s31
	s_delay_alu instid0(SALU_CYCLE_1)
	s_and_b32 s27, s27, exec_lo
	s_or_saveexec_b32 s30, s30
	v_mov_b32_e32 v3, 0x7f800001
	s_xor_b32 exec_lo, exec_lo, s30
	s_cbranch_execnz .LBB150_719
.LBB150_699:
	s_or_b32 exec_lo, exec_lo, s30
	s_and_saveexec_b32 s30, s27
	s_cbranch_execz .LBB150_701
.LBB150_700:
	v_and_b32_e32 v3, 0xffff, v4
	s_delay_alu instid0(VALU_DEP_1) | instskip(SKIP_1) | instid1(VALU_DEP_2)
	v_and_b32_e32 v5, 3, v3
	v_bfe_u32 v9, v3, 2, 5
	v_clz_i32_u32_e32 v6, v5
	s_delay_alu instid0(VALU_DEP_2) | instskip(NEXT) | instid1(VALU_DEP_2)
	v_cmp_eq_u32_e32 vcc_lo, 0, v9
	v_min_u32_e32 v6, 32, v6
	s_delay_alu instid0(VALU_DEP_1) | instskip(NEXT) | instid1(VALU_DEP_1)
	v_subrev_nc_u32_e32 v7, 29, v6
	v_dual_lshlrev_b32 v3, v7, v3 :: v_dual_sub_nc_u32 v6, 30, v6
	s_delay_alu instid0(VALU_DEP_1) | instskip(NEXT) | instid1(VALU_DEP_2)
	v_dual_lshlrev_b32 v4, 24, v4 :: v_dual_bitop2_b32 v3, 3, v3 bitop3:0x40
	v_cndmask_b32_e32 v6, v9, v6, vcc_lo
	s_delay_alu instid0(VALU_DEP_2) | instskip(NEXT) | instid1(VALU_DEP_3)
	v_cndmask_b32_e32 v3, v5, v3, vcc_lo
	v_and_b32_e32 v4, 0x80000000, v4
	s_delay_alu instid0(VALU_DEP_3) | instskip(NEXT) | instid1(VALU_DEP_3)
	v_lshl_add_u32 v5, v6, 23, 0x37800000
	v_lshlrev_b32_e32 v3, 21, v3
	s_delay_alu instid0(VALU_DEP_1)
	v_or3_b32 v3, v4, v5, v3
.LBB150_701:
	s_or_b32 exec_lo, exec_lo, s30
	s_mov_b32 s27, 0
	s_branch .LBB150_707
.LBB150_702:
	s_mov_b32 s30, -1
                                        ; implicit-def: $vgpr3
	s_branch .LBB150_713
.LBB150_703:
	s_or_saveexec_b32 s30, s30
	v_mov_b32_e32 v3, 0x7f800001
	s_xor_b32 exec_lo, exec_lo, s30
	s_cbranch_execz .LBB150_686
.LBB150_704:
	v_cmp_ne_u16_e32 vcc_lo, 0, v4
	v_mov_b32_e32 v3, 0
	s_and_not1_b32 s27, s27, exec_lo
	s_and_b32 s31, vcc_lo, exec_lo
	s_delay_alu instid0(SALU_CYCLE_1)
	s_or_b32 s27, s27, s31
	s_or_b32 exec_lo, exec_lo, s30
	s_and_saveexec_b32 s30, s27
	s_cbranch_execnz .LBB150_687
	s_branch .LBB150_688
.LBB150_705:
	s_mov_b32 s27, -1
                                        ; implicit-def: $vgpr3
	s_branch .LBB150_710
.LBB150_706:
	s_mov_b32 s27, -1
                                        ; implicit-def: $vgpr3
.LBB150_707:
	s_delay_alu instid0(SALU_CYCLE_1)
	s_and_b32 vcc_lo, exec_lo, s27
	s_cbranch_vccz .LBB150_709
; %bb.708:
	s_wait_loadcnt 0x0
	global_load_u8 v3, v[0:1], off
	s_wait_loadcnt 0x0
	v_lshlrev_b32_e32 v3, 24, v3
	s_delay_alu instid0(VALU_DEP_1) | instskip(NEXT) | instid1(VALU_DEP_1)
	v_and_b32_e32 v4, 0x7f000000, v3
	v_clz_i32_u32_e32 v5, v4
	v_cmp_ne_u32_e32 vcc_lo, 0, v4
	v_add_nc_u32_e32 v7, 0x1000000, v4
	s_delay_alu instid0(VALU_DEP_3) | instskip(NEXT) | instid1(VALU_DEP_1)
	v_min_u32_e32 v5, 32, v5
	v_sub_nc_u32_e64 v5, v5, 4 clamp
	s_delay_alu instid0(VALU_DEP_1) | instskip(NEXT) | instid1(VALU_DEP_1)
	v_dual_lshlrev_b32 v6, v5, v4 :: v_dual_lshlrev_b32 v5, 23, v5
	v_lshrrev_b32_e32 v6, 4, v6
	s_delay_alu instid0(VALU_DEP_1) | instskip(NEXT) | instid1(VALU_DEP_1)
	v_dual_sub_nc_u32 v5, v6, v5 :: v_dual_ashrrev_i32 v6, 8, v7
	v_add_nc_u32_e32 v5, 0x3c000000, v5
	s_delay_alu instid0(VALU_DEP_1) | instskip(NEXT) | instid1(VALU_DEP_1)
	v_and_or_b32 v5, 0x7f800000, v6, v5
	v_cndmask_b32_e32 v4, 0, v5, vcc_lo
	s_delay_alu instid0(VALU_DEP_1)
	v_and_or_b32 v3, 0x80000000, v3, v4
.LBB150_709:
	s_mov_b32 s27, 0
.LBB150_710:
	s_delay_alu instid0(SALU_CYCLE_1)
	s_and_not1_b32 vcc_lo, exec_lo, s27
	s_cbranch_vccnz .LBB150_712
; %bb.711:
	s_wait_loadcnt 0x0
	global_load_u8 v3, v[0:1], off
	s_wait_loadcnt 0x0
	v_lshlrev_b32_e32 v4, 25, v3
	v_lshlrev_b16 v3, 8, v3
	s_delay_alu instid0(VALU_DEP_1) | instskip(SKIP_1) | instid1(VALU_DEP_2)
	v_and_or_b32 v6, 0x7f00, v3, 0.5
	v_bfe_i32 v3, v3, 0, 16
	v_dual_add_f32 v6, -0.5, v6 :: v_dual_lshrrev_b32 v5, 4, v4
	v_cmp_gt_u32_e32 vcc_lo, 0x8000000, v4
	s_delay_alu instid0(VALU_DEP_2) | instskip(NEXT) | instid1(VALU_DEP_1)
	v_or_b32_e32 v5, 0x70000000, v5
	v_mul_f32_e32 v5, 0x7800000, v5
	s_delay_alu instid0(VALU_DEP_1) | instskip(NEXT) | instid1(VALU_DEP_1)
	v_cndmask_b32_e32 v4, v5, v6, vcc_lo
	v_and_or_b32 v3, 0x80000000, v3, v4
.LBB150_712:
	s_mov_b32 s30, 0
	s_mov_b32 s27, -1
.LBB150_713:
	s_and_not1_b32 vcc_lo, exec_lo, s30
	s_cbranch_vccnz .LBB150_726
; %bb.714:
	s_cmp_gt_i32 s26, 14
	s_cbranch_scc0 .LBB150_717
; %bb.715:
	s_cmp_eq_u32 s26, 15
	s_cbranch_scc0 .LBB150_720
; %bb.716:
	s_wait_loadcnt 0x0
	global_load_u16 v3, v[0:1], off
	s_mov_b32 s27, -1
	s_mov_b32 s28, 0
	s_wait_loadcnt 0x0
	v_lshlrev_b32_e32 v3, 16, v3
	s_branch .LBB150_721
.LBB150_717:
	s_mov_b32 s30, -1
                                        ; implicit-def: $vgpr3
	s_branch .LBB150_722
.LBB150_718:
	s_or_saveexec_b32 s30, s30
	v_mov_b32_e32 v3, 0x7f800001
	s_xor_b32 exec_lo, exec_lo, s30
	s_cbranch_execz .LBB150_699
.LBB150_719:
	v_cmp_ne_u16_e32 vcc_lo, 0, v4
	v_mov_b32_e32 v3, 0
	s_and_not1_b32 s27, s27, exec_lo
	s_and_b32 s31, vcc_lo, exec_lo
	s_delay_alu instid0(SALU_CYCLE_1)
	s_or_b32 s27, s27, s31
	s_or_b32 exec_lo, exec_lo, s30
	s_and_saveexec_b32 s30, s27
	s_cbranch_execnz .LBB150_700
	s_branch .LBB150_701
.LBB150_720:
	s_mov_b32 s28, -1
                                        ; implicit-def: $vgpr3
.LBB150_721:
	s_mov_b32 s30, 0
.LBB150_722:
	s_delay_alu instid0(SALU_CYCLE_1)
	s_and_b32 vcc_lo, exec_lo, s30
	s_cbranch_vccz .LBB150_726
; %bb.723:
	s_cmp_eq_u32 s26, 11
	s_cbranch_scc0 .LBB150_725
; %bb.724:
	s_wait_loadcnt 0x0
	global_load_u8 v3, v[0:1], off
	s_mov_b32 s28, 0
	s_mov_b32 s27, -1
	s_wait_loadcnt 0x0
	v_cmp_ne_u16_e32 vcc_lo, 0, v3
	v_cndmask_b32_e64 v3, 0, 1.0, vcc_lo
	s_branch .LBB150_726
.LBB150_725:
	s_mov_b32 s28, -1
                                        ; implicit-def: $vgpr3
.LBB150_726:
	s_mov_b32 s26, 0
.LBB150_727:
	s_delay_alu instid0(SALU_CYCLE_1)
	s_and_b32 vcc_lo, exec_lo, s26
	s_cbranch_vccz .LBB150_776
; %bb.728:
	s_and_b32 s0, 0xffff, s0
	s_delay_alu instid0(SALU_CYCLE_1)
	s_cmp_lt_i32 s0, 5
	s_cbranch_scc1 .LBB150_733
; %bb.729:
	s_cmp_lt_i32 s0, 8
	s_cbranch_scc1 .LBB150_734
; %bb.730:
	;; [unrolled: 3-line block ×3, first 2 shown]
	s_cmp_gt_i32 s0, 9
	s_cbranch_scc0 .LBB150_736
; %bb.732:
	s_wait_loadcnt 0x0
	global_load_b64 v[4:5], v[0:1], off
	s_mov_b32 s26, 0
	s_wait_loadcnt 0x0
	v_cvt_f32_f64_e32 v3, v[4:5]
	s_branch .LBB150_737
.LBB150_733:
	s_mov_b32 s26, -1
                                        ; implicit-def: $vgpr3
	s_branch .LBB150_755
.LBB150_734:
	s_mov_b32 s26, -1
                                        ; implicit-def: $vgpr3
	s_branch .LBB150_743
.LBB150_735:
	s_mov_b32 s26, -1
                                        ; implicit-def: $vgpr3
	s_branch .LBB150_740
.LBB150_736:
	s_mov_b32 s26, -1
                                        ; implicit-def: $vgpr3
.LBB150_737:
	s_delay_alu instid0(SALU_CYCLE_1)
	s_and_not1_b32 vcc_lo, exec_lo, s26
	s_cbranch_vccnz .LBB150_739
; %bb.738:
	s_wait_loadcnt 0x0
	global_load_b32 v3, v[0:1], off
.LBB150_739:
	s_mov_b32 s26, 0
.LBB150_740:
	s_delay_alu instid0(SALU_CYCLE_1)
	s_and_not1_b32 vcc_lo, exec_lo, s26
	s_cbranch_vccnz .LBB150_742
; %bb.741:
	s_wait_loadcnt 0x0
	global_load_b32 v3, v[0:1], off
	s_wait_loadcnt 0x0
	v_cvt_f32_f16_e32 v3, v3
.LBB150_742:
	s_mov_b32 s26, 0
.LBB150_743:
	s_delay_alu instid0(SALU_CYCLE_1)
	s_and_not1_b32 vcc_lo, exec_lo, s26
	s_cbranch_vccnz .LBB150_754
; %bb.744:
	s_cmp_lt_i32 s0, 6
	s_cbranch_scc1 .LBB150_747
; %bb.745:
	s_cmp_gt_i32 s0, 6
	s_cbranch_scc0 .LBB150_748
; %bb.746:
	s_wait_loadcnt 0x0
	global_load_b64 v[4:5], v[0:1], off
	s_mov_b32 s26, 0
	s_wait_loadcnt 0x0
	v_cvt_f32_f64_e32 v3, v[4:5]
	s_branch .LBB150_749
.LBB150_747:
	s_mov_b32 s26, -1
                                        ; implicit-def: $vgpr3
	s_branch .LBB150_752
.LBB150_748:
	s_mov_b32 s26, -1
                                        ; implicit-def: $vgpr3
.LBB150_749:
	s_delay_alu instid0(SALU_CYCLE_1)
	s_and_not1_b32 vcc_lo, exec_lo, s26
	s_cbranch_vccnz .LBB150_751
; %bb.750:
	s_wait_loadcnt 0x0
	global_load_b32 v3, v[0:1], off
.LBB150_751:
	s_mov_b32 s26, 0
.LBB150_752:
	s_delay_alu instid0(SALU_CYCLE_1)
	s_and_not1_b32 vcc_lo, exec_lo, s26
	s_cbranch_vccnz .LBB150_754
; %bb.753:
	s_wait_loadcnt 0x0
	global_load_u16 v3, v[0:1], off
	s_wait_loadcnt 0x0
	v_cvt_f32_f16_e32 v3, v3
.LBB150_754:
	s_mov_b32 s26, 0
.LBB150_755:
	s_delay_alu instid0(SALU_CYCLE_1)
	s_and_not1_b32 vcc_lo, exec_lo, s26
	s_cbranch_vccnz .LBB150_775
; %bb.756:
	s_cmp_lt_i32 s0, 2
	s_cbranch_scc1 .LBB150_760
; %bb.757:
	s_cmp_lt_i32 s0, 3
	s_cbranch_scc1 .LBB150_761
; %bb.758:
	s_cmp_gt_i32 s0, 3
	s_cbranch_scc0 .LBB150_762
; %bb.759:
	s_wait_loadcnt 0x0
	global_load_b64 v[4:5], v[0:1], off
	s_mov_b32 s26, 0
	s_wait_loadcnt 0x0
	v_xor_b32_e32 v3, v4, v5
	v_cls_i32_e32 v6, v5
	s_delay_alu instid0(VALU_DEP_2) | instskip(NEXT) | instid1(VALU_DEP_1)
	v_ashrrev_i32_e32 v3, 31, v3
	v_add_nc_u32_e32 v3, 32, v3
	s_delay_alu instid0(VALU_DEP_1) | instskip(NEXT) | instid1(VALU_DEP_1)
	v_add_min_u32_e64 v3, v6, -1, v3
	v_lshlrev_b64_e32 v[4:5], v3, v[4:5]
	v_sub_nc_u32_e32 v3, 32, v3
	s_delay_alu instid0(VALU_DEP_2) | instskip(NEXT) | instid1(VALU_DEP_1)
	v_min_u32_e32 v4, 1, v4
	v_or_b32_e32 v4, v5, v4
	s_delay_alu instid0(VALU_DEP_1) | instskip(NEXT) | instid1(VALU_DEP_1)
	v_cvt_f32_i32_e32 v4, v4
	v_ldexp_f32 v3, v4, v3
	s_branch .LBB150_763
.LBB150_760:
	s_mov_b32 s26, -1
                                        ; implicit-def: $vgpr3
	s_branch .LBB150_769
.LBB150_761:
	s_mov_b32 s26, -1
                                        ; implicit-def: $vgpr3
	s_branch .LBB150_766
.LBB150_762:
	s_mov_b32 s26, -1
                                        ; implicit-def: $vgpr3
.LBB150_763:
	s_delay_alu instid0(SALU_CYCLE_1)
	s_and_not1_b32 vcc_lo, exec_lo, s26
	s_cbranch_vccnz .LBB150_765
; %bb.764:
	s_wait_loadcnt 0x0
	global_load_b32 v3, v[0:1], off
	s_wait_loadcnt 0x0
	v_cvt_f32_i32_e32 v3, v3
.LBB150_765:
	s_mov_b32 s26, 0
.LBB150_766:
	s_delay_alu instid0(SALU_CYCLE_1)
	s_and_not1_b32 vcc_lo, exec_lo, s26
	s_cbranch_vccnz .LBB150_768
; %bb.767:
	s_wait_loadcnt 0x0
	global_load_i16 v3, v[0:1], off
	s_wait_loadcnt 0x0
	v_cvt_f32_i32_e32 v3, v3
.LBB150_768:
	s_mov_b32 s26, 0
.LBB150_769:
	s_delay_alu instid0(SALU_CYCLE_1)
	s_and_not1_b32 vcc_lo, exec_lo, s26
	s_cbranch_vccnz .LBB150_775
; %bb.770:
	s_cmp_gt_i32 s0, 0
	s_mov_b32 s0, 0
	s_cbranch_scc0 .LBB150_772
; %bb.771:
	s_wait_loadcnt 0x0
	global_load_i8 v3, v[0:1], off
	s_wait_loadcnt 0x0
	v_cvt_f32_i32_e32 v3, v3
	s_branch .LBB150_773
.LBB150_772:
	s_mov_b32 s0, -1
                                        ; implicit-def: $vgpr3
.LBB150_773:
	s_delay_alu instid0(SALU_CYCLE_1)
	s_and_not1_b32 vcc_lo, exec_lo, s0
	s_cbranch_vccnz .LBB150_775
; %bb.774:
	global_load_u8 v0, v[0:1], off
	s_wait_loadcnt 0x0
	v_cvt_f32_ubyte0_e32 v3, v0
.LBB150_775:
	s_mov_b32 s27, -1
.LBB150_776:
	s_delay_alu instid0(SALU_CYCLE_1)
	s_and_not1_b32 vcc_lo, exec_lo, s27
	s_cbranch_vccnz .LBB150_784
; %bb.777:
	s_wait_xcnt 0x0
	v_mul_lo_u32 v0, v8, s15
	s_and_b32 s0, 0xffff, s1
	s_delay_alu instid0(SALU_CYCLE_1) | instskip(NEXT) | instid1(VALU_DEP_1)
	s_cmp_lt_i32 s0, 11
	v_ashrrev_i32_e32 v1, 31, v0
	s_delay_alu instid0(VALU_DEP_1)
	v_add_nc_u64_e32 v[0:1], s[10:11], v[0:1]
	s_cbranch_scc1 .LBB150_785
; %bb.778:
	s_cmp_gt_i32 s0, 25
	s_cbranch_scc0 .LBB150_786
; %bb.779:
	s_cmp_gt_i32 s0, 28
	s_cbranch_scc0 .LBB150_787
	;; [unrolled: 3-line block ×4, first 2 shown]
; %bb.782:
	s_cmp_eq_u32 s0, 46
	s_mov_b32 s30, 0
	s_cbranch_scc0 .LBB150_792
; %bb.783:
	s_wait_loadcnt 0x0
	global_load_b32 v4, v[0:1], off
	s_mov_b32 s27, -1
	s_mov_b32 s26, 0
	s_wait_loadcnt 0x0
	v_lshlrev_b32_e32 v4, 16, v4
	s_branch .LBB150_794
.LBB150_784:
	s_mov_b32 s30, 0
	s_mov_b32 s0, s19
	;; [unrolled: 1-line block ×3, first 2 shown]
	s_branch .LBB150_1033
.LBB150_785:
	s_mov_b32 s30, -1
	s_mov_b32 s27, 0
	s_mov_b32 s26, s21
                                        ; implicit-def: $vgpr4
	s_branch .LBB150_859
.LBB150_786:
	s_mov_b32 s30, -1
	s_mov_b32 s27, 0
	s_mov_b32 s26, s21
                                        ; implicit-def: $vgpr4
	s_branch .LBB150_823
.LBB150_787:
	s_mov_b32 s30, -1
	s_mov_b32 s27, 0
	s_mov_b32 s26, s21
                                        ; implicit-def: $vgpr4
	s_branch .LBB150_804
.LBB150_788:
	s_mov_b32 s30, -1
	s_mov_b32 s27, 0
	s_mov_b32 s26, s21
                                        ; implicit-def: $vgpr4
	s_branch .LBB150_799
.LBB150_789:
	s_mov_b32 s30, -1
	s_mov_b32 s27, 0
	s_mov_b32 s26, s21
	s_branch .LBB150_793
.LBB150_790:
	s_and_not1_saveexec_b32 s29, s29
	s_cbranch_execz .LBB150_434
.LBB150_791:
	v_add_f32_e64 v3, 0x42800000, |v2|
	s_and_not1_b32 s28, s28, exec_lo
	s_delay_alu instid0(VALU_DEP_1) | instskip(NEXT) | instid1(VALU_DEP_1)
	v_and_b32_e32 v3, 0xff, v3
	v_cmp_ne_u32_e32 vcc_lo, 0, v3
	s_and_b32 s30, vcc_lo, exec_lo
	s_delay_alu instid0(SALU_CYCLE_1)
	s_or_b32 s28, s28, s30
	s_or_b32 exec_lo, exec_lo, s29
	v_mov_b32_e32 v4, 0
	s_and_saveexec_b32 s29, s28
	s_cbranch_execnz .LBB150_435
	s_branch .LBB150_436
.LBB150_792:
	s_mov_b32 s26, -1
	s_mov_b32 s27, 0
.LBB150_793:
                                        ; implicit-def: $vgpr4
.LBB150_794:
	s_and_b32 vcc_lo, exec_lo, s30
	s_cbranch_vccz .LBB150_798
; %bb.795:
	s_cmp_eq_u32 s0, 44
	s_cbranch_scc0 .LBB150_797
; %bb.796:
	s_wait_loadcnt 0x0
	global_load_u8 v4, v[0:1], off
	s_mov_b32 s26, 0
	s_mov_b32 s27, -1
	s_wait_loadcnt 0x0
	v_lshlrev_b32_e32 v5, 23, v4
	v_cmp_ne_u32_e32 vcc_lo, 0xff, v4
	s_delay_alu instid0(VALU_DEP_2) | instskip(SKIP_1) | instid1(VALU_DEP_2)
	v_cndmask_b32_e32 v5, 0x7f800001, v5, vcc_lo
	v_cmp_ne_u32_e32 vcc_lo, 0, v4
	v_cndmask_b32_e32 v4, 0x400000, v5, vcc_lo
	s_branch .LBB150_798
.LBB150_797:
	s_mov_b32 s26, -1
                                        ; implicit-def: $vgpr4
.LBB150_798:
	s_mov_b32 s30, 0
.LBB150_799:
	s_delay_alu instid0(SALU_CYCLE_1)
	s_and_b32 vcc_lo, exec_lo, s30
	s_cbranch_vccz .LBB150_803
; %bb.800:
	s_cmp_eq_u32 s0, 29
	s_cbranch_scc0 .LBB150_802
; %bb.801:
	s_wait_loadcnt 0x0
	global_load_b64 v[4:5], v[0:1], off
	s_mov_b32 s27, -1
	s_mov_b32 s26, 0
	s_mov_b32 s30, 0
	s_wait_loadcnt 0x0
	v_clz_i32_u32_e32 v6, v5
	s_delay_alu instid0(VALU_DEP_1) | instskip(NEXT) | instid1(VALU_DEP_1)
	v_min_u32_e32 v6, 32, v6
	v_lshlrev_b64_e32 v[4:5], v6, v[4:5]
	s_delay_alu instid0(VALU_DEP_1) | instskip(NEXT) | instid1(VALU_DEP_1)
	v_min_u32_e32 v4, 1, v4
	v_dual_sub_nc_u32 v5, 32, v6 :: v_dual_bitop2_b32 v4, v5, v4 bitop3:0x54
	s_delay_alu instid0(VALU_DEP_1) | instskip(NEXT) | instid1(VALU_DEP_1)
	v_cvt_f32_u32_e32 v4, v4
	v_ldexp_f32 v4, v4, v5
	s_branch .LBB150_804
.LBB150_802:
	s_mov_b32 s26, -1
                                        ; implicit-def: $vgpr4
.LBB150_803:
	s_mov_b32 s30, 0
.LBB150_804:
	s_delay_alu instid0(SALU_CYCLE_1)
	s_and_b32 vcc_lo, exec_lo, s30
	s_cbranch_vccz .LBB150_822
; %bb.805:
	s_cmp_lt_i32 s0, 27
	s_cbranch_scc1 .LBB150_808
; %bb.806:
	s_cmp_gt_i32 s0, 27
	s_cbranch_scc0 .LBB150_809
; %bb.807:
	s_wait_loadcnt 0x0
	global_load_b32 v4, v[0:1], off
	s_mov_b32 s27, 0
	s_wait_loadcnt 0x0
	v_cvt_f32_u32_e32 v4, v4
	s_branch .LBB150_810
.LBB150_808:
	s_mov_b32 s27, -1
                                        ; implicit-def: $vgpr4
	s_branch .LBB150_813
.LBB150_809:
	s_mov_b32 s27, -1
                                        ; implicit-def: $vgpr4
.LBB150_810:
	s_delay_alu instid0(SALU_CYCLE_1)
	s_and_not1_b32 vcc_lo, exec_lo, s27
	s_cbranch_vccnz .LBB150_812
; %bb.811:
	s_wait_loadcnt 0x0
	global_load_u16 v4, v[0:1], off
	s_wait_loadcnt 0x0
	v_cvt_f32_u32_e32 v4, v4
.LBB150_812:
	s_mov_b32 s27, 0
.LBB150_813:
	s_delay_alu instid0(SALU_CYCLE_1)
	s_and_not1_b32 vcc_lo, exec_lo, s27
	s_cbranch_vccnz .LBB150_821
; %bb.814:
	global_load_u8 v5, v[0:1], off
	s_mov_b32 s27, 0
	s_mov_b32 s30, exec_lo
	s_wait_loadcnt 0x0
	v_cmpx_lt_i16_e32 0x7f, v5
	s_xor_b32 s30, exec_lo, s30
	s_cbranch_execz .LBB150_835
; %bb.815:
	s_mov_b32 s27, -1
	s_mov_b32 s31, exec_lo
	v_cmpx_eq_u16_e32 0x80, v5
; %bb.816:
	s_xor_b32 s27, exec_lo, -1
; %bb.817:
	s_or_b32 exec_lo, exec_lo, s31
	s_delay_alu instid0(SALU_CYCLE_1)
	s_and_b32 s27, s27, exec_lo
	s_or_saveexec_b32 s30, s30
	v_mov_b32_e32 v4, 0x7f800001
	s_xor_b32 exec_lo, exec_lo, s30
	s_cbranch_execnz .LBB150_836
.LBB150_818:
	s_or_b32 exec_lo, exec_lo, s30
	s_and_saveexec_b32 s30, s27
	s_cbranch_execz .LBB150_820
.LBB150_819:
	v_and_b32_e32 v4, 0xffff, v5
	s_delay_alu instid0(VALU_DEP_1) | instskip(SKIP_1) | instid1(VALU_DEP_2)
	v_and_b32_e32 v6, 7, v4
	v_bfe_u32 v10, v4, 3, 4
	v_clz_i32_u32_e32 v7, v6
	s_delay_alu instid0(VALU_DEP_2) | instskip(NEXT) | instid1(VALU_DEP_2)
	v_cmp_eq_u32_e32 vcc_lo, 0, v10
	v_min_u32_e32 v7, 32, v7
	s_delay_alu instid0(VALU_DEP_1) | instskip(NEXT) | instid1(VALU_DEP_1)
	v_subrev_nc_u32_e32 v9, 28, v7
	v_dual_lshlrev_b32 v4, v9, v4 :: v_dual_sub_nc_u32 v7, 29, v7
	s_delay_alu instid0(VALU_DEP_1) | instskip(NEXT) | instid1(VALU_DEP_2)
	v_dual_lshlrev_b32 v5, 24, v5 :: v_dual_bitop2_b32 v4, 7, v4 bitop3:0x40
	v_cndmask_b32_e32 v7, v10, v7, vcc_lo
	s_delay_alu instid0(VALU_DEP_2) | instskip(NEXT) | instid1(VALU_DEP_3)
	v_cndmask_b32_e32 v4, v6, v4, vcc_lo
	v_and_b32_e32 v5, 0x80000000, v5
	s_delay_alu instid0(VALU_DEP_3) | instskip(NEXT) | instid1(VALU_DEP_3)
	v_lshl_add_u32 v6, v7, 23, 0x3b800000
	v_lshlrev_b32_e32 v4, 20, v4
	s_delay_alu instid0(VALU_DEP_1)
	v_or3_b32 v4, v5, v6, v4
.LBB150_820:
	s_or_b32 exec_lo, exec_lo, s30
.LBB150_821:
	s_mov_b32 s27, -1
.LBB150_822:
	s_mov_b32 s30, 0
.LBB150_823:
	s_delay_alu instid0(SALU_CYCLE_1)
	s_and_b32 vcc_lo, exec_lo, s30
	s_cbranch_vccz .LBB150_858
; %bb.824:
	s_cmp_gt_i32 s0, 22
	s_cbranch_scc0 .LBB150_834
; %bb.825:
	s_cmp_lt_i32 s0, 24
	s_cbranch_scc1 .LBB150_837
; %bb.826:
	s_cmp_gt_i32 s0, 24
	s_cbranch_scc0 .LBB150_838
; %bb.827:
	global_load_u8 v5, v[0:1], off
	s_mov_b32 s27, 0
	s_mov_b32 s30, exec_lo
	s_wait_loadcnt 0x0
	v_cmpx_lt_i16_e32 0x7f, v5
	s_xor_b32 s30, exec_lo, s30
	s_cbranch_execz .LBB150_850
; %bb.828:
	s_mov_b32 s27, -1
	s_mov_b32 s31, exec_lo
	v_cmpx_eq_u16_e32 0x80, v5
; %bb.829:
	s_xor_b32 s27, exec_lo, -1
; %bb.830:
	s_or_b32 exec_lo, exec_lo, s31
	s_delay_alu instid0(SALU_CYCLE_1)
	s_and_b32 s27, s27, exec_lo
	s_or_saveexec_b32 s30, s30
	v_mov_b32_e32 v4, 0x7f800001
	s_xor_b32 exec_lo, exec_lo, s30
	s_cbranch_execnz .LBB150_851
.LBB150_831:
	s_or_b32 exec_lo, exec_lo, s30
	s_and_saveexec_b32 s30, s27
	s_cbranch_execz .LBB150_833
.LBB150_832:
	v_and_b32_e32 v4, 0xffff, v5
	s_delay_alu instid0(VALU_DEP_1) | instskip(SKIP_1) | instid1(VALU_DEP_2)
	v_and_b32_e32 v6, 3, v4
	v_bfe_u32 v10, v4, 2, 5
	v_clz_i32_u32_e32 v7, v6
	s_delay_alu instid0(VALU_DEP_2) | instskip(NEXT) | instid1(VALU_DEP_2)
	v_cmp_eq_u32_e32 vcc_lo, 0, v10
	v_min_u32_e32 v7, 32, v7
	s_delay_alu instid0(VALU_DEP_1) | instskip(NEXT) | instid1(VALU_DEP_1)
	v_subrev_nc_u32_e32 v9, 29, v7
	v_dual_lshlrev_b32 v4, v9, v4 :: v_dual_sub_nc_u32 v7, 30, v7
	s_delay_alu instid0(VALU_DEP_1) | instskip(NEXT) | instid1(VALU_DEP_2)
	v_dual_lshlrev_b32 v5, 24, v5 :: v_dual_bitop2_b32 v4, 3, v4 bitop3:0x40
	v_cndmask_b32_e32 v7, v10, v7, vcc_lo
	s_delay_alu instid0(VALU_DEP_2) | instskip(NEXT) | instid1(VALU_DEP_3)
	v_cndmask_b32_e32 v4, v6, v4, vcc_lo
	v_and_b32_e32 v5, 0x80000000, v5
	s_delay_alu instid0(VALU_DEP_3) | instskip(NEXT) | instid1(VALU_DEP_3)
	v_lshl_add_u32 v6, v7, 23, 0x37800000
	v_lshlrev_b32_e32 v4, 21, v4
	s_delay_alu instid0(VALU_DEP_1)
	v_or3_b32 v4, v5, v6, v4
.LBB150_833:
	s_or_b32 exec_lo, exec_lo, s30
	s_mov_b32 s27, 0
	s_branch .LBB150_839
.LBB150_834:
	s_mov_b32 s30, -1
                                        ; implicit-def: $vgpr4
	s_branch .LBB150_845
.LBB150_835:
	s_or_saveexec_b32 s30, s30
	v_mov_b32_e32 v4, 0x7f800001
	s_xor_b32 exec_lo, exec_lo, s30
	s_cbranch_execz .LBB150_818
.LBB150_836:
	v_cmp_ne_u16_e32 vcc_lo, 0, v5
	v_mov_b32_e32 v4, 0
	s_and_not1_b32 s27, s27, exec_lo
	s_and_b32 s31, vcc_lo, exec_lo
	s_delay_alu instid0(SALU_CYCLE_1)
	s_or_b32 s27, s27, s31
	s_or_b32 exec_lo, exec_lo, s30
	s_and_saveexec_b32 s30, s27
	s_cbranch_execnz .LBB150_819
	s_branch .LBB150_820
.LBB150_837:
	s_mov_b32 s27, -1
                                        ; implicit-def: $vgpr4
	s_branch .LBB150_842
.LBB150_838:
	s_mov_b32 s27, -1
                                        ; implicit-def: $vgpr4
.LBB150_839:
	s_delay_alu instid0(SALU_CYCLE_1)
	s_and_b32 vcc_lo, exec_lo, s27
	s_cbranch_vccz .LBB150_841
; %bb.840:
	s_wait_loadcnt 0x0
	global_load_u8 v4, v[0:1], off
	s_wait_loadcnt 0x0
	v_lshlrev_b32_e32 v4, 24, v4
	s_delay_alu instid0(VALU_DEP_1) | instskip(NEXT) | instid1(VALU_DEP_1)
	v_and_b32_e32 v5, 0x7f000000, v4
	v_clz_i32_u32_e32 v6, v5
	v_add_nc_u32_e32 v9, 0x1000000, v5
	v_cmp_ne_u32_e32 vcc_lo, 0, v5
	s_delay_alu instid0(VALU_DEP_3) | instskip(NEXT) | instid1(VALU_DEP_1)
	v_min_u32_e32 v6, 32, v6
	v_sub_nc_u32_e64 v6, v6, 4 clamp
	s_delay_alu instid0(VALU_DEP_1) | instskip(NEXT) | instid1(VALU_DEP_1)
	v_dual_lshlrev_b32 v7, v6, v5 :: v_dual_lshlrev_b32 v6, 23, v6
	v_lshrrev_b32_e32 v7, 4, v7
	s_delay_alu instid0(VALU_DEP_1) | instskip(NEXT) | instid1(VALU_DEP_1)
	v_dual_sub_nc_u32 v6, v7, v6 :: v_dual_ashrrev_i32 v7, 8, v9
	v_add_nc_u32_e32 v6, 0x3c000000, v6
	s_delay_alu instid0(VALU_DEP_1) | instskip(NEXT) | instid1(VALU_DEP_1)
	v_and_or_b32 v6, 0x7f800000, v7, v6
	v_cndmask_b32_e32 v5, 0, v6, vcc_lo
	s_delay_alu instid0(VALU_DEP_1)
	v_and_or_b32 v4, 0x80000000, v4, v5
.LBB150_841:
	s_mov_b32 s27, 0
.LBB150_842:
	s_delay_alu instid0(SALU_CYCLE_1)
	s_and_not1_b32 vcc_lo, exec_lo, s27
	s_cbranch_vccnz .LBB150_844
; %bb.843:
	s_wait_loadcnt 0x0
	global_load_u8 v4, v[0:1], off
	s_wait_loadcnt 0x0
	v_lshlrev_b32_e32 v5, 25, v4
	v_lshlrev_b16 v4, 8, v4
	s_delay_alu instid0(VALU_DEP_1) | instskip(SKIP_1) | instid1(VALU_DEP_2)
	v_and_or_b32 v7, 0x7f00, v4, 0.5
	v_bfe_i32 v4, v4, 0, 16
	v_dual_add_f32 v7, -0.5, v7 :: v_dual_lshrrev_b32 v6, 4, v5
	v_cmp_gt_u32_e32 vcc_lo, 0x8000000, v5
	s_delay_alu instid0(VALU_DEP_2) | instskip(NEXT) | instid1(VALU_DEP_1)
	v_or_b32_e32 v6, 0x70000000, v6
	v_mul_f32_e32 v6, 0x7800000, v6
	s_delay_alu instid0(VALU_DEP_1) | instskip(NEXT) | instid1(VALU_DEP_1)
	v_cndmask_b32_e32 v5, v6, v7, vcc_lo
	v_and_or_b32 v4, 0x80000000, v4, v5
.LBB150_844:
	s_mov_b32 s30, 0
	s_mov_b32 s27, -1
.LBB150_845:
	s_and_not1_b32 vcc_lo, exec_lo, s30
	s_cbranch_vccnz .LBB150_858
; %bb.846:
	s_cmp_gt_i32 s0, 14
	s_cbranch_scc0 .LBB150_849
; %bb.847:
	s_cmp_eq_u32 s0, 15
	s_cbranch_scc0 .LBB150_852
; %bb.848:
	s_wait_loadcnt 0x0
	global_load_u16 v4, v[0:1], off
	s_mov_b32 s27, -1
	s_mov_b32 s26, 0
	s_wait_loadcnt 0x0
	v_lshlrev_b32_e32 v4, 16, v4
	s_branch .LBB150_853
.LBB150_849:
	s_mov_b32 s30, -1
                                        ; implicit-def: $vgpr4
	s_branch .LBB150_854
.LBB150_850:
	s_or_saveexec_b32 s30, s30
	v_mov_b32_e32 v4, 0x7f800001
	s_xor_b32 exec_lo, exec_lo, s30
	s_cbranch_execz .LBB150_831
.LBB150_851:
	v_cmp_ne_u16_e32 vcc_lo, 0, v5
	v_mov_b32_e32 v4, 0
	s_and_not1_b32 s27, s27, exec_lo
	s_and_b32 s31, vcc_lo, exec_lo
	s_delay_alu instid0(SALU_CYCLE_1)
	s_or_b32 s27, s27, s31
	s_or_b32 exec_lo, exec_lo, s30
	s_and_saveexec_b32 s30, s27
	s_cbranch_execnz .LBB150_832
	s_branch .LBB150_833
.LBB150_852:
	s_mov_b32 s26, -1
                                        ; implicit-def: $vgpr4
.LBB150_853:
	s_mov_b32 s30, 0
.LBB150_854:
	s_delay_alu instid0(SALU_CYCLE_1)
	s_and_b32 vcc_lo, exec_lo, s30
	s_cbranch_vccz .LBB150_858
; %bb.855:
	s_cmp_eq_u32 s0, 11
	s_cbranch_scc0 .LBB150_857
; %bb.856:
	s_wait_loadcnt 0x0
	global_load_u8 v4, v[0:1], off
	s_mov_b32 s26, 0
	s_mov_b32 s27, -1
	s_wait_loadcnt 0x0
	v_cmp_ne_u16_e32 vcc_lo, 0, v4
	v_cndmask_b32_e64 v4, 0, 1.0, vcc_lo
	s_branch .LBB150_858
.LBB150_857:
	s_mov_b32 s26, -1
                                        ; implicit-def: $vgpr4
.LBB150_858:
	s_mov_b32 s30, 0
.LBB150_859:
	s_delay_alu instid0(SALU_CYCLE_1)
	s_and_b32 vcc_lo, exec_lo, s30
	s_cbranch_vccz .LBB150_908
; %bb.860:
	s_cmp_lt_i32 s0, 5
	s_cbranch_scc1 .LBB150_865
; %bb.861:
	s_cmp_lt_i32 s0, 8
	s_cbranch_scc1 .LBB150_866
	;; [unrolled: 3-line block ×3, first 2 shown]
; %bb.863:
	s_cmp_gt_i32 s0, 9
	s_cbranch_scc0 .LBB150_868
; %bb.864:
	s_wait_loadcnt 0x0
	global_load_b64 v[4:5], v[0:1], off
	s_mov_b32 s27, 0
	s_wait_loadcnt 0x0
	v_cvt_f32_f64_e32 v4, v[4:5]
	s_branch .LBB150_869
.LBB150_865:
	s_mov_b32 s27, -1
                                        ; implicit-def: $vgpr4
	s_branch .LBB150_887
.LBB150_866:
	s_mov_b32 s27, -1
                                        ; implicit-def: $vgpr4
	s_branch .LBB150_875
.LBB150_867:
	s_mov_b32 s27, -1
                                        ; implicit-def: $vgpr4
	s_branch .LBB150_872
.LBB150_868:
	s_mov_b32 s27, -1
                                        ; implicit-def: $vgpr4
.LBB150_869:
	s_delay_alu instid0(SALU_CYCLE_1)
	s_and_not1_b32 vcc_lo, exec_lo, s27
	s_cbranch_vccnz .LBB150_871
; %bb.870:
	s_wait_loadcnt 0x0
	global_load_b32 v4, v[0:1], off
.LBB150_871:
	s_mov_b32 s27, 0
.LBB150_872:
	s_delay_alu instid0(SALU_CYCLE_1)
	s_and_not1_b32 vcc_lo, exec_lo, s27
	s_cbranch_vccnz .LBB150_874
; %bb.873:
	s_wait_loadcnt 0x0
	global_load_b32 v4, v[0:1], off
	s_wait_loadcnt 0x0
	v_cvt_f32_f16_e32 v4, v4
.LBB150_874:
	s_mov_b32 s27, 0
.LBB150_875:
	s_delay_alu instid0(SALU_CYCLE_1)
	s_and_not1_b32 vcc_lo, exec_lo, s27
	s_cbranch_vccnz .LBB150_886
; %bb.876:
	s_cmp_lt_i32 s0, 6
	s_cbranch_scc1 .LBB150_879
; %bb.877:
	s_cmp_gt_i32 s0, 6
	s_cbranch_scc0 .LBB150_880
; %bb.878:
	s_wait_loadcnt 0x0
	global_load_b64 v[4:5], v[0:1], off
	s_mov_b32 s27, 0
	s_wait_loadcnt 0x0
	v_cvt_f32_f64_e32 v4, v[4:5]
	s_branch .LBB150_881
.LBB150_879:
	s_mov_b32 s27, -1
                                        ; implicit-def: $vgpr4
	s_branch .LBB150_884
.LBB150_880:
	s_mov_b32 s27, -1
                                        ; implicit-def: $vgpr4
.LBB150_881:
	s_delay_alu instid0(SALU_CYCLE_1)
	s_and_not1_b32 vcc_lo, exec_lo, s27
	s_cbranch_vccnz .LBB150_883
; %bb.882:
	s_wait_loadcnt 0x0
	global_load_b32 v4, v[0:1], off
.LBB150_883:
	s_mov_b32 s27, 0
.LBB150_884:
	s_delay_alu instid0(SALU_CYCLE_1)
	s_and_not1_b32 vcc_lo, exec_lo, s27
	s_cbranch_vccnz .LBB150_886
; %bb.885:
	s_wait_loadcnt 0x0
	global_load_u16 v4, v[0:1], off
	s_wait_loadcnt 0x0
	v_cvt_f32_f16_e32 v4, v4
.LBB150_886:
	s_mov_b32 s27, 0
.LBB150_887:
	s_delay_alu instid0(SALU_CYCLE_1)
	s_and_not1_b32 vcc_lo, exec_lo, s27
	s_cbranch_vccnz .LBB150_907
; %bb.888:
	s_cmp_lt_i32 s0, 2
	s_cbranch_scc1 .LBB150_892
; %bb.889:
	s_cmp_lt_i32 s0, 3
	s_cbranch_scc1 .LBB150_893
; %bb.890:
	s_cmp_gt_i32 s0, 3
	s_cbranch_scc0 .LBB150_894
; %bb.891:
	s_wait_loadcnt 0x0
	global_load_b64 v[4:5], v[0:1], off
	s_mov_b32 s27, 0
	s_wait_loadcnt 0x0
	v_xor_b32_e32 v6, v4, v5
	v_cls_i32_e32 v7, v5
	s_delay_alu instid0(VALU_DEP_2) | instskip(NEXT) | instid1(VALU_DEP_1)
	v_ashrrev_i32_e32 v6, 31, v6
	v_add_nc_u32_e32 v6, 32, v6
	s_delay_alu instid0(VALU_DEP_1) | instskip(NEXT) | instid1(VALU_DEP_1)
	v_add_min_u32_e64 v6, v7, -1, v6
	v_lshlrev_b64_e32 v[4:5], v6, v[4:5]
	s_delay_alu instid0(VALU_DEP_1) | instskip(NEXT) | instid1(VALU_DEP_1)
	v_min_u32_e32 v4, 1, v4
	v_dual_sub_nc_u32 v5, 32, v6 :: v_dual_bitop2_b32 v4, v5, v4 bitop3:0x54
	s_delay_alu instid0(VALU_DEP_1) | instskip(NEXT) | instid1(VALU_DEP_1)
	v_cvt_f32_i32_e32 v4, v4
	v_ldexp_f32 v4, v4, v5
	s_branch .LBB150_895
.LBB150_892:
	s_mov_b32 s27, -1
                                        ; implicit-def: $vgpr4
	s_branch .LBB150_901
.LBB150_893:
	s_mov_b32 s27, -1
                                        ; implicit-def: $vgpr4
	s_branch .LBB150_898
.LBB150_894:
	s_mov_b32 s27, -1
                                        ; implicit-def: $vgpr4
.LBB150_895:
	s_delay_alu instid0(SALU_CYCLE_1)
	s_and_not1_b32 vcc_lo, exec_lo, s27
	s_cbranch_vccnz .LBB150_897
; %bb.896:
	s_wait_loadcnt 0x0
	global_load_b32 v4, v[0:1], off
	s_wait_loadcnt 0x0
	v_cvt_f32_i32_e32 v4, v4
.LBB150_897:
	s_mov_b32 s27, 0
.LBB150_898:
	s_delay_alu instid0(SALU_CYCLE_1)
	s_and_not1_b32 vcc_lo, exec_lo, s27
	s_cbranch_vccnz .LBB150_900
; %bb.899:
	s_wait_loadcnt 0x0
	global_load_i16 v4, v[0:1], off
	s_wait_loadcnt 0x0
	v_cvt_f32_i32_e32 v4, v4
.LBB150_900:
	s_mov_b32 s27, 0
.LBB150_901:
	s_delay_alu instid0(SALU_CYCLE_1)
	s_and_not1_b32 vcc_lo, exec_lo, s27
	s_cbranch_vccnz .LBB150_907
; %bb.902:
	s_cmp_gt_i32 s0, 0
	s_mov_b32 s0, 0
	s_cbranch_scc0 .LBB150_904
; %bb.903:
	s_wait_loadcnt 0x0
	global_load_i8 v4, v[0:1], off
	s_wait_loadcnt 0x0
	v_cvt_f32_i32_e32 v4, v4
	s_branch .LBB150_905
.LBB150_904:
	s_mov_b32 s0, -1
                                        ; implicit-def: $vgpr4
.LBB150_905:
	s_delay_alu instid0(SALU_CYCLE_1)
	s_and_not1_b32 vcc_lo, exec_lo, s0
	s_cbranch_vccnz .LBB150_907
; %bb.906:
	global_load_u8 v0, v[0:1], off
	s_wait_loadcnt 0x0
	v_cvt_f32_ubyte0_e32 v4, v0
.LBB150_907:
	s_mov_b32 s27, -1
.LBB150_908:
	s_delay_alu instid0(SALU_CYCLE_1)
	s_and_not1_b32 vcc_lo, exec_lo, s27
	s_cbranch_vccnz .LBB150_916
; %bb.909:
	s_wait_loadcnt 0x0
	s_delay_alu instid0(VALU_DEP_4) | instskip(NEXT) | instid1(VALU_DEP_2)
	v_dual_max_num_f32 v1, v3, v3 :: v_dual_max_num_f32 v5, v2, v2
	v_cmp_u_f32_e32 vcc_lo, v4, v4
	v_max_num_f32_e32 v6, v4, v4
	v_mul_lo_u32 v0, v8, s12
	s_and_b32 s27, s2, 0xff
	s_delay_alu instid0(SALU_CYCLE_1) | instskip(NEXT) | instid1(VALU_DEP_2)
	s_cmp_lt_i32 s27, 11
	v_maxmin_num_f32 v1, v5, v1, v6
	s_delay_alu instid0(VALU_DEP_1) | instskip(SKIP_1) | instid1(VALU_DEP_2)
	v_cndmask_b32_e32 v4, v1, v4, vcc_lo
	v_cmp_u_f32_e32 vcc_lo, v3, v3
	v_dual_ashrrev_i32 v1, 31, v0 :: v_dual_cndmask_b32 v3, v4, v3, vcc_lo
	v_cmp_u_f32_e32 vcc_lo, v2, v2
	s_delay_alu instid0(VALU_DEP_2) | instskip(NEXT) | instid1(VALU_DEP_3)
	v_add_nc_u64_e32 v[0:1], s[4:5], v[0:1]
	v_cndmask_b32_e32 v2, v3, v2, vcc_lo
	s_cbranch_scc1 .LBB150_917
; %bb.910:
	s_and_b32 s30, 0xffff, s27
	s_delay_alu instid0(SALU_CYCLE_1)
	s_cmp_gt_i32 s30, 25
	s_cbranch_scc0 .LBB150_918
; %bb.911:
	s_cmp_gt_i32 s30, 28
	s_cbranch_scc0 .LBB150_919
; %bb.912:
	;; [unrolled: 3-line block ×4, first 2 shown]
	s_mov_b32 s33, 0
	s_mov_b32 s0, -1
	s_cmp_eq_u32 s30, 46
	s_mov_b32 s31, 0
	s_cbranch_scc0 .LBB150_922
; %bb.915:
	v_bfe_u32 v3, v2, 16, 1
	v_cmp_o_f32_e32 vcc_lo, v2, v2
	s_mov_b32 s31, -1
	s_mov_b32 s0, 0
	s_delay_alu instid0(VALU_DEP_2) | instskip(NEXT) | instid1(VALU_DEP_1)
	v_add3_u32 v3, v2, v3, 0x7fff
	v_lshrrev_b32_e32 v3, 16, v3
	s_delay_alu instid0(VALU_DEP_1)
	v_cndmask_b32_e32 v3, 0x7fc0, v3, vcc_lo
	global_store_b32 v[0:1], v3, off
	s_branch .LBB150_922
.LBB150_916:
	s_mov_b32 s30, 0
	s_mov_b32 s0, s19
	s_branch .LBB150_1033
.LBB150_917:
	s_mov_b32 s30, -1
	s_mov_b32 s31, 0
	s_mov_b32 s0, s19
	s_branch .LBB150_991
.LBB150_918:
	s_mov_b32 s33, -1
	s_mov_b32 s31, 0
	s_mov_b32 s0, s19
	s_branch .LBB150_949
.LBB150_919:
	s_mov_b32 s33, -1
	s_mov_b32 s31, 0
	s_mov_b32 s0, s19
	s_branch .LBB150_932
.LBB150_920:
	s_mov_b32 s33, -1
	s_mov_b32 s31, 0
	s_mov_b32 s0, s19
	s_branch .LBB150_928
.LBB150_921:
	s_mov_b32 s33, -1
	s_mov_b32 s31, 0
	s_mov_b32 s0, s19
.LBB150_922:
	s_and_b32 vcc_lo, exec_lo, s33
	s_cbranch_vccz .LBB150_927
; %bb.923:
	s_cmp_eq_u32 s30, 44
	s_mov_b32 s0, -1
	s_cbranch_scc0 .LBB150_927
; %bb.924:
	v_bfe_u32 v4, v2, 23, 8
	s_wait_xcnt 0x0
	v_mov_b32_e32 v3, 0xff
	s_mov_b32 s31, exec_lo
	s_delay_alu instid0(VALU_DEP_2)
	v_cmpx_ne_u32_e32 0xff, v4
	s_cbranch_execz .LBB150_926
; %bb.925:
	v_and_b32_e32 v3, 0x400000, v2
	v_and_or_b32 v4, 0x3fffff, v2, v4
	s_delay_alu instid0(VALU_DEP_2) | instskip(NEXT) | instid1(VALU_DEP_2)
	v_cmp_ne_u32_e32 vcc_lo, 0, v3
	v_cmp_ne_u32_e64 s0, 0, v4
	v_lshrrev_b32_e32 v3, 23, v2
	s_and_b32 s0, vcc_lo, s0
	s_delay_alu instid0(SALU_CYCLE_1) | instskip(NEXT) | instid1(VALU_DEP_1)
	v_cndmask_b32_e64 v4, 0, 1, s0
	v_add_nc_u32_e32 v3, v3, v4
.LBB150_926:
	s_or_b32 exec_lo, exec_lo, s31
	s_mov_b32 s31, -1
	s_mov_b32 s0, 0
	global_store_b8 v[0:1], v3, off
.LBB150_927:
	s_mov_b32 s33, 0
.LBB150_928:
	s_delay_alu instid0(SALU_CYCLE_1)
	s_and_b32 vcc_lo, exec_lo, s33
	s_cbranch_vccz .LBB150_931
; %bb.929:
	s_cmp_eq_u32 s30, 29
	s_mov_b32 s0, -1
	s_cbranch_scc0 .LBB150_931
; %bb.930:
	s_wait_xcnt 0x0
	v_trunc_f32_e32 v3, v2
	s_mov_b32 s31, -1
	s_mov_b32 s0, 0
	s_mov_b32 s33, 0
	s_delay_alu instid0(VALU_DEP_1) | instskip(NEXT) | instid1(VALU_DEP_1)
	v_mul_f32_e32 v4, 0x2f800000, v3
	v_floor_f32_e32 v4, v4
	s_delay_alu instid0(VALU_DEP_1) | instskip(SKIP_1) | instid1(VALU_DEP_2)
	v_fmamk_f32 v3, v4, 0xcf800000, v3
	v_cvt_u32_f32_e32 v5, v4
	v_cvt_u32_f32_e32 v4, v3
	global_store_b64 v[0:1], v[4:5], off
	s_branch .LBB150_932
.LBB150_931:
	s_mov_b32 s33, 0
.LBB150_932:
	s_delay_alu instid0(SALU_CYCLE_1)
	s_and_b32 vcc_lo, exec_lo, s33
	s_cbranch_vccz .LBB150_948
; %bb.933:
	s_cmp_lt_i32 s30, 27
	s_mov_b32 s31, -1
	s_cbranch_scc1 .LBB150_939
; %bb.934:
	s_wait_xcnt 0x0
	v_cvt_u32_f32_e32 v3, v2
	s_cmp_gt_i32 s30, 27
	s_cbranch_scc0 .LBB150_936
; %bb.935:
	s_mov_b32 s31, 0
	global_store_b32 v[0:1], v3, off
.LBB150_936:
	s_and_not1_b32 vcc_lo, exec_lo, s31
	s_cbranch_vccnz .LBB150_938
; %bb.937:
	global_store_b16 v[0:1], v3, off
.LBB150_938:
	s_mov_b32 s31, 0
.LBB150_939:
	s_delay_alu instid0(SALU_CYCLE_1)
	s_and_not1_b32 vcc_lo, exec_lo, s31
	s_cbranch_vccnz .LBB150_947
; %bb.940:
	s_wait_xcnt 0x0
	v_and_b32_e32 v3, 0x7fffffff, v2
	v_mov_b32_e32 v4, 0x80
	s_mov_b32 s31, exec_lo
	s_delay_alu instid0(VALU_DEP_2)
	v_cmpx_gt_u32_e32 0x43800000, v3
	s_cbranch_execz .LBB150_946
; %bb.941:
	v_cmp_lt_u32_e32 vcc_lo, 0x3bffffff, v3
	s_mov_b32 s33, 0
                                        ; implicit-def: $vgpr3
	s_and_saveexec_b32 s34, vcc_lo
	s_delay_alu instid0(SALU_CYCLE_1)
	s_xor_b32 s34, exec_lo, s34
	s_cbranch_execz .LBB150_1179
; %bb.942:
	v_bfe_u32 v3, v2, 20, 1
	s_mov_b32 s33, exec_lo
	s_delay_alu instid0(VALU_DEP_1) | instskip(NEXT) | instid1(VALU_DEP_1)
	v_add3_u32 v3, v2, v3, 0x487ffff
	v_lshrrev_b32_e32 v3, 20, v3
	s_and_not1_saveexec_b32 s34, s34
	s_cbranch_execnz .LBB150_1180
.LBB150_943:
	s_or_b32 exec_lo, exec_lo, s34
	v_mov_b32_e32 v4, 0
	s_and_saveexec_b32 s34, s33
.LBB150_944:
	v_lshrrev_b32_e32 v4, 24, v2
	s_delay_alu instid0(VALU_DEP_1)
	v_and_or_b32 v4, 0x80, v4, v3
.LBB150_945:
	s_or_b32 exec_lo, exec_lo, s34
.LBB150_946:
	s_delay_alu instid0(SALU_CYCLE_1)
	s_or_b32 exec_lo, exec_lo, s31
	global_store_b8 v[0:1], v4, off
.LBB150_947:
	s_mov_b32 s31, -1
.LBB150_948:
	s_mov_b32 s33, 0
.LBB150_949:
	s_delay_alu instid0(SALU_CYCLE_1)
	s_and_b32 vcc_lo, exec_lo, s33
	s_cbranch_vccz .LBB150_990
; %bb.950:
	s_cmp_gt_i32 s30, 22
	s_mov_b32 s33, -1
	s_cbranch_scc0 .LBB150_982
; %bb.951:
	s_cmp_lt_i32 s30, 24
	s_mov_b32 s31, -1
	s_cbranch_scc1 .LBB150_971
; %bb.952:
	s_cmp_gt_i32 s30, 24
	s_cbranch_scc0 .LBB150_960
; %bb.953:
	s_wait_xcnt 0x0
	v_and_b32_e32 v3, 0x7fffffff, v2
	v_mov_b32_e32 v4, 0x80
	s_mov_b32 s31, exec_lo
	s_delay_alu instid0(VALU_DEP_2)
	v_cmpx_gt_u32_e32 0x47800000, v3
	s_cbranch_execz .LBB150_959
; %bb.954:
	v_cmp_lt_u32_e32 vcc_lo, 0x37ffffff, v3
	s_mov_b32 s33, 0
                                        ; implicit-def: $vgpr3
	s_and_saveexec_b32 s34, vcc_lo
	s_delay_alu instid0(SALU_CYCLE_1)
	s_xor_b32 s34, exec_lo, s34
	s_cbranch_execz .LBB150_1311
; %bb.955:
	v_bfe_u32 v3, v2, 21, 1
	s_mov_b32 s33, exec_lo
	s_delay_alu instid0(VALU_DEP_1) | instskip(NEXT) | instid1(VALU_DEP_1)
	v_add3_u32 v3, v2, v3, 0x88fffff
	v_lshrrev_b32_e32 v3, 21, v3
	s_and_not1_saveexec_b32 s34, s34
	s_cbranch_execnz .LBB150_1312
.LBB150_956:
	s_or_b32 exec_lo, exec_lo, s34
	v_mov_b32_e32 v4, 0
	s_and_saveexec_b32 s34, s33
.LBB150_957:
	v_lshrrev_b32_e32 v4, 24, v2
	s_delay_alu instid0(VALU_DEP_1)
	v_and_or_b32 v4, 0x80, v4, v3
.LBB150_958:
	s_or_b32 exec_lo, exec_lo, s34
.LBB150_959:
	s_delay_alu instid0(SALU_CYCLE_1)
	s_or_b32 exec_lo, exec_lo, s31
	s_mov_b32 s31, 0
	global_store_b8 v[0:1], v4, off
.LBB150_960:
	s_and_b32 vcc_lo, exec_lo, s31
	s_cbranch_vccz .LBB150_970
; %bb.961:
	s_wait_xcnt 0x0
	v_and_b32_e32 v4, 0x7fffffff, v2
	s_mov_b32 s31, exec_lo
                                        ; implicit-def: $vgpr3
	s_delay_alu instid0(VALU_DEP_1)
	v_cmpx_gt_u32_e32 0x43f00000, v4
	s_xor_b32 s31, exec_lo, s31
	s_cbranch_execz .LBB150_967
; %bb.962:
	s_mov_b32 s33, exec_lo
                                        ; implicit-def: $vgpr3
	v_cmpx_lt_u32_e32 0x3c7fffff, v4
	s_xor_b32 s33, exec_lo, s33
; %bb.963:
	v_bfe_u32 v3, v2, 20, 1
	s_delay_alu instid0(VALU_DEP_1) | instskip(NEXT) | instid1(VALU_DEP_1)
	v_add3_u32 v3, v2, v3, 0x407ffff
	v_and_b32_e32 v4, 0xff00000, v3
	v_lshrrev_b32_e32 v3, 20, v3
	s_delay_alu instid0(VALU_DEP_2) | instskip(NEXT) | instid1(VALU_DEP_2)
	v_cmp_ne_u32_e32 vcc_lo, 0x7f00000, v4
	v_cndmask_b32_e32 v3, 0x7e, v3, vcc_lo
; %bb.964:
	s_and_not1_saveexec_b32 s33, s33
; %bb.965:
	v_add_f32_e64 v3, 0x46800000, |v2|
; %bb.966:
	s_or_b32 exec_lo, exec_lo, s33
                                        ; implicit-def: $vgpr4
.LBB150_967:
	s_and_not1_saveexec_b32 s31, s31
; %bb.968:
	v_mov_b32_e32 v3, 0x7f
	v_cmp_lt_u32_e32 vcc_lo, 0x7f800000, v4
	s_delay_alu instid0(VALU_DEP_2)
	v_cndmask_b32_e32 v3, 0x7e, v3, vcc_lo
; %bb.969:
	s_or_b32 exec_lo, exec_lo, s31
	v_lshrrev_b32_e32 v4, 24, v2
	s_delay_alu instid0(VALU_DEP_1)
	v_and_or_b32 v3, 0x80, v4, v3
	global_store_b8 v[0:1], v3, off
.LBB150_970:
	s_mov_b32 s31, 0
.LBB150_971:
	s_delay_alu instid0(SALU_CYCLE_1)
	s_and_not1_b32 vcc_lo, exec_lo, s31
	s_cbranch_vccnz .LBB150_981
; %bb.972:
	s_wait_xcnt 0x0
	v_and_b32_e32 v4, 0x7fffffff, v2
	s_mov_b32 s31, exec_lo
                                        ; implicit-def: $vgpr3
	s_delay_alu instid0(VALU_DEP_1)
	v_cmpx_gt_u32_e32 0x47800000, v4
	s_xor_b32 s31, exec_lo, s31
	s_cbranch_execz .LBB150_978
; %bb.973:
	s_mov_b32 s33, exec_lo
                                        ; implicit-def: $vgpr3
	v_cmpx_lt_u32_e32 0x387fffff, v4
	s_xor_b32 s33, exec_lo, s33
; %bb.974:
	v_bfe_u32 v3, v2, 21, 1
	s_delay_alu instid0(VALU_DEP_1) | instskip(NEXT) | instid1(VALU_DEP_1)
	v_add3_u32 v3, v2, v3, 0x80fffff
	v_lshrrev_b32_e32 v3, 21, v3
; %bb.975:
	s_and_not1_saveexec_b32 s33, s33
; %bb.976:
	v_add_f32_e64 v3, 0x43000000, |v2|
; %bb.977:
	s_or_b32 exec_lo, exec_lo, s33
                                        ; implicit-def: $vgpr4
.LBB150_978:
	s_and_not1_saveexec_b32 s31, s31
; %bb.979:
	v_mov_b32_e32 v3, 0x7f
	v_cmp_lt_u32_e32 vcc_lo, 0x7f800000, v4
	s_delay_alu instid0(VALU_DEP_2)
	v_cndmask_b32_e32 v3, 0x7c, v3, vcc_lo
; %bb.980:
	s_or_b32 exec_lo, exec_lo, s31
	v_lshrrev_b32_e32 v4, 24, v2
	s_delay_alu instid0(VALU_DEP_1)
	v_and_or_b32 v3, 0x80, v4, v3
	global_store_b8 v[0:1], v3, off
.LBB150_981:
	s_mov_b32 s33, 0
	s_mov_b32 s31, -1
.LBB150_982:
	s_and_not1_b32 vcc_lo, exec_lo, s33
	s_cbranch_vccnz .LBB150_990
; %bb.983:
	s_cmp_gt_i32 s30, 14
	s_mov_b32 s33, -1
	s_cbranch_scc0 .LBB150_987
; %bb.984:
	s_cmp_eq_u32 s30, 15
	s_mov_b32 s0, -1
	s_cbranch_scc0 .LBB150_986
; %bb.985:
	s_wait_xcnt 0x0
	v_bfe_u32 v3, v2, 16, 1
	v_cmp_o_f32_e32 vcc_lo, v2, v2
	s_mov_b32 s31, -1
	s_mov_b32 s0, 0
	s_delay_alu instid0(VALU_DEP_2) | instskip(NEXT) | instid1(VALU_DEP_1)
	v_add3_u32 v3, v2, v3, 0x7fff
	v_lshrrev_b32_e32 v3, 16, v3
	s_delay_alu instid0(VALU_DEP_1)
	v_cndmask_b32_e32 v3, 0x7fc0, v3, vcc_lo
	global_store_b16 v[0:1], v3, off
.LBB150_986:
	s_mov_b32 s33, 0
.LBB150_987:
	s_delay_alu instid0(SALU_CYCLE_1)
	s_and_b32 vcc_lo, exec_lo, s33
	s_cbranch_vccz .LBB150_990
; %bb.988:
	s_cmp_eq_u32 s30, 11
	s_mov_b32 s0, -1
	s_cbranch_scc0 .LBB150_990
; %bb.989:
	v_cmp_neq_f32_e32 vcc_lo, 0, v2
	s_mov_b32 s0, 0
	s_mov_b32 s31, -1
	s_wait_xcnt 0x0
	v_cndmask_b32_e64 v3, 0, 1, vcc_lo
	global_store_b8 v[0:1], v3, off
.LBB150_990:
	s_mov_b32 s30, 0
.LBB150_991:
	s_delay_alu instid0(SALU_CYCLE_1)
	s_and_b32 vcc_lo, exec_lo, s30
	s_cbranch_vccz .LBB150_1030
; %bb.992:
	s_and_b32 s27, 0xffff, s27
	s_mov_b32 s30, -1
	s_cmp_lt_i32 s27, 5
	s_cbranch_scc1 .LBB150_1013
; %bb.993:
	s_cmp_lt_i32 s27, 8
	s_cbranch_scc1 .LBB150_1003
; %bb.994:
	;; [unrolled: 3-line block ×3, first 2 shown]
	s_cmp_gt_i32 s27, 9
	s_cbranch_scc0 .LBB150_997
; %bb.996:
	s_wait_xcnt 0x0
	v_cvt_f64_f32_e32 v[4:5], v2
	v_mov_b32_e32 v6, 0
	s_mov_b32 s30, 0
	s_delay_alu instid0(VALU_DEP_1)
	v_mov_b32_e32 v7, v6
	global_store_b128 v[0:1], v[4:7], off
.LBB150_997:
	s_and_not1_b32 vcc_lo, exec_lo, s30
	s_cbranch_vccnz .LBB150_999
; %bb.998:
	s_wait_xcnt 0x0
	v_mov_b32_e32 v3, 0
	global_store_b64 v[0:1], v[2:3], off
.LBB150_999:
	s_mov_b32 s30, 0
.LBB150_1000:
	s_delay_alu instid0(SALU_CYCLE_1)
	s_and_not1_b32 vcc_lo, exec_lo, s30
	s_cbranch_vccnz .LBB150_1002
; %bb.1001:
	s_wait_xcnt 0x0
	v_cvt_f16_f32_e32 v3, v2
	s_delay_alu instid0(VALU_DEP_1)
	v_and_b32_e32 v3, 0xffff, v3
	global_store_b32 v[0:1], v3, off
.LBB150_1002:
	s_mov_b32 s30, 0
.LBB150_1003:
	s_delay_alu instid0(SALU_CYCLE_1)
	s_and_not1_b32 vcc_lo, exec_lo, s30
	s_cbranch_vccnz .LBB150_1012
; %bb.1004:
	s_cmp_lt_i32 s27, 6
	s_mov_b32 s30, -1
	s_cbranch_scc1 .LBB150_1010
; %bb.1005:
	s_cmp_gt_i32 s27, 6
	s_cbranch_scc0 .LBB150_1007
; %bb.1006:
	s_wait_xcnt 0x0
	v_cvt_f64_f32_e32 v[4:5], v2
	s_mov_b32 s30, 0
	global_store_b64 v[0:1], v[4:5], off
.LBB150_1007:
	s_and_not1_b32 vcc_lo, exec_lo, s30
	s_cbranch_vccnz .LBB150_1009
; %bb.1008:
	global_store_b32 v[0:1], v2, off
.LBB150_1009:
	s_mov_b32 s30, 0
.LBB150_1010:
	s_delay_alu instid0(SALU_CYCLE_1)
	s_and_not1_b32 vcc_lo, exec_lo, s30
	s_cbranch_vccnz .LBB150_1012
; %bb.1011:
	s_wait_xcnt 0x0
	v_cvt_f16_f32_e32 v3, v2
	global_store_b16 v[0:1], v3, off
.LBB150_1012:
	s_mov_b32 s30, 0
.LBB150_1013:
	s_delay_alu instid0(SALU_CYCLE_1)
	s_and_not1_b32 vcc_lo, exec_lo, s30
	s_cbranch_vccnz .LBB150_1029
; %bb.1014:
	s_cmp_lt_i32 s27, 2
	s_mov_b32 s30, -1
	s_cbranch_scc1 .LBB150_1024
; %bb.1015:
	s_cmp_lt_i32 s27, 3
	s_cbranch_scc1 .LBB150_1021
; %bb.1016:
	s_cmp_gt_i32 s27, 3
	s_cbranch_scc0 .LBB150_1018
; %bb.1017:
	s_wait_xcnt 0x0
	v_trunc_f32_e32 v3, v2
	s_mov_b32 s30, 0
	s_delay_alu instid0(VALU_DEP_1) | instskip(NEXT) | instid1(VALU_DEP_1)
	v_mul_f32_e64 v4, 0x2f800000, |v3|
	v_floor_f32_e32 v5, v4
	v_ashrrev_i32_e32 v4, 31, v3
	s_delay_alu instid0(VALU_DEP_2) | instskip(SKIP_1) | instid1(VALU_DEP_3)
	v_fma_f32 v6, 0xcf800000, v5, |v3|
	v_cvt_u32_f32_e32 v3, v5
	v_mov_b32_e32 v5, v4
	s_delay_alu instid0(VALU_DEP_3) | instskip(NEXT) | instid1(VALU_DEP_3)
	v_cvt_u32_f32_e32 v6, v6
	v_xor_b32_e32 v7, v3, v4
	s_delay_alu instid0(VALU_DEP_2) | instskip(NEXT) | instid1(VALU_DEP_1)
	v_xor_b32_e32 v6, v6, v4
	v_sub_nc_u64_e32 v[4:5], v[6:7], v[4:5]
	global_store_b64 v[0:1], v[4:5], off
.LBB150_1018:
	s_and_not1_b32 vcc_lo, exec_lo, s30
	s_cbranch_vccnz .LBB150_1020
; %bb.1019:
	s_wait_xcnt 0x0
	v_cvt_i32_f32_e32 v3, v2
	global_store_b32 v[0:1], v3, off
.LBB150_1020:
	s_mov_b32 s30, 0
.LBB150_1021:
	s_delay_alu instid0(SALU_CYCLE_1)
	s_and_not1_b32 vcc_lo, exec_lo, s30
	s_cbranch_vccnz .LBB150_1023
; %bb.1022:
	s_wait_xcnt 0x0
	v_cvt_i32_f32_e32 v3, v2
	global_store_b16 v[0:1], v3, off
.LBB150_1023:
	s_mov_b32 s30, 0
.LBB150_1024:
	s_delay_alu instid0(SALU_CYCLE_1)
	s_and_not1_b32 vcc_lo, exec_lo, s30
	s_cbranch_vccnz .LBB150_1029
; %bb.1025:
	s_cmp_gt_i32 s27, 0
	s_mov_b32 s27, -1
	s_cbranch_scc0 .LBB150_1027
; %bb.1026:
	s_wait_xcnt 0x0
	v_cvt_i32_f32_e32 v3, v2
	s_mov_b32 s27, 0
	global_store_b8 v[0:1], v3, off
.LBB150_1027:
	s_and_not1_b32 vcc_lo, exec_lo, s27
	s_cbranch_vccnz .LBB150_1029
; %bb.1028:
	s_wait_xcnt 0x0
	v_trunc_f32_e32 v2, v2
	s_delay_alu instid0(VALU_DEP_1) | instskip(NEXT) | instid1(VALU_DEP_1)
	v_mul_f32_e64 v3, 0x2f800000, |v2|
	v_floor_f32_e32 v3, v3
	s_delay_alu instid0(VALU_DEP_1) | instskip(SKIP_1) | instid1(VALU_DEP_2)
	v_fma_f32 v3, 0xcf800000, v3, |v2|
	v_ashrrev_i32_e32 v2, 31, v2
	v_cvt_u32_f32_e32 v3, v3
	s_delay_alu instid0(VALU_DEP_1) | instskip(NEXT) | instid1(VALU_DEP_1)
	v_xor_b32_e32 v3, v3, v2
	v_sub_nc_u32_e32 v2, v3, v2
	global_store_b8 v[0:1], v2, off
.LBB150_1029:
	s_mov_b32 s31, -1
.LBB150_1030:
	s_delay_alu instid0(SALU_CYCLE_1)
	s_and_not1_b32 vcc_lo, exec_lo, s31
	s_cbranch_vccnz .LBB150_1032
; %bb.1031:
	v_add_nc_u32_e32 v8, 0x80, v8
	s_mov_b32 s30, -1
	s_branch .LBB150_1034
.LBB150_1032:
	s_mov_b32 s30, 0
.LBB150_1033:
                                        ; implicit-def: $vgpr8
.LBB150_1034:
	s_and_not1_b32 s27, s19, exec_lo
	s_and_b32 s0, s0, exec_lo
	s_and_not1_b32 s31, s21, exec_lo
	s_and_b32 s33, s26, exec_lo
	s_or_b32 s26, s27, s0
	s_or_b32 s27, s31, s33
	s_and_not1_b32 s0, s22, exec_lo
	s_and_b32 s28, s28, exec_lo
	s_and_not1_b32 s31, s23, exec_lo
	s_and_b32 s25, s25, exec_lo
	s_or_b32 s28, s0, s28
	s_or_b32 s25, s31, s25
	s_or_not1_b32 s31, s30, exec_lo
.LBB150_1035:
	s_wait_xcnt 0x0
	s_or_b32 exec_lo, exec_lo, s29
	s_mov_b32 s30, 0
	s_mov_b32 s33, 0
	s_mov_b32 s34, 0
                                        ; implicit-def: $sgpr0
                                        ; implicit-def: $vgpr0_vgpr1
                                        ; implicit-def: $vgpr3
	s_and_saveexec_b32 s29, s31
	s_cbranch_execz .LBB150_1638
; %bb.1036:
	s_mov_b32 s39, -1
	s_mov_b32 s31, s25
	s_mov_b32 s33, s28
	;; [unrolled: 1-line block ×4, first 2 shown]
	s_mov_b32 s30, exec_lo
	v_cmpx_gt_i32_e64 s20, v8
	s_cbranch_execz .LBB150_1556
; %bb.1037:
	v_mul_lo_u32 v0, v8, s13
	s_and_b32 s0, s17, 0xff
	s_delay_alu instid0(SALU_CYCLE_1) | instskip(NEXT) | instid1(VALU_DEP_1)
	s_cmp_lt_i32 s0, 11
	v_ashrrev_i32_e32 v1, 31, v0
	s_delay_alu instid0(VALU_DEP_1)
	v_add_nc_u64_e32 v[0:1], s[6:7], v[0:1]
	s_cbranch_scc1 .LBB150_1044
; %bb.1038:
	s_and_b32 s33, 0xffff, s0
	s_delay_alu instid0(SALU_CYCLE_1)
	s_cmp_gt_i32 s33, 25
	s_cbranch_scc0 .LBB150_1045
; %bb.1039:
	s_cmp_gt_i32 s33, 28
	s_cbranch_scc0 .LBB150_1046
; %bb.1040:
	;; [unrolled: 3-line block ×4, first 2 shown]
	s_cmp_eq_u32 s33, 46
	s_mov_b32 s35, 0
	s_cbranch_scc0 .LBB150_1049
; %bb.1043:
	s_wait_loadcnt 0x0
	global_load_b32 v2, v[0:1], off
	s_mov_b32 s34, -1
	s_mov_b32 s31, 0
	s_wait_loadcnt 0x0
	v_lshlrev_b32_e32 v2, 16, v2
	s_branch .LBB150_1051
.LBB150_1044:
	s_mov_b32 s33, -1
	s_mov_b32 s34, 0
	s_mov_b32 s31, s25
                                        ; implicit-def: $vgpr2
	s_branch .LBB150_1116
.LBB150_1045:
	s_mov_b32 s35, -1
	s_mov_b32 s34, 0
	s_mov_b32 s31, s25
                                        ; implicit-def: $vgpr2
	s_branch .LBB150_1080
.LBB150_1046:
	s_mov_b32 s35, -1
	s_mov_b32 s34, 0
	s_mov_b32 s31, s25
                                        ; implicit-def: $vgpr2
	s_branch .LBB150_1061
.LBB150_1047:
	s_mov_b32 s35, -1
	s_mov_b32 s34, 0
	s_mov_b32 s31, s25
                                        ; implicit-def: $vgpr2
	s_branch .LBB150_1056
.LBB150_1048:
	s_mov_b32 s35, -1
	s_mov_b32 s34, 0
	s_mov_b32 s31, s25
	s_branch .LBB150_1050
.LBB150_1049:
	s_mov_b32 s31, -1
	s_mov_b32 s34, 0
.LBB150_1050:
                                        ; implicit-def: $vgpr2
.LBB150_1051:
	s_and_b32 vcc_lo, exec_lo, s35
	s_cbranch_vccz .LBB150_1055
; %bb.1052:
	s_cmp_eq_u32 s33, 44
	s_cbranch_scc0 .LBB150_1054
; %bb.1053:
	s_wait_loadcnt 0x0
	global_load_u8 v2, v[0:1], off
	s_mov_b32 s31, 0
	s_mov_b32 s34, -1
	s_wait_loadcnt 0x0
	v_lshlrev_b32_e32 v3, 23, v2
	v_cmp_ne_u32_e32 vcc_lo, 0xff, v2
	s_delay_alu instid0(VALU_DEP_2) | instskip(SKIP_1) | instid1(VALU_DEP_2)
	v_cndmask_b32_e32 v3, 0x7f800001, v3, vcc_lo
	v_cmp_ne_u32_e32 vcc_lo, 0, v2
	v_cndmask_b32_e32 v2, 0x400000, v3, vcc_lo
	s_branch .LBB150_1055
.LBB150_1054:
	s_mov_b32 s31, -1
                                        ; implicit-def: $vgpr2
.LBB150_1055:
	s_mov_b32 s35, 0
.LBB150_1056:
	s_delay_alu instid0(SALU_CYCLE_1)
	s_and_b32 vcc_lo, exec_lo, s35
	s_cbranch_vccz .LBB150_1060
; %bb.1057:
	s_cmp_eq_u32 s33, 29
	s_cbranch_scc0 .LBB150_1059
; %bb.1058:
	s_wait_loadcnt 0x0
	global_load_b64 v[2:3], v[0:1], off
	s_mov_b32 s34, -1
	s_mov_b32 s31, 0
	s_mov_b32 s35, 0
	s_wait_loadcnt 0x0
	v_clz_i32_u32_e32 v4, v3
	s_delay_alu instid0(VALU_DEP_1) | instskip(NEXT) | instid1(VALU_DEP_1)
	v_min_u32_e32 v4, 32, v4
	v_lshlrev_b64_e32 v[2:3], v4, v[2:3]
	s_delay_alu instid0(VALU_DEP_1) | instskip(NEXT) | instid1(VALU_DEP_1)
	v_min_u32_e32 v2, 1, v2
	v_dual_sub_nc_u32 v3, 32, v4 :: v_dual_bitop2_b32 v2, v3, v2 bitop3:0x54
	s_delay_alu instid0(VALU_DEP_1) | instskip(NEXT) | instid1(VALU_DEP_1)
	v_cvt_f32_u32_e32 v2, v2
	v_ldexp_f32 v2, v2, v3
	s_branch .LBB150_1061
.LBB150_1059:
	s_mov_b32 s31, -1
                                        ; implicit-def: $vgpr2
.LBB150_1060:
	s_mov_b32 s35, 0
.LBB150_1061:
	s_delay_alu instid0(SALU_CYCLE_1)
	s_and_b32 vcc_lo, exec_lo, s35
	s_cbranch_vccz .LBB150_1079
; %bb.1062:
	s_cmp_lt_i32 s33, 27
	s_cbranch_scc1 .LBB150_1065
; %bb.1063:
	s_cmp_gt_i32 s33, 27
	s_cbranch_scc0 .LBB150_1066
; %bb.1064:
	s_wait_loadcnt 0x0
	global_load_b32 v2, v[0:1], off
	s_mov_b32 s34, 0
	s_wait_loadcnt 0x0
	v_cvt_f32_u32_e32 v2, v2
	s_branch .LBB150_1067
.LBB150_1065:
	s_mov_b32 s34, -1
                                        ; implicit-def: $vgpr2
	s_branch .LBB150_1070
.LBB150_1066:
	s_mov_b32 s34, -1
                                        ; implicit-def: $vgpr2
.LBB150_1067:
	s_delay_alu instid0(SALU_CYCLE_1)
	s_and_not1_b32 vcc_lo, exec_lo, s34
	s_cbranch_vccnz .LBB150_1069
; %bb.1068:
	s_wait_loadcnt 0x0
	global_load_u16 v2, v[0:1], off
	s_wait_loadcnt 0x0
	v_cvt_f32_u32_e32 v2, v2
.LBB150_1069:
	s_mov_b32 s34, 0
.LBB150_1070:
	s_delay_alu instid0(SALU_CYCLE_1)
	s_and_not1_b32 vcc_lo, exec_lo, s34
	s_cbranch_vccnz .LBB150_1078
; %bb.1071:
	s_wait_loadcnt 0x0
	global_load_u8 v3, v[0:1], off
	s_mov_b32 s34, 0
	s_mov_b32 s35, exec_lo
	s_wait_loadcnt 0x0
	v_cmpx_lt_i16_e32 0x7f, v3
	s_xor_b32 s35, exec_lo, s35
	s_cbranch_execz .LBB150_1092
; %bb.1072:
	s_mov_b32 s34, -1
	s_mov_b32 s36, exec_lo
	v_cmpx_eq_u16_e32 0x80, v3
; %bb.1073:
	s_xor_b32 s34, exec_lo, -1
; %bb.1074:
	s_or_b32 exec_lo, exec_lo, s36
	s_delay_alu instid0(SALU_CYCLE_1)
	s_and_b32 s34, s34, exec_lo
	s_or_saveexec_b32 s35, s35
	v_mov_b32_e32 v2, 0x7f800001
	s_xor_b32 exec_lo, exec_lo, s35
	s_cbranch_execnz .LBB150_1093
.LBB150_1075:
	s_or_b32 exec_lo, exec_lo, s35
	s_and_saveexec_b32 s35, s34
	s_cbranch_execz .LBB150_1077
.LBB150_1076:
	v_and_b32_e32 v2, 0xffff, v3
	s_delay_alu instid0(VALU_DEP_1) | instskip(SKIP_1) | instid1(VALU_DEP_2)
	v_and_b32_e32 v4, 7, v2
	v_bfe_u32 v7, v2, 3, 4
	v_clz_i32_u32_e32 v5, v4
	s_delay_alu instid0(VALU_DEP_2) | instskip(NEXT) | instid1(VALU_DEP_2)
	v_cmp_eq_u32_e32 vcc_lo, 0, v7
	v_min_u32_e32 v5, 32, v5
	s_delay_alu instid0(VALU_DEP_1) | instskip(NEXT) | instid1(VALU_DEP_1)
	v_subrev_nc_u32_e32 v6, 28, v5
	v_dual_lshlrev_b32 v2, v6, v2 :: v_dual_sub_nc_u32 v5, 29, v5
	s_delay_alu instid0(VALU_DEP_1) | instskip(NEXT) | instid1(VALU_DEP_1)
	v_dual_lshlrev_b32 v3, 24, v3 :: v_dual_bitop2_b32 v2, 7, v2 bitop3:0x40
	v_dual_cndmask_b32 v5, v7, v5 :: v_dual_cndmask_b32 v2, v4, v2
	s_delay_alu instid0(VALU_DEP_2) | instskip(NEXT) | instid1(VALU_DEP_2)
	v_and_b32_e32 v3, 0x80000000, v3
	v_lshl_add_u32 v4, v5, 23, 0x3b800000
	s_delay_alu instid0(VALU_DEP_3) | instskip(NEXT) | instid1(VALU_DEP_1)
	v_lshlrev_b32_e32 v2, 20, v2
	v_or3_b32 v2, v3, v4, v2
.LBB150_1077:
	s_or_b32 exec_lo, exec_lo, s35
.LBB150_1078:
	s_mov_b32 s34, -1
.LBB150_1079:
	s_mov_b32 s35, 0
.LBB150_1080:
	s_delay_alu instid0(SALU_CYCLE_1)
	s_and_b32 vcc_lo, exec_lo, s35
	s_cbranch_vccz .LBB150_1115
; %bb.1081:
	s_cmp_gt_i32 s33, 22
	s_cbranch_scc0 .LBB150_1091
; %bb.1082:
	s_cmp_lt_i32 s33, 24
	s_cbranch_scc1 .LBB150_1094
; %bb.1083:
	s_cmp_gt_i32 s33, 24
	s_cbranch_scc0 .LBB150_1095
; %bb.1084:
	s_wait_loadcnt 0x0
	global_load_u8 v3, v[0:1], off
	s_mov_b32 s34, 0
	s_mov_b32 s35, exec_lo
	s_wait_loadcnt 0x0
	v_cmpx_lt_i16_e32 0x7f, v3
	s_xor_b32 s35, exec_lo, s35
	s_cbranch_execz .LBB150_1107
; %bb.1085:
	s_mov_b32 s34, -1
	s_mov_b32 s36, exec_lo
	v_cmpx_eq_u16_e32 0x80, v3
; %bb.1086:
	s_xor_b32 s34, exec_lo, -1
; %bb.1087:
	s_or_b32 exec_lo, exec_lo, s36
	s_delay_alu instid0(SALU_CYCLE_1)
	s_and_b32 s34, s34, exec_lo
	s_or_saveexec_b32 s35, s35
	v_mov_b32_e32 v2, 0x7f800001
	s_xor_b32 exec_lo, exec_lo, s35
	s_cbranch_execnz .LBB150_1108
.LBB150_1088:
	s_or_b32 exec_lo, exec_lo, s35
	s_and_saveexec_b32 s35, s34
	s_cbranch_execz .LBB150_1090
.LBB150_1089:
	v_and_b32_e32 v2, 0xffff, v3
	s_delay_alu instid0(VALU_DEP_1) | instskip(SKIP_1) | instid1(VALU_DEP_2)
	v_and_b32_e32 v4, 3, v2
	v_bfe_u32 v7, v2, 2, 5
	v_clz_i32_u32_e32 v5, v4
	s_delay_alu instid0(VALU_DEP_2) | instskip(NEXT) | instid1(VALU_DEP_2)
	v_cmp_eq_u32_e32 vcc_lo, 0, v7
	v_min_u32_e32 v5, 32, v5
	s_delay_alu instid0(VALU_DEP_1) | instskip(NEXT) | instid1(VALU_DEP_1)
	v_subrev_nc_u32_e32 v6, 29, v5
	v_dual_lshlrev_b32 v2, v6, v2 :: v_dual_sub_nc_u32 v5, 30, v5
	s_delay_alu instid0(VALU_DEP_1) | instskip(NEXT) | instid1(VALU_DEP_1)
	v_dual_lshlrev_b32 v3, 24, v3 :: v_dual_bitop2_b32 v2, 3, v2 bitop3:0x40
	v_dual_cndmask_b32 v5, v7, v5 :: v_dual_cndmask_b32 v2, v4, v2
	s_delay_alu instid0(VALU_DEP_2) | instskip(NEXT) | instid1(VALU_DEP_2)
	v_and_b32_e32 v3, 0x80000000, v3
	v_lshl_add_u32 v4, v5, 23, 0x37800000
	s_delay_alu instid0(VALU_DEP_3) | instskip(NEXT) | instid1(VALU_DEP_1)
	v_lshlrev_b32_e32 v2, 21, v2
	v_or3_b32 v2, v3, v4, v2
.LBB150_1090:
	s_or_b32 exec_lo, exec_lo, s35
	s_mov_b32 s34, 0
	s_branch .LBB150_1096
.LBB150_1091:
	s_mov_b32 s35, -1
                                        ; implicit-def: $vgpr2
	s_branch .LBB150_1102
.LBB150_1092:
	s_or_saveexec_b32 s35, s35
	v_mov_b32_e32 v2, 0x7f800001
	s_xor_b32 exec_lo, exec_lo, s35
	s_cbranch_execz .LBB150_1075
.LBB150_1093:
	v_cmp_ne_u16_e32 vcc_lo, 0, v3
	v_mov_b32_e32 v2, 0
	s_and_not1_b32 s34, s34, exec_lo
	s_and_b32 s36, vcc_lo, exec_lo
	s_delay_alu instid0(SALU_CYCLE_1)
	s_or_b32 s34, s34, s36
	s_or_b32 exec_lo, exec_lo, s35
	s_and_saveexec_b32 s35, s34
	s_cbranch_execnz .LBB150_1076
	s_branch .LBB150_1077
.LBB150_1094:
	s_mov_b32 s34, -1
                                        ; implicit-def: $vgpr2
	s_branch .LBB150_1099
.LBB150_1095:
	s_mov_b32 s34, -1
                                        ; implicit-def: $vgpr2
.LBB150_1096:
	s_delay_alu instid0(SALU_CYCLE_1)
	s_and_b32 vcc_lo, exec_lo, s34
	s_cbranch_vccz .LBB150_1098
; %bb.1097:
	s_wait_loadcnt 0x0
	global_load_u8 v2, v[0:1], off
	s_wait_loadcnt 0x0
	v_lshlrev_b32_e32 v2, 24, v2
	s_delay_alu instid0(VALU_DEP_1) | instskip(NEXT) | instid1(VALU_DEP_1)
	v_and_b32_e32 v3, 0x7f000000, v2
	v_clz_i32_u32_e32 v4, v3
	v_cmp_ne_u32_e32 vcc_lo, 0, v3
	v_add_nc_u32_e32 v6, 0x1000000, v3
	s_delay_alu instid0(VALU_DEP_3) | instskip(NEXT) | instid1(VALU_DEP_1)
	v_min_u32_e32 v4, 32, v4
	v_sub_nc_u32_e64 v4, v4, 4 clamp
	s_delay_alu instid0(VALU_DEP_1) | instskip(NEXT) | instid1(VALU_DEP_1)
	v_dual_lshlrev_b32 v5, v4, v3 :: v_dual_lshlrev_b32 v4, 23, v4
	v_lshrrev_b32_e32 v5, 4, v5
	s_delay_alu instid0(VALU_DEP_1) | instskip(NEXT) | instid1(VALU_DEP_1)
	v_dual_sub_nc_u32 v4, v5, v4 :: v_dual_ashrrev_i32 v5, 8, v6
	v_add_nc_u32_e32 v4, 0x3c000000, v4
	s_delay_alu instid0(VALU_DEP_1) | instskip(NEXT) | instid1(VALU_DEP_1)
	v_and_or_b32 v4, 0x7f800000, v5, v4
	v_cndmask_b32_e32 v3, 0, v4, vcc_lo
	s_delay_alu instid0(VALU_DEP_1)
	v_and_or_b32 v2, 0x80000000, v2, v3
.LBB150_1098:
	s_mov_b32 s34, 0
.LBB150_1099:
	s_delay_alu instid0(SALU_CYCLE_1)
	s_and_not1_b32 vcc_lo, exec_lo, s34
	s_cbranch_vccnz .LBB150_1101
; %bb.1100:
	s_wait_loadcnt 0x0
	global_load_u8 v2, v[0:1], off
	s_wait_loadcnt 0x0
	v_lshlrev_b32_e32 v3, 25, v2
	v_lshlrev_b16 v2, 8, v2
	s_delay_alu instid0(VALU_DEP_1) | instskip(SKIP_1) | instid1(VALU_DEP_2)
	v_and_or_b32 v5, 0x7f00, v2, 0.5
	v_bfe_i32 v2, v2, 0, 16
	v_dual_add_f32 v5, -0.5, v5 :: v_dual_lshrrev_b32 v4, 4, v3
	v_cmp_gt_u32_e32 vcc_lo, 0x8000000, v3
	s_delay_alu instid0(VALU_DEP_2) | instskip(NEXT) | instid1(VALU_DEP_1)
	v_or_b32_e32 v4, 0x70000000, v4
	v_mul_f32_e32 v4, 0x7800000, v4
	s_delay_alu instid0(VALU_DEP_1) | instskip(NEXT) | instid1(VALU_DEP_1)
	v_cndmask_b32_e32 v3, v4, v5, vcc_lo
	v_and_or_b32 v2, 0x80000000, v2, v3
.LBB150_1101:
	s_mov_b32 s35, 0
	s_mov_b32 s34, -1
.LBB150_1102:
	s_and_not1_b32 vcc_lo, exec_lo, s35
	s_cbranch_vccnz .LBB150_1115
; %bb.1103:
	s_cmp_gt_i32 s33, 14
	s_cbranch_scc0 .LBB150_1106
; %bb.1104:
	s_cmp_eq_u32 s33, 15
	s_cbranch_scc0 .LBB150_1109
; %bb.1105:
	s_wait_loadcnt 0x0
	global_load_u16 v2, v[0:1], off
	s_mov_b32 s34, -1
	s_mov_b32 s31, 0
	s_wait_loadcnt 0x0
	v_lshlrev_b32_e32 v2, 16, v2
	s_branch .LBB150_1110
.LBB150_1106:
	s_mov_b32 s35, -1
                                        ; implicit-def: $vgpr2
	s_branch .LBB150_1111
.LBB150_1107:
	s_or_saveexec_b32 s35, s35
	v_mov_b32_e32 v2, 0x7f800001
	s_xor_b32 exec_lo, exec_lo, s35
	s_cbranch_execz .LBB150_1088
.LBB150_1108:
	v_cmp_ne_u16_e32 vcc_lo, 0, v3
	v_mov_b32_e32 v2, 0
	s_and_not1_b32 s34, s34, exec_lo
	s_and_b32 s36, vcc_lo, exec_lo
	s_delay_alu instid0(SALU_CYCLE_1)
	s_or_b32 s34, s34, s36
	s_or_b32 exec_lo, exec_lo, s35
	s_and_saveexec_b32 s35, s34
	s_cbranch_execnz .LBB150_1089
	s_branch .LBB150_1090
.LBB150_1109:
	s_mov_b32 s31, -1
                                        ; implicit-def: $vgpr2
.LBB150_1110:
	s_mov_b32 s35, 0
.LBB150_1111:
	s_delay_alu instid0(SALU_CYCLE_1)
	s_and_b32 vcc_lo, exec_lo, s35
	s_cbranch_vccz .LBB150_1115
; %bb.1112:
	s_cmp_eq_u32 s33, 11
	s_cbranch_scc0 .LBB150_1114
; %bb.1113:
	s_wait_loadcnt 0x0
	global_load_u8 v2, v[0:1], off
	s_mov_b32 s31, 0
	s_mov_b32 s34, -1
	s_wait_loadcnt 0x0
	v_cmp_ne_u16_e32 vcc_lo, 0, v2
	v_cndmask_b32_e64 v2, 0, 1.0, vcc_lo
	s_branch .LBB150_1115
.LBB150_1114:
	s_mov_b32 s31, -1
                                        ; implicit-def: $vgpr2
.LBB150_1115:
	s_mov_b32 s33, 0
.LBB150_1116:
	s_delay_alu instid0(SALU_CYCLE_1)
	s_and_b32 vcc_lo, exec_lo, s33
	s_cbranch_vccz .LBB150_1165
; %bb.1117:
	s_and_b32 s0, 0xffff, s0
	s_delay_alu instid0(SALU_CYCLE_1)
	s_cmp_lt_i32 s0, 5
	s_cbranch_scc1 .LBB150_1122
; %bb.1118:
	s_cmp_lt_i32 s0, 8
	s_cbranch_scc1 .LBB150_1123
; %bb.1119:
	s_cmp_lt_i32 s0, 9
	s_cbranch_scc1 .LBB150_1124
; %bb.1120:
	s_cmp_gt_i32 s0, 9
	s_cbranch_scc0 .LBB150_1125
; %bb.1121:
	s_wait_loadcnt 0x0
	global_load_b64 v[2:3], v[0:1], off
	s_mov_b32 s33, 0
	s_wait_loadcnt 0x0
	v_cvt_f32_f64_e32 v2, v[2:3]
	s_branch .LBB150_1126
.LBB150_1122:
	s_mov_b32 s33, -1
                                        ; implicit-def: $vgpr2
	s_branch .LBB150_1144
.LBB150_1123:
	s_mov_b32 s33, -1
                                        ; implicit-def: $vgpr2
	s_branch .LBB150_1132
.LBB150_1124:
	s_mov_b32 s33, -1
                                        ; implicit-def: $vgpr2
	s_branch .LBB150_1129
.LBB150_1125:
	s_mov_b32 s33, -1
                                        ; implicit-def: $vgpr2
.LBB150_1126:
	s_delay_alu instid0(SALU_CYCLE_1)
	s_and_not1_b32 vcc_lo, exec_lo, s33
	s_cbranch_vccnz .LBB150_1128
; %bb.1127:
	s_wait_loadcnt 0x0
	global_load_b32 v2, v[0:1], off
.LBB150_1128:
	s_mov_b32 s33, 0
.LBB150_1129:
	s_delay_alu instid0(SALU_CYCLE_1)
	s_and_not1_b32 vcc_lo, exec_lo, s33
	s_cbranch_vccnz .LBB150_1131
; %bb.1130:
	s_wait_loadcnt 0x0
	global_load_b32 v2, v[0:1], off
	s_wait_loadcnt 0x0
	v_cvt_f32_f16_e32 v2, v2
.LBB150_1131:
	s_mov_b32 s33, 0
.LBB150_1132:
	s_delay_alu instid0(SALU_CYCLE_1)
	s_and_not1_b32 vcc_lo, exec_lo, s33
	s_cbranch_vccnz .LBB150_1143
; %bb.1133:
	s_cmp_lt_i32 s0, 6
	s_cbranch_scc1 .LBB150_1136
; %bb.1134:
	s_cmp_gt_i32 s0, 6
	s_cbranch_scc0 .LBB150_1137
; %bb.1135:
	s_wait_loadcnt 0x0
	global_load_b64 v[2:3], v[0:1], off
	s_mov_b32 s33, 0
	s_wait_loadcnt 0x0
	v_cvt_f32_f64_e32 v2, v[2:3]
	s_branch .LBB150_1138
.LBB150_1136:
	s_mov_b32 s33, -1
                                        ; implicit-def: $vgpr2
	s_branch .LBB150_1141
.LBB150_1137:
	s_mov_b32 s33, -1
                                        ; implicit-def: $vgpr2
.LBB150_1138:
	s_delay_alu instid0(SALU_CYCLE_1)
	s_and_not1_b32 vcc_lo, exec_lo, s33
	s_cbranch_vccnz .LBB150_1140
; %bb.1139:
	s_wait_loadcnt 0x0
	global_load_b32 v2, v[0:1], off
.LBB150_1140:
	s_mov_b32 s33, 0
.LBB150_1141:
	s_delay_alu instid0(SALU_CYCLE_1)
	s_and_not1_b32 vcc_lo, exec_lo, s33
	s_cbranch_vccnz .LBB150_1143
; %bb.1142:
	s_wait_loadcnt 0x0
	global_load_u16 v2, v[0:1], off
	s_wait_loadcnt 0x0
	v_cvt_f32_f16_e32 v2, v2
.LBB150_1143:
	s_mov_b32 s33, 0
.LBB150_1144:
	s_delay_alu instid0(SALU_CYCLE_1)
	s_and_not1_b32 vcc_lo, exec_lo, s33
	s_cbranch_vccnz .LBB150_1164
; %bb.1145:
	s_cmp_lt_i32 s0, 2
	s_cbranch_scc1 .LBB150_1149
; %bb.1146:
	s_cmp_lt_i32 s0, 3
	s_cbranch_scc1 .LBB150_1150
; %bb.1147:
	s_cmp_gt_i32 s0, 3
	s_cbranch_scc0 .LBB150_1151
; %bb.1148:
	s_wait_loadcnt 0x0
	global_load_b64 v[2:3], v[0:1], off
	s_mov_b32 s33, 0
	s_wait_loadcnt 0x0
	v_xor_b32_e32 v4, v2, v3
	v_cls_i32_e32 v5, v3
	s_delay_alu instid0(VALU_DEP_2) | instskip(NEXT) | instid1(VALU_DEP_1)
	v_ashrrev_i32_e32 v4, 31, v4
	v_add_nc_u32_e32 v4, 32, v4
	s_delay_alu instid0(VALU_DEP_1) | instskip(NEXT) | instid1(VALU_DEP_1)
	v_add_min_u32_e64 v4, v5, -1, v4
	v_lshlrev_b64_e32 v[2:3], v4, v[2:3]
	s_delay_alu instid0(VALU_DEP_1) | instskip(NEXT) | instid1(VALU_DEP_1)
	v_min_u32_e32 v2, 1, v2
	v_dual_sub_nc_u32 v3, 32, v4 :: v_dual_bitop2_b32 v2, v3, v2 bitop3:0x54
	s_delay_alu instid0(VALU_DEP_1) | instskip(NEXT) | instid1(VALU_DEP_1)
	v_cvt_f32_i32_e32 v2, v2
	v_ldexp_f32 v2, v2, v3
	s_branch .LBB150_1152
.LBB150_1149:
	s_mov_b32 s33, -1
                                        ; implicit-def: $vgpr2
	s_branch .LBB150_1158
.LBB150_1150:
	s_mov_b32 s33, -1
                                        ; implicit-def: $vgpr2
	s_branch .LBB150_1155
.LBB150_1151:
	s_mov_b32 s33, -1
                                        ; implicit-def: $vgpr2
.LBB150_1152:
	s_delay_alu instid0(SALU_CYCLE_1)
	s_and_not1_b32 vcc_lo, exec_lo, s33
	s_cbranch_vccnz .LBB150_1154
; %bb.1153:
	s_wait_loadcnt 0x0
	global_load_b32 v2, v[0:1], off
	s_wait_loadcnt 0x0
	v_cvt_f32_i32_e32 v2, v2
.LBB150_1154:
	s_mov_b32 s33, 0
.LBB150_1155:
	s_delay_alu instid0(SALU_CYCLE_1)
	s_and_not1_b32 vcc_lo, exec_lo, s33
	s_cbranch_vccnz .LBB150_1157
; %bb.1156:
	s_wait_loadcnt 0x0
	global_load_i16 v2, v[0:1], off
	s_wait_loadcnt 0x0
	v_cvt_f32_i32_e32 v2, v2
.LBB150_1157:
	s_mov_b32 s33, 0
.LBB150_1158:
	s_delay_alu instid0(SALU_CYCLE_1)
	s_and_not1_b32 vcc_lo, exec_lo, s33
	s_cbranch_vccnz .LBB150_1164
; %bb.1159:
	s_cmp_gt_i32 s0, 0
	s_mov_b32 s0, 0
	s_cbranch_scc0 .LBB150_1161
; %bb.1160:
	s_wait_loadcnt 0x0
	global_load_i8 v2, v[0:1], off
	s_wait_loadcnt 0x0
	v_cvt_f32_i32_e32 v2, v2
	s_branch .LBB150_1162
.LBB150_1161:
	s_mov_b32 s0, -1
                                        ; implicit-def: $vgpr2
.LBB150_1162:
	s_delay_alu instid0(SALU_CYCLE_1)
	s_and_not1_b32 vcc_lo, exec_lo, s0
	s_cbranch_vccnz .LBB150_1164
; %bb.1163:
	global_load_u8 v0, v[0:1], off
	s_wait_loadcnt 0x0
	v_cvt_f32_ubyte0_e32 v2, v0
.LBB150_1164:
	s_mov_b32 s34, -1
.LBB150_1165:
	s_delay_alu instid0(SALU_CYCLE_1)
	s_and_not1_b32 vcc_lo, exec_lo, s34
	s_cbranch_vccnz .LBB150_1173
; %bb.1166:
	s_wait_xcnt 0x0
	v_mul_lo_u32 v0, v8, s14
	s_and_b32 s0, s3, 0xff
	s_delay_alu instid0(SALU_CYCLE_1) | instskip(NEXT) | instid1(VALU_DEP_1)
	s_cmp_lt_i32 s0, 11
	v_ashrrev_i32_e32 v1, 31, v0
	s_delay_alu instid0(VALU_DEP_1)
	v_add_nc_u64_e32 v[0:1], s[8:9], v[0:1]
	s_cbranch_scc1 .LBB150_1174
; %bb.1167:
	s_and_b32 s34, 0xffff, s0
	s_delay_alu instid0(SALU_CYCLE_1)
	s_cmp_gt_i32 s34, 25
	s_cbranch_scc0 .LBB150_1175
; %bb.1168:
	s_cmp_gt_i32 s34, 28
	s_cbranch_scc0 .LBB150_1176
; %bb.1169:
	;; [unrolled: 3-line block ×4, first 2 shown]
	s_cmp_eq_u32 s34, 46
	s_mov_b32 s36, 0
	s_cbranch_scc0 .LBB150_1181
; %bb.1172:
	s_wait_loadcnt 0x0
	global_load_b32 v3, v[0:1], off
	s_mov_b32 s35, -1
	s_mov_b32 s33, 0
	s_wait_loadcnt 0x0
	v_lshlrev_b32_e32 v3, 16, v3
	s_branch .LBB150_1183
.LBB150_1173:
	s_mov_b32 s36, 0
	s_mov_b32 s0, s26
	;; [unrolled: 1-line block ×4, first 2 shown]
	s_branch .LBB150_1554
.LBB150_1174:
	s_mov_b32 s34, -1
	s_mov_b32 s35, 0
	s_mov_b32 s33, s28
                                        ; implicit-def: $vgpr3
	s_branch .LBB150_1248
.LBB150_1175:
	s_mov_b32 s36, -1
	s_mov_b32 s35, 0
	s_mov_b32 s33, s28
                                        ; implicit-def: $vgpr3
	s_branch .LBB150_1212
.LBB150_1176:
	s_mov_b32 s36, -1
	s_mov_b32 s35, 0
	s_mov_b32 s33, s28
                                        ; implicit-def: $vgpr3
	s_branch .LBB150_1193
.LBB150_1177:
	s_mov_b32 s36, -1
	s_mov_b32 s35, 0
	s_mov_b32 s33, s28
                                        ; implicit-def: $vgpr3
	s_branch .LBB150_1188
.LBB150_1178:
	s_mov_b32 s36, -1
	s_mov_b32 s35, 0
	s_mov_b32 s33, s28
	s_branch .LBB150_1182
.LBB150_1179:
	s_and_not1_saveexec_b32 s34, s34
	s_cbranch_execz .LBB150_943
.LBB150_1180:
	v_add_f32_e64 v3, 0x46000000, |v2|
	s_and_not1_b32 s33, s33, exec_lo
	s_delay_alu instid0(VALU_DEP_1) | instskip(NEXT) | instid1(VALU_DEP_1)
	v_and_b32_e32 v3, 0xff, v3
	v_cmp_ne_u32_e32 vcc_lo, 0, v3
	s_and_b32 s35, vcc_lo, exec_lo
	s_delay_alu instid0(SALU_CYCLE_1)
	s_or_b32 s33, s33, s35
	s_or_b32 exec_lo, exec_lo, s34
	v_mov_b32_e32 v4, 0
	s_and_saveexec_b32 s34, s33
	s_cbranch_execnz .LBB150_944
	s_branch .LBB150_945
.LBB150_1181:
	s_mov_b32 s33, -1
	s_mov_b32 s35, 0
.LBB150_1182:
                                        ; implicit-def: $vgpr3
.LBB150_1183:
	s_and_b32 vcc_lo, exec_lo, s36
	s_cbranch_vccz .LBB150_1187
; %bb.1184:
	s_cmp_eq_u32 s34, 44
	s_cbranch_scc0 .LBB150_1186
; %bb.1185:
	s_wait_loadcnt 0x0
	global_load_u8 v3, v[0:1], off
	s_mov_b32 s33, 0
	s_mov_b32 s35, -1
	s_wait_loadcnt 0x0
	v_lshlrev_b32_e32 v4, 23, v3
	v_cmp_ne_u32_e32 vcc_lo, 0xff, v3
	s_delay_alu instid0(VALU_DEP_2) | instskip(SKIP_1) | instid1(VALU_DEP_2)
	v_cndmask_b32_e32 v4, 0x7f800001, v4, vcc_lo
	v_cmp_ne_u32_e32 vcc_lo, 0, v3
	v_cndmask_b32_e32 v3, 0x400000, v4, vcc_lo
	s_branch .LBB150_1187
.LBB150_1186:
	s_mov_b32 s33, -1
                                        ; implicit-def: $vgpr3
.LBB150_1187:
	s_mov_b32 s36, 0
.LBB150_1188:
	s_delay_alu instid0(SALU_CYCLE_1)
	s_and_b32 vcc_lo, exec_lo, s36
	s_cbranch_vccz .LBB150_1192
; %bb.1189:
	s_cmp_eq_u32 s34, 29
	s_cbranch_scc0 .LBB150_1191
; %bb.1190:
	s_wait_loadcnt 0x0
	global_load_b64 v[4:5], v[0:1], off
	s_mov_b32 s35, -1
	s_mov_b32 s33, 0
	s_mov_b32 s36, 0
	s_wait_loadcnt 0x0
	v_clz_i32_u32_e32 v3, v5
	s_delay_alu instid0(VALU_DEP_1) | instskip(NEXT) | instid1(VALU_DEP_1)
	v_min_u32_e32 v3, 32, v3
	v_lshlrev_b64_e32 v[4:5], v3, v[4:5]
	v_sub_nc_u32_e32 v3, 32, v3
	s_delay_alu instid0(VALU_DEP_2) | instskip(NEXT) | instid1(VALU_DEP_1)
	v_min_u32_e32 v4, 1, v4
	v_or_b32_e32 v4, v5, v4
	s_delay_alu instid0(VALU_DEP_1) | instskip(NEXT) | instid1(VALU_DEP_1)
	v_cvt_f32_u32_e32 v4, v4
	v_ldexp_f32 v3, v4, v3
	s_branch .LBB150_1193
.LBB150_1191:
	s_mov_b32 s33, -1
                                        ; implicit-def: $vgpr3
.LBB150_1192:
	s_mov_b32 s36, 0
.LBB150_1193:
	s_delay_alu instid0(SALU_CYCLE_1)
	s_and_b32 vcc_lo, exec_lo, s36
	s_cbranch_vccz .LBB150_1211
; %bb.1194:
	s_cmp_lt_i32 s34, 27
	s_cbranch_scc1 .LBB150_1197
; %bb.1195:
	s_cmp_gt_i32 s34, 27
	s_cbranch_scc0 .LBB150_1198
; %bb.1196:
	s_wait_loadcnt 0x0
	global_load_b32 v3, v[0:1], off
	s_mov_b32 s35, 0
	s_wait_loadcnt 0x0
	v_cvt_f32_u32_e32 v3, v3
	s_branch .LBB150_1199
.LBB150_1197:
	s_mov_b32 s35, -1
                                        ; implicit-def: $vgpr3
	s_branch .LBB150_1202
.LBB150_1198:
	s_mov_b32 s35, -1
                                        ; implicit-def: $vgpr3
.LBB150_1199:
	s_delay_alu instid0(SALU_CYCLE_1)
	s_and_not1_b32 vcc_lo, exec_lo, s35
	s_cbranch_vccnz .LBB150_1201
; %bb.1200:
	s_wait_loadcnt 0x0
	global_load_u16 v3, v[0:1], off
	s_wait_loadcnt 0x0
	v_cvt_f32_u32_e32 v3, v3
.LBB150_1201:
	s_mov_b32 s35, 0
.LBB150_1202:
	s_delay_alu instid0(SALU_CYCLE_1)
	s_and_not1_b32 vcc_lo, exec_lo, s35
	s_cbranch_vccnz .LBB150_1210
; %bb.1203:
	s_wait_loadcnt 0x0
	global_load_u8 v4, v[0:1], off
	s_mov_b32 s35, 0
	s_mov_b32 s36, exec_lo
	s_wait_loadcnt 0x0
	v_cmpx_lt_i16_e32 0x7f, v4
	s_xor_b32 s36, exec_lo, s36
	s_cbranch_execz .LBB150_1224
; %bb.1204:
	s_mov_b32 s35, -1
	s_mov_b32 s37, exec_lo
	v_cmpx_eq_u16_e32 0x80, v4
; %bb.1205:
	s_xor_b32 s35, exec_lo, -1
; %bb.1206:
	s_or_b32 exec_lo, exec_lo, s37
	s_delay_alu instid0(SALU_CYCLE_1)
	s_and_b32 s35, s35, exec_lo
	s_or_saveexec_b32 s36, s36
	v_mov_b32_e32 v3, 0x7f800001
	s_xor_b32 exec_lo, exec_lo, s36
	s_cbranch_execnz .LBB150_1225
.LBB150_1207:
	s_or_b32 exec_lo, exec_lo, s36
	s_and_saveexec_b32 s36, s35
	s_cbranch_execz .LBB150_1209
.LBB150_1208:
	v_and_b32_e32 v3, 0xffff, v4
	s_delay_alu instid0(VALU_DEP_1) | instskip(SKIP_1) | instid1(VALU_DEP_2)
	v_and_b32_e32 v5, 7, v3
	v_bfe_u32 v9, v3, 3, 4
	v_clz_i32_u32_e32 v6, v5
	s_delay_alu instid0(VALU_DEP_2) | instskip(NEXT) | instid1(VALU_DEP_2)
	v_cmp_eq_u32_e32 vcc_lo, 0, v9
	v_min_u32_e32 v6, 32, v6
	s_delay_alu instid0(VALU_DEP_1) | instskip(NEXT) | instid1(VALU_DEP_1)
	v_subrev_nc_u32_e32 v7, 28, v6
	v_dual_lshlrev_b32 v3, v7, v3 :: v_dual_sub_nc_u32 v6, 29, v6
	s_delay_alu instid0(VALU_DEP_1) | instskip(NEXT) | instid1(VALU_DEP_2)
	v_dual_lshlrev_b32 v4, 24, v4 :: v_dual_bitop2_b32 v3, 7, v3 bitop3:0x40
	v_cndmask_b32_e32 v6, v9, v6, vcc_lo
	s_delay_alu instid0(VALU_DEP_2) | instskip(NEXT) | instid1(VALU_DEP_3)
	v_cndmask_b32_e32 v3, v5, v3, vcc_lo
	v_and_b32_e32 v4, 0x80000000, v4
	s_delay_alu instid0(VALU_DEP_3) | instskip(NEXT) | instid1(VALU_DEP_3)
	v_lshl_add_u32 v5, v6, 23, 0x3b800000
	v_lshlrev_b32_e32 v3, 20, v3
	s_delay_alu instid0(VALU_DEP_1)
	v_or3_b32 v3, v4, v5, v3
.LBB150_1209:
	s_or_b32 exec_lo, exec_lo, s36
.LBB150_1210:
	s_mov_b32 s35, -1
.LBB150_1211:
	s_mov_b32 s36, 0
.LBB150_1212:
	s_delay_alu instid0(SALU_CYCLE_1)
	s_and_b32 vcc_lo, exec_lo, s36
	s_cbranch_vccz .LBB150_1247
; %bb.1213:
	s_cmp_gt_i32 s34, 22
	s_cbranch_scc0 .LBB150_1223
; %bb.1214:
	s_cmp_lt_i32 s34, 24
	s_cbranch_scc1 .LBB150_1226
; %bb.1215:
	s_cmp_gt_i32 s34, 24
	s_cbranch_scc0 .LBB150_1227
; %bb.1216:
	s_wait_loadcnt 0x0
	global_load_u8 v4, v[0:1], off
	s_mov_b32 s35, 0
	s_mov_b32 s36, exec_lo
	s_wait_loadcnt 0x0
	v_cmpx_lt_i16_e32 0x7f, v4
	s_xor_b32 s36, exec_lo, s36
	s_cbranch_execz .LBB150_1239
; %bb.1217:
	s_mov_b32 s35, -1
	s_mov_b32 s37, exec_lo
	v_cmpx_eq_u16_e32 0x80, v4
; %bb.1218:
	s_xor_b32 s35, exec_lo, -1
; %bb.1219:
	s_or_b32 exec_lo, exec_lo, s37
	s_delay_alu instid0(SALU_CYCLE_1)
	s_and_b32 s35, s35, exec_lo
	s_or_saveexec_b32 s36, s36
	v_mov_b32_e32 v3, 0x7f800001
	s_xor_b32 exec_lo, exec_lo, s36
	s_cbranch_execnz .LBB150_1240
.LBB150_1220:
	s_or_b32 exec_lo, exec_lo, s36
	s_and_saveexec_b32 s36, s35
	s_cbranch_execz .LBB150_1222
.LBB150_1221:
	v_and_b32_e32 v3, 0xffff, v4
	s_delay_alu instid0(VALU_DEP_1) | instskip(SKIP_1) | instid1(VALU_DEP_2)
	v_and_b32_e32 v5, 3, v3
	v_bfe_u32 v9, v3, 2, 5
	v_clz_i32_u32_e32 v6, v5
	s_delay_alu instid0(VALU_DEP_2) | instskip(NEXT) | instid1(VALU_DEP_2)
	v_cmp_eq_u32_e32 vcc_lo, 0, v9
	v_min_u32_e32 v6, 32, v6
	s_delay_alu instid0(VALU_DEP_1) | instskip(NEXT) | instid1(VALU_DEP_1)
	v_subrev_nc_u32_e32 v7, 29, v6
	v_dual_lshlrev_b32 v3, v7, v3 :: v_dual_sub_nc_u32 v6, 30, v6
	s_delay_alu instid0(VALU_DEP_1) | instskip(NEXT) | instid1(VALU_DEP_2)
	v_dual_lshlrev_b32 v4, 24, v4 :: v_dual_bitop2_b32 v3, 3, v3 bitop3:0x40
	v_cndmask_b32_e32 v6, v9, v6, vcc_lo
	s_delay_alu instid0(VALU_DEP_2) | instskip(NEXT) | instid1(VALU_DEP_3)
	v_cndmask_b32_e32 v3, v5, v3, vcc_lo
	v_and_b32_e32 v4, 0x80000000, v4
	s_delay_alu instid0(VALU_DEP_3) | instskip(NEXT) | instid1(VALU_DEP_3)
	v_lshl_add_u32 v5, v6, 23, 0x37800000
	v_lshlrev_b32_e32 v3, 21, v3
	s_delay_alu instid0(VALU_DEP_1)
	v_or3_b32 v3, v4, v5, v3
.LBB150_1222:
	s_or_b32 exec_lo, exec_lo, s36
	s_mov_b32 s35, 0
	s_branch .LBB150_1228
.LBB150_1223:
	s_mov_b32 s36, -1
                                        ; implicit-def: $vgpr3
	s_branch .LBB150_1234
.LBB150_1224:
	s_or_saveexec_b32 s36, s36
	v_mov_b32_e32 v3, 0x7f800001
	s_xor_b32 exec_lo, exec_lo, s36
	s_cbranch_execz .LBB150_1207
.LBB150_1225:
	v_cmp_ne_u16_e32 vcc_lo, 0, v4
	v_mov_b32_e32 v3, 0
	s_and_not1_b32 s35, s35, exec_lo
	s_and_b32 s37, vcc_lo, exec_lo
	s_delay_alu instid0(SALU_CYCLE_1)
	s_or_b32 s35, s35, s37
	s_or_b32 exec_lo, exec_lo, s36
	s_and_saveexec_b32 s36, s35
	s_cbranch_execnz .LBB150_1208
	s_branch .LBB150_1209
.LBB150_1226:
	s_mov_b32 s35, -1
                                        ; implicit-def: $vgpr3
	s_branch .LBB150_1231
.LBB150_1227:
	s_mov_b32 s35, -1
                                        ; implicit-def: $vgpr3
.LBB150_1228:
	s_delay_alu instid0(SALU_CYCLE_1)
	s_and_b32 vcc_lo, exec_lo, s35
	s_cbranch_vccz .LBB150_1230
; %bb.1229:
	s_wait_loadcnt 0x0
	global_load_u8 v3, v[0:1], off
	s_wait_loadcnt 0x0
	v_lshlrev_b32_e32 v3, 24, v3
	s_delay_alu instid0(VALU_DEP_1) | instskip(NEXT) | instid1(VALU_DEP_1)
	v_and_b32_e32 v4, 0x7f000000, v3
	v_clz_i32_u32_e32 v5, v4
	v_cmp_ne_u32_e32 vcc_lo, 0, v4
	v_add_nc_u32_e32 v7, 0x1000000, v4
	s_delay_alu instid0(VALU_DEP_3) | instskip(NEXT) | instid1(VALU_DEP_1)
	v_min_u32_e32 v5, 32, v5
	v_sub_nc_u32_e64 v5, v5, 4 clamp
	s_delay_alu instid0(VALU_DEP_1) | instskip(NEXT) | instid1(VALU_DEP_1)
	v_dual_lshlrev_b32 v6, v5, v4 :: v_dual_lshlrev_b32 v5, 23, v5
	v_lshrrev_b32_e32 v6, 4, v6
	s_delay_alu instid0(VALU_DEP_1) | instskip(NEXT) | instid1(VALU_DEP_1)
	v_dual_sub_nc_u32 v5, v6, v5 :: v_dual_ashrrev_i32 v6, 8, v7
	v_add_nc_u32_e32 v5, 0x3c000000, v5
	s_delay_alu instid0(VALU_DEP_1) | instskip(NEXT) | instid1(VALU_DEP_1)
	v_and_or_b32 v5, 0x7f800000, v6, v5
	v_cndmask_b32_e32 v4, 0, v5, vcc_lo
	s_delay_alu instid0(VALU_DEP_1)
	v_and_or_b32 v3, 0x80000000, v3, v4
.LBB150_1230:
	s_mov_b32 s35, 0
.LBB150_1231:
	s_delay_alu instid0(SALU_CYCLE_1)
	s_and_not1_b32 vcc_lo, exec_lo, s35
	s_cbranch_vccnz .LBB150_1233
; %bb.1232:
	s_wait_loadcnt 0x0
	global_load_u8 v3, v[0:1], off
	s_wait_loadcnt 0x0
	v_lshlrev_b32_e32 v4, 25, v3
	v_lshlrev_b16 v3, 8, v3
	s_delay_alu instid0(VALU_DEP_1) | instskip(SKIP_1) | instid1(VALU_DEP_2)
	v_and_or_b32 v6, 0x7f00, v3, 0.5
	v_bfe_i32 v3, v3, 0, 16
	v_dual_add_f32 v6, -0.5, v6 :: v_dual_lshrrev_b32 v5, 4, v4
	v_cmp_gt_u32_e32 vcc_lo, 0x8000000, v4
	s_delay_alu instid0(VALU_DEP_2) | instskip(NEXT) | instid1(VALU_DEP_1)
	v_or_b32_e32 v5, 0x70000000, v5
	v_mul_f32_e32 v5, 0x7800000, v5
	s_delay_alu instid0(VALU_DEP_1) | instskip(NEXT) | instid1(VALU_DEP_1)
	v_cndmask_b32_e32 v4, v5, v6, vcc_lo
	v_and_or_b32 v3, 0x80000000, v3, v4
.LBB150_1233:
	s_mov_b32 s36, 0
	s_mov_b32 s35, -1
.LBB150_1234:
	s_and_not1_b32 vcc_lo, exec_lo, s36
	s_cbranch_vccnz .LBB150_1247
; %bb.1235:
	s_cmp_gt_i32 s34, 14
	s_cbranch_scc0 .LBB150_1238
; %bb.1236:
	s_cmp_eq_u32 s34, 15
	s_cbranch_scc0 .LBB150_1241
; %bb.1237:
	s_wait_loadcnt 0x0
	global_load_u16 v3, v[0:1], off
	s_mov_b32 s35, -1
	s_mov_b32 s33, 0
	s_wait_loadcnt 0x0
	v_lshlrev_b32_e32 v3, 16, v3
	s_branch .LBB150_1242
.LBB150_1238:
	s_mov_b32 s36, -1
                                        ; implicit-def: $vgpr3
	s_branch .LBB150_1243
.LBB150_1239:
	s_or_saveexec_b32 s36, s36
	v_mov_b32_e32 v3, 0x7f800001
	s_xor_b32 exec_lo, exec_lo, s36
	s_cbranch_execz .LBB150_1220
.LBB150_1240:
	v_cmp_ne_u16_e32 vcc_lo, 0, v4
	v_mov_b32_e32 v3, 0
	s_and_not1_b32 s35, s35, exec_lo
	s_and_b32 s37, vcc_lo, exec_lo
	s_delay_alu instid0(SALU_CYCLE_1)
	s_or_b32 s35, s35, s37
	s_or_b32 exec_lo, exec_lo, s36
	s_and_saveexec_b32 s36, s35
	s_cbranch_execnz .LBB150_1221
	s_branch .LBB150_1222
.LBB150_1241:
	s_mov_b32 s33, -1
                                        ; implicit-def: $vgpr3
.LBB150_1242:
	s_mov_b32 s36, 0
.LBB150_1243:
	s_delay_alu instid0(SALU_CYCLE_1)
	s_and_b32 vcc_lo, exec_lo, s36
	s_cbranch_vccz .LBB150_1247
; %bb.1244:
	s_cmp_eq_u32 s34, 11
	s_cbranch_scc0 .LBB150_1246
; %bb.1245:
	s_wait_loadcnt 0x0
	global_load_u8 v3, v[0:1], off
	s_mov_b32 s33, 0
	s_mov_b32 s35, -1
	s_wait_loadcnt 0x0
	v_cmp_ne_u16_e32 vcc_lo, 0, v3
	v_cndmask_b32_e64 v3, 0, 1.0, vcc_lo
	s_branch .LBB150_1247
.LBB150_1246:
	s_mov_b32 s33, -1
                                        ; implicit-def: $vgpr3
.LBB150_1247:
	s_mov_b32 s34, 0
.LBB150_1248:
	s_delay_alu instid0(SALU_CYCLE_1)
	s_and_b32 vcc_lo, exec_lo, s34
	s_cbranch_vccz .LBB150_1297
; %bb.1249:
	s_and_b32 s0, 0xffff, s0
	s_delay_alu instid0(SALU_CYCLE_1)
	s_cmp_lt_i32 s0, 5
	s_cbranch_scc1 .LBB150_1254
; %bb.1250:
	s_cmp_lt_i32 s0, 8
	s_cbranch_scc1 .LBB150_1255
; %bb.1251:
	;; [unrolled: 3-line block ×3, first 2 shown]
	s_cmp_gt_i32 s0, 9
	s_cbranch_scc0 .LBB150_1257
; %bb.1253:
	s_wait_loadcnt 0x0
	global_load_b64 v[4:5], v[0:1], off
	s_mov_b32 s34, 0
	s_wait_loadcnt 0x0
	v_cvt_f32_f64_e32 v3, v[4:5]
	s_branch .LBB150_1258
.LBB150_1254:
	s_mov_b32 s34, -1
                                        ; implicit-def: $vgpr3
	s_branch .LBB150_1276
.LBB150_1255:
	s_mov_b32 s34, -1
                                        ; implicit-def: $vgpr3
	s_branch .LBB150_1264
.LBB150_1256:
	s_mov_b32 s34, -1
                                        ; implicit-def: $vgpr3
	s_branch .LBB150_1261
.LBB150_1257:
	s_mov_b32 s34, -1
                                        ; implicit-def: $vgpr3
.LBB150_1258:
	s_delay_alu instid0(SALU_CYCLE_1)
	s_and_not1_b32 vcc_lo, exec_lo, s34
	s_cbranch_vccnz .LBB150_1260
; %bb.1259:
	s_wait_loadcnt 0x0
	global_load_b32 v3, v[0:1], off
.LBB150_1260:
	s_mov_b32 s34, 0
.LBB150_1261:
	s_delay_alu instid0(SALU_CYCLE_1)
	s_and_not1_b32 vcc_lo, exec_lo, s34
	s_cbranch_vccnz .LBB150_1263
; %bb.1262:
	s_wait_loadcnt 0x0
	global_load_b32 v3, v[0:1], off
	s_wait_loadcnt 0x0
	v_cvt_f32_f16_e32 v3, v3
.LBB150_1263:
	s_mov_b32 s34, 0
.LBB150_1264:
	s_delay_alu instid0(SALU_CYCLE_1)
	s_and_not1_b32 vcc_lo, exec_lo, s34
	s_cbranch_vccnz .LBB150_1275
; %bb.1265:
	s_cmp_lt_i32 s0, 6
	s_cbranch_scc1 .LBB150_1268
; %bb.1266:
	s_cmp_gt_i32 s0, 6
	s_cbranch_scc0 .LBB150_1269
; %bb.1267:
	s_wait_loadcnt 0x0
	global_load_b64 v[4:5], v[0:1], off
	s_mov_b32 s34, 0
	s_wait_loadcnt 0x0
	v_cvt_f32_f64_e32 v3, v[4:5]
	s_branch .LBB150_1270
.LBB150_1268:
	s_mov_b32 s34, -1
                                        ; implicit-def: $vgpr3
	s_branch .LBB150_1273
.LBB150_1269:
	s_mov_b32 s34, -1
                                        ; implicit-def: $vgpr3
.LBB150_1270:
	s_delay_alu instid0(SALU_CYCLE_1)
	s_and_not1_b32 vcc_lo, exec_lo, s34
	s_cbranch_vccnz .LBB150_1272
; %bb.1271:
	s_wait_loadcnt 0x0
	global_load_b32 v3, v[0:1], off
.LBB150_1272:
	s_mov_b32 s34, 0
.LBB150_1273:
	s_delay_alu instid0(SALU_CYCLE_1)
	s_and_not1_b32 vcc_lo, exec_lo, s34
	s_cbranch_vccnz .LBB150_1275
; %bb.1274:
	s_wait_loadcnt 0x0
	global_load_u16 v3, v[0:1], off
	s_wait_loadcnt 0x0
	v_cvt_f32_f16_e32 v3, v3
.LBB150_1275:
	s_mov_b32 s34, 0
.LBB150_1276:
	s_delay_alu instid0(SALU_CYCLE_1)
	s_and_not1_b32 vcc_lo, exec_lo, s34
	s_cbranch_vccnz .LBB150_1296
; %bb.1277:
	s_cmp_lt_i32 s0, 2
	s_cbranch_scc1 .LBB150_1281
; %bb.1278:
	s_cmp_lt_i32 s0, 3
	s_cbranch_scc1 .LBB150_1282
; %bb.1279:
	s_cmp_gt_i32 s0, 3
	s_cbranch_scc0 .LBB150_1283
; %bb.1280:
	s_wait_loadcnt 0x0
	global_load_b64 v[4:5], v[0:1], off
	s_mov_b32 s34, 0
	s_wait_loadcnt 0x0
	v_xor_b32_e32 v3, v4, v5
	v_cls_i32_e32 v6, v5
	s_delay_alu instid0(VALU_DEP_2) | instskip(NEXT) | instid1(VALU_DEP_1)
	v_ashrrev_i32_e32 v3, 31, v3
	v_add_nc_u32_e32 v3, 32, v3
	s_delay_alu instid0(VALU_DEP_1) | instskip(NEXT) | instid1(VALU_DEP_1)
	v_add_min_u32_e64 v3, v6, -1, v3
	v_lshlrev_b64_e32 v[4:5], v3, v[4:5]
	v_sub_nc_u32_e32 v3, 32, v3
	s_delay_alu instid0(VALU_DEP_2) | instskip(NEXT) | instid1(VALU_DEP_1)
	v_min_u32_e32 v4, 1, v4
	v_or_b32_e32 v4, v5, v4
	s_delay_alu instid0(VALU_DEP_1) | instskip(NEXT) | instid1(VALU_DEP_1)
	v_cvt_f32_i32_e32 v4, v4
	v_ldexp_f32 v3, v4, v3
	s_branch .LBB150_1284
.LBB150_1281:
	s_mov_b32 s34, -1
                                        ; implicit-def: $vgpr3
	s_branch .LBB150_1290
.LBB150_1282:
	s_mov_b32 s34, -1
                                        ; implicit-def: $vgpr3
	s_branch .LBB150_1287
.LBB150_1283:
	s_mov_b32 s34, -1
                                        ; implicit-def: $vgpr3
.LBB150_1284:
	s_delay_alu instid0(SALU_CYCLE_1)
	s_and_not1_b32 vcc_lo, exec_lo, s34
	s_cbranch_vccnz .LBB150_1286
; %bb.1285:
	s_wait_loadcnt 0x0
	global_load_b32 v3, v[0:1], off
	s_wait_loadcnt 0x0
	v_cvt_f32_i32_e32 v3, v3
.LBB150_1286:
	s_mov_b32 s34, 0
.LBB150_1287:
	s_delay_alu instid0(SALU_CYCLE_1)
	s_and_not1_b32 vcc_lo, exec_lo, s34
	s_cbranch_vccnz .LBB150_1289
; %bb.1288:
	s_wait_loadcnt 0x0
	global_load_i16 v3, v[0:1], off
	s_wait_loadcnt 0x0
	v_cvt_f32_i32_e32 v3, v3
.LBB150_1289:
	s_mov_b32 s34, 0
.LBB150_1290:
	s_delay_alu instid0(SALU_CYCLE_1)
	s_and_not1_b32 vcc_lo, exec_lo, s34
	s_cbranch_vccnz .LBB150_1296
; %bb.1291:
	s_cmp_gt_i32 s0, 0
	s_mov_b32 s0, 0
	s_cbranch_scc0 .LBB150_1293
; %bb.1292:
	s_wait_loadcnt 0x0
	global_load_i8 v3, v[0:1], off
	s_wait_loadcnt 0x0
	v_cvt_f32_i32_e32 v3, v3
	s_branch .LBB150_1294
.LBB150_1293:
	s_mov_b32 s0, -1
                                        ; implicit-def: $vgpr3
.LBB150_1294:
	s_delay_alu instid0(SALU_CYCLE_1)
	s_and_not1_b32 vcc_lo, exec_lo, s0
	s_cbranch_vccnz .LBB150_1296
; %bb.1295:
	global_load_u8 v0, v[0:1], off
	s_wait_loadcnt 0x0
	v_cvt_f32_ubyte0_e32 v3, v0
.LBB150_1296:
	s_mov_b32 s35, -1
.LBB150_1297:
	s_delay_alu instid0(SALU_CYCLE_1)
	s_and_not1_b32 vcc_lo, exec_lo, s35
	s_cbranch_vccnz .LBB150_1305
; %bb.1298:
	s_wait_xcnt 0x0
	v_mul_lo_u32 v0, v8, s15
	s_and_b32 s0, 0xffff, s1
	s_delay_alu instid0(SALU_CYCLE_1) | instskip(NEXT) | instid1(VALU_DEP_1)
	s_cmp_lt_i32 s0, 11
	v_ashrrev_i32_e32 v1, 31, v0
	s_delay_alu instid0(VALU_DEP_1)
	v_add_nc_u64_e32 v[0:1], s[10:11], v[0:1]
	s_cbranch_scc1 .LBB150_1306
; %bb.1299:
	s_cmp_gt_i32 s0, 25
	s_cbranch_scc0 .LBB150_1307
; %bb.1300:
	s_cmp_gt_i32 s0, 28
	s_cbranch_scc0 .LBB150_1308
	;; [unrolled: 3-line block ×4, first 2 shown]
; %bb.1303:
	s_cmp_eq_u32 s0, 46
	s_mov_b32 s36, 0
	s_cbranch_scc0 .LBB150_1313
; %bb.1304:
	s_wait_loadcnt 0x0
	global_load_b32 v4, v[0:1], off
	s_mov_b32 s35, -1
	s_mov_b32 s34, 0
	s_wait_loadcnt 0x0
	v_lshlrev_b32_e32 v4, 16, v4
	s_branch .LBB150_1315
.LBB150_1305:
	s_mov_b32 s36, 0
	s_mov_b32 s0, s26
	;; [unrolled: 1-line block ×3, first 2 shown]
	s_branch .LBB150_1554
.LBB150_1306:
	s_mov_b32 s36, -1
	s_mov_b32 s35, 0
	s_mov_b32 s34, s27
                                        ; implicit-def: $vgpr4
	s_branch .LBB150_1380
.LBB150_1307:
	s_mov_b32 s36, -1
	s_mov_b32 s35, 0
	s_mov_b32 s34, s27
                                        ; implicit-def: $vgpr4
	s_branch .LBB150_1344
.LBB150_1308:
	s_mov_b32 s36, -1
	s_mov_b32 s35, 0
	s_mov_b32 s34, s27
                                        ; implicit-def: $vgpr4
	s_branch .LBB150_1325
.LBB150_1309:
	s_mov_b32 s36, -1
	s_mov_b32 s35, 0
	s_mov_b32 s34, s27
                                        ; implicit-def: $vgpr4
	s_branch .LBB150_1320
.LBB150_1310:
	s_mov_b32 s36, -1
	s_mov_b32 s35, 0
	s_mov_b32 s34, s27
	s_branch .LBB150_1314
.LBB150_1311:
	s_and_not1_saveexec_b32 s34, s34
	s_cbranch_execz .LBB150_956
.LBB150_1312:
	v_add_f32_e64 v3, 0x42800000, |v2|
	s_and_not1_b32 s33, s33, exec_lo
	s_delay_alu instid0(VALU_DEP_1) | instskip(NEXT) | instid1(VALU_DEP_1)
	v_and_b32_e32 v3, 0xff, v3
	v_cmp_ne_u32_e32 vcc_lo, 0, v3
	s_and_b32 s35, vcc_lo, exec_lo
	s_delay_alu instid0(SALU_CYCLE_1)
	s_or_b32 s33, s33, s35
	s_or_b32 exec_lo, exec_lo, s34
	v_mov_b32_e32 v4, 0
	s_and_saveexec_b32 s34, s33
	s_cbranch_execnz .LBB150_957
	s_branch .LBB150_958
.LBB150_1313:
	s_mov_b32 s34, -1
	s_mov_b32 s35, 0
.LBB150_1314:
                                        ; implicit-def: $vgpr4
.LBB150_1315:
	s_and_b32 vcc_lo, exec_lo, s36
	s_cbranch_vccz .LBB150_1319
; %bb.1316:
	s_cmp_eq_u32 s0, 44
	s_cbranch_scc0 .LBB150_1318
; %bb.1317:
	s_wait_loadcnt 0x0
	global_load_u8 v4, v[0:1], off
	s_mov_b32 s34, 0
	s_mov_b32 s35, -1
	s_wait_loadcnt 0x0
	v_lshlrev_b32_e32 v5, 23, v4
	v_cmp_ne_u32_e32 vcc_lo, 0xff, v4
	s_delay_alu instid0(VALU_DEP_2) | instskip(SKIP_1) | instid1(VALU_DEP_2)
	v_cndmask_b32_e32 v5, 0x7f800001, v5, vcc_lo
	v_cmp_ne_u32_e32 vcc_lo, 0, v4
	v_cndmask_b32_e32 v4, 0x400000, v5, vcc_lo
	s_branch .LBB150_1319
.LBB150_1318:
	s_mov_b32 s34, -1
                                        ; implicit-def: $vgpr4
.LBB150_1319:
	s_mov_b32 s36, 0
.LBB150_1320:
	s_delay_alu instid0(SALU_CYCLE_1)
	s_and_b32 vcc_lo, exec_lo, s36
	s_cbranch_vccz .LBB150_1324
; %bb.1321:
	s_cmp_eq_u32 s0, 29
	s_cbranch_scc0 .LBB150_1323
; %bb.1322:
	s_wait_loadcnt 0x0
	global_load_b64 v[4:5], v[0:1], off
	s_mov_b32 s35, -1
	s_mov_b32 s34, 0
	s_mov_b32 s36, 0
	s_wait_loadcnt 0x0
	v_clz_i32_u32_e32 v6, v5
	s_delay_alu instid0(VALU_DEP_1) | instskip(NEXT) | instid1(VALU_DEP_1)
	v_min_u32_e32 v6, 32, v6
	v_lshlrev_b64_e32 v[4:5], v6, v[4:5]
	s_delay_alu instid0(VALU_DEP_1) | instskip(NEXT) | instid1(VALU_DEP_1)
	v_min_u32_e32 v4, 1, v4
	v_dual_sub_nc_u32 v5, 32, v6 :: v_dual_bitop2_b32 v4, v5, v4 bitop3:0x54
	s_delay_alu instid0(VALU_DEP_1) | instskip(NEXT) | instid1(VALU_DEP_1)
	v_cvt_f32_u32_e32 v4, v4
	v_ldexp_f32 v4, v4, v5
	s_branch .LBB150_1325
.LBB150_1323:
	s_mov_b32 s34, -1
                                        ; implicit-def: $vgpr4
.LBB150_1324:
	s_mov_b32 s36, 0
.LBB150_1325:
	s_delay_alu instid0(SALU_CYCLE_1)
	s_and_b32 vcc_lo, exec_lo, s36
	s_cbranch_vccz .LBB150_1343
; %bb.1326:
	s_cmp_lt_i32 s0, 27
	s_cbranch_scc1 .LBB150_1329
; %bb.1327:
	s_cmp_gt_i32 s0, 27
	s_cbranch_scc0 .LBB150_1330
; %bb.1328:
	s_wait_loadcnt 0x0
	global_load_b32 v4, v[0:1], off
	s_mov_b32 s35, 0
	s_wait_loadcnt 0x0
	v_cvt_f32_u32_e32 v4, v4
	s_branch .LBB150_1331
.LBB150_1329:
	s_mov_b32 s35, -1
                                        ; implicit-def: $vgpr4
	s_branch .LBB150_1334
.LBB150_1330:
	s_mov_b32 s35, -1
                                        ; implicit-def: $vgpr4
.LBB150_1331:
	s_delay_alu instid0(SALU_CYCLE_1)
	s_and_not1_b32 vcc_lo, exec_lo, s35
	s_cbranch_vccnz .LBB150_1333
; %bb.1332:
	s_wait_loadcnt 0x0
	global_load_u16 v4, v[0:1], off
	s_wait_loadcnt 0x0
	v_cvt_f32_u32_e32 v4, v4
.LBB150_1333:
	s_mov_b32 s35, 0
.LBB150_1334:
	s_delay_alu instid0(SALU_CYCLE_1)
	s_and_not1_b32 vcc_lo, exec_lo, s35
	s_cbranch_vccnz .LBB150_1342
; %bb.1335:
	global_load_u8 v5, v[0:1], off
	s_mov_b32 s35, 0
	s_mov_b32 s36, exec_lo
	s_wait_loadcnt 0x0
	v_cmpx_lt_i16_e32 0x7f, v5
	s_xor_b32 s36, exec_lo, s36
	s_cbranch_execz .LBB150_1356
; %bb.1336:
	s_mov_b32 s35, -1
	s_mov_b32 s37, exec_lo
	v_cmpx_eq_u16_e32 0x80, v5
; %bb.1337:
	s_xor_b32 s35, exec_lo, -1
; %bb.1338:
	s_or_b32 exec_lo, exec_lo, s37
	s_delay_alu instid0(SALU_CYCLE_1)
	s_and_b32 s35, s35, exec_lo
	s_or_saveexec_b32 s36, s36
	v_mov_b32_e32 v4, 0x7f800001
	s_xor_b32 exec_lo, exec_lo, s36
	s_cbranch_execnz .LBB150_1357
.LBB150_1339:
	s_or_b32 exec_lo, exec_lo, s36
	s_and_saveexec_b32 s36, s35
	s_cbranch_execz .LBB150_1341
.LBB150_1340:
	v_and_b32_e32 v4, 0xffff, v5
	s_delay_alu instid0(VALU_DEP_1) | instskip(SKIP_1) | instid1(VALU_DEP_2)
	v_and_b32_e32 v6, 7, v4
	v_bfe_u32 v10, v4, 3, 4
	v_clz_i32_u32_e32 v7, v6
	s_delay_alu instid0(VALU_DEP_2) | instskip(NEXT) | instid1(VALU_DEP_2)
	v_cmp_eq_u32_e32 vcc_lo, 0, v10
	v_min_u32_e32 v7, 32, v7
	s_delay_alu instid0(VALU_DEP_1) | instskip(NEXT) | instid1(VALU_DEP_1)
	v_subrev_nc_u32_e32 v9, 28, v7
	v_dual_lshlrev_b32 v4, v9, v4 :: v_dual_sub_nc_u32 v7, 29, v7
	s_delay_alu instid0(VALU_DEP_1) | instskip(NEXT) | instid1(VALU_DEP_2)
	v_dual_lshlrev_b32 v5, 24, v5 :: v_dual_bitop2_b32 v4, 7, v4 bitop3:0x40
	v_cndmask_b32_e32 v7, v10, v7, vcc_lo
	s_delay_alu instid0(VALU_DEP_2) | instskip(NEXT) | instid1(VALU_DEP_3)
	v_cndmask_b32_e32 v4, v6, v4, vcc_lo
	v_and_b32_e32 v5, 0x80000000, v5
	s_delay_alu instid0(VALU_DEP_3) | instskip(NEXT) | instid1(VALU_DEP_3)
	v_lshl_add_u32 v6, v7, 23, 0x3b800000
	v_lshlrev_b32_e32 v4, 20, v4
	s_delay_alu instid0(VALU_DEP_1)
	v_or3_b32 v4, v5, v6, v4
.LBB150_1341:
	s_or_b32 exec_lo, exec_lo, s36
.LBB150_1342:
	s_mov_b32 s35, -1
.LBB150_1343:
	s_mov_b32 s36, 0
.LBB150_1344:
	s_delay_alu instid0(SALU_CYCLE_1)
	s_and_b32 vcc_lo, exec_lo, s36
	s_cbranch_vccz .LBB150_1379
; %bb.1345:
	s_cmp_gt_i32 s0, 22
	s_cbranch_scc0 .LBB150_1355
; %bb.1346:
	s_cmp_lt_i32 s0, 24
	s_cbranch_scc1 .LBB150_1358
; %bb.1347:
	s_cmp_gt_i32 s0, 24
	s_cbranch_scc0 .LBB150_1359
; %bb.1348:
	global_load_u8 v5, v[0:1], off
	s_mov_b32 s35, 0
	s_mov_b32 s36, exec_lo
	s_wait_loadcnt 0x0
	v_cmpx_lt_i16_e32 0x7f, v5
	s_xor_b32 s36, exec_lo, s36
	s_cbranch_execz .LBB150_1371
; %bb.1349:
	s_mov_b32 s35, -1
	s_mov_b32 s37, exec_lo
	v_cmpx_eq_u16_e32 0x80, v5
; %bb.1350:
	s_xor_b32 s35, exec_lo, -1
; %bb.1351:
	s_or_b32 exec_lo, exec_lo, s37
	s_delay_alu instid0(SALU_CYCLE_1)
	s_and_b32 s35, s35, exec_lo
	s_or_saveexec_b32 s36, s36
	v_mov_b32_e32 v4, 0x7f800001
	s_xor_b32 exec_lo, exec_lo, s36
	s_cbranch_execnz .LBB150_1372
.LBB150_1352:
	s_or_b32 exec_lo, exec_lo, s36
	s_and_saveexec_b32 s36, s35
	s_cbranch_execz .LBB150_1354
.LBB150_1353:
	v_and_b32_e32 v4, 0xffff, v5
	s_delay_alu instid0(VALU_DEP_1) | instskip(SKIP_1) | instid1(VALU_DEP_2)
	v_and_b32_e32 v6, 3, v4
	v_bfe_u32 v10, v4, 2, 5
	v_clz_i32_u32_e32 v7, v6
	s_delay_alu instid0(VALU_DEP_2) | instskip(NEXT) | instid1(VALU_DEP_2)
	v_cmp_eq_u32_e32 vcc_lo, 0, v10
	v_min_u32_e32 v7, 32, v7
	s_delay_alu instid0(VALU_DEP_1) | instskip(NEXT) | instid1(VALU_DEP_1)
	v_subrev_nc_u32_e32 v9, 29, v7
	v_dual_lshlrev_b32 v4, v9, v4 :: v_dual_sub_nc_u32 v7, 30, v7
	s_delay_alu instid0(VALU_DEP_1) | instskip(NEXT) | instid1(VALU_DEP_2)
	v_dual_lshlrev_b32 v5, 24, v5 :: v_dual_bitop2_b32 v4, 3, v4 bitop3:0x40
	v_cndmask_b32_e32 v7, v10, v7, vcc_lo
	s_delay_alu instid0(VALU_DEP_2) | instskip(NEXT) | instid1(VALU_DEP_3)
	v_cndmask_b32_e32 v4, v6, v4, vcc_lo
	v_and_b32_e32 v5, 0x80000000, v5
	s_delay_alu instid0(VALU_DEP_3) | instskip(NEXT) | instid1(VALU_DEP_3)
	v_lshl_add_u32 v6, v7, 23, 0x37800000
	v_lshlrev_b32_e32 v4, 21, v4
	s_delay_alu instid0(VALU_DEP_1)
	v_or3_b32 v4, v5, v6, v4
.LBB150_1354:
	s_or_b32 exec_lo, exec_lo, s36
	s_mov_b32 s35, 0
	s_branch .LBB150_1360
.LBB150_1355:
	s_mov_b32 s36, -1
                                        ; implicit-def: $vgpr4
	s_branch .LBB150_1366
.LBB150_1356:
	s_or_saveexec_b32 s36, s36
	v_mov_b32_e32 v4, 0x7f800001
	s_xor_b32 exec_lo, exec_lo, s36
	s_cbranch_execz .LBB150_1339
.LBB150_1357:
	v_cmp_ne_u16_e32 vcc_lo, 0, v5
	v_mov_b32_e32 v4, 0
	s_and_not1_b32 s35, s35, exec_lo
	s_and_b32 s37, vcc_lo, exec_lo
	s_delay_alu instid0(SALU_CYCLE_1)
	s_or_b32 s35, s35, s37
	s_or_b32 exec_lo, exec_lo, s36
	s_and_saveexec_b32 s36, s35
	s_cbranch_execnz .LBB150_1340
	s_branch .LBB150_1341
.LBB150_1358:
	s_mov_b32 s35, -1
                                        ; implicit-def: $vgpr4
	s_branch .LBB150_1363
.LBB150_1359:
	s_mov_b32 s35, -1
                                        ; implicit-def: $vgpr4
.LBB150_1360:
	s_delay_alu instid0(SALU_CYCLE_1)
	s_and_b32 vcc_lo, exec_lo, s35
	s_cbranch_vccz .LBB150_1362
; %bb.1361:
	s_wait_loadcnt 0x0
	global_load_u8 v4, v[0:1], off
	s_wait_loadcnt 0x0
	v_lshlrev_b32_e32 v4, 24, v4
	s_delay_alu instid0(VALU_DEP_1) | instskip(NEXT) | instid1(VALU_DEP_1)
	v_and_b32_e32 v5, 0x7f000000, v4
	v_clz_i32_u32_e32 v6, v5
	v_add_nc_u32_e32 v9, 0x1000000, v5
	v_cmp_ne_u32_e32 vcc_lo, 0, v5
	s_delay_alu instid0(VALU_DEP_3) | instskip(NEXT) | instid1(VALU_DEP_1)
	v_min_u32_e32 v6, 32, v6
	v_sub_nc_u32_e64 v6, v6, 4 clamp
	s_delay_alu instid0(VALU_DEP_1) | instskip(NEXT) | instid1(VALU_DEP_1)
	v_dual_lshlrev_b32 v7, v6, v5 :: v_dual_lshlrev_b32 v6, 23, v6
	v_lshrrev_b32_e32 v7, 4, v7
	s_delay_alu instid0(VALU_DEP_1) | instskip(NEXT) | instid1(VALU_DEP_1)
	v_dual_sub_nc_u32 v6, v7, v6 :: v_dual_ashrrev_i32 v7, 8, v9
	v_add_nc_u32_e32 v6, 0x3c000000, v6
	s_delay_alu instid0(VALU_DEP_1) | instskip(NEXT) | instid1(VALU_DEP_1)
	v_and_or_b32 v6, 0x7f800000, v7, v6
	v_cndmask_b32_e32 v5, 0, v6, vcc_lo
	s_delay_alu instid0(VALU_DEP_1)
	v_and_or_b32 v4, 0x80000000, v4, v5
.LBB150_1362:
	s_mov_b32 s35, 0
.LBB150_1363:
	s_delay_alu instid0(SALU_CYCLE_1)
	s_and_not1_b32 vcc_lo, exec_lo, s35
	s_cbranch_vccnz .LBB150_1365
; %bb.1364:
	s_wait_loadcnt 0x0
	global_load_u8 v4, v[0:1], off
	s_wait_loadcnt 0x0
	v_lshlrev_b32_e32 v5, 25, v4
	v_lshlrev_b16 v4, 8, v4
	s_delay_alu instid0(VALU_DEP_1) | instskip(SKIP_1) | instid1(VALU_DEP_2)
	v_and_or_b32 v7, 0x7f00, v4, 0.5
	v_bfe_i32 v4, v4, 0, 16
	v_dual_add_f32 v7, -0.5, v7 :: v_dual_lshrrev_b32 v6, 4, v5
	v_cmp_gt_u32_e32 vcc_lo, 0x8000000, v5
	s_delay_alu instid0(VALU_DEP_2) | instskip(NEXT) | instid1(VALU_DEP_1)
	v_or_b32_e32 v6, 0x70000000, v6
	v_mul_f32_e32 v6, 0x7800000, v6
	s_delay_alu instid0(VALU_DEP_1) | instskip(NEXT) | instid1(VALU_DEP_1)
	v_cndmask_b32_e32 v5, v6, v7, vcc_lo
	v_and_or_b32 v4, 0x80000000, v4, v5
.LBB150_1365:
	s_mov_b32 s36, 0
	s_mov_b32 s35, -1
.LBB150_1366:
	s_and_not1_b32 vcc_lo, exec_lo, s36
	s_cbranch_vccnz .LBB150_1379
; %bb.1367:
	s_cmp_gt_i32 s0, 14
	s_cbranch_scc0 .LBB150_1370
; %bb.1368:
	s_cmp_eq_u32 s0, 15
	s_cbranch_scc0 .LBB150_1373
; %bb.1369:
	s_wait_loadcnt 0x0
	global_load_u16 v4, v[0:1], off
	s_mov_b32 s35, -1
	s_mov_b32 s34, 0
	s_wait_loadcnt 0x0
	v_lshlrev_b32_e32 v4, 16, v4
	s_branch .LBB150_1374
.LBB150_1370:
	s_mov_b32 s36, -1
                                        ; implicit-def: $vgpr4
	s_branch .LBB150_1375
.LBB150_1371:
	s_or_saveexec_b32 s36, s36
	v_mov_b32_e32 v4, 0x7f800001
	s_xor_b32 exec_lo, exec_lo, s36
	s_cbranch_execz .LBB150_1352
.LBB150_1372:
	v_cmp_ne_u16_e32 vcc_lo, 0, v5
	v_mov_b32_e32 v4, 0
	s_and_not1_b32 s35, s35, exec_lo
	s_and_b32 s37, vcc_lo, exec_lo
	s_delay_alu instid0(SALU_CYCLE_1)
	s_or_b32 s35, s35, s37
	s_or_b32 exec_lo, exec_lo, s36
	s_and_saveexec_b32 s36, s35
	s_cbranch_execnz .LBB150_1353
	s_branch .LBB150_1354
.LBB150_1373:
	s_mov_b32 s34, -1
                                        ; implicit-def: $vgpr4
.LBB150_1374:
	s_mov_b32 s36, 0
.LBB150_1375:
	s_delay_alu instid0(SALU_CYCLE_1)
	s_and_b32 vcc_lo, exec_lo, s36
	s_cbranch_vccz .LBB150_1379
; %bb.1376:
	s_cmp_eq_u32 s0, 11
	s_cbranch_scc0 .LBB150_1378
; %bb.1377:
	s_wait_loadcnt 0x0
	global_load_u8 v4, v[0:1], off
	s_mov_b32 s34, 0
	s_mov_b32 s35, -1
	s_wait_loadcnt 0x0
	v_cmp_ne_u16_e32 vcc_lo, 0, v4
	v_cndmask_b32_e64 v4, 0, 1.0, vcc_lo
	s_branch .LBB150_1379
.LBB150_1378:
	s_mov_b32 s34, -1
                                        ; implicit-def: $vgpr4
.LBB150_1379:
	s_mov_b32 s36, 0
.LBB150_1380:
	s_delay_alu instid0(SALU_CYCLE_1)
	s_and_b32 vcc_lo, exec_lo, s36
	s_cbranch_vccz .LBB150_1429
; %bb.1381:
	s_cmp_lt_i32 s0, 5
	s_cbranch_scc1 .LBB150_1386
; %bb.1382:
	s_cmp_lt_i32 s0, 8
	s_cbranch_scc1 .LBB150_1387
	;; [unrolled: 3-line block ×3, first 2 shown]
; %bb.1384:
	s_cmp_gt_i32 s0, 9
	s_cbranch_scc0 .LBB150_1389
; %bb.1385:
	s_wait_loadcnt 0x0
	global_load_b64 v[4:5], v[0:1], off
	s_mov_b32 s35, 0
	s_wait_loadcnt 0x0
	v_cvt_f32_f64_e32 v4, v[4:5]
	s_branch .LBB150_1390
.LBB150_1386:
	s_mov_b32 s35, -1
                                        ; implicit-def: $vgpr4
	s_branch .LBB150_1408
.LBB150_1387:
	s_mov_b32 s35, -1
                                        ; implicit-def: $vgpr4
	s_branch .LBB150_1396
.LBB150_1388:
	s_mov_b32 s35, -1
                                        ; implicit-def: $vgpr4
	s_branch .LBB150_1393
.LBB150_1389:
	s_mov_b32 s35, -1
                                        ; implicit-def: $vgpr4
.LBB150_1390:
	s_delay_alu instid0(SALU_CYCLE_1)
	s_and_not1_b32 vcc_lo, exec_lo, s35
	s_cbranch_vccnz .LBB150_1392
; %bb.1391:
	s_wait_loadcnt 0x0
	global_load_b32 v4, v[0:1], off
.LBB150_1392:
	s_mov_b32 s35, 0
.LBB150_1393:
	s_delay_alu instid0(SALU_CYCLE_1)
	s_and_not1_b32 vcc_lo, exec_lo, s35
	s_cbranch_vccnz .LBB150_1395
; %bb.1394:
	s_wait_loadcnt 0x0
	global_load_b32 v4, v[0:1], off
	s_wait_loadcnt 0x0
	v_cvt_f32_f16_e32 v4, v4
.LBB150_1395:
	s_mov_b32 s35, 0
.LBB150_1396:
	s_delay_alu instid0(SALU_CYCLE_1)
	s_and_not1_b32 vcc_lo, exec_lo, s35
	s_cbranch_vccnz .LBB150_1407
; %bb.1397:
	s_cmp_lt_i32 s0, 6
	s_cbranch_scc1 .LBB150_1400
; %bb.1398:
	s_cmp_gt_i32 s0, 6
	s_cbranch_scc0 .LBB150_1401
; %bb.1399:
	s_wait_loadcnt 0x0
	global_load_b64 v[4:5], v[0:1], off
	s_mov_b32 s35, 0
	s_wait_loadcnt 0x0
	v_cvt_f32_f64_e32 v4, v[4:5]
	s_branch .LBB150_1402
.LBB150_1400:
	s_mov_b32 s35, -1
                                        ; implicit-def: $vgpr4
	s_branch .LBB150_1405
.LBB150_1401:
	s_mov_b32 s35, -1
                                        ; implicit-def: $vgpr4
.LBB150_1402:
	s_delay_alu instid0(SALU_CYCLE_1)
	s_and_not1_b32 vcc_lo, exec_lo, s35
	s_cbranch_vccnz .LBB150_1404
; %bb.1403:
	s_wait_loadcnt 0x0
	global_load_b32 v4, v[0:1], off
.LBB150_1404:
	s_mov_b32 s35, 0
.LBB150_1405:
	s_delay_alu instid0(SALU_CYCLE_1)
	s_and_not1_b32 vcc_lo, exec_lo, s35
	s_cbranch_vccnz .LBB150_1407
; %bb.1406:
	s_wait_loadcnt 0x0
	global_load_u16 v4, v[0:1], off
	s_wait_loadcnt 0x0
	v_cvt_f32_f16_e32 v4, v4
.LBB150_1407:
	s_mov_b32 s35, 0
.LBB150_1408:
	s_delay_alu instid0(SALU_CYCLE_1)
	s_and_not1_b32 vcc_lo, exec_lo, s35
	s_cbranch_vccnz .LBB150_1428
; %bb.1409:
	s_cmp_lt_i32 s0, 2
	s_cbranch_scc1 .LBB150_1413
; %bb.1410:
	s_cmp_lt_i32 s0, 3
	s_cbranch_scc1 .LBB150_1414
; %bb.1411:
	s_cmp_gt_i32 s0, 3
	s_cbranch_scc0 .LBB150_1415
; %bb.1412:
	s_wait_loadcnt 0x0
	global_load_b64 v[4:5], v[0:1], off
	s_mov_b32 s35, 0
	s_wait_loadcnt 0x0
	v_xor_b32_e32 v6, v4, v5
	v_cls_i32_e32 v7, v5
	s_delay_alu instid0(VALU_DEP_2) | instskip(NEXT) | instid1(VALU_DEP_1)
	v_ashrrev_i32_e32 v6, 31, v6
	v_add_nc_u32_e32 v6, 32, v6
	s_delay_alu instid0(VALU_DEP_1) | instskip(NEXT) | instid1(VALU_DEP_1)
	v_add_min_u32_e64 v6, v7, -1, v6
	v_lshlrev_b64_e32 v[4:5], v6, v[4:5]
	s_delay_alu instid0(VALU_DEP_1) | instskip(NEXT) | instid1(VALU_DEP_1)
	v_min_u32_e32 v4, 1, v4
	v_dual_sub_nc_u32 v5, 32, v6 :: v_dual_bitop2_b32 v4, v5, v4 bitop3:0x54
	s_delay_alu instid0(VALU_DEP_1) | instskip(NEXT) | instid1(VALU_DEP_1)
	v_cvt_f32_i32_e32 v4, v4
	v_ldexp_f32 v4, v4, v5
	s_branch .LBB150_1416
.LBB150_1413:
	s_mov_b32 s35, -1
                                        ; implicit-def: $vgpr4
	s_branch .LBB150_1422
.LBB150_1414:
	s_mov_b32 s35, -1
                                        ; implicit-def: $vgpr4
	s_branch .LBB150_1419
.LBB150_1415:
	s_mov_b32 s35, -1
                                        ; implicit-def: $vgpr4
.LBB150_1416:
	s_delay_alu instid0(SALU_CYCLE_1)
	s_and_not1_b32 vcc_lo, exec_lo, s35
	s_cbranch_vccnz .LBB150_1418
; %bb.1417:
	s_wait_loadcnt 0x0
	global_load_b32 v4, v[0:1], off
	s_wait_loadcnt 0x0
	v_cvt_f32_i32_e32 v4, v4
.LBB150_1418:
	s_mov_b32 s35, 0
.LBB150_1419:
	s_delay_alu instid0(SALU_CYCLE_1)
	s_and_not1_b32 vcc_lo, exec_lo, s35
	s_cbranch_vccnz .LBB150_1421
; %bb.1420:
	s_wait_loadcnt 0x0
	global_load_i16 v4, v[0:1], off
	s_wait_loadcnt 0x0
	v_cvt_f32_i32_e32 v4, v4
.LBB150_1421:
	s_mov_b32 s35, 0
.LBB150_1422:
	s_delay_alu instid0(SALU_CYCLE_1)
	s_and_not1_b32 vcc_lo, exec_lo, s35
	s_cbranch_vccnz .LBB150_1428
; %bb.1423:
	s_cmp_gt_i32 s0, 0
	s_mov_b32 s0, 0
	s_cbranch_scc0 .LBB150_1425
; %bb.1424:
	s_wait_loadcnt 0x0
	global_load_i8 v4, v[0:1], off
	s_wait_loadcnt 0x0
	v_cvt_f32_i32_e32 v4, v4
	s_branch .LBB150_1426
.LBB150_1425:
	s_mov_b32 s0, -1
                                        ; implicit-def: $vgpr4
.LBB150_1426:
	s_delay_alu instid0(SALU_CYCLE_1)
	s_and_not1_b32 vcc_lo, exec_lo, s0
	s_cbranch_vccnz .LBB150_1428
; %bb.1427:
	global_load_u8 v0, v[0:1], off
	s_wait_loadcnt 0x0
	v_cvt_f32_ubyte0_e32 v4, v0
.LBB150_1428:
	s_mov_b32 s35, -1
.LBB150_1429:
	s_delay_alu instid0(SALU_CYCLE_1)
	s_and_not1_b32 vcc_lo, exec_lo, s35
	s_cbranch_vccnz .LBB150_1437
; %bb.1430:
	s_wait_loadcnt 0x0
	s_delay_alu instid0(VALU_DEP_4) | instskip(NEXT) | instid1(VALU_DEP_2)
	v_dual_max_num_f32 v1, v3, v3 :: v_dual_max_num_f32 v5, v2, v2
	v_cmp_u_f32_e32 vcc_lo, v4, v4
	v_max_num_f32_e32 v6, v4, v4
	v_mul_lo_u32 v0, v8, s12
	s_and_b32 s35, s2, 0xff
	s_delay_alu instid0(SALU_CYCLE_1) | instskip(NEXT) | instid1(VALU_DEP_2)
	s_cmp_lt_i32 s35, 11
	v_maxmin_num_f32 v1, v5, v1, v6
	s_delay_alu instid0(VALU_DEP_1) | instskip(SKIP_1) | instid1(VALU_DEP_2)
	v_cndmask_b32_e32 v4, v1, v4, vcc_lo
	v_cmp_u_f32_e32 vcc_lo, v3, v3
	v_dual_ashrrev_i32 v1, 31, v0 :: v_dual_cndmask_b32 v3, v4, v3, vcc_lo
	v_cmp_u_f32_e32 vcc_lo, v2, v2
	s_delay_alu instid0(VALU_DEP_2) | instskip(NEXT) | instid1(VALU_DEP_3)
	v_add_nc_u64_e32 v[0:1], s[4:5], v[0:1]
	v_cndmask_b32_e32 v2, v3, v2, vcc_lo
	s_cbranch_scc1 .LBB150_1438
; %bb.1431:
	s_and_b32 s36, 0xffff, s35
	s_delay_alu instid0(SALU_CYCLE_1)
	s_cmp_gt_i32 s36, 25
	s_cbranch_scc0 .LBB150_1439
; %bb.1432:
	s_cmp_gt_i32 s36, 28
	s_cbranch_scc0 .LBB150_1440
; %bb.1433:
	;; [unrolled: 3-line block ×4, first 2 shown]
	s_mov_b32 s38, 0
	s_mov_b32 s0, -1
	s_cmp_eq_u32 s36, 46
	s_mov_b32 s37, 0
	s_cbranch_scc0 .LBB150_1443
; %bb.1436:
	v_bfe_u32 v3, v2, 16, 1
	v_cmp_o_f32_e32 vcc_lo, v2, v2
	s_mov_b32 s37, -1
	s_mov_b32 s0, 0
	s_delay_alu instid0(VALU_DEP_2) | instskip(NEXT) | instid1(VALU_DEP_1)
	v_add3_u32 v3, v2, v3, 0x7fff
	v_lshrrev_b32_e32 v3, 16, v3
	s_delay_alu instid0(VALU_DEP_1)
	v_cndmask_b32_e32 v3, 0x7fc0, v3, vcc_lo
	global_store_b32 v[0:1], v3, off
	s_branch .LBB150_1443
.LBB150_1437:
	s_mov_b32 s36, 0
	s_mov_b32 s0, s26
	s_branch .LBB150_1554
.LBB150_1438:
	s_mov_b32 s36, -1
	s_mov_b32 s37, 0
	s_mov_b32 s0, s26
	s_branch .LBB150_1512
.LBB150_1439:
	s_mov_b32 s38, -1
	s_mov_b32 s37, 0
	s_mov_b32 s0, s26
	s_branch .LBB150_1470
.LBB150_1440:
	s_mov_b32 s38, -1
	s_mov_b32 s37, 0
	s_mov_b32 s0, s26
	s_branch .LBB150_1453
.LBB150_1441:
	s_mov_b32 s38, -1
	s_mov_b32 s37, 0
	s_mov_b32 s0, s26
	s_branch .LBB150_1449
.LBB150_1442:
	s_mov_b32 s38, -1
	s_mov_b32 s37, 0
	s_mov_b32 s0, s26
.LBB150_1443:
	s_and_b32 vcc_lo, exec_lo, s38
	s_cbranch_vccz .LBB150_1448
; %bb.1444:
	s_cmp_eq_u32 s36, 44
	s_mov_b32 s0, -1
	s_cbranch_scc0 .LBB150_1448
; %bb.1445:
	v_bfe_u32 v4, v2, 23, 8
	s_wait_xcnt 0x0
	v_mov_b32_e32 v3, 0xff
	s_mov_b32 s37, exec_lo
	s_delay_alu instid0(VALU_DEP_2)
	v_cmpx_ne_u32_e32 0xff, v4
	s_cbranch_execz .LBB150_1447
; %bb.1446:
	v_and_b32_e32 v3, 0x400000, v2
	v_and_or_b32 v4, 0x3fffff, v2, v4
	s_delay_alu instid0(VALU_DEP_2) | instskip(NEXT) | instid1(VALU_DEP_2)
	v_cmp_ne_u32_e32 vcc_lo, 0, v3
	v_cmp_ne_u32_e64 s0, 0, v4
	v_lshrrev_b32_e32 v3, 23, v2
	s_and_b32 s0, vcc_lo, s0
	s_delay_alu instid0(SALU_CYCLE_1) | instskip(NEXT) | instid1(VALU_DEP_1)
	v_cndmask_b32_e64 v4, 0, 1, s0
	v_add_nc_u32_e32 v3, v3, v4
.LBB150_1447:
	s_or_b32 exec_lo, exec_lo, s37
	s_mov_b32 s37, -1
	s_mov_b32 s0, 0
	global_store_b8 v[0:1], v3, off
.LBB150_1448:
	s_mov_b32 s38, 0
.LBB150_1449:
	s_delay_alu instid0(SALU_CYCLE_1)
	s_and_b32 vcc_lo, exec_lo, s38
	s_cbranch_vccz .LBB150_1452
; %bb.1450:
	s_cmp_eq_u32 s36, 29
	s_mov_b32 s0, -1
	s_cbranch_scc0 .LBB150_1452
; %bb.1451:
	s_wait_xcnt 0x0
	v_trunc_f32_e32 v3, v2
	s_mov_b32 s37, -1
	s_mov_b32 s0, 0
	s_mov_b32 s38, 0
	s_delay_alu instid0(VALU_DEP_1) | instskip(NEXT) | instid1(VALU_DEP_1)
	v_mul_f32_e32 v4, 0x2f800000, v3
	v_floor_f32_e32 v4, v4
	s_delay_alu instid0(VALU_DEP_1) | instskip(SKIP_1) | instid1(VALU_DEP_2)
	v_fmamk_f32 v3, v4, 0xcf800000, v3
	v_cvt_u32_f32_e32 v5, v4
	v_cvt_u32_f32_e32 v4, v3
	global_store_b64 v[0:1], v[4:5], off
	s_branch .LBB150_1453
.LBB150_1452:
	s_mov_b32 s38, 0
.LBB150_1453:
	s_delay_alu instid0(SALU_CYCLE_1)
	s_and_b32 vcc_lo, exec_lo, s38
	s_cbranch_vccz .LBB150_1469
; %bb.1454:
	s_cmp_lt_i32 s36, 27
	s_mov_b32 s37, -1
	s_cbranch_scc1 .LBB150_1460
; %bb.1455:
	s_wait_xcnt 0x0
	v_cvt_u32_f32_e32 v3, v2
	s_cmp_gt_i32 s36, 27
	s_cbranch_scc0 .LBB150_1457
; %bb.1456:
	s_mov_b32 s37, 0
	global_store_b32 v[0:1], v3, off
.LBB150_1457:
	s_and_not1_b32 vcc_lo, exec_lo, s37
	s_cbranch_vccnz .LBB150_1459
; %bb.1458:
	global_store_b16 v[0:1], v3, off
.LBB150_1459:
	s_mov_b32 s37, 0
.LBB150_1460:
	s_delay_alu instid0(SALU_CYCLE_1)
	s_and_not1_b32 vcc_lo, exec_lo, s37
	s_cbranch_vccnz .LBB150_1468
; %bb.1461:
	s_wait_xcnt 0x0
	v_and_b32_e32 v3, 0x7fffffff, v2
	v_mov_b32_e32 v4, 0x80
	s_mov_b32 s37, exec_lo
	s_delay_alu instid0(VALU_DEP_2)
	v_cmpx_gt_u32_e32 0x43800000, v3
	s_cbranch_execz .LBB150_1467
; %bb.1462:
	v_cmp_lt_u32_e32 vcc_lo, 0x3bffffff, v3
	s_mov_b32 s38, 0
                                        ; implicit-def: $vgpr3
	s_and_saveexec_b32 s39, vcc_lo
	s_delay_alu instid0(SALU_CYCLE_1)
	s_xor_b32 s39, exec_lo, s39
	s_cbranch_execz .LBB150_2724
; %bb.1463:
	v_bfe_u32 v3, v2, 20, 1
	s_mov_b32 s38, exec_lo
	s_delay_alu instid0(VALU_DEP_1) | instskip(NEXT) | instid1(VALU_DEP_1)
	v_add3_u32 v3, v2, v3, 0x487ffff
	v_lshrrev_b32_e32 v3, 20, v3
	s_and_not1_saveexec_b32 s39, s39
	s_cbranch_execnz .LBB150_2725
.LBB150_1464:
	s_or_b32 exec_lo, exec_lo, s39
	v_mov_b32_e32 v4, 0
	s_and_saveexec_b32 s39, s38
.LBB150_1465:
	v_lshrrev_b32_e32 v4, 24, v2
	s_delay_alu instid0(VALU_DEP_1)
	v_and_or_b32 v4, 0x80, v4, v3
.LBB150_1466:
	s_or_b32 exec_lo, exec_lo, s39
.LBB150_1467:
	s_delay_alu instid0(SALU_CYCLE_1)
	s_or_b32 exec_lo, exec_lo, s37
	global_store_b8 v[0:1], v4, off
.LBB150_1468:
	s_mov_b32 s37, -1
.LBB150_1469:
	s_mov_b32 s38, 0
.LBB150_1470:
	s_delay_alu instid0(SALU_CYCLE_1)
	s_and_b32 vcc_lo, exec_lo, s38
	s_cbranch_vccz .LBB150_1511
; %bb.1471:
	s_cmp_gt_i32 s36, 22
	s_mov_b32 s38, -1
	s_cbranch_scc0 .LBB150_1503
; %bb.1472:
	s_cmp_lt_i32 s36, 24
	s_mov_b32 s37, -1
	s_cbranch_scc1 .LBB150_1492
; %bb.1473:
	s_cmp_gt_i32 s36, 24
	s_cbranch_scc0 .LBB150_1481
; %bb.1474:
	s_wait_xcnt 0x0
	v_and_b32_e32 v3, 0x7fffffff, v2
	v_mov_b32_e32 v4, 0x80
	s_mov_b32 s37, exec_lo
	s_delay_alu instid0(VALU_DEP_2)
	v_cmpx_gt_u32_e32 0x47800000, v3
	s_cbranch_execz .LBB150_1480
; %bb.1475:
	v_cmp_lt_u32_e32 vcc_lo, 0x37ffffff, v3
	s_mov_b32 s38, 0
                                        ; implicit-def: $vgpr3
	s_and_saveexec_b32 s39, vcc_lo
	s_delay_alu instid0(SALU_CYCLE_1)
	s_xor_b32 s39, exec_lo, s39
	s_cbranch_execz .LBB150_2857
; %bb.1476:
	v_bfe_u32 v3, v2, 21, 1
	s_mov_b32 s38, exec_lo
	s_delay_alu instid0(VALU_DEP_1) | instskip(NEXT) | instid1(VALU_DEP_1)
	v_add3_u32 v3, v2, v3, 0x88fffff
	v_lshrrev_b32_e32 v3, 21, v3
	s_and_not1_saveexec_b32 s39, s39
	s_cbranch_execnz .LBB150_2858
.LBB150_1477:
	s_or_b32 exec_lo, exec_lo, s39
	v_mov_b32_e32 v4, 0
	s_and_saveexec_b32 s39, s38
.LBB150_1478:
	v_lshrrev_b32_e32 v4, 24, v2
	s_delay_alu instid0(VALU_DEP_1)
	v_and_or_b32 v4, 0x80, v4, v3
.LBB150_1479:
	s_or_b32 exec_lo, exec_lo, s39
.LBB150_1480:
	s_delay_alu instid0(SALU_CYCLE_1)
	s_or_b32 exec_lo, exec_lo, s37
	s_mov_b32 s37, 0
	global_store_b8 v[0:1], v4, off
.LBB150_1481:
	s_and_b32 vcc_lo, exec_lo, s37
	s_cbranch_vccz .LBB150_1491
; %bb.1482:
	s_wait_xcnt 0x0
	v_and_b32_e32 v4, 0x7fffffff, v2
	s_mov_b32 s37, exec_lo
                                        ; implicit-def: $vgpr3
	s_delay_alu instid0(VALU_DEP_1)
	v_cmpx_gt_u32_e32 0x43f00000, v4
	s_xor_b32 s37, exec_lo, s37
	s_cbranch_execz .LBB150_1488
; %bb.1483:
	s_mov_b32 s38, exec_lo
                                        ; implicit-def: $vgpr3
	v_cmpx_lt_u32_e32 0x3c7fffff, v4
	s_xor_b32 s38, exec_lo, s38
; %bb.1484:
	v_bfe_u32 v3, v2, 20, 1
	s_delay_alu instid0(VALU_DEP_1) | instskip(NEXT) | instid1(VALU_DEP_1)
	v_add3_u32 v3, v2, v3, 0x407ffff
	v_and_b32_e32 v4, 0xff00000, v3
	v_lshrrev_b32_e32 v3, 20, v3
	s_delay_alu instid0(VALU_DEP_2) | instskip(NEXT) | instid1(VALU_DEP_2)
	v_cmp_ne_u32_e32 vcc_lo, 0x7f00000, v4
	v_cndmask_b32_e32 v3, 0x7e, v3, vcc_lo
; %bb.1485:
	s_and_not1_saveexec_b32 s38, s38
; %bb.1486:
	v_add_f32_e64 v3, 0x46800000, |v2|
; %bb.1487:
	s_or_b32 exec_lo, exec_lo, s38
                                        ; implicit-def: $vgpr4
.LBB150_1488:
	s_and_not1_saveexec_b32 s37, s37
; %bb.1489:
	v_mov_b32_e32 v3, 0x7f
	v_cmp_lt_u32_e32 vcc_lo, 0x7f800000, v4
	s_delay_alu instid0(VALU_DEP_2)
	v_cndmask_b32_e32 v3, 0x7e, v3, vcc_lo
; %bb.1490:
	s_or_b32 exec_lo, exec_lo, s37
	v_lshrrev_b32_e32 v4, 24, v2
	s_delay_alu instid0(VALU_DEP_1)
	v_and_or_b32 v3, 0x80, v4, v3
	global_store_b8 v[0:1], v3, off
.LBB150_1491:
	s_mov_b32 s37, 0
.LBB150_1492:
	s_delay_alu instid0(SALU_CYCLE_1)
	s_and_not1_b32 vcc_lo, exec_lo, s37
	s_cbranch_vccnz .LBB150_1502
; %bb.1493:
	s_wait_xcnt 0x0
	v_and_b32_e32 v4, 0x7fffffff, v2
	s_mov_b32 s37, exec_lo
                                        ; implicit-def: $vgpr3
	s_delay_alu instid0(VALU_DEP_1)
	v_cmpx_gt_u32_e32 0x47800000, v4
	s_xor_b32 s37, exec_lo, s37
	s_cbranch_execz .LBB150_1499
; %bb.1494:
	s_mov_b32 s38, exec_lo
                                        ; implicit-def: $vgpr3
	v_cmpx_lt_u32_e32 0x387fffff, v4
	s_xor_b32 s38, exec_lo, s38
; %bb.1495:
	v_bfe_u32 v3, v2, 21, 1
	s_delay_alu instid0(VALU_DEP_1) | instskip(NEXT) | instid1(VALU_DEP_1)
	v_add3_u32 v3, v2, v3, 0x80fffff
	v_lshrrev_b32_e32 v3, 21, v3
; %bb.1496:
	s_and_not1_saveexec_b32 s38, s38
; %bb.1497:
	v_add_f32_e64 v3, 0x43000000, |v2|
; %bb.1498:
	s_or_b32 exec_lo, exec_lo, s38
                                        ; implicit-def: $vgpr4
.LBB150_1499:
	s_and_not1_saveexec_b32 s37, s37
; %bb.1500:
	v_mov_b32_e32 v3, 0x7f
	v_cmp_lt_u32_e32 vcc_lo, 0x7f800000, v4
	s_delay_alu instid0(VALU_DEP_2)
	v_cndmask_b32_e32 v3, 0x7c, v3, vcc_lo
; %bb.1501:
	s_or_b32 exec_lo, exec_lo, s37
	v_lshrrev_b32_e32 v4, 24, v2
	s_delay_alu instid0(VALU_DEP_1)
	v_and_or_b32 v3, 0x80, v4, v3
	global_store_b8 v[0:1], v3, off
.LBB150_1502:
	s_mov_b32 s38, 0
	s_mov_b32 s37, -1
.LBB150_1503:
	s_and_not1_b32 vcc_lo, exec_lo, s38
	s_cbranch_vccnz .LBB150_1511
; %bb.1504:
	s_cmp_gt_i32 s36, 14
	s_mov_b32 s38, -1
	s_cbranch_scc0 .LBB150_1508
; %bb.1505:
	s_cmp_eq_u32 s36, 15
	s_mov_b32 s0, -1
	s_cbranch_scc0 .LBB150_1507
; %bb.1506:
	s_wait_xcnt 0x0
	v_bfe_u32 v3, v2, 16, 1
	v_cmp_o_f32_e32 vcc_lo, v2, v2
	s_mov_b32 s37, -1
	s_mov_b32 s0, 0
	s_delay_alu instid0(VALU_DEP_2) | instskip(NEXT) | instid1(VALU_DEP_1)
	v_add3_u32 v3, v2, v3, 0x7fff
	v_lshrrev_b32_e32 v3, 16, v3
	s_delay_alu instid0(VALU_DEP_1)
	v_cndmask_b32_e32 v3, 0x7fc0, v3, vcc_lo
	global_store_b16 v[0:1], v3, off
.LBB150_1507:
	s_mov_b32 s38, 0
.LBB150_1508:
	s_delay_alu instid0(SALU_CYCLE_1)
	s_and_b32 vcc_lo, exec_lo, s38
	s_cbranch_vccz .LBB150_1511
; %bb.1509:
	s_cmp_eq_u32 s36, 11
	s_mov_b32 s0, -1
	s_cbranch_scc0 .LBB150_1511
; %bb.1510:
	v_cmp_neq_f32_e32 vcc_lo, 0, v2
	s_mov_b32 s0, 0
	s_mov_b32 s37, -1
	s_wait_xcnt 0x0
	v_cndmask_b32_e64 v3, 0, 1, vcc_lo
	global_store_b8 v[0:1], v3, off
.LBB150_1511:
	s_mov_b32 s36, 0
.LBB150_1512:
	s_delay_alu instid0(SALU_CYCLE_1)
	s_and_b32 vcc_lo, exec_lo, s36
	s_cbranch_vccz .LBB150_1551
; %bb.1513:
	s_and_b32 s35, 0xffff, s35
	s_mov_b32 s36, -1
	s_cmp_lt_i32 s35, 5
	s_cbranch_scc1 .LBB150_1534
; %bb.1514:
	s_cmp_lt_i32 s35, 8
	s_cbranch_scc1 .LBB150_1524
; %bb.1515:
	;; [unrolled: 3-line block ×3, first 2 shown]
	s_cmp_gt_i32 s35, 9
	s_cbranch_scc0 .LBB150_1518
; %bb.1517:
	s_wait_xcnt 0x0
	v_cvt_f64_f32_e32 v[4:5], v2
	v_mov_b32_e32 v6, 0
	s_mov_b32 s36, 0
	s_delay_alu instid0(VALU_DEP_1)
	v_mov_b32_e32 v7, v6
	global_store_b128 v[0:1], v[4:7], off
.LBB150_1518:
	s_and_not1_b32 vcc_lo, exec_lo, s36
	s_cbranch_vccnz .LBB150_1520
; %bb.1519:
	s_wait_xcnt 0x0
	v_mov_b32_e32 v3, 0
	global_store_b64 v[0:1], v[2:3], off
.LBB150_1520:
	s_mov_b32 s36, 0
.LBB150_1521:
	s_delay_alu instid0(SALU_CYCLE_1)
	s_and_not1_b32 vcc_lo, exec_lo, s36
	s_cbranch_vccnz .LBB150_1523
; %bb.1522:
	s_wait_xcnt 0x0
	v_cvt_f16_f32_e32 v3, v2
	s_delay_alu instid0(VALU_DEP_1)
	v_and_b32_e32 v3, 0xffff, v3
	global_store_b32 v[0:1], v3, off
.LBB150_1523:
	s_mov_b32 s36, 0
.LBB150_1524:
	s_delay_alu instid0(SALU_CYCLE_1)
	s_and_not1_b32 vcc_lo, exec_lo, s36
	s_cbranch_vccnz .LBB150_1533
; %bb.1525:
	s_cmp_lt_i32 s35, 6
	s_mov_b32 s36, -1
	s_cbranch_scc1 .LBB150_1531
; %bb.1526:
	s_cmp_gt_i32 s35, 6
	s_cbranch_scc0 .LBB150_1528
; %bb.1527:
	s_wait_xcnt 0x0
	v_cvt_f64_f32_e32 v[4:5], v2
	s_mov_b32 s36, 0
	global_store_b64 v[0:1], v[4:5], off
.LBB150_1528:
	s_and_not1_b32 vcc_lo, exec_lo, s36
	s_cbranch_vccnz .LBB150_1530
; %bb.1529:
	global_store_b32 v[0:1], v2, off
.LBB150_1530:
	s_mov_b32 s36, 0
.LBB150_1531:
	s_delay_alu instid0(SALU_CYCLE_1)
	s_and_not1_b32 vcc_lo, exec_lo, s36
	s_cbranch_vccnz .LBB150_1533
; %bb.1532:
	s_wait_xcnt 0x0
	v_cvt_f16_f32_e32 v3, v2
	global_store_b16 v[0:1], v3, off
.LBB150_1533:
	s_mov_b32 s36, 0
.LBB150_1534:
	s_delay_alu instid0(SALU_CYCLE_1)
	s_and_not1_b32 vcc_lo, exec_lo, s36
	s_cbranch_vccnz .LBB150_1550
; %bb.1535:
	s_cmp_lt_i32 s35, 2
	s_mov_b32 s36, -1
	s_cbranch_scc1 .LBB150_1545
; %bb.1536:
	s_cmp_lt_i32 s35, 3
	s_cbranch_scc1 .LBB150_1542
; %bb.1537:
	s_cmp_gt_i32 s35, 3
	s_cbranch_scc0 .LBB150_1539
; %bb.1538:
	s_wait_xcnt 0x0
	v_trunc_f32_e32 v3, v2
	s_mov_b32 s36, 0
	s_delay_alu instid0(VALU_DEP_1) | instskip(NEXT) | instid1(VALU_DEP_1)
	v_mul_f32_e64 v4, 0x2f800000, |v3|
	v_floor_f32_e32 v5, v4
	v_ashrrev_i32_e32 v4, 31, v3
	s_delay_alu instid0(VALU_DEP_2) | instskip(SKIP_1) | instid1(VALU_DEP_3)
	v_fma_f32 v6, 0xcf800000, v5, |v3|
	v_cvt_u32_f32_e32 v3, v5
	v_mov_b32_e32 v5, v4
	s_delay_alu instid0(VALU_DEP_3) | instskip(NEXT) | instid1(VALU_DEP_3)
	v_cvt_u32_f32_e32 v6, v6
	v_xor_b32_e32 v7, v3, v4
	s_delay_alu instid0(VALU_DEP_2) | instskip(NEXT) | instid1(VALU_DEP_1)
	v_xor_b32_e32 v6, v6, v4
	v_sub_nc_u64_e32 v[4:5], v[6:7], v[4:5]
	global_store_b64 v[0:1], v[4:5], off
.LBB150_1539:
	s_and_not1_b32 vcc_lo, exec_lo, s36
	s_cbranch_vccnz .LBB150_1541
; %bb.1540:
	s_wait_xcnt 0x0
	v_cvt_i32_f32_e32 v3, v2
	global_store_b32 v[0:1], v3, off
.LBB150_1541:
	s_mov_b32 s36, 0
.LBB150_1542:
	s_delay_alu instid0(SALU_CYCLE_1)
	s_and_not1_b32 vcc_lo, exec_lo, s36
	s_cbranch_vccnz .LBB150_1544
; %bb.1543:
	s_wait_xcnt 0x0
	v_cvt_i32_f32_e32 v3, v2
	global_store_b16 v[0:1], v3, off
.LBB150_1544:
	s_mov_b32 s36, 0
.LBB150_1545:
	s_delay_alu instid0(SALU_CYCLE_1)
	s_and_not1_b32 vcc_lo, exec_lo, s36
	s_cbranch_vccnz .LBB150_1550
; %bb.1546:
	s_cmp_gt_i32 s35, 0
	s_mov_b32 s35, -1
	s_cbranch_scc0 .LBB150_1548
; %bb.1547:
	s_wait_xcnt 0x0
	v_cvt_i32_f32_e32 v3, v2
	s_mov_b32 s35, 0
	global_store_b8 v[0:1], v3, off
.LBB150_1548:
	s_and_not1_b32 vcc_lo, exec_lo, s35
	s_cbranch_vccnz .LBB150_1550
; %bb.1549:
	s_wait_xcnt 0x0
	v_trunc_f32_e32 v2, v2
	s_delay_alu instid0(VALU_DEP_1) | instskip(NEXT) | instid1(VALU_DEP_1)
	v_mul_f32_e64 v3, 0x2f800000, |v2|
	v_floor_f32_e32 v3, v3
	s_delay_alu instid0(VALU_DEP_1) | instskip(SKIP_1) | instid1(VALU_DEP_2)
	v_fma_f32 v3, 0xcf800000, v3, |v2|
	v_ashrrev_i32_e32 v2, 31, v2
	v_cvt_u32_f32_e32 v3, v3
	s_delay_alu instid0(VALU_DEP_1) | instskip(NEXT) | instid1(VALU_DEP_1)
	v_xor_b32_e32 v3, v3, v2
	v_sub_nc_u32_e32 v2, v3, v2
	global_store_b8 v[0:1], v2, off
.LBB150_1550:
	s_mov_b32 s37, -1
.LBB150_1551:
	s_delay_alu instid0(SALU_CYCLE_1)
	s_and_not1_b32 vcc_lo, exec_lo, s37
	s_cbranch_vccnz .LBB150_1553
; %bb.1552:
	v_add_nc_u32_e32 v8, 0x80, v8
	s_mov_b32 s36, -1
	s_branch .LBB150_1555
.LBB150_1553:
	s_mov_b32 s36, 0
.LBB150_1554:
                                        ; implicit-def: $vgpr8
.LBB150_1555:
	s_and_not1_b32 s35, s26, exec_lo
	s_and_b32 s0, s0, exec_lo
	s_and_not1_b32 s37, s27, exec_lo
	s_and_b32 s34, s34, exec_lo
	s_or_b32 s35, s35, s0
	s_or_b32 s34, s37, s34
	s_and_not1_b32 s0, s28, exec_lo
	s_and_b32 s33, s33, exec_lo
	s_and_not1_b32 s37, s25, exec_lo
	s_and_b32 s31, s31, exec_lo
	s_or_b32 s33, s0, s33
	s_or_b32 s31, s37, s31
	s_or_not1_b32 s39, s36, exec_lo
.LBB150_1556:
	s_wait_xcnt 0x0
	s_or_b32 exec_lo, exec_lo, s30
	s_mov_b32 s36, 0
	s_mov_b32 s37, 0
	;; [unrolled: 1-line block ×3, first 2 shown]
                                        ; implicit-def: $sgpr0
                                        ; implicit-def: $vgpr0_vgpr1
                                        ; implicit-def: $vgpr3
	s_and_saveexec_b32 s30, s39
	s_cbranch_execz .LBB150_1637
; %bb.1557:
	v_cmp_gt_i32_e32 vcc_lo, s20, v8
	s_mov_b32 s40, s31
	s_mov_b32 s39, 0
	;; [unrolled: 1-line block ×3, first 2 shown]
                                        ; implicit-def: $sgpr0
                                        ; implicit-def: $vgpr0_vgpr1
                                        ; implicit-def: $vgpr3
	s_and_saveexec_b32 s20, vcc_lo
	s_cbranch_execz .LBB150_1636
; %bb.1558:
	v_mul_lo_u32 v0, v8, s13
	s_and_b32 s0, s17, 0xff
	s_delay_alu instid0(SALU_CYCLE_1) | instskip(NEXT) | instid1(VALU_DEP_1)
	s_cmp_lt_i32 s0, 11
	v_ashrrev_i32_e32 v1, 31, v0
	s_delay_alu instid0(VALU_DEP_1)
	v_add_nc_u64_e32 v[0:1], s[6:7], v[0:1]
	s_cbranch_scc1 .LBB150_1565
; %bb.1559:
	s_and_b32 s36, 0xffff, s0
	s_delay_alu instid0(SALU_CYCLE_1)
	s_cmp_gt_i32 s36, 25
	s_cbranch_scc0 .LBB150_1566
; %bb.1560:
	s_cmp_gt_i32 s36, 28
	s_cbranch_scc0 .LBB150_1567
; %bb.1561:
	s_cmp_gt_i32 s36, 43
	s_cbranch_scc0 .LBB150_1568
; %bb.1562:
	s_cmp_gt_i32 s36, 45
	s_cbranch_scc0 .LBB150_1569
; %bb.1563:
	s_cmp_eq_u32 s36, 46
	s_mov_b32 s40, 0
	s_cbranch_scc0 .LBB150_1570
; %bb.1564:
	s_wait_loadcnt 0x0
	global_load_b32 v2, v[0:1], off
	s_mov_b32 s39, -1
	s_wait_loadcnt 0x0
	v_lshlrev_b32_e32 v3, 16, v2
	s_branch .LBB150_1572
.LBB150_1565:
	s_mov_b32 s36, -1
	s_mov_b32 s37, s31
                                        ; implicit-def: $vgpr3
	s_branch .LBB150_1635
.LBB150_1566:
	s_mov_b32 s40, -1
	s_mov_b32 s37, s31
                                        ; implicit-def: $vgpr3
	s_branch .LBB150_1601
.LBB150_1567:
	s_mov_b32 s40, -1
	s_mov_b32 s37, s31
                                        ; implicit-def: $vgpr3
	s_branch .LBB150_1582
.LBB150_1568:
	s_mov_b32 s40, -1
	s_mov_b32 s37, s31
                                        ; implicit-def: $vgpr3
	s_branch .LBB150_1577
.LBB150_1569:
	s_mov_b32 s40, -1
	s_mov_b32 s37, s31
	s_branch .LBB150_1571
.LBB150_1570:
	s_mov_b32 s37, -1
.LBB150_1571:
                                        ; implicit-def: $vgpr3
.LBB150_1572:
	s_and_b32 vcc_lo, exec_lo, s40
	s_cbranch_vccz .LBB150_1576
; %bb.1573:
	s_cmp_eq_u32 s36, 44
	s_cbranch_scc0 .LBB150_1575
; %bb.1574:
	s_wait_loadcnt 0x0
	global_load_u8 v2, v[0:1], off
	s_mov_b32 s37, 0
	s_mov_b32 s39, -1
	s_wait_loadcnt 0x0
	v_lshlrev_b32_e32 v3, 23, v2
	v_cmp_ne_u32_e32 vcc_lo, 0xff, v2
	s_delay_alu instid0(VALU_DEP_2) | instskip(SKIP_1) | instid1(VALU_DEP_2)
	v_cndmask_b32_e32 v3, 0x7f800001, v3, vcc_lo
	v_cmp_ne_u32_e32 vcc_lo, 0, v2
	v_cndmask_b32_e32 v3, 0x400000, v3, vcc_lo
	s_branch .LBB150_1576
.LBB150_1575:
	s_mov_b32 s37, -1
                                        ; implicit-def: $vgpr3
.LBB150_1576:
	s_mov_b32 s40, 0
.LBB150_1577:
	s_delay_alu instid0(SALU_CYCLE_1)
	s_and_b32 vcc_lo, exec_lo, s40
	s_cbranch_vccz .LBB150_1581
; %bb.1578:
	s_cmp_eq_u32 s36, 29
	s_cbranch_scc0 .LBB150_1580
; %bb.1579:
	s_wait_loadcnt 0x0
	global_load_b64 v[2:3], v[0:1], off
	s_mov_b32 s37, 0
	s_mov_b32 s39, -1
	s_mov_b32 s40, 0
	s_wait_loadcnt 0x0
	v_clz_i32_u32_e32 v4, v3
	s_delay_alu instid0(VALU_DEP_1) | instskip(NEXT) | instid1(VALU_DEP_1)
	v_min_u32_e32 v4, 32, v4
	v_lshlrev_b64_e32 v[2:3], v4, v[2:3]
	s_delay_alu instid0(VALU_DEP_1) | instskip(NEXT) | instid1(VALU_DEP_1)
	v_min_u32_e32 v2, 1, v2
	v_dual_sub_nc_u32 v3, 32, v4 :: v_dual_bitop2_b32 v2, v3, v2 bitop3:0x54
	s_delay_alu instid0(VALU_DEP_1) | instskip(NEXT) | instid1(VALU_DEP_1)
	v_cvt_f32_u32_e32 v2, v2
	v_ldexp_f32 v3, v2, v3
	s_branch .LBB150_1582
.LBB150_1580:
	s_mov_b32 s37, -1
                                        ; implicit-def: $vgpr3
.LBB150_1581:
	s_mov_b32 s40, 0
.LBB150_1582:
	s_delay_alu instid0(SALU_CYCLE_1)
	s_and_b32 vcc_lo, exec_lo, s40
	s_cbranch_vccz .LBB150_1600
; %bb.1583:
	s_cmp_lt_i32 s36, 27
	s_cbranch_scc1 .LBB150_1586
; %bb.1584:
	s_cmp_gt_i32 s36, 27
	s_cbranch_scc0 .LBB150_1587
; %bb.1585:
	s_wait_loadcnt 0x0
	global_load_b32 v2, v[0:1], off
	s_mov_b32 s39, 0
	s_wait_loadcnt 0x0
	v_cvt_f32_u32_e32 v3, v2
	s_branch .LBB150_1588
.LBB150_1586:
	s_mov_b32 s39, -1
                                        ; implicit-def: $vgpr3
	s_branch .LBB150_1591
.LBB150_1587:
	s_mov_b32 s39, -1
                                        ; implicit-def: $vgpr3
.LBB150_1588:
	s_delay_alu instid0(SALU_CYCLE_1)
	s_and_not1_b32 vcc_lo, exec_lo, s39
	s_cbranch_vccnz .LBB150_1590
; %bb.1589:
	s_wait_loadcnt 0x0
	global_load_u16 v2, v[0:1], off
	s_wait_loadcnt 0x0
	v_cvt_f32_u32_e32 v3, v2
.LBB150_1590:
	s_mov_b32 s39, 0
.LBB150_1591:
	s_delay_alu instid0(SALU_CYCLE_1)
	s_and_not1_b32 vcc_lo, exec_lo, s39
	s_cbranch_vccnz .LBB150_1599
; %bb.1592:
	s_wait_loadcnt 0x0
	global_load_u8 v2, v[0:1], off
	s_mov_b32 s39, 0
	s_mov_b32 s40, exec_lo
	s_wait_loadcnt 0x0
	v_cmpx_lt_i16_e32 0x7f, v2
	s_xor_b32 s40, exec_lo, s40
	s_cbranch_execz .LBB150_1613
; %bb.1593:
	s_mov_b32 s39, -1
	s_mov_b32 s41, exec_lo
	v_cmpx_eq_u16_e32 0x80, v2
; %bb.1594:
	s_xor_b32 s39, exec_lo, -1
; %bb.1595:
	s_or_b32 exec_lo, exec_lo, s41
	s_delay_alu instid0(SALU_CYCLE_1)
	s_and_b32 s39, s39, exec_lo
	s_or_saveexec_b32 s40, s40
	v_mov_b32_e32 v3, 0x7f800001
	s_xor_b32 exec_lo, exec_lo, s40
	s_cbranch_execnz .LBB150_1614
.LBB150_1596:
	s_or_b32 exec_lo, exec_lo, s40
	s_and_saveexec_b32 s40, s39
	s_cbranch_execz .LBB150_1598
.LBB150_1597:
	v_and_b32_e32 v3, 0xffff, v2
	s_delay_alu instid0(VALU_DEP_1) | instskip(SKIP_1) | instid1(VALU_DEP_2)
	v_and_b32_e32 v4, 7, v3
	v_bfe_u32 v7, v3, 3, 4
	v_clz_i32_u32_e32 v5, v4
	s_delay_alu instid0(VALU_DEP_2) | instskip(NEXT) | instid1(VALU_DEP_2)
	v_cmp_eq_u32_e32 vcc_lo, 0, v7
	v_min_u32_e32 v5, 32, v5
	s_delay_alu instid0(VALU_DEP_1) | instskip(NEXT) | instid1(VALU_DEP_1)
	v_subrev_nc_u32_e32 v6, 28, v5
	v_dual_lshlrev_b32 v3, v6, v3 :: v_dual_sub_nc_u32 v5, 29, v5
	s_delay_alu instid0(VALU_DEP_1) | instskip(NEXT) | instid1(VALU_DEP_1)
	v_dual_lshlrev_b32 v2, 24, v2 :: v_dual_bitop2_b32 v3, 7, v3 bitop3:0x40
	v_dual_cndmask_b32 v5, v7, v5, vcc_lo :: v_dual_cndmask_b32 v3, v4, v3, vcc_lo
	s_delay_alu instid0(VALU_DEP_2) | instskip(NEXT) | instid1(VALU_DEP_2)
	v_and_b32_e32 v2, 0x80000000, v2
	v_lshl_add_u32 v4, v5, 23, 0x3b800000
	s_delay_alu instid0(VALU_DEP_3) | instskip(NEXT) | instid1(VALU_DEP_1)
	v_lshlrev_b32_e32 v3, 20, v3
	v_or3_b32 v3, v2, v4, v3
.LBB150_1598:
	s_or_b32 exec_lo, exec_lo, s40
.LBB150_1599:
	s_mov_b32 s39, -1
.LBB150_1600:
	s_mov_b32 s40, 0
.LBB150_1601:
	s_delay_alu instid0(SALU_CYCLE_1)
	s_and_b32 vcc_lo, exec_lo, s40
	s_cbranch_vccz .LBB150_1634
; %bb.1602:
	s_cmp_gt_i32 s36, 22
	s_cbranch_scc0 .LBB150_1612
; %bb.1603:
	s_cmp_lt_i32 s36, 24
	s_cbranch_scc1 .LBB150_1615
; %bb.1604:
	s_cmp_gt_i32 s36, 24
	s_cbranch_scc0 .LBB150_1616
; %bb.1605:
	s_wait_loadcnt 0x0
	global_load_u8 v2, v[0:1], off
	s_mov_b32 s39, exec_lo
	s_wait_loadcnt 0x0
	v_cmpx_lt_i16_e32 0x7f, v2
	s_xor_b32 s39, exec_lo, s39
	s_cbranch_execz .LBB150_1628
; %bb.1606:
	s_mov_b32 s38, -1
	s_mov_b32 s40, exec_lo
	v_cmpx_eq_u16_e32 0x80, v2
; %bb.1607:
	s_xor_b32 s38, exec_lo, -1
; %bb.1608:
	s_or_b32 exec_lo, exec_lo, s40
	s_delay_alu instid0(SALU_CYCLE_1)
	s_and_b32 s38, s38, exec_lo
	s_or_saveexec_b32 s39, s39
	v_mov_b32_e32 v3, 0x7f800001
	s_xor_b32 exec_lo, exec_lo, s39
	s_cbranch_execnz .LBB150_1629
.LBB150_1609:
	s_or_b32 exec_lo, exec_lo, s39
	s_and_saveexec_b32 s39, s38
	s_cbranch_execz .LBB150_1611
.LBB150_1610:
	v_and_b32_e32 v3, 0xffff, v2
	s_delay_alu instid0(VALU_DEP_1) | instskip(SKIP_1) | instid1(VALU_DEP_2)
	v_and_b32_e32 v4, 3, v3
	v_bfe_u32 v7, v3, 2, 5
	v_clz_i32_u32_e32 v5, v4
	s_delay_alu instid0(VALU_DEP_2) | instskip(NEXT) | instid1(VALU_DEP_2)
	v_cmp_eq_u32_e32 vcc_lo, 0, v7
	v_min_u32_e32 v5, 32, v5
	s_delay_alu instid0(VALU_DEP_1) | instskip(NEXT) | instid1(VALU_DEP_1)
	v_subrev_nc_u32_e32 v6, 29, v5
	v_dual_lshlrev_b32 v3, v6, v3 :: v_dual_sub_nc_u32 v5, 30, v5
	s_delay_alu instid0(VALU_DEP_1) | instskip(NEXT) | instid1(VALU_DEP_1)
	v_dual_lshlrev_b32 v2, 24, v2 :: v_dual_bitop2_b32 v3, 3, v3 bitop3:0x40
	v_dual_cndmask_b32 v5, v7, v5, vcc_lo :: v_dual_cndmask_b32 v3, v4, v3, vcc_lo
	s_delay_alu instid0(VALU_DEP_2) | instskip(NEXT) | instid1(VALU_DEP_2)
	v_and_b32_e32 v2, 0x80000000, v2
	v_lshl_add_u32 v4, v5, 23, 0x37800000
	s_delay_alu instid0(VALU_DEP_3) | instskip(NEXT) | instid1(VALU_DEP_1)
	v_lshlrev_b32_e32 v3, 21, v3
	v_or3_b32 v3, v2, v4, v3
.LBB150_1611:
	s_or_b32 exec_lo, exec_lo, s39
	s_mov_b32 s38, 0
	s_branch .LBB150_1617
.LBB150_1612:
	s_mov_b32 s38, -1
                                        ; implicit-def: $vgpr3
	s_branch .LBB150_1623
.LBB150_1613:
	s_or_saveexec_b32 s40, s40
	v_mov_b32_e32 v3, 0x7f800001
	s_xor_b32 exec_lo, exec_lo, s40
	s_cbranch_execz .LBB150_1596
.LBB150_1614:
	v_cmp_ne_u16_e32 vcc_lo, 0, v2
	v_mov_b32_e32 v3, 0
	s_and_not1_b32 s39, s39, exec_lo
	s_and_b32 s41, vcc_lo, exec_lo
	s_delay_alu instid0(SALU_CYCLE_1)
	s_or_b32 s39, s39, s41
	s_or_b32 exec_lo, exec_lo, s40
	s_and_saveexec_b32 s40, s39
	s_cbranch_execnz .LBB150_1597
	s_branch .LBB150_1598
.LBB150_1615:
	s_mov_b32 s38, -1
                                        ; implicit-def: $vgpr3
	s_branch .LBB150_1620
.LBB150_1616:
	s_mov_b32 s38, -1
                                        ; implicit-def: $vgpr3
.LBB150_1617:
	s_delay_alu instid0(SALU_CYCLE_1)
	s_and_b32 vcc_lo, exec_lo, s38
	s_cbranch_vccz .LBB150_1619
; %bb.1618:
	s_wait_loadcnt 0x0
	global_load_u8 v2, v[0:1], off
	s_wait_loadcnt 0x0
	v_lshlrev_b32_e32 v2, 24, v2
	s_delay_alu instid0(VALU_DEP_1) | instskip(NEXT) | instid1(VALU_DEP_1)
	v_and_b32_e32 v3, 0x7f000000, v2
	v_clz_i32_u32_e32 v4, v3
	v_cmp_ne_u32_e32 vcc_lo, 0, v3
	v_add_nc_u32_e32 v6, 0x1000000, v3
	s_delay_alu instid0(VALU_DEP_3) | instskip(NEXT) | instid1(VALU_DEP_1)
	v_min_u32_e32 v4, 32, v4
	v_sub_nc_u32_e64 v4, v4, 4 clamp
	s_delay_alu instid0(VALU_DEP_1) | instskip(NEXT) | instid1(VALU_DEP_1)
	v_dual_lshlrev_b32 v5, v4, v3 :: v_dual_lshlrev_b32 v4, 23, v4
	v_lshrrev_b32_e32 v5, 4, v5
	s_delay_alu instid0(VALU_DEP_1) | instskip(NEXT) | instid1(VALU_DEP_1)
	v_dual_sub_nc_u32 v4, v5, v4 :: v_dual_ashrrev_i32 v5, 8, v6
	v_add_nc_u32_e32 v4, 0x3c000000, v4
	s_delay_alu instid0(VALU_DEP_1) | instskip(NEXT) | instid1(VALU_DEP_1)
	v_and_or_b32 v4, 0x7f800000, v5, v4
	v_cndmask_b32_e32 v3, 0, v4, vcc_lo
	s_delay_alu instid0(VALU_DEP_1)
	v_and_or_b32 v3, 0x80000000, v2, v3
.LBB150_1619:
	s_mov_b32 s38, 0
.LBB150_1620:
	s_delay_alu instid0(SALU_CYCLE_1)
	s_and_not1_b32 vcc_lo, exec_lo, s38
	s_cbranch_vccnz .LBB150_1622
; %bb.1621:
	s_wait_loadcnt 0x0
	global_load_u8 v2, v[0:1], off
	s_wait_loadcnt 0x0
	v_lshlrev_b32_e32 v3, 25, v2
	v_lshlrev_b16 v2, 8, v2
	s_delay_alu instid0(VALU_DEP_1) | instskip(SKIP_1) | instid1(VALU_DEP_2)
	v_and_or_b32 v5, 0x7f00, v2, 0.5
	v_bfe_i32 v2, v2, 0, 16
	v_dual_add_f32 v5, -0.5, v5 :: v_dual_lshrrev_b32 v4, 4, v3
	v_cmp_gt_u32_e32 vcc_lo, 0x8000000, v3
	s_delay_alu instid0(VALU_DEP_2) | instskip(NEXT) | instid1(VALU_DEP_1)
	v_or_b32_e32 v4, 0x70000000, v4
	v_mul_f32_e32 v4, 0x7800000, v4
	s_delay_alu instid0(VALU_DEP_1) | instskip(NEXT) | instid1(VALU_DEP_1)
	v_cndmask_b32_e32 v3, v4, v5, vcc_lo
	v_and_or_b32 v3, 0x80000000, v2, v3
.LBB150_1622:
	s_mov_b32 s38, 0
	s_mov_b32 s39, -1
.LBB150_1623:
	s_and_not1_b32 vcc_lo, exec_lo, s38
	s_mov_b32 s38, 0
	s_cbranch_vccnz .LBB150_1634
; %bb.1624:
	s_cmp_gt_i32 s36, 14
	s_cbranch_scc0 .LBB150_1627
; %bb.1625:
	s_cmp_eq_u32 s36, 15
	s_cbranch_scc0 .LBB150_1630
; %bb.1626:
	s_wait_loadcnt 0x0
	global_load_u16 v2, v[0:1], off
	s_mov_b32 s37, 0
	s_mov_b32 s39, -1
	s_wait_loadcnt 0x0
	v_lshlrev_b32_e32 v3, 16, v2
	s_branch .LBB150_1632
.LBB150_1627:
	s_mov_b32 s38, -1
	s_branch .LBB150_1631
.LBB150_1628:
	s_or_saveexec_b32 s39, s39
	v_mov_b32_e32 v3, 0x7f800001
	s_xor_b32 exec_lo, exec_lo, s39
	s_cbranch_execz .LBB150_1609
.LBB150_1629:
	v_cmp_ne_u16_e32 vcc_lo, 0, v2
	v_mov_b32_e32 v3, 0
	s_and_not1_b32 s38, s38, exec_lo
	s_and_b32 s40, vcc_lo, exec_lo
	s_delay_alu instid0(SALU_CYCLE_1)
	s_or_b32 s38, s38, s40
	s_or_b32 exec_lo, exec_lo, s39
	s_and_saveexec_b32 s39, s38
	s_cbranch_execnz .LBB150_1610
	s_branch .LBB150_1611
.LBB150_1630:
	s_mov_b32 s37, -1
.LBB150_1631:
                                        ; implicit-def: $vgpr3
.LBB150_1632:
	s_and_b32 vcc_lo, exec_lo, s38
	s_mov_b32 s38, 0
	s_cbranch_vccz .LBB150_1634
; %bb.1633:
	s_cmp_lg_u32 s36, 11
	s_mov_b32 s38, -1
	s_cselect_b32 s36, -1, 0
	s_and_not1_b32 s37, s37, exec_lo
	s_and_b32 s36, s36, exec_lo
	s_delay_alu instid0(SALU_CYCLE_1)
	s_or_b32 s37, s37, s36
.LBB150_1634:
	s_mov_b32 s36, 0
.LBB150_1635:
	s_and_not1_b32 s40, s31, exec_lo
	s_and_b32 s37, s37, exec_lo
	s_and_b32 s41, s39, exec_lo
	;; [unrolled: 1-line block ×4, first 2 shown]
	s_or_b32 s40, s40, s37
.LBB150_1636:
	s_wait_xcnt 0x0
	s_or_b32 exec_lo, exec_lo, s20
	s_delay_alu instid0(SALU_CYCLE_1)
	s_and_not1_b32 s20, s31, exec_lo
	s_and_b32 s31, s40, exec_lo
	s_and_b32 s38, s41, exec_lo
	;; [unrolled: 1-line block ×4, first 2 shown]
	s_or_b32 s31, s20, s31
.LBB150_1637:
	s_or_b32 exec_lo, exec_lo, s30
	s_delay_alu instid0(SALU_CYCLE_1)
	s_and_not1_b32 s20, s26, exec_lo
	s_and_b32 s26, s35, exec_lo
	s_and_not1_b32 s28, s28, exec_lo
	s_or_b32 s26, s20, s26
	s_and_not1_b32 s20, s27, exec_lo
	s_and_b32 s27, s34, exec_lo
	s_and_b32 s30, s33, exec_lo
	s_or_b32 s27, s20, s27
	s_and_not1_b32 s20, s25, exec_lo
	s_and_b32 s25, s31, exec_lo
	s_or_b32 s28, s28, s30
	s_and_b32 s34, s38, exec_lo
	s_and_b32 s33, s37, exec_lo
	;; [unrolled: 1-line block ×3, first 2 shown]
	s_or_b32 s25, s20, s25
.LBB150_1638:
	s_or_b32 exec_lo, exec_lo, s29
	s_delay_alu instid0(SALU_CYCLE_1)
	s_and_not1_b32 s19, s19, exec_lo
	s_and_b32 s20, s26, exec_lo
	s_and_not1_b32 s22, s22, exec_lo
	s_or_b32 s19, s19, s20
	s_and_not1_b32 s20, s21, exec_lo
	s_and_b32 s21, s27, exec_lo
	s_and_b32 s26, s28, exec_lo
	s_or_b32 s21, s20, s21
	s_and_not1_b32 s20, s23, exec_lo
	s_and_b32 s23, s25, exec_lo
	s_or_b32 s22, s22, s26
	s_and_b32 s26, s34, exec_lo
	s_and_b32 s27, s33, exec_lo
	s_and_b32 s25, s30, exec_lo
	s_or_b32 s23, s20, s23
	s_or_b32 exec_lo, exec_lo, s24
	s_mov_b32 s20, 0
	s_and_saveexec_b32 s24, s23
	s_cbranch_execz .LBB150_522
.LBB150_1639:
	s_mov_b32 s20, exec_lo
	s_and_not1_b32 s25, s25, exec_lo
	s_trap 2
	s_or_b32 exec_lo, exec_lo, s24
	s_and_saveexec_b32 s23, s25
	s_delay_alu instid0(SALU_CYCLE_1)
	s_xor_b32 s23, exec_lo, s23
	s_cbranch_execnz .LBB150_523
.LBB150_1640:
	s_or_b32 exec_lo, exec_lo, s23
	s_and_saveexec_b32 s23, s27
	s_cbranch_execz .LBB150_1686
.LBB150_1641:
	s_sext_i32_i16 s24, s0
	s_delay_alu instid0(SALU_CYCLE_1)
	s_cmp_lt_i32 s24, 5
	s_cbranch_scc1 .LBB150_1646
; %bb.1642:
	s_cmp_lt_i32 s24, 8
	s_cbranch_scc1 .LBB150_1647
; %bb.1643:
	;; [unrolled: 3-line block ×3, first 2 shown]
	s_cmp_gt_i32 s24, 9
	s_cbranch_scc0 .LBB150_1649
; %bb.1645:
	s_wait_loadcnt 0x0
	global_load_b64 v[2:3], v[0:1], off
	s_mov_b32 s24, 0
	s_wait_loadcnt 0x0
	v_cvt_f32_f64_e32 v3, v[2:3]
	s_branch .LBB150_1650
.LBB150_1646:
                                        ; implicit-def: $vgpr3
	s_branch .LBB150_1667
.LBB150_1647:
                                        ; implicit-def: $vgpr3
	s_branch .LBB150_1656
.LBB150_1648:
	s_mov_b32 s24, -1
                                        ; implicit-def: $vgpr3
	s_branch .LBB150_1653
.LBB150_1649:
	s_mov_b32 s24, -1
                                        ; implicit-def: $vgpr3
.LBB150_1650:
	s_delay_alu instid0(SALU_CYCLE_1)
	s_and_not1_b32 vcc_lo, exec_lo, s24
	s_cbranch_vccnz .LBB150_1652
; %bb.1651:
	s_wait_loadcnt 0x0
	global_load_b32 v3, v[0:1], off
.LBB150_1652:
	s_mov_b32 s24, 0
.LBB150_1653:
	s_delay_alu instid0(SALU_CYCLE_1)
	s_and_not1_b32 vcc_lo, exec_lo, s24
	s_cbranch_vccnz .LBB150_1655
; %bb.1654:
	s_wait_loadcnt 0x0
	global_load_b32 v2, v[0:1], off
	s_wait_loadcnt 0x0
	v_cvt_f32_f16_e32 v3, v2
.LBB150_1655:
	s_cbranch_execnz .LBB150_1666
.LBB150_1656:
	s_sext_i32_i16 s24, s0
	s_delay_alu instid0(SALU_CYCLE_1)
	s_cmp_lt_i32 s24, 6
	s_cbranch_scc1 .LBB150_1659
; %bb.1657:
	s_cmp_gt_i32 s24, 6
	s_cbranch_scc0 .LBB150_1660
; %bb.1658:
	s_wait_loadcnt 0x0
	global_load_b64 v[2:3], v[0:1], off
	s_mov_b32 s24, 0
	s_wait_loadcnt 0x0
	v_cvt_f32_f64_e32 v3, v[2:3]
	s_branch .LBB150_1661
.LBB150_1659:
	s_mov_b32 s24, -1
                                        ; implicit-def: $vgpr3
	s_branch .LBB150_1664
.LBB150_1660:
	s_mov_b32 s24, -1
                                        ; implicit-def: $vgpr3
.LBB150_1661:
	s_delay_alu instid0(SALU_CYCLE_1)
	s_and_not1_b32 vcc_lo, exec_lo, s24
	s_cbranch_vccnz .LBB150_1663
; %bb.1662:
	s_wait_loadcnt 0x0
	global_load_b32 v3, v[0:1], off
.LBB150_1663:
	s_mov_b32 s24, 0
.LBB150_1664:
	s_delay_alu instid0(SALU_CYCLE_1)
	s_and_not1_b32 vcc_lo, exec_lo, s24
	s_cbranch_vccnz .LBB150_1666
; %bb.1665:
	s_wait_loadcnt 0x0
	global_load_u16 v2, v[0:1], off
	s_wait_loadcnt 0x0
	v_cvt_f32_f16_e32 v3, v2
.LBB150_1666:
	s_cbranch_execnz .LBB150_1685
.LBB150_1667:
	s_sext_i32_i16 s24, s0
	s_delay_alu instid0(SALU_CYCLE_1)
	s_cmp_lt_i32 s24, 2
	s_cbranch_scc1 .LBB150_1671
; %bb.1668:
	s_cmp_lt_i32 s24, 3
	s_cbranch_scc1 .LBB150_1672
; %bb.1669:
	s_cmp_gt_i32 s24, 3
	s_cbranch_scc0 .LBB150_1673
; %bb.1670:
	s_wait_loadcnt 0x0
	global_load_b64 v[2:3], v[0:1], off
	s_mov_b32 s24, 0
	s_wait_loadcnt 0x0
	v_xor_b32_e32 v4, v2, v3
	v_cls_i32_e32 v5, v3
	s_delay_alu instid0(VALU_DEP_2) | instskip(NEXT) | instid1(VALU_DEP_1)
	v_ashrrev_i32_e32 v4, 31, v4
	v_add_nc_u32_e32 v4, 32, v4
	s_delay_alu instid0(VALU_DEP_1) | instskip(NEXT) | instid1(VALU_DEP_1)
	v_add_min_u32_e64 v4, v5, -1, v4
	v_lshlrev_b64_e32 v[2:3], v4, v[2:3]
	s_delay_alu instid0(VALU_DEP_1) | instskip(NEXT) | instid1(VALU_DEP_1)
	v_min_u32_e32 v2, 1, v2
	v_dual_sub_nc_u32 v3, 32, v4 :: v_dual_bitop2_b32 v2, v3, v2 bitop3:0x54
	s_delay_alu instid0(VALU_DEP_1) | instskip(NEXT) | instid1(VALU_DEP_1)
	v_cvt_f32_i32_e32 v2, v2
	v_ldexp_f32 v3, v2, v3
	s_branch .LBB150_1674
.LBB150_1671:
                                        ; implicit-def: $vgpr3
	s_branch .LBB150_1680
.LBB150_1672:
	s_mov_b32 s24, -1
                                        ; implicit-def: $vgpr3
	s_branch .LBB150_1677
.LBB150_1673:
	s_mov_b32 s24, -1
                                        ; implicit-def: $vgpr3
.LBB150_1674:
	s_delay_alu instid0(SALU_CYCLE_1)
	s_and_not1_b32 vcc_lo, exec_lo, s24
	s_cbranch_vccnz .LBB150_1676
; %bb.1675:
	s_wait_loadcnt 0x0
	global_load_b32 v2, v[0:1], off
	s_wait_loadcnt 0x0
	v_cvt_f32_i32_e32 v3, v2
.LBB150_1676:
	s_mov_b32 s24, 0
.LBB150_1677:
	s_delay_alu instid0(SALU_CYCLE_1)
	s_and_not1_b32 vcc_lo, exec_lo, s24
	s_cbranch_vccnz .LBB150_1679
; %bb.1678:
	s_wait_loadcnt 0x0
	global_load_i16 v2, v[0:1], off
	s_wait_loadcnt 0x0
	v_cvt_f32_i32_e32 v3, v2
.LBB150_1679:
	s_cbranch_execnz .LBB150_1685
.LBB150_1680:
	s_sext_i32_i16 s0, s0
	s_delay_alu instid0(SALU_CYCLE_1)
	s_cmp_gt_i32 s0, 0
	s_mov_b32 s0, 0
	s_cbranch_scc0 .LBB150_1682
; %bb.1681:
	s_wait_loadcnt 0x0
	global_load_i8 v2, v[0:1], off
	s_wait_loadcnt 0x0
	v_cvt_f32_i32_e32 v3, v2
	s_branch .LBB150_1683
.LBB150_1682:
	s_mov_b32 s0, -1
                                        ; implicit-def: $vgpr3
.LBB150_1683:
	s_delay_alu instid0(SALU_CYCLE_1)
	s_and_not1_b32 vcc_lo, exec_lo, s0
	s_cbranch_vccnz .LBB150_1685
; %bb.1684:
	global_load_u8 v0, v[0:1], off
	s_wait_loadcnt 0x0
	v_cvt_f32_ubyte0_e32 v3, v0
.LBB150_1685:
	s_or_b32 s26, s26, exec_lo
.LBB150_1686:
	s_wait_xcnt 0x0
	s_or_b32 exec_lo, exec_lo, s23
	s_mov_b32 s25, 0
	s_mov_b32 s27, 0
	;; [unrolled: 1-line block ×3, first 2 shown]
                                        ; implicit-def: $sgpr0
                                        ; implicit-def: $vgpr0_vgpr1
                                        ; implicit-def: $vgpr4
	s_and_saveexec_b32 s23, s26
	s_cbranch_execz .LBB150_1694
; %bb.1687:
	v_mul_lo_u32 v0, v8, s14
	s_and_b32 s0, s3, 0xff
	s_delay_alu instid0(SALU_CYCLE_1) | instskip(NEXT) | instid1(VALU_DEP_1)
	s_cmp_lt_i32 s0, 11
	v_ashrrev_i32_e32 v1, 31, v0
	s_delay_alu instid0(VALU_DEP_1)
	v_add_nc_u64_e32 v[0:1], s[8:9], v[0:1]
	s_cbranch_scc1 .LBB150_1697
; %bb.1688:
	s_and_b32 s24, 0xffff, s0
	s_mov_b32 s26, 0
	s_cmp_gt_i32 s24, 25
	s_cbranch_scc0 .LBB150_1698
; %bb.1689:
	s_cmp_gt_i32 s24, 28
	s_cbranch_scc0 .LBB150_1699
; %bb.1690:
	;; [unrolled: 3-line block ×4, first 2 shown]
	s_cmp_eq_u32 s24, 46
	s_mov_b32 s28, 0
	s_cbranch_scc0 .LBB150_1702
; %bb.1693:
	s_wait_loadcnt 0x0
	global_load_b32 v2, v[0:1], off
	s_mov_b32 s27, -1
	s_wait_loadcnt 0x0
	v_lshlrev_b32_e32 v4, 16, v2
	s_branch .LBB150_1704
.LBB150_1694:
	s_or_b32 exec_lo, exec_lo, s23
	s_and_saveexec_b32 s23, s22
	s_cbranch_execnz .LBB150_1767
.LBB150_1695:
	s_or_b32 exec_lo, exec_lo, s23
	s_and_saveexec_b32 s22, s25
	s_delay_alu instid0(SALU_CYCLE_1)
	s_xor_b32 s22, exec_lo, s22
	s_cbranch_execz .LBB150_1768
.LBB150_1696:
	s_wait_loadcnt 0x0
	global_load_u8 v2, v[0:1], off
	s_or_b32 s24, s24, exec_lo
	s_wait_loadcnt 0x0
	v_cmp_ne_u16_e32 vcc_lo, 0, v2
	v_cndmask_b32_e64 v4, 0, 1.0, vcc_lo
	s_wait_xcnt 0x0
	s_or_b32 exec_lo, exec_lo, s22
	s_and_saveexec_b32 s22, s27
	s_cbranch_execz .LBB150_1814
	s_branch .LBB150_1769
.LBB150_1697:
	s_mov_b32 s28, -1
	s_mov_b32 s26, 0
	s_mov_b32 s25, s22
                                        ; implicit-def: $vgpr4
	s_branch .LBB150_1766
.LBB150_1698:
	s_mov_b32 s25, s22
                                        ; implicit-def: $vgpr4
	s_cbranch_execnz .LBB150_1733
	s_branch .LBB150_1765
.LBB150_1699:
	s_mov_b32 s28, -1
	s_mov_b32 s25, s22
                                        ; implicit-def: $vgpr4
	s_branch .LBB150_1714
.LBB150_1700:
	s_mov_b32 s28, -1
	s_mov_b32 s25, s22
                                        ; implicit-def: $vgpr4
	s_branch .LBB150_1709
.LBB150_1701:
	s_mov_b32 s28, -1
	s_mov_b32 s25, s22
	s_branch .LBB150_1703
.LBB150_1702:
	s_mov_b32 s25, -1
.LBB150_1703:
                                        ; implicit-def: $vgpr4
.LBB150_1704:
	s_and_b32 vcc_lo, exec_lo, s28
	s_cbranch_vccz .LBB150_1708
; %bb.1705:
	s_cmp_eq_u32 s24, 44
	s_cbranch_scc0 .LBB150_1707
; %bb.1706:
	s_wait_loadcnt 0x0
	global_load_u8 v2, v[0:1], off
	s_mov_b32 s25, 0
	s_mov_b32 s27, -1
	s_wait_loadcnt 0x0
	v_lshlrev_b32_e32 v4, 23, v2
	v_cmp_ne_u32_e32 vcc_lo, 0xff, v2
	s_delay_alu instid0(VALU_DEP_2) | instskip(SKIP_1) | instid1(VALU_DEP_2)
	v_cndmask_b32_e32 v4, 0x7f800001, v4, vcc_lo
	v_cmp_ne_u32_e32 vcc_lo, 0, v2
	v_cndmask_b32_e32 v4, 0x400000, v4, vcc_lo
	s_branch .LBB150_1708
.LBB150_1707:
	s_mov_b32 s25, -1
                                        ; implicit-def: $vgpr4
.LBB150_1708:
	s_mov_b32 s28, 0
.LBB150_1709:
	s_delay_alu instid0(SALU_CYCLE_1)
	s_and_b32 vcc_lo, exec_lo, s28
	s_cbranch_vccz .LBB150_1713
; %bb.1710:
	s_cmp_eq_u32 s24, 29
	s_cbranch_scc0 .LBB150_1712
; %bb.1711:
	s_wait_loadcnt 0x0
	global_load_b64 v[4:5], v[0:1], off
	s_mov_b32 s25, 0
	s_mov_b32 s27, -1
	s_mov_b32 s28, 0
	s_wait_loadcnt 0x0
	v_clz_i32_u32_e32 v2, v5
	s_delay_alu instid0(VALU_DEP_1) | instskip(NEXT) | instid1(VALU_DEP_1)
	v_min_u32_e32 v2, 32, v2
	v_lshlrev_b64_e32 v[4:5], v2, v[4:5]
	v_sub_nc_u32_e32 v2, 32, v2
	s_delay_alu instid0(VALU_DEP_2) | instskip(NEXT) | instid1(VALU_DEP_1)
	v_min_u32_e32 v4, 1, v4
	v_or_b32_e32 v4, v5, v4
	s_delay_alu instid0(VALU_DEP_1) | instskip(NEXT) | instid1(VALU_DEP_1)
	v_cvt_f32_u32_e32 v4, v4
	v_ldexp_f32 v4, v4, v2
	s_branch .LBB150_1714
.LBB150_1712:
	s_mov_b32 s25, -1
                                        ; implicit-def: $vgpr4
.LBB150_1713:
	s_mov_b32 s28, 0
.LBB150_1714:
	s_delay_alu instid0(SALU_CYCLE_1)
	s_and_b32 vcc_lo, exec_lo, s28
	s_cbranch_vccz .LBB150_1732
; %bb.1715:
	s_cmp_lt_i32 s24, 27
	s_cbranch_scc1 .LBB150_1718
; %bb.1716:
	s_cmp_gt_i32 s24, 27
	s_cbranch_scc0 .LBB150_1719
; %bb.1717:
	s_wait_loadcnt 0x0
	global_load_b32 v2, v[0:1], off
	s_mov_b32 s27, 0
	s_wait_loadcnt 0x0
	v_cvt_f32_u32_e32 v4, v2
	s_branch .LBB150_1720
.LBB150_1718:
	s_mov_b32 s27, -1
                                        ; implicit-def: $vgpr4
	s_branch .LBB150_1723
.LBB150_1719:
	s_mov_b32 s27, -1
                                        ; implicit-def: $vgpr4
.LBB150_1720:
	s_delay_alu instid0(SALU_CYCLE_1)
	s_and_not1_b32 vcc_lo, exec_lo, s27
	s_cbranch_vccnz .LBB150_1722
; %bb.1721:
	s_wait_loadcnt 0x0
	global_load_u16 v2, v[0:1], off
	s_wait_loadcnt 0x0
	v_cvt_f32_u32_e32 v4, v2
.LBB150_1722:
	s_mov_b32 s27, 0
.LBB150_1723:
	s_delay_alu instid0(SALU_CYCLE_1)
	s_and_not1_b32 vcc_lo, exec_lo, s27
	s_cbranch_vccnz .LBB150_1731
; %bb.1724:
	s_wait_loadcnt 0x0
	global_load_u8 v2, v[0:1], off
	s_mov_b32 s27, 0
	s_mov_b32 s28, exec_lo
	s_wait_loadcnt 0x0
	v_cmpx_lt_i16_e32 0x7f, v2
	s_xor_b32 s28, exec_lo, s28
	s_cbranch_execz .LBB150_1744
; %bb.1725:
	s_mov_b32 s27, -1
	s_mov_b32 s29, exec_lo
	v_cmpx_eq_u16_e32 0x80, v2
; %bb.1726:
	s_xor_b32 s27, exec_lo, -1
; %bb.1727:
	s_or_b32 exec_lo, exec_lo, s29
	s_delay_alu instid0(SALU_CYCLE_1)
	s_and_b32 s27, s27, exec_lo
	s_or_saveexec_b32 s28, s28
	v_mov_b32_e32 v4, 0x7f800001
	s_xor_b32 exec_lo, exec_lo, s28
	s_cbranch_execnz .LBB150_1745
.LBB150_1728:
	s_or_b32 exec_lo, exec_lo, s28
	s_and_saveexec_b32 s28, s27
	s_cbranch_execz .LBB150_1730
.LBB150_1729:
	v_and_b32_e32 v4, 0xffff, v2
	s_delay_alu instid0(VALU_DEP_1) | instskip(SKIP_1) | instid1(VALU_DEP_2)
	v_and_b32_e32 v5, 7, v4
	v_bfe_u32 v9, v4, 3, 4
	v_clz_i32_u32_e32 v6, v5
	s_delay_alu instid0(VALU_DEP_2) | instskip(NEXT) | instid1(VALU_DEP_2)
	v_cmp_eq_u32_e32 vcc_lo, 0, v9
	v_min_u32_e32 v6, 32, v6
	s_delay_alu instid0(VALU_DEP_1) | instskip(NEXT) | instid1(VALU_DEP_1)
	v_subrev_nc_u32_e32 v7, 28, v6
	v_dual_lshlrev_b32 v4, v7, v4 :: v_dual_sub_nc_u32 v6, 29, v6
	s_delay_alu instid0(VALU_DEP_1) | instskip(NEXT) | instid1(VALU_DEP_1)
	v_dual_lshlrev_b32 v2, 24, v2 :: v_dual_bitop2_b32 v4, 7, v4 bitop3:0x40
	v_cndmask_b32_e32 v4, v5, v4, vcc_lo
	s_delay_alu instid0(VALU_DEP_3) | instskip(NEXT) | instid1(VALU_DEP_3)
	v_cndmask_b32_e32 v6, v9, v6, vcc_lo
	v_and_b32_e32 v2, 0x80000000, v2
	s_delay_alu instid0(VALU_DEP_3) | instskip(NEXT) | instid1(VALU_DEP_3)
	v_lshlrev_b32_e32 v4, 20, v4
	v_lshl_add_u32 v5, v6, 23, 0x3b800000
	s_delay_alu instid0(VALU_DEP_1)
	v_or3_b32 v4, v2, v5, v4
.LBB150_1730:
	s_or_b32 exec_lo, exec_lo, s28
.LBB150_1731:
	s_mov_b32 s27, -1
.LBB150_1732:
	s_branch .LBB150_1765
.LBB150_1733:
	s_cmp_gt_i32 s24, 22
	s_cbranch_scc0 .LBB150_1743
; %bb.1734:
	s_cmp_lt_i32 s24, 24
	s_cbranch_scc1 .LBB150_1746
; %bb.1735:
	s_cmp_gt_i32 s24, 24
	s_cbranch_scc0 .LBB150_1747
; %bb.1736:
	s_wait_loadcnt 0x0
	global_load_u8 v2, v[0:1], off
	s_mov_b32 s27, exec_lo
	s_wait_loadcnt 0x0
	v_cmpx_lt_i16_e32 0x7f, v2
	s_xor_b32 s27, exec_lo, s27
	s_cbranch_execz .LBB150_1759
; %bb.1737:
	s_mov_b32 s26, -1
	s_mov_b32 s28, exec_lo
	v_cmpx_eq_u16_e32 0x80, v2
; %bb.1738:
	s_xor_b32 s26, exec_lo, -1
; %bb.1739:
	s_or_b32 exec_lo, exec_lo, s28
	s_delay_alu instid0(SALU_CYCLE_1)
	s_and_b32 s26, s26, exec_lo
	s_or_saveexec_b32 s27, s27
	v_mov_b32_e32 v4, 0x7f800001
	s_xor_b32 exec_lo, exec_lo, s27
	s_cbranch_execnz .LBB150_1760
.LBB150_1740:
	s_or_b32 exec_lo, exec_lo, s27
	s_and_saveexec_b32 s27, s26
	s_cbranch_execz .LBB150_1742
.LBB150_1741:
	v_and_b32_e32 v4, 0xffff, v2
	s_delay_alu instid0(VALU_DEP_1) | instskip(SKIP_1) | instid1(VALU_DEP_2)
	v_and_b32_e32 v5, 3, v4
	v_bfe_u32 v9, v4, 2, 5
	v_clz_i32_u32_e32 v6, v5
	s_delay_alu instid0(VALU_DEP_2) | instskip(NEXT) | instid1(VALU_DEP_2)
	v_cmp_eq_u32_e32 vcc_lo, 0, v9
	v_min_u32_e32 v6, 32, v6
	s_delay_alu instid0(VALU_DEP_1) | instskip(NEXT) | instid1(VALU_DEP_1)
	v_subrev_nc_u32_e32 v7, 29, v6
	v_dual_lshlrev_b32 v4, v7, v4 :: v_dual_sub_nc_u32 v6, 30, v6
	s_delay_alu instid0(VALU_DEP_1) | instskip(NEXT) | instid1(VALU_DEP_1)
	v_dual_lshlrev_b32 v2, 24, v2 :: v_dual_bitop2_b32 v4, 3, v4 bitop3:0x40
	v_cndmask_b32_e32 v4, v5, v4, vcc_lo
	s_delay_alu instid0(VALU_DEP_3) | instskip(NEXT) | instid1(VALU_DEP_3)
	v_cndmask_b32_e32 v6, v9, v6, vcc_lo
	v_and_b32_e32 v2, 0x80000000, v2
	s_delay_alu instid0(VALU_DEP_3) | instskip(NEXT) | instid1(VALU_DEP_3)
	v_lshlrev_b32_e32 v4, 21, v4
	v_lshl_add_u32 v5, v6, 23, 0x37800000
	s_delay_alu instid0(VALU_DEP_1)
	v_or3_b32 v4, v2, v5, v4
.LBB150_1742:
	s_or_b32 exec_lo, exec_lo, s27
	s_mov_b32 s26, 0
	s_branch .LBB150_1748
.LBB150_1743:
	s_mov_b32 s26, -1
                                        ; implicit-def: $vgpr4
	s_branch .LBB150_1754
.LBB150_1744:
	s_or_saveexec_b32 s28, s28
	v_mov_b32_e32 v4, 0x7f800001
	s_xor_b32 exec_lo, exec_lo, s28
	s_cbranch_execz .LBB150_1728
.LBB150_1745:
	v_cmp_ne_u16_e32 vcc_lo, 0, v2
	v_mov_b32_e32 v4, 0
	s_and_not1_b32 s27, s27, exec_lo
	s_and_b32 s29, vcc_lo, exec_lo
	s_delay_alu instid0(SALU_CYCLE_1)
	s_or_b32 s27, s27, s29
	s_or_b32 exec_lo, exec_lo, s28
	s_and_saveexec_b32 s28, s27
	s_cbranch_execnz .LBB150_1729
	s_branch .LBB150_1730
.LBB150_1746:
	s_mov_b32 s26, -1
                                        ; implicit-def: $vgpr4
	s_branch .LBB150_1751
.LBB150_1747:
	s_mov_b32 s26, -1
                                        ; implicit-def: $vgpr4
.LBB150_1748:
	s_delay_alu instid0(SALU_CYCLE_1)
	s_and_b32 vcc_lo, exec_lo, s26
	s_cbranch_vccz .LBB150_1750
; %bb.1749:
	s_wait_loadcnt 0x0
	global_load_u8 v2, v[0:1], off
	s_wait_loadcnt 0x0
	v_lshlrev_b32_e32 v2, 24, v2
	s_delay_alu instid0(VALU_DEP_1) | instskip(NEXT) | instid1(VALU_DEP_1)
	v_and_b32_e32 v4, 0x7f000000, v2
	v_clz_i32_u32_e32 v5, v4
	v_cmp_ne_u32_e32 vcc_lo, 0, v4
	v_add_nc_u32_e32 v7, 0x1000000, v4
	s_delay_alu instid0(VALU_DEP_3) | instskip(NEXT) | instid1(VALU_DEP_1)
	v_min_u32_e32 v5, 32, v5
	v_sub_nc_u32_e64 v5, v5, 4 clamp
	s_delay_alu instid0(VALU_DEP_1) | instskip(NEXT) | instid1(VALU_DEP_1)
	v_dual_lshlrev_b32 v6, v5, v4 :: v_dual_lshlrev_b32 v5, 23, v5
	v_lshrrev_b32_e32 v6, 4, v6
	s_delay_alu instid0(VALU_DEP_1) | instskip(NEXT) | instid1(VALU_DEP_1)
	v_dual_sub_nc_u32 v5, v6, v5 :: v_dual_ashrrev_i32 v6, 8, v7
	v_add_nc_u32_e32 v5, 0x3c000000, v5
	s_delay_alu instid0(VALU_DEP_1) | instskip(NEXT) | instid1(VALU_DEP_1)
	v_and_or_b32 v5, 0x7f800000, v6, v5
	v_cndmask_b32_e32 v4, 0, v5, vcc_lo
	s_delay_alu instid0(VALU_DEP_1)
	v_and_or_b32 v4, 0x80000000, v2, v4
.LBB150_1750:
	s_mov_b32 s26, 0
.LBB150_1751:
	s_delay_alu instid0(SALU_CYCLE_1)
	s_and_not1_b32 vcc_lo, exec_lo, s26
	s_cbranch_vccnz .LBB150_1753
; %bb.1752:
	s_wait_loadcnt 0x0
	global_load_u8 v2, v[0:1], off
	s_wait_loadcnt 0x0
	v_lshlrev_b32_e32 v4, 25, v2
	v_lshlrev_b16 v2, 8, v2
	s_delay_alu instid0(VALU_DEP_1) | instskip(NEXT) | instid1(VALU_DEP_3)
	v_and_or_b32 v6, 0x7f00, v2, 0.5
	v_lshrrev_b32_e32 v5, 4, v4
	v_bfe_i32 v2, v2, 0, 16
	s_delay_alu instid0(VALU_DEP_3) | instskip(NEXT) | instid1(VALU_DEP_3)
	v_add_f32_e32 v6, -0.5, v6
	v_or_b32_e32 v5, 0x70000000, v5
	s_delay_alu instid0(VALU_DEP_1) | instskip(SKIP_1) | instid1(VALU_DEP_2)
	v_mul_f32_e32 v5, 0x7800000, v5
	v_cmp_gt_u32_e32 vcc_lo, 0x8000000, v4
	v_cndmask_b32_e32 v4, v5, v6, vcc_lo
	s_delay_alu instid0(VALU_DEP_1)
	v_and_or_b32 v4, 0x80000000, v2, v4
.LBB150_1753:
	s_mov_b32 s26, 0
	s_mov_b32 s27, -1
.LBB150_1754:
	s_and_not1_b32 vcc_lo, exec_lo, s26
	s_mov_b32 s26, 0
	s_cbranch_vccnz .LBB150_1765
; %bb.1755:
	s_cmp_gt_i32 s24, 14
	s_cbranch_scc0 .LBB150_1758
; %bb.1756:
	s_cmp_eq_u32 s24, 15
	s_cbranch_scc0 .LBB150_1761
; %bb.1757:
	s_wait_loadcnt 0x0
	global_load_u16 v2, v[0:1], off
	s_mov_b32 s25, 0
	s_mov_b32 s27, -1
	s_wait_loadcnt 0x0
	v_lshlrev_b32_e32 v4, 16, v2
	s_branch .LBB150_1763
.LBB150_1758:
	s_mov_b32 s26, -1
	s_branch .LBB150_1762
.LBB150_1759:
	s_or_saveexec_b32 s27, s27
	v_mov_b32_e32 v4, 0x7f800001
	s_xor_b32 exec_lo, exec_lo, s27
	s_cbranch_execz .LBB150_1740
.LBB150_1760:
	v_cmp_ne_u16_e32 vcc_lo, 0, v2
	v_mov_b32_e32 v4, 0
	s_and_not1_b32 s26, s26, exec_lo
	s_and_b32 s28, vcc_lo, exec_lo
	s_delay_alu instid0(SALU_CYCLE_1)
	s_or_b32 s26, s26, s28
	s_or_b32 exec_lo, exec_lo, s27
	s_and_saveexec_b32 s27, s26
	s_cbranch_execnz .LBB150_1741
	s_branch .LBB150_1742
.LBB150_1761:
	s_mov_b32 s25, -1
.LBB150_1762:
                                        ; implicit-def: $vgpr4
.LBB150_1763:
	s_and_b32 vcc_lo, exec_lo, s26
	s_mov_b32 s26, 0
	s_cbranch_vccz .LBB150_1765
; %bb.1764:
	s_cmp_lg_u32 s24, 11
	s_mov_b32 s26, -1
	s_cselect_b32 s24, -1, 0
	s_and_not1_b32 s25, s25, exec_lo
	s_and_b32 s24, s24, exec_lo
	s_delay_alu instid0(SALU_CYCLE_1)
	s_or_b32 s25, s25, s24
.LBB150_1765:
	s_mov_b32 s28, 0
.LBB150_1766:
	s_and_b32 s24, s27, exec_lo
	s_and_b32 s27, s28, exec_lo
	s_and_not1_b32 s22, s22, exec_lo
	s_and_b32 s28, s25, exec_lo
	s_and_b32 s25, s26, exec_lo
	s_or_b32 s22, s22, s28
	s_wait_xcnt 0x0
	s_or_b32 exec_lo, exec_lo, s23
	s_and_saveexec_b32 s23, s22
	s_cbranch_execz .LBB150_1695
.LBB150_1767:
	s_or_b32 s20, s20, exec_lo
	s_and_not1_b32 s25, s25, exec_lo
	s_trap 2
	s_or_b32 exec_lo, exec_lo, s23
	s_and_saveexec_b32 s22, s25
	s_delay_alu instid0(SALU_CYCLE_1)
	s_xor_b32 s22, exec_lo, s22
	s_cbranch_execnz .LBB150_1696
.LBB150_1768:
	s_or_b32 exec_lo, exec_lo, s22
	s_and_saveexec_b32 s22, s27
	s_cbranch_execz .LBB150_1814
.LBB150_1769:
	s_sext_i32_i16 s23, s0
	s_delay_alu instid0(SALU_CYCLE_1)
	s_cmp_lt_i32 s23, 5
	s_cbranch_scc1 .LBB150_1774
; %bb.1770:
	s_cmp_lt_i32 s23, 8
	s_cbranch_scc1 .LBB150_1775
; %bb.1771:
	s_cmp_lt_i32 s23, 9
	s_cbranch_scc1 .LBB150_1776
; %bb.1772:
	s_cmp_gt_i32 s23, 9
	s_cbranch_scc0 .LBB150_1777
; %bb.1773:
	s_wait_loadcnt 0x0
	global_load_b64 v[4:5], v[0:1], off
	s_mov_b32 s23, 0
	s_wait_loadcnt 0x0
	v_cvt_f32_f64_e32 v4, v[4:5]
	s_branch .LBB150_1778
.LBB150_1774:
                                        ; implicit-def: $vgpr4
	s_branch .LBB150_1795
.LBB150_1775:
                                        ; implicit-def: $vgpr4
	s_branch .LBB150_1784
.LBB150_1776:
	s_mov_b32 s23, -1
                                        ; implicit-def: $vgpr4
	s_branch .LBB150_1781
.LBB150_1777:
	s_mov_b32 s23, -1
                                        ; implicit-def: $vgpr4
.LBB150_1778:
	s_delay_alu instid0(SALU_CYCLE_1)
	s_and_not1_b32 vcc_lo, exec_lo, s23
	s_cbranch_vccnz .LBB150_1780
; %bb.1779:
	s_wait_loadcnt 0x0
	global_load_b32 v4, v[0:1], off
.LBB150_1780:
	s_mov_b32 s23, 0
.LBB150_1781:
	s_delay_alu instid0(SALU_CYCLE_1)
	s_and_not1_b32 vcc_lo, exec_lo, s23
	s_cbranch_vccnz .LBB150_1783
; %bb.1782:
	s_wait_loadcnt 0x0
	global_load_b32 v2, v[0:1], off
	s_wait_loadcnt 0x0
	v_cvt_f32_f16_e32 v4, v2
.LBB150_1783:
	s_cbranch_execnz .LBB150_1794
.LBB150_1784:
	s_sext_i32_i16 s23, s0
	s_delay_alu instid0(SALU_CYCLE_1)
	s_cmp_lt_i32 s23, 6
	s_cbranch_scc1 .LBB150_1787
; %bb.1785:
	s_cmp_gt_i32 s23, 6
	s_cbranch_scc0 .LBB150_1788
; %bb.1786:
	s_wait_loadcnt 0x0
	global_load_b64 v[4:5], v[0:1], off
	s_mov_b32 s23, 0
	s_wait_loadcnt 0x0
	v_cvt_f32_f64_e32 v4, v[4:5]
	s_branch .LBB150_1789
.LBB150_1787:
	s_mov_b32 s23, -1
                                        ; implicit-def: $vgpr4
	s_branch .LBB150_1792
.LBB150_1788:
	s_mov_b32 s23, -1
                                        ; implicit-def: $vgpr4
.LBB150_1789:
	s_delay_alu instid0(SALU_CYCLE_1)
	s_and_not1_b32 vcc_lo, exec_lo, s23
	s_cbranch_vccnz .LBB150_1791
; %bb.1790:
	s_wait_loadcnt 0x0
	global_load_b32 v4, v[0:1], off
.LBB150_1791:
	s_mov_b32 s23, 0
.LBB150_1792:
	s_delay_alu instid0(SALU_CYCLE_1)
	s_and_not1_b32 vcc_lo, exec_lo, s23
	s_cbranch_vccnz .LBB150_1794
; %bb.1793:
	s_wait_loadcnt 0x0
	global_load_u16 v2, v[0:1], off
	s_wait_loadcnt 0x0
	v_cvt_f32_f16_e32 v4, v2
.LBB150_1794:
	s_cbranch_execnz .LBB150_1813
.LBB150_1795:
	s_sext_i32_i16 s23, s0
	s_delay_alu instid0(SALU_CYCLE_1)
	s_cmp_lt_i32 s23, 2
	s_cbranch_scc1 .LBB150_1799
; %bb.1796:
	s_cmp_lt_i32 s23, 3
	s_cbranch_scc1 .LBB150_1800
; %bb.1797:
	s_cmp_gt_i32 s23, 3
	s_cbranch_scc0 .LBB150_1801
; %bb.1798:
	s_wait_loadcnt 0x0
	global_load_b64 v[4:5], v[0:1], off
	s_mov_b32 s23, 0
	s_wait_loadcnt 0x0
	v_xor_b32_e32 v2, v4, v5
	v_cls_i32_e32 v6, v5
	s_delay_alu instid0(VALU_DEP_2) | instskip(NEXT) | instid1(VALU_DEP_1)
	v_ashrrev_i32_e32 v2, 31, v2
	v_add_nc_u32_e32 v2, 32, v2
	s_delay_alu instid0(VALU_DEP_1) | instskip(NEXT) | instid1(VALU_DEP_1)
	v_add_min_u32_e64 v2, v6, -1, v2
	v_lshlrev_b64_e32 v[4:5], v2, v[4:5]
	v_sub_nc_u32_e32 v2, 32, v2
	s_delay_alu instid0(VALU_DEP_2) | instskip(NEXT) | instid1(VALU_DEP_1)
	v_min_u32_e32 v4, 1, v4
	v_or_b32_e32 v4, v5, v4
	s_delay_alu instid0(VALU_DEP_1) | instskip(NEXT) | instid1(VALU_DEP_1)
	v_cvt_f32_i32_e32 v4, v4
	v_ldexp_f32 v4, v4, v2
	s_branch .LBB150_1802
.LBB150_1799:
                                        ; implicit-def: $vgpr4
	s_branch .LBB150_1808
.LBB150_1800:
	s_mov_b32 s23, -1
                                        ; implicit-def: $vgpr4
	s_branch .LBB150_1805
.LBB150_1801:
	s_mov_b32 s23, -1
                                        ; implicit-def: $vgpr4
.LBB150_1802:
	s_delay_alu instid0(SALU_CYCLE_1)
	s_and_not1_b32 vcc_lo, exec_lo, s23
	s_cbranch_vccnz .LBB150_1804
; %bb.1803:
	s_wait_loadcnt 0x0
	global_load_b32 v2, v[0:1], off
	s_wait_loadcnt 0x0
	v_cvt_f32_i32_e32 v4, v2
.LBB150_1804:
	s_mov_b32 s23, 0
.LBB150_1805:
	s_delay_alu instid0(SALU_CYCLE_1)
	s_and_not1_b32 vcc_lo, exec_lo, s23
	s_cbranch_vccnz .LBB150_1807
; %bb.1806:
	s_wait_loadcnt 0x0
	global_load_i16 v2, v[0:1], off
	s_wait_loadcnt 0x0
	v_cvt_f32_i32_e32 v4, v2
.LBB150_1807:
	s_cbranch_execnz .LBB150_1813
.LBB150_1808:
	s_sext_i32_i16 s0, s0
	s_delay_alu instid0(SALU_CYCLE_1)
	s_cmp_gt_i32 s0, 0
	s_mov_b32 s0, 0
	s_cbranch_scc0 .LBB150_1810
; %bb.1809:
	s_wait_loadcnt 0x0
	global_load_i8 v2, v[0:1], off
	s_wait_loadcnt 0x0
	v_cvt_f32_i32_e32 v4, v2
	s_branch .LBB150_1811
.LBB150_1810:
	s_mov_b32 s0, -1
                                        ; implicit-def: $vgpr4
.LBB150_1811:
	s_delay_alu instid0(SALU_CYCLE_1)
	s_and_not1_b32 vcc_lo, exec_lo, s0
	s_cbranch_vccnz .LBB150_1813
; %bb.1812:
	global_load_u8 v0, v[0:1], off
	s_wait_loadcnt 0x0
	v_cvt_f32_ubyte0_e32 v4, v0
.LBB150_1813:
	s_or_b32 s24, s24, exec_lo
.LBB150_1814:
	s_wait_xcnt 0x0
	s_or_b32 exec_lo, exec_lo, s22
	s_mov_b32 s23, 0
	s_mov_b32 s22, 0
	;; [unrolled: 1-line block ×3, first 2 shown]
                                        ; implicit-def: $vgpr0_vgpr1
                                        ; implicit-def: $vgpr5
	s_and_saveexec_b32 s0, s24
	s_cbranch_execz .LBB150_1822
; %bb.1815:
	v_mul_lo_u32 v0, v8, s15
	s_and_b32 s22, 0xffff, s1
	s_delay_alu instid0(SALU_CYCLE_1) | instskip(NEXT) | instid1(VALU_DEP_1)
	s_cmp_lt_i32 s22, 11
	v_ashrrev_i32_e32 v1, 31, v0
	s_delay_alu instid0(VALU_DEP_1)
	v_add_nc_u64_e32 v[0:1], s[10:11], v[0:1]
	s_cbranch_scc1 .LBB150_1825
; %bb.1816:
	s_cmp_gt_i32 s22, 25
	s_mov_b32 s24, 0
	s_cbranch_scc0 .LBB150_1826
; %bb.1817:
	s_cmp_gt_i32 s22, 28
	s_cbranch_scc0 .LBB150_1827
; %bb.1818:
	s_cmp_gt_i32 s22, 43
	;; [unrolled: 3-line block ×3, first 2 shown]
	s_cbranch_scc0 .LBB150_1829
; %bb.1820:
	s_cmp_eq_u32 s22, 46
	s_mov_b32 s26, 0
	s_cbranch_scc0 .LBB150_1830
; %bb.1821:
	s_wait_loadcnt 0x0
	global_load_b32 v2, v[0:1], off
	s_mov_b32 s25, -1
	s_wait_loadcnt 0x0
	v_lshlrev_b32_e32 v5, 16, v2
	s_branch .LBB150_1832
.LBB150_1822:
	s_or_b32 exec_lo, exec_lo, s0
	s_and_saveexec_b32 s0, s21
	s_cbranch_execnz .LBB150_1895
.LBB150_1823:
	s_or_b32 exec_lo, exec_lo, s0
	s_and_saveexec_b32 s0, s23
	s_delay_alu instid0(SALU_CYCLE_1)
	s_xor_b32 s0, exec_lo, s0
	s_cbranch_execz .LBB150_1896
.LBB150_1824:
	s_wait_loadcnt 0x0
	global_load_u8 v2, v[0:1], off
	s_or_b32 s25, s25, exec_lo
	s_wait_loadcnt 0x0
	v_cmp_ne_u16_e32 vcc_lo, 0, v2
	v_cndmask_b32_e64 v5, 0, 1.0, vcc_lo
	s_wait_xcnt 0x0
	s_or_b32 exec_lo, exec_lo, s0
	s_and_saveexec_b32 s0, s22
	s_cbranch_execz .LBB150_1942
	s_branch .LBB150_1897
.LBB150_1825:
	s_mov_b32 s22, -1
	s_mov_b32 s24, 0
	s_mov_b32 s23, s21
                                        ; implicit-def: $vgpr5
	s_branch .LBB150_1894
.LBB150_1826:
	s_mov_b32 s23, s21
                                        ; implicit-def: $vgpr5
	s_cbranch_execnz .LBB150_1861
	s_branch .LBB150_1893
.LBB150_1827:
	s_mov_b32 s26, -1
	s_mov_b32 s23, s21
                                        ; implicit-def: $vgpr5
	s_branch .LBB150_1842
.LBB150_1828:
	s_mov_b32 s26, -1
	s_mov_b32 s23, s21
                                        ; implicit-def: $vgpr5
	s_branch .LBB150_1837
.LBB150_1829:
	s_mov_b32 s26, -1
	s_mov_b32 s23, s21
	s_branch .LBB150_1831
.LBB150_1830:
	s_mov_b32 s23, -1
.LBB150_1831:
                                        ; implicit-def: $vgpr5
.LBB150_1832:
	s_and_b32 vcc_lo, exec_lo, s26
	s_cbranch_vccz .LBB150_1836
; %bb.1833:
	s_cmp_eq_u32 s22, 44
	s_cbranch_scc0 .LBB150_1835
; %bb.1834:
	s_wait_loadcnt 0x0
	global_load_u8 v2, v[0:1], off
	s_mov_b32 s23, 0
	s_mov_b32 s25, -1
	s_wait_loadcnt 0x0
	v_lshlrev_b32_e32 v5, 23, v2
	v_cmp_ne_u32_e32 vcc_lo, 0xff, v2
	s_delay_alu instid0(VALU_DEP_2) | instskip(SKIP_1) | instid1(VALU_DEP_2)
	v_cndmask_b32_e32 v5, 0x7f800001, v5, vcc_lo
	v_cmp_ne_u32_e32 vcc_lo, 0, v2
	v_cndmask_b32_e32 v5, 0x400000, v5, vcc_lo
	s_branch .LBB150_1836
.LBB150_1835:
	s_mov_b32 s23, -1
                                        ; implicit-def: $vgpr5
.LBB150_1836:
	s_mov_b32 s26, 0
.LBB150_1837:
	s_delay_alu instid0(SALU_CYCLE_1)
	s_and_b32 vcc_lo, exec_lo, s26
	s_cbranch_vccz .LBB150_1841
; %bb.1838:
	s_cmp_eq_u32 s22, 29
	s_cbranch_scc0 .LBB150_1840
; %bb.1839:
	global_load_b64 v[6:7], v[0:1], off
	s_mov_b32 s23, 0
	s_mov_b32 s25, -1
	s_mov_b32 s26, 0
	s_wait_loadcnt 0x0
	v_clz_i32_u32_e32 v2, v7
	s_delay_alu instid0(VALU_DEP_1) | instskip(NEXT) | instid1(VALU_DEP_1)
	v_min_u32_e32 v2, 32, v2
	v_lshlrev_b64_e32 v[6:7], v2, v[6:7]
	v_sub_nc_u32_e32 v2, 32, v2
	s_delay_alu instid0(VALU_DEP_2) | instskip(NEXT) | instid1(VALU_DEP_1)
	v_min_u32_e32 v5, 1, v6
	v_or_b32_e32 v5, v7, v5
	s_delay_alu instid0(VALU_DEP_1) | instskip(NEXT) | instid1(VALU_DEP_1)
	v_cvt_f32_u32_e32 v5, v5
	v_ldexp_f32 v5, v5, v2
	s_branch .LBB150_1842
.LBB150_1840:
	s_mov_b32 s23, -1
                                        ; implicit-def: $vgpr5
.LBB150_1841:
	s_mov_b32 s26, 0
.LBB150_1842:
	s_delay_alu instid0(SALU_CYCLE_1)
	s_and_b32 vcc_lo, exec_lo, s26
	s_cbranch_vccz .LBB150_1860
; %bb.1843:
	s_cmp_lt_i32 s22, 27
	s_cbranch_scc1 .LBB150_1846
; %bb.1844:
	s_cmp_gt_i32 s22, 27
	s_cbranch_scc0 .LBB150_1847
; %bb.1845:
	s_wait_loadcnt 0x0
	global_load_b32 v2, v[0:1], off
	s_mov_b32 s25, 0
	s_wait_loadcnt 0x0
	v_cvt_f32_u32_e32 v5, v2
	s_branch .LBB150_1848
.LBB150_1846:
	s_mov_b32 s25, -1
                                        ; implicit-def: $vgpr5
	s_branch .LBB150_1851
.LBB150_1847:
	s_mov_b32 s25, -1
                                        ; implicit-def: $vgpr5
.LBB150_1848:
	s_delay_alu instid0(SALU_CYCLE_1)
	s_and_not1_b32 vcc_lo, exec_lo, s25
	s_cbranch_vccnz .LBB150_1850
; %bb.1849:
	s_wait_loadcnt 0x0
	global_load_u16 v2, v[0:1], off
	s_wait_loadcnt 0x0
	v_cvt_f32_u32_e32 v5, v2
.LBB150_1850:
	s_mov_b32 s25, 0
.LBB150_1851:
	s_delay_alu instid0(SALU_CYCLE_1)
	s_and_not1_b32 vcc_lo, exec_lo, s25
	s_cbranch_vccnz .LBB150_1859
; %bb.1852:
	s_wait_loadcnt 0x0
	global_load_u8 v2, v[0:1], off
	s_mov_b32 s25, 0
	s_mov_b32 s26, exec_lo
	s_wait_loadcnt 0x0
	v_cmpx_lt_i16_e32 0x7f, v2
	s_xor_b32 s26, exec_lo, s26
	s_cbranch_execz .LBB150_1872
; %bb.1853:
	s_mov_b32 s25, -1
	s_mov_b32 s27, exec_lo
	v_cmpx_eq_u16_e32 0x80, v2
; %bb.1854:
	s_xor_b32 s25, exec_lo, -1
; %bb.1855:
	s_or_b32 exec_lo, exec_lo, s27
	s_delay_alu instid0(SALU_CYCLE_1)
	s_and_b32 s25, s25, exec_lo
	s_or_saveexec_b32 s26, s26
	v_mov_b32_e32 v5, 0x7f800001
	s_xor_b32 exec_lo, exec_lo, s26
	s_cbranch_execnz .LBB150_1873
.LBB150_1856:
	s_or_b32 exec_lo, exec_lo, s26
	s_and_saveexec_b32 s26, s25
	s_cbranch_execz .LBB150_1858
.LBB150_1857:
	v_and_b32_e32 v5, 0xffff, v2
	s_delay_alu instid0(VALU_DEP_1) | instskip(SKIP_1) | instid1(VALU_DEP_2)
	v_and_b32_e32 v6, 7, v5
	v_bfe_u32 v10, v5, 3, 4
	v_clz_i32_u32_e32 v7, v6
	s_delay_alu instid0(VALU_DEP_2) | instskip(NEXT) | instid1(VALU_DEP_2)
	v_cmp_eq_u32_e32 vcc_lo, 0, v10
	v_min_u32_e32 v7, 32, v7
	s_delay_alu instid0(VALU_DEP_1) | instskip(NEXT) | instid1(VALU_DEP_1)
	v_subrev_nc_u32_e32 v9, 28, v7
	v_dual_lshlrev_b32 v5, v9, v5 :: v_dual_sub_nc_u32 v7, 29, v7
	s_delay_alu instid0(VALU_DEP_1) | instskip(NEXT) | instid1(VALU_DEP_2)
	v_dual_lshlrev_b32 v2, 24, v2 :: v_dual_bitop2_b32 v5, 7, v5 bitop3:0x40
	v_cndmask_b32_e32 v7, v10, v7, vcc_lo
	s_delay_alu instid0(VALU_DEP_2) | instskip(NEXT) | instid1(VALU_DEP_3)
	v_cndmask_b32_e32 v5, v6, v5, vcc_lo
	v_and_b32_e32 v2, 0x80000000, v2
	s_delay_alu instid0(VALU_DEP_3) | instskip(NEXT) | instid1(VALU_DEP_3)
	v_lshl_add_u32 v6, v7, 23, 0x3b800000
	v_lshlrev_b32_e32 v5, 20, v5
	s_delay_alu instid0(VALU_DEP_1)
	v_or3_b32 v5, v2, v6, v5
.LBB150_1858:
	s_or_b32 exec_lo, exec_lo, s26
.LBB150_1859:
	s_mov_b32 s25, -1
.LBB150_1860:
	s_branch .LBB150_1893
.LBB150_1861:
	s_cmp_gt_i32 s22, 22
	s_cbranch_scc0 .LBB150_1871
; %bb.1862:
	s_cmp_lt_i32 s22, 24
	s_cbranch_scc1 .LBB150_1874
; %bb.1863:
	s_cmp_gt_i32 s22, 24
	s_cbranch_scc0 .LBB150_1875
; %bb.1864:
	s_wait_loadcnt 0x0
	global_load_u8 v2, v[0:1], off
	s_mov_b32 s25, exec_lo
	s_wait_loadcnt 0x0
	v_cmpx_lt_i16_e32 0x7f, v2
	s_xor_b32 s25, exec_lo, s25
	s_cbranch_execz .LBB150_1887
; %bb.1865:
	s_mov_b32 s24, -1
	s_mov_b32 s26, exec_lo
	v_cmpx_eq_u16_e32 0x80, v2
; %bb.1866:
	s_xor_b32 s24, exec_lo, -1
; %bb.1867:
	s_or_b32 exec_lo, exec_lo, s26
	s_delay_alu instid0(SALU_CYCLE_1)
	s_and_b32 s24, s24, exec_lo
	s_or_saveexec_b32 s25, s25
	v_mov_b32_e32 v5, 0x7f800001
	s_xor_b32 exec_lo, exec_lo, s25
	s_cbranch_execnz .LBB150_1888
.LBB150_1868:
	s_or_b32 exec_lo, exec_lo, s25
	s_and_saveexec_b32 s25, s24
	s_cbranch_execz .LBB150_1870
.LBB150_1869:
	v_and_b32_e32 v5, 0xffff, v2
	s_delay_alu instid0(VALU_DEP_1) | instskip(SKIP_1) | instid1(VALU_DEP_2)
	v_and_b32_e32 v6, 3, v5
	v_bfe_u32 v10, v5, 2, 5
	v_clz_i32_u32_e32 v7, v6
	s_delay_alu instid0(VALU_DEP_2) | instskip(NEXT) | instid1(VALU_DEP_2)
	v_cmp_eq_u32_e32 vcc_lo, 0, v10
	v_min_u32_e32 v7, 32, v7
	s_delay_alu instid0(VALU_DEP_1) | instskip(NEXT) | instid1(VALU_DEP_1)
	v_subrev_nc_u32_e32 v9, 29, v7
	v_dual_lshlrev_b32 v5, v9, v5 :: v_dual_sub_nc_u32 v7, 30, v7
	s_delay_alu instid0(VALU_DEP_1) | instskip(NEXT) | instid1(VALU_DEP_2)
	v_dual_lshlrev_b32 v2, 24, v2 :: v_dual_bitop2_b32 v5, 3, v5 bitop3:0x40
	v_cndmask_b32_e32 v7, v10, v7, vcc_lo
	s_delay_alu instid0(VALU_DEP_2) | instskip(NEXT) | instid1(VALU_DEP_3)
	v_cndmask_b32_e32 v5, v6, v5, vcc_lo
	v_and_b32_e32 v2, 0x80000000, v2
	s_delay_alu instid0(VALU_DEP_3) | instskip(NEXT) | instid1(VALU_DEP_3)
	v_lshl_add_u32 v6, v7, 23, 0x37800000
	v_lshlrev_b32_e32 v5, 21, v5
	s_delay_alu instid0(VALU_DEP_1)
	v_or3_b32 v5, v2, v6, v5
.LBB150_1870:
	s_or_b32 exec_lo, exec_lo, s25
	s_mov_b32 s24, 0
	s_branch .LBB150_1876
.LBB150_1871:
	s_mov_b32 s24, -1
                                        ; implicit-def: $vgpr5
	s_branch .LBB150_1882
.LBB150_1872:
	s_or_saveexec_b32 s26, s26
	v_mov_b32_e32 v5, 0x7f800001
	s_xor_b32 exec_lo, exec_lo, s26
	s_cbranch_execz .LBB150_1856
.LBB150_1873:
	v_cmp_ne_u16_e32 vcc_lo, 0, v2
	v_mov_b32_e32 v5, 0
	s_and_not1_b32 s25, s25, exec_lo
	s_and_b32 s27, vcc_lo, exec_lo
	s_delay_alu instid0(SALU_CYCLE_1)
	s_or_b32 s25, s25, s27
	s_or_b32 exec_lo, exec_lo, s26
	s_and_saveexec_b32 s26, s25
	s_cbranch_execnz .LBB150_1857
	s_branch .LBB150_1858
.LBB150_1874:
	s_mov_b32 s24, -1
                                        ; implicit-def: $vgpr5
	s_branch .LBB150_1879
.LBB150_1875:
	s_mov_b32 s24, -1
                                        ; implicit-def: $vgpr5
.LBB150_1876:
	s_delay_alu instid0(SALU_CYCLE_1)
	s_and_b32 vcc_lo, exec_lo, s24
	s_cbranch_vccz .LBB150_1878
; %bb.1877:
	s_wait_loadcnt 0x0
	global_load_u8 v2, v[0:1], off
	s_wait_loadcnt 0x0
	v_lshlrev_b32_e32 v2, 24, v2
	s_delay_alu instid0(VALU_DEP_1) | instskip(NEXT) | instid1(VALU_DEP_1)
	v_and_b32_e32 v5, 0x7f000000, v2
	v_clz_i32_u32_e32 v6, v5
	v_add_nc_u32_e32 v9, 0x1000000, v5
	v_cmp_ne_u32_e32 vcc_lo, 0, v5
	s_delay_alu instid0(VALU_DEP_3) | instskip(NEXT) | instid1(VALU_DEP_1)
	v_min_u32_e32 v6, 32, v6
	v_sub_nc_u32_e64 v6, v6, 4 clamp
	s_delay_alu instid0(VALU_DEP_1) | instskip(NEXT) | instid1(VALU_DEP_1)
	v_dual_lshlrev_b32 v7, v6, v5 :: v_dual_lshlrev_b32 v6, 23, v6
	v_lshrrev_b32_e32 v7, 4, v7
	s_delay_alu instid0(VALU_DEP_1) | instskip(NEXT) | instid1(VALU_DEP_1)
	v_dual_sub_nc_u32 v6, v7, v6 :: v_dual_ashrrev_i32 v7, 8, v9
	v_add_nc_u32_e32 v6, 0x3c000000, v6
	s_delay_alu instid0(VALU_DEP_1) | instskip(NEXT) | instid1(VALU_DEP_1)
	v_and_or_b32 v6, 0x7f800000, v7, v6
	v_cndmask_b32_e32 v5, 0, v6, vcc_lo
	s_delay_alu instid0(VALU_DEP_1)
	v_and_or_b32 v5, 0x80000000, v2, v5
.LBB150_1878:
	s_mov_b32 s24, 0
.LBB150_1879:
	s_delay_alu instid0(SALU_CYCLE_1)
	s_and_not1_b32 vcc_lo, exec_lo, s24
	s_cbranch_vccnz .LBB150_1881
; %bb.1880:
	s_wait_loadcnt 0x0
	global_load_u8 v2, v[0:1], off
	s_wait_loadcnt 0x0
	v_lshlrev_b32_e32 v5, 25, v2
	v_lshlrev_b16 v2, 8, v2
	s_delay_alu instid0(VALU_DEP_1) | instskip(SKIP_1) | instid1(VALU_DEP_2)
	v_and_or_b32 v7, 0x7f00, v2, 0.5
	v_bfe_i32 v2, v2, 0, 16
	v_dual_add_f32 v7, -0.5, v7 :: v_dual_lshrrev_b32 v6, 4, v5
	v_cmp_gt_u32_e32 vcc_lo, 0x8000000, v5
	s_delay_alu instid0(VALU_DEP_2) | instskip(NEXT) | instid1(VALU_DEP_1)
	v_or_b32_e32 v6, 0x70000000, v6
	v_mul_f32_e32 v6, 0x7800000, v6
	s_delay_alu instid0(VALU_DEP_1) | instskip(NEXT) | instid1(VALU_DEP_1)
	v_cndmask_b32_e32 v5, v6, v7, vcc_lo
	v_and_or_b32 v5, 0x80000000, v2, v5
.LBB150_1881:
	s_mov_b32 s24, 0
	s_mov_b32 s25, -1
.LBB150_1882:
	s_and_not1_b32 vcc_lo, exec_lo, s24
	s_mov_b32 s24, 0
	s_cbranch_vccnz .LBB150_1893
; %bb.1883:
	s_cmp_gt_i32 s22, 14
	s_cbranch_scc0 .LBB150_1886
; %bb.1884:
	s_cmp_eq_u32 s22, 15
	s_cbranch_scc0 .LBB150_1889
; %bb.1885:
	s_wait_loadcnt 0x0
	global_load_u16 v2, v[0:1], off
	s_mov_b32 s23, 0
	s_mov_b32 s25, -1
	s_wait_loadcnt 0x0
	v_lshlrev_b32_e32 v5, 16, v2
	s_branch .LBB150_1891
.LBB150_1886:
	s_mov_b32 s24, -1
	s_branch .LBB150_1890
.LBB150_1887:
	s_or_saveexec_b32 s25, s25
	v_mov_b32_e32 v5, 0x7f800001
	s_xor_b32 exec_lo, exec_lo, s25
	s_cbranch_execz .LBB150_1868
.LBB150_1888:
	v_cmp_ne_u16_e32 vcc_lo, 0, v2
	v_mov_b32_e32 v5, 0
	s_and_not1_b32 s24, s24, exec_lo
	s_and_b32 s26, vcc_lo, exec_lo
	s_delay_alu instid0(SALU_CYCLE_1)
	s_or_b32 s24, s24, s26
	s_or_b32 exec_lo, exec_lo, s25
	s_and_saveexec_b32 s25, s24
	s_cbranch_execnz .LBB150_1869
	s_branch .LBB150_1870
.LBB150_1889:
	s_mov_b32 s23, -1
.LBB150_1890:
                                        ; implicit-def: $vgpr5
.LBB150_1891:
	s_and_b32 vcc_lo, exec_lo, s24
	s_mov_b32 s24, 0
	s_cbranch_vccz .LBB150_1893
; %bb.1892:
	s_cmp_lg_u32 s22, 11
	s_mov_b32 s24, -1
	s_cselect_b32 s22, -1, 0
	s_and_not1_b32 s23, s23, exec_lo
	s_and_b32 s22, s22, exec_lo
	s_delay_alu instid0(SALU_CYCLE_1)
	s_or_b32 s23, s23, s22
.LBB150_1893:
	s_mov_b32 s22, 0
.LBB150_1894:
	s_and_not1_b32 s21, s21, exec_lo
	s_and_b32 s26, s23, exec_lo
	s_and_b32 s25, s25, exec_lo
	;; [unrolled: 1-line block ×4, first 2 shown]
	s_or_b32 s21, s21, s26
	s_wait_xcnt 0x0
	s_or_b32 exec_lo, exec_lo, s0
	s_and_saveexec_b32 s0, s21
	s_cbranch_execz .LBB150_1823
.LBB150_1895:
	s_or_b32 s20, s20, exec_lo
	s_and_not1_b32 s23, s23, exec_lo
	s_trap 2
	s_or_b32 exec_lo, exec_lo, s0
	s_and_saveexec_b32 s0, s23
	s_delay_alu instid0(SALU_CYCLE_1)
	s_xor_b32 s0, exec_lo, s0
	s_cbranch_execnz .LBB150_1824
.LBB150_1896:
	s_or_b32 exec_lo, exec_lo, s0
	s_and_saveexec_b32 s0, s22
	s_cbranch_execz .LBB150_1942
.LBB150_1897:
	s_sext_i32_i16 s21, s1
	s_delay_alu instid0(SALU_CYCLE_1)
	s_cmp_lt_i32 s21, 5
	s_cbranch_scc1 .LBB150_1902
; %bb.1898:
	s_cmp_lt_i32 s21, 8
	s_cbranch_scc1 .LBB150_1903
; %bb.1899:
	;; [unrolled: 3-line block ×3, first 2 shown]
	s_cmp_gt_i32 s21, 9
	s_cbranch_scc0 .LBB150_1905
; %bb.1901:
	global_load_b64 v[6:7], v[0:1], off
	s_mov_b32 s21, 0
	s_wait_loadcnt 0x0
	v_cvt_f32_f64_e32 v5, v[6:7]
	s_branch .LBB150_1906
.LBB150_1902:
                                        ; implicit-def: $vgpr5
	s_branch .LBB150_1923
.LBB150_1903:
                                        ; implicit-def: $vgpr5
	s_branch .LBB150_1912
.LBB150_1904:
	s_mov_b32 s21, -1
                                        ; implicit-def: $vgpr5
	s_branch .LBB150_1909
.LBB150_1905:
	s_mov_b32 s21, -1
                                        ; implicit-def: $vgpr5
.LBB150_1906:
	s_delay_alu instid0(SALU_CYCLE_1)
	s_and_not1_b32 vcc_lo, exec_lo, s21
	s_cbranch_vccnz .LBB150_1908
; %bb.1907:
	global_load_b32 v5, v[0:1], off
.LBB150_1908:
	s_mov_b32 s21, 0
.LBB150_1909:
	s_delay_alu instid0(SALU_CYCLE_1)
	s_and_not1_b32 vcc_lo, exec_lo, s21
	s_cbranch_vccnz .LBB150_1911
; %bb.1910:
	s_wait_loadcnt 0x0
	global_load_b32 v2, v[0:1], off
	s_wait_loadcnt 0x0
	v_cvt_f32_f16_e32 v5, v2
.LBB150_1911:
	s_cbranch_execnz .LBB150_1922
.LBB150_1912:
	s_sext_i32_i16 s21, s1
	s_delay_alu instid0(SALU_CYCLE_1)
	s_cmp_lt_i32 s21, 6
	s_cbranch_scc1 .LBB150_1915
; %bb.1913:
	s_cmp_gt_i32 s21, 6
	s_cbranch_scc0 .LBB150_1916
; %bb.1914:
	global_load_b64 v[6:7], v[0:1], off
	s_mov_b32 s21, 0
	s_wait_loadcnt 0x0
	v_cvt_f32_f64_e32 v5, v[6:7]
	s_branch .LBB150_1917
.LBB150_1915:
	s_mov_b32 s21, -1
                                        ; implicit-def: $vgpr5
	s_branch .LBB150_1920
.LBB150_1916:
	s_mov_b32 s21, -1
                                        ; implicit-def: $vgpr5
.LBB150_1917:
	s_delay_alu instid0(SALU_CYCLE_1)
	s_and_not1_b32 vcc_lo, exec_lo, s21
	s_cbranch_vccnz .LBB150_1919
; %bb.1918:
	s_wait_loadcnt 0x0
	global_load_b32 v5, v[0:1], off
.LBB150_1919:
	s_mov_b32 s21, 0
.LBB150_1920:
	s_delay_alu instid0(SALU_CYCLE_1)
	s_and_not1_b32 vcc_lo, exec_lo, s21
	s_cbranch_vccnz .LBB150_1922
; %bb.1921:
	s_wait_loadcnt 0x0
	global_load_u16 v2, v[0:1], off
	s_wait_loadcnt 0x0
	v_cvt_f32_f16_e32 v5, v2
.LBB150_1922:
	s_cbranch_execnz .LBB150_1941
.LBB150_1923:
	s_sext_i32_i16 s21, s1
	s_delay_alu instid0(SALU_CYCLE_1)
	s_cmp_lt_i32 s21, 2
	s_cbranch_scc1 .LBB150_1927
; %bb.1924:
	s_cmp_lt_i32 s21, 3
	s_cbranch_scc1 .LBB150_1928
; %bb.1925:
	s_cmp_gt_i32 s21, 3
	s_cbranch_scc0 .LBB150_1929
; %bb.1926:
	global_load_b64 v[6:7], v[0:1], off
	s_mov_b32 s21, 0
	s_wait_loadcnt 0x0
	v_xor_b32_e32 v2, v6, v7
	v_cls_i32_e32 v5, v7
	s_delay_alu instid0(VALU_DEP_2) | instskip(NEXT) | instid1(VALU_DEP_1)
	v_ashrrev_i32_e32 v2, 31, v2
	v_add_nc_u32_e32 v2, 32, v2
	s_delay_alu instid0(VALU_DEP_1) | instskip(NEXT) | instid1(VALU_DEP_1)
	v_add_min_u32_e64 v2, v5, -1, v2
	v_lshlrev_b64_e32 v[6:7], v2, v[6:7]
	v_sub_nc_u32_e32 v2, 32, v2
	s_delay_alu instid0(VALU_DEP_2) | instskip(NEXT) | instid1(VALU_DEP_1)
	v_min_u32_e32 v5, 1, v6
	v_or_b32_e32 v5, v7, v5
	s_delay_alu instid0(VALU_DEP_1) | instskip(NEXT) | instid1(VALU_DEP_1)
	v_cvt_f32_i32_e32 v5, v5
	v_ldexp_f32 v5, v5, v2
	s_branch .LBB150_1930
.LBB150_1927:
                                        ; implicit-def: $vgpr5
	s_branch .LBB150_1936
.LBB150_1928:
	s_mov_b32 s21, -1
                                        ; implicit-def: $vgpr5
	s_branch .LBB150_1933
.LBB150_1929:
	s_mov_b32 s21, -1
                                        ; implicit-def: $vgpr5
.LBB150_1930:
	s_delay_alu instid0(SALU_CYCLE_1)
	s_and_not1_b32 vcc_lo, exec_lo, s21
	s_cbranch_vccnz .LBB150_1932
; %bb.1931:
	s_wait_loadcnt 0x0
	global_load_b32 v2, v[0:1], off
	s_wait_loadcnt 0x0
	v_cvt_f32_i32_e32 v5, v2
.LBB150_1932:
	s_mov_b32 s21, 0
.LBB150_1933:
	s_delay_alu instid0(SALU_CYCLE_1)
	s_and_not1_b32 vcc_lo, exec_lo, s21
	s_cbranch_vccnz .LBB150_1935
; %bb.1934:
	s_wait_loadcnt 0x0
	global_load_i16 v2, v[0:1], off
	s_wait_loadcnt 0x0
	v_cvt_f32_i32_e32 v5, v2
.LBB150_1935:
	s_cbranch_execnz .LBB150_1941
.LBB150_1936:
	s_sext_i32_i16 s21, s1
	s_delay_alu instid0(SALU_CYCLE_1)
	s_cmp_gt_i32 s21, 0
	s_mov_b32 s21, 0
	s_cbranch_scc0 .LBB150_1938
; %bb.1937:
	s_wait_loadcnt 0x0
	global_load_i8 v2, v[0:1], off
	s_wait_loadcnt 0x0
	v_cvt_f32_i32_e32 v5, v2
	s_branch .LBB150_1939
.LBB150_1938:
	s_mov_b32 s21, -1
                                        ; implicit-def: $vgpr5
.LBB150_1939:
	s_delay_alu instid0(SALU_CYCLE_1)
	s_and_not1_b32 vcc_lo, exec_lo, s21
	s_cbranch_vccnz .LBB150_1941
; %bb.1940:
	global_load_u8 v0, v[0:1], off
	s_wait_loadcnt 0x0
	v_cvt_f32_ubyte0_e32 v5, v0
.LBB150_1941:
	s_or_b32 s25, s25, exec_lo
.LBB150_1942:
	s_wait_xcnt 0x0
	s_or_b32 exec_lo, exec_lo, s0
	s_mov_b32 s0, 0
	s_mov_b32 s23, 0
                                        ; implicit-def: $sgpr21
                                        ; implicit-def: $vgpr0_vgpr1
                                        ; implicit-def: $vgpr2
	s_and_saveexec_b32 s22, s25
	s_cbranch_execz .LBB150_1950
; %bb.1943:
	s_wait_loadcnt 0x0
	v_dual_max_num_f32 v1, v4, v4 :: v_dual_max_num_f32 v2, v3, v3
	v_mul_lo_u32 v0, v8, s12
	s_delay_alu instid0(VALU_DEP_3) | instskip(SKIP_2) | instid1(SALU_CYCLE_1)
	v_max_num_f32_e32 v6, v5, v5
	v_cmp_u_f32_e32 vcc_lo, v5, v5
	s_and_b32 s21, s2, 0xff
	s_cmp_lt_i32 s21, 11
	s_delay_alu instid0(VALU_DEP_2) | instskip(NEXT) | instid1(VALU_DEP_1)
	v_maxmin_num_f32 v1, v2, v1, v6
	v_cndmask_b32_e32 v2, v1, v5, vcc_lo
	v_cmp_u_f32_e32 vcc_lo, v4, v4
	v_ashrrev_i32_e32 v1, 31, v0
	s_delay_alu instid0(VALU_DEP_3) | instskip(SKIP_1) | instid1(VALU_DEP_3)
	v_cndmask_b32_e32 v2, v2, v4, vcc_lo
	v_cmp_u_f32_e32 vcc_lo, v3, v3
	v_add_nc_u64_e32 v[0:1], s[4:5], v[0:1]
	s_delay_alu instid0(VALU_DEP_3)
	v_cndmask_b32_e32 v2, v2, v3, vcc_lo
	s_cbranch_scc1 .LBB150_1953
; %bb.1944:
	s_and_b32 s23, 0xffff, s21
	s_mov_b32 s24, -1
	s_cmp_gt_i32 s23, 25
	s_mov_b32 s0, s19
	s_cbranch_scc0 .LBB150_1981
; %bb.1945:
	s_cmp_gt_i32 s23, 28
	s_mov_b32 s0, s19
	s_cbranch_scc0 .LBB150_1965
; %bb.1946:
	;; [unrolled: 4-line block ×4, first 2 shown]
	s_cmp_eq_u32 s23, 46
	s_mov_b32 s0, -1
	s_cbranch_scc0 .LBB150_1954
; %bb.1949:
	v_bfe_u32 v3, v2, 16, 1
	v_cmp_o_f32_e32 vcc_lo, v2, v2
	s_mov_b32 s0, 0
	s_mov_b32 s24, 0
	s_delay_alu instid0(VALU_DEP_2) | instskip(NEXT) | instid1(VALU_DEP_1)
	v_add3_u32 v3, v2, v3, 0x7fff
	v_lshrrev_b32_e32 v3, 16, v3
	s_delay_alu instid0(VALU_DEP_1)
	v_cndmask_b32_e32 v3, 0x7fc0, v3, vcc_lo
	global_store_b32 v[0:1], v3, off
	s_branch .LBB150_1955
.LBB150_1950:
	s_or_b32 exec_lo, exec_lo, s22
	s_and_saveexec_b32 s22, s19
	s_cbranch_execnz .LBB150_2023
.LBB150_1951:
	s_or_b32 exec_lo, exec_lo, s22
	s_and_saveexec_b32 s19, s0
	s_delay_alu instid0(SALU_CYCLE_1)
	s_xor_b32 s0, exec_lo, s19
	s_cbranch_execz .LBB150_2024
.LBB150_1952:
	s_wait_loadcnt 0x0
	v_cmp_neq_f32_e32 vcc_lo, 0, v2
	v_cndmask_b32_e64 v3, 0, 1, vcc_lo
	global_store_b8 v[0:1], v3, off
	s_wait_xcnt 0x0
	s_or_b32 exec_lo, exec_lo, s0
	s_and_saveexec_b32 s0, s23
	s_delay_alu instid0(SALU_CYCLE_1)
	s_xor_b32 s0, exec_lo, s0
	s_cbranch_execz .LBB150_2062
	s_branch .LBB150_2025
.LBB150_1953:
	s_mov_b32 s25, 0
	s_mov_b32 s24, -1
	s_mov_b32 s0, s19
	s_branch .LBB150_2022
.LBB150_1954:
	s_mov_b32 s24, 0
.LBB150_1955:
	s_delay_alu instid0(SALU_CYCLE_1)
	s_and_b32 vcc_lo, exec_lo, s24
	s_cbranch_vccz .LBB150_1960
; %bb.1956:
	s_cmp_eq_u32 s23, 44
	s_mov_b32 s0, -1
	s_cbranch_scc0 .LBB150_1960
; %bb.1957:
	v_bfe_u32 v4, v2, 23, 8
	s_wait_xcnt 0x0
	v_mov_b32_e32 v3, 0xff
	s_mov_b32 s24, exec_lo
	s_delay_alu instid0(VALU_DEP_2)
	v_cmpx_ne_u32_e32 0xff, v4
	s_cbranch_execz .LBB150_1959
; %bb.1958:
	v_and_b32_e32 v3, 0x400000, v2
	v_and_or_b32 v4, 0x3fffff, v2, v4
	s_delay_alu instid0(VALU_DEP_2) | instskip(NEXT) | instid1(VALU_DEP_2)
	v_cmp_ne_u32_e32 vcc_lo, 0, v3
	v_cmp_ne_u32_e64 s0, 0, v4
	v_lshrrev_b32_e32 v3, 23, v2
	s_and_b32 s0, vcc_lo, s0
	s_delay_alu instid0(SALU_CYCLE_1) | instskip(NEXT) | instid1(VALU_DEP_1)
	v_cndmask_b32_e64 v4, 0, 1, s0
	v_add_nc_u32_e32 v3, v3, v4
.LBB150_1959:
	s_or_b32 exec_lo, exec_lo, s24
	s_mov_b32 s0, 0
	global_store_b8 v[0:1], v3, off
.LBB150_1960:
	s_mov_b32 s24, 0
.LBB150_1961:
	s_delay_alu instid0(SALU_CYCLE_1)
	s_and_b32 vcc_lo, exec_lo, s24
	s_cbranch_vccz .LBB150_1964
; %bb.1962:
	s_cmp_eq_u32 s23, 29
	s_mov_b32 s0, -1
	s_cbranch_scc0 .LBB150_1964
; %bb.1963:
	s_wait_xcnt 0x0
	v_trunc_f32_e32 v3, v2
	s_mov_b32 s0, 0
	s_mov_b32 s24, 0
	s_delay_alu instid0(VALU_DEP_1) | instskip(NEXT) | instid1(VALU_DEP_1)
	v_mul_f32_e32 v4, 0x2f800000, v3
	v_floor_f32_e32 v4, v4
	s_delay_alu instid0(VALU_DEP_1) | instskip(SKIP_1) | instid1(VALU_DEP_2)
	v_fmamk_f32 v3, v4, 0xcf800000, v3
	v_cvt_u32_f32_e32 v5, v4
	v_cvt_u32_f32_e32 v4, v3
	global_store_b64 v[0:1], v[4:5], off
	s_branch .LBB150_1965
.LBB150_1964:
	s_mov_b32 s24, 0
.LBB150_1965:
	s_delay_alu instid0(SALU_CYCLE_1)
	s_and_b32 vcc_lo, exec_lo, s24
	s_cbranch_vccz .LBB150_1980
; %bb.1966:
	s_cmp_lt_i32 s23, 27
	s_mov_b32 s24, -1
	s_cbranch_scc1 .LBB150_1972
; %bb.1967:
	s_wait_xcnt 0x0
	v_cvt_u32_f32_e32 v3, v2
	s_cmp_gt_i32 s23, 27
	s_cbranch_scc0 .LBB150_1969
; %bb.1968:
	s_mov_b32 s24, 0
	global_store_b32 v[0:1], v3, off
.LBB150_1969:
	s_and_not1_b32 vcc_lo, exec_lo, s24
	s_cbranch_vccnz .LBB150_1971
; %bb.1970:
	global_store_b16 v[0:1], v3, off
.LBB150_1971:
	s_mov_b32 s24, 0
.LBB150_1972:
	s_delay_alu instid0(SALU_CYCLE_1)
	s_and_not1_b32 vcc_lo, exec_lo, s24
	s_cbranch_vccnz .LBB150_1980
; %bb.1973:
	s_wait_xcnt 0x0
	v_and_b32_e32 v3, 0x7fffffff, v2
	v_mov_b32_e32 v4, 0x80
	s_mov_b32 s24, exec_lo
	s_delay_alu instid0(VALU_DEP_2)
	v_cmpx_gt_u32_e32 0x43800000, v3
	s_cbranch_execz .LBB150_1979
; %bb.1974:
	v_cmp_lt_u32_e32 vcc_lo, 0x3bffffff, v3
	s_mov_b32 s25, 0
                                        ; implicit-def: $vgpr3
	s_and_saveexec_b32 s26, vcc_lo
	s_delay_alu instid0(SALU_CYCLE_1)
	s_xor_b32 s26, exec_lo, s26
	s_cbranch_execz .LBB150_2077
; %bb.1975:
	v_bfe_u32 v3, v2, 20, 1
	s_mov_b32 s25, exec_lo
	s_delay_alu instid0(VALU_DEP_1) | instskip(NEXT) | instid1(VALU_DEP_1)
	v_add3_u32 v3, v2, v3, 0x487ffff
	v_lshrrev_b32_e32 v3, 20, v3
	s_and_not1_saveexec_b32 s26, s26
	s_cbranch_execnz .LBB150_2078
.LBB150_1976:
	s_or_b32 exec_lo, exec_lo, s26
	v_mov_b32_e32 v4, 0
	s_and_saveexec_b32 s26, s25
.LBB150_1977:
	v_lshrrev_b32_e32 v4, 24, v2
	s_delay_alu instid0(VALU_DEP_1)
	v_and_or_b32 v4, 0x80, v4, v3
.LBB150_1978:
	s_or_b32 exec_lo, exec_lo, s26
.LBB150_1979:
	s_delay_alu instid0(SALU_CYCLE_1)
	s_or_b32 exec_lo, exec_lo, s24
	global_store_b8 v[0:1], v4, off
.LBB150_1980:
	s_mov_b32 s24, 0
.LBB150_1981:
	s_delay_alu instid0(SALU_CYCLE_1)
	s_and_b32 vcc_lo, exec_lo, s24
	s_mov_b32 s24, 0
	s_cbranch_vccz .LBB150_2021
; %bb.1982:
	s_cmp_gt_i32 s23, 22
	s_mov_b32 s25, -1
	s_cbranch_scc0 .LBB150_2014
; %bb.1983:
	s_cmp_lt_i32 s23, 24
	s_cbranch_scc1 .LBB150_2003
; %bb.1984:
	s_cmp_gt_i32 s23, 24
	s_cbranch_scc0 .LBB150_1992
; %bb.1985:
	s_wait_xcnt 0x0
	v_and_b32_e32 v3, 0x7fffffff, v2
	v_mov_b32_e32 v4, 0x80
	s_mov_b32 s25, exec_lo
	s_delay_alu instid0(VALU_DEP_2)
	v_cmpx_gt_u32_e32 0x47800000, v3
	s_cbranch_execz .LBB150_1991
; %bb.1986:
	v_cmp_lt_u32_e32 vcc_lo, 0x37ffffff, v3
	s_mov_b32 s26, 0
                                        ; implicit-def: $vgpr3
	s_and_saveexec_b32 s27, vcc_lo
	s_delay_alu instid0(SALU_CYCLE_1)
	s_xor_b32 s27, exec_lo, s27
	s_cbranch_execz .LBB150_2203
; %bb.1987:
	v_bfe_u32 v3, v2, 21, 1
	s_mov_b32 s26, exec_lo
	s_delay_alu instid0(VALU_DEP_1) | instskip(NEXT) | instid1(VALU_DEP_1)
	v_add3_u32 v3, v2, v3, 0x88fffff
	v_lshrrev_b32_e32 v3, 21, v3
	s_and_not1_saveexec_b32 s27, s27
	s_cbranch_execnz .LBB150_2204
.LBB150_1988:
	s_or_b32 exec_lo, exec_lo, s27
	v_mov_b32_e32 v4, 0
	s_and_saveexec_b32 s27, s26
.LBB150_1989:
	v_lshrrev_b32_e32 v4, 24, v2
	s_delay_alu instid0(VALU_DEP_1)
	v_and_or_b32 v4, 0x80, v4, v3
.LBB150_1990:
	s_or_b32 exec_lo, exec_lo, s27
.LBB150_1991:
	s_delay_alu instid0(SALU_CYCLE_1)
	s_or_b32 exec_lo, exec_lo, s25
	s_mov_b32 s25, 0
	global_store_b8 v[0:1], v4, off
.LBB150_1992:
	s_and_b32 vcc_lo, exec_lo, s25
	s_cbranch_vccz .LBB150_2002
; %bb.1993:
	s_wait_xcnt 0x0
	v_and_b32_e32 v4, 0x7fffffff, v2
	s_mov_b32 s25, exec_lo
                                        ; implicit-def: $vgpr3
	s_delay_alu instid0(VALU_DEP_1)
	v_cmpx_gt_u32_e32 0x43f00000, v4
	s_xor_b32 s25, exec_lo, s25
	s_cbranch_execz .LBB150_1999
; %bb.1994:
	s_mov_b32 s26, exec_lo
                                        ; implicit-def: $vgpr3
	v_cmpx_lt_u32_e32 0x3c7fffff, v4
	s_xor_b32 s26, exec_lo, s26
; %bb.1995:
	v_bfe_u32 v3, v2, 20, 1
	s_delay_alu instid0(VALU_DEP_1) | instskip(NEXT) | instid1(VALU_DEP_1)
	v_add3_u32 v3, v2, v3, 0x407ffff
	v_and_b32_e32 v4, 0xff00000, v3
	v_lshrrev_b32_e32 v3, 20, v3
	s_delay_alu instid0(VALU_DEP_2) | instskip(NEXT) | instid1(VALU_DEP_2)
	v_cmp_ne_u32_e32 vcc_lo, 0x7f00000, v4
	v_cndmask_b32_e32 v3, 0x7e, v3, vcc_lo
; %bb.1996:
	s_and_not1_saveexec_b32 s26, s26
; %bb.1997:
	v_add_f32_e64 v3, 0x46800000, |v2|
; %bb.1998:
	s_or_b32 exec_lo, exec_lo, s26
                                        ; implicit-def: $vgpr4
.LBB150_1999:
	s_and_not1_saveexec_b32 s25, s25
; %bb.2000:
	v_mov_b32_e32 v3, 0x7f
	v_cmp_lt_u32_e32 vcc_lo, 0x7f800000, v4
	s_delay_alu instid0(VALU_DEP_2)
	v_cndmask_b32_e32 v3, 0x7e, v3, vcc_lo
; %bb.2001:
	s_or_b32 exec_lo, exec_lo, s25
	v_lshrrev_b32_e32 v4, 24, v2
	s_delay_alu instid0(VALU_DEP_1)
	v_and_or_b32 v3, 0x80, v4, v3
	global_store_b8 v[0:1], v3, off
.LBB150_2002:
	s_mov_b32 s25, 0
.LBB150_2003:
	s_delay_alu instid0(SALU_CYCLE_1)
	s_and_not1_b32 vcc_lo, exec_lo, s25
	s_cbranch_vccnz .LBB150_2013
; %bb.2004:
	s_wait_xcnt 0x0
	v_and_b32_e32 v4, 0x7fffffff, v2
	s_mov_b32 s25, exec_lo
                                        ; implicit-def: $vgpr3
	s_delay_alu instid0(VALU_DEP_1)
	v_cmpx_gt_u32_e32 0x47800000, v4
	s_xor_b32 s25, exec_lo, s25
	s_cbranch_execz .LBB150_2010
; %bb.2005:
	s_mov_b32 s26, exec_lo
                                        ; implicit-def: $vgpr3
	v_cmpx_lt_u32_e32 0x387fffff, v4
	s_xor_b32 s26, exec_lo, s26
; %bb.2006:
	v_bfe_u32 v3, v2, 21, 1
	s_delay_alu instid0(VALU_DEP_1) | instskip(NEXT) | instid1(VALU_DEP_1)
	v_add3_u32 v3, v2, v3, 0x80fffff
	v_lshrrev_b32_e32 v3, 21, v3
; %bb.2007:
	s_and_not1_saveexec_b32 s26, s26
; %bb.2008:
	v_add_f32_e64 v3, 0x43000000, |v2|
; %bb.2009:
	s_or_b32 exec_lo, exec_lo, s26
                                        ; implicit-def: $vgpr4
.LBB150_2010:
	s_and_not1_saveexec_b32 s25, s25
; %bb.2011:
	v_mov_b32_e32 v3, 0x7f
	v_cmp_lt_u32_e32 vcc_lo, 0x7f800000, v4
	s_delay_alu instid0(VALU_DEP_2)
	v_cndmask_b32_e32 v3, 0x7c, v3, vcc_lo
; %bb.2012:
	s_or_b32 exec_lo, exec_lo, s25
	v_lshrrev_b32_e32 v4, 24, v2
	s_delay_alu instid0(VALU_DEP_1)
	v_and_or_b32 v3, 0x80, v4, v3
	global_store_b8 v[0:1], v3, off
.LBB150_2013:
	s_mov_b32 s25, 0
.LBB150_2014:
	s_delay_alu instid0(SALU_CYCLE_1)
	s_and_not1_b32 vcc_lo, exec_lo, s25
	s_mov_b32 s25, 0
	s_cbranch_vccnz .LBB150_2022
; %bb.2015:
	s_cmp_gt_i32 s23, 14
	s_mov_b32 s25, -1
	s_cbranch_scc0 .LBB150_2019
; %bb.2016:
	s_cmp_eq_u32 s23, 15
	s_mov_b32 s0, -1
	s_cbranch_scc0 .LBB150_2018
; %bb.2017:
	s_wait_xcnt 0x0
	v_bfe_u32 v3, v2, 16, 1
	v_cmp_o_f32_e32 vcc_lo, v2, v2
	s_mov_b32 s0, 0
	s_delay_alu instid0(VALU_DEP_2) | instskip(NEXT) | instid1(VALU_DEP_1)
	v_add3_u32 v3, v2, v3, 0x7fff
	v_lshrrev_b32_e32 v3, 16, v3
	s_delay_alu instid0(VALU_DEP_1)
	v_cndmask_b32_e32 v3, 0x7fc0, v3, vcc_lo
	global_store_b16 v[0:1], v3, off
.LBB150_2018:
	s_mov_b32 s25, 0
.LBB150_2019:
	s_delay_alu instid0(SALU_CYCLE_1)
	s_and_b32 vcc_lo, exec_lo, s25
	s_mov_b32 s25, 0
	s_cbranch_vccz .LBB150_2022
; %bb.2020:
	s_cmp_lg_u32 s23, 11
	s_mov_b32 s25, -1
	s_cselect_b32 s23, -1, 0
	s_and_not1_b32 s0, s0, exec_lo
	s_and_b32 s23, s23, exec_lo
	s_delay_alu instid0(SALU_CYCLE_1)
	s_or_b32 s0, s0, s23
	s_branch .LBB150_2022
.LBB150_2021:
	s_mov_b32 s25, 0
.LBB150_2022:
	s_and_b32 s23, s24, exec_lo
	s_and_not1_b32 s19, s19, exec_lo
	s_and_b32 s24, s0, exec_lo
	s_and_b32 s0, s25, exec_lo
	s_or_b32 s19, s19, s24
	s_wait_xcnt 0x0
	s_or_b32 exec_lo, exec_lo, s22
	s_and_saveexec_b32 s22, s19
	s_cbranch_execz .LBB150_1951
.LBB150_2023:
	s_or_b32 s20, s20, exec_lo
	s_and_not1_b32 s0, s0, exec_lo
	s_trap 2
	s_or_b32 exec_lo, exec_lo, s22
	s_and_saveexec_b32 s19, s0
	s_delay_alu instid0(SALU_CYCLE_1)
	s_xor_b32 s0, exec_lo, s19
	s_cbranch_execnz .LBB150_1952
.LBB150_2024:
	s_or_b32 exec_lo, exec_lo, s0
	s_and_saveexec_b32 s0, s23
	s_delay_alu instid0(SALU_CYCLE_1)
	s_xor_b32 s0, exec_lo, s0
	s_cbranch_execz .LBB150_2062
.LBB150_2025:
	s_sext_i32_i16 s22, s21
	s_mov_b32 s19, -1
	s_cmp_lt_i32 s22, 5
	s_cbranch_scc1 .LBB150_2046
; %bb.2026:
	s_cmp_lt_i32 s22, 8
	s_cbranch_scc1 .LBB150_2036
; %bb.2027:
	;; [unrolled: 3-line block ×3, first 2 shown]
	s_cmp_gt_i32 s22, 9
	s_cbranch_scc0 .LBB150_2030
; %bb.2029:
	s_wait_loadcnt 0x0
	v_cvt_f64_f32_e32 v[4:5], v2
	v_mov_b32_e32 v6, 0
	s_mov_b32 s19, 0
	s_delay_alu instid0(VALU_DEP_1)
	v_mov_b32_e32 v7, v6
	global_store_b128 v[0:1], v[4:7], off
.LBB150_2030:
	s_and_not1_b32 vcc_lo, exec_lo, s19
	s_cbranch_vccnz .LBB150_2032
; %bb.2031:
	s_wait_loadcnt 0x0
	v_mov_b32_e32 v3, 0
	global_store_b64 v[0:1], v[2:3], off
.LBB150_2032:
	s_mov_b32 s19, 0
.LBB150_2033:
	s_delay_alu instid0(SALU_CYCLE_1)
	s_and_not1_b32 vcc_lo, exec_lo, s19
	s_cbranch_vccnz .LBB150_2035
; %bb.2034:
	s_wait_loadcnt 0x0
	v_cvt_f16_f32_e32 v3, v2
	s_delay_alu instid0(VALU_DEP_1)
	v_and_b32_e32 v3, 0xffff, v3
	global_store_b32 v[0:1], v3, off
.LBB150_2035:
	s_mov_b32 s19, 0
.LBB150_2036:
	s_delay_alu instid0(SALU_CYCLE_1)
	s_and_not1_b32 vcc_lo, exec_lo, s19
	s_cbranch_vccnz .LBB150_2045
; %bb.2037:
	s_sext_i32_i16 s22, s21
	s_mov_b32 s19, -1
	s_cmp_lt_i32 s22, 6
	s_cbranch_scc1 .LBB150_2043
; %bb.2038:
	s_cmp_gt_i32 s22, 6
	s_cbranch_scc0 .LBB150_2040
; %bb.2039:
	s_wait_loadcnt 0x0
	v_cvt_f64_f32_e32 v[4:5], v2
	s_mov_b32 s19, 0
	global_store_b64 v[0:1], v[4:5], off
.LBB150_2040:
	s_and_not1_b32 vcc_lo, exec_lo, s19
	s_cbranch_vccnz .LBB150_2042
; %bb.2041:
	s_wait_loadcnt 0x0
	global_store_b32 v[0:1], v2, off
.LBB150_2042:
	s_mov_b32 s19, 0
.LBB150_2043:
	s_delay_alu instid0(SALU_CYCLE_1)
	s_and_not1_b32 vcc_lo, exec_lo, s19
	s_cbranch_vccnz .LBB150_2045
; %bb.2044:
	s_wait_loadcnt 0x0
	v_cvt_f16_f32_e32 v3, v2
	global_store_b16 v[0:1], v3, off
.LBB150_2045:
	s_mov_b32 s19, 0
.LBB150_2046:
	s_delay_alu instid0(SALU_CYCLE_1)
	s_and_not1_b32 vcc_lo, exec_lo, s19
	s_cbranch_vccnz .LBB150_2062
; %bb.2047:
	s_sext_i32_i16 s22, s21
	s_mov_b32 s19, -1
	s_cmp_lt_i32 s22, 2
	s_cbranch_scc1 .LBB150_2057
; %bb.2048:
	s_cmp_lt_i32 s22, 3
	s_cbranch_scc1 .LBB150_2054
; %bb.2049:
	s_cmp_gt_i32 s22, 3
	s_cbranch_scc0 .LBB150_2051
; %bb.2050:
	s_wait_loadcnt 0x0
	v_trunc_f32_e32 v3, v2
	s_mov_b32 s19, 0
	s_delay_alu instid0(VALU_DEP_1) | instskip(NEXT) | instid1(VALU_DEP_1)
	v_mul_f32_e64 v4, 0x2f800000, |v3|
	v_floor_f32_e32 v5, v4
	v_ashrrev_i32_e32 v4, 31, v3
	s_delay_alu instid0(VALU_DEP_2) | instskip(SKIP_1) | instid1(VALU_DEP_3)
	v_fma_f32 v6, 0xcf800000, v5, |v3|
	v_cvt_u32_f32_e32 v3, v5
	v_mov_b32_e32 v5, v4
	s_delay_alu instid0(VALU_DEP_3) | instskip(NEXT) | instid1(VALU_DEP_3)
	v_cvt_u32_f32_e32 v6, v6
	v_xor_b32_e32 v7, v3, v4
	s_delay_alu instid0(VALU_DEP_2) | instskip(NEXT) | instid1(VALU_DEP_1)
	v_xor_b32_e32 v6, v6, v4
	v_sub_nc_u64_e32 v[4:5], v[6:7], v[4:5]
	global_store_b64 v[0:1], v[4:5], off
.LBB150_2051:
	s_and_not1_b32 vcc_lo, exec_lo, s19
	s_cbranch_vccnz .LBB150_2053
; %bb.2052:
	s_wait_loadcnt 0x0
	v_cvt_i32_f32_e32 v3, v2
	global_store_b32 v[0:1], v3, off
.LBB150_2053:
	s_mov_b32 s19, 0
.LBB150_2054:
	s_delay_alu instid0(SALU_CYCLE_1)
	s_and_not1_b32 vcc_lo, exec_lo, s19
	s_cbranch_vccnz .LBB150_2056
; %bb.2055:
	s_wait_loadcnt 0x0
	v_cvt_i32_f32_e32 v3, v2
	global_store_b16 v[0:1], v3, off
.LBB150_2056:
	s_mov_b32 s19, 0
.LBB150_2057:
	s_delay_alu instid0(SALU_CYCLE_1)
	s_and_not1_b32 vcc_lo, exec_lo, s19
	s_cbranch_vccnz .LBB150_2062
; %bb.2058:
	s_sext_i32_i16 s19, s21
	s_delay_alu instid0(SALU_CYCLE_1)
	s_cmp_gt_i32 s19, 0
	s_mov_b32 s19, -1
	s_cbranch_scc0 .LBB150_2060
; %bb.2059:
	s_wait_loadcnt 0x0
	v_cvt_i32_f32_e32 v3, v2
	s_mov_b32 s19, 0
	global_store_b8 v[0:1], v3, off
.LBB150_2060:
	s_and_not1_b32 vcc_lo, exec_lo, s19
	s_cbranch_vccnz .LBB150_2062
; %bb.2061:
	s_wait_loadcnt 0x0
	v_trunc_f32_e32 v2, v2
	s_delay_alu instid0(VALU_DEP_1) | instskip(NEXT) | instid1(VALU_DEP_1)
	v_mul_f32_e64 v3, 0x2f800000, |v2|
	v_floor_f32_e32 v3, v3
	s_delay_alu instid0(VALU_DEP_1) | instskip(SKIP_1) | instid1(VALU_DEP_2)
	v_fma_f32 v3, 0xcf800000, v3, |v2|
	v_ashrrev_i32_e32 v2, 31, v2
	v_cvt_u32_f32_e32 v3, v3
	s_delay_alu instid0(VALU_DEP_1) | instskip(NEXT) | instid1(VALU_DEP_1)
	v_xor_b32_e32 v3, v3, v2
	v_sub_nc_u32_e32 v2, v3, v2
	global_store_b8 v[0:1], v2, off
.LBB150_2062:
	s_wait_xcnt 0x0
	s_or_b32 exec_lo, exec_lo, s0
	s_delay_alu instid0(SALU_CYCLE_1)
	s_and_b32 s19, s20, exec_lo
                                        ; implicit-def: $vgpr8
.LBB150_2063:
	s_or_saveexec_b32 s18, s18
	s_mov_b32 s0, 0
                                        ; implicit-def: $sgpr20
                                        ; implicit-def: $vgpr0_vgpr1
                                        ; implicit-def: $vgpr2
	s_xor_b32 exec_lo, exec_lo, s18
	s_cbranch_execz .LBB150_4067
; %bb.2064:
	v_mul_lo_u32 v0, s13, v8
	s_and_b32 s17, s17, 0xff
	s_delay_alu instid0(SALU_CYCLE_1) | instskip(NEXT) | instid1(VALU_DEP_1)
	s_cmp_lt_i32 s17, 11
	v_ashrrev_i32_e32 v1, 31, v0
	s_wait_loadcnt 0x0
	s_delay_alu instid0(VALU_DEP_1)
	v_add_nc_u64_e32 v[2:3], s[6:7], v[0:1]
	s_cbranch_scc1 .LBB150_2071
; %bb.2065:
	s_and_b32 s0, 0xffff, s17
	s_mov_b32 s20, 0
	s_cmp_gt_i32 s0, 25
	s_cbranch_scc0 .LBB150_2073
; %bb.2066:
	s_cmp_gt_i32 s0, 28
	s_cbranch_scc0 .LBB150_2074
; %bb.2067:
	;; [unrolled: 3-line block ×4, first 2 shown]
	s_cmp_eq_u32 s0, 46
	s_mov_b32 s22, 0
	s_cbranch_scc0 .LBB150_2079
; %bb.2070:
	global_load_b32 v1, v[2:3], off
	s_mov_b32 s21, -1
	s_wait_loadcnt 0x0
	v_lshlrev_b32_e32 v9, 16, v1
	s_branch .LBB150_2081
.LBB150_2071:
	s_mov_b32 s21, 0
	s_mov_b32 s16, s19
                                        ; implicit-def: $vgpr9
	s_cbranch_execnz .LBB150_2144
.LBB150_2072:
	s_and_not1_b32 vcc_lo, exec_lo, s21
	s_cbranch_vccz .LBB150_2189
	s_branch .LBB150_4065
.LBB150_2073:
	s_mov_b32 s21, 0
                                        ; implicit-def: $vgpr9
	s_cbranch_execnz .LBB150_2109
	s_branch .LBB150_2140
.LBB150_2074:
	s_mov_b32 s22, -1
	s_mov_b32 s21, 0
                                        ; implicit-def: $vgpr9
	s_branch .LBB150_2090
.LBB150_2075:
	s_mov_b32 s21, 0
                                        ; implicit-def: $vgpr9
	s_cbranch_execnz .LBB150_2086
	s_branch .LBB150_2089
.LBB150_2076:
	s_mov_b32 s22, -1
	s_branch .LBB150_2080
.LBB150_2077:
	s_and_not1_saveexec_b32 s26, s26
	s_cbranch_execz .LBB150_1976
.LBB150_2078:
	v_add_f32_e64 v3, 0x46000000, |v2|
	s_and_not1_b32 s25, s25, exec_lo
	s_delay_alu instid0(VALU_DEP_1) | instskip(NEXT) | instid1(VALU_DEP_1)
	v_and_b32_e32 v3, 0xff, v3
	v_cmp_ne_u32_e32 vcc_lo, 0, v3
	s_and_b32 s27, vcc_lo, exec_lo
	s_delay_alu instid0(SALU_CYCLE_1)
	s_or_b32 s25, s25, s27
	s_or_b32 exec_lo, exec_lo, s26
	v_mov_b32_e32 v4, 0
	s_and_saveexec_b32 s26, s25
	s_cbranch_execnz .LBB150_1977
	s_branch .LBB150_1978
.LBB150_2079:
	s_mov_b32 s16, -1
.LBB150_2080:
	s_mov_b32 s21, 0
                                        ; implicit-def: $vgpr9
.LBB150_2081:
	s_and_b32 vcc_lo, exec_lo, s22
	s_cbranch_vccz .LBB150_2084
; %bb.2082:
	s_cmp_eq_u32 s0, 44
	s_cbranch_scc0 .LBB150_2085
; %bb.2083:
	global_load_u8 v1, v[2:3], off
	s_mov_b32 s16, 0
	s_mov_b32 s21, -1
	s_wait_loadcnt 0x0
	v_lshlrev_b32_e32 v4, 23, v1
	v_cmp_ne_u32_e32 vcc_lo, 0xff, v1
	s_delay_alu instid0(VALU_DEP_2) | instskip(SKIP_1) | instid1(VALU_DEP_2)
	v_cndmask_b32_e32 v4, 0x7f800001, v4, vcc_lo
	v_cmp_ne_u32_e32 vcc_lo, 0, v1
	v_cndmask_b32_e32 v9, 0x400000, v4, vcc_lo
.LBB150_2084:
	s_branch .LBB150_2089
.LBB150_2085:
	s_mov_b32 s16, -1
                                        ; implicit-def: $vgpr9
	s_branch .LBB150_2089
.LBB150_2086:
	s_cmp_eq_u32 s0, 29
	s_cbranch_scc0 .LBB150_2088
; %bb.2087:
	global_load_b64 v[4:5], v[2:3], off
	s_mov_b32 s16, 0
	s_mov_b32 s21, -1
	s_mov_b32 s22, 0
	s_wait_loadcnt 0x0
	v_clz_i32_u32_e32 v1, v5
	s_delay_alu instid0(VALU_DEP_1) | instskip(NEXT) | instid1(VALU_DEP_1)
	v_min_u32_e32 v1, 32, v1
	v_lshlrev_b64_e32 v[4:5], v1, v[4:5]
	v_sub_nc_u32_e32 v1, 32, v1
	s_delay_alu instid0(VALU_DEP_2) | instskip(NEXT) | instid1(VALU_DEP_1)
	v_min_u32_e32 v4, 1, v4
	v_or_b32_e32 v4, v5, v4
	s_delay_alu instid0(VALU_DEP_1) | instskip(NEXT) | instid1(VALU_DEP_1)
	v_cvt_f32_u32_e32 v4, v4
	v_ldexp_f32 v9, v4, v1
	s_branch .LBB150_2090
.LBB150_2088:
	s_mov_b32 s16, -1
                                        ; implicit-def: $vgpr9
.LBB150_2089:
	s_mov_b32 s22, 0
.LBB150_2090:
	s_delay_alu instid0(SALU_CYCLE_1)
	s_and_b32 vcc_lo, exec_lo, s22
	s_cbranch_vccz .LBB150_2108
; %bb.2091:
	s_cmp_lt_i32 s0, 27
	s_cbranch_scc1 .LBB150_2094
; %bb.2092:
	s_cmp_gt_i32 s0, 27
	s_cbranch_scc0 .LBB150_2095
; %bb.2093:
	global_load_b32 v1, v[2:3], off
	s_mov_b32 s21, 0
	s_wait_loadcnt 0x0
	v_cvt_f32_u32_e32 v9, v1
	s_branch .LBB150_2096
.LBB150_2094:
	s_mov_b32 s21, -1
                                        ; implicit-def: $vgpr9
	s_branch .LBB150_2099
.LBB150_2095:
	s_mov_b32 s21, -1
                                        ; implicit-def: $vgpr9
.LBB150_2096:
	s_delay_alu instid0(SALU_CYCLE_1)
	s_and_not1_b32 vcc_lo, exec_lo, s21
	s_cbranch_vccnz .LBB150_2098
; %bb.2097:
	global_load_u16 v1, v[2:3], off
	s_wait_loadcnt 0x0
	v_cvt_f32_u32_e32 v9, v1
.LBB150_2098:
	s_mov_b32 s21, 0
.LBB150_2099:
	s_delay_alu instid0(SALU_CYCLE_1)
	s_and_not1_b32 vcc_lo, exec_lo, s21
	s_cbranch_vccnz .LBB150_2107
; %bb.2100:
	global_load_u8 v1, v[2:3], off
	s_mov_b32 s21, 0
	s_mov_b32 s22, exec_lo
	s_wait_loadcnt 0x0
	v_cmpx_lt_i16_e32 0x7f, v1
	s_xor_b32 s22, exec_lo, s22
	s_cbranch_execz .LBB150_2120
; %bb.2101:
	s_mov_b32 s21, -1
	s_mov_b32 s23, exec_lo
	v_cmpx_eq_u16_e32 0x80, v1
; %bb.2102:
	s_xor_b32 s21, exec_lo, -1
; %bb.2103:
	s_or_b32 exec_lo, exec_lo, s23
	s_delay_alu instid0(SALU_CYCLE_1)
	s_and_b32 s21, s21, exec_lo
	s_or_saveexec_b32 s22, s22
	v_mov_b32_e32 v9, 0x7f800001
	s_xor_b32 exec_lo, exec_lo, s22
	s_cbranch_execnz .LBB150_2121
.LBB150_2104:
	s_or_b32 exec_lo, exec_lo, s22
	s_and_saveexec_b32 s22, s21
	s_cbranch_execz .LBB150_2106
.LBB150_2105:
	v_and_b32_e32 v4, 0xffff, v1
	s_delay_alu instid0(VALU_DEP_1) | instskip(SKIP_1) | instid1(VALU_DEP_2)
	v_and_b32_e32 v5, 7, v4
	v_bfe_u32 v9, v4, 3, 4
	v_clz_i32_u32_e32 v6, v5
	s_delay_alu instid0(VALU_DEP_2) | instskip(NEXT) | instid1(VALU_DEP_2)
	v_cmp_eq_u32_e32 vcc_lo, 0, v9
	v_min_u32_e32 v6, 32, v6
	s_delay_alu instid0(VALU_DEP_1) | instskip(NEXT) | instid1(VALU_DEP_1)
	v_subrev_nc_u32_e32 v7, 28, v6
	v_dual_lshlrev_b32 v4, v7, v4 :: v_dual_sub_nc_u32 v6, 29, v6
	s_delay_alu instid0(VALU_DEP_1) | instskip(NEXT) | instid1(VALU_DEP_2)
	v_dual_lshlrev_b32 v1, 24, v1 :: v_dual_bitop2_b32 v4, 7, v4 bitop3:0x40
	v_cndmask_b32_e32 v6, v9, v6, vcc_lo
	s_delay_alu instid0(VALU_DEP_2) | instskip(NEXT) | instid1(VALU_DEP_3)
	v_cndmask_b32_e32 v4, v5, v4, vcc_lo
	v_and_b32_e32 v1, 0x80000000, v1
	s_delay_alu instid0(VALU_DEP_3) | instskip(NEXT) | instid1(VALU_DEP_3)
	v_lshl_add_u32 v5, v6, 23, 0x3b800000
	v_lshlrev_b32_e32 v4, 20, v4
	s_delay_alu instid0(VALU_DEP_1)
	v_or3_b32 v9, v1, v5, v4
.LBB150_2106:
	s_or_b32 exec_lo, exec_lo, s22
.LBB150_2107:
	s_mov_b32 s21, -1
.LBB150_2108:
	s_branch .LBB150_2140
.LBB150_2109:
	s_cmp_gt_i32 s0, 22
	s_cbranch_scc0 .LBB150_2119
; %bb.2110:
	s_cmp_lt_i32 s0, 24
	s_cbranch_scc1 .LBB150_2122
; %bb.2111:
	s_cmp_gt_i32 s0, 24
	s_cbranch_scc0 .LBB150_2123
; %bb.2112:
	global_load_u8 v1, v[2:3], off
	s_mov_b32 s21, exec_lo
	s_wait_loadcnt 0x0
	v_cmpx_lt_i16_e32 0x7f, v1
	s_xor_b32 s21, exec_lo, s21
	s_cbranch_execz .LBB150_2134
; %bb.2113:
	s_mov_b32 s20, -1
	s_mov_b32 s22, exec_lo
	v_cmpx_eq_u16_e32 0x80, v1
; %bb.2114:
	s_xor_b32 s20, exec_lo, -1
; %bb.2115:
	s_or_b32 exec_lo, exec_lo, s22
	s_delay_alu instid0(SALU_CYCLE_1)
	s_and_b32 s20, s20, exec_lo
	s_or_saveexec_b32 s21, s21
	v_mov_b32_e32 v9, 0x7f800001
	s_xor_b32 exec_lo, exec_lo, s21
	s_cbranch_execnz .LBB150_2135
.LBB150_2116:
	s_or_b32 exec_lo, exec_lo, s21
	s_and_saveexec_b32 s21, s20
	s_cbranch_execz .LBB150_2118
.LBB150_2117:
	v_and_b32_e32 v4, 0xffff, v1
	s_delay_alu instid0(VALU_DEP_1) | instskip(SKIP_1) | instid1(VALU_DEP_2)
	v_and_b32_e32 v5, 3, v4
	v_bfe_u32 v9, v4, 2, 5
	v_clz_i32_u32_e32 v6, v5
	s_delay_alu instid0(VALU_DEP_2) | instskip(NEXT) | instid1(VALU_DEP_2)
	v_cmp_eq_u32_e32 vcc_lo, 0, v9
	v_min_u32_e32 v6, 32, v6
	s_delay_alu instid0(VALU_DEP_1) | instskip(NEXT) | instid1(VALU_DEP_1)
	v_subrev_nc_u32_e32 v7, 29, v6
	v_dual_lshlrev_b32 v4, v7, v4 :: v_dual_sub_nc_u32 v6, 30, v6
	s_delay_alu instid0(VALU_DEP_1) | instskip(NEXT) | instid1(VALU_DEP_2)
	v_dual_lshlrev_b32 v1, 24, v1 :: v_dual_bitop2_b32 v4, 3, v4 bitop3:0x40
	v_cndmask_b32_e32 v6, v9, v6, vcc_lo
	s_delay_alu instid0(VALU_DEP_2) | instskip(NEXT) | instid1(VALU_DEP_3)
	v_cndmask_b32_e32 v4, v5, v4, vcc_lo
	v_and_b32_e32 v1, 0x80000000, v1
	s_delay_alu instid0(VALU_DEP_3) | instskip(NEXT) | instid1(VALU_DEP_3)
	v_lshl_add_u32 v5, v6, 23, 0x37800000
	v_lshlrev_b32_e32 v4, 21, v4
	s_delay_alu instid0(VALU_DEP_1)
	v_or3_b32 v9, v1, v5, v4
.LBB150_2118:
	s_or_b32 exec_lo, exec_lo, s21
	s_mov_b32 s20, 0
	s_branch .LBB150_2124
.LBB150_2119:
                                        ; implicit-def: $vgpr9
	s_mov_b32 s20, 0
	s_branch .LBB150_2130
.LBB150_2120:
	s_or_saveexec_b32 s22, s22
	v_mov_b32_e32 v9, 0x7f800001
	s_xor_b32 exec_lo, exec_lo, s22
	s_cbranch_execz .LBB150_2104
.LBB150_2121:
	v_cmp_ne_u16_e32 vcc_lo, 0, v1
	v_mov_b32_e32 v9, 0
	s_and_not1_b32 s21, s21, exec_lo
	s_and_b32 s23, vcc_lo, exec_lo
	s_delay_alu instid0(SALU_CYCLE_1)
	s_or_b32 s21, s21, s23
	s_or_b32 exec_lo, exec_lo, s22
	s_and_saveexec_b32 s22, s21
	s_cbranch_execnz .LBB150_2105
	s_branch .LBB150_2106
.LBB150_2122:
	s_mov_b32 s20, -1
                                        ; implicit-def: $vgpr9
	s_branch .LBB150_2127
.LBB150_2123:
	s_mov_b32 s20, -1
                                        ; implicit-def: $vgpr9
.LBB150_2124:
	s_delay_alu instid0(SALU_CYCLE_1)
	s_and_b32 vcc_lo, exec_lo, s20
	s_cbranch_vccz .LBB150_2126
; %bb.2125:
	global_load_u8 v1, v[2:3], off
	s_wait_loadcnt 0x0
	v_lshlrev_b32_e32 v1, 24, v1
	s_delay_alu instid0(VALU_DEP_1) | instskip(NEXT) | instid1(VALU_DEP_1)
	v_and_b32_e32 v4, 0x7f000000, v1
	v_clz_i32_u32_e32 v5, v4
	v_cmp_ne_u32_e32 vcc_lo, 0, v4
	v_add_nc_u32_e32 v7, 0x1000000, v4
	s_delay_alu instid0(VALU_DEP_3) | instskip(NEXT) | instid1(VALU_DEP_1)
	v_min_u32_e32 v5, 32, v5
	v_sub_nc_u32_e64 v5, v5, 4 clamp
	s_delay_alu instid0(VALU_DEP_1) | instskip(NEXT) | instid1(VALU_DEP_1)
	v_dual_lshlrev_b32 v6, v5, v4 :: v_dual_lshlrev_b32 v5, 23, v5
	v_lshrrev_b32_e32 v6, 4, v6
	s_delay_alu instid0(VALU_DEP_1) | instskip(NEXT) | instid1(VALU_DEP_1)
	v_dual_sub_nc_u32 v5, v6, v5 :: v_dual_ashrrev_i32 v6, 8, v7
	v_add_nc_u32_e32 v5, 0x3c000000, v5
	s_delay_alu instid0(VALU_DEP_1) | instskip(NEXT) | instid1(VALU_DEP_1)
	v_and_or_b32 v5, 0x7f800000, v6, v5
	v_cndmask_b32_e32 v4, 0, v5, vcc_lo
	s_delay_alu instid0(VALU_DEP_1)
	v_and_or_b32 v9, 0x80000000, v1, v4
.LBB150_2126:
	s_mov_b32 s20, 0
.LBB150_2127:
	s_delay_alu instid0(SALU_CYCLE_1)
	s_and_not1_b32 vcc_lo, exec_lo, s20
	s_cbranch_vccnz .LBB150_2129
; %bb.2128:
	global_load_u8 v1, v[2:3], off
	s_wait_loadcnt 0x0
	v_lshlrev_b32_e32 v4, 25, v1
	v_lshlrev_b16 v1, 8, v1
	s_delay_alu instid0(VALU_DEP_1) | instskip(SKIP_1) | instid1(VALU_DEP_2)
	v_and_or_b32 v6, 0x7f00, v1, 0.5
	v_bfe_i32 v1, v1, 0, 16
	v_dual_add_f32 v6, -0.5, v6 :: v_dual_lshrrev_b32 v5, 4, v4
	v_cmp_gt_u32_e32 vcc_lo, 0x8000000, v4
	s_delay_alu instid0(VALU_DEP_2) | instskip(NEXT) | instid1(VALU_DEP_1)
	v_or_b32_e32 v5, 0x70000000, v5
	v_mul_f32_e32 v5, 0x7800000, v5
	s_delay_alu instid0(VALU_DEP_1) | instskip(NEXT) | instid1(VALU_DEP_1)
	v_cndmask_b32_e32 v4, v5, v6, vcc_lo
	v_and_or_b32 v9, 0x80000000, v1, v4
.LBB150_2129:
	s_mov_b32 s21, -1
	s_mov_b32 s20, 0
	s_cbranch_execnz .LBB150_2140
.LBB150_2130:
	s_cmp_gt_i32 s0, 14
	s_cbranch_scc0 .LBB150_2133
; %bb.2131:
	s_cmp_eq_u32 s0, 15
	s_cbranch_scc0 .LBB150_2136
; %bb.2132:
	global_load_u16 v1, v[2:3], off
	s_mov_b32 s16, 0
	s_mov_b32 s21, -1
	s_wait_loadcnt 0x0
	v_lshlrev_b32_e32 v9, 16, v1
	s_branch .LBB150_2138
.LBB150_2133:
	s_mov_b32 s20, -1
	s_branch .LBB150_2137
.LBB150_2134:
	s_or_saveexec_b32 s21, s21
	v_mov_b32_e32 v9, 0x7f800001
	s_xor_b32 exec_lo, exec_lo, s21
	s_cbranch_execz .LBB150_2116
.LBB150_2135:
	v_cmp_ne_u16_e32 vcc_lo, 0, v1
	v_mov_b32_e32 v9, 0
	s_and_not1_b32 s20, s20, exec_lo
	s_and_b32 s22, vcc_lo, exec_lo
	s_delay_alu instid0(SALU_CYCLE_1)
	s_or_b32 s20, s20, s22
	s_or_b32 exec_lo, exec_lo, s21
	s_and_saveexec_b32 s21, s20
	s_cbranch_execnz .LBB150_2117
	s_branch .LBB150_2118
.LBB150_2136:
	s_mov_b32 s16, -1
.LBB150_2137:
                                        ; implicit-def: $vgpr9
.LBB150_2138:
	s_and_b32 vcc_lo, exec_lo, s20
	s_mov_b32 s20, 0
	s_cbranch_vccz .LBB150_2140
; %bb.2139:
	s_cmp_lg_u32 s0, 11
	s_mov_b32 s20, -1
	s_cselect_b32 s16, -1, 0
.LBB150_2140:
	s_delay_alu instid0(SALU_CYCLE_1)
	s_and_b32 vcc_lo, exec_lo, s16
	s_mov_b32 s16, s19
	s_cbranch_vccnz .LBB150_2201
; %bb.2141:
	s_and_not1_b32 vcc_lo, exec_lo, s20
	s_cbranch_vccnz .LBB150_2143
.LBB150_2142:
	global_load_u8 v1, v[2:3], off
	s_mov_b32 s21, -1
	s_wait_loadcnt 0x0
	v_cmp_ne_u16_e32 vcc_lo, 0, v1
	v_cndmask_b32_e64 v9, 0, 1.0, vcc_lo
.LBB150_2143:
	s_branch .LBB150_2072
.LBB150_2144:
	s_and_b32 s0, 0xffff, s17
	s_delay_alu instid0(SALU_CYCLE_1)
	s_cmp_lt_i32 s0, 5
	s_cbranch_scc1 .LBB150_2149
; %bb.2145:
	s_cmp_lt_i32 s0, 8
	s_cbranch_scc1 .LBB150_2150
; %bb.2146:
	;; [unrolled: 3-line block ×3, first 2 shown]
	s_cmp_gt_i32 s0, 9
	s_cbranch_scc0 .LBB150_2152
; %bb.2148:
	global_load_b64 v[4:5], v[2:3], off
	s_mov_b32 s20, 0
	s_wait_loadcnt 0x0
	v_cvt_f32_f64_e32 v9, v[4:5]
	s_branch .LBB150_2153
.LBB150_2149:
                                        ; implicit-def: $vgpr9
	s_branch .LBB150_2170
.LBB150_2150:
                                        ; implicit-def: $vgpr9
	s_branch .LBB150_2159
.LBB150_2151:
	s_mov_b32 s20, -1
                                        ; implicit-def: $vgpr9
	s_branch .LBB150_2156
.LBB150_2152:
	s_mov_b32 s20, -1
                                        ; implicit-def: $vgpr9
.LBB150_2153:
	s_delay_alu instid0(SALU_CYCLE_1)
	s_and_not1_b32 vcc_lo, exec_lo, s20
	s_cbranch_vccnz .LBB150_2155
; %bb.2154:
	global_load_b32 v9, v[2:3], off
.LBB150_2155:
	s_mov_b32 s20, 0
.LBB150_2156:
	s_delay_alu instid0(SALU_CYCLE_1)
	s_and_not1_b32 vcc_lo, exec_lo, s20
	s_cbranch_vccnz .LBB150_2158
; %bb.2157:
	global_load_b32 v1, v[2:3], off
	s_wait_loadcnt 0x0
	v_cvt_f32_f16_e32 v9, v1
.LBB150_2158:
	s_cbranch_execnz .LBB150_2169
.LBB150_2159:
	s_cmp_lt_i32 s0, 6
	s_cbranch_scc1 .LBB150_2162
; %bb.2160:
	s_cmp_gt_i32 s0, 6
	s_cbranch_scc0 .LBB150_2163
; %bb.2161:
	global_load_b64 v[4:5], v[2:3], off
	s_mov_b32 s20, 0
	s_wait_loadcnt 0x0
	v_cvt_f32_f64_e32 v9, v[4:5]
	s_branch .LBB150_2164
.LBB150_2162:
	s_mov_b32 s20, -1
                                        ; implicit-def: $vgpr9
	s_branch .LBB150_2167
.LBB150_2163:
	s_mov_b32 s20, -1
                                        ; implicit-def: $vgpr9
.LBB150_2164:
	s_delay_alu instid0(SALU_CYCLE_1)
	s_and_not1_b32 vcc_lo, exec_lo, s20
	s_cbranch_vccnz .LBB150_2166
; %bb.2165:
	s_wait_loadcnt 0x0
	global_load_b32 v9, v[2:3], off
.LBB150_2166:
	s_mov_b32 s20, 0
.LBB150_2167:
	s_delay_alu instid0(SALU_CYCLE_1)
	s_and_not1_b32 vcc_lo, exec_lo, s20
	s_cbranch_vccnz .LBB150_2169
; %bb.2168:
	global_load_u16 v1, v[2:3], off
	s_wait_loadcnt 0x0
	v_cvt_f32_f16_e32 v9, v1
.LBB150_2169:
	s_cbranch_execnz .LBB150_2188
.LBB150_2170:
	s_cmp_lt_i32 s0, 2
	s_cbranch_scc1 .LBB150_2174
; %bb.2171:
	s_cmp_lt_i32 s0, 3
	s_cbranch_scc1 .LBB150_2175
; %bb.2172:
	s_cmp_gt_i32 s0, 3
	s_cbranch_scc0 .LBB150_2176
; %bb.2173:
	global_load_b64 v[4:5], v[2:3], off
	s_mov_b32 s20, 0
	s_wait_loadcnt 0x0
	v_xor_b32_e32 v1, v4, v5
	v_cls_i32_e32 v6, v5
	s_delay_alu instid0(VALU_DEP_2) | instskip(NEXT) | instid1(VALU_DEP_1)
	v_ashrrev_i32_e32 v1, 31, v1
	v_add_nc_u32_e32 v1, 32, v1
	s_delay_alu instid0(VALU_DEP_1) | instskip(NEXT) | instid1(VALU_DEP_1)
	v_add_min_u32_e64 v1, v6, -1, v1
	v_lshlrev_b64_e32 v[4:5], v1, v[4:5]
	v_sub_nc_u32_e32 v1, 32, v1
	s_delay_alu instid0(VALU_DEP_2) | instskip(NEXT) | instid1(VALU_DEP_1)
	v_min_u32_e32 v4, 1, v4
	v_or_b32_e32 v4, v5, v4
	s_delay_alu instid0(VALU_DEP_1) | instskip(NEXT) | instid1(VALU_DEP_1)
	v_cvt_f32_i32_e32 v4, v4
	v_ldexp_f32 v9, v4, v1
	s_branch .LBB150_2177
.LBB150_2174:
                                        ; implicit-def: $vgpr9
	s_branch .LBB150_2183
.LBB150_2175:
	s_mov_b32 s20, -1
                                        ; implicit-def: $vgpr9
	s_branch .LBB150_2180
.LBB150_2176:
	s_mov_b32 s20, -1
                                        ; implicit-def: $vgpr9
.LBB150_2177:
	s_delay_alu instid0(SALU_CYCLE_1)
	s_and_not1_b32 vcc_lo, exec_lo, s20
	s_cbranch_vccnz .LBB150_2179
; %bb.2178:
	global_load_b32 v1, v[2:3], off
	s_wait_loadcnt 0x0
	v_cvt_f32_i32_e32 v9, v1
.LBB150_2179:
	s_mov_b32 s20, 0
.LBB150_2180:
	s_delay_alu instid0(SALU_CYCLE_1)
	s_and_not1_b32 vcc_lo, exec_lo, s20
	s_cbranch_vccnz .LBB150_2182
; %bb.2181:
	global_load_i16 v1, v[2:3], off
	s_wait_loadcnt 0x0
	v_cvt_f32_i32_e32 v9, v1
.LBB150_2182:
	s_cbranch_execnz .LBB150_2188
.LBB150_2183:
	s_cmp_gt_i32 s0, 0
	s_mov_b32 s0, 0
	s_cbranch_scc0 .LBB150_2185
; %bb.2184:
	global_load_i8 v1, v[2:3], off
	s_wait_loadcnt 0x0
	v_cvt_f32_i32_e32 v9, v1
	s_branch .LBB150_2186
.LBB150_2185:
	s_mov_b32 s0, -1
                                        ; implicit-def: $vgpr9
.LBB150_2186:
	s_delay_alu instid0(SALU_CYCLE_1)
	s_and_not1_b32 vcc_lo, exec_lo, s0
	s_cbranch_vccnz .LBB150_2188
; %bb.2187:
	global_load_u8 v1, v[2:3], off
	s_wait_loadcnt 0x0
	v_cvt_f32_ubyte0_e32 v9, v1
.LBB150_2188:
.LBB150_2189:
	s_wait_xcnt 0x0
	v_mul_lo_u32 v2, s14, v8
	s_and_b32 s3, s3, 0xff
	s_delay_alu instid0(SALU_CYCLE_1) | instskip(NEXT) | instid1(VALU_DEP_1)
	s_cmp_lt_i32 s3, 11
	v_ashrrev_i32_e32 v3, 31, v2
	s_delay_alu instid0(VALU_DEP_1)
	v_add_nc_u64_e32 v[4:5], s[8:9], v[2:3]
	s_cbranch_scc1 .LBB150_2196
; %bb.2190:
	s_and_b32 s0, 0xffff, s3
	s_mov_b32 s21, 0
	s_cmp_gt_i32 s0, 25
	s_cbranch_scc0 .LBB150_2198
; %bb.2191:
	s_cmp_gt_i32 s0, 28
	s_cbranch_scc0 .LBB150_2199
; %bb.2192:
	;; [unrolled: 3-line block ×4, first 2 shown]
	s_cmp_eq_u32 s0, 46
	s_mov_b32 s23, 0
	s_cbranch_scc0 .LBB150_2205
; %bb.2195:
	global_load_b32 v1, v[4:5], off
	s_mov_b32 s20, 0
	s_mov_b32 s22, -1
	s_wait_loadcnt 0x0
	v_lshlrev_b32_e32 v10, 16, v1
	s_branch .LBB150_2207
.LBB150_2196:
	s_mov_b32 s22, 0
                                        ; implicit-def: $vgpr10
	s_cbranch_execnz .LBB150_2272
.LBB150_2197:
	s_and_not1_b32 vcc_lo, exec_lo, s22
	s_cbranch_vccnz .LBB150_4065
	s_branch .LBB150_2319
.LBB150_2198:
	s_mov_b32 s22, 0
	s_mov_b32 s20, 0
                                        ; implicit-def: $vgpr10
	s_cbranch_execnz .LBB150_2236
	s_branch .LBB150_2268
.LBB150_2199:
	s_mov_b32 s23, -1
	s_mov_b32 s22, 0
	s_mov_b32 s20, 0
                                        ; implicit-def: $vgpr10
	s_branch .LBB150_2217
.LBB150_2200:
	s_mov_b32 s23, -1
	s_mov_b32 s22, 0
	s_mov_b32 s20, 0
                                        ; implicit-def: $vgpr10
	s_branch .LBB150_2212
.LBB150_2201:
	s_or_b32 s16, s19, exec_lo
	s_trap 2
	s_cbranch_execz .LBB150_2142
	s_branch .LBB150_2143
.LBB150_2202:
	s_mov_b32 s23, -1
	s_mov_b32 s22, 0
	s_mov_b32 s20, 0
	s_branch .LBB150_2206
.LBB150_2203:
	s_and_not1_saveexec_b32 s27, s27
	s_cbranch_execz .LBB150_1988
.LBB150_2204:
	v_add_f32_e64 v3, 0x42800000, |v2|
	s_and_not1_b32 s26, s26, exec_lo
	s_delay_alu instid0(VALU_DEP_1) | instskip(NEXT) | instid1(VALU_DEP_1)
	v_and_b32_e32 v3, 0xff, v3
	v_cmp_ne_u32_e32 vcc_lo, 0, v3
	s_and_b32 s28, vcc_lo, exec_lo
	s_delay_alu instid0(SALU_CYCLE_1)
	s_or_b32 s26, s26, s28
	s_or_b32 exec_lo, exec_lo, s27
	v_mov_b32_e32 v4, 0
	s_and_saveexec_b32 s27, s26
	s_cbranch_execnz .LBB150_1989
	s_branch .LBB150_1990
.LBB150_2205:
	s_mov_b32 s20, -1
	s_mov_b32 s22, 0
.LBB150_2206:
                                        ; implicit-def: $vgpr10
.LBB150_2207:
	s_and_b32 vcc_lo, exec_lo, s23
	s_cbranch_vccz .LBB150_2211
; %bb.2208:
	s_cmp_eq_u32 s0, 44
	s_cbranch_scc0 .LBB150_2210
; %bb.2209:
	global_load_u8 v1, v[4:5], off
	s_mov_b32 s20, 0
	s_mov_b32 s22, -1
	s_wait_loadcnt 0x0
	v_lshlrev_b32_e32 v3, 23, v1
	v_cmp_ne_u32_e32 vcc_lo, 0xff, v1
	s_delay_alu instid0(VALU_DEP_2) | instskip(SKIP_1) | instid1(VALU_DEP_2)
	v_cndmask_b32_e32 v3, 0x7f800001, v3, vcc_lo
	v_cmp_ne_u32_e32 vcc_lo, 0, v1
	v_cndmask_b32_e32 v10, 0x400000, v3, vcc_lo
	s_branch .LBB150_2211
.LBB150_2210:
	s_mov_b32 s20, -1
                                        ; implicit-def: $vgpr10
.LBB150_2211:
	s_mov_b32 s23, 0
.LBB150_2212:
	s_delay_alu instid0(SALU_CYCLE_1)
	s_and_b32 vcc_lo, exec_lo, s23
	s_cbranch_vccz .LBB150_2216
; %bb.2213:
	s_cmp_eq_u32 s0, 29
	s_cbranch_scc0 .LBB150_2215
; %bb.2214:
	global_load_b64 v[6:7], v[4:5], off
	s_mov_b32 s20, 0
	s_mov_b32 s22, -1
	s_mov_b32 s23, 0
	s_wait_loadcnt 0x0
	v_clz_i32_u32_e32 v1, v7
	s_delay_alu instid0(VALU_DEP_1) | instskip(NEXT) | instid1(VALU_DEP_1)
	v_min_u32_e32 v1, 32, v1
	v_lshlrev_b64_e32 v[6:7], v1, v[6:7]
	v_sub_nc_u32_e32 v1, 32, v1
	s_delay_alu instid0(VALU_DEP_2) | instskip(NEXT) | instid1(VALU_DEP_1)
	v_min_u32_e32 v3, 1, v6
	v_or_b32_e32 v3, v7, v3
	s_delay_alu instid0(VALU_DEP_1) | instskip(NEXT) | instid1(VALU_DEP_1)
	v_cvt_f32_u32_e32 v3, v3
	v_ldexp_f32 v10, v3, v1
	s_branch .LBB150_2217
.LBB150_2215:
	s_mov_b32 s20, -1
                                        ; implicit-def: $vgpr10
.LBB150_2216:
	s_mov_b32 s23, 0
.LBB150_2217:
	s_delay_alu instid0(SALU_CYCLE_1)
	s_and_b32 vcc_lo, exec_lo, s23
	s_cbranch_vccz .LBB150_2235
; %bb.2218:
	s_cmp_lt_i32 s0, 27
	s_cbranch_scc1 .LBB150_2221
; %bb.2219:
	s_cmp_gt_i32 s0, 27
	s_cbranch_scc0 .LBB150_2222
; %bb.2220:
	global_load_b32 v1, v[4:5], off
	s_mov_b32 s22, 0
	s_wait_loadcnt 0x0
	v_cvt_f32_u32_e32 v10, v1
	s_branch .LBB150_2223
.LBB150_2221:
	s_mov_b32 s22, -1
                                        ; implicit-def: $vgpr10
	s_branch .LBB150_2226
.LBB150_2222:
	s_mov_b32 s22, -1
                                        ; implicit-def: $vgpr10
.LBB150_2223:
	s_delay_alu instid0(SALU_CYCLE_1)
	s_and_not1_b32 vcc_lo, exec_lo, s22
	s_cbranch_vccnz .LBB150_2225
; %bb.2224:
	global_load_u16 v1, v[4:5], off
	s_wait_loadcnt 0x0
	v_cvt_f32_u32_e32 v10, v1
.LBB150_2225:
	s_mov_b32 s22, 0
.LBB150_2226:
	s_delay_alu instid0(SALU_CYCLE_1)
	s_and_not1_b32 vcc_lo, exec_lo, s22
	s_cbranch_vccnz .LBB150_2234
; %bb.2227:
	global_load_u8 v1, v[4:5], off
	s_mov_b32 s22, 0
	s_mov_b32 s23, exec_lo
	s_wait_loadcnt 0x0
	v_cmpx_lt_i16_e32 0x7f, v1
	s_xor_b32 s23, exec_lo, s23
	s_cbranch_execz .LBB150_2247
; %bb.2228:
	s_mov_b32 s22, -1
	s_mov_b32 s24, exec_lo
	v_cmpx_eq_u16_e32 0x80, v1
; %bb.2229:
	s_xor_b32 s22, exec_lo, -1
; %bb.2230:
	s_or_b32 exec_lo, exec_lo, s24
	s_delay_alu instid0(SALU_CYCLE_1)
	s_and_b32 s22, s22, exec_lo
	s_or_saveexec_b32 s23, s23
	v_mov_b32_e32 v10, 0x7f800001
	s_xor_b32 exec_lo, exec_lo, s23
	s_cbranch_execnz .LBB150_2248
.LBB150_2231:
	s_or_b32 exec_lo, exec_lo, s23
	s_and_saveexec_b32 s23, s22
	s_cbranch_execz .LBB150_2233
.LBB150_2232:
	v_and_b32_e32 v3, 0xffff, v1
	s_delay_alu instid0(VALU_DEP_1) | instskip(SKIP_1) | instid1(VALU_DEP_2)
	v_dual_lshlrev_b32 v1, 24, v1 :: v_dual_bitop2_b32 v6, 7, v3 bitop3:0x40
	v_bfe_u32 v11, v3, 3, 4
	v_and_b32_e32 v1, 0x80000000, v1
	s_delay_alu instid0(VALU_DEP_3) | instskip(NEXT) | instid1(VALU_DEP_3)
	v_clz_i32_u32_e32 v7, v6
	v_cmp_eq_u32_e32 vcc_lo, 0, v11
	s_delay_alu instid0(VALU_DEP_2) | instskip(NEXT) | instid1(VALU_DEP_1)
	v_min_u32_e32 v7, 32, v7
	v_subrev_nc_u32_e32 v10, 28, v7
	v_sub_nc_u32_e32 v7, 29, v7
	s_delay_alu instid0(VALU_DEP_2) | instskip(NEXT) | instid1(VALU_DEP_2)
	v_lshlrev_b32_e32 v3, v10, v3
	v_cndmask_b32_e32 v7, v11, v7, vcc_lo
	s_delay_alu instid0(VALU_DEP_2) | instskip(NEXT) | instid1(VALU_DEP_1)
	v_and_b32_e32 v3, 7, v3
	v_cndmask_b32_e32 v3, v6, v3, vcc_lo
	s_delay_alu instid0(VALU_DEP_3) | instskip(NEXT) | instid1(VALU_DEP_2)
	v_lshl_add_u32 v6, v7, 23, 0x3b800000
	v_lshlrev_b32_e32 v3, 20, v3
	s_delay_alu instid0(VALU_DEP_1)
	v_or3_b32 v10, v1, v6, v3
.LBB150_2233:
	s_or_b32 exec_lo, exec_lo, s23
.LBB150_2234:
	s_mov_b32 s22, -1
.LBB150_2235:
	s_branch .LBB150_2268
.LBB150_2236:
	s_cmp_gt_i32 s0, 22
	s_cbranch_scc0 .LBB150_2246
; %bb.2237:
	s_cmp_lt_i32 s0, 24
	s_cbranch_scc1 .LBB150_2249
; %bb.2238:
	s_cmp_gt_i32 s0, 24
	s_cbranch_scc0 .LBB150_2250
; %bb.2239:
	global_load_u8 v1, v[4:5], off
	s_mov_b32 s22, exec_lo
	s_wait_loadcnt 0x0
	v_cmpx_lt_i16_e32 0x7f, v1
	s_xor_b32 s22, exec_lo, s22
	s_cbranch_execz .LBB150_2262
; %bb.2240:
	s_mov_b32 s21, -1
	s_mov_b32 s23, exec_lo
	v_cmpx_eq_u16_e32 0x80, v1
; %bb.2241:
	s_xor_b32 s21, exec_lo, -1
; %bb.2242:
	s_or_b32 exec_lo, exec_lo, s23
	s_delay_alu instid0(SALU_CYCLE_1)
	s_and_b32 s21, s21, exec_lo
	s_or_saveexec_b32 s22, s22
	v_mov_b32_e32 v10, 0x7f800001
	s_xor_b32 exec_lo, exec_lo, s22
	s_cbranch_execnz .LBB150_2263
.LBB150_2243:
	s_or_b32 exec_lo, exec_lo, s22
	s_and_saveexec_b32 s22, s21
	s_cbranch_execz .LBB150_2245
.LBB150_2244:
	v_and_b32_e32 v3, 0xffff, v1
	s_delay_alu instid0(VALU_DEP_1) | instskip(SKIP_1) | instid1(VALU_DEP_2)
	v_dual_lshlrev_b32 v1, 24, v1 :: v_dual_bitop2_b32 v6, 3, v3 bitop3:0x40
	v_bfe_u32 v11, v3, 2, 5
	v_and_b32_e32 v1, 0x80000000, v1
	s_delay_alu instid0(VALU_DEP_3) | instskip(NEXT) | instid1(VALU_DEP_3)
	v_clz_i32_u32_e32 v7, v6
	v_cmp_eq_u32_e32 vcc_lo, 0, v11
	s_delay_alu instid0(VALU_DEP_2) | instskip(NEXT) | instid1(VALU_DEP_1)
	v_min_u32_e32 v7, 32, v7
	v_subrev_nc_u32_e32 v10, 29, v7
	v_sub_nc_u32_e32 v7, 30, v7
	s_delay_alu instid0(VALU_DEP_2) | instskip(NEXT) | instid1(VALU_DEP_2)
	v_lshlrev_b32_e32 v3, v10, v3
	v_cndmask_b32_e32 v7, v11, v7, vcc_lo
	s_delay_alu instid0(VALU_DEP_2) | instskip(NEXT) | instid1(VALU_DEP_1)
	v_and_b32_e32 v3, 3, v3
	v_cndmask_b32_e32 v3, v6, v3, vcc_lo
	s_delay_alu instid0(VALU_DEP_3) | instskip(NEXT) | instid1(VALU_DEP_2)
	v_lshl_add_u32 v6, v7, 23, 0x37800000
	v_lshlrev_b32_e32 v3, 21, v3
	s_delay_alu instid0(VALU_DEP_1)
	v_or3_b32 v10, v1, v6, v3
.LBB150_2245:
	s_or_b32 exec_lo, exec_lo, s22
	s_mov_b32 s21, 0
	s_branch .LBB150_2251
.LBB150_2246:
	s_mov_b32 s21, -1
                                        ; implicit-def: $vgpr10
	s_branch .LBB150_2257
.LBB150_2247:
	s_or_saveexec_b32 s23, s23
	v_mov_b32_e32 v10, 0x7f800001
	s_xor_b32 exec_lo, exec_lo, s23
	s_cbranch_execz .LBB150_2231
.LBB150_2248:
	v_cmp_ne_u16_e32 vcc_lo, 0, v1
	v_mov_b32_e32 v10, 0
	s_and_not1_b32 s22, s22, exec_lo
	s_and_b32 s24, vcc_lo, exec_lo
	s_delay_alu instid0(SALU_CYCLE_1)
	s_or_b32 s22, s22, s24
	s_or_b32 exec_lo, exec_lo, s23
	s_and_saveexec_b32 s23, s22
	s_cbranch_execnz .LBB150_2232
	s_branch .LBB150_2233
.LBB150_2249:
	s_mov_b32 s21, -1
                                        ; implicit-def: $vgpr10
	s_branch .LBB150_2254
.LBB150_2250:
	s_mov_b32 s21, -1
                                        ; implicit-def: $vgpr10
.LBB150_2251:
	s_delay_alu instid0(SALU_CYCLE_1)
	s_and_b32 vcc_lo, exec_lo, s21
	s_cbranch_vccz .LBB150_2253
; %bb.2252:
	global_load_u8 v1, v[4:5], off
	s_wait_loadcnt 0x0
	v_lshlrev_b32_e32 v1, 24, v1
	s_delay_alu instid0(VALU_DEP_1) | instskip(NEXT) | instid1(VALU_DEP_1)
	v_and_b32_e32 v3, 0x7f000000, v1
	v_clz_i32_u32_e32 v6, v3
	v_cmp_ne_u32_e32 vcc_lo, 0, v3
	v_add_nc_u32_e32 v10, 0x1000000, v3
	s_delay_alu instid0(VALU_DEP_3) | instskip(NEXT) | instid1(VALU_DEP_1)
	v_min_u32_e32 v6, 32, v6
	v_sub_nc_u32_e64 v6, v6, 4 clamp
	s_delay_alu instid0(VALU_DEP_1) | instskip(NEXT) | instid1(VALU_DEP_1)
	v_dual_lshlrev_b32 v7, v6, v3 :: v_dual_lshlrev_b32 v6, 23, v6
	v_lshrrev_b32_e32 v7, 4, v7
	s_delay_alu instid0(VALU_DEP_1) | instskip(SKIP_1) | instid1(VALU_DEP_2)
	v_sub_nc_u32_e32 v6, v7, v6
	v_ashrrev_i32_e32 v7, 8, v10
	v_add_nc_u32_e32 v6, 0x3c000000, v6
	s_delay_alu instid0(VALU_DEP_1) | instskip(NEXT) | instid1(VALU_DEP_1)
	v_and_or_b32 v6, 0x7f800000, v7, v6
	v_cndmask_b32_e32 v3, 0, v6, vcc_lo
	s_delay_alu instid0(VALU_DEP_1)
	v_and_or_b32 v10, 0x80000000, v1, v3
.LBB150_2253:
	s_mov_b32 s21, 0
.LBB150_2254:
	s_delay_alu instid0(SALU_CYCLE_1)
	s_and_not1_b32 vcc_lo, exec_lo, s21
	s_cbranch_vccnz .LBB150_2256
; %bb.2255:
	global_load_u8 v1, v[4:5], off
	s_wait_loadcnt 0x0
	v_lshlrev_b32_e32 v3, 25, v1
	v_lshlrev_b16 v1, 8, v1
	s_delay_alu instid0(VALU_DEP_1) | instskip(SKIP_1) | instid1(VALU_DEP_2)
	v_and_or_b32 v7, 0x7f00, v1, 0.5
	v_bfe_i32 v1, v1, 0, 16
	v_add_f32_e32 v7, -0.5, v7
	v_lshrrev_b32_e32 v6, 4, v3
	v_cmp_gt_u32_e32 vcc_lo, 0x8000000, v3
	s_delay_alu instid0(VALU_DEP_2) | instskip(NEXT) | instid1(VALU_DEP_1)
	v_or_b32_e32 v6, 0x70000000, v6
	v_mul_f32_e32 v6, 0x7800000, v6
	s_delay_alu instid0(VALU_DEP_1) | instskip(NEXT) | instid1(VALU_DEP_1)
	v_cndmask_b32_e32 v3, v6, v7, vcc_lo
	v_and_or_b32 v10, 0x80000000, v1, v3
.LBB150_2256:
	s_mov_b32 s21, 0
	s_mov_b32 s22, -1
.LBB150_2257:
	s_and_not1_b32 vcc_lo, exec_lo, s21
	s_mov_b32 s21, 0
	s_cbranch_vccnz .LBB150_2268
; %bb.2258:
	s_cmp_gt_i32 s0, 14
	s_cbranch_scc0 .LBB150_2261
; %bb.2259:
	s_cmp_eq_u32 s0, 15
	s_cbranch_scc0 .LBB150_2264
; %bb.2260:
	global_load_u16 v1, v[4:5], off
	s_mov_b32 s20, 0
	s_mov_b32 s22, -1
	s_wait_loadcnt 0x0
	v_lshlrev_b32_e32 v10, 16, v1
	s_branch .LBB150_2266
.LBB150_2261:
	s_mov_b32 s21, -1
	s_branch .LBB150_2265
.LBB150_2262:
	s_or_saveexec_b32 s22, s22
	v_mov_b32_e32 v10, 0x7f800001
	s_xor_b32 exec_lo, exec_lo, s22
	s_cbranch_execz .LBB150_2243
.LBB150_2263:
	v_cmp_ne_u16_e32 vcc_lo, 0, v1
	v_mov_b32_e32 v10, 0
	s_and_not1_b32 s21, s21, exec_lo
	s_and_b32 s23, vcc_lo, exec_lo
	s_delay_alu instid0(SALU_CYCLE_1)
	s_or_b32 s21, s21, s23
	s_or_b32 exec_lo, exec_lo, s22
	s_and_saveexec_b32 s22, s21
	s_cbranch_execnz .LBB150_2244
	s_branch .LBB150_2245
.LBB150_2264:
	s_mov_b32 s20, -1
.LBB150_2265:
                                        ; implicit-def: $vgpr10
.LBB150_2266:
	s_and_b32 vcc_lo, exec_lo, s21
	s_mov_b32 s21, 0
	s_cbranch_vccz .LBB150_2268
; %bb.2267:
	s_cmp_lg_u32 s0, 11
	s_mov_b32 s21, -1
	s_cselect_b32 s20, -1, 0
.LBB150_2268:
	s_delay_alu instid0(SALU_CYCLE_1)
	s_and_b32 vcc_lo, exec_lo, s20
	s_cbranch_vccnz .LBB150_2331
; %bb.2269:
	s_and_not1_b32 vcc_lo, exec_lo, s21
	s_cbranch_vccnz .LBB150_2271
.LBB150_2270:
	global_load_u8 v1, v[4:5], off
	s_mov_b32 s22, -1
	s_wait_loadcnt 0x0
	v_cmp_ne_u16_e32 vcc_lo, 0, v1
	v_cndmask_b32_e64 v10, 0, 1.0, vcc_lo
.LBB150_2271:
	s_branch .LBB150_2197
.LBB150_2272:
	s_and_b32 s0, 0xffff, s3
	s_delay_alu instid0(SALU_CYCLE_1)
	s_cmp_lt_i32 s0, 5
	s_cbranch_scc1 .LBB150_2277
; %bb.2273:
	s_cmp_lt_i32 s0, 8
	s_cbranch_scc1 .LBB150_2278
; %bb.2274:
	s_cmp_lt_i32 s0, 9
	s_cbranch_scc1 .LBB150_2279
; %bb.2275:
	s_cmp_gt_i32 s0, 9
	s_cbranch_scc0 .LBB150_2280
; %bb.2276:
	global_load_b64 v[6:7], v[4:5], off
	s_mov_b32 s20, 0
	s_wait_loadcnt 0x0
	v_cvt_f32_f64_e32 v10, v[6:7]
	s_branch .LBB150_2281
.LBB150_2277:
                                        ; implicit-def: $vgpr10
	s_branch .LBB150_2299
.LBB150_2278:
	s_mov_b32 s20, -1
                                        ; implicit-def: $vgpr10
	s_branch .LBB150_2287
.LBB150_2279:
	s_mov_b32 s20, -1
                                        ; implicit-def: $vgpr10
	s_branch .LBB150_2284
.LBB150_2280:
	s_mov_b32 s20, -1
                                        ; implicit-def: $vgpr10
.LBB150_2281:
	s_delay_alu instid0(SALU_CYCLE_1)
	s_and_not1_b32 vcc_lo, exec_lo, s20
	s_cbranch_vccnz .LBB150_2283
; %bb.2282:
	global_load_b32 v10, v[4:5], off
.LBB150_2283:
	s_mov_b32 s20, 0
.LBB150_2284:
	s_delay_alu instid0(SALU_CYCLE_1)
	s_and_not1_b32 vcc_lo, exec_lo, s20
	s_cbranch_vccnz .LBB150_2286
; %bb.2285:
	global_load_b32 v1, v[4:5], off
	s_wait_loadcnt 0x0
	v_cvt_f32_f16_e32 v10, v1
.LBB150_2286:
	s_mov_b32 s20, 0
.LBB150_2287:
	s_delay_alu instid0(SALU_CYCLE_1)
	s_and_not1_b32 vcc_lo, exec_lo, s20
	s_cbranch_vccnz .LBB150_2298
; %bb.2288:
	s_cmp_lt_i32 s0, 6
	s_cbranch_scc1 .LBB150_2291
; %bb.2289:
	s_cmp_gt_i32 s0, 6
	s_cbranch_scc0 .LBB150_2292
; %bb.2290:
	global_load_b64 v[6:7], v[4:5], off
	s_mov_b32 s20, 0
	s_wait_loadcnt 0x0
	v_cvt_f32_f64_e32 v10, v[6:7]
	s_branch .LBB150_2293
.LBB150_2291:
	s_mov_b32 s20, -1
                                        ; implicit-def: $vgpr10
	s_branch .LBB150_2296
.LBB150_2292:
	s_mov_b32 s20, -1
                                        ; implicit-def: $vgpr10
.LBB150_2293:
	s_delay_alu instid0(SALU_CYCLE_1)
	s_and_not1_b32 vcc_lo, exec_lo, s20
	s_cbranch_vccnz .LBB150_2295
; %bb.2294:
	s_wait_loadcnt 0x0
	global_load_b32 v10, v[4:5], off
.LBB150_2295:
	s_mov_b32 s20, 0
.LBB150_2296:
	s_delay_alu instid0(SALU_CYCLE_1)
	s_and_not1_b32 vcc_lo, exec_lo, s20
	s_cbranch_vccnz .LBB150_2298
; %bb.2297:
	global_load_u16 v1, v[4:5], off
	s_wait_loadcnt 0x0
	v_cvt_f32_f16_e32 v10, v1
.LBB150_2298:
	s_cbranch_execnz .LBB150_2318
.LBB150_2299:
	s_cmp_lt_i32 s0, 2
	s_cbranch_scc1 .LBB150_2303
; %bb.2300:
	s_cmp_lt_i32 s0, 3
	s_cbranch_scc1 .LBB150_2304
; %bb.2301:
	s_cmp_gt_i32 s0, 3
	s_cbranch_scc0 .LBB150_2305
; %bb.2302:
	global_load_b64 v[6:7], v[4:5], off
	s_mov_b32 s20, 0
	s_wait_loadcnt 0x0
	v_xor_b32_e32 v1, v6, v7
	v_cls_i32_e32 v3, v7
	s_delay_alu instid0(VALU_DEP_2) | instskip(NEXT) | instid1(VALU_DEP_1)
	v_ashrrev_i32_e32 v1, 31, v1
	v_add_nc_u32_e32 v1, 32, v1
	s_delay_alu instid0(VALU_DEP_1) | instskip(NEXT) | instid1(VALU_DEP_1)
	v_add_min_u32_e64 v1, v3, -1, v1
	v_lshlrev_b64_e32 v[6:7], v1, v[6:7]
	v_sub_nc_u32_e32 v1, 32, v1
	s_delay_alu instid0(VALU_DEP_2) | instskip(NEXT) | instid1(VALU_DEP_1)
	v_min_u32_e32 v3, 1, v6
	v_or_b32_e32 v3, v7, v3
	s_delay_alu instid0(VALU_DEP_1) | instskip(NEXT) | instid1(VALU_DEP_1)
	v_cvt_f32_i32_e32 v3, v3
	v_ldexp_f32 v10, v3, v1
	s_branch .LBB150_2306
.LBB150_2303:
	s_mov_b32 s20, -1
                                        ; implicit-def: $vgpr10
	s_branch .LBB150_2312
.LBB150_2304:
	s_mov_b32 s20, -1
                                        ; implicit-def: $vgpr10
	s_branch .LBB150_2309
.LBB150_2305:
	s_mov_b32 s20, -1
                                        ; implicit-def: $vgpr10
.LBB150_2306:
	s_delay_alu instid0(SALU_CYCLE_1)
	s_and_not1_b32 vcc_lo, exec_lo, s20
	s_cbranch_vccnz .LBB150_2308
; %bb.2307:
	global_load_b32 v1, v[4:5], off
	s_wait_loadcnt 0x0
	v_cvt_f32_i32_e32 v10, v1
.LBB150_2308:
	s_mov_b32 s20, 0
.LBB150_2309:
	s_delay_alu instid0(SALU_CYCLE_1)
	s_and_not1_b32 vcc_lo, exec_lo, s20
	s_cbranch_vccnz .LBB150_2311
; %bb.2310:
	global_load_i16 v1, v[4:5], off
	s_wait_loadcnt 0x0
	v_cvt_f32_i32_e32 v10, v1
.LBB150_2311:
	s_mov_b32 s20, 0
.LBB150_2312:
	s_delay_alu instid0(SALU_CYCLE_1)
	s_and_not1_b32 vcc_lo, exec_lo, s20
	s_cbranch_vccnz .LBB150_2318
; %bb.2313:
	s_cmp_gt_i32 s0, 0
	s_mov_b32 s0, 0
	s_cbranch_scc0 .LBB150_2315
; %bb.2314:
	global_load_i8 v1, v[4:5], off
	s_wait_loadcnt 0x0
	v_cvt_f32_i32_e32 v10, v1
	s_branch .LBB150_2316
.LBB150_2315:
	s_mov_b32 s0, -1
                                        ; implicit-def: $vgpr10
.LBB150_2316:
	s_delay_alu instid0(SALU_CYCLE_1)
	s_and_not1_b32 vcc_lo, exec_lo, s0
	s_cbranch_vccnz .LBB150_2318
; %bb.2317:
	global_load_u8 v1, v[4:5], off
	s_wait_loadcnt 0x0
	v_cvt_f32_ubyte0_e32 v10, v1
.LBB150_2318:
.LBB150_2319:
	s_wait_xcnt 0x0
	v_mul_lo_u32 v4, s15, v8
	s_and_b32 s0, 0xffff, s1
	s_delay_alu instid0(SALU_CYCLE_1) | instskip(NEXT) | instid1(VALU_DEP_1)
	s_cmp_lt_i32 s0, 11
	v_ashrrev_i32_e32 v5, 31, v4
	s_delay_alu instid0(VALU_DEP_1)
	v_add_nc_u64_e32 v[6:7], s[10:11], v[4:5]
	s_cbranch_scc1 .LBB150_2326
; %bb.2320:
	s_cmp_gt_i32 s0, 25
	s_mov_b32 s20, 0
	s_cbranch_scc0 .LBB150_2328
; %bb.2321:
	s_cmp_gt_i32 s0, 28
	s_cbranch_scc0 .LBB150_2329
; %bb.2322:
	s_cmp_gt_i32 s0, 43
	;; [unrolled: 3-line block ×3, first 2 shown]
	s_cbranch_scc0 .LBB150_2332
; %bb.2324:
	s_cmp_eq_u32 s0, 46
	s_mov_b32 s22, 0
	s_cbranch_scc0 .LBB150_2333
; %bb.2325:
	global_load_b32 v1, v[6:7], off
	s_mov_b32 s1, 0
	s_mov_b32 s21, -1
	s_wait_loadcnt 0x0
	v_lshlrev_b32_e32 v12, 16, v1
	s_branch .LBB150_2335
.LBB150_2326:
	s_mov_b32 s21, 0
                                        ; implicit-def: $vgpr12
	s_cbranch_execnz .LBB150_2401
.LBB150_2327:
	s_and_not1_b32 vcc_lo, exec_lo, s21
	s_cbranch_vccnz .LBB150_4065
	s_branch .LBB150_2449
.LBB150_2328:
	s_mov_b32 s22, -1
	s_mov_b32 s21, 0
	s_mov_b32 s1, 0
                                        ; implicit-def: $vgpr12
	s_branch .LBB150_2364
.LBB150_2329:
	s_mov_b32 s22, -1
	s_mov_b32 s21, 0
	s_mov_b32 s1, 0
                                        ; implicit-def: $vgpr12
	s_branch .LBB150_2345
.LBB150_2330:
	s_mov_b32 s22, -1
	s_mov_b32 s21, 0
	s_mov_b32 s1, 0
                                        ; implicit-def: $vgpr12
	s_branch .LBB150_2340
.LBB150_2331:
	s_or_b32 s16, s16, exec_lo
	s_trap 2
	s_cbranch_execz .LBB150_2270
	s_branch .LBB150_2271
.LBB150_2332:
	s_mov_b32 s22, -1
	s_mov_b32 s21, 0
	s_mov_b32 s1, 0
	s_branch .LBB150_2334
.LBB150_2333:
	s_mov_b32 s1, -1
	s_mov_b32 s21, 0
.LBB150_2334:
                                        ; implicit-def: $vgpr12
.LBB150_2335:
	s_and_b32 vcc_lo, exec_lo, s22
	s_cbranch_vccz .LBB150_2339
; %bb.2336:
	s_cmp_eq_u32 s0, 44
	s_cbranch_scc0 .LBB150_2338
; %bb.2337:
	global_load_u8 v1, v[6:7], off
	s_mov_b32 s1, 0
	s_mov_b32 s21, -1
	s_wait_loadcnt 0x0
	v_lshlrev_b32_e32 v3, 23, v1
	v_cmp_ne_u32_e32 vcc_lo, 0xff, v1
	s_delay_alu instid0(VALU_DEP_2) | instskip(SKIP_1) | instid1(VALU_DEP_2)
	v_cndmask_b32_e32 v3, 0x7f800001, v3, vcc_lo
	v_cmp_ne_u32_e32 vcc_lo, 0, v1
	v_cndmask_b32_e32 v12, 0x400000, v3, vcc_lo
	s_branch .LBB150_2339
.LBB150_2338:
	s_mov_b32 s1, -1
                                        ; implicit-def: $vgpr12
.LBB150_2339:
	s_mov_b32 s22, 0
.LBB150_2340:
	s_delay_alu instid0(SALU_CYCLE_1)
	s_and_b32 vcc_lo, exec_lo, s22
	s_cbranch_vccz .LBB150_2344
; %bb.2341:
	s_cmp_eq_u32 s0, 29
	s_cbranch_scc0 .LBB150_2343
; %bb.2342:
	global_load_b64 v[12:13], v[6:7], off
	s_mov_b32 s1, 0
	s_mov_b32 s21, -1
	s_mov_b32 s22, 0
	s_wait_loadcnt 0x0
	v_clz_i32_u32_e32 v1, v13
	s_delay_alu instid0(VALU_DEP_1) | instskip(NEXT) | instid1(VALU_DEP_1)
	v_min_u32_e32 v1, 32, v1
	v_lshlrev_b64_e32 v[12:13], v1, v[12:13]
	v_sub_nc_u32_e32 v1, 32, v1
	s_delay_alu instid0(VALU_DEP_2) | instskip(NEXT) | instid1(VALU_DEP_1)
	v_min_u32_e32 v3, 1, v12
	v_or_b32_e32 v3, v13, v3
	s_delay_alu instid0(VALU_DEP_1) | instskip(NEXT) | instid1(VALU_DEP_1)
	v_cvt_f32_u32_e32 v3, v3
	v_ldexp_f32 v12, v3, v1
	s_branch .LBB150_2345
.LBB150_2343:
	s_mov_b32 s1, -1
                                        ; implicit-def: $vgpr12
.LBB150_2344:
	s_mov_b32 s22, 0
.LBB150_2345:
	s_delay_alu instid0(SALU_CYCLE_1)
	s_and_b32 vcc_lo, exec_lo, s22
	s_cbranch_vccz .LBB150_2363
; %bb.2346:
	s_cmp_lt_i32 s0, 27
	s_cbranch_scc1 .LBB150_2349
; %bb.2347:
	s_cmp_gt_i32 s0, 27
	s_cbranch_scc0 .LBB150_2350
; %bb.2348:
	global_load_b32 v1, v[6:7], off
	s_mov_b32 s21, 0
	s_wait_loadcnt 0x0
	v_cvt_f32_u32_e32 v12, v1
	s_branch .LBB150_2351
.LBB150_2349:
	s_mov_b32 s21, -1
                                        ; implicit-def: $vgpr12
	s_branch .LBB150_2354
.LBB150_2350:
	s_mov_b32 s21, -1
                                        ; implicit-def: $vgpr12
.LBB150_2351:
	s_delay_alu instid0(SALU_CYCLE_1)
	s_and_not1_b32 vcc_lo, exec_lo, s21
	s_cbranch_vccnz .LBB150_2353
; %bb.2352:
	global_load_u16 v1, v[6:7], off
	s_wait_loadcnt 0x0
	v_cvt_f32_u32_e32 v12, v1
.LBB150_2353:
	s_mov_b32 s21, 0
.LBB150_2354:
	s_delay_alu instid0(SALU_CYCLE_1)
	s_and_not1_b32 vcc_lo, exec_lo, s21
	s_cbranch_vccnz .LBB150_2362
; %bb.2355:
	global_load_u8 v1, v[6:7], off
	s_mov_b32 s21, 0
	s_mov_b32 s22, exec_lo
	s_wait_loadcnt 0x0
	v_cmpx_lt_i16_e32 0x7f, v1
	s_xor_b32 s22, exec_lo, s22
	s_cbranch_execz .LBB150_2376
; %bb.2356:
	s_mov_b32 s21, -1
	s_mov_b32 s23, exec_lo
	v_cmpx_eq_u16_e32 0x80, v1
; %bb.2357:
	s_xor_b32 s21, exec_lo, -1
; %bb.2358:
	s_or_b32 exec_lo, exec_lo, s23
	s_delay_alu instid0(SALU_CYCLE_1)
	s_and_b32 s21, s21, exec_lo
	s_or_saveexec_b32 s22, s22
	v_mov_b32_e32 v12, 0x7f800001
	s_xor_b32 exec_lo, exec_lo, s22
	s_cbranch_execnz .LBB150_2377
.LBB150_2359:
	s_or_b32 exec_lo, exec_lo, s22
	s_and_saveexec_b32 s22, s21
	s_cbranch_execz .LBB150_2361
.LBB150_2360:
	v_and_b32_e32 v3, 0xffff, v1
	s_delay_alu instid0(VALU_DEP_1) | instskip(SKIP_1) | instid1(VALU_DEP_2)
	v_dual_lshlrev_b32 v1, 24, v1 :: v_dual_bitop2_b32 v5, 7, v3 bitop3:0x40
	v_bfe_u32 v13, v3, 3, 4
	v_and_b32_e32 v1, 0x80000000, v1
	s_delay_alu instid0(VALU_DEP_3) | instskip(NEXT) | instid1(VALU_DEP_3)
	v_clz_i32_u32_e32 v11, v5
	v_cmp_eq_u32_e32 vcc_lo, 0, v13
	s_delay_alu instid0(VALU_DEP_2) | instskip(NEXT) | instid1(VALU_DEP_1)
	v_min_u32_e32 v11, 32, v11
	v_subrev_nc_u32_e32 v12, 28, v11
	v_sub_nc_u32_e32 v11, 29, v11
	s_delay_alu instid0(VALU_DEP_2) | instskip(NEXT) | instid1(VALU_DEP_2)
	v_lshlrev_b32_e32 v3, v12, v3
	v_cndmask_b32_e32 v11, v13, v11, vcc_lo
	s_delay_alu instid0(VALU_DEP_2) | instskip(NEXT) | instid1(VALU_DEP_1)
	v_and_b32_e32 v3, 7, v3
	v_cndmask_b32_e32 v3, v5, v3, vcc_lo
	s_delay_alu instid0(VALU_DEP_3) | instskip(NEXT) | instid1(VALU_DEP_2)
	v_lshl_add_u32 v5, v11, 23, 0x3b800000
	v_lshlrev_b32_e32 v3, 20, v3
	s_delay_alu instid0(VALU_DEP_1)
	v_or3_b32 v12, v1, v5, v3
.LBB150_2361:
	s_or_b32 exec_lo, exec_lo, s22
.LBB150_2362:
	s_mov_b32 s21, -1
.LBB150_2363:
	s_mov_b32 s22, 0
.LBB150_2364:
	s_delay_alu instid0(SALU_CYCLE_1)
	s_and_b32 vcc_lo, exec_lo, s22
	s_cbranch_vccz .LBB150_2397
; %bb.2365:
	s_cmp_gt_i32 s0, 22
	s_cbranch_scc0 .LBB150_2375
; %bb.2366:
	s_cmp_lt_i32 s0, 24
	s_cbranch_scc1 .LBB150_2378
; %bb.2367:
	s_cmp_gt_i32 s0, 24
	s_cbranch_scc0 .LBB150_2379
; %bb.2368:
	global_load_u8 v1, v[6:7], off
	s_mov_b32 s21, exec_lo
	s_wait_loadcnt 0x0
	v_cmpx_lt_i16_e32 0x7f, v1
	s_xor_b32 s21, exec_lo, s21
	s_cbranch_execz .LBB150_2391
; %bb.2369:
	s_mov_b32 s20, -1
	s_mov_b32 s22, exec_lo
	v_cmpx_eq_u16_e32 0x80, v1
; %bb.2370:
	s_xor_b32 s20, exec_lo, -1
; %bb.2371:
	s_or_b32 exec_lo, exec_lo, s22
	s_delay_alu instid0(SALU_CYCLE_1)
	s_and_b32 s20, s20, exec_lo
	s_or_saveexec_b32 s21, s21
	v_mov_b32_e32 v12, 0x7f800001
	s_xor_b32 exec_lo, exec_lo, s21
	s_cbranch_execnz .LBB150_2392
.LBB150_2372:
	s_or_b32 exec_lo, exec_lo, s21
	s_and_saveexec_b32 s21, s20
	s_cbranch_execz .LBB150_2374
.LBB150_2373:
	v_and_b32_e32 v3, 0xffff, v1
	s_delay_alu instid0(VALU_DEP_1) | instskip(SKIP_1) | instid1(VALU_DEP_2)
	v_dual_lshlrev_b32 v1, 24, v1 :: v_dual_bitop2_b32 v5, 3, v3 bitop3:0x40
	v_bfe_u32 v13, v3, 2, 5
	v_and_b32_e32 v1, 0x80000000, v1
	s_delay_alu instid0(VALU_DEP_3) | instskip(NEXT) | instid1(VALU_DEP_3)
	v_clz_i32_u32_e32 v11, v5
	v_cmp_eq_u32_e32 vcc_lo, 0, v13
	s_delay_alu instid0(VALU_DEP_2) | instskip(NEXT) | instid1(VALU_DEP_1)
	v_min_u32_e32 v11, 32, v11
	v_subrev_nc_u32_e32 v12, 29, v11
	v_sub_nc_u32_e32 v11, 30, v11
	s_delay_alu instid0(VALU_DEP_2) | instskip(NEXT) | instid1(VALU_DEP_2)
	v_lshlrev_b32_e32 v3, v12, v3
	v_cndmask_b32_e32 v11, v13, v11, vcc_lo
	s_delay_alu instid0(VALU_DEP_2) | instskip(NEXT) | instid1(VALU_DEP_1)
	v_and_b32_e32 v3, 3, v3
	v_cndmask_b32_e32 v3, v5, v3, vcc_lo
	s_delay_alu instid0(VALU_DEP_3) | instskip(NEXT) | instid1(VALU_DEP_2)
	v_lshl_add_u32 v5, v11, 23, 0x37800000
	v_lshlrev_b32_e32 v3, 21, v3
	s_delay_alu instid0(VALU_DEP_1)
	v_or3_b32 v12, v1, v5, v3
.LBB150_2374:
	s_or_b32 exec_lo, exec_lo, s21
	s_mov_b32 s20, 0
	s_branch .LBB150_2380
.LBB150_2375:
	s_mov_b32 s20, -1
                                        ; implicit-def: $vgpr12
	s_branch .LBB150_2386
.LBB150_2376:
	s_or_saveexec_b32 s22, s22
	v_mov_b32_e32 v12, 0x7f800001
	s_xor_b32 exec_lo, exec_lo, s22
	s_cbranch_execz .LBB150_2359
.LBB150_2377:
	v_cmp_ne_u16_e32 vcc_lo, 0, v1
	v_mov_b32_e32 v12, 0
	s_and_not1_b32 s21, s21, exec_lo
	s_and_b32 s23, vcc_lo, exec_lo
	s_delay_alu instid0(SALU_CYCLE_1)
	s_or_b32 s21, s21, s23
	s_or_b32 exec_lo, exec_lo, s22
	s_and_saveexec_b32 s22, s21
	s_cbranch_execnz .LBB150_2360
	s_branch .LBB150_2361
.LBB150_2378:
	s_mov_b32 s20, -1
                                        ; implicit-def: $vgpr12
	s_branch .LBB150_2383
.LBB150_2379:
	s_mov_b32 s20, -1
                                        ; implicit-def: $vgpr12
.LBB150_2380:
	s_delay_alu instid0(SALU_CYCLE_1)
	s_and_b32 vcc_lo, exec_lo, s20
	s_cbranch_vccz .LBB150_2382
; %bb.2381:
	global_load_u8 v1, v[6:7], off
	s_wait_loadcnt 0x0
	v_lshlrev_b32_e32 v1, 24, v1
	s_delay_alu instid0(VALU_DEP_1) | instskip(NEXT) | instid1(VALU_DEP_1)
	v_and_b32_e32 v3, 0x7f000000, v1
	v_clz_i32_u32_e32 v5, v3
	v_cmp_ne_u32_e32 vcc_lo, 0, v3
	v_add_nc_u32_e32 v12, 0x1000000, v3
	s_delay_alu instid0(VALU_DEP_3) | instskip(NEXT) | instid1(VALU_DEP_1)
	v_min_u32_e32 v5, 32, v5
	v_sub_nc_u32_e64 v5, v5, 4 clamp
	s_delay_alu instid0(VALU_DEP_1) | instskip(NEXT) | instid1(VALU_DEP_1)
	v_dual_lshlrev_b32 v11, v5, v3 :: v_dual_lshlrev_b32 v5, 23, v5
	v_lshrrev_b32_e32 v11, 4, v11
	s_delay_alu instid0(VALU_DEP_1) | instskip(NEXT) | instid1(VALU_DEP_1)
	v_dual_sub_nc_u32 v5, v11, v5 :: v_dual_ashrrev_i32 v11, 8, v12
	v_add_nc_u32_e32 v5, 0x3c000000, v5
	s_delay_alu instid0(VALU_DEP_1) | instskip(NEXT) | instid1(VALU_DEP_1)
	v_and_or_b32 v5, 0x7f800000, v11, v5
	v_cndmask_b32_e32 v3, 0, v5, vcc_lo
	s_delay_alu instid0(VALU_DEP_1)
	v_and_or_b32 v12, 0x80000000, v1, v3
.LBB150_2382:
	s_mov_b32 s20, 0
.LBB150_2383:
	s_delay_alu instid0(SALU_CYCLE_1)
	s_and_not1_b32 vcc_lo, exec_lo, s20
	s_cbranch_vccnz .LBB150_2385
; %bb.2384:
	global_load_u8 v1, v[6:7], off
	s_wait_loadcnt 0x0
	v_lshlrev_b32_e32 v3, 25, v1
	v_lshlrev_b16 v1, 8, v1
	s_delay_alu instid0(VALU_DEP_1) | instskip(SKIP_1) | instid1(VALU_DEP_2)
	v_and_or_b32 v11, 0x7f00, v1, 0.5
	v_bfe_i32 v1, v1, 0, 16
	v_add_f32_e32 v11, -0.5, v11
	v_lshrrev_b32_e32 v5, 4, v3
	v_cmp_gt_u32_e32 vcc_lo, 0x8000000, v3
	s_delay_alu instid0(VALU_DEP_2) | instskip(NEXT) | instid1(VALU_DEP_1)
	v_or_b32_e32 v5, 0x70000000, v5
	v_mul_f32_e32 v5, 0x7800000, v5
	s_delay_alu instid0(VALU_DEP_1) | instskip(NEXT) | instid1(VALU_DEP_1)
	v_cndmask_b32_e32 v3, v5, v11, vcc_lo
	v_and_or_b32 v12, 0x80000000, v1, v3
.LBB150_2385:
	s_mov_b32 s20, 0
	s_mov_b32 s21, -1
.LBB150_2386:
	s_and_not1_b32 vcc_lo, exec_lo, s20
	s_mov_b32 s20, 0
	s_cbranch_vccnz .LBB150_2397
; %bb.2387:
	s_cmp_gt_i32 s0, 14
	s_cbranch_scc0 .LBB150_2390
; %bb.2388:
	s_cmp_eq_u32 s0, 15
	s_cbranch_scc0 .LBB150_2393
; %bb.2389:
	global_load_u16 v1, v[6:7], off
	s_mov_b32 s1, 0
	s_mov_b32 s21, -1
	s_wait_loadcnt 0x0
	v_lshlrev_b32_e32 v12, 16, v1
	s_branch .LBB150_2395
.LBB150_2390:
	s_mov_b32 s20, -1
	s_branch .LBB150_2394
.LBB150_2391:
	s_or_saveexec_b32 s21, s21
	v_mov_b32_e32 v12, 0x7f800001
	s_xor_b32 exec_lo, exec_lo, s21
	s_cbranch_execz .LBB150_2372
.LBB150_2392:
	v_cmp_ne_u16_e32 vcc_lo, 0, v1
	v_mov_b32_e32 v12, 0
	s_and_not1_b32 s20, s20, exec_lo
	s_and_b32 s22, vcc_lo, exec_lo
	s_delay_alu instid0(SALU_CYCLE_1)
	s_or_b32 s20, s20, s22
	s_or_b32 exec_lo, exec_lo, s21
	s_and_saveexec_b32 s21, s20
	s_cbranch_execnz .LBB150_2373
	s_branch .LBB150_2374
.LBB150_2393:
	s_mov_b32 s1, -1
.LBB150_2394:
                                        ; implicit-def: $vgpr12
.LBB150_2395:
	s_and_b32 vcc_lo, exec_lo, s20
	s_mov_b32 s20, 0
	s_cbranch_vccz .LBB150_2397
; %bb.2396:
	s_cmp_lg_u32 s0, 11
	s_mov_b32 s20, -1
	s_cselect_b32 s1, -1, 0
.LBB150_2397:
	s_delay_alu instid0(SALU_CYCLE_1)
	s_and_b32 vcc_lo, exec_lo, s1
	s_cbranch_vccnz .LBB150_2460
; %bb.2398:
	s_and_not1_b32 vcc_lo, exec_lo, s20
	s_cbranch_vccnz .LBB150_2400
.LBB150_2399:
	global_load_u8 v1, v[6:7], off
	s_mov_b32 s21, -1
	s_wait_loadcnt 0x0
	v_cmp_ne_u16_e32 vcc_lo, 0, v1
	v_cndmask_b32_e64 v12, 0, 1.0, vcc_lo
.LBB150_2400:
	s_branch .LBB150_2327
.LBB150_2401:
	s_cmp_lt_i32 s0, 5
	s_cbranch_scc1 .LBB150_2406
; %bb.2402:
	s_cmp_lt_i32 s0, 8
	s_cbranch_scc1 .LBB150_2407
; %bb.2403:
	s_cmp_lt_i32 s0, 9
	s_cbranch_scc1 .LBB150_2408
; %bb.2404:
	s_cmp_gt_i32 s0, 9
	s_cbranch_scc0 .LBB150_2409
; %bb.2405:
	global_load_b64 v[12:13], v[6:7], off
	s_mov_b32 s1, 0
	s_wait_loadcnt 0x0
	v_cvt_f32_f64_e32 v12, v[12:13]
	s_branch .LBB150_2410
.LBB150_2406:
	s_mov_b32 s1, -1
                                        ; implicit-def: $vgpr12
	s_branch .LBB150_2428
.LBB150_2407:
	s_mov_b32 s1, -1
                                        ; implicit-def: $vgpr12
	s_branch .LBB150_2416
.LBB150_2408:
	s_mov_b32 s1, -1
                                        ; implicit-def: $vgpr12
	s_branch .LBB150_2413
.LBB150_2409:
	s_mov_b32 s1, -1
                                        ; implicit-def: $vgpr12
.LBB150_2410:
	s_delay_alu instid0(SALU_CYCLE_1)
	s_and_not1_b32 vcc_lo, exec_lo, s1
	s_cbranch_vccnz .LBB150_2412
; %bb.2411:
	global_load_b32 v12, v[6:7], off
.LBB150_2412:
	s_mov_b32 s1, 0
.LBB150_2413:
	s_delay_alu instid0(SALU_CYCLE_1)
	s_and_not1_b32 vcc_lo, exec_lo, s1
	s_cbranch_vccnz .LBB150_2415
; %bb.2414:
	global_load_b32 v1, v[6:7], off
	s_wait_loadcnt 0x0
	v_cvt_f32_f16_e32 v12, v1
.LBB150_2415:
	s_mov_b32 s1, 0
.LBB150_2416:
	s_delay_alu instid0(SALU_CYCLE_1)
	s_and_not1_b32 vcc_lo, exec_lo, s1
	s_cbranch_vccnz .LBB150_2427
; %bb.2417:
	s_cmp_lt_i32 s0, 6
	s_cbranch_scc1 .LBB150_2420
; %bb.2418:
	s_cmp_gt_i32 s0, 6
	s_cbranch_scc0 .LBB150_2421
; %bb.2419:
	s_wait_loadcnt 0x0
	global_load_b64 v[12:13], v[6:7], off
	s_mov_b32 s1, 0
	s_wait_loadcnt 0x0
	v_cvt_f32_f64_e32 v12, v[12:13]
	s_branch .LBB150_2422
.LBB150_2420:
	s_mov_b32 s1, -1
                                        ; implicit-def: $vgpr12
	s_branch .LBB150_2425
.LBB150_2421:
	s_mov_b32 s1, -1
                                        ; implicit-def: $vgpr12
.LBB150_2422:
	s_delay_alu instid0(SALU_CYCLE_1)
	s_and_not1_b32 vcc_lo, exec_lo, s1
	s_cbranch_vccnz .LBB150_2424
; %bb.2423:
	s_wait_loadcnt 0x0
	global_load_b32 v12, v[6:7], off
.LBB150_2424:
	s_mov_b32 s1, 0
.LBB150_2425:
	s_delay_alu instid0(SALU_CYCLE_1)
	s_and_not1_b32 vcc_lo, exec_lo, s1
	s_cbranch_vccnz .LBB150_2427
; %bb.2426:
	global_load_u16 v1, v[6:7], off
	s_wait_loadcnt 0x0
	v_cvt_f32_f16_e32 v12, v1
.LBB150_2427:
	s_mov_b32 s1, 0
.LBB150_2428:
	s_delay_alu instid0(SALU_CYCLE_1)
	s_and_not1_b32 vcc_lo, exec_lo, s1
	s_cbranch_vccnz .LBB150_2448
; %bb.2429:
	s_cmp_lt_i32 s0, 2
	s_cbranch_scc1 .LBB150_2433
; %bb.2430:
	s_cmp_lt_i32 s0, 3
	s_cbranch_scc1 .LBB150_2434
; %bb.2431:
	s_cmp_gt_i32 s0, 3
	s_cbranch_scc0 .LBB150_2435
; %bb.2432:
	s_wait_loadcnt 0x0
	global_load_b64 v[12:13], v[6:7], off
	s_mov_b32 s1, 0
	s_wait_loadcnt 0x0
	v_xor_b32_e32 v1, v12, v13
	v_cls_i32_e32 v3, v13
	s_delay_alu instid0(VALU_DEP_2) | instskip(NEXT) | instid1(VALU_DEP_1)
	v_ashrrev_i32_e32 v1, 31, v1
	v_add_nc_u32_e32 v1, 32, v1
	s_delay_alu instid0(VALU_DEP_1) | instskip(NEXT) | instid1(VALU_DEP_1)
	v_add_min_u32_e64 v1, v3, -1, v1
	v_lshlrev_b64_e32 v[12:13], v1, v[12:13]
	v_sub_nc_u32_e32 v1, 32, v1
	s_delay_alu instid0(VALU_DEP_2) | instskip(NEXT) | instid1(VALU_DEP_1)
	v_min_u32_e32 v3, 1, v12
	v_or_b32_e32 v3, v13, v3
	s_delay_alu instid0(VALU_DEP_1) | instskip(NEXT) | instid1(VALU_DEP_1)
	v_cvt_f32_i32_e32 v3, v3
	v_ldexp_f32 v12, v3, v1
	s_branch .LBB150_2436
.LBB150_2433:
	s_mov_b32 s1, -1
                                        ; implicit-def: $vgpr12
	s_branch .LBB150_2442
.LBB150_2434:
	s_mov_b32 s1, -1
                                        ; implicit-def: $vgpr12
	s_branch .LBB150_2439
.LBB150_2435:
	s_mov_b32 s1, -1
                                        ; implicit-def: $vgpr12
.LBB150_2436:
	s_delay_alu instid0(SALU_CYCLE_1)
	s_and_not1_b32 vcc_lo, exec_lo, s1
	s_cbranch_vccnz .LBB150_2438
; %bb.2437:
	global_load_b32 v1, v[6:7], off
	s_wait_loadcnt 0x0
	v_cvt_f32_i32_e32 v12, v1
.LBB150_2438:
	s_mov_b32 s1, 0
.LBB150_2439:
	s_delay_alu instid0(SALU_CYCLE_1)
	s_and_not1_b32 vcc_lo, exec_lo, s1
	s_cbranch_vccnz .LBB150_2441
; %bb.2440:
	global_load_i16 v1, v[6:7], off
	s_wait_loadcnt 0x0
	v_cvt_f32_i32_e32 v12, v1
.LBB150_2441:
	s_mov_b32 s1, 0
.LBB150_2442:
	s_delay_alu instid0(SALU_CYCLE_1)
	s_and_not1_b32 vcc_lo, exec_lo, s1
	s_cbranch_vccnz .LBB150_2448
; %bb.2443:
	s_cmp_gt_i32 s0, 0
	s_mov_b32 s1, 0
	s_cbranch_scc0 .LBB150_2445
; %bb.2444:
	global_load_i8 v1, v[6:7], off
	s_wait_loadcnt 0x0
	v_cvt_f32_i32_e32 v12, v1
	s_branch .LBB150_2446
.LBB150_2445:
	s_mov_b32 s1, -1
                                        ; implicit-def: $vgpr12
.LBB150_2446:
	s_delay_alu instid0(SALU_CYCLE_1)
	s_and_not1_b32 vcc_lo, exec_lo, s1
	s_cbranch_vccnz .LBB150_2448
; %bb.2447:
	global_load_u8 v1, v[6:7], off
	s_wait_loadcnt 0x0
	v_cvt_f32_ubyte0_e32 v12, v1
.LBB150_2448:
.LBB150_2449:
	s_lshl_b32 s1, s13, 7
	s_cmp_lt_i32 s17, 11
	v_add_nc_u32_e32 v0, s1, v0
	s_delay_alu instid0(VALU_DEP_1) | instskip(SKIP_1) | instid1(VALU_DEP_1)
	v_ashrrev_i32_e32 v1, 31, v0
	s_wait_xcnt 0x0
	v_add_nc_u64_e32 v[6:7], s[6:7], v[0:1]
	s_cbranch_scc1 .LBB150_2456
; %bb.2450:
	s_and_b32 s13, 0xffff, s17
	s_mov_b32 s21, 0
	s_cmp_gt_i32 s13, 25
	s_cbranch_scc0 .LBB150_2457
; %bb.2451:
	s_cmp_gt_i32 s13, 28
	s_cbranch_scc0 .LBB150_2458
; %bb.2452:
	;; [unrolled: 3-line block ×4, first 2 shown]
	s_cmp_eq_u32 s13, 46
	s_mov_b32 s23, 0
	s_cbranch_scc0 .LBB150_2462
; %bb.2455:
	global_load_b32 v1, v[6:7], off
	s_mov_b32 s20, 0
	s_mov_b32 s22, -1
	s_wait_loadcnt 0x0
	v_lshlrev_b32_e32 v11, 16, v1
	s_branch .LBB150_2464
.LBB150_2456:
	s_mov_b32 s13, -1
	s_mov_b32 s22, 0
                                        ; implicit-def: $vgpr11
	s_branch .LBB150_2530
.LBB150_2457:
	s_mov_b32 s23, -1
	s_mov_b32 s22, 0
	s_mov_b32 s20, 0
                                        ; implicit-def: $vgpr11
	s_branch .LBB150_2493
.LBB150_2458:
	s_mov_b32 s23, -1
	s_mov_b32 s22, 0
	s_mov_b32 s20, 0
                                        ; implicit-def: $vgpr11
	s_branch .LBB150_2474
.LBB150_2459:
	s_mov_b32 s23, -1
	s_mov_b32 s22, 0
	s_mov_b32 s20, 0
                                        ; implicit-def: $vgpr11
	s_branch .LBB150_2469
.LBB150_2460:
	s_or_b32 s16, s16, exec_lo
	s_trap 2
	s_cbranch_execz .LBB150_2399
	s_branch .LBB150_2400
.LBB150_2461:
	s_mov_b32 s23, -1
	s_mov_b32 s22, 0
	s_mov_b32 s20, 0
	s_branch .LBB150_2463
.LBB150_2462:
	s_mov_b32 s20, -1
	s_mov_b32 s22, 0
.LBB150_2463:
                                        ; implicit-def: $vgpr11
.LBB150_2464:
	s_and_b32 vcc_lo, exec_lo, s23
	s_cbranch_vccz .LBB150_2468
; %bb.2465:
	s_cmp_eq_u32 s13, 44
	s_cbranch_scc0 .LBB150_2467
; %bb.2466:
	global_load_u8 v1, v[6:7], off
	s_mov_b32 s20, 0
	s_mov_b32 s22, -1
	s_wait_loadcnt 0x0
	v_lshlrev_b32_e32 v3, 23, v1
	v_cmp_ne_u32_e32 vcc_lo, 0xff, v1
	s_delay_alu instid0(VALU_DEP_2) | instskip(SKIP_1) | instid1(VALU_DEP_2)
	v_cndmask_b32_e32 v3, 0x7f800001, v3, vcc_lo
	v_cmp_ne_u32_e32 vcc_lo, 0, v1
	v_cndmask_b32_e32 v11, 0x400000, v3, vcc_lo
	s_branch .LBB150_2468
.LBB150_2467:
	s_mov_b32 s20, -1
                                        ; implicit-def: $vgpr11
.LBB150_2468:
	s_mov_b32 s23, 0
.LBB150_2469:
	s_delay_alu instid0(SALU_CYCLE_1)
	s_and_b32 vcc_lo, exec_lo, s23
	s_cbranch_vccz .LBB150_2473
; %bb.2470:
	s_cmp_eq_u32 s13, 29
	s_cbranch_scc0 .LBB150_2472
; %bb.2471:
	global_load_b64 v[14:15], v[6:7], off
	s_mov_b32 s20, 0
	s_mov_b32 s22, -1
	s_mov_b32 s23, 0
	s_wait_loadcnt 0x0
	v_clz_i32_u32_e32 v1, v15
	s_delay_alu instid0(VALU_DEP_1) | instskip(NEXT) | instid1(VALU_DEP_1)
	v_min_u32_e32 v1, 32, v1
	v_lshlrev_b64_e32 v[14:15], v1, v[14:15]
	v_sub_nc_u32_e32 v1, 32, v1
	s_delay_alu instid0(VALU_DEP_2) | instskip(NEXT) | instid1(VALU_DEP_1)
	v_min_u32_e32 v3, 1, v14
	v_or_b32_e32 v3, v15, v3
	s_delay_alu instid0(VALU_DEP_1) | instskip(NEXT) | instid1(VALU_DEP_1)
	v_cvt_f32_u32_e32 v3, v3
	v_ldexp_f32 v11, v3, v1
	s_branch .LBB150_2474
.LBB150_2472:
	s_mov_b32 s20, -1
                                        ; implicit-def: $vgpr11
.LBB150_2473:
	s_mov_b32 s23, 0
.LBB150_2474:
	s_delay_alu instid0(SALU_CYCLE_1)
	s_and_b32 vcc_lo, exec_lo, s23
	s_cbranch_vccz .LBB150_2492
; %bb.2475:
	s_cmp_lt_i32 s13, 27
	s_cbranch_scc1 .LBB150_2478
; %bb.2476:
	s_cmp_gt_i32 s13, 27
	s_cbranch_scc0 .LBB150_2479
; %bb.2477:
	global_load_b32 v1, v[6:7], off
	s_mov_b32 s22, 0
	s_wait_loadcnt 0x0
	v_cvt_f32_u32_e32 v11, v1
	s_branch .LBB150_2480
.LBB150_2478:
	s_mov_b32 s22, -1
                                        ; implicit-def: $vgpr11
	s_branch .LBB150_2483
.LBB150_2479:
	s_mov_b32 s22, -1
                                        ; implicit-def: $vgpr11
.LBB150_2480:
	s_delay_alu instid0(SALU_CYCLE_1)
	s_and_not1_b32 vcc_lo, exec_lo, s22
	s_cbranch_vccnz .LBB150_2482
; %bb.2481:
	global_load_u16 v1, v[6:7], off
	s_wait_loadcnt 0x0
	v_cvt_f32_u32_e32 v11, v1
.LBB150_2482:
	s_mov_b32 s22, 0
.LBB150_2483:
	s_delay_alu instid0(SALU_CYCLE_1)
	s_and_not1_b32 vcc_lo, exec_lo, s22
	s_cbranch_vccnz .LBB150_2491
; %bb.2484:
	global_load_u8 v1, v[6:7], off
	s_mov_b32 s22, 0
	s_mov_b32 s23, exec_lo
	s_wait_loadcnt 0x0
	v_cmpx_lt_i16_e32 0x7f, v1
	s_xor_b32 s23, exec_lo, s23
	s_cbranch_execz .LBB150_2505
; %bb.2485:
	s_mov_b32 s22, -1
	s_mov_b32 s24, exec_lo
	v_cmpx_eq_u16_e32 0x80, v1
; %bb.2486:
	s_xor_b32 s22, exec_lo, -1
; %bb.2487:
	s_or_b32 exec_lo, exec_lo, s24
	s_delay_alu instid0(SALU_CYCLE_1)
	s_and_b32 s22, s22, exec_lo
	s_or_saveexec_b32 s23, s23
	v_mov_b32_e32 v11, 0x7f800001
	s_xor_b32 exec_lo, exec_lo, s23
	s_cbranch_execnz .LBB150_2506
.LBB150_2488:
	s_or_b32 exec_lo, exec_lo, s23
	s_and_saveexec_b32 s23, s22
	s_cbranch_execz .LBB150_2490
.LBB150_2489:
	v_and_b32_e32 v3, 0xffff, v1
	s_delay_alu instid0(VALU_DEP_1) | instskip(SKIP_1) | instid1(VALU_DEP_2)
	v_dual_lshlrev_b32 v1, 24, v1 :: v_dual_bitop2_b32 v5, 7, v3 bitop3:0x40
	v_bfe_u32 v14, v3, 3, 4
	v_and_b32_e32 v1, 0x80000000, v1
	s_delay_alu instid0(VALU_DEP_3) | instskip(NEXT) | instid1(VALU_DEP_3)
	v_clz_i32_u32_e32 v11, v5
	v_cmp_eq_u32_e32 vcc_lo, 0, v14
	s_delay_alu instid0(VALU_DEP_2) | instskip(NEXT) | instid1(VALU_DEP_1)
	v_min_u32_e32 v11, 32, v11
	v_subrev_nc_u32_e32 v13, 28, v11
	v_sub_nc_u32_e32 v11, 29, v11
	s_delay_alu instid0(VALU_DEP_2) | instskip(NEXT) | instid1(VALU_DEP_2)
	v_lshlrev_b32_e32 v3, v13, v3
	v_cndmask_b32_e32 v11, v14, v11, vcc_lo
	s_delay_alu instid0(VALU_DEP_2) | instskip(NEXT) | instid1(VALU_DEP_1)
	v_and_b32_e32 v3, 7, v3
	v_cndmask_b32_e32 v3, v5, v3, vcc_lo
	s_delay_alu instid0(VALU_DEP_3) | instskip(NEXT) | instid1(VALU_DEP_2)
	v_lshl_add_u32 v5, v11, 23, 0x3b800000
	v_lshlrev_b32_e32 v3, 20, v3
	s_delay_alu instid0(VALU_DEP_1)
	v_or3_b32 v11, v1, v5, v3
.LBB150_2490:
	s_or_b32 exec_lo, exec_lo, s23
.LBB150_2491:
	s_mov_b32 s22, -1
.LBB150_2492:
	s_mov_b32 s23, 0
.LBB150_2493:
	s_delay_alu instid0(SALU_CYCLE_1)
	s_and_b32 vcc_lo, exec_lo, s23
	s_cbranch_vccz .LBB150_2526
; %bb.2494:
	s_cmp_gt_i32 s13, 22
	s_cbranch_scc0 .LBB150_2504
; %bb.2495:
	s_cmp_lt_i32 s13, 24
	s_cbranch_scc1 .LBB150_2507
; %bb.2496:
	s_cmp_gt_i32 s13, 24
	s_cbranch_scc0 .LBB150_2508
; %bb.2497:
	global_load_u8 v1, v[6:7], off
	s_mov_b32 s22, exec_lo
	s_wait_loadcnt 0x0
	v_cmpx_lt_i16_e32 0x7f, v1
	s_xor_b32 s22, exec_lo, s22
	s_cbranch_execz .LBB150_2520
; %bb.2498:
	s_mov_b32 s21, -1
	s_mov_b32 s23, exec_lo
	v_cmpx_eq_u16_e32 0x80, v1
; %bb.2499:
	s_xor_b32 s21, exec_lo, -1
; %bb.2500:
	s_or_b32 exec_lo, exec_lo, s23
	s_delay_alu instid0(SALU_CYCLE_1)
	s_and_b32 s21, s21, exec_lo
	s_or_saveexec_b32 s22, s22
	v_mov_b32_e32 v11, 0x7f800001
	s_xor_b32 exec_lo, exec_lo, s22
	s_cbranch_execnz .LBB150_2521
.LBB150_2501:
	s_or_b32 exec_lo, exec_lo, s22
	s_and_saveexec_b32 s22, s21
	s_cbranch_execz .LBB150_2503
.LBB150_2502:
	v_and_b32_e32 v3, 0xffff, v1
	s_delay_alu instid0(VALU_DEP_1) | instskip(SKIP_1) | instid1(VALU_DEP_2)
	v_dual_lshlrev_b32 v1, 24, v1 :: v_dual_bitop2_b32 v5, 3, v3 bitop3:0x40
	v_bfe_u32 v14, v3, 2, 5
	v_and_b32_e32 v1, 0x80000000, v1
	s_delay_alu instid0(VALU_DEP_3) | instskip(NEXT) | instid1(VALU_DEP_3)
	v_clz_i32_u32_e32 v11, v5
	v_cmp_eq_u32_e32 vcc_lo, 0, v14
	s_delay_alu instid0(VALU_DEP_2) | instskip(NEXT) | instid1(VALU_DEP_1)
	v_min_u32_e32 v11, 32, v11
	v_subrev_nc_u32_e32 v13, 29, v11
	v_sub_nc_u32_e32 v11, 30, v11
	s_delay_alu instid0(VALU_DEP_2) | instskip(NEXT) | instid1(VALU_DEP_2)
	v_lshlrev_b32_e32 v3, v13, v3
	v_cndmask_b32_e32 v11, v14, v11, vcc_lo
	s_delay_alu instid0(VALU_DEP_2) | instskip(NEXT) | instid1(VALU_DEP_1)
	v_and_b32_e32 v3, 3, v3
	v_cndmask_b32_e32 v3, v5, v3, vcc_lo
	s_delay_alu instid0(VALU_DEP_3) | instskip(NEXT) | instid1(VALU_DEP_2)
	v_lshl_add_u32 v5, v11, 23, 0x37800000
	v_lshlrev_b32_e32 v3, 21, v3
	s_delay_alu instid0(VALU_DEP_1)
	v_or3_b32 v11, v1, v5, v3
.LBB150_2503:
	s_or_b32 exec_lo, exec_lo, s22
	s_mov_b32 s21, 0
	s_branch .LBB150_2509
.LBB150_2504:
	s_mov_b32 s21, -1
                                        ; implicit-def: $vgpr11
	s_branch .LBB150_2515
.LBB150_2505:
	s_or_saveexec_b32 s23, s23
	v_mov_b32_e32 v11, 0x7f800001
	s_xor_b32 exec_lo, exec_lo, s23
	s_cbranch_execz .LBB150_2488
.LBB150_2506:
	v_cmp_ne_u16_e32 vcc_lo, 0, v1
	v_mov_b32_e32 v11, 0
	s_and_not1_b32 s22, s22, exec_lo
	s_and_b32 s24, vcc_lo, exec_lo
	s_delay_alu instid0(SALU_CYCLE_1)
	s_or_b32 s22, s22, s24
	s_or_b32 exec_lo, exec_lo, s23
	s_and_saveexec_b32 s23, s22
	s_cbranch_execnz .LBB150_2489
	s_branch .LBB150_2490
.LBB150_2507:
	s_mov_b32 s21, -1
                                        ; implicit-def: $vgpr11
	s_branch .LBB150_2512
.LBB150_2508:
	s_mov_b32 s21, -1
                                        ; implicit-def: $vgpr11
.LBB150_2509:
	s_delay_alu instid0(SALU_CYCLE_1)
	s_and_b32 vcc_lo, exec_lo, s21
	s_cbranch_vccz .LBB150_2511
; %bb.2510:
	global_load_u8 v1, v[6:7], off
	s_wait_loadcnt 0x0
	v_lshlrev_b32_e32 v1, 24, v1
	s_delay_alu instid0(VALU_DEP_1) | instskip(NEXT) | instid1(VALU_DEP_1)
	v_and_b32_e32 v3, 0x7f000000, v1
	v_clz_i32_u32_e32 v5, v3
	v_add_nc_u32_e32 v13, 0x1000000, v3
	v_cmp_ne_u32_e32 vcc_lo, 0, v3
	s_delay_alu instid0(VALU_DEP_3) | instskip(NEXT) | instid1(VALU_DEP_1)
	v_min_u32_e32 v5, 32, v5
	v_sub_nc_u32_e64 v5, v5, 4 clamp
	s_delay_alu instid0(VALU_DEP_1) | instskip(NEXT) | instid1(VALU_DEP_1)
	v_dual_lshlrev_b32 v11, v5, v3 :: v_dual_lshlrev_b32 v5, 23, v5
	v_lshrrev_b32_e32 v11, 4, v11
	s_delay_alu instid0(VALU_DEP_1) | instskip(SKIP_1) | instid1(VALU_DEP_2)
	v_sub_nc_u32_e32 v5, v11, v5
	v_ashrrev_i32_e32 v11, 8, v13
	v_add_nc_u32_e32 v5, 0x3c000000, v5
	s_delay_alu instid0(VALU_DEP_1) | instskip(NEXT) | instid1(VALU_DEP_1)
	v_and_or_b32 v5, 0x7f800000, v11, v5
	v_cndmask_b32_e32 v3, 0, v5, vcc_lo
	s_delay_alu instid0(VALU_DEP_1)
	v_and_or_b32 v11, 0x80000000, v1, v3
.LBB150_2511:
	s_mov_b32 s21, 0
.LBB150_2512:
	s_delay_alu instid0(SALU_CYCLE_1)
	s_and_not1_b32 vcc_lo, exec_lo, s21
	s_cbranch_vccnz .LBB150_2514
; %bb.2513:
	global_load_u8 v1, v[6:7], off
	s_wait_loadcnt 0x0
	v_lshlrev_b32_e32 v3, 25, v1
	v_lshlrev_b16 v1, 8, v1
	s_delay_alu instid0(VALU_DEP_1) | instskip(SKIP_1) | instid1(VALU_DEP_2)
	v_and_or_b32 v11, 0x7f00, v1, 0.5
	v_bfe_i32 v1, v1, 0, 16
	v_add_f32_e32 v11, -0.5, v11
	v_lshrrev_b32_e32 v5, 4, v3
	v_cmp_gt_u32_e32 vcc_lo, 0x8000000, v3
	s_delay_alu instid0(VALU_DEP_2) | instskip(NEXT) | instid1(VALU_DEP_1)
	v_or_b32_e32 v5, 0x70000000, v5
	v_mul_f32_e32 v5, 0x7800000, v5
	s_delay_alu instid0(VALU_DEP_1) | instskip(NEXT) | instid1(VALU_DEP_1)
	v_cndmask_b32_e32 v3, v5, v11, vcc_lo
	v_and_or_b32 v11, 0x80000000, v1, v3
.LBB150_2514:
	s_mov_b32 s21, 0
	s_mov_b32 s22, -1
.LBB150_2515:
	s_and_not1_b32 vcc_lo, exec_lo, s21
	s_mov_b32 s21, 0
	s_cbranch_vccnz .LBB150_2526
; %bb.2516:
	s_cmp_gt_i32 s13, 14
	s_cbranch_scc0 .LBB150_2519
; %bb.2517:
	s_cmp_eq_u32 s13, 15
	s_cbranch_scc0 .LBB150_2522
; %bb.2518:
	global_load_u16 v1, v[6:7], off
	s_mov_b32 s20, 0
	s_mov_b32 s22, -1
	s_wait_loadcnt 0x0
	v_lshlrev_b32_e32 v11, 16, v1
	s_branch .LBB150_2524
.LBB150_2519:
	s_mov_b32 s21, -1
	s_branch .LBB150_2523
.LBB150_2520:
	s_or_saveexec_b32 s22, s22
	v_mov_b32_e32 v11, 0x7f800001
	s_xor_b32 exec_lo, exec_lo, s22
	s_cbranch_execz .LBB150_2501
.LBB150_2521:
	v_cmp_ne_u16_e32 vcc_lo, 0, v1
	v_mov_b32_e32 v11, 0
	s_and_not1_b32 s21, s21, exec_lo
	s_and_b32 s23, vcc_lo, exec_lo
	s_delay_alu instid0(SALU_CYCLE_1)
	s_or_b32 s21, s21, s23
	s_or_b32 exec_lo, exec_lo, s22
	s_and_saveexec_b32 s22, s21
	s_cbranch_execnz .LBB150_2502
	s_branch .LBB150_2503
.LBB150_2522:
	s_mov_b32 s20, -1
.LBB150_2523:
                                        ; implicit-def: $vgpr11
.LBB150_2524:
	s_and_b32 vcc_lo, exec_lo, s21
	s_mov_b32 s21, 0
	s_cbranch_vccz .LBB150_2526
; %bb.2525:
	s_cmp_lg_u32 s13, 11
	s_mov_b32 s21, -1
	s_cselect_b32 s20, -1, 0
.LBB150_2526:
	s_delay_alu instid0(SALU_CYCLE_1)
	s_and_b32 vcc_lo, exec_lo, s20
	s_cbranch_vccnz .LBB150_2591
; %bb.2527:
	s_and_not1_b32 vcc_lo, exec_lo, s21
	s_cbranch_vccnz .LBB150_2529
.LBB150_2528:
	global_load_u8 v1, v[6:7], off
	s_mov_b32 s22, -1
	s_wait_loadcnt 0x0
	v_cmp_ne_u16_e32 vcc_lo, 0, v1
	v_cndmask_b32_e64 v11, 0, 1.0, vcc_lo
.LBB150_2529:
	s_mov_b32 s13, 0
.LBB150_2530:
	s_delay_alu instid0(SALU_CYCLE_1)
	s_and_b32 vcc_lo, exec_lo, s13
	s_cbranch_vccz .LBB150_2579
; %bb.2531:
	s_and_b32 s13, 0xffff, s17
	s_delay_alu instid0(SALU_CYCLE_1)
	s_cmp_lt_i32 s13, 5
	s_cbranch_scc1 .LBB150_2536
; %bb.2532:
	s_cmp_lt_i32 s13, 8
	s_cbranch_scc1 .LBB150_2537
; %bb.2533:
	;; [unrolled: 3-line block ×3, first 2 shown]
	s_cmp_gt_i32 s13, 9
	s_cbranch_scc0 .LBB150_2539
; %bb.2535:
	global_load_b64 v[14:15], v[6:7], off
	s_mov_b32 s20, 0
	s_wait_loadcnt 0x0
	v_cvt_f32_f64_e32 v11, v[14:15]
	s_branch .LBB150_2540
.LBB150_2536:
	s_mov_b32 s20, -1
                                        ; implicit-def: $vgpr11
	s_branch .LBB150_2558
.LBB150_2537:
	s_mov_b32 s20, -1
                                        ; implicit-def: $vgpr11
	s_branch .LBB150_2546
.LBB150_2538:
	s_mov_b32 s20, -1
                                        ; implicit-def: $vgpr11
	s_branch .LBB150_2543
.LBB150_2539:
	s_mov_b32 s20, -1
                                        ; implicit-def: $vgpr11
.LBB150_2540:
	s_delay_alu instid0(SALU_CYCLE_1)
	s_and_not1_b32 vcc_lo, exec_lo, s20
	s_cbranch_vccnz .LBB150_2542
; %bb.2541:
	global_load_b32 v11, v[6:7], off
.LBB150_2542:
	s_mov_b32 s20, 0
.LBB150_2543:
	s_delay_alu instid0(SALU_CYCLE_1)
	s_and_not1_b32 vcc_lo, exec_lo, s20
	s_cbranch_vccnz .LBB150_2545
; %bb.2544:
	global_load_b32 v1, v[6:7], off
	s_wait_loadcnt 0x0
	v_cvt_f32_f16_e32 v11, v1
.LBB150_2545:
	s_mov_b32 s20, 0
.LBB150_2546:
	s_delay_alu instid0(SALU_CYCLE_1)
	s_and_not1_b32 vcc_lo, exec_lo, s20
	s_cbranch_vccnz .LBB150_2557
; %bb.2547:
	s_cmp_lt_i32 s13, 6
	s_cbranch_scc1 .LBB150_2550
; %bb.2548:
	s_cmp_gt_i32 s13, 6
	s_cbranch_scc0 .LBB150_2551
; %bb.2549:
	global_load_b64 v[14:15], v[6:7], off
	s_mov_b32 s20, 0
	s_wait_loadcnt 0x0
	v_cvt_f32_f64_e32 v11, v[14:15]
	s_branch .LBB150_2552
.LBB150_2550:
	s_mov_b32 s20, -1
                                        ; implicit-def: $vgpr11
	s_branch .LBB150_2555
.LBB150_2551:
	s_mov_b32 s20, -1
                                        ; implicit-def: $vgpr11
.LBB150_2552:
	s_delay_alu instid0(SALU_CYCLE_1)
	s_and_not1_b32 vcc_lo, exec_lo, s20
	s_cbranch_vccnz .LBB150_2554
; %bb.2553:
	s_wait_loadcnt 0x0
	global_load_b32 v11, v[6:7], off
.LBB150_2554:
	s_mov_b32 s20, 0
.LBB150_2555:
	s_delay_alu instid0(SALU_CYCLE_1)
	s_and_not1_b32 vcc_lo, exec_lo, s20
	s_cbranch_vccnz .LBB150_2557
; %bb.2556:
	global_load_u16 v1, v[6:7], off
	s_wait_loadcnt 0x0
	v_cvt_f32_f16_e32 v11, v1
.LBB150_2557:
	s_mov_b32 s20, 0
.LBB150_2558:
	s_delay_alu instid0(SALU_CYCLE_1)
	s_and_not1_b32 vcc_lo, exec_lo, s20
	s_cbranch_vccnz .LBB150_2578
; %bb.2559:
	s_cmp_lt_i32 s13, 2
	s_cbranch_scc1 .LBB150_2563
; %bb.2560:
	s_cmp_lt_i32 s13, 3
	s_cbranch_scc1 .LBB150_2564
; %bb.2561:
	s_cmp_gt_i32 s13, 3
	s_cbranch_scc0 .LBB150_2565
; %bb.2562:
	global_load_b64 v[14:15], v[6:7], off
	s_mov_b32 s20, 0
	s_wait_loadcnt 0x0
	v_xor_b32_e32 v1, v14, v15
	v_cls_i32_e32 v3, v15
	s_delay_alu instid0(VALU_DEP_2) | instskip(NEXT) | instid1(VALU_DEP_1)
	v_ashrrev_i32_e32 v1, 31, v1
	v_add_nc_u32_e32 v1, 32, v1
	s_delay_alu instid0(VALU_DEP_1) | instskip(NEXT) | instid1(VALU_DEP_1)
	v_add_min_u32_e64 v1, v3, -1, v1
	v_lshlrev_b64_e32 v[14:15], v1, v[14:15]
	v_sub_nc_u32_e32 v1, 32, v1
	s_delay_alu instid0(VALU_DEP_2) | instskip(NEXT) | instid1(VALU_DEP_1)
	v_min_u32_e32 v3, 1, v14
	v_or_b32_e32 v3, v15, v3
	s_delay_alu instid0(VALU_DEP_1) | instskip(NEXT) | instid1(VALU_DEP_1)
	v_cvt_f32_i32_e32 v3, v3
	v_ldexp_f32 v11, v3, v1
	s_branch .LBB150_2566
.LBB150_2563:
	s_mov_b32 s20, -1
                                        ; implicit-def: $vgpr11
	s_branch .LBB150_2572
.LBB150_2564:
	s_mov_b32 s20, -1
                                        ; implicit-def: $vgpr11
	s_branch .LBB150_2569
.LBB150_2565:
	s_mov_b32 s20, -1
                                        ; implicit-def: $vgpr11
.LBB150_2566:
	s_delay_alu instid0(SALU_CYCLE_1)
	s_and_not1_b32 vcc_lo, exec_lo, s20
	s_cbranch_vccnz .LBB150_2568
; %bb.2567:
	global_load_b32 v1, v[6:7], off
	s_wait_loadcnt 0x0
	v_cvt_f32_i32_e32 v11, v1
.LBB150_2568:
	s_mov_b32 s20, 0
.LBB150_2569:
	s_delay_alu instid0(SALU_CYCLE_1)
	s_and_not1_b32 vcc_lo, exec_lo, s20
	s_cbranch_vccnz .LBB150_2571
; %bb.2570:
	global_load_i16 v1, v[6:7], off
	s_wait_loadcnt 0x0
	v_cvt_f32_i32_e32 v11, v1
.LBB150_2571:
	s_mov_b32 s20, 0
.LBB150_2572:
	s_delay_alu instid0(SALU_CYCLE_1)
	s_and_not1_b32 vcc_lo, exec_lo, s20
	s_cbranch_vccnz .LBB150_2578
; %bb.2573:
	s_cmp_gt_i32 s13, 0
	s_mov_b32 s13, 0
	s_cbranch_scc0 .LBB150_2575
; %bb.2574:
	global_load_i8 v1, v[6:7], off
	s_wait_loadcnt 0x0
	v_cvt_f32_i32_e32 v11, v1
	s_branch .LBB150_2576
.LBB150_2575:
	s_mov_b32 s13, -1
                                        ; implicit-def: $vgpr11
.LBB150_2576:
	s_delay_alu instid0(SALU_CYCLE_1)
	s_and_not1_b32 vcc_lo, exec_lo, s13
	s_cbranch_vccnz .LBB150_2578
; %bb.2577:
	global_load_u8 v1, v[6:7], off
	s_wait_loadcnt 0x0
	v_cvt_f32_ubyte0_e32 v11, v1
.LBB150_2578:
	s_mov_b32 s22, -1
.LBB150_2579:
	s_delay_alu instid0(SALU_CYCLE_1)
	s_and_not1_b32 vcc_lo, exec_lo, s22
	s_cbranch_vccnz .LBB150_4065
; %bb.2580:
	s_lshl_b32 s13, s14, 7
	s_cmp_lt_i32 s3, 11
	v_add_nc_u32_e32 v2, s13, v2
	s_delay_alu instid0(VALU_DEP_1) | instskip(SKIP_1) | instid1(VALU_DEP_1)
	v_ashrrev_i32_e32 v3, 31, v2
	s_wait_xcnt 0x0
	v_add_nc_u64_e32 v[6:7], s[8:9], v[2:3]
	s_cbranch_scc1 .LBB150_2587
; %bb.2581:
	s_and_b32 s14, 0xffff, s3
	s_mov_b32 s21, 0
	s_cmp_gt_i32 s14, 25
	s_cbranch_scc0 .LBB150_2588
; %bb.2582:
	s_cmp_gt_i32 s14, 28
	s_cbranch_scc0 .LBB150_2589
; %bb.2583:
	;; [unrolled: 3-line block ×4, first 2 shown]
	s_cmp_eq_u32 s14, 46
	s_mov_b32 s23, 0
	s_cbranch_scc0 .LBB150_2593
; %bb.2586:
	global_load_b32 v1, v[6:7], off
	s_mov_b32 s20, 0
	s_mov_b32 s22, -1
	s_wait_loadcnt 0x0
	v_lshlrev_b32_e32 v13, 16, v1
	s_branch .LBB150_2595
.LBB150_2587:
	s_mov_b32 s14, -1
	s_mov_b32 s22, 0
                                        ; implicit-def: $vgpr13
	s_branch .LBB150_2661
.LBB150_2588:
	s_mov_b32 s23, -1
	s_mov_b32 s22, 0
	s_mov_b32 s20, 0
                                        ; implicit-def: $vgpr13
	s_branch .LBB150_2624
.LBB150_2589:
	s_mov_b32 s23, -1
	s_mov_b32 s22, 0
	s_mov_b32 s20, 0
                                        ; implicit-def: $vgpr13
	s_branch .LBB150_2605
.LBB150_2590:
	s_mov_b32 s23, -1
	s_mov_b32 s22, 0
	s_mov_b32 s20, 0
                                        ; implicit-def: $vgpr13
	s_branch .LBB150_2600
.LBB150_2591:
	s_or_b32 s16, s16, exec_lo
	s_trap 2
	s_cbranch_execz .LBB150_2528
	s_branch .LBB150_2529
.LBB150_2592:
	s_mov_b32 s23, -1
	s_mov_b32 s22, 0
	s_mov_b32 s20, 0
	s_branch .LBB150_2594
.LBB150_2593:
	s_mov_b32 s20, -1
	s_mov_b32 s22, 0
.LBB150_2594:
                                        ; implicit-def: $vgpr13
.LBB150_2595:
	s_and_b32 vcc_lo, exec_lo, s23
	s_cbranch_vccz .LBB150_2599
; %bb.2596:
	s_cmp_eq_u32 s14, 44
	s_cbranch_scc0 .LBB150_2598
; %bb.2597:
	global_load_u8 v1, v[6:7], off
	s_mov_b32 s20, 0
	s_mov_b32 s22, -1
	s_wait_loadcnt 0x0
	v_lshlrev_b32_e32 v3, 23, v1
	v_cmp_ne_u32_e32 vcc_lo, 0xff, v1
	s_delay_alu instid0(VALU_DEP_2) | instskip(SKIP_1) | instid1(VALU_DEP_2)
	v_cndmask_b32_e32 v3, 0x7f800001, v3, vcc_lo
	v_cmp_ne_u32_e32 vcc_lo, 0, v1
	v_cndmask_b32_e32 v13, 0x400000, v3, vcc_lo
	s_branch .LBB150_2599
.LBB150_2598:
	s_mov_b32 s20, -1
                                        ; implicit-def: $vgpr13
.LBB150_2599:
	s_mov_b32 s23, 0
.LBB150_2600:
	s_delay_alu instid0(SALU_CYCLE_1)
	s_and_b32 vcc_lo, exec_lo, s23
	s_cbranch_vccz .LBB150_2604
; %bb.2601:
	s_cmp_eq_u32 s14, 29
	s_cbranch_scc0 .LBB150_2603
; %bb.2602:
	global_load_b64 v[14:15], v[6:7], off
	s_mov_b32 s20, 0
	s_mov_b32 s22, -1
	s_mov_b32 s23, 0
	s_wait_loadcnt 0x0
	v_clz_i32_u32_e32 v1, v15
	s_delay_alu instid0(VALU_DEP_1) | instskip(NEXT) | instid1(VALU_DEP_1)
	v_min_u32_e32 v1, 32, v1
	v_lshlrev_b64_e32 v[14:15], v1, v[14:15]
	v_sub_nc_u32_e32 v1, 32, v1
	s_delay_alu instid0(VALU_DEP_2) | instskip(NEXT) | instid1(VALU_DEP_1)
	v_min_u32_e32 v3, 1, v14
	v_or_b32_e32 v3, v15, v3
	s_delay_alu instid0(VALU_DEP_1) | instskip(NEXT) | instid1(VALU_DEP_1)
	v_cvt_f32_u32_e32 v3, v3
	v_ldexp_f32 v13, v3, v1
	s_branch .LBB150_2605
.LBB150_2603:
	s_mov_b32 s20, -1
                                        ; implicit-def: $vgpr13
.LBB150_2604:
	s_mov_b32 s23, 0
.LBB150_2605:
	s_delay_alu instid0(SALU_CYCLE_1)
	s_and_b32 vcc_lo, exec_lo, s23
	s_cbranch_vccz .LBB150_2623
; %bb.2606:
	s_cmp_lt_i32 s14, 27
	s_cbranch_scc1 .LBB150_2609
; %bb.2607:
	s_cmp_gt_i32 s14, 27
	s_cbranch_scc0 .LBB150_2610
; %bb.2608:
	global_load_b32 v1, v[6:7], off
	s_mov_b32 s22, 0
	s_wait_loadcnt 0x0
	v_cvt_f32_u32_e32 v13, v1
	s_branch .LBB150_2611
.LBB150_2609:
	s_mov_b32 s22, -1
                                        ; implicit-def: $vgpr13
	s_branch .LBB150_2614
.LBB150_2610:
	s_mov_b32 s22, -1
                                        ; implicit-def: $vgpr13
.LBB150_2611:
	s_delay_alu instid0(SALU_CYCLE_1)
	s_and_not1_b32 vcc_lo, exec_lo, s22
	s_cbranch_vccnz .LBB150_2613
; %bb.2612:
	global_load_u16 v1, v[6:7], off
	s_wait_loadcnt 0x0
	v_cvt_f32_u32_e32 v13, v1
.LBB150_2613:
	s_mov_b32 s22, 0
.LBB150_2614:
	s_delay_alu instid0(SALU_CYCLE_1)
	s_and_not1_b32 vcc_lo, exec_lo, s22
	s_cbranch_vccnz .LBB150_2622
; %bb.2615:
	global_load_u8 v1, v[6:7], off
	s_mov_b32 s22, 0
	s_mov_b32 s23, exec_lo
	s_wait_loadcnt 0x0
	v_cmpx_lt_i16_e32 0x7f, v1
	s_xor_b32 s23, exec_lo, s23
	s_cbranch_execz .LBB150_2636
; %bb.2616:
	s_mov_b32 s22, -1
	s_mov_b32 s24, exec_lo
	v_cmpx_eq_u16_e32 0x80, v1
; %bb.2617:
	s_xor_b32 s22, exec_lo, -1
; %bb.2618:
	s_or_b32 exec_lo, exec_lo, s24
	s_delay_alu instid0(SALU_CYCLE_1)
	s_and_b32 s22, s22, exec_lo
	s_or_saveexec_b32 s23, s23
	v_mov_b32_e32 v13, 0x7f800001
	s_xor_b32 exec_lo, exec_lo, s23
	s_cbranch_execnz .LBB150_2637
.LBB150_2619:
	s_or_b32 exec_lo, exec_lo, s23
	s_and_saveexec_b32 s23, s22
	s_cbranch_execz .LBB150_2621
.LBB150_2620:
	v_and_b32_e32 v3, 0xffff, v1
	s_delay_alu instid0(VALU_DEP_1) | instskip(SKIP_1) | instid1(VALU_DEP_2)
	v_and_b32_e32 v5, 7, v3
	v_bfe_u32 v15, v3, 3, 4
	v_clz_i32_u32_e32 v13, v5
	s_delay_alu instid0(VALU_DEP_2) | instskip(NEXT) | instid1(VALU_DEP_2)
	v_cmp_eq_u32_e32 vcc_lo, 0, v15
	v_min_u32_e32 v13, 32, v13
	s_delay_alu instid0(VALU_DEP_1) | instskip(NEXT) | instid1(VALU_DEP_1)
	v_subrev_nc_u32_e32 v14, 28, v13
	v_dual_lshlrev_b32 v3, v14, v3 :: v_dual_sub_nc_u32 v13, 29, v13
	s_delay_alu instid0(VALU_DEP_1) | instskip(NEXT) | instid1(VALU_DEP_1)
	v_dual_lshlrev_b32 v1, 24, v1 :: v_dual_bitop2_b32 v3, 7, v3 bitop3:0x40
	v_dual_cndmask_b32 v3, v5, v3, vcc_lo :: v_dual_cndmask_b32 v13, v15, v13, vcc_lo
	s_delay_alu instid0(VALU_DEP_2) | instskip(NEXT) | instid1(VALU_DEP_2)
	v_and_b32_e32 v1, 0x80000000, v1
	v_lshlrev_b32_e32 v3, 20, v3
	s_delay_alu instid0(VALU_DEP_3) | instskip(NEXT) | instid1(VALU_DEP_1)
	v_lshl_add_u32 v5, v13, 23, 0x3b800000
	v_or3_b32 v13, v1, v5, v3
.LBB150_2621:
	s_or_b32 exec_lo, exec_lo, s23
.LBB150_2622:
	s_mov_b32 s22, -1
.LBB150_2623:
	s_mov_b32 s23, 0
.LBB150_2624:
	s_delay_alu instid0(SALU_CYCLE_1)
	s_and_b32 vcc_lo, exec_lo, s23
	s_cbranch_vccz .LBB150_2657
; %bb.2625:
	s_cmp_gt_i32 s14, 22
	s_cbranch_scc0 .LBB150_2635
; %bb.2626:
	s_cmp_lt_i32 s14, 24
	s_cbranch_scc1 .LBB150_2638
; %bb.2627:
	s_cmp_gt_i32 s14, 24
	s_cbranch_scc0 .LBB150_2639
; %bb.2628:
	global_load_u8 v1, v[6:7], off
	s_mov_b32 s22, exec_lo
	s_wait_loadcnt 0x0
	v_cmpx_lt_i16_e32 0x7f, v1
	s_xor_b32 s22, exec_lo, s22
	s_cbranch_execz .LBB150_2651
; %bb.2629:
	s_mov_b32 s21, -1
	s_mov_b32 s23, exec_lo
	v_cmpx_eq_u16_e32 0x80, v1
; %bb.2630:
	s_xor_b32 s21, exec_lo, -1
; %bb.2631:
	s_or_b32 exec_lo, exec_lo, s23
	s_delay_alu instid0(SALU_CYCLE_1)
	s_and_b32 s21, s21, exec_lo
	s_or_saveexec_b32 s22, s22
	v_mov_b32_e32 v13, 0x7f800001
	s_xor_b32 exec_lo, exec_lo, s22
	s_cbranch_execnz .LBB150_2652
.LBB150_2632:
	s_or_b32 exec_lo, exec_lo, s22
	s_and_saveexec_b32 s22, s21
	s_cbranch_execz .LBB150_2634
.LBB150_2633:
	v_and_b32_e32 v3, 0xffff, v1
	s_delay_alu instid0(VALU_DEP_1) | instskip(SKIP_1) | instid1(VALU_DEP_2)
	v_and_b32_e32 v5, 3, v3
	v_bfe_u32 v15, v3, 2, 5
	v_clz_i32_u32_e32 v13, v5
	s_delay_alu instid0(VALU_DEP_2) | instskip(NEXT) | instid1(VALU_DEP_2)
	v_cmp_eq_u32_e32 vcc_lo, 0, v15
	v_min_u32_e32 v13, 32, v13
	s_delay_alu instid0(VALU_DEP_1) | instskip(NEXT) | instid1(VALU_DEP_1)
	v_subrev_nc_u32_e32 v14, 29, v13
	v_dual_lshlrev_b32 v3, v14, v3 :: v_dual_sub_nc_u32 v13, 30, v13
	s_delay_alu instid0(VALU_DEP_1) | instskip(NEXT) | instid1(VALU_DEP_1)
	v_dual_lshlrev_b32 v1, 24, v1 :: v_dual_bitop2_b32 v3, 3, v3 bitop3:0x40
	v_dual_cndmask_b32 v3, v5, v3, vcc_lo :: v_dual_cndmask_b32 v13, v15, v13, vcc_lo
	s_delay_alu instid0(VALU_DEP_2) | instskip(NEXT) | instid1(VALU_DEP_2)
	v_and_b32_e32 v1, 0x80000000, v1
	v_lshlrev_b32_e32 v3, 21, v3
	s_delay_alu instid0(VALU_DEP_3) | instskip(NEXT) | instid1(VALU_DEP_1)
	v_lshl_add_u32 v5, v13, 23, 0x37800000
	v_or3_b32 v13, v1, v5, v3
.LBB150_2634:
	s_or_b32 exec_lo, exec_lo, s22
	s_mov_b32 s21, 0
	s_branch .LBB150_2640
.LBB150_2635:
	s_mov_b32 s21, -1
                                        ; implicit-def: $vgpr13
	s_branch .LBB150_2646
.LBB150_2636:
	s_or_saveexec_b32 s23, s23
	v_mov_b32_e32 v13, 0x7f800001
	s_xor_b32 exec_lo, exec_lo, s23
	s_cbranch_execz .LBB150_2619
.LBB150_2637:
	v_cmp_ne_u16_e32 vcc_lo, 0, v1
	v_mov_b32_e32 v13, 0
	s_and_not1_b32 s22, s22, exec_lo
	s_and_b32 s24, vcc_lo, exec_lo
	s_delay_alu instid0(SALU_CYCLE_1)
	s_or_b32 s22, s22, s24
	s_or_b32 exec_lo, exec_lo, s23
	s_and_saveexec_b32 s23, s22
	s_cbranch_execnz .LBB150_2620
	s_branch .LBB150_2621
.LBB150_2638:
	s_mov_b32 s21, -1
                                        ; implicit-def: $vgpr13
	s_branch .LBB150_2643
.LBB150_2639:
	s_mov_b32 s21, -1
                                        ; implicit-def: $vgpr13
.LBB150_2640:
	s_delay_alu instid0(SALU_CYCLE_1)
	s_and_b32 vcc_lo, exec_lo, s21
	s_cbranch_vccz .LBB150_2642
; %bb.2641:
	global_load_u8 v1, v[6:7], off
	s_wait_loadcnt 0x0
	v_lshlrev_b32_e32 v1, 24, v1
	s_delay_alu instid0(VALU_DEP_1) | instskip(NEXT) | instid1(VALU_DEP_1)
	v_and_b32_e32 v3, 0x7f000000, v1
	v_clz_i32_u32_e32 v5, v3
	v_cmp_ne_u32_e32 vcc_lo, 0, v3
	v_add_nc_u32_e32 v14, 0x1000000, v3
	s_delay_alu instid0(VALU_DEP_3) | instskip(NEXT) | instid1(VALU_DEP_1)
	v_min_u32_e32 v5, 32, v5
	v_sub_nc_u32_e64 v5, v5, 4 clamp
	s_delay_alu instid0(VALU_DEP_1) | instskip(NEXT) | instid1(VALU_DEP_1)
	v_dual_lshlrev_b32 v13, v5, v3 :: v_dual_lshlrev_b32 v5, 23, v5
	v_lshrrev_b32_e32 v13, 4, v13
	s_delay_alu instid0(VALU_DEP_1) | instskip(NEXT) | instid1(VALU_DEP_1)
	v_dual_sub_nc_u32 v5, v13, v5 :: v_dual_ashrrev_i32 v13, 8, v14
	v_add_nc_u32_e32 v5, 0x3c000000, v5
	s_delay_alu instid0(VALU_DEP_1) | instskip(NEXT) | instid1(VALU_DEP_1)
	v_and_or_b32 v5, 0x7f800000, v13, v5
	v_cndmask_b32_e32 v3, 0, v5, vcc_lo
	s_delay_alu instid0(VALU_DEP_1)
	v_and_or_b32 v13, 0x80000000, v1, v3
.LBB150_2642:
	s_mov_b32 s21, 0
.LBB150_2643:
	s_delay_alu instid0(SALU_CYCLE_1)
	s_and_not1_b32 vcc_lo, exec_lo, s21
	s_cbranch_vccnz .LBB150_2645
; %bb.2644:
	global_load_u8 v1, v[6:7], off
	s_wait_loadcnt 0x0
	v_lshlrev_b32_e32 v3, 25, v1
	v_lshlrev_b16 v1, 8, v1
	s_delay_alu instid0(VALU_DEP_2) | instskip(NEXT) | instid1(VALU_DEP_2)
	v_cmp_gt_u32_e32 vcc_lo, 0x8000000, v3
	v_and_or_b32 v13, 0x7f00, v1, 0.5
	v_lshrrev_b32_e32 v5, 4, v3
	v_bfe_i32 v1, v1, 0, 16
	s_delay_alu instid0(VALU_DEP_3) | instskip(NEXT) | instid1(VALU_DEP_3)
	v_add_f32_e32 v13, -0.5, v13
	v_or_b32_e32 v5, 0x70000000, v5
	s_delay_alu instid0(VALU_DEP_1) | instskip(NEXT) | instid1(VALU_DEP_1)
	v_mul_f32_e32 v5, 0x7800000, v5
	v_cndmask_b32_e32 v3, v5, v13, vcc_lo
	s_delay_alu instid0(VALU_DEP_1)
	v_and_or_b32 v13, 0x80000000, v1, v3
.LBB150_2645:
	s_mov_b32 s21, 0
	s_mov_b32 s22, -1
.LBB150_2646:
	s_and_not1_b32 vcc_lo, exec_lo, s21
	s_mov_b32 s21, 0
	s_cbranch_vccnz .LBB150_2657
; %bb.2647:
	s_cmp_gt_i32 s14, 14
	s_cbranch_scc0 .LBB150_2650
; %bb.2648:
	s_cmp_eq_u32 s14, 15
	s_cbranch_scc0 .LBB150_2653
; %bb.2649:
	global_load_u16 v1, v[6:7], off
	s_mov_b32 s20, 0
	s_mov_b32 s22, -1
	s_wait_loadcnt 0x0
	v_lshlrev_b32_e32 v13, 16, v1
	s_branch .LBB150_2655
.LBB150_2650:
	s_mov_b32 s21, -1
	s_branch .LBB150_2654
.LBB150_2651:
	s_or_saveexec_b32 s22, s22
	v_mov_b32_e32 v13, 0x7f800001
	s_xor_b32 exec_lo, exec_lo, s22
	s_cbranch_execz .LBB150_2632
.LBB150_2652:
	v_cmp_ne_u16_e32 vcc_lo, 0, v1
	v_mov_b32_e32 v13, 0
	s_and_not1_b32 s21, s21, exec_lo
	s_and_b32 s23, vcc_lo, exec_lo
	s_delay_alu instid0(SALU_CYCLE_1)
	s_or_b32 s21, s21, s23
	s_or_b32 exec_lo, exec_lo, s22
	s_and_saveexec_b32 s22, s21
	s_cbranch_execnz .LBB150_2633
	s_branch .LBB150_2634
.LBB150_2653:
	s_mov_b32 s20, -1
.LBB150_2654:
                                        ; implicit-def: $vgpr13
.LBB150_2655:
	s_and_b32 vcc_lo, exec_lo, s21
	s_mov_b32 s21, 0
	s_cbranch_vccz .LBB150_2657
; %bb.2656:
	s_cmp_lg_u32 s14, 11
	s_mov_b32 s21, -1
	s_cselect_b32 s20, -1, 0
.LBB150_2657:
	s_delay_alu instid0(SALU_CYCLE_1)
	s_and_b32 vcc_lo, exec_lo, s20
	s_cbranch_vccnz .LBB150_2722
; %bb.2658:
	s_and_not1_b32 vcc_lo, exec_lo, s21
	s_cbranch_vccnz .LBB150_2660
.LBB150_2659:
	global_load_u8 v1, v[6:7], off
	s_mov_b32 s22, -1
	s_wait_loadcnt 0x0
	v_cmp_ne_u16_e32 vcc_lo, 0, v1
	v_cndmask_b32_e64 v13, 0, 1.0, vcc_lo
.LBB150_2660:
	s_mov_b32 s14, 0
.LBB150_2661:
	s_delay_alu instid0(SALU_CYCLE_1)
	s_and_b32 vcc_lo, exec_lo, s14
	s_cbranch_vccz .LBB150_2710
; %bb.2662:
	s_and_b32 s14, 0xffff, s3
	s_delay_alu instid0(SALU_CYCLE_1)
	s_cmp_lt_i32 s14, 5
	s_cbranch_scc1 .LBB150_2667
; %bb.2663:
	s_cmp_lt_i32 s14, 8
	s_cbranch_scc1 .LBB150_2668
; %bb.2664:
	;; [unrolled: 3-line block ×3, first 2 shown]
	s_cmp_gt_i32 s14, 9
	s_cbranch_scc0 .LBB150_2670
; %bb.2666:
	global_load_b64 v[14:15], v[6:7], off
	s_mov_b32 s20, 0
	s_wait_loadcnt 0x0
	v_cvt_f32_f64_e32 v13, v[14:15]
	s_branch .LBB150_2671
.LBB150_2667:
	s_mov_b32 s20, -1
                                        ; implicit-def: $vgpr13
	s_branch .LBB150_2689
.LBB150_2668:
	s_mov_b32 s20, -1
                                        ; implicit-def: $vgpr13
	s_branch .LBB150_2677
.LBB150_2669:
	s_mov_b32 s20, -1
                                        ; implicit-def: $vgpr13
	s_branch .LBB150_2674
.LBB150_2670:
	s_mov_b32 s20, -1
                                        ; implicit-def: $vgpr13
.LBB150_2671:
	s_delay_alu instid0(SALU_CYCLE_1)
	s_and_not1_b32 vcc_lo, exec_lo, s20
	s_cbranch_vccnz .LBB150_2673
; %bb.2672:
	global_load_b32 v13, v[6:7], off
.LBB150_2673:
	s_mov_b32 s20, 0
.LBB150_2674:
	s_delay_alu instid0(SALU_CYCLE_1)
	s_and_not1_b32 vcc_lo, exec_lo, s20
	s_cbranch_vccnz .LBB150_2676
; %bb.2675:
	global_load_b32 v1, v[6:7], off
	s_wait_loadcnt 0x0
	v_cvt_f32_f16_e32 v13, v1
.LBB150_2676:
	s_mov_b32 s20, 0
.LBB150_2677:
	s_delay_alu instid0(SALU_CYCLE_1)
	s_and_not1_b32 vcc_lo, exec_lo, s20
	s_cbranch_vccnz .LBB150_2688
; %bb.2678:
	s_cmp_lt_i32 s14, 6
	s_cbranch_scc1 .LBB150_2681
; %bb.2679:
	s_cmp_gt_i32 s14, 6
	s_cbranch_scc0 .LBB150_2682
; %bb.2680:
	global_load_b64 v[14:15], v[6:7], off
	s_mov_b32 s20, 0
	s_wait_loadcnt 0x0
	v_cvt_f32_f64_e32 v13, v[14:15]
	s_branch .LBB150_2683
.LBB150_2681:
	s_mov_b32 s20, -1
                                        ; implicit-def: $vgpr13
	s_branch .LBB150_2686
.LBB150_2682:
	s_mov_b32 s20, -1
                                        ; implicit-def: $vgpr13
.LBB150_2683:
	s_delay_alu instid0(SALU_CYCLE_1)
	s_and_not1_b32 vcc_lo, exec_lo, s20
	s_cbranch_vccnz .LBB150_2685
; %bb.2684:
	s_wait_loadcnt 0x0
	global_load_b32 v13, v[6:7], off
.LBB150_2685:
	s_mov_b32 s20, 0
.LBB150_2686:
	s_delay_alu instid0(SALU_CYCLE_1)
	s_and_not1_b32 vcc_lo, exec_lo, s20
	s_cbranch_vccnz .LBB150_2688
; %bb.2687:
	global_load_u16 v1, v[6:7], off
	s_wait_loadcnt 0x0
	v_cvt_f32_f16_e32 v13, v1
.LBB150_2688:
	s_mov_b32 s20, 0
.LBB150_2689:
	s_delay_alu instid0(SALU_CYCLE_1)
	s_and_not1_b32 vcc_lo, exec_lo, s20
	s_cbranch_vccnz .LBB150_2709
; %bb.2690:
	s_cmp_lt_i32 s14, 2
	s_cbranch_scc1 .LBB150_2694
; %bb.2691:
	s_cmp_lt_i32 s14, 3
	s_cbranch_scc1 .LBB150_2695
; %bb.2692:
	s_cmp_gt_i32 s14, 3
	s_cbranch_scc0 .LBB150_2696
; %bb.2693:
	global_load_b64 v[14:15], v[6:7], off
	s_mov_b32 s20, 0
	s_wait_loadcnt 0x0
	v_xor_b32_e32 v1, v14, v15
	v_cls_i32_e32 v3, v15
	s_delay_alu instid0(VALU_DEP_2) | instskip(NEXT) | instid1(VALU_DEP_1)
	v_ashrrev_i32_e32 v1, 31, v1
	v_add_nc_u32_e32 v1, 32, v1
	s_delay_alu instid0(VALU_DEP_1) | instskip(NEXT) | instid1(VALU_DEP_1)
	v_add_min_u32_e64 v1, v3, -1, v1
	v_lshlrev_b64_e32 v[14:15], v1, v[14:15]
	v_sub_nc_u32_e32 v1, 32, v1
	s_delay_alu instid0(VALU_DEP_2) | instskip(NEXT) | instid1(VALU_DEP_1)
	v_min_u32_e32 v3, 1, v14
	v_or_b32_e32 v3, v15, v3
	s_delay_alu instid0(VALU_DEP_1) | instskip(NEXT) | instid1(VALU_DEP_1)
	v_cvt_f32_i32_e32 v3, v3
	v_ldexp_f32 v13, v3, v1
	s_branch .LBB150_2697
.LBB150_2694:
	s_mov_b32 s20, -1
                                        ; implicit-def: $vgpr13
	s_branch .LBB150_2703
.LBB150_2695:
	s_mov_b32 s20, -1
                                        ; implicit-def: $vgpr13
	s_branch .LBB150_2700
.LBB150_2696:
	s_mov_b32 s20, -1
                                        ; implicit-def: $vgpr13
.LBB150_2697:
	s_delay_alu instid0(SALU_CYCLE_1)
	s_and_not1_b32 vcc_lo, exec_lo, s20
	s_cbranch_vccnz .LBB150_2699
; %bb.2698:
	global_load_b32 v1, v[6:7], off
	s_wait_loadcnt 0x0
	v_cvt_f32_i32_e32 v13, v1
.LBB150_2699:
	s_mov_b32 s20, 0
.LBB150_2700:
	s_delay_alu instid0(SALU_CYCLE_1)
	s_and_not1_b32 vcc_lo, exec_lo, s20
	s_cbranch_vccnz .LBB150_2702
; %bb.2701:
	global_load_i16 v1, v[6:7], off
	s_wait_loadcnt 0x0
	v_cvt_f32_i32_e32 v13, v1
.LBB150_2702:
	s_mov_b32 s20, 0
.LBB150_2703:
	s_delay_alu instid0(SALU_CYCLE_1)
	s_and_not1_b32 vcc_lo, exec_lo, s20
	s_cbranch_vccnz .LBB150_2709
; %bb.2704:
	s_cmp_gt_i32 s14, 0
	s_mov_b32 s14, 0
	s_cbranch_scc0 .LBB150_2706
; %bb.2705:
	global_load_i8 v1, v[6:7], off
	s_wait_loadcnt 0x0
	v_cvt_f32_i32_e32 v13, v1
	s_branch .LBB150_2707
.LBB150_2706:
	s_mov_b32 s14, -1
                                        ; implicit-def: $vgpr13
.LBB150_2707:
	s_delay_alu instid0(SALU_CYCLE_1)
	s_and_not1_b32 vcc_lo, exec_lo, s14
	s_cbranch_vccnz .LBB150_2709
; %bb.2708:
	global_load_u8 v1, v[6:7], off
	s_wait_loadcnt 0x0
	v_cvt_f32_ubyte0_e32 v13, v1
.LBB150_2709:
	s_mov_b32 s22, -1
.LBB150_2710:
	s_delay_alu instid0(SALU_CYCLE_1)
	s_and_not1_b32 vcc_lo, exec_lo, s22
	s_cbranch_vccnz .LBB150_4065
; %bb.2711:
	s_lshl_b32 s14, s15, 7
	s_cmp_lt_i32 s0, 11
	v_add_nc_u32_e32 v4, s14, v4
	s_delay_alu instid0(VALU_DEP_1) | instskip(SKIP_1) | instid1(VALU_DEP_1)
	v_ashrrev_i32_e32 v5, 31, v4
	s_wait_xcnt 0x0
	v_add_nc_u64_e32 v[6:7], s[10:11], v[4:5]
	s_cbranch_scc1 .LBB150_2718
; %bb.2712:
	s_cmp_gt_i32 s0, 25
	s_mov_b32 s20, 0
	s_cbranch_scc0 .LBB150_2719
; %bb.2713:
	s_cmp_gt_i32 s0, 28
	s_cbranch_scc0 .LBB150_2720
; %bb.2714:
	s_cmp_gt_i32 s0, 43
	;; [unrolled: 3-line block ×3, first 2 shown]
	s_cbranch_scc0 .LBB150_2723
; %bb.2716:
	s_cmp_eq_u32 s0, 46
	s_mov_b32 s22, 0
	s_cbranch_scc0 .LBB150_2726
; %bb.2717:
	global_load_b32 v1, v[6:7], off
	s_mov_b32 s15, 0
	s_mov_b32 s21, -1
	s_wait_loadcnt 0x0
	v_lshlrev_b32_e32 v15, 16, v1
	s_branch .LBB150_2728
.LBB150_2718:
	s_mov_b32 s15, -1
	s_mov_b32 s21, 0
                                        ; implicit-def: $vgpr15
	s_branch .LBB150_2794
.LBB150_2719:
	s_mov_b32 s22, -1
	s_mov_b32 s21, 0
	s_mov_b32 s15, 0
                                        ; implicit-def: $vgpr15
	s_branch .LBB150_2757
.LBB150_2720:
	s_mov_b32 s22, -1
	s_mov_b32 s21, 0
	s_mov_b32 s15, 0
                                        ; implicit-def: $vgpr15
	s_branch .LBB150_2738
.LBB150_2721:
	s_mov_b32 s22, -1
	s_mov_b32 s21, 0
	s_mov_b32 s15, 0
                                        ; implicit-def: $vgpr15
	s_branch .LBB150_2733
.LBB150_2722:
	s_or_b32 s16, s16, exec_lo
	s_trap 2
	s_cbranch_execz .LBB150_2659
	s_branch .LBB150_2660
.LBB150_2723:
	s_mov_b32 s22, -1
	s_mov_b32 s21, 0
	s_mov_b32 s15, 0
	s_branch .LBB150_2727
.LBB150_2724:
	s_and_not1_saveexec_b32 s39, s39
	s_cbranch_execz .LBB150_1464
.LBB150_2725:
	v_add_f32_e64 v3, 0x46000000, |v2|
	s_and_not1_b32 s38, s38, exec_lo
	s_delay_alu instid0(VALU_DEP_1) | instskip(NEXT) | instid1(VALU_DEP_1)
	v_and_b32_e32 v3, 0xff, v3
	v_cmp_ne_u32_e32 vcc_lo, 0, v3
	s_and_b32 s40, vcc_lo, exec_lo
	s_delay_alu instid0(SALU_CYCLE_1)
	s_or_b32 s38, s38, s40
	s_or_b32 exec_lo, exec_lo, s39
	v_mov_b32_e32 v4, 0
	s_and_saveexec_b32 s39, s38
	s_cbranch_execnz .LBB150_1465
	s_branch .LBB150_1466
.LBB150_2726:
	s_mov_b32 s15, -1
	s_mov_b32 s21, 0
.LBB150_2727:
                                        ; implicit-def: $vgpr15
.LBB150_2728:
	s_and_b32 vcc_lo, exec_lo, s22
	s_cbranch_vccz .LBB150_2732
; %bb.2729:
	s_cmp_eq_u32 s0, 44
	s_cbranch_scc0 .LBB150_2731
; %bb.2730:
	global_load_u8 v1, v[6:7], off
	s_mov_b32 s15, 0
	s_mov_b32 s21, -1
	s_wait_loadcnt 0x0
	v_lshlrev_b32_e32 v3, 23, v1
	v_cmp_ne_u32_e32 vcc_lo, 0xff, v1
	s_delay_alu instid0(VALU_DEP_2) | instskip(SKIP_1) | instid1(VALU_DEP_2)
	v_cndmask_b32_e32 v3, 0x7f800001, v3, vcc_lo
	v_cmp_ne_u32_e32 vcc_lo, 0, v1
	v_cndmask_b32_e32 v15, 0x400000, v3, vcc_lo
	s_branch .LBB150_2732
.LBB150_2731:
	s_mov_b32 s15, -1
                                        ; implicit-def: $vgpr15
.LBB150_2732:
	s_mov_b32 s22, 0
.LBB150_2733:
	s_delay_alu instid0(SALU_CYCLE_1)
	s_and_b32 vcc_lo, exec_lo, s22
	s_cbranch_vccz .LBB150_2737
; %bb.2734:
	s_cmp_eq_u32 s0, 29
	s_cbranch_scc0 .LBB150_2736
; %bb.2735:
	global_load_b64 v[14:15], v[6:7], off
	s_mov_b32 s15, 0
	s_mov_b32 s21, -1
	s_mov_b32 s22, 0
	s_wait_loadcnt 0x0
	v_clz_i32_u32_e32 v1, v15
	s_delay_alu instid0(VALU_DEP_1) | instskip(NEXT) | instid1(VALU_DEP_1)
	v_min_u32_e32 v1, 32, v1
	v_lshlrev_b64_e32 v[14:15], v1, v[14:15]
	v_sub_nc_u32_e32 v1, 32, v1
	s_delay_alu instid0(VALU_DEP_2) | instskip(NEXT) | instid1(VALU_DEP_1)
	v_min_u32_e32 v3, 1, v14
	v_or_b32_e32 v3, v15, v3
	s_delay_alu instid0(VALU_DEP_1) | instskip(NEXT) | instid1(VALU_DEP_1)
	v_cvt_f32_u32_e32 v3, v3
	v_ldexp_f32 v15, v3, v1
	s_branch .LBB150_2738
.LBB150_2736:
	s_mov_b32 s15, -1
                                        ; implicit-def: $vgpr15
.LBB150_2737:
	s_mov_b32 s22, 0
.LBB150_2738:
	s_delay_alu instid0(SALU_CYCLE_1)
	s_and_b32 vcc_lo, exec_lo, s22
	s_cbranch_vccz .LBB150_2756
; %bb.2739:
	s_cmp_lt_i32 s0, 27
	s_cbranch_scc1 .LBB150_2742
; %bb.2740:
	s_cmp_gt_i32 s0, 27
	s_cbranch_scc0 .LBB150_2743
; %bb.2741:
	global_load_b32 v1, v[6:7], off
	s_mov_b32 s21, 0
	s_wait_loadcnt 0x0
	v_cvt_f32_u32_e32 v15, v1
	s_branch .LBB150_2744
.LBB150_2742:
	s_mov_b32 s21, -1
                                        ; implicit-def: $vgpr15
	s_branch .LBB150_2747
.LBB150_2743:
	s_mov_b32 s21, -1
                                        ; implicit-def: $vgpr15
.LBB150_2744:
	s_delay_alu instid0(SALU_CYCLE_1)
	s_and_not1_b32 vcc_lo, exec_lo, s21
	s_cbranch_vccnz .LBB150_2746
; %bb.2745:
	global_load_u16 v1, v[6:7], off
	s_wait_loadcnt 0x0
	v_cvt_f32_u32_e32 v15, v1
.LBB150_2746:
	s_mov_b32 s21, 0
.LBB150_2747:
	s_delay_alu instid0(SALU_CYCLE_1)
	s_and_not1_b32 vcc_lo, exec_lo, s21
	s_cbranch_vccnz .LBB150_2755
; %bb.2748:
	global_load_u8 v1, v[6:7], off
	s_mov_b32 s21, 0
	s_mov_b32 s22, exec_lo
	s_wait_loadcnt 0x0
	v_cmpx_lt_i16_e32 0x7f, v1
	s_xor_b32 s22, exec_lo, s22
	s_cbranch_execz .LBB150_2769
; %bb.2749:
	s_mov_b32 s21, -1
	s_mov_b32 s23, exec_lo
	v_cmpx_eq_u16_e32 0x80, v1
; %bb.2750:
	s_xor_b32 s21, exec_lo, -1
; %bb.2751:
	s_or_b32 exec_lo, exec_lo, s23
	s_delay_alu instid0(SALU_CYCLE_1)
	s_and_b32 s21, s21, exec_lo
	s_or_saveexec_b32 s22, s22
	v_mov_b32_e32 v15, 0x7f800001
	s_xor_b32 exec_lo, exec_lo, s22
	s_cbranch_execnz .LBB150_2770
.LBB150_2752:
	s_or_b32 exec_lo, exec_lo, s22
	s_and_saveexec_b32 s22, s21
	s_cbranch_execz .LBB150_2754
.LBB150_2753:
	v_and_b32_e32 v3, 0xffff, v1
	s_delay_alu instid0(VALU_DEP_1) | instskip(SKIP_1) | instid1(VALU_DEP_2)
	v_and_b32_e32 v5, 7, v3
	v_bfe_u32 v16, v3, 3, 4
	v_clz_i32_u32_e32 v14, v5
	s_delay_alu instid0(VALU_DEP_2) | instskip(NEXT) | instid1(VALU_DEP_2)
	v_cmp_eq_u32_e32 vcc_lo, 0, v16
	v_min_u32_e32 v14, 32, v14
	s_delay_alu instid0(VALU_DEP_1) | instskip(NEXT) | instid1(VALU_DEP_1)
	v_subrev_nc_u32_e32 v15, 28, v14
	v_dual_lshlrev_b32 v3, v15, v3 :: v_dual_sub_nc_u32 v14, 29, v14
	s_delay_alu instid0(VALU_DEP_1) | instskip(NEXT) | instid1(VALU_DEP_1)
	v_dual_lshlrev_b32 v1, 24, v1 :: v_dual_bitop2_b32 v3, 7, v3 bitop3:0x40
	v_dual_cndmask_b32 v14, v16, v14 :: v_dual_cndmask_b32 v3, v5, v3
	s_delay_alu instid0(VALU_DEP_2) | instskip(NEXT) | instid1(VALU_DEP_2)
	v_and_b32_e32 v1, 0x80000000, v1
	v_lshl_add_u32 v5, v14, 23, 0x3b800000
	s_delay_alu instid0(VALU_DEP_3) | instskip(NEXT) | instid1(VALU_DEP_1)
	v_lshlrev_b32_e32 v3, 20, v3
	v_or3_b32 v15, v1, v5, v3
.LBB150_2754:
	s_or_b32 exec_lo, exec_lo, s22
.LBB150_2755:
	s_mov_b32 s21, -1
.LBB150_2756:
	s_mov_b32 s22, 0
.LBB150_2757:
	s_delay_alu instid0(SALU_CYCLE_1)
	s_and_b32 vcc_lo, exec_lo, s22
	s_cbranch_vccz .LBB150_2790
; %bb.2758:
	s_cmp_gt_i32 s0, 22
	s_cbranch_scc0 .LBB150_2768
; %bb.2759:
	s_cmp_lt_i32 s0, 24
	s_cbranch_scc1 .LBB150_2771
; %bb.2760:
	s_cmp_gt_i32 s0, 24
	s_cbranch_scc0 .LBB150_2772
; %bb.2761:
	global_load_u8 v1, v[6:7], off
	s_mov_b32 s21, exec_lo
	s_wait_loadcnt 0x0
	v_cmpx_lt_i16_e32 0x7f, v1
	s_xor_b32 s21, exec_lo, s21
	s_cbranch_execz .LBB150_2784
; %bb.2762:
	s_mov_b32 s20, -1
	s_mov_b32 s22, exec_lo
	v_cmpx_eq_u16_e32 0x80, v1
; %bb.2763:
	s_xor_b32 s20, exec_lo, -1
; %bb.2764:
	s_or_b32 exec_lo, exec_lo, s22
	s_delay_alu instid0(SALU_CYCLE_1)
	s_and_b32 s20, s20, exec_lo
	s_or_saveexec_b32 s21, s21
	v_mov_b32_e32 v15, 0x7f800001
	s_xor_b32 exec_lo, exec_lo, s21
	s_cbranch_execnz .LBB150_2785
.LBB150_2765:
	s_or_b32 exec_lo, exec_lo, s21
	s_and_saveexec_b32 s21, s20
	s_cbranch_execz .LBB150_2767
.LBB150_2766:
	v_and_b32_e32 v3, 0xffff, v1
	s_delay_alu instid0(VALU_DEP_1) | instskip(SKIP_1) | instid1(VALU_DEP_2)
	v_and_b32_e32 v5, 3, v3
	v_bfe_u32 v16, v3, 2, 5
	v_clz_i32_u32_e32 v14, v5
	s_delay_alu instid0(VALU_DEP_2) | instskip(NEXT) | instid1(VALU_DEP_2)
	v_cmp_eq_u32_e32 vcc_lo, 0, v16
	v_min_u32_e32 v14, 32, v14
	s_delay_alu instid0(VALU_DEP_1) | instskip(NEXT) | instid1(VALU_DEP_1)
	v_subrev_nc_u32_e32 v15, 29, v14
	v_dual_lshlrev_b32 v3, v15, v3 :: v_dual_sub_nc_u32 v14, 30, v14
	s_delay_alu instid0(VALU_DEP_1) | instskip(NEXT) | instid1(VALU_DEP_1)
	v_dual_lshlrev_b32 v1, 24, v1 :: v_dual_bitop2_b32 v3, 3, v3 bitop3:0x40
	v_dual_cndmask_b32 v14, v16, v14 :: v_dual_cndmask_b32 v3, v5, v3
	s_delay_alu instid0(VALU_DEP_2) | instskip(NEXT) | instid1(VALU_DEP_2)
	v_and_b32_e32 v1, 0x80000000, v1
	v_lshl_add_u32 v5, v14, 23, 0x37800000
	s_delay_alu instid0(VALU_DEP_3) | instskip(NEXT) | instid1(VALU_DEP_1)
	v_lshlrev_b32_e32 v3, 21, v3
	v_or3_b32 v15, v1, v5, v3
.LBB150_2767:
	s_or_b32 exec_lo, exec_lo, s21
	s_mov_b32 s20, 0
	s_branch .LBB150_2773
.LBB150_2768:
	s_mov_b32 s20, -1
                                        ; implicit-def: $vgpr15
	s_branch .LBB150_2779
.LBB150_2769:
	s_or_saveexec_b32 s22, s22
	v_mov_b32_e32 v15, 0x7f800001
	s_xor_b32 exec_lo, exec_lo, s22
	s_cbranch_execz .LBB150_2752
.LBB150_2770:
	v_cmp_ne_u16_e32 vcc_lo, 0, v1
	v_mov_b32_e32 v15, 0
	s_and_not1_b32 s21, s21, exec_lo
	s_and_b32 s23, vcc_lo, exec_lo
	s_delay_alu instid0(SALU_CYCLE_1)
	s_or_b32 s21, s21, s23
	s_or_b32 exec_lo, exec_lo, s22
	s_and_saveexec_b32 s22, s21
	s_cbranch_execnz .LBB150_2753
	s_branch .LBB150_2754
.LBB150_2771:
	s_mov_b32 s20, -1
                                        ; implicit-def: $vgpr15
	s_branch .LBB150_2776
.LBB150_2772:
	s_mov_b32 s20, -1
                                        ; implicit-def: $vgpr15
.LBB150_2773:
	s_delay_alu instid0(SALU_CYCLE_1)
	s_and_b32 vcc_lo, exec_lo, s20
	s_cbranch_vccz .LBB150_2775
; %bb.2774:
	global_load_u8 v1, v[6:7], off
	s_wait_loadcnt 0x0
	v_lshlrev_b32_e32 v1, 24, v1
	s_delay_alu instid0(VALU_DEP_1) | instskip(NEXT) | instid1(VALU_DEP_1)
	v_and_b32_e32 v3, 0x7f000000, v1
	v_clz_i32_u32_e32 v5, v3
	v_add_nc_u32_e32 v15, 0x1000000, v3
	v_cmp_ne_u32_e32 vcc_lo, 0, v3
	s_delay_alu instid0(VALU_DEP_3) | instskip(NEXT) | instid1(VALU_DEP_1)
	v_min_u32_e32 v5, 32, v5
	v_sub_nc_u32_e64 v5, v5, 4 clamp
	s_delay_alu instid0(VALU_DEP_1) | instskip(NEXT) | instid1(VALU_DEP_1)
	v_dual_lshlrev_b32 v14, v5, v3 :: v_dual_lshlrev_b32 v5, 23, v5
	v_lshrrev_b32_e32 v14, 4, v14
	s_delay_alu instid0(VALU_DEP_1) | instskip(NEXT) | instid1(VALU_DEP_1)
	v_dual_sub_nc_u32 v5, v14, v5 :: v_dual_ashrrev_i32 v14, 8, v15
	v_add_nc_u32_e32 v5, 0x3c000000, v5
	s_delay_alu instid0(VALU_DEP_1) | instskip(NEXT) | instid1(VALU_DEP_1)
	v_and_or_b32 v5, 0x7f800000, v14, v5
	v_cndmask_b32_e32 v3, 0, v5, vcc_lo
	s_delay_alu instid0(VALU_DEP_1)
	v_and_or_b32 v15, 0x80000000, v1, v3
.LBB150_2775:
	s_mov_b32 s20, 0
.LBB150_2776:
	s_delay_alu instid0(SALU_CYCLE_1)
	s_and_not1_b32 vcc_lo, exec_lo, s20
	s_cbranch_vccnz .LBB150_2778
; %bb.2777:
	global_load_u8 v1, v[6:7], off
	s_wait_loadcnt 0x0
	v_lshlrev_b32_e32 v3, 25, v1
	v_lshlrev_b16 v1, 8, v1
	s_delay_alu instid0(VALU_DEP_1) | instskip(SKIP_1) | instid1(VALU_DEP_2)
	v_and_or_b32 v14, 0x7f00, v1, 0.5
	v_bfe_i32 v1, v1, 0, 16
	v_dual_add_f32 v14, -0.5, v14 :: v_dual_lshrrev_b32 v5, 4, v3
	v_cmp_gt_u32_e32 vcc_lo, 0x8000000, v3
	s_delay_alu instid0(VALU_DEP_2) | instskip(NEXT) | instid1(VALU_DEP_1)
	v_or_b32_e32 v5, 0x70000000, v5
	v_mul_f32_e32 v5, 0x7800000, v5
	s_delay_alu instid0(VALU_DEP_1) | instskip(NEXT) | instid1(VALU_DEP_1)
	v_cndmask_b32_e32 v3, v5, v14, vcc_lo
	v_and_or_b32 v15, 0x80000000, v1, v3
.LBB150_2778:
	s_mov_b32 s20, 0
	s_mov_b32 s21, -1
.LBB150_2779:
	s_and_not1_b32 vcc_lo, exec_lo, s20
	s_mov_b32 s20, 0
	s_cbranch_vccnz .LBB150_2790
; %bb.2780:
	s_cmp_gt_i32 s0, 14
	s_cbranch_scc0 .LBB150_2783
; %bb.2781:
	s_cmp_eq_u32 s0, 15
	s_cbranch_scc0 .LBB150_2786
; %bb.2782:
	global_load_u16 v1, v[6:7], off
	s_mov_b32 s15, 0
	s_mov_b32 s21, -1
	s_wait_loadcnt 0x0
	v_lshlrev_b32_e32 v15, 16, v1
	s_branch .LBB150_2788
.LBB150_2783:
	s_mov_b32 s20, -1
	s_branch .LBB150_2787
.LBB150_2784:
	s_or_saveexec_b32 s21, s21
	v_mov_b32_e32 v15, 0x7f800001
	s_xor_b32 exec_lo, exec_lo, s21
	s_cbranch_execz .LBB150_2765
.LBB150_2785:
	v_cmp_ne_u16_e32 vcc_lo, 0, v1
	v_mov_b32_e32 v15, 0
	s_and_not1_b32 s20, s20, exec_lo
	s_and_b32 s22, vcc_lo, exec_lo
	s_delay_alu instid0(SALU_CYCLE_1)
	s_or_b32 s20, s20, s22
	s_or_b32 exec_lo, exec_lo, s21
	s_and_saveexec_b32 s21, s20
	s_cbranch_execnz .LBB150_2766
	s_branch .LBB150_2767
.LBB150_2786:
	s_mov_b32 s15, -1
.LBB150_2787:
                                        ; implicit-def: $vgpr15
.LBB150_2788:
	s_and_b32 vcc_lo, exec_lo, s20
	s_mov_b32 s20, 0
	s_cbranch_vccz .LBB150_2790
; %bb.2789:
	s_cmp_lg_u32 s0, 11
	s_mov_b32 s20, -1
	s_cselect_b32 s15, -1, 0
.LBB150_2790:
	s_delay_alu instid0(SALU_CYCLE_1)
	s_and_b32 vcc_lo, exec_lo, s15
	s_cbranch_vccnz .LBB150_2855
; %bb.2791:
	s_and_not1_b32 vcc_lo, exec_lo, s20
	s_cbranch_vccnz .LBB150_2793
.LBB150_2792:
	global_load_u8 v1, v[6:7], off
	s_mov_b32 s21, -1
	s_wait_loadcnt 0x0
	v_cmp_ne_u16_e32 vcc_lo, 0, v1
	v_cndmask_b32_e64 v15, 0, 1.0, vcc_lo
.LBB150_2793:
	s_mov_b32 s15, 0
.LBB150_2794:
	s_delay_alu instid0(SALU_CYCLE_1)
	s_and_b32 vcc_lo, exec_lo, s15
	s_cbranch_vccz .LBB150_2843
; %bb.2795:
	s_cmp_lt_i32 s0, 5
	s_cbranch_scc1 .LBB150_2800
; %bb.2796:
	s_cmp_lt_i32 s0, 8
	s_cbranch_scc1 .LBB150_2801
	;; [unrolled: 3-line block ×3, first 2 shown]
; %bb.2798:
	s_cmp_gt_i32 s0, 9
	s_cbranch_scc0 .LBB150_2803
; %bb.2799:
	global_load_b64 v[14:15], v[6:7], off
	s_mov_b32 s15, 0
	s_wait_loadcnt 0x0
	v_cvt_f32_f64_e32 v15, v[14:15]
	s_branch .LBB150_2804
.LBB150_2800:
	s_mov_b32 s15, -1
                                        ; implicit-def: $vgpr15
	s_branch .LBB150_2822
.LBB150_2801:
	s_mov_b32 s15, -1
                                        ; implicit-def: $vgpr15
	s_branch .LBB150_2810
.LBB150_2802:
	s_mov_b32 s15, -1
                                        ; implicit-def: $vgpr15
	s_branch .LBB150_2807
.LBB150_2803:
	s_mov_b32 s15, -1
                                        ; implicit-def: $vgpr15
.LBB150_2804:
	s_delay_alu instid0(SALU_CYCLE_1)
	s_and_not1_b32 vcc_lo, exec_lo, s15
	s_cbranch_vccnz .LBB150_2806
; %bb.2805:
	global_load_b32 v15, v[6:7], off
.LBB150_2806:
	s_mov_b32 s15, 0
.LBB150_2807:
	s_delay_alu instid0(SALU_CYCLE_1)
	s_and_not1_b32 vcc_lo, exec_lo, s15
	s_cbranch_vccnz .LBB150_2809
; %bb.2808:
	global_load_b32 v1, v[6:7], off
	s_wait_loadcnt 0x0
	v_cvt_f32_f16_e32 v15, v1
.LBB150_2809:
	s_mov_b32 s15, 0
.LBB150_2810:
	s_delay_alu instid0(SALU_CYCLE_1)
	s_and_not1_b32 vcc_lo, exec_lo, s15
	s_cbranch_vccnz .LBB150_2821
; %bb.2811:
	s_cmp_lt_i32 s0, 6
	s_cbranch_scc1 .LBB150_2814
; %bb.2812:
	s_cmp_gt_i32 s0, 6
	s_cbranch_scc0 .LBB150_2815
; %bb.2813:
	s_wait_loadcnt 0x0
	global_load_b64 v[14:15], v[6:7], off
	s_mov_b32 s15, 0
	s_wait_loadcnt 0x0
	v_cvt_f32_f64_e32 v15, v[14:15]
	s_branch .LBB150_2816
.LBB150_2814:
	s_mov_b32 s15, -1
                                        ; implicit-def: $vgpr15
	s_branch .LBB150_2819
.LBB150_2815:
	s_mov_b32 s15, -1
                                        ; implicit-def: $vgpr15
.LBB150_2816:
	s_delay_alu instid0(SALU_CYCLE_1)
	s_and_not1_b32 vcc_lo, exec_lo, s15
	s_cbranch_vccnz .LBB150_2818
; %bb.2817:
	s_wait_loadcnt 0x0
	global_load_b32 v15, v[6:7], off
.LBB150_2818:
	s_mov_b32 s15, 0
.LBB150_2819:
	s_delay_alu instid0(SALU_CYCLE_1)
	s_and_not1_b32 vcc_lo, exec_lo, s15
	s_cbranch_vccnz .LBB150_2821
; %bb.2820:
	global_load_u16 v1, v[6:7], off
	s_wait_loadcnt 0x0
	v_cvt_f32_f16_e32 v15, v1
.LBB150_2821:
	s_mov_b32 s15, 0
.LBB150_2822:
	s_delay_alu instid0(SALU_CYCLE_1)
	s_and_not1_b32 vcc_lo, exec_lo, s15
	s_cbranch_vccnz .LBB150_2842
; %bb.2823:
	s_cmp_lt_i32 s0, 2
	s_cbranch_scc1 .LBB150_2827
; %bb.2824:
	s_cmp_lt_i32 s0, 3
	s_cbranch_scc1 .LBB150_2828
; %bb.2825:
	s_cmp_gt_i32 s0, 3
	s_cbranch_scc0 .LBB150_2829
; %bb.2826:
	s_wait_loadcnt 0x0
	global_load_b64 v[14:15], v[6:7], off
	s_mov_b32 s15, 0
	s_wait_loadcnt 0x0
	v_xor_b32_e32 v1, v14, v15
	v_cls_i32_e32 v3, v15
	s_delay_alu instid0(VALU_DEP_2) | instskip(NEXT) | instid1(VALU_DEP_1)
	v_ashrrev_i32_e32 v1, 31, v1
	v_add_nc_u32_e32 v1, 32, v1
	s_delay_alu instid0(VALU_DEP_1) | instskip(NEXT) | instid1(VALU_DEP_1)
	v_add_min_u32_e64 v1, v3, -1, v1
	v_lshlrev_b64_e32 v[14:15], v1, v[14:15]
	v_sub_nc_u32_e32 v1, 32, v1
	s_delay_alu instid0(VALU_DEP_2) | instskip(NEXT) | instid1(VALU_DEP_1)
	v_min_u32_e32 v3, 1, v14
	v_or_b32_e32 v3, v15, v3
	s_delay_alu instid0(VALU_DEP_1) | instskip(NEXT) | instid1(VALU_DEP_1)
	v_cvt_f32_i32_e32 v3, v3
	v_ldexp_f32 v15, v3, v1
	s_branch .LBB150_2830
.LBB150_2827:
	s_mov_b32 s15, -1
                                        ; implicit-def: $vgpr15
	s_branch .LBB150_2836
.LBB150_2828:
	s_mov_b32 s15, -1
                                        ; implicit-def: $vgpr15
	s_branch .LBB150_2833
.LBB150_2829:
	s_mov_b32 s15, -1
                                        ; implicit-def: $vgpr15
.LBB150_2830:
	s_delay_alu instid0(SALU_CYCLE_1)
	s_and_not1_b32 vcc_lo, exec_lo, s15
	s_cbranch_vccnz .LBB150_2832
; %bb.2831:
	global_load_b32 v1, v[6:7], off
	s_wait_loadcnt 0x0
	v_cvt_f32_i32_e32 v15, v1
.LBB150_2832:
	s_mov_b32 s15, 0
.LBB150_2833:
	s_delay_alu instid0(SALU_CYCLE_1)
	s_and_not1_b32 vcc_lo, exec_lo, s15
	s_cbranch_vccnz .LBB150_2835
; %bb.2834:
	global_load_i16 v1, v[6:7], off
	s_wait_loadcnt 0x0
	v_cvt_f32_i32_e32 v15, v1
.LBB150_2835:
	s_mov_b32 s15, 0
.LBB150_2836:
	s_delay_alu instid0(SALU_CYCLE_1)
	s_and_not1_b32 vcc_lo, exec_lo, s15
	s_cbranch_vccnz .LBB150_2842
; %bb.2837:
	s_cmp_gt_i32 s0, 0
	s_mov_b32 s15, 0
	s_cbranch_scc0 .LBB150_2839
; %bb.2838:
	global_load_i8 v1, v[6:7], off
	s_wait_loadcnt 0x0
	v_cvt_f32_i32_e32 v15, v1
	s_branch .LBB150_2840
.LBB150_2839:
	s_mov_b32 s15, -1
                                        ; implicit-def: $vgpr15
.LBB150_2840:
	s_delay_alu instid0(SALU_CYCLE_1)
	s_and_not1_b32 vcc_lo, exec_lo, s15
	s_cbranch_vccnz .LBB150_2842
; %bb.2841:
	global_load_u8 v1, v[6:7], off
	s_wait_loadcnt 0x0
	v_cvt_f32_ubyte0_e32 v15, v1
.LBB150_2842:
	s_mov_b32 s21, -1
.LBB150_2843:
	s_delay_alu instid0(SALU_CYCLE_1)
	s_and_not1_b32 vcc_lo, exec_lo, s21
	s_cbranch_vccnz .LBB150_4065
; %bb.2844:
	v_add_nc_u32_e32 v0, s1, v0
	s_cmp_lt_i32 s17, 11
	s_delay_alu instid0(VALU_DEP_1) | instskip(SKIP_1) | instid1(VALU_DEP_1)
	v_ashrrev_i32_e32 v1, 31, v0
	s_wait_xcnt 0x0
	v_add_nc_u64_e32 v[6:7], s[6:7], v[0:1]
	s_cbranch_scc1 .LBB150_2851
; %bb.2845:
	s_and_b32 s15, 0xffff, s17
	s_mov_b32 s21, 0
	s_cmp_gt_i32 s15, 25
	s_cbranch_scc0 .LBB150_2852
; %bb.2846:
	s_cmp_gt_i32 s15, 28
	s_cbranch_scc0 .LBB150_2853
; %bb.2847:
	;; [unrolled: 3-line block ×4, first 2 shown]
	s_cmp_eq_u32 s15, 46
	s_mov_b32 s23, 0
	s_cbranch_scc0 .LBB150_2859
; %bb.2850:
	global_load_b32 v1, v[6:7], off
	s_mov_b32 s20, 0
	s_mov_b32 s22, -1
	s_wait_loadcnt 0x0
	v_lshlrev_b32_e32 v14, 16, v1
	s_branch .LBB150_2861
.LBB150_2851:
	s_mov_b32 s15, -1
	s_mov_b32 s22, 0
                                        ; implicit-def: $vgpr14
	s_branch .LBB150_2927
.LBB150_2852:
	s_mov_b32 s23, -1
	s_mov_b32 s22, 0
	s_mov_b32 s20, 0
                                        ; implicit-def: $vgpr14
	s_branch .LBB150_2890
.LBB150_2853:
	s_mov_b32 s23, -1
	s_mov_b32 s22, 0
	s_mov_b32 s20, 0
                                        ; implicit-def: $vgpr14
	s_branch .LBB150_2871
.LBB150_2854:
	s_mov_b32 s23, -1
	s_mov_b32 s22, 0
	s_mov_b32 s20, 0
                                        ; implicit-def: $vgpr14
	s_branch .LBB150_2866
.LBB150_2855:
	s_or_b32 s16, s16, exec_lo
	s_trap 2
	s_cbranch_execz .LBB150_2792
	s_branch .LBB150_2793
.LBB150_2856:
	s_mov_b32 s23, -1
	s_mov_b32 s22, 0
	s_mov_b32 s20, 0
	s_branch .LBB150_2860
.LBB150_2857:
	s_and_not1_saveexec_b32 s39, s39
	s_cbranch_execz .LBB150_1477
.LBB150_2858:
	v_add_f32_e64 v3, 0x42800000, |v2|
	s_and_not1_b32 s38, s38, exec_lo
	s_delay_alu instid0(VALU_DEP_1) | instskip(NEXT) | instid1(VALU_DEP_1)
	v_and_b32_e32 v3, 0xff, v3
	v_cmp_ne_u32_e32 vcc_lo, 0, v3
	s_and_b32 s40, vcc_lo, exec_lo
	s_delay_alu instid0(SALU_CYCLE_1)
	s_or_b32 s38, s38, s40
	s_or_b32 exec_lo, exec_lo, s39
	v_mov_b32_e32 v4, 0
	s_and_saveexec_b32 s39, s38
	s_cbranch_execnz .LBB150_1478
	s_branch .LBB150_1479
.LBB150_2859:
	s_mov_b32 s20, -1
	s_mov_b32 s22, 0
.LBB150_2860:
                                        ; implicit-def: $vgpr14
.LBB150_2861:
	s_and_b32 vcc_lo, exec_lo, s23
	s_cbranch_vccz .LBB150_2865
; %bb.2862:
	s_cmp_eq_u32 s15, 44
	s_cbranch_scc0 .LBB150_2864
; %bb.2863:
	global_load_u8 v1, v[6:7], off
	s_mov_b32 s20, 0
	s_mov_b32 s22, -1
	s_wait_loadcnt 0x0
	v_lshlrev_b32_e32 v3, 23, v1
	v_cmp_ne_u32_e32 vcc_lo, 0xff, v1
	s_delay_alu instid0(VALU_DEP_2) | instskip(SKIP_1) | instid1(VALU_DEP_2)
	v_cndmask_b32_e32 v3, 0x7f800001, v3, vcc_lo
	v_cmp_ne_u32_e32 vcc_lo, 0, v1
	v_cndmask_b32_e32 v14, 0x400000, v3, vcc_lo
	s_branch .LBB150_2865
.LBB150_2864:
	s_mov_b32 s20, -1
                                        ; implicit-def: $vgpr14
.LBB150_2865:
	s_mov_b32 s23, 0
.LBB150_2866:
	s_delay_alu instid0(SALU_CYCLE_1)
	s_and_b32 vcc_lo, exec_lo, s23
	s_cbranch_vccz .LBB150_2870
; %bb.2867:
	s_cmp_eq_u32 s15, 29
	s_cbranch_scc0 .LBB150_2869
; %bb.2868:
	global_load_b64 v[16:17], v[6:7], off
	s_mov_b32 s20, 0
	s_mov_b32 s22, -1
	s_mov_b32 s23, 0
	s_wait_loadcnt 0x0
	v_clz_i32_u32_e32 v1, v17
	s_delay_alu instid0(VALU_DEP_1) | instskip(NEXT) | instid1(VALU_DEP_1)
	v_min_u32_e32 v1, 32, v1
	v_lshlrev_b64_e32 v[16:17], v1, v[16:17]
	v_sub_nc_u32_e32 v1, 32, v1
	s_delay_alu instid0(VALU_DEP_2) | instskip(NEXT) | instid1(VALU_DEP_1)
	v_min_u32_e32 v3, 1, v16
	v_or_b32_e32 v3, v17, v3
	s_delay_alu instid0(VALU_DEP_1) | instskip(NEXT) | instid1(VALU_DEP_1)
	v_cvt_f32_u32_e32 v3, v3
	v_ldexp_f32 v14, v3, v1
	s_branch .LBB150_2871
.LBB150_2869:
	s_mov_b32 s20, -1
                                        ; implicit-def: $vgpr14
.LBB150_2870:
	s_mov_b32 s23, 0
.LBB150_2871:
	s_delay_alu instid0(SALU_CYCLE_1)
	s_and_b32 vcc_lo, exec_lo, s23
	s_cbranch_vccz .LBB150_2889
; %bb.2872:
	s_cmp_lt_i32 s15, 27
	s_cbranch_scc1 .LBB150_2875
; %bb.2873:
	s_cmp_gt_i32 s15, 27
	s_cbranch_scc0 .LBB150_2876
; %bb.2874:
	global_load_b32 v1, v[6:7], off
	s_mov_b32 s22, 0
	s_wait_loadcnt 0x0
	v_cvt_f32_u32_e32 v14, v1
	s_branch .LBB150_2877
.LBB150_2875:
	s_mov_b32 s22, -1
                                        ; implicit-def: $vgpr14
	s_branch .LBB150_2880
.LBB150_2876:
	s_mov_b32 s22, -1
                                        ; implicit-def: $vgpr14
.LBB150_2877:
	s_delay_alu instid0(SALU_CYCLE_1)
	s_and_not1_b32 vcc_lo, exec_lo, s22
	s_cbranch_vccnz .LBB150_2879
; %bb.2878:
	global_load_u16 v1, v[6:7], off
	s_wait_loadcnt 0x0
	v_cvt_f32_u32_e32 v14, v1
.LBB150_2879:
	s_mov_b32 s22, 0
.LBB150_2880:
	s_delay_alu instid0(SALU_CYCLE_1)
	s_and_not1_b32 vcc_lo, exec_lo, s22
	s_cbranch_vccnz .LBB150_2888
; %bb.2881:
	global_load_u8 v1, v[6:7], off
	s_mov_b32 s22, 0
	s_mov_b32 s23, exec_lo
	s_wait_loadcnt 0x0
	v_cmpx_lt_i16_e32 0x7f, v1
	s_xor_b32 s23, exec_lo, s23
	s_cbranch_execz .LBB150_2902
; %bb.2882:
	s_mov_b32 s22, -1
	s_mov_b32 s24, exec_lo
	v_cmpx_eq_u16_e32 0x80, v1
; %bb.2883:
	s_xor_b32 s22, exec_lo, -1
; %bb.2884:
	s_or_b32 exec_lo, exec_lo, s24
	s_delay_alu instid0(SALU_CYCLE_1)
	s_and_b32 s22, s22, exec_lo
	s_or_saveexec_b32 s23, s23
	v_mov_b32_e32 v14, 0x7f800001
	s_xor_b32 exec_lo, exec_lo, s23
	s_cbranch_execnz .LBB150_2903
.LBB150_2885:
	s_or_b32 exec_lo, exec_lo, s23
	s_and_saveexec_b32 s23, s22
	s_cbranch_execz .LBB150_2887
.LBB150_2886:
	v_and_b32_e32 v3, 0xffff, v1
	s_delay_alu instid0(VALU_DEP_1) | instskip(SKIP_1) | instid1(VALU_DEP_2)
	v_and_b32_e32 v5, 7, v3
	v_bfe_u32 v17, v3, 3, 4
	v_clz_i32_u32_e32 v14, v5
	s_delay_alu instid0(VALU_DEP_2) | instskip(NEXT) | instid1(VALU_DEP_2)
	v_cmp_eq_u32_e32 vcc_lo, 0, v17
	v_min_u32_e32 v14, 32, v14
	s_delay_alu instid0(VALU_DEP_1) | instskip(NEXT) | instid1(VALU_DEP_1)
	v_subrev_nc_u32_e32 v16, 28, v14
	v_dual_lshlrev_b32 v3, v16, v3 :: v_dual_sub_nc_u32 v14, 29, v14
	s_delay_alu instid0(VALU_DEP_1) | instskip(NEXT) | instid1(VALU_DEP_2)
	v_dual_lshlrev_b32 v1, 24, v1 :: v_dual_bitop2_b32 v3, 7, v3 bitop3:0x40
	v_cndmask_b32_e32 v14, v17, v14, vcc_lo
	s_delay_alu instid0(VALU_DEP_2) | instskip(NEXT) | instid1(VALU_DEP_3)
	v_cndmask_b32_e32 v3, v5, v3, vcc_lo
	v_and_b32_e32 v1, 0x80000000, v1
	s_delay_alu instid0(VALU_DEP_3) | instskip(NEXT) | instid1(VALU_DEP_3)
	v_lshl_add_u32 v5, v14, 23, 0x3b800000
	v_lshlrev_b32_e32 v3, 20, v3
	s_delay_alu instid0(VALU_DEP_1)
	v_or3_b32 v14, v1, v5, v3
.LBB150_2887:
	s_or_b32 exec_lo, exec_lo, s23
.LBB150_2888:
	s_mov_b32 s22, -1
.LBB150_2889:
	s_mov_b32 s23, 0
.LBB150_2890:
	s_delay_alu instid0(SALU_CYCLE_1)
	s_and_b32 vcc_lo, exec_lo, s23
	s_cbranch_vccz .LBB150_2923
; %bb.2891:
	s_cmp_gt_i32 s15, 22
	s_cbranch_scc0 .LBB150_2901
; %bb.2892:
	s_cmp_lt_i32 s15, 24
	s_cbranch_scc1 .LBB150_2904
; %bb.2893:
	s_cmp_gt_i32 s15, 24
	s_cbranch_scc0 .LBB150_2905
; %bb.2894:
	global_load_u8 v1, v[6:7], off
	s_mov_b32 s22, exec_lo
	s_wait_loadcnt 0x0
	v_cmpx_lt_i16_e32 0x7f, v1
	s_xor_b32 s22, exec_lo, s22
	s_cbranch_execz .LBB150_2917
; %bb.2895:
	s_mov_b32 s21, -1
	s_mov_b32 s23, exec_lo
	v_cmpx_eq_u16_e32 0x80, v1
; %bb.2896:
	s_xor_b32 s21, exec_lo, -1
; %bb.2897:
	s_or_b32 exec_lo, exec_lo, s23
	s_delay_alu instid0(SALU_CYCLE_1)
	s_and_b32 s21, s21, exec_lo
	s_or_saveexec_b32 s22, s22
	v_mov_b32_e32 v14, 0x7f800001
	s_xor_b32 exec_lo, exec_lo, s22
	s_cbranch_execnz .LBB150_2918
.LBB150_2898:
	s_or_b32 exec_lo, exec_lo, s22
	s_and_saveexec_b32 s22, s21
	s_cbranch_execz .LBB150_2900
.LBB150_2899:
	v_and_b32_e32 v3, 0xffff, v1
	s_delay_alu instid0(VALU_DEP_1) | instskip(SKIP_1) | instid1(VALU_DEP_2)
	v_and_b32_e32 v5, 3, v3
	v_bfe_u32 v17, v3, 2, 5
	v_clz_i32_u32_e32 v14, v5
	s_delay_alu instid0(VALU_DEP_2) | instskip(NEXT) | instid1(VALU_DEP_2)
	v_cmp_eq_u32_e32 vcc_lo, 0, v17
	v_min_u32_e32 v14, 32, v14
	s_delay_alu instid0(VALU_DEP_1) | instskip(NEXT) | instid1(VALU_DEP_1)
	v_subrev_nc_u32_e32 v16, 29, v14
	v_dual_lshlrev_b32 v3, v16, v3 :: v_dual_sub_nc_u32 v14, 30, v14
	s_delay_alu instid0(VALU_DEP_1) | instskip(NEXT) | instid1(VALU_DEP_2)
	v_dual_lshlrev_b32 v1, 24, v1 :: v_dual_bitop2_b32 v3, 3, v3 bitop3:0x40
	v_cndmask_b32_e32 v14, v17, v14, vcc_lo
	s_delay_alu instid0(VALU_DEP_2) | instskip(NEXT) | instid1(VALU_DEP_3)
	v_cndmask_b32_e32 v3, v5, v3, vcc_lo
	v_and_b32_e32 v1, 0x80000000, v1
	s_delay_alu instid0(VALU_DEP_3) | instskip(NEXT) | instid1(VALU_DEP_3)
	v_lshl_add_u32 v5, v14, 23, 0x37800000
	v_lshlrev_b32_e32 v3, 21, v3
	s_delay_alu instid0(VALU_DEP_1)
	v_or3_b32 v14, v1, v5, v3
.LBB150_2900:
	s_or_b32 exec_lo, exec_lo, s22
	s_mov_b32 s21, 0
	s_branch .LBB150_2906
.LBB150_2901:
	s_mov_b32 s21, -1
                                        ; implicit-def: $vgpr14
	s_branch .LBB150_2912
.LBB150_2902:
	s_or_saveexec_b32 s23, s23
	v_mov_b32_e32 v14, 0x7f800001
	s_xor_b32 exec_lo, exec_lo, s23
	s_cbranch_execz .LBB150_2885
.LBB150_2903:
	v_cmp_ne_u16_e32 vcc_lo, 0, v1
	v_mov_b32_e32 v14, 0
	s_and_not1_b32 s22, s22, exec_lo
	s_and_b32 s24, vcc_lo, exec_lo
	s_delay_alu instid0(SALU_CYCLE_1)
	s_or_b32 s22, s22, s24
	s_or_b32 exec_lo, exec_lo, s23
	s_and_saveexec_b32 s23, s22
	s_cbranch_execnz .LBB150_2886
	s_branch .LBB150_2887
.LBB150_2904:
	s_mov_b32 s21, -1
                                        ; implicit-def: $vgpr14
	s_branch .LBB150_2909
.LBB150_2905:
	s_mov_b32 s21, -1
                                        ; implicit-def: $vgpr14
.LBB150_2906:
	s_delay_alu instid0(SALU_CYCLE_1)
	s_and_b32 vcc_lo, exec_lo, s21
	s_cbranch_vccz .LBB150_2908
; %bb.2907:
	global_load_u8 v1, v[6:7], off
	s_wait_loadcnt 0x0
	v_lshlrev_b32_e32 v1, 24, v1
	s_delay_alu instid0(VALU_DEP_1) | instskip(NEXT) | instid1(VALU_DEP_1)
	v_and_b32_e32 v3, 0x7f000000, v1
	v_clz_i32_u32_e32 v5, v3
	v_cmp_ne_u32_e32 vcc_lo, 0, v3
	v_add_nc_u32_e32 v16, 0x1000000, v3
	s_delay_alu instid0(VALU_DEP_3) | instskip(NEXT) | instid1(VALU_DEP_1)
	v_min_u32_e32 v5, 32, v5
	v_sub_nc_u32_e64 v5, v5, 4 clamp
	s_delay_alu instid0(VALU_DEP_1) | instskip(NEXT) | instid1(VALU_DEP_1)
	v_dual_lshlrev_b32 v14, v5, v3 :: v_dual_lshlrev_b32 v5, 23, v5
	v_lshrrev_b32_e32 v14, 4, v14
	s_delay_alu instid0(VALU_DEP_1) | instskip(NEXT) | instid1(VALU_DEP_1)
	v_dual_sub_nc_u32 v5, v14, v5 :: v_dual_ashrrev_i32 v14, 8, v16
	v_add_nc_u32_e32 v5, 0x3c000000, v5
	s_delay_alu instid0(VALU_DEP_1) | instskip(NEXT) | instid1(VALU_DEP_1)
	v_and_or_b32 v5, 0x7f800000, v14, v5
	v_cndmask_b32_e32 v3, 0, v5, vcc_lo
	s_delay_alu instid0(VALU_DEP_1)
	v_and_or_b32 v14, 0x80000000, v1, v3
.LBB150_2908:
	s_mov_b32 s21, 0
.LBB150_2909:
	s_delay_alu instid0(SALU_CYCLE_1)
	s_and_not1_b32 vcc_lo, exec_lo, s21
	s_cbranch_vccnz .LBB150_2911
; %bb.2910:
	global_load_u8 v1, v[6:7], off
	s_wait_loadcnt 0x0
	v_lshlrev_b32_e32 v3, 25, v1
	v_lshlrev_b16 v1, 8, v1
	s_delay_alu instid0(VALU_DEP_1) | instskip(SKIP_1) | instid1(VALU_DEP_2)
	v_and_or_b32 v14, 0x7f00, v1, 0.5
	v_bfe_i32 v1, v1, 0, 16
	v_dual_add_f32 v14, -0.5, v14 :: v_dual_lshrrev_b32 v5, 4, v3
	v_cmp_gt_u32_e32 vcc_lo, 0x8000000, v3
	s_delay_alu instid0(VALU_DEP_2) | instskip(NEXT) | instid1(VALU_DEP_1)
	v_or_b32_e32 v5, 0x70000000, v5
	v_mul_f32_e32 v5, 0x7800000, v5
	s_delay_alu instid0(VALU_DEP_1) | instskip(NEXT) | instid1(VALU_DEP_1)
	v_cndmask_b32_e32 v3, v5, v14, vcc_lo
	v_and_or_b32 v14, 0x80000000, v1, v3
.LBB150_2911:
	s_mov_b32 s21, 0
	s_mov_b32 s22, -1
.LBB150_2912:
	s_and_not1_b32 vcc_lo, exec_lo, s21
	s_mov_b32 s21, 0
	s_cbranch_vccnz .LBB150_2923
; %bb.2913:
	s_cmp_gt_i32 s15, 14
	s_cbranch_scc0 .LBB150_2916
; %bb.2914:
	s_cmp_eq_u32 s15, 15
	s_cbranch_scc0 .LBB150_2919
; %bb.2915:
	global_load_u16 v1, v[6:7], off
	s_mov_b32 s20, 0
	s_mov_b32 s22, -1
	s_wait_loadcnt 0x0
	v_lshlrev_b32_e32 v14, 16, v1
	s_branch .LBB150_2921
.LBB150_2916:
	s_mov_b32 s21, -1
	s_branch .LBB150_2920
.LBB150_2917:
	s_or_saveexec_b32 s22, s22
	v_mov_b32_e32 v14, 0x7f800001
	s_xor_b32 exec_lo, exec_lo, s22
	s_cbranch_execz .LBB150_2898
.LBB150_2918:
	v_cmp_ne_u16_e32 vcc_lo, 0, v1
	v_mov_b32_e32 v14, 0
	s_and_not1_b32 s21, s21, exec_lo
	s_and_b32 s23, vcc_lo, exec_lo
	s_delay_alu instid0(SALU_CYCLE_1)
	s_or_b32 s21, s21, s23
	s_or_b32 exec_lo, exec_lo, s22
	s_and_saveexec_b32 s22, s21
	s_cbranch_execnz .LBB150_2899
	s_branch .LBB150_2900
.LBB150_2919:
	s_mov_b32 s20, -1
.LBB150_2920:
                                        ; implicit-def: $vgpr14
.LBB150_2921:
	s_and_b32 vcc_lo, exec_lo, s21
	s_mov_b32 s21, 0
	s_cbranch_vccz .LBB150_2923
; %bb.2922:
	s_cmp_lg_u32 s15, 11
	s_mov_b32 s21, -1
	s_cselect_b32 s20, -1, 0
.LBB150_2923:
	s_delay_alu instid0(SALU_CYCLE_1)
	s_and_b32 vcc_lo, exec_lo, s20
	s_cbranch_vccnz .LBB150_2988
; %bb.2924:
	s_and_not1_b32 vcc_lo, exec_lo, s21
	s_cbranch_vccnz .LBB150_2926
.LBB150_2925:
	global_load_u8 v1, v[6:7], off
	s_mov_b32 s22, -1
	s_wait_loadcnt 0x0
	v_cmp_ne_u16_e32 vcc_lo, 0, v1
	v_cndmask_b32_e64 v14, 0, 1.0, vcc_lo
.LBB150_2926:
	s_mov_b32 s15, 0
.LBB150_2927:
	s_delay_alu instid0(SALU_CYCLE_1)
	s_and_b32 vcc_lo, exec_lo, s15
	s_cbranch_vccz .LBB150_2976
; %bb.2928:
	s_and_b32 s15, 0xffff, s17
	s_delay_alu instid0(SALU_CYCLE_1)
	s_cmp_lt_i32 s15, 5
	s_cbranch_scc1 .LBB150_2933
; %bb.2929:
	s_cmp_lt_i32 s15, 8
	s_cbranch_scc1 .LBB150_2934
; %bb.2930:
	;; [unrolled: 3-line block ×3, first 2 shown]
	s_cmp_gt_i32 s15, 9
	s_cbranch_scc0 .LBB150_2936
; %bb.2932:
	global_load_b64 v[16:17], v[6:7], off
	s_mov_b32 s20, 0
	s_wait_loadcnt 0x0
	v_cvt_f32_f64_e32 v14, v[16:17]
	s_branch .LBB150_2937
.LBB150_2933:
	s_mov_b32 s20, -1
                                        ; implicit-def: $vgpr14
	s_branch .LBB150_2955
.LBB150_2934:
	s_mov_b32 s20, -1
                                        ; implicit-def: $vgpr14
	s_branch .LBB150_2943
.LBB150_2935:
	s_mov_b32 s20, -1
                                        ; implicit-def: $vgpr14
	s_branch .LBB150_2940
.LBB150_2936:
	s_mov_b32 s20, -1
                                        ; implicit-def: $vgpr14
.LBB150_2937:
	s_delay_alu instid0(SALU_CYCLE_1)
	s_and_not1_b32 vcc_lo, exec_lo, s20
	s_cbranch_vccnz .LBB150_2939
; %bb.2938:
	global_load_b32 v14, v[6:7], off
.LBB150_2939:
	s_mov_b32 s20, 0
.LBB150_2940:
	s_delay_alu instid0(SALU_CYCLE_1)
	s_and_not1_b32 vcc_lo, exec_lo, s20
	s_cbranch_vccnz .LBB150_2942
; %bb.2941:
	global_load_b32 v1, v[6:7], off
	s_wait_loadcnt 0x0
	v_cvt_f32_f16_e32 v14, v1
.LBB150_2942:
	s_mov_b32 s20, 0
.LBB150_2943:
	s_delay_alu instid0(SALU_CYCLE_1)
	s_and_not1_b32 vcc_lo, exec_lo, s20
	s_cbranch_vccnz .LBB150_2954
; %bb.2944:
	s_cmp_lt_i32 s15, 6
	s_cbranch_scc1 .LBB150_2947
; %bb.2945:
	s_cmp_gt_i32 s15, 6
	s_cbranch_scc0 .LBB150_2948
; %bb.2946:
	global_load_b64 v[16:17], v[6:7], off
	s_mov_b32 s20, 0
	s_wait_loadcnt 0x0
	v_cvt_f32_f64_e32 v14, v[16:17]
	s_branch .LBB150_2949
.LBB150_2947:
	s_mov_b32 s20, -1
                                        ; implicit-def: $vgpr14
	s_branch .LBB150_2952
.LBB150_2948:
	s_mov_b32 s20, -1
                                        ; implicit-def: $vgpr14
.LBB150_2949:
	s_delay_alu instid0(SALU_CYCLE_1)
	s_and_not1_b32 vcc_lo, exec_lo, s20
	s_cbranch_vccnz .LBB150_2951
; %bb.2950:
	s_wait_loadcnt 0x0
	global_load_b32 v14, v[6:7], off
.LBB150_2951:
	s_mov_b32 s20, 0
.LBB150_2952:
	s_delay_alu instid0(SALU_CYCLE_1)
	s_and_not1_b32 vcc_lo, exec_lo, s20
	s_cbranch_vccnz .LBB150_2954
; %bb.2953:
	global_load_u16 v1, v[6:7], off
	s_wait_loadcnt 0x0
	v_cvt_f32_f16_e32 v14, v1
.LBB150_2954:
	s_mov_b32 s20, 0
.LBB150_2955:
	s_delay_alu instid0(SALU_CYCLE_1)
	s_and_not1_b32 vcc_lo, exec_lo, s20
	s_cbranch_vccnz .LBB150_2975
; %bb.2956:
	s_cmp_lt_i32 s15, 2
	s_cbranch_scc1 .LBB150_2960
; %bb.2957:
	s_cmp_lt_i32 s15, 3
	s_cbranch_scc1 .LBB150_2961
; %bb.2958:
	s_cmp_gt_i32 s15, 3
	s_cbranch_scc0 .LBB150_2962
; %bb.2959:
	global_load_b64 v[16:17], v[6:7], off
	s_mov_b32 s20, 0
	s_wait_loadcnt 0x0
	v_xor_b32_e32 v1, v16, v17
	v_cls_i32_e32 v3, v17
	s_delay_alu instid0(VALU_DEP_2) | instskip(NEXT) | instid1(VALU_DEP_1)
	v_ashrrev_i32_e32 v1, 31, v1
	v_add_nc_u32_e32 v1, 32, v1
	s_delay_alu instid0(VALU_DEP_1) | instskip(NEXT) | instid1(VALU_DEP_1)
	v_add_min_u32_e64 v1, v3, -1, v1
	v_lshlrev_b64_e32 v[16:17], v1, v[16:17]
	v_sub_nc_u32_e32 v1, 32, v1
	s_delay_alu instid0(VALU_DEP_2) | instskip(NEXT) | instid1(VALU_DEP_1)
	v_min_u32_e32 v3, 1, v16
	v_or_b32_e32 v3, v17, v3
	s_delay_alu instid0(VALU_DEP_1) | instskip(NEXT) | instid1(VALU_DEP_1)
	v_cvt_f32_i32_e32 v3, v3
	v_ldexp_f32 v14, v3, v1
	s_branch .LBB150_2963
.LBB150_2960:
	s_mov_b32 s20, -1
                                        ; implicit-def: $vgpr14
	s_branch .LBB150_2969
.LBB150_2961:
	s_mov_b32 s20, -1
                                        ; implicit-def: $vgpr14
	s_branch .LBB150_2966
.LBB150_2962:
	s_mov_b32 s20, -1
                                        ; implicit-def: $vgpr14
.LBB150_2963:
	s_delay_alu instid0(SALU_CYCLE_1)
	s_and_not1_b32 vcc_lo, exec_lo, s20
	s_cbranch_vccnz .LBB150_2965
; %bb.2964:
	global_load_b32 v1, v[6:7], off
	s_wait_loadcnt 0x0
	v_cvt_f32_i32_e32 v14, v1
.LBB150_2965:
	s_mov_b32 s20, 0
.LBB150_2966:
	s_delay_alu instid0(SALU_CYCLE_1)
	s_and_not1_b32 vcc_lo, exec_lo, s20
	s_cbranch_vccnz .LBB150_2968
; %bb.2967:
	global_load_i16 v1, v[6:7], off
	s_wait_loadcnt 0x0
	v_cvt_f32_i32_e32 v14, v1
.LBB150_2968:
	s_mov_b32 s20, 0
.LBB150_2969:
	s_delay_alu instid0(SALU_CYCLE_1)
	s_and_not1_b32 vcc_lo, exec_lo, s20
	s_cbranch_vccnz .LBB150_2975
; %bb.2970:
	s_cmp_gt_i32 s15, 0
	s_mov_b32 s15, 0
	s_cbranch_scc0 .LBB150_2972
; %bb.2971:
	global_load_i8 v1, v[6:7], off
	s_wait_loadcnt 0x0
	v_cvt_f32_i32_e32 v14, v1
	s_branch .LBB150_2973
.LBB150_2972:
	s_mov_b32 s15, -1
                                        ; implicit-def: $vgpr14
.LBB150_2973:
	s_delay_alu instid0(SALU_CYCLE_1)
	s_and_not1_b32 vcc_lo, exec_lo, s15
	s_cbranch_vccnz .LBB150_2975
; %bb.2974:
	global_load_u8 v1, v[6:7], off
	s_wait_loadcnt 0x0
	v_cvt_f32_ubyte0_e32 v14, v1
.LBB150_2975:
	s_mov_b32 s22, -1
.LBB150_2976:
	s_delay_alu instid0(SALU_CYCLE_1)
	s_and_not1_b32 vcc_lo, exec_lo, s22
	s_cbranch_vccnz .LBB150_4065
; %bb.2977:
	v_add_nc_u32_e32 v2, s13, v2
	s_cmp_lt_i32 s3, 11
	s_delay_alu instid0(VALU_DEP_1) | instskip(SKIP_1) | instid1(VALU_DEP_1)
	v_ashrrev_i32_e32 v3, 31, v2
	s_wait_xcnt 0x0
	v_add_nc_u64_e32 v[6:7], s[8:9], v[2:3]
	s_cbranch_scc1 .LBB150_2984
; %bb.2978:
	s_and_b32 s15, 0xffff, s3
	s_mov_b32 s21, 0
	s_cmp_gt_i32 s15, 25
	s_cbranch_scc0 .LBB150_2985
; %bb.2979:
	s_cmp_gt_i32 s15, 28
	s_cbranch_scc0 .LBB150_2986
; %bb.2980:
	;; [unrolled: 3-line block ×4, first 2 shown]
	s_cmp_eq_u32 s15, 46
	s_mov_b32 s23, 0
	s_cbranch_scc0 .LBB150_2990
; %bb.2983:
	global_load_b32 v1, v[6:7], off
	s_mov_b32 s20, 0
	s_mov_b32 s22, -1
	s_wait_loadcnt 0x0
	v_lshlrev_b32_e32 v16, 16, v1
	s_branch .LBB150_2992
.LBB150_2984:
	s_mov_b32 s15, -1
	s_mov_b32 s22, 0
                                        ; implicit-def: $vgpr16
	s_branch .LBB150_3058
.LBB150_2985:
	s_mov_b32 s23, -1
	s_mov_b32 s22, 0
	s_mov_b32 s20, 0
                                        ; implicit-def: $vgpr16
	s_branch .LBB150_3021
.LBB150_2986:
	s_mov_b32 s23, -1
	s_mov_b32 s22, 0
	s_mov_b32 s20, 0
                                        ; implicit-def: $vgpr16
	s_branch .LBB150_3002
.LBB150_2987:
	s_mov_b32 s23, -1
	s_mov_b32 s22, 0
	s_mov_b32 s20, 0
                                        ; implicit-def: $vgpr16
	s_branch .LBB150_2997
.LBB150_2988:
	s_or_b32 s16, s16, exec_lo
	s_trap 2
	s_cbranch_execz .LBB150_2925
	s_branch .LBB150_2926
.LBB150_2989:
	s_mov_b32 s23, -1
	s_mov_b32 s22, 0
	s_mov_b32 s20, 0
	s_branch .LBB150_2991
.LBB150_2990:
	s_mov_b32 s20, -1
	s_mov_b32 s22, 0
.LBB150_2991:
                                        ; implicit-def: $vgpr16
.LBB150_2992:
	s_and_b32 vcc_lo, exec_lo, s23
	s_cbranch_vccz .LBB150_2996
; %bb.2993:
	s_cmp_eq_u32 s15, 44
	s_cbranch_scc0 .LBB150_2995
; %bb.2994:
	global_load_u8 v1, v[6:7], off
	s_mov_b32 s20, 0
	s_mov_b32 s22, -1
	s_wait_loadcnt 0x0
	v_lshlrev_b32_e32 v3, 23, v1
	v_cmp_ne_u32_e32 vcc_lo, 0xff, v1
	s_delay_alu instid0(VALU_DEP_2) | instskip(SKIP_1) | instid1(VALU_DEP_2)
	v_cndmask_b32_e32 v3, 0x7f800001, v3, vcc_lo
	v_cmp_ne_u32_e32 vcc_lo, 0, v1
	v_cndmask_b32_e32 v16, 0x400000, v3, vcc_lo
	s_branch .LBB150_2996
.LBB150_2995:
	s_mov_b32 s20, -1
                                        ; implicit-def: $vgpr16
.LBB150_2996:
	s_mov_b32 s23, 0
.LBB150_2997:
	s_delay_alu instid0(SALU_CYCLE_1)
	s_and_b32 vcc_lo, exec_lo, s23
	s_cbranch_vccz .LBB150_3001
; %bb.2998:
	s_cmp_eq_u32 s15, 29
	s_cbranch_scc0 .LBB150_3000
; %bb.2999:
	global_load_b64 v[16:17], v[6:7], off
	s_mov_b32 s20, 0
	s_mov_b32 s22, -1
	s_mov_b32 s23, 0
	s_wait_loadcnt 0x0
	v_clz_i32_u32_e32 v1, v17
	s_delay_alu instid0(VALU_DEP_1) | instskip(NEXT) | instid1(VALU_DEP_1)
	v_min_u32_e32 v1, 32, v1
	v_lshlrev_b64_e32 v[16:17], v1, v[16:17]
	v_sub_nc_u32_e32 v1, 32, v1
	s_delay_alu instid0(VALU_DEP_2) | instskip(NEXT) | instid1(VALU_DEP_1)
	v_min_u32_e32 v3, 1, v16
	v_or_b32_e32 v3, v17, v3
	s_delay_alu instid0(VALU_DEP_1) | instskip(NEXT) | instid1(VALU_DEP_1)
	v_cvt_f32_u32_e32 v3, v3
	v_ldexp_f32 v16, v3, v1
	s_branch .LBB150_3002
.LBB150_3000:
	s_mov_b32 s20, -1
                                        ; implicit-def: $vgpr16
.LBB150_3001:
	s_mov_b32 s23, 0
.LBB150_3002:
	s_delay_alu instid0(SALU_CYCLE_1)
	s_and_b32 vcc_lo, exec_lo, s23
	s_cbranch_vccz .LBB150_3020
; %bb.3003:
	s_cmp_lt_i32 s15, 27
	s_cbranch_scc1 .LBB150_3006
; %bb.3004:
	s_cmp_gt_i32 s15, 27
	s_cbranch_scc0 .LBB150_3007
; %bb.3005:
	global_load_b32 v1, v[6:7], off
	s_mov_b32 s22, 0
	s_wait_loadcnt 0x0
	v_cvt_f32_u32_e32 v16, v1
	s_branch .LBB150_3008
.LBB150_3006:
	s_mov_b32 s22, -1
                                        ; implicit-def: $vgpr16
	s_branch .LBB150_3011
.LBB150_3007:
	s_mov_b32 s22, -1
                                        ; implicit-def: $vgpr16
.LBB150_3008:
	s_delay_alu instid0(SALU_CYCLE_1)
	s_and_not1_b32 vcc_lo, exec_lo, s22
	s_cbranch_vccnz .LBB150_3010
; %bb.3009:
	global_load_u16 v1, v[6:7], off
	s_wait_loadcnt 0x0
	v_cvt_f32_u32_e32 v16, v1
.LBB150_3010:
	s_mov_b32 s22, 0
.LBB150_3011:
	s_delay_alu instid0(SALU_CYCLE_1)
	s_and_not1_b32 vcc_lo, exec_lo, s22
	s_cbranch_vccnz .LBB150_3019
; %bb.3012:
	global_load_u8 v1, v[6:7], off
	s_mov_b32 s22, 0
	s_mov_b32 s23, exec_lo
	s_wait_loadcnt 0x0
	v_cmpx_lt_i16_e32 0x7f, v1
	s_xor_b32 s23, exec_lo, s23
	s_cbranch_execz .LBB150_3033
; %bb.3013:
	s_mov_b32 s22, -1
	s_mov_b32 s24, exec_lo
	v_cmpx_eq_u16_e32 0x80, v1
; %bb.3014:
	s_xor_b32 s22, exec_lo, -1
; %bb.3015:
	s_or_b32 exec_lo, exec_lo, s24
	s_delay_alu instid0(SALU_CYCLE_1)
	s_and_b32 s22, s22, exec_lo
	s_or_saveexec_b32 s23, s23
	v_mov_b32_e32 v16, 0x7f800001
	s_xor_b32 exec_lo, exec_lo, s23
	s_cbranch_execnz .LBB150_3034
.LBB150_3016:
	s_or_b32 exec_lo, exec_lo, s23
	s_and_saveexec_b32 s23, s22
	s_cbranch_execz .LBB150_3018
.LBB150_3017:
	v_and_b32_e32 v3, 0xffff, v1
	s_delay_alu instid0(VALU_DEP_1) | instskip(SKIP_1) | instid1(VALU_DEP_2)
	v_and_b32_e32 v5, 7, v3
	v_bfe_u32 v18, v3, 3, 4
	v_clz_i32_u32_e32 v16, v5
	s_delay_alu instid0(VALU_DEP_2) | instskip(NEXT) | instid1(VALU_DEP_2)
	v_cmp_eq_u32_e32 vcc_lo, 0, v18
	v_min_u32_e32 v16, 32, v16
	s_delay_alu instid0(VALU_DEP_1) | instskip(NEXT) | instid1(VALU_DEP_1)
	v_subrev_nc_u32_e32 v17, 28, v16
	v_dual_lshlrev_b32 v3, v17, v3 :: v_dual_sub_nc_u32 v16, 29, v16
	s_delay_alu instid0(VALU_DEP_1) | instskip(NEXT) | instid1(VALU_DEP_1)
	v_dual_lshlrev_b32 v1, 24, v1 :: v_dual_bitop2_b32 v3, 7, v3 bitop3:0x40
	v_dual_cndmask_b32 v16, v18, v16 :: v_dual_cndmask_b32 v3, v5, v3
	s_delay_alu instid0(VALU_DEP_2) | instskip(NEXT) | instid1(VALU_DEP_2)
	v_and_b32_e32 v1, 0x80000000, v1
	v_lshl_add_u32 v5, v16, 23, 0x3b800000
	s_delay_alu instid0(VALU_DEP_3) | instskip(NEXT) | instid1(VALU_DEP_1)
	v_lshlrev_b32_e32 v3, 20, v3
	v_or3_b32 v16, v1, v5, v3
.LBB150_3018:
	s_or_b32 exec_lo, exec_lo, s23
.LBB150_3019:
	s_mov_b32 s22, -1
.LBB150_3020:
	s_mov_b32 s23, 0
.LBB150_3021:
	s_delay_alu instid0(SALU_CYCLE_1)
	s_and_b32 vcc_lo, exec_lo, s23
	s_cbranch_vccz .LBB150_3054
; %bb.3022:
	s_cmp_gt_i32 s15, 22
	s_cbranch_scc0 .LBB150_3032
; %bb.3023:
	s_cmp_lt_i32 s15, 24
	s_cbranch_scc1 .LBB150_3035
; %bb.3024:
	s_cmp_gt_i32 s15, 24
	s_cbranch_scc0 .LBB150_3036
; %bb.3025:
	global_load_u8 v1, v[6:7], off
	s_mov_b32 s22, exec_lo
	s_wait_loadcnt 0x0
	v_cmpx_lt_i16_e32 0x7f, v1
	s_xor_b32 s22, exec_lo, s22
	s_cbranch_execz .LBB150_3048
; %bb.3026:
	s_mov_b32 s21, -1
	s_mov_b32 s23, exec_lo
	v_cmpx_eq_u16_e32 0x80, v1
; %bb.3027:
	s_xor_b32 s21, exec_lo, -1
; %bb.3028:
	s_or_b32 exec_lo, exec_lo, s23
	s_delay_alu instid0(SALU_CYCLE_1)
	s_and_b32 s21, s21, exec_lo
	s_or_saveexec_b32 s22, s22
	v_mov_b32_e32 v16, 0x7f800001
	s_xor_b32 exec_lo, exec_lo, s22
	s_cbranch_execnz .LBB150_3049
.LBB150_3029:
	s_or_b32 exec_lo, exec_lo, s22
	s_and_saveexec_b32 s22, s21
	s_cbranch_execz .LBB150_3031
.LBB150_3030:
	v_and_b32_e32 v3, 0xffff, v1
	s_delay_alu instid0(VALU_DEP_1) | instskip(SKIP_1) | instid1(VALU_DEP_2)
	v_and_b32_e32 v5, 3, v3
	v_bfe_u32 v18, v3, 2, 5
	v_clz_i32_u32_e32 v16, v5
	s_delay_alu instid0(VALU_DEP_2) | instskip(NEXT) | instid1(VALU_DEP_2)
	v_cmp_eq_u32_e32 vcc_lo, 0, v18
	v_min_u32_e32 v16, 32, v16
	s_delay_alu instid0(VALU_DEP_1) | instskip(NEXT) | instid1(VALU_DEP_1)
	v_subrev_nc_u32_e32 v17, 29, v16
	v_dual_lshlrev_b32 v3, v17, v3 :: v_dual_sub_nc_u32 v16, 30, v16
	s_delay_alu instid0(VALU_DEP_1) | instskip(NEXT) | instid1(VALU_DEP_1)
	v_dual_lshlrev_b32 v1, 24, v1 :: v_dual_bitop2_b32 v3, 3, v3 bitop3:0x40
	v_dual_cndmask_b32 v16, v18, v16 :: v_dual_cndmask_b32 v3, v5, v3
	s_delay_alu instid0(VALU_DEP_2) | instskip(NEXT) | instid1(VALU_DEP_2)
	v_and_b32_e32 v1, 0x80000000, v1
	v_lshl_add_u32 v5, v16, 23, 0x37800000
	s_delay_alu instid0(VALU_DEP_3) | instskip(NEXT) | instid1(VALU_DEP_1)
	v_lshlrev_b32_e32 v3, 21, v3
	v_or3_b32 v16, v1, v5, v3
.LBB150_3031:
	s_or_b32 exec_lo, exec_lo, s22
	s_mov_b32 s21, 0
	s_branch .LBB150_3037
.LBB150_3032:
	s_mov_b32 s21, -1
                                        ; implicit-def: $vgpr16
	s_branch .LBB150_3043
.LBB150_3033:
	s_or_saveexec_b32 s23, s23
	v_mov_b32_e32 v16, 0x7f800001
	s_xor_b32 exec_lo, exec_lo, s23
	s_cbranch_execz .LBB150_3016
.LBB150_3034:
	v_cmp_ne_u16_e32 vcc_lo, 0, v1
	v_mov_b32_e32 v16, 0
	s_and_not1_b32 s22, s22, exec_lo
	s_and_b32 s24, vcc_lo, exec_lo
	s_delay_alu instid0(SALU_CYCLE_1)
	s_or_b32 s22, s22, s24
	s_or_b32 exec_lo, exec_lo, s23
	s_and_saveexec_b32 s23, s22
	s_cbranch_execnz .LBB150_3017
	s_branch .LBB150_3018
.LBB150_3035:
	s_mov_b32 s21, -1
                                        ; implicit-def: $vgpr16
	s_branch .LBB150_3040
.LBB150_3036:
	s_mov_b32 s21, -1
                                        ; implicit-def: $vgpr16
.LBB150_3037:
	s_delay_alu instid0(SALU_CYCLE_1)
	s_and_b32 vcc_lo, exec_lo, s21
	s_cbranch_vccz .LBB150_3039
; %bb.3038:
	global_load_u8 v1, v[6:7], off
	s_wait_loadcnt 0x0
	v_lshlrev_b32_e32 v1, 24, v1
	s_delay_alu instid0(VALU_DEP_1) | instskip(NEXT) | instid1(VALU_DEP_1)
	v_and_b32_e32 v3, 0x7f000000, v1
	v_clz_i32_u32_e32 v5, v3
	v_add_nc_u32_e32 v17, 0x1000000, v3
	v_cmp_ne_u32_e32 vcc_lo, 0, v3
	s_delay_alu instid0(VALU_DEP_3) | instskip(NEXT) | instid1(VALU_DEP_1)
	v_min_u32_e32 v5, 32, v5
	v_sub_nc_u32_e64 v5, v5, 4 clamp
	s_delay_alu instid0(VALU_DEP_1) | instskip(NEXT) | instid1(VALU_DEP_1)
	v_dual_lshlrev_b32 v16, v5, v3 :: v_dual_lshlrev_b32 v5, 23, v5
	v_lshrrev_b32_e32 v16, 4, v16
	s_delay_alu instid0(VALU_DEP_1) | instskip(SKIP_1) | instid1(VALU_DEP_2)
	v_sub_nc_u32_e32 v5, v16, v5
	v_ashrrev_i32_e32 v16, 8, v17
	v_add_nc_u32_e32 v5, 0x3c000000, v5
	s_delay_alu instid0(VALU_DEP_1) | instskip(NEXT) | instid1(VALU_DEP_1)
	v_and_or_b32 v5, 0x7f800000, v16, v5
	v_cndmask_b32_e32 v3, 0, v5, vcc_lo
	s_delay_alu instid0(VALU_DEP_1)
	v_and_or_b32 v16, 0x80000000, v1, v3
.LBB150_3039:
	s_mov_b32 s21, 0
.LBB150_3040:
	s_delay_alu instid0(SALU_CYCLE_1)
	s_and_not1_b32 vcc_lo, exec_lo, s21
	s_cbranch_vccnz .LBB150_3042
; %bb.3041:
	global_load_u8 v1, v[6:7], off
	s_wait_loadcnt 0x0
	v_lshlrev_b32_e32 v3, 25, v1
	v_lshlrev_b16 v1, 8, v1
	s_delay_alu instid0(VALU_DEP_1) | instskip(SKIP_1) | instid1(VALU_DEP_2)
	v_and_or_b32 v16, 0x7f00, v1, 0.5
	v_bfe_i32 v1, v1, 0, 16
	v_dual_add_f32 v16, -0.5, v16 :: v_dual_lshrrev_b32 v5, 4, v3
	v_cmp_gt_u32_e32 vcc_lo, 0x8000000, v3
	s_delay_alu instid0(VALU_DEP_2) | instskip(NEXT) | instid1(VALU_DEP_1)
	v_or_b32_e32 v5, 0x70000000, v5
	v_mul_f32_e32 v5, 0x7800000, v5
	s_delay_alu instid0(VALU_DEP_1) | instskip(NEXT) | instid1(VALU_DEP_1)
	v_cndmask_b32_e32 v3, v5, v16, vcc_lo
	v_and_or_b32 v16, 0x80000000, v1, v3
.LBB150_3042:
	s_mov_b32 s21, 0
	s_mov_b32 s22, -1
.LBB150_3043:
	s_and_not1_b32 vcc_lo, exec_lo, s21
	s_mov_b32 s21, 0
	s_cbranch_vccnz .LBB150_3054
; %bb.3044:
	s_cmp_gt_i32 s15, 14
	s_cbranch_scc0 .LBB150_3047
; %bb.3045:
	s_cmp_eq_u32 s15, 15
	s_cbranch_scc0 .LBB150_3050
; %bb.3046:
	global_load_u16 v1, v[6:7], off
	s_mov_b32 s20, 0
	s_mov_b32 s22, -1
	s_wait_loadcnt 0x0
	v_lshlrev_b32_e32 v16, 16, v1
	s_branch .LBB150_3052
.LBB150_3047:
	s_mov_b32 s21, -1
	s_branch .LBB150_3051
.LBB150_3048:
	s_or_saveexec_b32 s22, s22
	v_mov_b32_e32 v16, 0x7f800001
	s_xor_b32 exec_lo, exec_lo, s22
	s_cbranch_execz .LBB150_3029
.LBB150_3049:
	v_cmp_ne_u16_e32 vcc_lo, 0, v1
	v_mov_b32_e32 v16, 0
	s_and_not1_b32 s21, s21, exec_lo
	s_and_b32 s23, vcc_lo, exec_lo
	s_delay_alu instid0(SALU_CYCLE_1)
	s_or_b32 s21, s21, s23
	s_or_b32 exec_lo, exec_lo, s22
	s_and_saveexec_b32 s22, s21
	s_cbranch_execnz .LBB150_3030
	s_branch .LBB150_3031
.LBB150_3050:
	s_mov_b32 s20, -1
.LBB150_3051:
                                        ; implicit-def: $vgpr16
.LBB150_3052:
	s_and_b32 vcc_lo, exec_lo, s21
	s_mov_b32 s21, 0
	s_cbranch_vccz .LBB150_3054
; %bb.3053:
	s_cmp_lg_u32 s15, 11
	s_mov_b32 s21, -1
	s_cselect_b32 s20, -1, 0
.LBB150_3054:
	s_delay_alu instid0(SALU_CYCLE_1)
	s_and_b32 vcc_lo, exec_lo, s20
	s_cbranch_vccnz .LBB150_3119
; %bb.3055:
	s_and_not1_b32 vcc_lo, exec_lo, s21
	s_cbranch_vccnz .LBB150_3057
.LBB150_3056:
	global_load_u8 v1, v[6:7], off
	s_mov_b32 s22, -1
	s_wait_loadcnt 0x0
	v_cmp_ne_u16_e32 vcc_lo, 0, v1
	v_cndmask_b32_e64 v16, 0, 1.0, vcc_lo
.LBB150_3057:
	s_mov_b32 s15, 0
.LBB150_3058:
	s_delay_alu instid0(SALU_CYCLE_1)
	s_and_b32 vcc_lo, exec_lo, s15
	s_cbranch_vccz .LBB150_3107
; %bb.3059:
	s_and_b32 s15, 0xffff, s3
	s_delay_alu instid0(SALU_CYCLE_1)
	s_cmp_lt_i32 s15, 5
	s_cbranch_scc1 .LBB150_3064
; %bb.3060:
	s_cmp_lt_i32 s15, 8
	s_cbranch_scc1 .LBB150_3065
; %bb.3061:
	;; [unrolled: 3-line block ×3, first 2 shown]
	s_cmp_gt_i32 s15, 9
	s_cbranch_scc0 .LBB150_3067
; %bb.3063:
	global_load_b64 v[16:17], v[6:7], off
	s_mov_b32 s20, 0
	s_wait_loadcnt 0x0
	v_cvt_f32_f64_e32 v16, v[16:17]
	s_branch .LBB150_3068
.LBB150_3064:
	s_mov_b32 s20, -1
                                        ; implicit-def: $vgpr16
	s_branch .LBB150_3086
.LBB150_3065:
	s_mov_b32 s20, -1
                                        ; implicit-def: $vgpr16
	s_branch .LBB150_3074
.LBB150_3066:
	s_mov_b32 s20, -1
                                        ; implicit-def: $vgpr16
	s_branch .LBB150_3071
.LBB150_3067:
	s_mov_b32 s20, -1
                                        ; implicit-def: $vgpr16
.LBB150_3068:
	s_delay_alu instid0(SALU_CYCLE_1)
	s_and_not1_b32 vcc_lo, exec_lo, s20
	s_cbranch_vccnz .LBB150_3070
; %bb.3069:
	global_load_b32 v16, v[6:7], off
.LBB150_3070:
	s_mov_b32 s20, 0
.LBB150_3071:
	s_delay_alu instid0(SALU_CYCLE_1)
	s_and_not1_b32 vcc_lo, exec_lo, s20
	s_cbranch_vccnz .LBB150_3073
; %bb.3072:
	global_load_b32 v1, v[6:7], off
	s_wait_loadcnt 0x0
	v_cvt_f32_f16_e32 v16, v1
.LBB150_3073:
	s_mov_b32 s20, 0
.LBB150_3074:
	s_delay_alu instid0(SALU_CYCLE_1)
	s_and_not1_b32 vcc_lo, exec_lo, s20
	s_cbranch_vccnz .LBB150_3085
; %bb.3075:
	s_cmp_lt_i32 s15, 6
	s_cbranch_scc1 .LBB150_3078
; %bb.3076:
	s_cmp_gt_i32 s15, 6
	s_cbranch_scc0 .LBB150_3079
; %bb.3077:
	s_wait_loadcnt 0x0
	global_load_b64 v[16:17], v[6:7], off
	s_mov_b32 s20, 0
	s_wait_loadcnt 0x0
	v_cvt_f32_f64_e32 v16, v[16:17]
	s_branch .LBB150_3080
.LBB150_3078:
	s_mov_b32 s20, -1
                                        ; implicit-def: $vgpr16
	s_branch .LBB150_3083
.LBB150_3079:
	s_mov_b32 s20, -1
                                        ; implicit-def: $vgpr16
.LBB150_3080:
	s_delay_alu instid0(SALU_CYCLE_1)
	s_and_not1_b32 vcc_lo, exec_lo, s20
	s_cbranch_vccnz .LBB150_3082
; %bb.3081:
	s_wait_loadcnt 0x0
	global_load_b32 v16, v[6:7], off
.LBB150_3082:
	s_mov_b32 s20, 0
.LBB150_3083:
	s_delay_alu instid0(SALU_CYCLE_1)
	s_and_not1_b32 vcc_lo, exec_lo, s20
	s_cbranch_vccnz .LBB150_3085
; %bb.3084:
	global_load_u16 v1, v[6:7], off
	s_wait_loadcnt 0x0
	v_cvt_f32_f16_e32 v16, v1
.LBB150_3085:
	s_mov_b32 s20, 0
.LBB150_3086:
	s_delay_alu instid0(SALU_CYCLE_1)
	s_and_not1_b32 vcc_lo, exec_lo, s20
	s_cbranch_vccnz .LBB150_3106
; %bb.3087:
	s_cmp_lt_i32 s15, 2
	s_cbranch_scc1 .LBB150_3091
; %bb.3088:
	s_cmp_lt_i32 s15, 3
	s_cbranch_scc1 .LBB150_3092
; %bb.3089:
	s_cmp_gt_i32 s15, 3
	s_cbranch_scc0 .LBB150_3093
; %bb.3090:
	s_wait_loadcnt 0x0
	global_load_b64 v[16:17], v[6:7], off
	s_mov_b32 s20, 0
	s_wait_loadcnt 0x0
	v_xor_b32_e32 v1, v16, v17
	v_cls_i32_e32 v3, v17
	s_delay_alu instid0(VALU_DEP_2) | instskip(NEXT) | instid1(VALU_DEP_1)
	v_ashrrev_i32_e32 v1, 31, v1
	v_add_nc_u32_e32 v1, 32, v1
	s_delay_alu instid0(VALU_DEP_1) | instskip(NEXT) | instid1(VALU_DEP_1)
	v_add_min_u32_e64 v1, v3, -1, v1
	v_lshlrev_b64_e32 v[16:17], v1, v[16:17]
	v_sub_nc_u32_e32 v1, 32, v1
	s_delay_alu instid0(VALU_DEP_2) | instskip(NEXT) | instid1(VALU_DEP_1)
	v_min_u32_e32 v3, 1, v16
	v_or_b32_e32 v3, v17, v3
	s_delay_alu instid0(VALU_DEP_1) | instskip(NEXT) | instid1(VALU_DEP_1)
	v_cvt_f32_i32_e32 v3, v3
	v_ldexp_f32 v16, v3, v1
	s_branch .LBB150_3094
.LBB150_3091:
	s_mov_b32 s20, -1
                                        ; implicit-def: $vgpr16
	s_branch .LBB150_3100
.LBB150_3092:
	s_mov_b32 s20, -1
                                        ; implicit-def: $vgpr16
	s_branch .LBB150_3097
.LBB150_3093:
	s_mov_b32 s20, -1
                                        ; implicit-def: $vgpr16
.LBB150_3094:
	s_delay_alu instid0(SALU_CYCLE_1)
	s_and_not1_b32 vcc_lo, exec_lo, s20
	s_cbranch_vccnz .LBB150_3096
; %bb.3095:
	global_load_b32 v1, v[6:7], off
	s_wait_loadcnt 0x0
	v_cvt_f32_i32_e32 v16, v1
.LBB150_3096:
	s_mov_b32 s20, 0
.LBB150_3097:
	s_delay_alu instid0(SALU_CYCLE_1)
	s_and_not1_b32 vcc_lo, exec_lo, s20
	s_cbranch_vccnz .LBB150_3099
; %bb.3098:
	global_load_i16 v1, v[6:7], off
	s_wait_loadcnt 0x0
	v_cvt_f32_i32_e32 v16, v1
.LBB150_3099:
	s_mov_b32 s20, 0
.LBB150_3100:
	s_delay_alu instid0(SALU_CYCLE_1)
	s_and_not1_b32 vcc_lo, exec_lo, s20
	s_cbranch_vccnz .LBB150_3106
; %bb.3101:
	s_cmp_gt_i32 s15, 0
	s_mov_b32 s15, 0
	s_cbranch_scc0 .LBB150_3103
; %bb.3102:
	global_load_i8 v1, v[6:7], off
	s_wait_loadcnt 0x0
	v_cvt_f32_i32_e32 v16, v1
	s_branch .LBB150_3104
.LBB150_3103:
	s_mov_b32 s15, -1
                                        ; implicit-def: $vgpr16
.LBB150_3104:
	s_delay_alu instid0(SALU_CYCLE_1)
	s_and_not1_b32 vcc_lo, exec_lo, s15
	s_cbranch_vccnz .LBB150_3106
; %bb.3105:
	global_load_u8 v1, v[6:7], off
	s_wait_loadcnt 0x0
	v_cvt_f32_ubyte0_e32 v16, v1
.LBB150_3106:
	s_mov_b32 s22, -1
.LBB150_3107:
	s_delay_alu instid0(SALU_CYCLE_1)
	s_and_not1_b32 vcc_lo, exec_lo, s22
	s_cbranch_vccnz .LBB150_4065
; %bb.3108:
	v_add_nc_u32_e32 v4, s14, v4
	s_cmp_lt_i32 s0, 11
	s_delay_alu instid0(VALU_DEP_1) | instskip(SKIP_1) | instid1(VALU_DEP_1)
	v_ashrrev_i32_e32 v5, 31, v4
	s_wait_xcnt 0x0
	v_add_nc_u64_e32 v[6:7], s[10:11], v[4:5]
	s_cbranch_scc1 .LBB150_3115
; %bb.3109:
	s_cmp_gt_i32 s0, 25
	s_mov_b32 s20, 0
	s_cbranch_scc0 .LBB150_3116
; %bb.3110:
	s_cmp_gt_i32 s0, 28
	s_cbranch_scc0 .LBB150_3117
; %bb.3111:
	s_cmp_gt_i32 s0, 43
	;; [unrolled: 3-line block ×3, first 2 shown]
	s_cbranch_scc0 .LBB150_3120
; %bb.3113:
	s_cmp_eq_u32 s0, 46
	s_mov_b32 s22, 0
	s_cbranch_scc0 .LBB150_3121
; %bb.3114:
	global_load_b32 v1, v[6:7], off
	s_mov_b32 s15, 0
	s_mov_b32 s21, -1
	s_wait_loadcnt 0x0
	v_lshlrev_b32_e32 v17, 16, v1
	s_branch .LBB150_3123
.LBB150_3115:
	s_mov_b32 s15, -1
	s_mov_b32 s21, 0
                                        ; implicit-def: $vgpr17
	s_branch .LBB150_3189
.LBB150_3116:
	s_mov_b32 s22, -1
	s_mov_b32 s21, 0
	s_mov_b32 s15, 0
                                        ; implicit-def: $vgpr17
	s_branch .LBB150_3152
.LBB150_3117:
	s_mov_b32 s22, -1
	s_mov_b32 s21, 0
	s_mov_b32 s15, 0
                                        ; implicit-def: $vgpr17
	s_branch .LBB150_3133
.LBB150_3118:
	s_mov_b32 s22, -1
	s_mov_b32 s21, 0
	s_mov_b32 s15, 0
                                        ; implicit-def: $vgpr17
	s_branch .LBB150_3128
.LBB150_3119:
	s_or_b32 s16, s16, exec_lo
	s_trap 2
	s_cbranch_execz .LBB150_3056
	s_branch .LBB150_3057
.LBB150_3120:
	s_mov_b32 s22, -1
	s_mov_b32 s21, 0
	s_mov_b32 s15, 0
	s_branch .LBB150_3122
.LBB150_3121:
	s_mov_b32 s15, -1
	s_mov_b32 s21, 0
.LBB150_3122:
                                        ; implicit-def: $vgpr17
.LBB150_3123:
	s_and_b32 vcc_lo, exec_lo, s22
	s_cbranch_vccz .LBB150_3127
; %bb.3124:
	s_cmp_eq_u32 s0, 44
	s_cbranch_scc0 .LBB150_3126
; %bb.3125:
	global_load_u8 v1, v[6:7], off
	s_mov_b32 s15, 0
	s_mov_b32 s21, -1
	s_wait_loadcnt 0x0
	v_lshlrev_b32_e32 v3, 23, v1
	v_cmp_ne_u32_e32 vcc_lo, 0xff, v1
	s_delay_alu instid0(VALU_DEP_2) | instskip(SKIP_1) | instid1(VALU_DEP_2)
	v_cndmask_b32_e32 v3, 0x7f800001, v3, vcc_lo
	v_cmp_ne_u32_e32 vcc_lo, 0, v1
	v_cndmask_b32_e32 v17, 0x400000, v3, vcc_lo
	s_branch .LBB150_3127
.LBB150_3126:
	s_mov_b32 s15, -1
                                        ; implicit-def: $vgpr17
.LBB150_3127:
	s_mov_b32 s22, 0
.LBB150_3128:
	s_delay_alu instid0(SALU_CYCLE_1)
	s_and_b32 vcc_lo, exec_lo, s22
	s_cbranch_vccz .LBB150_3132
; %bb.3129:
	s_cmp_eq_u32 s0, 29
	s_cbranch_scc0 .LBB150_3131
; %bb.3130:
	global_load_b64 v[18:19], v[6:7], off
	s_mov_b32 s15, 0
	s_mov_b32 s21, -1
	s_mov_b32 s22, 0
	s_wait_loadcnt 0x0
	v_clz_i32_u32_e32 v1, v19
	s_delay_alu instid0(VALU_DEP_1) | instskip(NEXT) | instid1(VALU_DEP_1)
	v_min_u32_e32 v1, 32, v1
	v_lshlrev_b64_e32 v[18:19], v1, v[18:19]
	v_sub_nc_u32_e32 v1, 32, v1
	s_delay_alu instid0(VALU_DEP_2) | instskip(NEXT) | instid1(VALU_DEP_1)
	v_min_u32_e32 v3, 1, v18
	v_or_b32_e32 v3, v19, v3
	s_delay_alu instid0(VALU_DEP_1) | instskip(NEXT) | instid1(VALU_DEP_1)
	v_cvt_f32_u32_e32 v3, v3
	v_ldexp_f32 v17, v3, v1
	s_branch .LBB150_3133
.LBB150_3131:
	s_mov_b32 s15, -1
                                        ; implicit-def: $vgpr17
.LBB150_3132:
	s_mov_b32 s22, 0
.LBB150_3133:
	s_delay_alu instid0(SALU_CYCLE_1)
	s_and_b32 vcc_lo, exec_lo, s22
	s_cbranch_vccz .LBB150_3151
; %bb.3134:
	s_cmp_lt_i32 s0, 27
	s_cbranch_scc1 .LBB150_3137
; %bb.3135:
	s_cmp_gt_i32 s0, 27
	s_cbranch_scc0 .LBB150_3138
; %bb.3136:
	global_load_b32 v1, v[6:7], off
	s_mov_b32 s21, 0
	s_wait_loadcnt 0x0
	v_cvt_f32_u32_e32 v17, v1
	s_branch .LBB150_3139
.LBB150_3137:
	s_mov_b32 s21, -1
                                        ; implicit-def: $vgpr17
	s_branch .LBB150_3142
.LBB150_3138:
	s_mov_b32 s21, -1
                                        ; implicit-def: $vgpr17
.LBB150_3139:
	s_delay_alu instid0(SALU_CYCLE_1)
	s_and_not1_b32 vcc_lo, exec_lo, s21
	s_cbranch_vccnz .LBB150_3141
; %bb.3140:
	global_load_u16 v1, v[6:7], off
	s_wait_loadcnt 0x0
	v_cvt_f32_u32_e32 v17, v1
.LBB150_3141:
	s_mov_b32 s21, 0
.LBB150_3142:
	s_delay_alu instid0(SALU_CYCLE_1)
	s_and_not1_b32 vcc_lo, exec_lo, s21
	s_cbranch_vccnz .LBB150_3150
; %bb.3143:
	global_load_u8 v1, v[6:7], off
	s_mov_b32 s21, 0
	s_mov_b32 s22, exec_lo
	s_wait_loadcnt 0x0
	v_cmpx_lt_i16_e32 0x7f, v1
	s_xor_b32 s22, exec_lo, s22
	s_cbranch_execz .LBB150_3164
; %bb.3144:
	s_mov_b32 s21, -1
	s_mov_b32 s23, exec_lo
	v_cmpx_eq_u16_e32 0x80, v1
; %bb.3145:
	s_xor_b32 s21, exec_lo, -1
; %bb.3146:
	s_or_b32 exec_lo, exec_lo, s23
	s_delay_alu instid0(SALU_CYCLE_1)
	s_and_b32 s21, s21, exec_lo
	s_or_saveexec_b32 s22, s22
	v_mov_b32_e32 v17, 0x7f800001
	s_xor_b32 exec_lo, exec_lo, s22
	s_cbranch_execnz .LBB150_3165
.LBB150_3147:
	s_or_b32 exec_lo, exec_lo, s22
	s_and_saveexec_b32 s22, s21
	s_cbranch_execz .LBB150_3149
.LBB150_3148:
	v_and_b32_e32 v3, 0xffff, v1
	s_delay_alu instid0(VALU_DEP_1) | instskip(SKIP_1) | instid1(VALU_DEP_2)
	v_and_b32_e32 v5, 7, v3
	v_bfe_u32 v19, v3, 3, 4
	v_clz_i32_u32_e32 v17, v5
	s_delay_alu instid0(VALU_DEP_2) | instskip(NEXT) | instid1(VALU_DEP_2)
	v_cmp_eq_u32_e32 vcc_lo, 0, v19
	v_min_u32_e32 v17, 32, v17
	s_delay_alu instid0(VALU_DEP_1) | instskip(NEXT) | instid1(VALU_DEP_1)
	v_subrev_nc_u32_e32 v18, 28, v17
	v_dual_lshlrev_b32 v3, v18, v3 :: v_dual_sub_nc_u32 v17, 29, v17
	s_delay_alu instid0(VALU_DEP_1) | instskip(NEXT) | instid1(VALU_DEP_1)
	v_dual_lshlrev_b32 v1, 24, v1 :: v_dual_bitop2_b32 v3, 7, v3 bitop3:0x40
	v_dual_cndmask_b32 v3, v5, v3, vcc_lo :: v_dual_cndmask_b32 v17, v19, v17, vcc_lo
	s_delay_alu instid0(VALU_DEP_2) | instskip(NEXT) | instid1(VALU_DEP_2)
	v_and_b32_e32 v1, 0x80000000, v1
	v_lshlrev_b32_e32 v3, 20, v3
	s_delay_alu instid0(VALU_DEP_3) | instskip(NEXT) | instid1(VALU_DEP_1)
	v_lshl_add_u32 v5, v17, 23, 0x3b800000
	v_or3_b32 v17, v1, v5, v3
.LBB150_3149:
	s_or_b32 exec_lo, exec_lo, s22
.LBB150_3150:
	s_mov_b32 s21, -1
.LBB150_3151:
	s_mov_b32 s22, 0
.LBB150_3152:
	s_delay_alu instid0(SALU_CYCLE_1)
	s_and_b32 vcc_lo, exec_lo, s22
	s_cbranch_vccz .LBB150_3185
; %bb.3153:
	s_cmp_gt_i32 s0, 22
	s_cbranch_scc0 .LBB150_3163
; %bb.3154:
	s_cmp_lt_i32 s0, 24
	s_cbranch_scc1 .LBB150_3166
; %bb.3155:
	s_cmp_gt_i32 s0, 24
	s_cbranch_scc0 .LBB150_3167
; %bb.3156:
	global_load_u8 v1, v[6:7], off
	s_mov_b32 s21, exec_lo
	s_wait_loadcnt 0x0
	v_cmpx_lt_i16_e32 0x7f, v1
	s_xor_b32 s21, exec_lo, s21
	s_cbranch_execz .LBB150_3179
; %bb.3157:
	s_mov_b32 s20, -1
	s_mov_b32 s22, exec_lo
	v_cmpx_eq_u16_e32 0x80, v1
; %bb.3158:
	s_xor_b32 s20, exec_lo, -1
; %bb.3159:
	s_or_b32 exec_lo, exec_lo, s22
	s_delay_alu instid0(SALU_CYCLE_1)
	s_and_b32 s20, s20, exec_lo
	s_or_saveexec_b32 s21, s21
	v_mov_b32_e32 v17, 0x7f800001
	s_xor_b32 exec_lo, exec_lo, s21
	s_cbranch_execnz .LBB150_3180
.LBB150_3160:
	s_or_b32 exec_lo, exec_lo, s21
	s_and_saveexec_b32 s21, s20
	s_cbranch_execz .LBB150_3162
.LBB150_3161:
	v_and_b32_e32 v3, 0xffff, v1
	s_delay_alu instid0(VALU_DEP_1) | instskip(SKIP_1) | instid1(VALU_DEP_2)
	v_and_b32_e32 v5, 3, v3
	v_bfe_u32 v19, v3, 2, 5
	v_clz_i32_u32_e32 v17, v5
	s_delay_alu instid0(VALU_DEP_2) | instskip(NEXT) | instid1(VALU_DEP_2)
	v_cmp_eq_u32_e32 vcc_lo, 0, v19
	v_min_u32_e32 v17, 32, v17
	s_delay_alu instid0(VALU_DEP_1) | instskip(NEXT) | instid1(VALU_DEP_1)
	v_subrev_nc_u32_e32 v18, 29, v17
	v_dual_lshlrev_b32 v3, v18, v3 :: v_dual_sub_nc_u32 v17, 30, v17
	s_delay_alu instid0(VALU_DEP_1) | instskip(NEXT) | instid1(VALU_DEP_1)
	v_dual_lshlrev_b32 v1, 24, v1 :: v_dual_bitop2_b32 v3, 3, v3 bitop3:0x40
	v_dual_cndmask_b32 v3, v5, v3, vcc_lo :: v_dual_cndmask_b32 v17, v19, v17, vcc_lo
	s_delay_alu instid0(VALU_DEP_2) | instskip(NEXT) | instid1(VALU_DEP_2)
	v_and_b32_e32 v1, 0x80000000, v1
	v_lshlrev_b32_e32 v3, 21, v3
	s_delay_alu instid0(VALU_DEP_3) | instskip(NEXT) | instid1(VALU_DEP_1)
	v_lshl_add_u32 v5, v17, 23, 0x37800000
	v_or3_b32 v17, v1, v5, v3
.LBB150_3162:
	s_or_b32 exec_lo, exec_lo, s21
	s_mov_b32 s20, 0
	s_branch .LBB150_3168
.LBB150_3163:
	s_mov_b32 s20, -1
                                        ; implicit-def: $vgpr17
	s_branch .LBB150_3174
.LBB150_3164:
	s_or_saveexec_b32 s22, s22
	v_mov_b32_e32 v17, 0x7f800001
	s_xor_b32 exec_lo, exec_lo, s22
	s_cbranch_execz .LBB150_3147
.LBB150_3165:
	v_cmp_ne_u16_e32 vcc_lo, 0, v1
	v_mov_b32_e32 v17, 0
	s_and_not1_b32 s21, s21, exec_lo
	s_and_b32 s23, vcc_lo, exec_lo
	s_delay_alu instid0(SALU_CYCLE_1)
	s_or_b32 s21, s21, s23
	s_or_b32 exec_lo, exec_lo, s22
	s_and_saveexec_b32 s22, s21
	s_cbranch_execnz .LBB150_3148
	s_branch .LBB150_3149
.LBB150_3166:
	s_mov_b32 s20, -1
                                        ; implicit-def: $vgpr17
	s_branch .LBB150_3171
.LBB150_3167:
	s_mov_b32 s20, -1
                                        ; implicit-def: $vgpr17
.LBB150_3168:
	s_delay_alu instid0(SALU_CYCLE_1)
	s_and_b32 vcc_lo, exec_lo, s20
	s_cbranch_vccz .LBB150_3170
; %bb.3169:
	global_load_u8 v1, v[6:7], off
	s_wait_loadcnt 0x0
	v_lshlrev_b32_e32 v1, 24, v1
	s_delay_alu instid0(VALU_DEP_1) | instskip(NEXT) | instid1(VALU_DEP_1)
	v_and_b32_e32 v3, 0x7f000000, v1
	v_clz_i32_u32_e32 v5, v3
	v_cmp_ne_u32_e32 vcc_lo, 0, v3
	v_add_nc_u32_e32 v18, 0x1000000, v3
	s_delay_alu instid0(VALU_DEP_3) | instskip(NEXT) | instid1(VALU_DEP_1)
	v_min_u32_e32 v5, 32, v5
	v_sub_nc_u32_e64 v5, v5, 4 clamp
	s_delay_alu instid0(VALU_DEP_1) | instskip(NEXT) | instid1(VALU_DEP_1)
	v_dual_lshlrev_b32 v17, v5, v3 :: v_dual_lshlrev_b32 v5, 23, v5
	v_lshrrev_b32_e32 v17, 4, v17
	s_delay_alu instid0(VALU_DEP_1) | instskip(NEXT) | instid1(VALU_DEP_1)
	v_dual_sub_nc_u32 v5, v17, v5 :: v_dual_ashrrev_i32 v17, 8, v18
	v_add_nc_u32_e32 v5, 0x3c000000, v5
	s_delay_alu instid0(VALU_DEP_1) | instskip(NEXT) | instid1(VALU_DEP_1)
	v_and_or_b32 v5, 0x7f800000, v17, v5
	v_cndmask_b32_e32 v3, 0, v5, vcc_lo
	s_delay_alu instid0(VALU_DEP_1)
	v_and_or_b32 v17, 0x80000000, v1, v3
.LBB150_3170:
	s_mov_b32 s20, 0
.LBB150_3171:
	s_delay_alu instid0(SALU_CYCLE_1)
	s_and_not1_b32 vcc_lo, exec_lo, s20
	s_cbranch_vccnz .LBB150_3173
; %bb.3172:
	global_load_u8 v1, v[6:7], off
	s_wait_loadcnt 0x0
	v_lshlrev_b32_e32 v3, 25, v1
	v_lshlrev_b16 v1, 8, v1
	s_delay_alu instid0(VALU_DEP_2) | instskip(NEXT) | instid1(VALU_DEP_2)
	v_cmp_gt_u32_e32 vcc_lo, 0x8000000, v3
	v_and_or_b32 v17, 0x7f00, v1, 0.5
	v_lshrrev_b32_e32 v5, 4, v3
	v_bfe_i32 v1, v1, 0, 16
	s_delay_alu instid0(VALU_DEP_3) | instskip(NEXT) | instid1(VALU_DEP_3)
	v_add_f32_e32 v17, -0.5, v17
	v_or_b32_e32 v5, 0x70000000, v5
	s_delay_alu instid0(VALU_DEP_1) | instskip(NEXT) | instid1(VALU_DEP_1)
	v_mul_f32_e32 v5, 0x7800000, v5
	v_cndmask_b32_e32 v3, v5, v17, vcc_lo
	s_delay_alu instid0(VALU_DEP_1)
	v_and_or_b32 v17, 0x80000000, v1, v3
.LBB150_3173:
	s_mov_b32 s20, 0
	s_mov_b32 s21, -1
.LBB150_3174:
	s_and_not1_b32 vcc_lo, exec_lo, s20
	s_mov_b32 s20, 0
	s_cbranch_vccnz .LBB150_3185
; %bb.3175:
	s_cmp_gt_i32 s0, 14
	s_cbranch_scc0 .LBB150_3178
; %bb.3176:
	s_cmp_eq_u32 s0, 15
	s_cbranch_scc0 .LBB150_3181
; %bb.3177:
	global_load_u16 v1, v[6:7], off
	s_mov_b32 s15, 0
	s_mov_b32 s21, -1
	s_wait_loadcnt 0x0
	v_lshlrev_b32_e32 v17, 16, v1
	s_branch .LBB150_3183
.LBB150_3178:
	s_mov_b32 s20, -1
	s_branch .LBB150_3182
.LBB150_3179:
	s_or_saveexec_b32 s21, s21
	v_mov_b32_e32 v17, 0x7f800001
	s_xor_b32 exec_lo, exec_lo, s21
	s_cbranch_execz .LBB150_3160
.LBB150_3180:
	v_cmp_ne_u16_e32 vcc_lo, 0, v1
	v_mov_b32_e32 v17, 0
	s_and_not1_b32 s20, s20, exec_lo
	s_and_b32 s22, vcc_lo, exec_lo
	s_delay_alu instid0(SALU_CYCLE_1)
	s_or_b32 s20, s20, s22
	s_or_b32 exec_lo, exec_lo, s21
	s_and_saveexec_b32 s21, s20
	s_cbranch_execnz .LBB150_3161
	s_branch .LBB150_3162
.LBB150_3181:
	s_mov_b32 s15, -1
.LBB150_3182:
                                        ; implicit-def: $vgpr17
.LBB150_3183:
	s_and_b32 vcc_lo, exec_lo, s20
	s_mov_b32 s20, 0
	s_cbranch_vccz .LBB150_3185
; %bb.3184:
	s_cmp_lg_u32 s0, 11
	s_mov_b32 s20, -1
	s_cselect_b32 s15, -1, 0
.LBB150_3185:
	s_delay_alu instid0(SALU_CYCLE_1)
	s_and_b32 vcc_lo, exec_lo, s15
	s_cbranch_vccnz .LBB150_3250
; %bb.3186:
	s_and_not1_b32 vcc_lo, exec_lo, s20
	s_cbranch_vccnz .LBB150_3188
.LBB150_3187:
	global_load_u8 v1, v[6:7], off
	s_mov_b32 s21, -1
	s_wait_loadcnt 0x0
	v_cmp_ne_u16_e32 vcc_lo, 0, v1
	v_cndmask_b32_e64 v17, 0, 1.0, vcc_lo
.LBB150_3188:
	s_mov_b32 s15, 0
.LBB150_3189:
	s_delay_alu instid0(SALU_CYCLE_1)
	s_and_b32 vcc_lo, exec_lo, s15
	s_cbranch_vccz .LBB150_3238
; %bb.3190:
	s_cmp_lt_i32 s0, 5
	s_cbranch_scc1 .LBB150_3195
; %bb.3191:
	s_cmp_lt_i32 s0, 8
	s_cbranch_scc1 .LBB150_3196
	;; [unrolled: 3-line block ×3, first 2 shown]
; %bb.3193:
	s_cmp_gt_i32 s0, 9
	s_cbranch_scc0 .LBB150_3198
; %bb.3194:
	global_load_b64 v[18:19], v[6:7], off
	s_mov_b32 s15, 0
	s_wait_loadcnt 0x0
	v_cvt_f32_f64_e32 v17, v[18:19]
	s_branch .LBB150_3199
.LBB150_3195:
	s_mov_b32 s15, -1
                                        ; implicit-def: $vgpr17
	s_branch .LBB150_3217
.LBB150_3196:
	s_mov_b32 s15, -1
                                        ; implicit-def: $vgpr17
	s_branch .LBB150_3205
.LBB150_3197:
	s_mov_b32 s15, -1
                                        ; implicit-def: $vgpr17
	s_branch .LBB150_3202
.LBB150_3198:
	s_mov_b32 s15, -1
                                        ; implicit-def: $vgpr17
.LBB150_3199:
	s_delay_alu instid0(SALU_CYCLE_1)
	s_and_not1_b32 vcc_lo, exec_lo, s15
	s_cbranch_vccnz .LBB150_3201
; %bb.3200:
	global_load_b32 v17, v[6:7], off
.LBB150_3201:
	s_mov_b32 s15, 0
.LBB150_3202:
	s_delay_alu instid0(SALU_CYCLE_1)
	s_and_not1_b32 vcc_lo, exec_lo, s15
	s_cbranch_vccnz .LBB150_3204
; %bb.3203:
	global_load_b32 v1, v[6:7], off
	s_wait_loadcnt 0x0
	v_cvt_f32_f16_e32 v17, v1
.LBB150_3204:
	s_mov_b32 s15, 0
.LBB150_3205:
	s_delay_alu instid0(SALU_CYCLE_1)
	s_and_not1_b32 vcc_lo, exec_lo, s15
	s_cbranch_vccnz .LBB150_3216
; %bb.3206:
	s_cmp_lt_i32 s0, 6
	s_cbranch_scc1 .LBB150_3209
; %bb.3207:
	s_cmp_gt_i32 s0, 6
	s_cbranch_scc0 .LBB150_3210
; %bb.3208:
	global_load_b64 v[18:19], v[6:7], off
	s_mov_b32 s15, 0
	s_wait_loadcnt 0x0
	v_cvt_f32_f64_e32 v17, v[18:19]
	s_branch .LBB150_3211
.LBB150_3209:
	s_mov_b32 s15, -1
                                        ; implicit-def: $vgpr17
	s_branch .LBB150_3214
.LBB150_3210:
	s_mov_b32 s15, -1
                                        ; implicit-def: $vgpr17
.LBB150_3211:
	s_delay_alu instid0(SALU_CYCLE_1)
	s_and_not1_b32 vcc_lo, exec_lo, s15
	s_cbranch_vccnz .LBB150_3213
; %bb.3212:
	s_wait_loadcnt 0x0
	global_load_b32 v17, v[6:7], off
.LBB150_3213:
	s_mov_b32 s15, 0
.LBB150_3214:
	s_delay_alu instid0(SALU_CYCLE_1)
	s_and_not1_b32 vcc_lo, exec_lo, s15
	s_cbranch_vccnz .LBB150_3216
; %bb.3215:
	global_load_u16 v1, v[6:7], off
	s_wait_loadcnt 0x0
	v_cvt_f32_f16_e32 v17, v1
.LBB150_3216:
	s_mov_b32 s15, 0
.LBB150_3217:
	s_delay_alu instid0(SALU_CYCLE_1)
	s_and_not1_b32 vcc_lo, exec_lo, s15
	s_cbranch_vccnz .LBB150_3237
; %bb.3218:
	s_cmp_lt_i32 s0, 2
	s_cbranch_scc1 .LBB150_3222
; %bb.3219:
	s_cmp_lt_i32 s0, 3
	s_cbranch_scc1 .LBB150_3223
; %bb.3220:
	s_cmp_gt_i32 s0, 3
	s_cbranch_scc0 .LBB150_3224
; %bb.3221:
	global_load_b64 v[18:19], v[6:7], off
	s_mov_b32 s15, 0
	s_wait_loadcnt 0x0
	v_xor_b32_e32 v1, v18, v19
	v_cls_i32_e32 v3, v19
	s_delay_alu instid0(VALU_DEP_2) | instskip(NEXT) | instid1(VALU_DEP_1)
	v_ashrrev_i32_e32 v1, 31, v1
	v_add_nc_u32_e32 v1, 32, v1
	s_delay_alu instid0(VALU_DEP_1) | instskip(NEXT) | instid1(VALU_DEP_1)
	v_add_min_u32_e64 v1, v3, -1, v1
	v_lshlrev_b64_e32 v[18:19], v1, v[18:19]
	v_sub_nc_u32_e32 v1, 32, v1
	s_delay_alu instid0(VALU_DEP_2) | instskip(NEXT) | instid1(VALU_DEP_1)
	v_min_u32_e32 v3, 1, v18
	v_or_b32_e32 v3, v19, v3
	s_delay_alu instid0(VALU_DEP_1) | instskip(NEXT) | instid1(VALU_DEP_1)
	v_cvt_f32_i32_e32 v3, v3
	v_ldexp_f32 v17, v3, v1
	s_branch .LBB150_3225
.LBB150_3222:
	s_mov_b32 s15, -1
                                        ; implicit-def: $vgpr17
	s_branch .LBB150_3231
.LBB150_3223:
	s_mov_b32 s15, -1
                                        ; implicit-def: $vgpr17
	s_branch .LBB150_3228
.LBB150_3224:
	s_mov_b32 s15, -1
                                        ; implicit-def: $vgpr17
.LBB150_3225:
	s_delay_alu instid0(SALU_CYCLE_1)
	s_and_not1_b32 vcc_lo, exec_lo, s15
	s_cbranch_vccnz .LBB150_3227
; %bb.3226:
	global_load_b32 v1, v[6:7], off
	s_wait_loadcnt 0x0
	v_cvt_f32_i32_e32 v17, v1
.LBB150_3227:
	s_mov_b32 s15, 0
.LBB150_3228:
	s_delay_alu instid0(SALU_CYCLE_1)
	s_and_not1_b32 vcc_lo, exec_lo, s15
	s_cbranch_vccnz .LBB150_3230
; %bb.3229:
	global_load_i16 v1, v[6:7], off
	s_wait_loadcnt 0x0
	v_cvt_f32_i32_e32 v17, v1
.LBB150_3230:
	s_mov_b32 s15, 0
.LBB150_3231:
	s_delay_alu instid0(SALU_CYCLE_1)
	s_and_not1_b32 vcc_lo, exec_lo, s15
	s_cbranch_vccnz .LBB150_3237
; %bb.3232:
	s_cmp_gt_i32 s0, 0
	s_mov_b32 s15, 0
	s_cbranch_scc0 .LBB150_3234
; %bb.3233:
	global_load_i8 v1, v[6:7], off
	s_wait_loadcnt 0x0
	v_cvt_f32_i32_e32 v17, v1
	s_branch .LBB150_3235
.LBB150_3234:
	s_mov_b32 s15, -1
                                        ; implicit-def: $vgpr17
.LBB150_3235:
	s_delay_alu instid0(SALU_CYCLE_1)
	s_and_not1_b32 vcc_lo, exec_lo, s15
	s_cbranch_vccnz .LBB150_3237
; %bb.3236:
	global_load_u8 v1, v[6:7], off
	s_wait_loadcnt 0x0
	v_cvt_f32_ubyte0_e32 v17, v1
.LBB150_3237:
	s_mov_b32 s21, -1
.LBB150_3238:
	s_delay_alu instid0(SALU_CYCLE_1)
	s_and_not1_b32 vcc_lo, exec_lo, s21
	s_cbranch_vccnz .LBB150_4065
; %bb.3239:
	v_add_nc_u32_e32 v0, s1, v0
	s_cmp_lt_i32 s17, 11
	s_delay_alu instid0(VALU_DEP_1) | instskip(NEXT) | instid1(VALU_DEP_1)
	v_ashrrev_i32_e32 v1, 31, v0
	v_add_nc_u64_e32 v[0:1], s[6:7], v[0:1]
	s_cbranch_scc1 .LBB150_3246
; %bb.3240:
	s_and_b32 s1, 0xffff, s17
	s_mov_b32 s7, 0
	s_cmp_gt_i32 s1, 25
	s_cbranch_scc0 .LBB150_3247
; %bb.3241:
	s_cmp_gt_i32 s1, 28
	s_cbranch_scc0 .LBB150_3248
; %bb.3242:
	;; [unrolled: 3-line block ×4, first 2 shown]
	s_cmp_eq_u32 s1, 46
	s_mov_b32 s20, 0
	s_cbranch_scc0 .LBB150_3252
; %bb.3245:
	global_load_b32 v3, v[0:1], off
	s_mov_b32 s6, 0
	s_mov_b32 s15, -1
	s_wait_loadcnt 0x0
	s_wait_xcnt 0x1
	v_lshlrev_b32_e32 v6, 16, v3
	s_branch .LBB150_3254
.LBB150_3246:
	s_mov_b32 s1, -1
	s_mov_b32 s15, 0
                                        ; implicit-def: $vgpr6
	s_branch .LBB150_3320
.LBB150_3247:
	s_mov_b32 s20, -1
	s_mov_b32 s15, 0
	s_mov_b32 s6, 0
                                        ; implicit-def: $vgpr6
	s_branch .LBB150_3283
.LBB150_3248:
	s_mov_b32 s20, -1
	s_mov_b32 s15, 0
	s_mov_b32 s6, 0
                                        ; implicit-def: $vgpr6
	s_branch .LBB150_3264
.LBB150_3249:
	s_mov_b32 s20, -1
	s_mov_b32 s15, 0
	s_mov_b32 s6, 0
                                        ; implicit-def: $vgpr6
	s_branch .LBB150_3259
.LBB150_3250:
	s_or_b32 s16, s16, exec_lo
	s_trap 2
	s_cbranch_execz .LBB150_3187
	s_branch .LBB150_3188
.LBB150_3251:
	s_mov_b32 s20, -1
	s_mov_b32 s15, 0
	s_mov_b32 s6, 0
	s_branch .LBB150_3253
.LBB150_3252:
	s_mov_b32 s6, -1
	s_mov_b32 s15, 0
.LBB150_3253:
                                        ; implicit-def: $vgpr6
.LBB150_3254:
	s_and_b32 vcc_lo, exec_lo, s20
	s_cbranch_vccz .LBB150_3258
; %bb.3255:
	s_cmp_eq_u32 s1, 44
	s_cbranch_scc0 .LBB150_3257
; %bb.3256:
	global_load_u8 v3, v[0:1], off
	s_mov_b32 s6, 0
	s_mov_b32 s15, -1
	s_wait_loadcnt 0x0
	v_lshlrev_b32_e32 v5, 23, v3
	v_cmp_ne_u32_e32 vcc_lo, 0xff, v3
	s_delay_alu instid0(VALU_DEP_2) | instskip(SKIP_2) | instid1(VALU_DEP_2)
	v_cndmask_b32_e32 v5, 0x7f800001, v5, vcc_lo
	v_cmp_ne_u32_e32 vcc_lo, 0, v3
	s_wait_xcnt 0x1
	v_cndmask_b32_e32 v6, 0x400000, v5, vcc_lo
	s_branch .LBB150_3258
.LBB150_3257:
	s_mov_b32 s6, -1
                                        ; implicit-def: $vgpr6
.LBB150_3258:
	s_mov_b32 s20, 0
.LBB150_3259:
	s_delay_alu instid0(SALU_CYCLE_1)
	s_and_b32 vcc_lo, exec_lo, s20
	s_cbranch_vccz .LBB150_3263
; %bb.3260:
	s_cmp_eq_u32 s1, 29
	s_cbranch_scc0 .LBB150_3262
; %bb.3261:
	global_load_b64 v[6:7], v[0:1], off
	s_mov_b32 s6, 0
	s_mov_b32 s15, -1
	s_mov_b32 s20, 0
	s_wait_loadcnt 0x0
	v_clz_i32_u32_e32 v3, v7
	s_delay_alu instid0(VALU_DEP_1) | instskip(NEXT) | instid1(VALU_DEP_1)
	v_min_u32_e32 v3, 32, v3
	v_lshlrev_b64_e32 v[6:7], v3, v[6:7]
	v_sub_nc_u32_e32 v3, 32, v3
	s_delay_alu instid0(VALU_DEP_2) | instskip(NEXT) | instid1(VALU_DEP_1)
	v_min_u32_e32 v5, 1, v6
	v_or_b32_e32 v5, v7, v5
	s_delay_alu instid0(VALU_DEP_1) | instskip(NEXT) | instid1(VALU_DEP_1)
	v_cvt_f32_u32_e32 v5, v5
	v_ldexp_f32 v6, v5, v3
	s_branch .LBB150_3264
.LBB150_3262:
	s_mov_b32 s6, -1
                                        ; implicit-def: $vgpr6
.LBB150_3263:
	s_mov_b32 s20, 0
.LBB150_3264:
	s_delay_alu instid0(SALU_CYCLE_1)
	s_and_b32 vcc_lo, exec_lo, s20
	s_cbranch_vccz .LBB150_3282
; %bb.3265:
	s_cmp_lt_i32 s1, 27
	s_cbranch_scc1 .LBB150_3268
; %bb.3266:
	s_cmp_gt_i32 s1, 27
	s_cbranch_scc0 .LBB150_3269
; %bb.3267:
	global_load_b32 v3, v[0:1], off
	s_mov_b32 s15, 0
	s_wait_loadcnt 0x0
	s_wait_xcnt 0x1
	v_cvt_f32_u32_e32 v6, v3
	s_branch .LBB150_3270
.LBB150_3268:
	s_mov_b32 s15, -1
                                        ; implicit-def: $vgpr6
	s_branch .LBB150_3273
.LBB150_3269:
	s_mov_b32 s15, -1
                                        ; implicit-def: $vgpr6
.LBB150_3270:
	s_delay_alu instid0(SALU_CYCLE_1)
	s_and_not1_b32 vcc_lo, exec_lo, s15
	s_cbranch_vccnz .LBB150_3272
; %bb.3271:
	global_load_u16 v3, v[0:1], off
	s_wait_loadcnt 0x0
	s_wait_xcnt 0x1
	v_cvt_f32_u32_e32 v6, v3
.LBB150_3272:
	s_mov_b32 s15, 0
.LBB150_3273:
	s_delay_alu instid0(SALU_CYCLE_1)
	s_and_not1_b32 vcc_lo, exec_lo, s15
	s_cbranch_vccnz .LBB150_3281
; %bb.3274:
	global_load_u8 v3, v[0:1], off
	s_mov_b32 s15, 0
	s_mov_b32 s20, exec_lo
	s_wait_loadcnt 0x0
	v_cmpx_lt_i16_e32 0x7f, v3
	s_xor_b32 s20, exec_lo, s20
	s_cbranch_execz .LBB150_3295
; %bb.3275:
	s_mov_b32 s15, -1
	s_mov_b32 s21, exec_lo
	v_cmpx_eq_u16_e32 0x80, v3
; %bb.3276:
	s_xor_b32 s15, exec_lo, -1
; %bb.3277:
	s_or_b32 exec_lo, exec_lo, s21
	s_delay_alu instid0(SALU_CYCLE_1)
	s_and_b32 s15, s15, exec_lo
	s_or_saveexec_b32 s20, s20
	v_mov_b32_e32 v6, 0x7f800001
	s_xor_b32 exec_lo, exec_lo, s20
	s_cbranch_execnz .LBB150_3296
.LBB150_3278:
	s_or_b32 exec_lo, exec_lo, s20
	s_and_saveexec_b32 s20, s15
	s_cbranch_execz .LBB150_3280
.LBB150_3279:
	v_and_b32_e32 v5, 0xffff, v3
	s_delay_alu instid0(VALU_DEP_1) | instskip(SKIP_1) | instid1(VALU_DEP_2)
	v_and_b32_e32 v6, 7, v5
	v_bfe_u32 v19, v5, 3, 4
	v_clz_i32_u32_e32 v7, v6
	s_delay_alu instid0(VALU_DEP_2) | instskip(NEXT) | instid1(VALU_DEP_2)
	v_cmp_eq_u32_e32 vcc_lo, 0, v19
	v_min_u32_e32 v7, 32, v7
	s_delay_alu instid0(VALU_DEP_1) | instskip(NEXT) | instid1(VALU_DEP_1)
	v_subrev_nc_u32_e32 v18, 28, v7
	v_dual_lshlrev_b32 v5, v18, v5 :: v_dual_sub_nc_u32 v7, 29, v7
	s_delay_alu instid0(VALU_DEP_1) | instskip(NEXT) | instid1(VALU_DEP_1)
	v_dual_lshlrev_b32 v3, 24, v3 :: v_dual_bitop2_b32 v5, 7, v5 bitop3:0x40
	v_dual_cndmask_b32 v5, v6, v5, vcc_lo :: v_dual_cndmask_b32 v7, v19, v7, vcc_lo
	s_delay_alu instid0(VALU_DEP_2) | instskip(NEXT) | instid1(VALU_DEP_2)
	v_and_b32_e32 v3, 0x80000000, v3
	v_lshlrev_b32_e32 v5, 20, v5
	s_delay_alu instid0(VALU_DEP_3) | instskip(NEXT) | instid1(VALU_DEP_1)
	v_lshl_add_u32 v6, v7, 23, 0x3b800000
	v_or3_b32 v6, v3, v6, v5
.LBB150_3280:
	s_or_b32 exec_lo, exec_lo, s20
.LBB150_3281:
	s_mov_b32 s15, -1
.LBB150_3282:
	s_mov_b32 s20, 0
.LBB150_3283:
	s_delay_alu instid0(SALU_CYCLE_1)
	s_and_b32 vcc_lo, exec_lo, s20
	s_cbranch_vccz .LBB150_3316
; %bb.3284:
	s_cmp_gt_i32 s1, 22
	s_cbranch_scc0 .LBB150_3294
; %bb.3285:
	s_cmp_lt_i32 s1, 24
	s_cbranch_scc1 .LBB150_3297
; %bb.3286:
	s_cmp_gt_i32 s1, 24
	s_cbranch_scc0 .LBB150_3298
; %bb.3287:
	global_load_u8 v3, v[0:1], off
	s_mov_b32 s15, exec_lo
	s_wait_loadcnt 0x0
	v_cmpx_lt_i16_e32 0x7f, v3
	s_xor_b32 s15, exec_lo, s15
	s_cbranch_execz .LBB150_3310
; %bb.3288:
	s_mov_b32 s7, -1
	s_mov_b32 s20, exec_lo
	v_cmpx_eq_u16_e32 0x80, v3
; %bb.3289:
	s_xor_b32 s7, exec_lo, -1
; %bb.3290:
	s_or_b32 exec_lo, exec_lo, s20
	s_delay_alu instid0(SALU_CYCLE_1)
	s_and_b32 s7, s7, exec_lo
	s_or_saveexec_b32 s15, s15
	v_mov_b32_e32 v6, 0x7f800001
	s_xor_b32 exec_lo, exec_lo, s15
	s_cbranch_execnz .LBB150_3311
.LBB150_3291:
	s_or_b32 exec_lo, exec_lo, s15
	s_and_saveexec_b32 s15, s7
	s_cbranch_execz .LBB150_3293
.LBB150_3292:
	v_and_b32_e32 v5, 0xffff, v3
	s_delay_alu instid0(VALU_DEP_1) | instskip(SKIP_1) | instid1(VALU_DEP_2)
	v_and_b32_e32 v6, 3, v5
	v_bfe_u32 v19, v5, 2, 5
	v_clz_i32_u32_e32 v7, v6
	s_delay_alu instid0(VALU_DEP_2) | instskip(NEXT) | instid1(VALU_DEP_2)
	v_cmp_eq_u32_e32 vcc_lo, 0, v19
	v_min_u32_e32 v7, 32, v7
	s_delay_alu instid0(VALU_DEP_1) | instskip(NEXT) | instid1(VALU_DEP_1)
	v_subrev_nc_u32_e32 v18, 29, v7
	v_dual_lshlrev_b32 v5, v18, v5 :: v_dual_sub_nc_u32 v7, 30, v7
	s_delay_alu instid0(VALU_DEP_1) | instskip(NEXT) | instid1(VALU_DEP_1)
	v_dual_lshlrev_b32 v3, 24, v3 :: v_dual_bitop2_b32 v5, 3, v5 bitop3:0x40
	v_dual_cndmask_b32 v5, v6, v5, vcc_lo :: v_dual_cndmask_b32 v7, v19, v7, vcc_lo
	s_delay_alu instid0(VALU_DEP_2) | instskip(NEXT) | instid1(VALU_DEP_2)
	v_and_b32_e32 v3, 0x80000000, v3
	v_lshlrev_b32_e32 v5, 21, v5
	s_delay_alu instid0(VALU_DEP_3) | instskip(NEXT) | instid1(VALU_DEP_1)
	v_lshl_add_u32 v6, v7, 23, 0x37800000
	v_or3_b32 v6, v3, v6, v5
.LBB150_3293:
	s_or_b32 exec_lo, exec_lo, s15
	s_mov_b32 s7, 0
	s_branch .LBB150_3299
.LBB150_3294:
	s_mov_b32 s7, -1
                                        ; implicit-def: $vgpr6
	s_branch .LBB150_3305
.LBB150_3295:
	s_or_saveexec_b32 s20, s20
	v_mov_b32_e32 v6, 0x7f800001
	s_xor_b32 exec_lo, exec_lo, s20
	s_cbranch_execz .LBB150_3278
.LBB150_3296:
	v_cmp_ne_u16_e32 vcc_lo, 0, v3
	v_mov_b32_e32 v6, 0
	s_and_not1_b32 s15, s15, exec_lo
	s_and_b32 s21, vcc_lo, exec_lo
	s_delay_alu instid0(SALU_CYCLE_1)
	s_or_b32 s15, s15, s21
	s_or_b32 exec_lo, exec_lo, s20
	s_and_saveexec_b32 s20, s15
	s_cbranch_execnz .LBB150_3279
	s_branch .LBB150_3280
.LBB150_3297:
	s_mov_b32 s7, -1
                                        ; implicit-def: $vgpr6
	s_branch .LBB150_3302
.LBB150_3298:
	s_mov_b32 s7, -1
                                        ; implicit-def: $vgpr6
.LBB150_3299:
	s_delay_alu instid0(SALU_CYCLE_1)
	s_and_b32 vcc_lo, exec_lo, s7
	s_cbranch_vccz .LBB150_3301
; %bb.3300:
	global_load_u8 v3, v[0:1], off
	s_wait_loadcnt 0x0
	v_lshlrev_b32_e32 v3, 24, v3
	s_delay_alu instid0(VALU_DEP_1) | instskip(SKIP_1) | instid1(VALU_DEP_1)
	v_and_b32_e32 v5, 0x7f000000, v3
	s_wait_xcnt 0x1
	v_clz_i32_u32_e32 v6, v5
	v_cmp_ne_u32_e32 vcc_lo, 0, v5
	v_add_nc_u32_e32 v18, 0x1000000, v5
	s_delay_alu instid0(VALU_DEP_3) | instskip(NEXT) | instid1(VALU_DEP_1)
	v_min_u32_e32 v6, 32, v6
	v_sub_nc_u32_e64 v6, v6, 4 clamp
	s_delay_alu instid0(VALU_DEP_1) | instskip(NEXT) | instid1(VALU_DEP_1)
	v_dual_lshlrev_b32 v7, v6, v5 :: v_dual_lshlrev_b32 v6, 23, v6
	v_lshrrev_b32_e32 v7, 4, v7
	s_delay_alu instid0(VALU_DEP_1) | instskip(SKIP_1) | instid1(VALU_DEP_2)
	v_sub_nc_u32_e32 v6, v7, v6
	v_ashrrev_i32_e32 v7, 8, v18
	v_add_nc_u32_e32 v6, 0x3c000000, v6
	s_delay_alu instid0(VALU_DEP_1) | instskip(NEXT) | instid1(VALU_DEP_1)
	v_and_or_b32 v6, 0x7f800000, v7, v6
	v_cndmask_b32_e32 v5, 0, v6, vcc_lo
	s_delay_alu instid0(VALU_DEP_1)
	v_and_or_b32 v6, 0x80000000, v3, v5
.LBB150_3301:
	s_mov_b32 s7, 0
.LBB150_3302:
	s_delay_alu instid0(SALU_CYCLE_1)
	s_and_not1_b32 vcc_lo, exec_lo, s7
	s_cbranch_vccnz .LBB150_3304
; %bb.3303:
	global_load_u8 v3, v[0:1], off
	s_wait_loadcnt 0x0
	v_lshlrev_b32_e32 v5, 25, v3
	v_lshlrev_b16 v3, 8, v3
	s_wait_xcnt 0x1
	s_delay_alu instid0(VALU_DEP_1) | instskip(NEXT) | instid1(VALU_DEP_3)
	v_and_or_b32 v7, 0x7f00, v3, 0.5
	v_lshrrev_b32_e32 v6, 4, v5
	v_bfe_i32 v3, v3, 0, 16
	s_delay_alu instid0(VALU_DEP_3) | instskip(NEXT) | instid1(VALU_DEP_3)
	v_add_f32_e32 v7, -0.5, v7
	v_or_b32_e32 v6, 0x70000000, v6
	s_delay_alu instid0(VALU_DEP_1) | instskip(SKIP_1) | instid1(VALU_DEP_2)
	v_mul_f32_e32 v6, 0x7800000, v6
	v_cmp_gt_u32_e32 vcc_lo, 0x8000000, v5
	v_cndmask_b32_e32 v5, v6, v7, vcc_lo
	s_delay_alu instid0(VALU_DEP_1)
	v_and_or_b32 v6, 0x80000000, v3, v5
.LBB150_3304:
	s_mov_b32 s7, 0
	s_mov_b32 s15, -1
.LBB150_3305:
	s_and_not1_b32 vcc_lo, exec_lo, s7
	s_mov_b32 s7, 0
	s_cbranch_vccnz .LBB150_3316
; %bb.3306:
	s_cmp_gt_i32 s1, 14
	s_cbranch_scc0 .LBB150_3309
; %bb.3307:
	s_cmp_eq_u32 s1, 15
	s_cbranch_scc0 .LBB150_3312
; %bb.3308:
	global_load_u16 v3, v[0:1], off
	s_mov_b32 s6, 0
	s_mov_b32 s15, -1
	s_wait_loadcnt 0x0
	s_wait_xcnt 0x1
	v_lshlrev_b32_e32 v6, 16, v3
	s_branch .LBB150_3314
.LBB150_3309:
	s_mov_b32 s7, -1
	s_branch .LBB150_3313
.LBB150_3310:
	s_or_saveexec_b32 s15, s15
	v_mov_b32_e32 v6, 0x7f800001
	s_xor_b32 exec_lo, exec_lo, s15
	s_cbranch_execz .LBB150_3291
.LBB150_3311:
	v_cmp_ne_u16_e32 vcc_lo, 0, v3
	v_mov_b32_e32 v6, 0
	s_and_not1_b32 s7, s7, exec_lo
	s_and_b32 s20, vcc_lo, exec_lo
	s_delay_alu instid0(SALU_CYCLE_1)
	s_or_b32 s7, s7, s20
	s_or_b32 exec_lo, exec_lo, s15
	s_and_saveexec_b32 s15, s7
	s_cbranch_execnz .LBB150_3292
	s_branch .LBB150_3293
.LBB150_3312:
	s_mov_b32 s6, -1
.LBB150_3313:
                                        ; implicit-def: $vgpr6
.LBB150_3314:
	s_and_b32 vcc_lo, exec_lo, s7
	s_mov_b32 s7, 0
	s_cbranch_vccz .LBB150_3316
; %bb.3315:
	s_cmp_lg_u32 s1, 11
	s_mov_b32 s7, -1
	s_cselect_b32 s6, -1, 0
.LBB150_3316:
	s_delay_alu instid0(SALU_CYCLE_1)
	s_and_b32 vcc_lo, exec_lo, s6
	s_cbranch_vccnz .LBB150_3381
; %bb.3317:
	s_and_not1_b32 vcc_lo, exec_lo, s7
	s_cbranch_vccnz .LBB150_3319
.LBB150_3318:
	global_load_u8 v3, v[0:1], off
	s_mov_b32 s15, -1
	s_wait_loadcnt 0x0
	v_cmp_ne_u16_e32 vcc_lo, 0, v3
	s_wait_xcnt 0x1
	v_cndmask_b32_e64 v6, 0, 1.0, vcc_lo
.LBB150_3319:
	s_mov_b32 s1, 0
.LBB150_3320:
	s_delay_alu instid0(SALU_CYCLE_1)
	s_and_b32 vcc_lo, exec_lo, s1
	s_cbranch_vccz .LBB150_3369
; %bb.3321:
	s_and_b32 s1, 0xffff, s17
	s_delay_alu instid0(SALU_CYCLE_1)
	s_cmp_lt_i32 s1, 5
	s_cbranch_scc1 .LBB150_3326
; %bb.3322:
	s_cmp_lt_i32 s1, 8
	s_cbranch_scc1 .LBB150_3327
; %bb.3323:
	s_cmp_lt_i32 s1, 9
	s_cbranch_scc1 .LBB150_3328
; %bb.3324:
	s_cmp_gt_i32 s1, 9
	s_cbranch_scc0 .LBB150_3329
; %bb.3325:
	global_load_b64 v[6:7], v[0:1], off
	s_mov_b32 s6, 0
	s_wait_loadcnt 0x0
	v_cvt_f32_f64_e32 v6, v[6:7]
	s_branch .LBB150_3330
.LBB150_3326:
	s_mov_b32 s6, -1
                                        ; implicit-def: $vgpr6
	s_branch .LBB150_3348
.LBB150_3327:
	s_mov_b32 s6, -1
                                        ; implicit-def: $vgpr6
	s_branch .LBB150_3336
.LBB150_3328:
	s_mov_b32 s6, -1
                                        ; implicit-def: $vgpr6
	s_branch .LBB150_3333
.LBB150_3329:
	s_mov_b32 s6, -1
                                        ; implicit-def: $vgpr6
.LBB150_3330:
	s_delay_alu instid0(SALU_CYCLE_1)
	s_and_not1_b32 vcc_lo, exec_lo, s6
	s_cbranch_vccnz .LBB150_3332
; %bb.3331:
	global_load_b32 v6, v[0:1], off
.LBB150_3332:
	s_mov_b32 s6, 0
.LBB150_3333:
	s_delay_alu instid0(SALU_CYCLE_1)
	s_and_not1_b32 vcc_lo, exec_lo, s6
	s_cbranch_vccnz .LBB150_3335
; %bb.3334:
	global_load_b32 v3, v[0:1], off
	s_wait_loadcnt 0x0
	s_wait_xcnt 0x1
	v_cvt_f32_f16_e32 v6, v3
.LBB150_3335:
	s_mov_b32 s6, 0
.LBB150_3336:
	s_delay_alu instid0(SALU_CYCLE_1)
	s_and_not1_b32 vcc_lo, exec_lo, s6
	s_cbranch_vccnz .LBB150_3347
; %bb.3337:
	s_cmp_lt_i32 s1, 6
	s_cbranch_scc1 .LBB150_3340
; %bb.3338:
	s_cmp_gt_i32 s1, 6
	s_cbranch_scc0 .LBB150_3341
; %bb.3339:
	s_wait_loadcnt 0x0
	global_load_b64 v[6:7], v[0:1], off
	s_mov_b32 s6, 0
	s_wait_loadcnt 0x0
	v_cvt_f32_f64_e32 v6, v[6:7]
	s_branch .LBB150_3342
.LBB150_3340:
	s_mov_b32 s6, -1
                                        ; implicit-def: $vgpr6
	s_branch .LBB150_3345
.LBB150_3341:
	s_mov_b32 s6, -1
                                        ; implicit-def: $vgpr6
.LBB150_3342:
	s_delay_alu instid0(SALU_CYCLE_1)
	s_and_not1_b32 vcc_lo, exec_lo, s6
	s_cbranch_vccnz .LBB150_3344
; %bb.3343:
	s_wait_loadcnt 0x0
	global_load_b32 v6, v[0:1], off
.LBB150_3344:
	s_mov_b32 s6, 0
.LBB150_3345:
	s_delay_alu instid0(SALU_CYCLE_1)
	s_and_not1_b32 vcc_lo, exec_lo, s6
	s_cbranch_vccnz .LBB150_3347
; %bb.3346:
	global_load_u16 v3, v[0:1], off
	s_wait_loadcnt 0x0
	s_wait_xcnt 0x1
	v_cvt_f32_f16_e32 v6, v3
.LBB150_3347:
	s_mov_b32 s6, 0
.LBB150_3348:
	s_delay_alu instid0(SALU_CYCLE_1)
	s_and_not1_b32 vcc_lo, exec_lo, s6
	s_cbranch_vccnz .LBB150_3368
; %bb.3349:
	s_cmp_lt_i32 s1, 2
	s_cbranch_scc1 .LBB150_3353
; %bb.3350:
	s_cmp_lt_i32 s1, 3
	s_cbranch_scc1 .LBB150_3354
; %bb.3351:
	s_cmp_gt_i32 s1, 3
	s_cbranch_scc0 .LBB150_3355
; %bb.3352:
	s_wait_loadcnt 0x0
	global_load_b64 v[6:7], v[0:1], off
	s_mov_b32 s6, 0
	s_wait_loadcnt 0x0
	v_xor_b32_e32 v3, v6, v7
	v_cls_i32_e32 v5, v7
	s_delay_alu instid0(VALU_DEP_2) | instskip(NEXT) | instid1(VALU_DEP_1)
	v_ashrrev_i32_e32 v3, 31, v3
	v_add_nc_u32_e32 v3, 32, v3
	s_delay_alu instid0(VALU_DEP_1) | instskip(NEXT) | instid1(VALU_DEP_1)
	v_add_min_u32_e64 v3, v5, -1, v3
	v_lshlrev_b64_e32 v[6:7], v3, v[6:7]
	v_sub_nc_u32_e32 v3, 32, v3
	s_delay_alu instid0(VALU_DEP_2) | instskip(NEXT) | instid1(VALU_DEP_1)
	v_min_u32_e32 v5, 1, v6
	v_or_b32_e32 v5, v7, v5
	s_delay_alu instid0(VALU_DEP_1) | instskip(NEXT) | instid1(VALU_DEP_1)
	v_cvt_f32_i32_e32 v5, v5
	v_ldexp_f32 v6, v5, v3
	s_branch .LBB150_3356
.LBB150_3353:
	s_mov_b32 s6, -1
                                        ; implicit-def: $vgpr6
	s_branch .LBB150_3362
.LBB150_3354:
	s_mov_b32 s6, -1
                                        ; implicit-def: $vgpr6
	s_branch .LBB150_3359
.LBB150_3355:
	s_mov_b32 s6, -1
                                        ; implicit-def: $vgpr6
.LBB150_3356:
	s_delay_alu instid0(SALU_CYCLE_1)
	s_and_not1_b32 vcc_lo, exec_lo, s6
	s_cbranch_vccnz .LBB150_3358
; %bb.3357:
	global_load_b32 v3, v[0:1], off
	s_wait_loadcnt 0x0
	s_wait_xcnt 0x1
	v_cvt_f32_i32_e32 v6, v3
.LBB150_3358:
	s_mov_b32 s6, 0
.LBB150_3359:
	s_delay_alu instid0(SALU_CYCLE_1)
	s_and_not1_b32 vcc_lo, exec_lo, s6
	s_cbranch_vccnz .LBB150_3361
; %bb.3360:
	global_load_i16 v3, v[0:1], off
	s_wait_loadcnt 0x0
	s_wait_xcnt 0x1
	v_cvt_f32_i32_e32 v6, v3
.LBB150_3361:
	s_mov_b32 s6, 0
.LBB150_3362:
	s_delay_alu instid0(SALU_CYCLE_1)
	s_and_not1_b32 vcc_lo, exec_lo, s6
	s_cbranch_vccnz .LBB150_3368
; %bb.3363:
	s_cmp_gt_i32 s1, 0
	s_mov_b32 s1, 0
	s_cbranch_scc0 .LBB150_3365
; %bb.3364:
	global_load_i8 v3, v[0:1], off
	s_wait_loadcnt 0x0
	s_wait_xcnt 0x1
	v_cvt_f32_i32_e32 v6, v3
	s_branch .LBB150_3366
.LBB150_3365:
	s_mov_b32 s1, -1
                                        ; implicit-def: $vgpr6
.LBB150_3366:
	s_delay_alu instid0(SALU_CYCLE_1)
	s_and_not1_b32 vcc_lo, exec_lo, s1
	s_cbranch_vccnz .LBB150_3368
; %bb.3367:
	global_load_u8 v0, v[0:1], off
	s_wait_loadcnt 0x0
	v_cvt_f32_ubyte0_e32 v6, v0
.LBB150_3368:
	s_mov_b32 s15, -1
.LBB150_3369:
	s_delay_alu instid0(SALU_CYCLE_1)
	s_and_not1_b32 vcc_lo, exec_lo, s15
	s_cbranch_vccnz .LBB150_4065
; %bb.3370:
	s_wait_xcnt 0x0
	v_add_nc_u32_e32 v0, s13, v2
	s_cmp_lt_i32 s3, 11
	s_delay_alu instid0(VALU_DEP_1) | instskip(NEXT) | instid1(VALU_DEP_1)
	v_ashrrev_i32_e32 v1, 31, v0
	v_add_nc_u64_e32 v[0:1], s[8:9], v[0:1]
	s_cbranch_scc1 .LBB150_3377
; %bb.3371:
	s_and_b32 s1, 0xffff, s3
	s_mov_b32 s7, 0
	s_cmp_gt_i32 s1, 25
	s_cbranch_scc0 .LBB150_3378
; %bb.3372:
	s_cmp_gt_i32 s1, 28
	s_cbranch_scc0 .LBB150_3379
; %bb.3373:
	;; [unrolled: 3-line block ×4, first 2 shown]
	s_cmp_eq_u32 s1, 46
	s_mov_b32 s9, 0
	s_cbranch_scc0 .LBB150_3383
; %bb.3376:
	global_load_b32 v2, v[0:1], off
	s_mov_b32 s6, 0
	s_mov_b32 s8, -1
	s_wait_loadcnt 0x0
	v_lshlrev_b32_e32 v7, 16, v2
	s_branch .LBB150_3385
.LBB150_3377:
	s_mov_b32 s1, -1
	s_mov_b32 s8, 0
                                        ; implicit-def: $vgpr7
	s_branch .LBB150_3451
.LBB150_3378:
	s_mov_b32 s9, -1
	s_mov_b32 s8, 0
	s_mov_b32 s6, 0
                                        ; implicit-def: $vgpr7
	s_branch .LBB150_3414
.LBB150_3379:
	s_mov_b32 s9, -1
	s_mov_b32 s8, 0
	s_mov_b32 s6, 0
                                        ; implicit-def: $vgpr7
	s_branch .LBB150_3395
.LBB150_3380:
	s_mov_b32 s9, -1
	s_mov_b32 s8, 0
	s_mov_b32 s6, 0
                                        ; implicit-def: $vgpr7
	s_branch .LBB150_3390
.LBB150_3381:
	s_or_b32 s16, s16, exec_lo
	s_trap 2
	s_cbranch_execz .LBB150_3318
	s_branch .LBB150_3319
.LBB150_3382:
	s_mov_b32 s9, -1
	s_mov_b32 s8, 0
	s_mov_b32 s6, 0
	s_branch .LBB150_3384
.LBB150_3383:
	s_mov_b32 s6, -1
	s_mov_b32 s8, 0
.LBB150_3384:
                                        ; implicit-def: $vgpr7
.LBB150_3385:
	s_and_b32 vcc_lo, exec_lo, s9
	s_cbranch_vccz .LBB150_3389
; %bb.3386:
	s_cmp_eq_u32 s1, 44
	s_cbranch_scc0 .LBB150_3388
; %bb.3387:
	global_load_u8 v2, v[0:1], off
	s_mov_b32 s6, 0
	s_mov_b32 s8, -1
	s_wait_loadcnt 0x0
	v_lshlrev_b32_e32 v3, 23, v2
	v_cmp_ne_u32_e32 vcc_lo, 0xff, v2
	s_delay_alu instid0(VALU_DEP_2) | instskip(SKIP_1) | instid1(VALU_DEP_2)
	v_cndmask_b32_e32 v3, 0x7f800001, v3, vcc_lo
	v_cmp_ne_u32_e32 vcc_lo, 0, v2
	v_cndmask_b32_e32 v7, 0x400000, v3, vcc_lo
	s_branch .LBB150_3389
.LBB150_3388:
	s_mov_b32 s6, -1
                                        ; implicit-def: $vgpr7
.LBB150_3389:
	s_mov_b32 s9, 0
.LBB150_3390:
	s_delay_alu instid0(SALU_CYCLE_1)
	s_and_b32 vcc_lo, exec_lo, s9
	s_cbranch_vccz .LBB150_3394
; %bb.3391:
	s_cmp_eq_u32 s1, 29
	s_cbranch_scc0 .LBB150_3393
; %bb.3392:
	global_load_b64 v[2:3], v[0:1], off
	s_mov_b32 s6, 0
	s_mov_b32 s8, -1
	s_mov_b32 s9, 0
	s_wait_loadcnt 0x0
	v_clz_i32_u32_e32 v5, v3
	s_delay_alu instid0(VALU_DEP_1) | instskip(NEXT) | instid1(VALU_DEP_1)
	v_min_u32_e32 v5, 32, v5
	v_lshlrev_b64_e32 v[2:3], v5, v[2:3]
	s_delay_alu instid0(VALU_DEP_1) | instskip(NEXT) | instid1(VALU_DEP_1)
	v_min_u32_e32 v2, 1, v2
	v_dual_sub_nc_u32 v3, 32, v5 :: v_dual_bitop2_b32 v2, v3, v2 bitop3:0x54
	s_delay_alu instid0(VALU_DEP_1) | instskip(NEXT) | instid1(VALU_DEP_1)
	v_cvt_f32_u32_e32 v2, v2
	v_ldexp_f32 v7, v2, v3
	s_branch .LBB150_3395
.LBB150_3393:
	s_mov_b32 s6, -1
                                        ; implicit-def: $vgpr7
.LBB150_3394:
	s_mov_b32 s9, 0
.LBB150_3395:
	s_delay_alu instid0(SALU_CYCLE_1)
	s_and_b32 vcc_lo, exec_lo, s9
	s_cbranch_vccz .LBB150_3413
; %bb.3396:
	s_cmp_lt_i32 s1, 27
	s_cbranch_scc1 .LBB150_3399
; %bb.3397:
	s_cmp_gt_i32 s1, 27
	s_cbranch_scc0 .LBB150_3400
; %bb.3398:
	global_load_b32 v2, v[0:1], off
	s_mov_b32 s8, 0
	s_wait_loadcnt 0x0
	v_cvt_f32_u32_e32 v7, v2
	s_branch .LBB150_3401
.LBB150_3399:
	s_mov_b32 s8, -1
                                        ; implicit-def: $vgpr7
	s_branch .LBB150_3404
.LBB150_3400:
	s_mov_b32 s8, -1
                                        ; implicit-def: $vgpr7
.LBB150_3401:
	s_delay_alu instid0(SALU_CYCLE_1)
	s_and_not1_b32 vcc_lo, exec_lo, s8
	s_cbranch_vccnz .LBB150_3403
; %bb.3402:
	global_load_u16 v2, v[0:1], off
	s_wait_loadcnt 0x0
	v_cvt_f32_u32_e32 v7, v2
.LBB150_3403:
	s_mov_b32 s8, 0
.LBB150_3404:
	s_delay_alu instid0(SALU_CYCLE_1)
	s_and_not1_b32 vcc_lo, exec_lo, s8
	s_cbranch_vccnz .LBB150_3412
; %bb.3405:
	global_load_u8 v2, v[0:1], off
	s_mov_b32 s8, 0
	s_mov_b32 s9, exec_lo
	s_wait_loadcnt 0x0
	v_cmpx_lt_i16_e32 0x7f, v2
	s_xor_b32 s9, exec_lo, s9
	s_cbranch_execz .LBB150_3426
; %bb.3406:
	s_mov_b32 s8, -1
	s_mov_b32 s13, exec_lo
	v_cmpx_eq_u16_e32 0x80, v2
; %bb.3407:
	s_xor_b32 s8, exec_lo, -1
; %bb.3408:
	s_or_b32 exec_lo, exec_lo, s13
	s_delay_alu instid0(SALU_CYCLE_1)
	s_and_b32 s8, s8, exec_lo
	s_or_saveexec_b32 s9, s9
	v_mov_b32_e32 v7, 0x7f800001
	s_xor_b32 exec_lo, exec_lo, s9
	s_cbranch_execnz .LBB150_3427
.LBB150_3409:
	s_or_b32 exec_lo, exec_lo, s9
	s_and_saveexec_b32 s9, s8
	s_cbranch_execz .LBB150_3411
.LBB150_3410:
	v_and_b32_e32 v3, 0xffff, v2
	s_delay_alu instid0(VALU_DEP_1) | instskip(SKIP_1) | instid1(VALU_DEP_2)
	v_dual_lshlrev_b32 v2, 24, v2 :: v_dual_bitop2_b32 v5, 7, v3 bitop3:0x40
	v_bfe_u32 v19, v3, 3, 4
	v_and_b32_e32 v2, 0x80000000, v2
	s_delay_alu instid0(VALU_DEP_3) | instskip(NEXT) | instid1(VALU_DEP_3)
	v_clz_i32_u32_e32 v7, v5
	v_cmp_eq_u32_e32 vcc_lo, 0, v19
	s_delay_alu instid0(VALU_DEP_2) | instskip(NEXT) | instid1(VALU_DEP_1)
	v_min_u32_e32 v7, 32, v7
	v_subrev_nc_u32_e32 v18, 28, v7
	v_sub_nc_u32_e32 v7, 29, v7
	s_delay_alu instid0(VALU_DEP_2) | instskip(NEXT) | instid1(VALU_DEP_2)
	v_lshlrev_b32_e32 v3, v18, v3
	v_cndmask_b32_e32 v7, v19, v7, vcc_lo
	s_delay_alu instid0(VALU_DEP_2) | instskip(NEXT) | instid1(VALU_DEP_1)
	v_and_b32_e32 v3, 7, v3
	v_cndmask_b32_e32 v3, v5, v3, vcc_lo
	s_delay_alu instid0(VALU_DEP_3) | instskip(NEXT) | instid1(VALU_DEP_2)
	v_lshl_add_u32 v5, v7, 23, 0x3b800000
	v_lshlrev_b32_e32 v3, 20, v3
	s_delay_alu instid0(VALU_DEP_1)
	v_or3_b32 v7, v2, v5, v3
.LBB150_3411:
	s_or_b32 exec_lo, exec_lo, s9
.LBB150_3412:
	s_mov_b32 s8, -1
.LBB150_3413:
	s_mov_b32 s9, 0
.LBB150_3414:
	s_delay_alu instid0(SALU_CYCLE_1)
	s_and_b32 vcc_lo, exec_lo, s9
	s_cbranch_vccz .LBB150_3447
; %bb.3415:
	s_cmp_gt_i32 s1, 22
	s_cbranch_scc0 .LBB150_3425
; %bb.3416:
	s_cmp_lt_i32 s1, 24
	s_cbranch_scc1 .LBB150_3428
; %bb.3417:
	s_cmp_gt_i32 s1, 24
	s_cbranch_scc0 .LBB150_3429
; %bb.3418:
	global_load_u8 v2, v[0:1], off
	s_mov_b32 s8, exec_lo
	s_wait_loadcnt 0x0
	v_cmpx_lt_i16_e32 0x7f, v2
	s_xor_b32 s8, exec_lo, s8
	s_cbranch_execz .LBB150_3441
; %bb.3419:
	s_mov_b32 s7, -1
	s_mov_b32 s9, exec_lo
	v_cmpx_eq_u16_e32 0x80, v2
; %bb.3420:
	s_xor_b32 s7, exec_lo, -1
; %bb.3421:
	s_or_b32 exec_lo, exec_lo, s9
	s_delay_alu instid0(SALU_CYCLE_1)
	s_and_b32 s7, s7, exec_lo
	s_or_saveexec_b32 s8, s8
	v_mov_b32_e32 v7, 0x7f800001
	s_xor_b32 exec_lo, exec_lo, s8
	s_cbranch_execnz .LBB150_3442
.LBB150_3422:
	s_or_b32 exec_lo, exec_lo, s8
	s_and_saveexec_b32 s8, s7
	s_cbranch_execz .LBB150_3424
.LBB150_3423:
	v_and_b32_e32 v3, 0xffff, v2
	s_delay_alu instid0(VALU_DEP_1) | instskip(SKIP_1) | instid1(VALU_DEP_2)
	v_dual_lshlrev_b32 v2, 24, v2 :: v_dual_bitop2_b32 v5, 3, v3 bitop3:0x40
	v_bfe_u32 v19, v3, 2, 5
	v_and_b32_e32 v2, 0x80000000, v2
	s_delay_alu instid0(VALU_DEP_3) | instskip(NEXT) | instid1(VALU_DEP_3)
	v_clz_i32_u32_e32 v7, v5
	v_cmp_eq_u32_e32 vcc_lo, 0, v19
	s_delay_alu instid0(VALU_DEP_2) | instskip(NEXT) | instid1(VALU_DEP_1)
	v_min_u32_e32 v7, 32, v7
	v_subrev_nc_u32_e32 v18, 29, v7
	v_sub_nc_u32_e32 v7, 30, v7
	s_delay_alu instid0(VALU_DEP_2) | instskip(NEXT) | instid1(VALU_DEP_2)
	v_lshlrev_b32_e32 v3, v18, v3
	v_cndmask_b32_e32 v7, v19, v7, vcc_lo
	s_delay_alu instid0(VALU_DEP_2) | instskip(NEXT) | instid1(VALU_DEP_1)
	v_and_b32_e32 v3, 3, v3
	v_cndmask_b32_e32 v3, v5, v3, vcc_lo
	s_delay_alu instid0(VALU_DEP_3) | instskip(NEXT) | instid1(VALU_DEP_2)
	v_lshl_add_u32 v5, v7, 23, 0x37800000
	v_lshlrev_b32_e32 v3, 21, v3
	s_delay_alu instid0(VALU_DEP_1)
	v_or3_b32 v7, v2, v5, v3
.LBB150_3424:
	s_or_b32 exec_lo, exec_lo, s8
	s_mov_b32 s7, 0
	s_branch .LBB150_3430
.LBB150_3425:
	s_mov_b32 s7, -1
                                        ; implicit-def: $vgpr7
	s_branch .LBB150_3436
.LBB150_3426:
	s_or_saveexec_b32 s9, s9
	v_mov_b32_e32 v7, 0x7f800001
	s_xor_b32 exec_lo, exec_lo, s9
	s_cbranch_execz .LBB150_3409
.LBB150_3427:
	v_cmp_ne_u16_e32 vcc_lo, 0, v2
	v_mov_b32_e32 v7, 0
	s_and_not1_b32 s8, s8, exec_lo
	s_and_b32 s13, vcc_lo, exec_lo
	s_delay_alu instid0(SALU_CYCLE_1)
	s_or_b32 s8, s8, s13
	s_or_b32 exec_lo, exec_lo, s9
	s_and_saveexec_b32 s9, s8
	s_cbranch_execnz .LBB150_3410
	s_branch .LBB150_3411
.LBB150_3428:
	s_mov_b32 s7, -1
                                        ; implicit-def: $vgpr7
	s_branch .LBB150_3433
.LBB150_3429:
	s_mov_b32 s7, -1
                                        ; implicit-def: $vgpr7
.LBB150_3430:
	s_delay_alu instid0(SALU_CYCLE_1)
	s_and_b32 vcc_lo, exec_lo, s7
	s_cbranch_vccz .LBB150_3432
; %bb.3431:
	global_load_u8 v2, v[0:1], off
	s_wait_loadcnt 0x0
	v_lshlrev_b32_e32 v2, 24, v2
	s_delay_alu instid0(VALU_DEP_1) | instskip(NEXT) | instid1(VALU_DEP_1)
	v_and_b32_e32 v3, 0x7f000000, v2
	v_clz_i32_u32_e32 v5, v3
	v_cmp_ne_u32_e32 vcc_lo, 0, v3
	v_add_nc_u32_e32 v18, 0x1000000, v3
	s_delay_alu instid0(VALU_DEP_3) | instskip(NEXT) | instid1(VALU_DEP_1)
	v_min_u32_e32 v5, 32, v5
	v_sub_nc_u32_e64 v5, v5, 4 clamp
	s_delay_alu instid0(VALU_DEP_1) | instskip(NEXT) | instid1(VALU_DEP_1)
	v_dual_lshlrev_b32 v7, v5, v3 :: v_dual_lshlrev_b32 v5, 23, v5
	v_lshrrev_b32_e32 v7, 4, v7
	s_delay_alu instid0(VALU_DEP_1) | instskip(NEXT) | instid1(VALU_DEP_1)
	v_dual_sub_nc_u32 v5, v7, v5 :: v_dual_ashrrev_i32 v7, 8, v18
	v_add_nc_u32_e32 v5, 0x3c000000, v5
	s_delay_alu instid0(VALU_DEP_1) | instskip(NEXT) | instid1(VALU_DEP_1)
	v_and_or_b32 v5, 0x7f800000, v7, v5
	v_cndmask_b32_e32 v3, 0, v5, vcc_lo
	s_delay_alu instid0(VALU_DEP_1)
	v_and_or_b32 v7, 0x80000000, v2, v3
.LBB150_3432:
	s_mov_b32 s7, 0
.LBB150_3433:
	s_delay_alu instid0(SALU_CYCLE_1)
	s_and_not1_b32 vcc_lo, exec_lo, s7
	s_cbranch_vccnz .LBB150_3435
; %bb.3434:
	global_load_u8 v2, v[0:1], off
	s_wait_loadcnt 0x0
	v_lshlrev_b32_e32 v3, 25, v2
	v_lshlrev_b16 v2, 8, v2
	s_delay_alu instid0(VALU_DEP_1) | instskip(SKIP_1) | instid1(VALU_DEP_2)
	v_and_or_b32 v7, 0x7f00, v2, 0.5
	v_bfe_i32 v2, v2, 0, 16
	v_add_f32_e32 v7, -0.5, v7
	v_lshrrev_b32_e32 v5, 4, v3
	v_cmp_gt_u32_e32 vcc_lo, 0x8000000, v3
	s_delay_alu instid0(VALU_DEP_2) | instskip(NEXT) | instid1(VALU_DEP_1)
	v_or_b32_e32 v5, 0x70000000, v5
	v_mul_f32_e32 v5, 0x7800000, v5
	s_delay_alu instid0(VALU_DEP_1) | instskip(NEXT) | instid1(VALU_DEP_1)
	v_cndmask_b32_e32 v3, v5, v7, vcc_lo
	v_and_or_b32 v7, 0x80000000, v2, v3
.LBB150_3435:
	s_mov_b32 s7, 0
	s_mov_b32 s8, -1
.LBB150_3436:
	s_and_not1_b32 vcc_lo, exec_lo, s7
	s_mov_b32 s7, 0
	s_cbranch_vccnz .LBB150_3447
; %bb.3437:
	s_cmp_gt_i32 s1, 14
	s_cbranch_scc0 .LBB150_3440
; %bb.3438:
	s_cmp_eq_u32 s1, 15
	s_cbranch_scc0 .LBB150_3443
; %bb.3439:
	global_load_u16 v2, v[0:1], off
	s_mov_b32 s6, 0
	s_mov_b32 s8, -1
	s_wait_loadcnt 0x0
	v_lshlrev_b32_e32 v7, 16, v2
	s_branch .LBB150_3445
.LBB150_3440:
	s_mov_b32 s7, -1
	s_branch .LBB150_3444
.LBB150_3441:
	s_or_saveexec_b32 s8, s8
	v_mov_b32_e32 v7, 0x7f800001
	s_xor_b32 exec_lo, exec_lo, s8
	s_cbranch_execz .LBB150_3422
.LBB150_3442:
	v_cmp_ne_u16_e32 vcc_lo, 0, v2
	v_mov_b32_e32 v7, 0
	s_and_not1_b32 s7, s7, exec_lo
	s_and_b32 s9, vcc_lo, exec_lo
	s_delay_alu instid0(SALU_CYCLE_1)
	s_or_b32 s7, s7, s9
	s_or_b32 exec_lo, exec_lo, s8
	s_and_saveexec_b32 s8, s7
	s_cbranch_execnz .LBB150_3423
	s_branch .LBB150_3424
.LBB150_3443:
	s_mov_b32 s6, -1
.LBB150_3444:
                                        ; implicit-def: $vgpr7
.LBB150_3445:
	s_and_b32 vcc_lo, exec_lo, s7
	s_mov_b32 s7, 0
	s_cbranch_vccz .LBB150_3447
; %bb.3446:
	s_cmp_lg_u32 s1, 11
	s_mov_b32 s7, -1
	s_cselect_b32 s6, -1, 0
.LBB150_3447:
	s_delay_alu instid0(SALU_CYCLE_1)
	s_and_b32 vcc_lo, exec_lo, s6
	s_cbranch_vccnz .LBB150_3512
; %bb.3448:
	s_and_not1_b32 vcc_lo, exec_lo, s7
	s_cbranch_vccnz .LBB150_3450
.LBB150_3449:
	global_load_u8 v2, v[0:1], off
	s_mov_b32 s8, -1
	s_wait_loadcnt 0x0
	v_cmp_ne_u16_e32 vcc_lo, 0, v2
	v_cndmask_b32_e64 v7, 0, 1.0, vcc_lo
.LBB150_3450:
	s_mov_b32 s1, 0
.LBB150_3451:
	s_delay_alu instid0(SALU_CYCLE_1)
	s_and_b32 vcc_lo, exec_lo, s1
	s_cbranch_vccz .LBB150_3500
; %bb.3452:
	s_and_b32 s1, 0xffff, s3
	s_delay_alu instid0(SALU_CYCLE_1)
	s_cmp_lt_i32 s1, 5
	s_cbranch_scc1 .LBB150_3457
; %bb.3453:
	s_cmp_lt_i32 s1, 8
	s_cbranch_scc1 .LBB150_3458
; %bb.3454:
	;; [unrolled: 3-line block ×3, first 2 shown]
	s_cmp_gt_i32 s1, 9
	s_cbranch_scc0 .LBB150_3460
; %bb.3456:
	global_load_b64 v[2:3], v[0:1], off
	s_mov_b32 s3, 0
	s_wait_loadcnt 0x0
	v_cvt_f32_f64_e32 v7, v[2:3]
	s_branch .LBB150_3461
.LBB150_3457:
	s_mov_b32 s3, -1
                                        ; implicit-def: $vgpr7
	s_branch .LBB150_3479
.LBB150_3458:
	s_mov_b32 s3, -1
                                        ; implicit-def: $vgpr7
	s_branch .LBB150_3467
.LBB150_3459:
	s_mov_b32 s3, -1
                                        ; implicit-def: $vgpr7
	s_branch .LBB150_3464
.LBB150_3460:
	s_mov_b32 s3, -1
                                        ; implicit-def: $vgpr7
.LBB150_3461:
	s_delay_alu instid0(SALU_CYCLE_1)
	s_and_not1_b32 vcc_lo, exec_lo, s3
	s_cbranch_vccnz .LBB150_3463
; %bb.3462:
	global_load_b32 v7, v[0:1], off
.LBB150_3463:
	s_mov_b32 s3, 0
.LBB150_3464:
	s_delay_alu instid0(SALU_CYCLE_1)
	s_and_not1_b32 vcc_lo, exec_lo, s3
	s_cbranch_vccnz .LBB150_3466
; %bb.3465:
	global_load_b32 v2, v[0:1], off
	s_wait_loadcnt 0x0
	v_cvt_f32_f16_e32 v7, v2
.LBB150_3466:
	s_mov_b32 s3, 0
.LBB150_3467:
	s_delay_alu instid0(SALU_CYCLE_1)
	s_and_not1_b32 vcc_lo, exec_lo, s3
	s_cbranch_vccnz .LBB150_3478
; %bb.3468:
	s_cmp_lt_i32 s1, 6
	s_cbranch_scc1 .LBB150_3471
; %bb.3469:
	s_cmp_gt_i32 s1, 6
	s_cbranch_scc0 .LBB150_3472
; %bb.3470:
	global_load_b64 v[2:3], v[0:1], off
	s_mov_b32 s3, 0
	s_wait_loadcnt 0x0
	v_cvt_f32_f64_e32 v7, v[2:3]
	s_branch .LBB150_3473
.LBB150_3471:
	s_mov_b32 s3, -1
                                        ; implicit-def: $vgpr7
	s_branch .LBB150_3476
.LBB150_3472:
	s_mov_b32 s3, -1
                                        ; implicit-def: $vgpr7
.LBB150_3473:
	s_delay_alu instid0(SALU_CYCLE_1)
	s_and_not1_b32 vcc_lo, exec_lo, s3
	s_cbranch_vccnz .LBB150_3475
; %bb.3474:
	s_wait_loadcnt 0x0
	global_load_b32 v7, v[0:1], off
.LBB150_3475:
	s_mov_b32 s3, 0
.LBB150_3476:
	s_delay_alu instid0(SALU_CYCLE_1)
	s_and_not1_b32 vcc_lo, exec_lo, s3
	s_cbranch_vccnz .LBB150_3478
; %bb.3477:
	global_load_u16 v2, v[0:1], off
	s_wait_loadcnt 0x0
	v_cvt_f32_f16_e32 v7, v2
.LBB150_3478:
	s_mov_b32 s3, 0
.LBB150_3479:
	s_delay_alu instid0(SALU_CYCLE_1)
	s_and_not1_b32 vcc_lo, exec_lo, s3
	s_cbranch_vccnz .LBB150_3499
; %bb.3480:
	s_cmp_lt_i32 s1, 2
	s_cbranch_scc1 .LBB150_3484
; %bb.3481:
	s_cmp_lt_i32 s1, 3
	s_cbranch_scc1 .LBB150_3485
; %bb.3482:
	s_cmp_gt_i32 s1, 3
	s_cbranch_scc0 .LBB150_3486
; %bb.3483:
	global_load_b64 v[2:3], v[0:1], off
	s_mov_b32 s3, 0
	s_wait_loadcnt 0x0
	v_xor_b32_e32 v5, v2, v3
	v_cls_i32_e32 v7, v3
	s_delay_alu instid0(VALU_DEP_2) | instskip(NEXT) | instid1(VALU_DEP_1)
	v_ashrrev_i32_e32 v5, 31, v5
	v_add_nc_u32_e32 v5, 32, v5
	s_delay_alu instid0(VALU_DEP_1) | instskip(NEXT) | instid1(VALU_DEP_1)
	v_add_min_u32_e64 v5, v7, -1, v5
	v_lshlrev_b64_e32 v[2:3], v5, v[2:3]
	s_delay_alu instid0(VALU_DEP_1) | instskip(NEXT) | instid1(VALU_DEP_1)
	v_min_u32_e32 v2, 1, v2
	v_dual_sub_nc_u32 v3, 32, v5 :: v_dual_bitop2_b32 v2, v3, v2 bitop3:0x54
	s_delay_alu instid0(VALU_DEP_1) | instskip(NEXT) | instid1(VALU_DEP_1)
	v_cvt_f32_i32_e32 v2, v2
	v_ldexp_f32 v7, v2, v3
	s_branch .LBB150_3487
.LBB150_3484:
	s_mov_b32 s3, -1
                                        ; implicit-def: $vgpr7
	s_branch .LBB150_3493
.LBB150_3485:
	s_mov_b32 s3, -1
                                        ; implicit-def: $vgpr7
	s_branch .LBB150_3490
.LBB150_3486:
	s_mov_b32 s3, -1
                                        ; implicit-def: $vgpr7
.LBB150_3487:
	s_delay_alu instid0(SALU_CYCLE_1)
	s_and_not1_b32 vcc_lo, exec_lo, s3
	s_cbranch_vccnz .LBB150_3489
; %bb.3488:
	global_load_b32 v2, v[0:1], off
	s_wait_loadcnt 0x0
	v_cvt_f32_i32_e32 v7, v2
.LBB150_3489:
	s_mov_b32 s3, 0
.LBB150_3490:
	s_delay_alu instid0(SALU_CYCLE_1)
	s_and_not1_b32 vcc_lo, exec_lo, s3
	s_cbranch_vccnz .LBB150_3492
; %bb.3491:
	global_load_i16 v2, v[0:1], off
	s_wait_loadcnt 0x0
	v_cvt_f32_i32_e32 v7, v2
.LBB150_3492:
	s_mov_b32 s3, 0
.LBB150_3493:
	s_delay_alu instid0(SALU_CYCLE_1)
	s_and_not1_b32 vcc_lo, exec_lo, s3
	s_cbranch_vccnz .LBB150_3499
; %bb.3494:
	s_cmp_gt_i32 s1, 0
	s_mov_b32 s1, 0
	s_cbranch_scc0 .LBB150_3496
; %bb.3495:
	global_load_i8 v2, v[0:1], off
	s_wait_loadcnt 0x0
	v_cvt_f32_i32_e32 v7, v2
	s_branch .LBB150_3497
.LBB150_3496:
	s_mov_b32 s1, -1
                                        ; implicit-def: $vgpr7
.LBB150_3497:
	s_delay_alu instid0(SALU_CYCLE_1)
	s_and_not1_b32 vcc_lo, exec_lo, s1
	s_cbranch_vccnz .LBB150_3499
; %bb.3498:
	global_load_u8 v0, v[0:1], off
	s_wait_loadcnt 0x0
	v_cvt_f32_ubyte0_e32 v7, v0
.LBB150_3499:
	s_mov_b32 s8, -1
.LBB150_3500:
	s_delay_alu instid0(SALU_CYCLE_1)
	s_and_not1_b32 vcc_lo, exec_lo, s8
	s_cbranch_vccnz .LBB150_4065
; %bb.3501:
	s_wait_xcnt 0x0
	v_add_nc_u32_e32 v0, s14, v4
	s_cmp_lt_i32 s0, 11
	s_delay_alu instid0(VALU_DEP_1) | instskip(NEXT) | instid1(VALU_DEP_1)
	v_ashrrev_i32_e32 v1, 31, v0
	v_add_nc_u64_e32 v[0:1], s[10:11], v[0:1]
	s_cbranch_scc1 .LBB150_3508
; %bb.3502:
	s_cmp_gt_i32 s0, 25
	s_mov_b32 s3, 0
	s_cbranch_scc0 .LBB150_3509
; %bb.3503:
	s_cmp_gt_i32 s0, 28
	s_cbranch_scc0 .LBB150_3510
; %bb.3504:
	s_cmp_gt_i32 s0, 43
	;; [unrolled: 3-line block ×3, first 2 shown]
	s_cbranch_scc0 .LBB150_3513
; %bb.3506:
	s_cmp_eq_u32 s0, 46
	s_mov_b32 s7, 0
	s_cbranch_scc0 .LBB150_3514
; %bb.3507:
	global_load_b32 v2, v[0:1], off
	s_mov_b32 s1, 0
	s_mov_b32 s6, -1
	s_wait_loadcnt 0x0
	v_lshlrev_b32_e32 v18, 16, v2
	s_branch .LBB150_3516
.LBB150_3508:
	s_mov_b32 s1, -1
	s_mov_b32 s6, 0
                                        ; implicit-def: $vgpr18
	s_branch .LBB150_3582
.LBB150_3509:
	s_mov_b32 s7, -1
	s_mov_b32 s6, 0
	s_mov_b32 s1, 0
                                        ; implicit-def: $vgpr18
	s_branch .LBB150_3545
.LBB150_3510:
	s_mov_b32 s7, -1
	s_mov_b32 s6, 0
	s_mov_b32 s1, 0
                                        ; implicit-def: $vgpr18
	s_branch .LBB150_3526
.LBB150_3511:
	s_mov_b32 s7, -1
	s_mov_b32 s6, 0
	s_mov_b32 s1, 0
                                        ; implicit-def: $vgpr18
	s_branch .LBB150_3521
.LBB150_3512:
	s_or_b32 s16, s16, exec_lo
	s_trap 2
	s_cbranch_execz .LBB150_3449
	s_branch .LBB150_3450
.LBB150_3513:
	s_mov_b32 s7, -1
	s_mov_b32 s6, 0
	s_mov_b32 s1, 0
	s_branch .LBB150_3515
.LBB150_3514:
	s_mov_b32 s1, -1
	s_mov_b32 s6, 0
.LBB150_3515:
                                        ; implicit-def: $vgpr18
.LBB150_3516:
	s_and_b32 vcc_lo, exec_lo, s7
	s_cbranch_vccz .LBB150_3520
; %bb.3517:
	s_cmp_eq_u32 s0, 44
	s_cbranch_scc0 .LBB150_3519
; %bb.3518:
	global_load_u8 v2, v[0:1], off
	s_mov_b32 s1, 0
	s_mov_b32 s6, -1
	s_wait_loadcnt 0x0
	v_lshlrev_b32_e32 v3, 23, v2
	v_cmp_ne_u32_e32 vcc_lo, 0xff, v2
	s_delay_alu instid0(VALU_DEP_2) | instskip(SKIP_1) | instid1(VALU_DEP_2)
	v_cndmask_b32_e32 v3, 0x7f800001, v3, vcc_lo
	v_cmp_ne_u32_e32 vcc_lo, 0, v2
	v_cndmask_b32_e32 v18, 0x400000, v3, vcc_lo
	s_branch .LBB150_3520
.LBB150_3519:
	s_mov_b32 s1, -1
                                        ; implicit-def: $vgpr18
.LBB150_3520:
	s_mov_b32 s7, 0
.LBB150_3521:
	s_delay_alu instid0(SALU_CYCLE_1)
	s_and_b32 vcc_lo, exec_lo, s7
	s_cbranch_vccz .LBB150_3525
; %bb.3522:
	s_cmp_eq_u32 s0, 29
	s_cbranch_scc0 .LBB150_3524
; %bb.3523:
	global_load_b64 v[2:3], v[0:1], off
	s_mov_b32 s1, 0
	s_mov_b32 s6, -1
	s_mov_b32 s7, 0
	s_wait_loadcnt 0x0
	v_clz_i32_u32_e32 v4, v3
	s_delay_alu instid0(VALU_DEP_1) | instskip(NEXT) | instid1(VALU_DEP_1)
	v_min_u32_e32 v4, 32, v4
	v_lshlrev_b64_e32 v[2:3], v4, v[2:3]
	s_delay_alu instid0(VALU_DEP_1) | instskip(NEXT) | instid1(VALU_DEP_1)
	v_min_u32_e32 v2, 1, v2
	v_dual_sub_nc_u32 v3, 32, v4 :: v_dual_bitop2_b32 v2, v3, v2 bitop3:0x54
	s_delay_alu instid0(VALU_DEP_1) | instskip(NEXT) | instid1(VALU_DEP_1)
	v_cvt_f32_u32_e32 v2, v2
	v_ldexp_f32 v18, v2, v3
	s_branch .LBB150_3526
.LBB150_3524:
	s_mov_b32 s1, -1
                                        ; implicit-def: $vgpr18
.LBB150_3525:
	s_mov_b32 s7, 0
.LBB150_3526:
	s_delay_alu instid0(SALU_CYCLE_1)
	s_and_b32 vcc_lo, exec_lo, s7
	s_cbranch_vccz .LBB150_3544
; %bb.3527:
	s_cmp_lt_i32 s0, 27
	s_cbranch_scc1 .LBB150_3530
; %bb.3528:
	s_cmp_gt_i32 s0, 27
	s_cbranch_scc0 .LBB150_3531
; %bb.3529:
	global_load_b32 v2, v[0:1], off
	s_mov_b32 s6, 0
	s_wait_loadcnt 0x0
	v_cvt_f32_u32_e32 v18, v2
	s_branch .LBB150_3532
.LBB150_3530:
	s_mov_b32 s6, -1
                                        ; implicit-def: $vgpr18
	s_branch .LBB150_3535
.LBB150_3531:
	s_mov_b32 s6, -1
                                        ; implicit-def: $vgpr18
.LBB150_3532:
	s_delay_alu instid0(SALU_CYCLE_1)
	s_and_not1_b32 vcc_lo, exec_lo, s6
	s_cbranch_vccnz .LBB150_3534
; %bb.3533:
	global_load_u16 v2, v[0:1], off
	s_wait_loadcnt 0x0
	v_cvt_f32_u32_e32 v18, v2
.LBB150_3534:
	s_mov_b32 s6, 0
.LBB150_3535:
	s_delay_alu instid0(SALU_CYCLE_1)
	s_and_not1_b32 vcc_lo, exec_lo, s6
	s_cbranch_vccnz .LBB150_3543
; %bb.3536:
	global_load_u8 v2, v[0:1], off
	s_mov_b32 s6, 0
	s_mov_b32 s7, exec_lo
	s_wait_loadcnt 0x0
	v_cmpx_lt_i16_e32 0x7f, v2
	s_xor_b32 s7, exec_lo, s7
	s_cbranch_execz .LBB150_3557
; %bb.3537:
	s_mov_b32 s6, -1
	s_mov_b32 s8, exec_lo
	v_cmpx_eq_u16_e32 0x80, v2
; %bb.3538:
	s_xor_b32 s6, exec_lo, -1
; %bb.3539:
	s_or_b32 exec_lo, exec_lo, s8
	s_delay_alu instid0(SALU_CYCLE_1)
	s_and_b32 s6, s6, exec_lo
	s_or_saveexec_b32 s7, s7
	v_mov_b32_e32 v18, 0x7f800001
	s_xor_b32 exec_lo, exec_lo, s7
	s_cbranch_execnz .LBB150_3558
.LBB150_3540:
	s_or_b32 exec_lo, exec_lo, s7
	s_and_saveexec_b32 s7, s6
	s_cbranch_execz .LBB150_3542
.LBB150_3541:
	v_and_b32_e32 v3, 0xffff, v2
	s_delay_alu instid0(VALU_DEP_1) | instskip(SKIP_1) | instid1(VALU_DEP_2)
	v_and_b32_e32 v4, 7, v3
	v_bfe_u32 v19, v3, 3, 4
	v_clz_i32_u32_e32 v5, v4
	s_delay_alu instid0(VALU_DEP_2) | instskip(NEXT) | instid1(VALU_DEP_2)
	v_cmp_eq_u32_e32 vcc_lo, 0, v19
	v_min_u32_e32 v5, 32, v5
	s_delay_alu instid0(VALU_DEP_1) | instskip(NEXT) | instid1(VALU_DEP_1)
	v_subrev_nc_u32_e32 v18, 28, v5
	v_dual_lshlrev_b32 v3, v18, v3 :: v_dual_sub_nc_u32 v5, 29, v5
	s_delay_alu instid0(VALU_DEP_1) | instskip(NEXT) | instid1(VALU_DEP_1)
	v_dual_lshlrev_b32 v2, 24, v2 :: v_dual_bitop2_b32 v3, 7, v3 bitop3:0x40
	v_dual_cndmask_b32 v5, v19, v5, vcc_lo :: v_dual_cndmask_b32 v3, v4, v3, vcc_lo
	s_delay_alu instid0(VALU_DEP_2) | instskip(NEXT) | instid1(VALU_DEP_2)
	v_and_b32_e32 v2, 0x80000000, v2
	v_lshl_add_u32 v4, v5, 23, 0x3b800000
	s_delay_alu instid0(VALU_DEP_3) | instskip(NEXT) | instid1(VALU_DEP_1)
	v_lshlrev_b32_e32 v3, 20, v3
	v_or3_b32 v18, v2, v4, v3
.LBB150_3542:
	s_or_b32 exec_lo, exec_lo, s7
.LBB150_3543:
	s_mov_b32 s6, -1
.LBB150_3544:
	s_mov_b32 s7, 0
.LBB150_3545:
	s_delay_alu instid0(SALU_CYCLE_1)
	s_and_b32 vcc_lo, exec_lo, s7
	s_cbranch_vccz .LBB150_3578
; %bb.3546:
	s_cmp_gt_i32 s0, 22
	s_cbranch_scc0 .LBB150_3556
; %bb.3547:
	s_cmp_lt_i32 s0, 24
	s_cbranch_scc1 .LBB150_3559
; %bb.3548:
	s_cmp_gt_i32 s0, 24
	s_cbranch_scc0 .LBB150_3560
; %bb.3549:
	global_load_u8 v2, v[0:1], off
	s_mov_b32 s6, exec_lo
	s_wait_loadcnt 0x0
	v_cmpx_lt_i16_e32 0x7f, v2
	s_xor_b32 s6, exec_lo, s6
	s_cbranch_execz .LBB150_3572
; %bb.3550:
	s_mov_b32 s3, -1
	s_mov_b32 s7, exec_lo
	v_cmpx_eq_u16_e32 0x80, v2
; %bb.3551:
	s_xor_b32 s3, exec_lo, -1
; %bb.3552:
	s_or_b32 exec_lo, exec_lo, s7
	s_delay_alu instid0(SALU_CYCLE_1)
	s_and_b32 s3, s3, exec_lo
	s_or_saveexec_b32 s6, s6
	v_mov_b32_e32 v18, 0x7f800001
	s_xor_b32 exec_lo, exec_lo, s6
	s_cbranch_execnz .LBB150_3573
.LBB150_3553:
	s_or_b32 exec_lo, exec_lo, s6
	s_and_saveexec_b32 s6, s3
	s_cbranch_execz .LBB150_3555
.LBB150_3554:
	v_and_b32_e32 v3, 0xffff, v2
	s_delay_alu instid0(VALU_DEP_1) | instskip(SKIP_1) | instid1(VALU_DEP_2)
	v_and_b32_e32 v4, 3, v3
	v_bfe_u32 v19, v3, 2, 5
	v_clz_i32_u32_e32 v5, v4
	s_delay_alu instid0(VALU_DEP_2) | instskip(NEXT) | instid1(VALU_DEP_2)
	v_cmp_eq_u32_e32 vcc_lo, 0, v19
	v_min_u32_e32 v5, 32, v5
	s_delay_alu instid0(VALU_DEP_1) | instskip(NEXT) | instid1(VALU_DEP_1)
	v_subrev_nc_u32_e32 v18, 29, v5
	v_dual_lshlrev_b32 v3, v18, v3 :: v_dual_sub_nc_u32 v5, 30, v5
	s_delay_alu instid0(VALU_DEP_1) | instskip(NEXT) | instid1(VALU_DEP_1)
	v_dual_lshlrev_b32 v2, 24, v2 :: v_dual_bitop2_b32 v3, 3, v3 bitop3:0x40
	v_dual_cndmask_b32 v5, v19, v5, vcc_lo :: v_dual_cndmask_b32 v3, v4, v3, vcc_lo
	s_delay_alu instid0(VALU_DEP_2) | instskip(NEXT) | instid1(VALU_DEP_2)
	v_and_b32_e32 v2, 0x80000000, v2
	v_lshl_add_u32 v4, v5, 23, 0x37800000
	s_delay_alu instid0(VALU_DEP_3) | instskip(NEXT) | instid1(VALU_DEP_1)
	v_lshlrev_b32_e32 v3, 21, v3
	v_or3_b32 v18, v2, v4, v3
.LBB150_3555:
	s_or_b32 exec_lo, exec_lo, s6
	s_mov_b32 s3, 0
	s_branch .LBB150_3561
.LBB150_3556:
	s_mov_b32 s3, -1
                                        ; implicit-def: $vgpr18
	s_branch .LBB150_3567
.LBB150_3557:
	s_or_saveexec_b32 s7, s7
	v_mov_b32_e32 v18, 0x7f800001
	s_xor_b32 exec_lo, exec_lo, s7
	s_cbranch_execz .LBB150_3540
.LBB150_3558:
	v_cmp_ne_u16_e32 vcc_lo, 0, v2
	v_mov_b32_e32 v18, 0
	s_and_not1_b32 s6, s6, exec_lo
	s_and_b32 s8, vcc_lo, exec_lo
	s_delay_alu instid0(SALU_CYCLE_1)
	s_or_b32 s6, s6, s8
	s_or_b32 exec_lo, exec_lo, s7
	s_and_saveexec_b32 s7, s6
	s_cbranch_execnz .LBB150_3541
	s_branch .LBB150_3542
.LBB150_3559:
	s_mov_b32 s3, -1
                                        ; implicit-def: $vgpr18
	s_branch .LBB150_3564
.LBB150_3560:
	s_mov_b32 s3, -1
                                        ; implicit-def: $vgpr18
.LBB150_3561:
	s_delay_alu instid0(SALU_CYCLE_1)
	s_and_b32 vcc_lo, exec_lo, s3
	s_cbranch_vccz .LBB150_3563
; %bb.3562:
	global_load_u8 v2, v[0:1], off
	s_wait_loadcnt 0x0
	v_lshlrev_b32_e32 v2, 24, v2
	s_delay_alu instid0(VALU_DEP_1) | instskip(NEXT) | instid1(VALU_DEP_1)
	v_and_b32_e32 v3, 0x7f000000, v2
	v_clz_i32_u32_e32 v4, v3
	v_cmp_ne_u32_e32 vcc_lo, 0, v3
	v_add_nc_u32_e32 v18, 0x1000000, v3
	s_delay_alu instid0(VALU_DEP_3) | instskip(NEXT) | instid1(VALU_DEP_1)
	v_min_u32_e32 v4, 32, v4
	v_sub_nc_u32_e64 v4, v4, 4 clamp
	s_delay_alu instid0(VALU_DEP_1) | instskip(NEXT) | instid1(VALU_DEP_1)
	v_dual_lshlrev_b32 v5, v4, v3 :: v_dual_lshlrev_b32 v4, 23, v4
	v_lshrrev_b32_e32 v5, 4, v5
	s_delay_alu instid0(VALU_DEP_1) | instskip(NEXT) | instid1(VALU_DEP_1)
	v_dual_sub_nc_u32 v4, v5, v4 :: v_dual_ashrrev_i32 v5, 8, v18
	v_add_nc_u32_e32 v4, 0x3c000000, v4
	s_delay_alu instid0(VALU_DEP_1) | instskip(NEXT) | instid1(VALU_DEP_1)
	v_and_or_b32 v4, 0x7f800000, v5, v4
	v_cndmask_b32_e32 v3, 0, v4, vcc_lo
	s_delay_alu instid0(VALU_DEP_1)
	v_and_or_b32 v18, 0x80000000, v2, v3
.LBB150_3563:
	s_mov_b32 s3, 0
.LBB150_3564:
	s_delay_alu instid0(SALU_CYCLE_1)
	s_and_not1_b32 vcc_lo, exec_lo, s3
	s_cbranch_vccnz .LBB150_3566
; %bb.3565:
	global_load_u8 v2, v[0:1], off
	s_wait_loadcnt 0x0
	v_lshlrev_b32_e32 v3, 25, v2
	v_lshlrev_b16 v2, 8, v2
	s_delay_alu instid0(VALU_DEP_1) | instskip(SKIP_1) | instid1(VALU_DEP_2)
	v_and_or_b32 v5, 0x7f00, v2, 0.5
	v_bfe_i32 v2, v2, 0, 16
	v_dual_add_f32 v5, -0.5, v5 :: v_dual_lshrrev_b32 v4, 4, v3
	v_cmp_gt_u32_e32 vcc_lo, 0x8000000, v3
	s_delay_alu instid0(VALU_DEP_2) | instskip(NEXT) | instid1(VALU_DEP_1)
	v_or_b32_e32 v4, 0x70000000, v4
	v_mul_f32_e32 v4, 0x7800000, v4
	s_delay_alu instid0(VALU_DEP_1) | instskip(NEXT) | instid1(VALU_DEP_1)
	v_cndmask_b32_e32 v3, v4, v5, vcc_lo
	v_and_or_b32 v18, 0x80000000, v2, v3
.LBB150_3566:
	s_mov_b32 s3, 0
	s_mov_b32 s6, -1
.LBB150_3567:
	s_and_not1_b32 vcc_lo, exec_lo, s3
	s_mov_b32 s3, 0
	s_cbranch_vccnz .LBB150_3578
; %bb.3568:
	s_cmp_gt_i32 s0, 14
	s_cbranch_scc0 .LBB150_3571
; %bb.3569:
	s_cmp_eq_u32 s0, 15
	s_cbranch_scc0 .LBB150_3574
; %bb.3570:
	global_load_u16 v2, v[0:1], off
	s_mov_b32 s1, 0
	s_mov_b32 s6, -1
	s_wait_loadcnt 0x0
	v_lshlrev_b32_e32 v18, 16, v2
	s_branch .LBB150_3576
.LBB150_3571:
	s_mov_b32 s3, -1
	s_branch .LBB150_3575
.LBB150_3572:
	s_or_saveexec_b32 s6, s6
	v_mov_b32_e32 v18, 0x7f800001
	s_xor_b32 exec_lo, exec_lo, s6
	s_cbranch_execz .LBB150_3553
.LBB150_3573:
	v_cmp_ne_u16_e32 vcc_lo, 0, v2
	v_mov_b32_e32 v18, 0
	s_and_not1_b32 s3, s3, exec_lo
	s_and_b32 s7, vcc_lo, exec_lo
	s_delay_alu instid0(SALU_CYCLE_1)
	s_or_b32 s3, s3, s7
	s_or_b32 exec_lo, exec_lo, s6
	s_and_saveexec_b32 s6, s3
	s_cbranch_execnz .LBB150_3554
	s_branch .LBB150_3555
.LBB150_3574:
	s_mov_b32 s1, -1
.LBB150_3575:
                                        ; implicit-def: $vgpr18
.LBB150_3576:
	s_and_b32 vcc_lo, exec_lo, s3
	s_mov_b32 s3, 0
	s_cbranch_vccz .LBB150_3578
; %bb.3577:
	s_cmp_lg_u32 s0, 11
	s_mov_b32 s3, -1
	s_cselect_b32 s1, -1, 0
.LBB150_3578:
	s_delay_alu instid0(SALU_CYCLE_1)
	s_and_b32 vcc_lo, exec_lo, s1
	s_cbranch_vccnz .LBB150_4111
; %bb.3579:
	s_and_not1_b32 vcc_lo, exec_lo, s3
	s_cbranch_vccnz .LBB150_3581
.LBB150_3580:
	global_load_u8 v2, v[0:1], off
	s_mov_b32 s6, -1
	s_wait_loadcnt 0x0
	v_cmp_ne_u16_e32 vcc_lo, 0, v2
	v_cndmask_b32_e64 v18, 0, 1.0, vcc_lo
.LBB150_3581:
	s_mov_b32 s1, 0
.LBB150_3582:
	s_delay_alu instid0(SALU_CYCLE_1)
	s_and_b32 vcc_lo, exec_lo, s1
	s_cbranch_vccz .LBB150_3631
; %bb.3583:
	s_cmp_lt_i32 s0, 5
	s_cbranch_scc1 .LBB150_3588
; %bb.3584:
	s_cmp_lt_i32 s0, 8
	s_cbranch_scc1 .LBB150_3589
	;; [unrolled: 3-line block ×3, first 2 shown]
; %bb.3586:
	s_cmp_gt_i32 s0, 9
	s_cbranch_scc0 .LBB150_3591
; %bb.3587:
	global_load_b64 v[2:3], v[0:1], off
	s_mov_b32 s1, 0
	s_wait_loadcnt 0x0
	v_cvt_f32_f64_e32 v18, v[2:3]
	s_branch .LBB150_3592
.LBB150_3588:
	s_mov_b32 s1, -1
                                        ; implicit-def: $vgpr18
	s_branch .LBB150_3610
.LBB150_3589:
	s_mov_b32 s1, -1
                                        ; implicit-def: $vgpr18
	s_branch .LBB150_3598
.LBB150_3590:
	s_mov_b32 s1, -1
                                        ; implicit-def: $vgpr18
	s_branch .LBB150_3595
.LBB150_3591:
	s_mov_b32 s1, -1
                                        ; implicit-def: $vgpr18
.LBB150_3592:
	s_delay_alu instid0(SALU_CYCLE_1)
	s_and_not1_b32 vcc_lo, exec_lo, s1
	s_cbranch_vccnz .LBB150_3594
; %bb.3593:
	global_load_b32 v18, v[0:1], off
.LBB150_3594:
	s_mov_b32 s1, 0
.LBB150_3595:
	s_delay_alu instid0(SALU_CYCLE_1)
	s_and_not1_b32 vcc_lo, exec_lo, s1
	s_cbranch_vccnz .LBB150_3597
; %bb.3596:
	global_load_b32 v2, v[0:1], off
	s_wait_loadcnt 0x0
	v_cvt_f32_f16_e32 v18, v2
.LBB150_3597:
	s_mov_b32 s1, 0
.LBB150_3598:
	s_delay_alu instid0(SALU_CYCLE_1)
	s_and_not1_b32 vcc_lo, exec_lo, s1
	s_cbranch_vccnz .LBB150_3609
; %bb.3599:
	s_cmp_lt_i32 s0, 6
	s_cbranch_scc1 .LBB150_3602
; %bb.3600:
	s_cmp_gt_i32 s0, 6
	s_cbranch_scc0 .LBB150_3603
; %bb.3601:
	global_load_b64 v[2:3], v[0:1], off
	s_mov_b32 s1, 0
	s_wait_loadcnt 0x0
	v_cvt_f32_f64_e32 v18, v[2:3]
	s_branch .LBB150_3604
.LBB150_3602:
	s_mov_b32 s1, -1
                                        ; implicit-def: $vgpr18
	s_branch .LBB150_3607
.LBB150_3603:
	s_mov_b32 s1, -1
                                        ; implicit-def: $vgpr18
.LBB150_3604:
	s_delay_alu instid0(SALU_CYCLE_1)
	s_and_not1_b32 vcc_lo, exec_lo, s1
	s_cbranch_vccnz .LBB150_3606
; %bb.3605:
	s_wait_loadcnt 0x0
	global_load_b32 v18, v[0:1], off
.LBB150_3606:
	s_mov_b32 s1, 0
.LBB150_3607:
	s_delay_alu instid0(SALU_CYCLE_1)
	s_and_not1_b32 vcc_lo, exec_lo, s1
	s_cbranch_vccnz .LBB150_3609
; %bb.3608:
	global_load_u16 v2, v[0:1], off
	s_wait_loadcnt 0x0
	v_cvt_f32_f16_e32 v18, v2
.LBB150_3609:
	s_mov_b32 s1, 0
.LBB150_3610:
	s_delay_alu instid0(SALU_CYCLE_1)
	s_and_not1_b32 vcc_lo, exec_lo, s1
	s_cbranch_vccnz .LBB150_3630
; %bb.3611:
	s_cmp_lt_i32 s0, 2
	s_cbranch_scc1 .LBB150_3615
; %bb.3612:
	s_cmp_lt_i32 s0, 3
	s_cbranch_scc1 .LBB150_3616
; %bb.3613:
	s_cmp_gt_i32 s0, 3
	s_cbranch_scc0 .LBB150_3617
; %bb.3614:
	global_load_b64 v[2:3], v[0:1], off
	s_mov_b32 s1, 0
	s_wait_loadcnt 0x0
	v_xor_b32_e32 v4, v2, v3
	v_cls_i32_e32 v5, v3
	s_delay_alu instid0(VALU_DEP_2) | instskip(NEXT) | instid1(VALU_DEP_1)
	v_ashrrev_i32_e32 v4, 31, v4
	v_add_nc_u32_e32 v4, 32, v4
	s_delay_alu instid0(VALU_DEP_1) | instskip(NEXT) | instid1(VALU_DEP_1)
	v_add_min_u32_e64 v4, v5, -1, v4
	v_lshlrev_b64_e32 v[2:3], v4, v[2:3]
	s_delay_alu instid0(VALU_DEP_1) | instskip(NEXT) | instid1(VALU_DEP_1)
	v_min_u32_e32 v2, 1, v2
	v_dual_sub_nc_u32 v3, 32, v4 :: v_dual_bitop2_b32 v2, v3, v2 bitop3:0x54
	s_delay_alu instid0(VALU_DEP_1) | instskip(NEXT) | instid1(VALU_DEP_1)
	v_cvt_f32_i32_e32 v2, v2
	v_ldexp_f32 v18, v2, v3
	s_branch .LBB150_3618
.LBB150_3615:
	s_mov_b32 s1, -1
                                        ; implicit-def: $vgpr18
	s_branch .LBB150_3624
.LBB150_3616:
	s_mov_b32 s1, -1
                                        ; implicit-def: $vgpr18
	s_branch .LBB150_3621
.LBB150_3617:
	s_mov_b32 s1, -1
                                        ; implicit-def: $vgpr18
.LBB150_3618:
	s_delay_alu instid0(SALU_CYCLE_1)
	s_and_not1_b32 vcc_lo, exec_lo, s1
	s_cbranch_vccnz .LBB150_3620
; %bb.3619:
	global_load_b32 v2, v[0:1], off
	s_wait_loadcnt 0x0
	v_cvt_f32_i32_e32 v18, v2
.LBB150_3620:
	s_mov_b32 s1, 0
.LBB150_3621:
	s_delay_alu instid0(SALU_CYCLE_1)
	s_and_not1_b32 vcc_lo, exec_lo, s1
	s_cbranch_vccnz .LBB150_3623
; %bb.3622:
	global_load_i16 v2, v[0:1], off
	s_wait_loadcnt 0x0
	v_cvt_f32_i32_e32 v18, v2
.LBB150_3623:
	s_mov_b32 s1, 0
.LBB150_3624:
	s_delay_alu instid0(SALU_CYCLE_1)
	s_and_not1_b32 vcc_lo, exec_lo, s1
	s_cbranch_vccnz .LBB150_3630
; %bb.3625:
	s_cmp_gt_i32 s0, 0
	s_mov_b32 s0, 0
	s_cbranch_scc0 .LBB150_3627
; %bb.3626:
	global_load_i8 v2, v[0:1], off
	s_wait_loadcnt 0x0
	v_cvt_f32_i32_e32 v18, v2
	s_branch .LBB150_3628
.LBB150_3627:
	s_mov_b32 s0, -1
                                        ; implicit-def: $vgpr18
.LBB150_3628:
	s_delay_alu instid0(SALU_CYCLE_1)
	s_and_not1_b32 vcc_lo, exec_lo, s0
	s_cbranch_vccnz .LBB150_3630
; %bb.3629:
	global_load_u8 v0, v[0:1], off
	s_wait_loadcnt 0x0
	v_cvt_f32_ubyte0_e32 v18, v0
.LBB150_3630:
	s_mov_b32 s6, -1
.LBB150_3631:
	s_delay_alu instid0(SALU_CYCLE_1)
	s_and_not1_b32 vcc_lo, exec_lo, s6
	s_cbranch_vccnz .LBB150_4065
; %bb.3632:
	s_wait_loadcnt 0x0
	v_dual_max_num_f32 v1, v10, v10 :: v_dual_max_num_f32 v2, v9, v9
	v_cmp_u_f32_e32 vcc_lo, v12, v12
	v_max_num_f32_e32 v3, v12, v12
	v_mul_lo_u32 v0, s12, v8
	s_and_b32 s20, s2, 0xff
	s_delay_alu instid0(SALU_CYCLE_1) | instskip(NEXT) | instid1(VALU_DEP_2)
	s_cmp_lt_i32 s20, 11
	v_maxmin_num_f32 v1, v2, v1, v3
	s_delay_alu instid0(VALU_DEP_1) | instskip(SKIP_1) | instid1(VALU_DEP_2)
	v_cndmask_b32_e32 v2, v1, v12, vcc_lo
	v_cmp_u_f32_e32 vcc_lo, v10, v10
	v_dual_cndmask_b32 v4, v2, v10 :: v_dual_ashrrev_i32 v1, 31, v0
	v_cmp_u_f32_e32 vcc_lo, v9, v9
	s_delay_alu instid0(VALU_DEP_2) | instskip(NEXT) | instid1(VALU_DEP_3)
	v_add_nc_u64_e32 v[2:3], s[4:5], v[0:1]
	v_cndmask_b32_e32 v4, v4, v9, vcc_lo
	s_cbranch_scc1 .LBB150_3710
; %bb.3633:
	s_and_b32 s1, 0xffff, s20
	s_mov_b32 s6, -1
	s_mov_b32 s2, 0
	s_cmp_gt_i32 s1, 25
	s_mov_b32 s3, 0
	s_mov_b32 s0, 0
	s_cbranch_scc0 .LBB150_3666
; %bb.3634:
	s_cmp_gt_i32 s1, 28
	s_cbranch_scc0 .LBB150_3649
; %bb.3635:
	s_cmp_gt_i32 s1, 43
	;; [unrolled: 3-line block ×3, first 2 shown]
	s_cbranch_scc0 .LBB150_3639
; %bb.3637:
	s_mov_b32 s0, -1
	s_mov_b32 s6, 0
	s_cmp_eq_u32 s1, 46
	s_cbranch_scc0 .LBB150_3639
; %bb.3638:
	v_bfe_u32 v1, v4, 16, 1
	v_cmp_o_f32_e32 vcc_lo, v4, v4
	s_mov_b32 s0, 0
	s_mov_b32 s3, -1
	s_delay_alu instid0(VALU_DEP_2) | instskip(NEXT) | instid1(VALU_DEP_1)
	v_add3_u32 v1, v4, v1, 0x7fff
	v_lshrrev_b32_e32 v1, 16, v1
	s_delay_alu instid0(VALU_DEP_1)
	v_cndmask_b32_e32 v1, 0x7fc0, v1, vcc_lo
	global_store_b32 v[2:3], v1, off
.LBB150_3639:
	s_and_b32 vcc_lo, exec_lo, s6
	s_cbranch_vccz .LBB150_3644
; %bb.3640:
	s_cmp_eq_u32 s1, 44
	s_mov_b32 s0, -1
	s_cbranch_scc0 .LBB150_3644
; %bb.3641:
	v_bfe_u32 v5, v4, 23, 8
	s_wait_xcnt 0x0
	v_mov_b32_e32 v1, 0xff
	s_mov_b32 s3, exec_lo
	s_delay_alu instid0(VALU_DEP_2)
	v_cmpx_ne_u32_e32 0xff, v5
	s_cbranch_execz .LBB150_3643
; %bb.3642:
	v_and_b32_e32 v1, 0x400000, v4
	v_and_or_b32 v5, 0x3fffff, v4, v5
	s_delay_alu instid0(VALU_DEP_2) | instskip(NEXT) | instid1(VALU_DEP_2)
	v_cmp_ne_u32_e32 vcc_lo, 0, v1
	v_cmp_ne_u32_e64 s0, 0, v5
	v_lshrrev_b32_e32 v1, 23, v4
	s_and_b32 s0, vcc_lo, s0
	s_delay_alu instid0(SALU_CYCLE_1) | instskip(NEXT) | instid1(VALU_DEP_1)
	v_cndmask_b32_e64 v5, 0, 1, s0
	v_add_nc_u32_e32 v1, v1, v5
.LBB150_3643:
	s_or_b32 exec_lo, exec_lo, s3
	s_mov_b32 s0, 0
	s_mov_b32 s3, -1
	global_store_b8 v[2:3], v1, off
.LBB150_3644:
	s_mov_b32 s6, 0
.LBB150_3645:
	s_delay_alu instid0(SALU_CYCLE_1)
	s_and_b32 vcc_lo, exec_lo, s6
	s_cbranch_vccz .LBB150_3648
; %bb.3646:
	s_cmp_eq_u32 s1, 29
	s_mov_b32 s0, -1
	s_cbranch_scc0 .LBB150_3648
; %bb.3647:
	s_wait_xcnt 0x0
	v_trunc_f32_e32 v1, v4
	s_mov_b32 s0, 0
	s_mov_b32 s3, -1
	s_delay_alu instid0(VALU_DEP_1) | instskip(NEXT) | instid1(VALU_DEP_1)
	v_mul_f32_e32 v5, 0x2f800000, v1
	v_floor_f32_e32 v5, v5
	s_delay_alu instid0(VALU_DEP_1) | instskip(SKIP_1) | instid1(VALU_DEP_2)
	v_fmamk_f32 v1, v5, 0xcf800000, v1
	v_cvt_u32_f32_e32 v9, v5
	v_cvt_u32_f32_e32 v8, v1
	global_store_b64 v[2:3], v[8:9], off
.LBB150_3648:
	s_mov_b32 s6, 0
.LBB150_3649:
	s_delay_alu instid0(SALU_CYCLE_1)
	s_and_b32 vcc_lo, exec_lo, s6
	s_cbranch_vccz .LBB150_3665
; %bb.3650:
	s_cmp_lt_i32 s1, 27
	s_mov_b32 s3, -1
	s_cbranch_scc1 .LBB150_3656
; %bb.3651:
	s_wait_xcnt 0x0
	v_cvt_u32_f32_e32 v1, v4
	s_cmp_gt_i32 s1, 27
	s_cbranch_scc0 .LBB150_3653
; %bb.3652:
	s_mov_b32 s3, 0
	global_store_b32 v[2:3], v1, off
.LBB150_3653:
	s_and_not1_b32 vcc_lo, exec_lo, s3
	s_cbranch_vccnz .LBB150_3655
; %bb.3654:
	global_store_b16 v[2:3], v1, off
.LBB150_3655:
	s_mov_b32 s3, 0
.LBB150_3656:
	s_delay_alu instid0(SALU_CYCLE_1)
	s_and_not1_b32 vcc_lo, exec_lo, s3
	s_cbranch_vccnz .LBB150_3664
; %bb.3657:
	s_wait_xcnt 0x0
	v_and_b32_e32 v1, 0x7fffffff, v4
	v_mov_b32_e32 v5, 0x80
	s_mov_b32 s3, exec_lo
	s_delay_alu instid0(VALU_DEP_2)
	v_cmpx_gt_u32_e32 0x43800000, v1
	s_cbranch_execz .LBB150_3663
; %bb.3658:
	v_cmp_lt_u32_e32 vcc_lo, 0x3bffffff, v1
	s_mov_b32 s6, 0
                                        ; implicit-def: $vgpr1
	s_and_saveexec_b32 s7, vcc_lo
	s_delay_alu instid0(SALU_CYCLE_1)
	s_xor_b32 s7, exec_lo, s7
	s_cbranch_execz .LBB150_4112
; %bb.3659:
	v_bfe_u32 v1, v4, 20, 1
	s_mov_b32 s6, exec_lo
	s_delay_alu instid0(VALU_DEP_1) | instskip(NEXT) | instid1(VALU_DEP_1)
	v_add3_u32 v1, v4, v1, 0x487ffff
	v_lshrrev_b32_e32 v1, 20, v1
	s_and_not1_saveexec_b32 s7, s7
	s_cbranch_execnz .LBB150_4113
.LBB150_3660:
	s_or_b32 exec_lo, exec_lo, s7
	v_mov_b32_e32 v5, 0
	s_and_saveexec_b32 s7, s6
.LBB150_3661:
	v_lshrrev_b32_e32 v5, 24, v4
	s_delay_alu instid0(VALU_DEP_1)
	v_and_or_b32 v5, 0x80, v5, v1
.LBB150_3662:
	s_or_b32 exec_lo, exec_lo, s7
.LBB150_3663:
	s_delay_alu instid0(SALU_CYCLE_1)
	s_or_b32 exec_lo, exec_lo, s3
	global_store_b8 v[2:3], v5, off
.LBB150_3664:
	s_mov_b32 s3, -1
.LBB150_3665:
	s_mov_b32 s6, 0
.LBB150_3666:
	s_delay_alu instid0(SALU_CYCLE_1)
	s_and_b32 vcc_lo, exec_lo, s6
	s_cbranch_vccz .LBB150_3706
; %bb.3667:
	s_cmp_gt_i32 s1, 22
	s_mov_b32 s2, -1
	s_cbranch_scc0 .LBB150_3699
; %bb.3668:
	s_cmp_lt_i32 s1, 24
	s_cbranch_scc1 .LBB150_3688
; %bb.3669:
	s_cmp_gt_i32 s1, 24
	s_cbranch_scc0 .LBB150_3677
; %bb.3670:
	s_wait_xcnt 0x0
	v_and_b32_e32 v1, 0x7fffffff, v4
	v_mov_b32_e32 v5, 0x80
	s_mov_b32 s2, exec_lo
	s_delay_alu instid0(VALU_DEP_2)
	v_cmpx_gt_u32_e32 0x47800000, v1
	s_cbranch_execz .LBB150_3676
; %bb.3671:
	v_cmp_lt_u32_e32 vcc_lo, 0x37ffffff, v1
	s_mov_b32 s3, 0
                                        ; implicit-def: $vgpr1
	s_and_saveexec_b32 s6, vcc_lo
	s_delay_alu instid0(SALU_CYCLE_1)
	s_xor_b32 s6, exec_lo, s6
	s_cbranch_execz .LBB150_4115
; %bb.3672:
	v_bfe_u32 v1, v4, 21, 1
	s_mov_b32 s3, exec_lo
	s_delay_alu instid0(VALU_DEP_1) | instskip(NEXT) | instid1(VALU_DEP_1)
	v_add3_u32 v1, v4, v1, 0x88fffff
	v_lshrrev_b32_e32 v1, 21, v1
	s_and_not1_saveexec_b32 s6, s6
	s_cbranch_execnz .LBB150_4116
.LBB150_3673:
	s_or_b32 exec_lo, exec_lo, s6
	v_mov_b32_e32 v5, 0
	s_and_saveexec_b32 s6, s3
.LBB150_3674:
	v_lshrrev_b32_e32 v5, 24, v4
	s_delay_alu instid0(VALU_DEP_1)
	v_and_or_b32 v5, 0x80, v5, v1
.LBB150_3675:
	s_or_b32 exec_lo, exec_lo, s6
.LBB150_3676:
	s_delay_alu instid0(SALU_CYCLE_1)
	s_or_b32 exec_lo, exec_lo, s2
	s_mov_b32 s2, 0
	global_store_b8 v[2:3], v5, off
.LBB150_3677:
	s_and_b32 vcc_lo, exec_lo, s2
	s_cbranch_vccz .LBB150_3687
; %bb.3678:
	s_wait_xcnt 0x0
	v_and_b32_e32 v5, 0x7fffffff, v4
	s_mov_b32 s2, exec_lo
                                        ; implicit-def: $vgpr1
	s_delay_alu instid0(VALU_DEP_1)
	v_cmpx_gt_u32_e32 0x43f00000, v5
	s_xor_b32 s2, exec_lo, s2
	s_cbranch_execz .LBB150_3684
; %bb.3679:
	s_mov_b32 s3, exec_lo
                                        ; implicit-def: $vgpr1
	v_cmpx_lt_u32_e32 0x3c7fffff, v5
	s_xor_b32 s3, exec_lo, s3
; %bb.3680:
	v_bfe_u32 v1, v4, 20, 1
	s_delay_alu instid0(VALU_DEP_1) | instskip(NEXT) | instid1(VALU_DEP_1)
	v_add3_u32 v1, v4, v1, 0x407ffff
	v_and_b32_e32 v5, 0xff00000, v1
	v_lshrrev_b32_e32 v1, 20, v1
	s_delay_alu instid0(VALU_DEP_2) | instskip(NEXT) | instid1(VALU_DEP_2)
	v_cmp_ne_u32_e32 vcc_lo, 0x7f00000, v5
	v_cndmask_b32_e32 v1, 0x7e, v1, vcc_lo
; %bb.3681:
	s_and_not1_saveexec_b32 s3, s3
; %bb.3682:
	v_add_f32_e64 v1, 0x46800000, |v4|
; %bb.3683:
	s_or_b32 exec_lo, exec_lo, s3
                                        ; implicit-def: $vgpr5
.LBB150_3684:
	s_and_not1_saveexec_b32 s2, s2
; %bb.3685:
	v_mov_b32_e32 v1, 0x7f
	v_cmp_lt_u32_e32 vcc_lo, 0x7f800000, v5
	s_delay_alu instid0(VALU_DEP_2)
	v_cndmask_b32_e32 v1, 0x7e, v1, vcc_lo
; %bb.3686:
	s_or_b32 exec_lo, exec_lo, s2
	v_lshrrev_b32_e32 v5, 24, v4
	s_delay_alu instid0(VALU_DEP_1)
	v_and_or_b32 v1, 0x80, v5, v1
	global_store_b8 v[2:3], v1, off
.LBB150_3687:
	s_mov_b32 s2, 0
.LBB150_3688:
	s_delay_alu instid0(SALU_CYCLE_1)
	s_and_not1_b32 vcc_lo, exec_lo, s2
	s_cbranch_vccnz .LBB150_3698
; %bb.3689:
	s_wait_xcnt 0x0
	v_and_b32_e32 v5, 0x7fffffff, v4
	s_mov_b32 s2, exec_lo
                                        ; implicit-def: $vgpr1
	s_delay_alu instid0(VALU_DEP_1)
	v_cmpx_gt_u32_e32 0x47800000, v5
	s_xor_b32 s2, exec_lo, s2
	s_cbranch_execz .LBB150_3695
; %bb.3690:
	s_mov_b32 s3, exec_lo
                                        ; implicit-def: $vgpr1
	v_cmpx_lt_u32_e32 0x387fffff, v5
	s_xor_b32 s3, exec_lo, s3
; %bb.3691:
	v_bfe_u32 v1, v4, 21, 1
	s_delay_alu instid0(VALU_DEP_1) | instskip(NEXT) | instid1(VALU_DEP_1)
	v_add3_u32 v1, v4, v1, 0x80fffff
	v_lshrrev_b32_e32 v1, 21, v1
; %bb.3692:
	s_and_not1_saveexec_b32 s3, s3
; %bb.3693:
	v_add_f32_e64 v1, 0x43000000, |v4|
; %bb.3694:
	s_or_b32 exec_lo, exec_lo, s3
                                        ; implicit-def: $vgpr5
.LBB150_3695:
	s_and_not1_saveexec_b32 s2, s2
; %bb.3696:
	v_mov_b32_e32 v1, 0x7f
	v_cmp_lt_u32_e32 vcc_lo, 0x7f800000, v5
	s_delay_alu instid0(VALU_DEP_2)
	v_cndmask_b32_e32 v1, 0x7c, v1, vcc_lo
; %bb.3697:
	s_or_b32 exec_lo, exec_lo, s2
	v_lshrrev_b32_e32 v5, 24, v4
	s_delay_alu instid0(VALU_DEP_1)
	v_and_or_b32 v1, 0x80, v5, v1
	global_store_b8 v[2:3], v1, off
.LBB150_3698:
	s_mov_b32 s2, 0
	s_mov_b32 s3, -1
.LBB150_3699:
	s_and_not1_b32 vcc_lo, exec_lo, s2
	s_mov_b32 s2, 0
	s_cbranch_vccnz .LBB150_3706
; %bb.3700:
	s_cmp_gt_i32 s1, 14
	s_mov_b32 s2, -1
	s_cbranch_scc0 .LBB150_3704
; %bb.3701:
	s_cmp_eq_u32 s1, 15
	s_mov_b32 s0, -1
	s_cbranch_scc0 .LBB150_3703
; %bb.3702:
	s_wait_xcnt 0x0
	v_bfe_u32 v1, v4, 16, 1
	v_cmp_o_f32_e32 vcc_lo, v4, v4
	s_mov_b32 s0, 0
	s_mov_b32 s3, -1
	s_delay_alu instid0(VALU_DEP_2) | instskip(NEXT) | instid1(VALU_DEP_1)
	v_add3_u32 v1, v4, v1, 0x7fff
	v_lshrrev_b32_e32 v1, 16, v1
	s_delay_alu instid0(VALU_DEP_1)
	v_cndmask_b32_e32 v1, 0x7fc0, v1, vcc_lo
	global_store_b16 v[2:3], v1, off
.LBB150_3703:
	s_mov_b32 s2, 0
.LBB150_3704:
	s_delay_alu instid0(SALU_CYCLE_1)
	s_and_b32 vcc_lo, exec_lo, s2
	s_mov_b32 s2, 0
	s_cbranch_vccz .LBB150_3706
; %bb.3705:
	s_cmp_lg_u32 s1, 11
	s_mov_b32 s2, -1
	s_cselect_b32 s0, -1, 0
.LBB150_3706:
	s_delay_alu instid0(SALU_CYCLE_1)
	s_and_b32 vcc_lo, exec_lo, s0
	s_cbranch_vccnz .LBB150_4114
; %bb.3707:
	s_and_not1_b32 vcc_lo, exec_lo, s2
	s_cbranch_vccnz .LBB150_3709
.LBB150_3708:
	v_cmp_neq_f32_e32 vcc_lo, 0, v4
	s_mov_b32 s3, -1
	s_wait_xcnt 0x0
	v_cndmask_b32_e64 v1, 0, 1, vcc_lo
	global_store_b8 v[2:3], v1, off
.LBB150_3709:
	s_mov_b32 s0, 0
	s_branch .LBB150_3711
.LBB150_3710:
	s_mov_b32 s0, -1
	s_mov_b32 s3, 0
.LBB150_3711:
	s_and_b32 vcc_lo, exec_lo, s0
	s_cbranch_vccz .LBB150_3750
; %bb.3712:
	s_and_b32 s0, 0xffff, s20
	s_mov_b32 s1, -1
	s_cmp_lt_i32 s0, 5
	s_cbranch_scc1 .LBB150_3733
; %bb.3713:
	s_cmp_lt_i32 s0, 8
	s_cbranch_scc1 .LBB150_3723
; %bb.3714:
	;; [unrolled: 3-line block ×3, first 2 shown]
	s_cmp_gt_i32 s0, 9
	s_cbranch_scc0 .LBB150_3717
; %bb.3716:
	v_cvt_f64_f32_e32 v[20:21], v4
	v_mov_b32_e32 v22, 0
	s_mov_b32 s1, 0
	s_delay_alu instid0(VALU_DEP_1)
	v_mov_b32_e32 v23, v22
	global_store_b128 v[2:3], v[20:23], off
.LBB150_3717:
	s_and_not1_b32 vcc_lo, exec_lo, s1
	s_cbranch_vccnz .LBB150_3719
; %bb.3718:
	s_wait_xcnt 0x0
	v_mov_b32_e32 v5, 0
	global_store_b64 v[2:3], v[4:5], off
.LBB150_3719:
	s_mov_b32 s1, 0
.LBB150_3720:
	s_delay_alu instid0(SALU_CYCLE_1)
	s_and_not1_b32 vcc_lo, exec_lo, s1
	s_cbranch_vccnz .LBB150_3722
; %bb.3721:
	s_wait_xcnt 0x0
	v_cvt_f16_f32_e32 v1, v4
	s_delay_alu instid0(VALU_DEP_1)
	v_and_b32_e32 v1, 0xffff, v1
	global_store_b32 v[2:3], v1, off
.LBB150_3722:
	s_mov_b32 s1, 0
.LBB150_3723:
	s_delay_alu instid0(SALU_CYCLE_1)
	s_and_not1_b32 vcc_lo, exec_lo, s1
	s_cbranch_vccnz .LBB150_3732
; %bb.3724:
	s_cmp_lt_i32 s0, 6
	s_mov_b32 s1, -1
	s_cbranch_scc1 .LBB150_3730
; %bb.3725:
	s_cmp_gt_i32 s0, 6
	s_cbranch_scc0 .LBB150_3727
; %bb.3726:
	s_wait_xcnt 0x0
	v_cvt_f64_f32_e32 v[8:9], v4
	s_mov_b32 s1, 0
	global_store_b64 v[2:3], v[8:9], off
.LBB150_3727:
	s_and_not1_b32 vcc_lo, exec_lo, s1
	s_cbranch_vccnz .LBB150_3729
; %bb.3728:
	global_store_b32 v[2:3], v4, off
.LBB150_3729:
	s_mov_b32 s1, 0
.LBB150_3730:
	s_delay_alu instid0(SALU_CYCLE_1)
	s_and_not1_b32 vcc_lo, exec_lo, s1
	s_cbranch_vccnz .LBB150_3732
; %bb.3731:
	s_wait_xcnt 0x0
	v_cvt_f16_f32_e32 v1, v4
	global_store_b16 v[2:3], v1, off
.LBB150_3732:
	s_mov_b32 s1, 0
.LBB150_3733:
	s_delay_alu instid0(SALU_CYCLE_1)
	s_and_not1_b32 vcc_lo, exec_lo, s1
	s_cbranch_vccnz .LBB150_3749
; %bb.3734:
	s_cmp_lt_i32 s0, 2
	s_mov_b32 s1, -1
	s_cbranch_scc1 .LBB150_3744
; %bb.3735:
	s_cmp_lt_i32 s0, 3
	s_cbranch_scc1 .LBB150_3741
; %bb.3736:
	s_cmp_gt_i32 s0, 3
	s_cbranch_scc0 .LBB150_3738
; %bb.3737:
	s_wait_xcnt 0x0
	v_trunc_f32_e32 v1, v4
	s_mov_b32 s1, 0
	s_delay_alu instid0(VALU_DEP_1) | instskip(SKIP_1) | instid1(VALU_DEP_2)
	v_mul_f32_e64 v5, 0x2f800000, |v1|
	v_ashrrev_i32_e32 v8, 31, v1
	v_floor_f32_e32 v5, v5
	s_delay_alu instid0(VALU_DEP_1) | instskip(SKIP_1) | instid1(VALU_DEP_2)
	v_fma_f32 v9, 0xcf800000, v5, |v1|
	v_cvt_u32_f32_e32 v1, v5
	v_cvt_u32_f32_e32 v5, v9
	s_delay_alu instid0(VALU_DEP_2) | instskip(NEXT) | instid1(VALU_DEP_2)
	v_dual_mov_b32 v9, v8 :: v_dual_bitop2_b32 v21, v1, v8 bitop3:0x14
	v_xor_b32_e32 v20, v5, v8
	s_delay_alu instid0(VALU_DEP_1)
	v_sub_nc_u64_e32 v[8:9], v[20:21], v[8:9]
	global_store_b64 v[2:3], v[8:9], off
.LBB150_3738:
	s_and_not1_b32 vcc_lo, exec_lo, s1
	s_cbranch_vccnz .LBB150_3740
; %bb.3739:
	s_wait_xcnt 0x0
	v_cvt_i32_f32_e32 v1, v4
	global_store_b32 v[2:3], v1, off
.LBB150_3740:
	s_mov_b32 s1, 0
.LBB150_3741:
	s_delay_alu instid0(SALU_CYCLE_1)
	s_and_not1_b32 vcc_lo, exec_lo, s1
	s_cbranch_vccnz .LBB150_3743
; %bb.3742:
	s_wait_xcnt 0x0
	v_cvt_i32_f32_e32 v1, v4
	global_store_b16 v[2:3], v1, off
.LBB150_3743:
	s_mov_b32 s1, 0
.LBB150_3744:
	s_delay_alu instid0(SALU_CYCLE_1)
	s_and_not1_b32 vcc_lo, exec_lo, s1
	s_cbranch_vccnz .LBB150_3749
; %bb.3745:
	s_cmp_gt_i32 s0, 0
	s_mov_b32 s0, -1
	s_cbranch_scc0 .LBB150_3747
; %bb.3746:
	s_wait_xcnt 0x0
	v_cvt_i32_f32_e32 v1, v4
	s_mov_b32 s0, 0
	global_store_b8 v[2:3], v1, off
.LBB150_3747:
	s_and_not1_b32 vcc_lo, exec_lo, s0
	s_cbranch_vccnz .LBB150_3749
; %bb.3748:
	s_wait_xcnt 0x0
	v_trunc_f32_e32 v1, v4
	s_delay_alu instid0(VALU_DEP_1) | instskip(NEXT) | instid1(VALU_DEP_1)
	v_mul_f32_e64 v4, 0x2f800000, |v1|
	v_floor_f32_e32 v4, v4
	s_delay_alu instid0(VALU_DEP_1) | instskip(SKIP_1) | instid1(VALU_DEP_2)
	v_fma_f32 v4, 0xcf800000, v4, |v1|
	v_ashrrev_i32_e32 v1, 31, v1
	v_cvt_u32_f32_e32 v4, v4
	s_delay_alu instid0(VALU_DEP_1) | instskip(NEXT) | instid1(VALU_DEP_1)
	v_xor_b32_e32 v4, v4, v1
	v_sub_nc_u32_e32 v1, v4, v1
	global_store_b8 v[2:3], v1, off
.LBB150_3749:
	s_mov_b32 s3, -1
.LBB150_3750:
	s_delay_alu instid0(SALU_CYCLE_1)
	s_and_not1_b32 vcc_lo, exec_lo, s3
	s_cbranch_vccnz .LBB150_4065
; %bb.3751:
	s_wait_xcnt 0x0
	v_dual_max_num_f32 v1, v13, v13 :: v_dual_max_num_f32 v2, v11, v11
	s_lshl_b32 s1, s12, 7
	s_delay_alu instid0(SALU_CYCLE_1) | instskip(SKIP_2) | instid1(VALU_DEP_2)
	v_dual_max_num_f32 v3, v15, v15 :: v_dual_add_nc_u32 v0, s1, v0
	v_cmp_u_f32_e32 vcc_lo, v15, v15
	s_cmp_lt_i32 s20, 11
	v_maxmin_num_f32 v1, v2, v1, v3
	s_delay_alu instid0(VALU_DEP_1) | instskip(SKIP_1) | instid1(VALU_DEP_2)
	v_dual_cndmask_b32 v2, v1, v15 :: v_dual_ashrrev_i32 v1, 31, v0
	v_cmp_u_f32_e32 vcc_lo, v13, v13
	v_cndmask_b32_e32 v4, v2, v13, vcc_lo
	v_cmp_u_f32_e32 vcc_lo, v11, v11
	s_delay_alu instid0(VALU_DEP_4) | instskip(NEXT) | instid1(VALU_DEP_3)
	v_add_nc_u64_e32 v[2:3], s[4:5], v[0:1]
	v_cndmask_b32_e32 v4, v4, v11, vcc_lo
	s_cbranch_scc1 .LBB150_3829
; %bb.3752:
	s_and_b32 s2, 0xffff, s20
	s_mov_b32 s7, -1
	s_mov_b32 s3, 0
	s_cmp_gt_i32 s2, 25
	s_mov_b32 s6, 0
	s_mov_b32 s0, 0
	s_cbranch_scc0 .LBB150_3785
; %bb.3753:
	s_cmp_gt_i32 s2, 28
	s_cbranch_scc0 .LBB150_3768
; %bb.3754:
	s_cmp_gt_i32 s2, 43
	;; [unrolled: 3-line block ×3, first 2 shown]
	s_cbranch_scc0 .LBB150_3758
; %bb.3756:
	s_mov_b32 s0, -1
	s_mov_b32 s7, 0
	s_cmp_eq_u32 s2, 46
	s_cbranch_scc0 .LBB150_3758
; %bb.3757:
	v_bfe_u32 v1, v4, 16, 1
	v_cmp_o_f32_e32 vcc_lo, v4, v4
	s_mov_b32 s0, 0
	s_mov_b32 s6, -1
	s_delay_alu instid0(VALU_DEP_2) | instskip(NEXT) | instid1(VALU_DEP_1)
	v_add3_u32 v1, v4, v1, 0x7fff
	v_lshrrev_b32_e32 v1, 16, v1
	s_delay_alu instid0(VALU_DEP_1)
	v_cndmask_b32_e32 v1, 0x7fc0, v1, vcc_lo
	global_store_b32 v[2:3], v1, off
.LBB150_3758:
	s_and_b32 vcc_lo, exec_lo, s7
	s_cbranch_vccz .LBB150_3763
; %bb.3759:
	s_cmp_eq_u32 s2, 44
	s_mov_b32 s0, -1
	s_cbranch_scc0 .LBB150_3763
; %bb.3760:
	v_bfe_u32 v5, v4, 23, 8
	s_wait_xcnt 0x0
	v_mov_b32_e32 v1, 0xff
	s_mov_b32 s6, exec_lo
	s_delay_alu instid0(VALU_DEP_2)
	v_cmpx_ne_u32_e32 0xff, v5
	s_cbranch_execz .LBB150_3762
; %bb.3761:
	v_and_b32_e32 v1, 0x400000, v4
	v_and_or_b32 v5, 0x3fffff, v4, v5
	s_delay_alu instid0(VALU_DEP_2) | instskip(NEXT) | instid1(VALU_DEP_2)
	v_cmp_ne_u32_e32 vcc_lo, 0, v1
	v_cmp_ne_u32_e64 s0, 0, v5
	v_lshrrev_b32_e32 v1, 23, v4
	s_and_b32 s0, vcc_lo, s0
	s_delay_alu instid0(SALU_CYCLE_1) | instskip(NEXT) | instid1(VALU_DEP_1)
	v_cndmask_b32_e64 v5, 0, 1, s0
	v_add_nc_u32_e32 v1, v1, v5
.LBB150_3762:
	s_or_b32 exec_lo, exec_lo, s6
	s_mov_b32 s0, 0
	s_mov_b32 s6, -1
	global_store_b8 v[2:3], v1, off
.LBB150_3763:
	s_mov_b32 s7, 0
.LBB150_3764:
	s_delay_alu instid0(SALU_CYCLE_1)
	s_and_b32 vcc_lo, exec_lo, s7
	s_cbranch_vccz .LBB150_3767
; %bb.3765:
	s_cmp_eq_u32 s2, 29
	s_mov_b32 s0, -1
	s_cbranch_scc0 .LBB150_3767
; %bb.3766:
	s_wait_xcnt 0x0
	v_trunc_f32_e32 v1, v4
	s_mov_b32 s0, 0
	s_mov_b32 s6, -1
	s_delay_alu instid0(VALU_DEP_1) | instskip(NEXT) | instid1(VALU_DEP_1)
	v_mul_f32_e32 v5, 0x2f800000, v1
	v_floor_f32_e32 v5, v5
	s_delay_alu instid0(VALU_DEP_1) | instskip(SKIP_1) | instid1(VALU_DEP_2)
	v_fmamk_f32 v1, v5, 0xcf800000, v1
	v_cvt_u32_f32_e32 v9, v5
	v_cvt_u32_f32_e32 v8, v1
	global_store_b64 v[2:3], v[8:9], off
.LBB150_3767:
	s_mov_b32 s7, 0
.LBB150_3768:
	s_delay_alu instid0(SALU_CYCLE_1)
	s_and_b32 vcc_lo, exec_lo, s7
	s_cbranch_vccz .LBB150_3784
; %bb.3769:
	s_cmp_lt_i32 s2, 27
	s_mov_b32 s6, -1
	s_cbranch_scc1 .LBB150_3775
; %bb.3770:
	s_wait_xcnt 0x0
	v_cvt_u32_f32_e32 v1, v4
	s_cmp_gt_i32 s2, 27
	s_cbranch_scc0 .LBB150_3772
; %bb.3771:
	s_mov_b32 s6, 0
	global_store_b32 v[2:3], v1, off
.LBB150_3772:
	s_and_not1_b32 vcc_lo, exec_lo, s6
	s_cbranch_vccnz .LBB150_3774
; %bb.3773:
	global_store_b16 v[2:3], v1, off
.LBB150_3774:
	s_mov_b32 s6, 0
.LBB150_3775:
	s_delay_alu instid0(SALU_CYCLE_1)
	s_and_not1_b32 vcc_lo, exec_lo, s6
	s_cbranch_vccnz .LBB150_3783
; %bb.3776:
	s_wait_xcnt 0x0
	v_and_b32_e32 v1, 0x7fffffff, v4
	v_mov_b32_e32 v5, 0x80
	s_mov_b32 s6, exec_lo
	s_delay_alu instid0(VALU_DEP_2)
	v_cmpx_gt_u32_e32 0x43800000, v1
	s_cbranch_execz .LBB150_3782
; %bb.3777:
	v_cmp_lt_u32_e32 vcc_lo, 0x3bffffff, v1
	s_mov_b32 s7, 0
                                        ; implicit-def: $vgpr1
	s_and_saveexec_b32 s8, vcc_lo
	s_delay_alu instid0(SALU_CYCLE_1)
	s_xor_b32 s8, exec_lo, s8
	s_cbranch_execz .LBB150_4117
; %bb.3778:
	v_bfe_u32 v1, v4, 20, 1
	s_mov_b32 s7, exec_lo
	s_delay_alu instid0(VALU_DEP_1) | instskip(NEXT) | instid1(VALU_DEP_1)
	v_add3_u32 v1, v4, v1, 0x487ffff
	v_lshrrev_b32_e32 v1, 20, v1
	s_and_not1_saveexec_b32 s8, s8
	s_cbranch_execnz .LBB150_4118
.LBB150_3779:
	s_or_b32 exec_lo, exec_lo, s8
	v_mov_b32_e32 v5, 0
	s_and_saveexec_b32 s8, s7
.LBB150_3780:
	v_lshrrev_b32_e32 v5, 24, v4
	s_delay_alu instid0(VALU_DEP_1)
	v_and_or_b32 v5, 0x80, v5, v1
.LBB150_3781:
	s_or_b32 exec_lo, exec_lo, s8
.LBB150_3782:
	s_delay_alu instid0(SALU_CYCLE_1)
	s_or_b32 exec_lo, exec_lo, s6
	global_store_b8 v[2:3], v5, off
.LBB150_3783:
	s_mov_b32 s6, -1
.LBB150_3784:
	s_mov_b32 s7, 0
.LBB150_3785:
	s_delay_alu instid0(SALU_CYCLE_1)
	s_and_b32 vcc_lo, exec_lo, s7
	s_cbranch_vccz .LBB150_3825
; %bb.3786:
	s_cmp_gt_i32 s2, 22
	s_mov_b32 s3, -1
	s_cbranch_scc0 .LBB150_3818
; %bb.3787:
	s_cmp_lt_i32 s2, 24
	s_cbranch_scc1 .LBB150_3807
; %bb.3788:
	s_cmp_gt_i32 s2, 24
	s_cbranch_scc0 .LBB150_3796
; %bb.3789:
	s_wait_xcnt 0x0
	v_and_b32_e32 v1, 0x7fffffff, v4
	v_mov_b32_e32 v5, 0x80
	s_mov_b32 s3, exec_lo
	s_delay_alu instid0(VALU_DEP_2)
	v_cmpx_gt_u32_e32 0x47800000, v1
	s_cbranch_execz .LBB150_3795
; %bb.3790:
	v_cmp_lt_u32_e32 vcc_lo, 0x37ffffff, v1
	s_mov_b32 s6, 0
                                        ; implicit-def: $vgpr1
	s_and_saveexec_b32 s7, vcc_lo
	s_delay_alu instid0(SALU_CYCLE_1)
	s_xor_b32 s7, exec_lo, s7
	s_cbranch_execz .LBB150_4120
; %bb.3791:
	v_bfe_u32 v1, v4, 21, 1
	s_mov_b32 s6, exec_lo
	s_delay_alu instid0(VALU_DEP_1) | instskip(NEXT) | instid1(VALU_DEP_1)
	v_add3_u32 v1, v4, v1, 0x88fffff
	v_lshrrev_b32_e32 v1, 21, v1
	s_and_not1_saveexec_b32 s7, s7
	s_cbranch_execnz .LBB150_4121
.LBB150_3792:
	s_or_b32 exec_lo, exec_lo, s7
	v_mov_b32_e32 v5, 0
	s_and_saveexec_b32 s7, s6
.LBB150_3793:
	v_lshrrev_b32_e32 v5, 24, v4
	s_delay_alu instid0(VALU_DEP_1)
	v_and_or_b32 v5, 0x80, v5, v1
.LBB150_3794:
	s_or_b32 exec_lo, exec_lo, s7
.LBB150_3795:
	s_delay_alu instid0(SALU_CYCLE_1)
	s_or_b32 exec_lo, exec_lo, s3
	s_mov_b32 s3, 0
	global_store_b8 v[2:3], v5, off
.LBB150_3796:
	s_and_b32 vcc_lo, exec_lo, s3
	s_cbranch_vccz .LBB150_3806
; %bb.3797:
	s_wait_xcnt 0x0
	v_and_b32_e32 v5, 0x7fffffff, v4
	s_mov_b32 s3, exec_lo
                                        ; implicit-def: $vgpr1
	s_delay_alu instid0(VALU_DEP_1)
	v_cmpx_gt_u32_e32 0x43f00000, v5
	s_xor_b32 s3, exec_lo, s3
	s_cbranch_execz .LBB150_3803
; %bb.3798:
	s_mov_b32 s6, exec_lo
                                        ; implicit-def: $vgpr1
	v_cmpx_lt_u32_e32 0x3c7fffff, v5
	s_xor_b32 s6, exec_lo, s6
; %bb.3799:
	v_bfe_u32 v1, v4, 20, 1
	s_delay_alu instid0(VALU_DEP_1) | instskip(NEXT) | instid1(VALU_DEP_1)
	v_add3_u32 v1, v4, v1, 0x407ffff
	v_and_b32_e32 v5, 0xff00000, v1
	v_lshrrev_b32_e32 v1, 20, v1
	s_delay_alu instid0(VALU_DEP_2) | instskip(NEXT) | instid1(VALU_DEP_2)
	v_cmp_ne_u32_e32 vcc_lo, 0x7f00000, v5
	v_cndmask_b32_e32 v1, 0x7e, v1, vcc_lo
; %bb.3800:
	s_and_not1_saveexec_b32 s6, s6
; %bb.3801:
	v_add_f32_e64 v1, 0x46800000, |v4|
; %bb.3802:
	s_or_b32 exec_lo, exec_lo, s6
                                        ; implicit-def: $vgpr5
.LBB150_3803:
	s_and_not1_saveexec_b32 s3, s3
; %bb.3804:
	v_mov_b32_e32 v1, 0x7f
	v_cmp_lt_u32_e32 vcc_lo, 0x7f800000, v5
	s_delay_alu instid0(VALU_DEP_2)
	v_cndmask_b32_e32 v1, 0x7e, v1, vcc_lo
; %bb.3805:
	s_or_b32 exec_lo, exec_lo, s3
	v_lshrrev_b32_e32 v5, 24, v4
	s_delay_alu instid0(VALU_DEP_1)
	v_and_or_b32 v1, 0x80, v5, v1
	global_store_b8 v[2:3], v1, off
.LBB150_3806:
	s_mov_b32 s3, 0
.LBB150_3807:
	s_delay_alu instid0(SALU_CYCLE_1)
	s_and_not1_b32 vcc_lo, exec_lo, s3
	s_cbranch_vccnz .LBB150_3817
; %bb.3808:
	s_wait_xcnt 0x0
	v_and_b32_e32 v5, 0x7fffffff, v4
	s_mov_b32 s3, exec_lo
                                        ; implicit-def: $vgpr1
	s_delay_alu instid0(VALU_DEP_1)
	v_cmpx_gt_u32_e32 0x47800000, v5
	s_xor_b32 s3, exec_lo, s3
	s_cbranch_execz .LBB150_3814
; %bb.3809:
	s_mov_b32 s6, exec_lo
                                        ; implicit-def: $vgpr1
	v_cmpx_lt_u32_e32 0x387fffff, v5
	s_xor_b32 s6, exec_lo, s6
; %bb.3810:
	v_bfe_u32 v1, v4, 21, 1
	s_delay_alu instid0(VALU_DEP_1) | instskip(NEXT) | instid1(VALU_DEP_1)
	v_add3_u32 v1, v4, v1, 0x80fffff
	v_lshrrev_b32_e32 v1, 21, v1
; %bb.3811:
	s_and_not1_saveexec_b32 s6, s6
; %bb.3812:
	v_add_f32_e64 v1, 0x43000000, |v4|
; %bb.3813:
	s_or_b32 exec_lo, exec_lo, s6
                                        ; implicit-def: $vgpr5
.LBB150_3814:
	s_and_not1_saveexec_b32 s3, s3
; %bb.3815:
	v_mov_b32_e32 v1, 0x7f
	v_cmp_lt_u32_e32 vcc_lo, 0x7f800000, v5
	s_delay_alu instid0(VALU_DEP_2)
	v_cndmask_b32_e32 v1, 0x7c, v1, vcc_lo
; %bb.3816:
	s_or_b32 exec_lo, exec_lo, s3
	v_lshrrev_b32_e32 v5, 24, v4
	s_delay_alu instid0(VALU_DEP_1)
	v_and_or_b32 v1, 0x80, v5, v1
	global_store_b8 v[2:3], v1, off
.LBB150_3817:
	s_mov_b32 s3, 0
	s_mov_b32 s6, -1
.LBB150_3818:
	s_and_not1_b32 vcc_lo, exec_lo, s3
	s_mov_b32 s3, 0
	s_cbranch_vccnz .LBB150_3825
; %bb.3819:
	s_cmp_gt_i32 s2, 14
	s_mov_b32 s3, -1
	s_cbranch_scc0 .LBB150_3823
; %bb.3820:
	s_cmp_eq_u32 s2, 15
	s_mov_b32 s0, -1
	s_cbranch_scc0 .LBB150_3822
; %bb.3821:
	s_wait_xcnt 0x0
	v_bfe_u32 v1, v4, 16, 1
	v_cmp_o_f32_e32 vcc_lo, v4, v4
	s_mov_b32 s0, 0
	s_mov_b32 s6, -1
	s_delay_alu instid0(VALU_DEP_2) | instskip(NEXT) | instid1(VALU_DEP_1)
	v_add3_u32 v1, v4, v1, 0x7fff
	v_lshrrev_b32_e32 v1, 16, v1
	s_delay_alu instid0(VALU_DEP_1)
	v_cndmask_b32_e32 v1, 0x7fc0, v1, vcc_lo
	global_store_b16 v[2:3], v1, off
.LBB150_3822:
	s_mov_b32 s3, 0
.LBB150_3823:
	s_delay_alu instid0(SALU_CYCLE_1)
	s_and_b32 vcc_lo, exec_lo, s3
	s_mov_b32 s3, 0
	s_cbranch_vccz .LBB150_3825
; %bb.3824:
	s_cmp_lg_u32 s2, 11
	s_mov_b32 s3, -1
	s_cselect_b32 s0, -1, 0
.LBB150_3825:
	s_delay_alu instid0(SALU_CYCLE_1)
	s_and_b32 vcc_lo, exec_lo, s0
	s_cbranch_vccnz .LBB150_4119
; %bb.3826:
	s_and_not1_b32 vcc_lo, exec_lo, s3
	s_cbranch_vccnz .LBB150_3828
.LBB150_3827:
	v_cmp_neq_f32_e32 vcc_lo, 0, v4
	s_mov_b32 s6, -1
	s_wait_xcnt 0x0
	v_cndmask_b32_e64 v1, 0, 1, vcc_lo
	global_store_b8 v[2:3], v1, off
.LBB150_3828:
	s_mov_b32 s0, 0
	s_branch .LBB150_3830
.LBB150_3829:
	s_mov_b32 s0, -1
	s_mov_b32 s6, 0
.LBB150_3830:
	s_and_b32 vcc_lo, exec_lo, s0
	s_cbranch_vccz .LBB150_3869
; %bb.3831:
	s_and_b32 s0, 0xffff, s20
	s_mov_b32 s2, -1
	s_cmp_lt_i32 s0, 5
	s_cbranch_scc1 .LBB150_3852
; %bb.3832:
	s_cmp_lt_i32 s0, 8
	s_cbranch_scc1 .LBB150_3842
; %bb.3833:
	;; [unrolled: 3-line block ×3, first 2 shown]
	s_cmp_gt_i32 s0, 9
	s_cbranch_scc0 .LBB150_3836
; %bb.3835:
	s_wait_xcnt 0x0
	v_cvt_f64_f32_e32 v[8:9], v4
	v_mov_b32_e32 v10, 0
	s_mov_b32 s2, 0
	s_delay_alu instid0(VALU_DEP_1)
	v_mov_b32_e32 v11, v10
	global_store_b128 v[2:3], v[8:11], off
.LBB150_3836:
	s_and_not1_b32 vcc_lo, exec_lo, s2
	s_cbranch_vccnz .LBB150_3838
; %bb.3837:
	s_wait_xcnt 0x0
	v_mov_b32_e32 v5, 0
	global_store_b64 v[2:3], v[4:5], off
.LBB150_3838:
	s_mov_b32 s2, 0
.LBB150_3839:
	s_delay_alu instid0(SALU_CYCLE_1)
	s_and_not1_b32 vcc_lo, exec_lo, s2
	s_cbranch_vccnz .LBB150_3841
; %bb.3840:
	s_wait_xcnt 0x0
	v_cvt_f16_f32_e32 v1, v4
	s_delay_alu instid0(VALU_DEP_1)
	v_and_b32_e32 v1, 0xffff, v1
	global_store_b32 v[2:3], v1, off
.LBB150_3841:
	s_mov_b32 s2, 0
.LBB150_3842:
	s_delay_alu instid0(SALU_CYCLE_1)
	s_and_not1_b32 vcc_lo, exec_lo, s2
	s_cbranch_vccnz .LBB150_3851
; %bb.3843:
	s_cmp_lt_i32 s0, 6
	s_mov_b32 s2, -1
	s_cbranch_scc1 .LBB150_3849
; %bb.3844:
	s_cmp_gt_i32 s0, 6
	s_cbranch_scc0 .LBB150_3846
; %bb.3845:
	s_wait_xcnt 0x0
	v_cvt_f64_f32_e32 v[8:9], v4
	s_mov_b32 s2, 0
	global_store_b64 v[2:3], v[8:9], off
.LBB150_3846:
	s_and_not1_b32 vcc_lo, exec_lo, s2
	s_cbranch_vccnz .LBB150_3848
; %bb.3847:
	global_store_b32 v[2:3], v4, off
.LBB150_3848:
	s_mov_b32 s2, 0
.LBB150_3849:
	s_delay_alu instid0(SALU_CYCLE_1)
	s_and_not1_b32 vcc_lo, exec_lo, s2
	s_cbranch_vccnz .LBB150_3851
; %bb.3850:
	s_wait_xcnt 0x0
	v_cvt_f16_f32_e32 v1, v4
	global_store_b16 v[2:3], v1, off
.LBB150_3851:
	s_mov_b32 s2, 0
.LBB150_3852:
	s_delay_alu instid0(SALU_CYCLE_1)
	s_and_not1_b32 vcc_lo, exec_lo, s2
	s_cbranch_vccnz .LBB150_3868
; %bb.3853:
	s_cmp_lt_i32 s0, 2
	s_mov_b32 s2, -1
	s_cbranch_scc1 .LBB150_3863
; %bb.3854:
	s_cmp_lt_i32 s0, 3
	s_cbranch_scc1 .LBB150_3860
; %bb.3855:
	s_cmp_gt_i32 s0, 3
	s_cbranch_scc0 .LBB150_3857
; %bb.3856:
	s_wait_xcnt 0x0
	v_trunc_f32_e32 v1, v4
	s_mov_b32 s2, 0
	s_delay_alu instid0(VALU_DEP_1) | instskip(SKIP_1) | instid1(VALU_DEP_2)
	v_mul_f32_e64 v5, 0x2f800000, |v1|
	v_ashrrev_i32_e32 v8, 31, v1
	v_floor_f32_e32 v5, v5
	s_delay_alu instid0(VALU_DEP_1) | instskip(SKIP_1) | instid1(VALU_DEP_2)
	v_fma_f32 v9, 0xcf800000, v5, |v1|
	v_cvt_u32_f32_e32 v1, v5
	v_cvt_u32_f32_e32 v5, v9
	s_delay_alu instid0(VALU_DEP_2) | instskip(NEXT) | instid1(VALU_DEP_2)
	v_dual_mov_b32 v9, v8 :: v_dual_bitop2_b32 v11, v1, v8 bitop3:0x14
	v_xor_b32_e32 v10, v5, v8
	s_delay_alu instid0(VALU_DEP_1)
	v_sub_nc_u64_e32 v[8:9], v[10:11], v[8:9]
	global_store_b64 v[2:3], v[8:9], off
.LBB150_3857:
	s_and_not1_b32 vcc_lo, exec_lo, s2
	s_cbranch_vccnz .LBB150_3859
; %bb.3858:
	s_wait_xcnt 0x0
	v_cvt_i32_f32_e32 v1, v4
	global_store_b32 v[2:3], v1, off
.LBB150_3859:
	s_mov_b32 s2, 0
.LBB150_3860:
	s_delay_alu instid0(SALU_CYCLE_1)
	s_and_not1_b32 vcc_lo, exec_lo, s2
	s_cbranch_vccnz .LBB150_3862
; %bb.3861:
	s_wait_xcnt 0x0
	v_cvt_i32_f32_e32 v1, v4
	global_store_b16 v[2:3], v1, off
.LBB150_3862:
	s_mov_b32 s2, 0
.LBB150_3863:
	s_delay_alu instid0(SALU_CYCLE_1)
	s_and_not1_b32 vcc_lo, exec_lo, s2
	s_cbranch_vccnz .LBB150_3868
; %bb.3864:
	s_cmp_gt_i32 s0, 0
	s_mov_b32 s0, -1
	s_cbranch_scc0 .LBB150_3866
; %bb.3865:
	s_wait_xcnt 0x0
	v_cvt_i32_f32_e32 v1, v4
	s_mov_b32 s0, 0
	global_store_b8 v[2:3], v1, off
.LBB150_3866:
	s_and_not1_b32 vcc_lo, exec_lo, s0
	s_cbranch_vccnz .LBB150_3868
; %bb.3867:
	s_wait_xcnt 0x0
	v_trunc_f32_e32 v1, v4
	s_delay_alu instid0(VALU_DEP_1) | instskip(NEXT) | instid1(VALU_DEP_1)
	v_mul_f32_e64 v4, 0x2f800000, |v1|
	v_floor_f32_e32 v4, v4
	s_delay_alu instid0(VALU_DEP_1) | instskip(SKIP_1) | instid1(VALU_DEP_2)
	v_fma_f32 v4, 0xcf800000, v4, |v1|
	v_ashrrev_i32_e32 v1, 31, v1
	v_cvt_u32_f32_e32 v4, v4
	s_delay_alu instid0(VALU_DEP_1) | instskip(NEXT) | instid1(VALU_DEP_1)
	v_xor_b32_e32 v4, v4, v1
	v_sub_nc_u32_e32 v1, v4, v1
	global_store_b8 v[2:3], v1, off
.LBB150_3868:
	s_mov_b32 s6, -1
.LBB150_3869:
	s_delay_alu instid0(SALU_CYCLE_1)
	s_and_not1_b32 vcc_lo, exec_lo, s6
	s_cbranch_vccnz .LBB150_4065
; %bb.3870:
	s_wait_xcnt 0x0
	v_dual_max_num_f32 v1, v16, v16 :: v_dual_max_num_f32 v2, v14, v14
	v_dual_max_num_f32 v3, v17, v17 :: v_dual_add_nc_u32 v0, s1, v0
	v_cmp_u_f32_e32 vcc_lo, v17, v17
	s_cmp_lt_i32 s20, 11
	s_delay_alu instid0(VALU_DEP_2) | instskip(NEXT) | instid1(VALU_DEP_1)
	v_maxmin_num_f32 v1, v2, v1, v3
	v_dual_cndmask_b32 v2, v1, v17 :: v_dual_ashrrev_i32 v1, 31, v0
	v_cmp_u_f32_e32 vcc_lo, v16, v16
	s_delay_alu instid0(VALU_DEP_2) | instskip(SKIP_1) | instid1(VALU_DEP_4)
	v_cndmask_b32_e32 v4, v2, v16, vcc_lo
	v_cmp_u_f32_e32 vcc_lo, v14, v14
	v_add_nc_u64_e32 v[2:3], s[4:5], v[0:1]
	s_delay_alu instid0(VALU_DEP_3)
	v_cndmask_b32_e32 v4, v4, v14, vcc_lo
	s_cbranch_scc1 .LBB150_3948
; %bb.3871:
	s_and_b32 s2, 0xffff, s20
	s_mov_b32 s7, -1
	s_mov_b32 s3, 0
	s_cmp_gt_i32 s2, 25
	s_mov_b32 s6, 0
	s_mov_b32 s0, 0
	s_cbranch_scc0 .LBB150_3904
; %bb.3872:
	s_cmp_gt_i32 s2, 28
	s_cbranch_scc0 .LBB150_3887
; %bb.3873:
	s_cmp_gt_i32 s2, 43
	;; [unrolled: 3-line block ×3, first 2 shown]
	s_cbranch_scc0 .LBB150_3877
; %bb.3875:
	s_mov_b32 s0, -1
	s_mov_b32 s7, 0
	s_cmp_eq_u32 s2, 46
	s_cbranch_scc0 .LBB150_3877
; %bb.3876:
	v_bfe_u32 v1, v4, 16, 1
	v_cmp_o_f32_e32 vcc_lo, v4, v4
	s_mov_b32 s0, 0
	s_mov_b32 s6, -1
	s_delay_alu instid0(VALU_DEP_2) | instskip(NEXT) | instid1(VALU_DEP_1)
	v_add3_u32 v1, v4, v1, 0x7fff
	v_lshrrev_b32_e32 v1, 16, v1
	s_delay_alu instid0(VALU_DEP_1)
	v_cndmask_b32_e32 v1, 0x7fc0, v1, vcc_lo
	global_store_b32 v[2:3], v1, off
.LBB150_3877:
	s_and_b32 vcc_lo, exec_lo, s7
	s_cbranch_vccz .LBB150_3882
; %bb.3878:
	s_cmp_eq_u32 s2, 44
	s_mov_b32 s0, -1
	s_cbranch_scc0 .LBB150_3882
; %bb.3879:
	v_bfe_u32 v5, v4, 23, 8
	s_wait_xcnt 0x0
	v_mov_b32_e32 v1, 0xff
	s_mov_b32 s6, exec_lo
	s_delay_alu instid0(VALU_DEP_2)
	v_cmpx_ne_u32_e32 0xff, v5
	s_cbranch_execz .LBB150_3881
; %bb.3880:
	v_and_b32_e32 v1, 0x400000, v4
	v_and_or_b32 v5, 0x3fffff, v4, v5
	s_delay_alu instid0(VALU_DEP_2) | instskip(NEXT) | instid1(VALU_DEP_2)
	v_cmp_ne_u32_e32 vcc_lo, 0, v1
	v_cmp_ne_u32_e64 s0, 0, v5
	v_lshrrev_b32_e32 v1, 23, v4
	s_and_b32 s0, vcc_lo, s0
	s_delay_alu instid0(SALU_CYCLE_1) | instskip(NEXT) | instid1(VALU_DEP_1)
	v_cndmask_b32_e64 v5, 0, 1, s0
	v_add_nc_u32_e32 v1, v1, v5
.LBB150_3881:
	s_or_b32 exec_lo, exec_lo, s6
	s_mov_b32 s0, 0
	s_mov_b32 s6, -1
	global_store_b8 v[2:3], v1, off
.LBB150_3882:
	s_mov_b32 s7, 0
.LBB150_3883:
	s_delay_alu instid0(SALU_CYCLE_1)
	s_and_b32 vcc_lo, exec_lo, s7
	s_cbranch_vccz .LBB150_3886
; %bb.3884:
	s_cmp_eq_u32 s2, 29
	s_mov_b32 s0, -1
	s_cbranch_scc0 .LBB150_3886
; %bb.3885:
	s_wait_xcnt 0x0
	v_trunc_f32_e32 v1, v4
	s_mov_b32 s0, 0
	s_mov_b32 s6, -1
	s_delay_alu instid0(VALU_DEP_1) | instskip(NEXT) | instid1(VALU_DEP_1)
	v_mul_f32_e32 v5, 0x2f800000, v1
	v_floor_f32_e32 v5, v5
	s_delay_alu instid0(VALU_DEP_1) | instskip(SKIP_1) | instid1(VALU_DEP_2)
	v_fmamk_f32 v1, v5, 0xcf800000, v1
	v_cvt_u32_f32_e32 v9, v5
	v_cvt_u32_f32_e32 v8, v1
	global_store_b64 v[2:3], v[8:9], off
.LBB150_3886:
	s_mov_b32 s7, 0
.LBB150_3887:
	s_delay_alu instid0(SALU_CYCLE_1)
	s_and_b32 vcc_lo, exec_lo, s7
	s_cbranch_vccz .LBB150_3903
; %bb.3888:
	s_cmp_lt_i32 s2, 27
	s_mov_b32 s6, -1
	s_cbranch_scc1 .LBB150_3894
; %bb.3889:
	s_wait_xcnt 0x0
	v_cvt_u32_f32_e32 v1, v4
	s_cmp_gt_i32 s2, 27
	s_cbranch_scc0 .LBB150_3891
; %bb.3890:
	s_mov_b32 s6, 0
	global_store_b32 v[2:3], v1, off
.LBB150_3891:
	s_and_not1_b32 vcc_lo, exec_lo, s6
	s_cbranch_vccnz .LBB150_3893
; %bb.3892:
	global_store_b16 v[2:3], v1, off
.LBB150_3893:
	s_mov_b32 s6, 0
.LBB150_3894:
	s_delay_alu instid0(SALU_CYCLE_1)
	s_and_not1_b32 vcc_lo, exec_lo, s6
	s_cbranch_vccnz .LBB150_3902
; %bb.3895:
	s_wait_xcnt 0x0
	v_and_b32_e32 v1, 0x7fffffff, v4
	v_mov_b32_e32 v5, 0x80
	s_mov_b32 s6, exec_lo
	s_delay_alu instid0(VALU_DEP_2)
	v_cmpx_gt_u32_e32 0x43800000, v1
	s_cbranch_execz .LBB150_3901
; %bb.3896:
	v_cmp_lt_u32_e32 vcc_lo, 0x3bffffff, v1
	s_mov_b32 s7, 0
                                        ; implicit-def: $vgpr1
	s_and_saveexec_b32 s8, vcc_lo
	s_delay_alu instid0(SALU_CYCLE_1)
	s_xor_b32 s8, exec_lo, s8
	s_cbranch_execz .LBB150_4122
; %bb.3897:
	v_bfe_u32 v1, v4, 20, 1
	s_mov_b32 s7, exec_lo
	s_delay_alu instid0(VALU_DEP_1) | instskip(NEXT) | instid1(VALU_DEP_1)
	v_add3_u32 v1, v4, v1, 0x487ffff
	v_lshrrev_b32_e32 v1, 20, v1
	s_and_not1_saveexec_b32 s8, s8
	s_cbranch_execnz .LBB150_4123
.LBB150_3898:
	s_or_b32 exec_lo, exec_lo, s8
	v_mov_b32_e32 v5, 0
	s_and_saveexec_b32 s8, s7
.LBB150_3899:
	v_lshrrev_b32_e32 v5, 24, v4
	s_delay_alu instid0(VALU_DEP_1)
	v_and_or_b32 v5, 0x80, v5, v1
.LBB150_3900:
	s_or_b32 exec_lo, exec_lo, s8
.LBB150_3901:
	s_delay_alu instid0(SALU_CYCLE_1)
	s_or_b32 exec_lo, exec_lo, s6
	global_store_b8 v[2:3], v5, off
.LBB150_3902:
	s_mov_b32 s6, -1
.LBB150_3903:
	s_mov_b32 s7, 0
.LBB150_3904:
	s_delay_alu instid0(SALU_CYCLE_1)
	s_and_b32 vcc_lo, exec_lo, s7
	s_cbranch_vccz .LBB150_3944
; %bb.3905:
	s_cmp_gt_i32 s2, 22
	s_mov_b32 s3, -1
	s_cbranch_scc0 .LBB150_3937
; %bb.3906:
	s_cmp_lt_i32 s2, 24
	s_cbranch_scc1 .LBB150_3926
; %bb.3907:
	s_cmp_gt_i32 s2, 24
	s_cbranch_scc0 .LBB150_3915
; %bb.3908:
	s_wait_xcnt 0x0
	v_and_b32_e32 v1, 0x7fffffff, v4
	v_mov_b32_e32 v5, 0x80
	s_mov_b32 s3, exec_lo
	s_delay_alu instid0(VALU_DEP_2)
	v_cmpx_gt_u32_e32 0x47800000, v1
	s_cbranch_execz .LBB150_3914
; %bb.3909:
	v_cmp_lt_u32_e32 vcc_lo, 0x37ffffff, v1
	s_mov_b32 s6, 0
                                        ; implicit-def: $vgpr1
	s_and_saveexec_b32 s7, vcc_lo
	s_delay_alu instid0(SALU_CYCLE_1)
	s_xor_b32 s7, exec_lo, s7
	s_cbranch_execz .LBB150_4125
; %bb.3910:
	v_bfe_u32 v1, v4, 21, 1
	s_mov_b32 s6, exec_lo
	s_delay_alu instid0(VALU_DEP_1) | instskip(NEXT) | instid1(VALU_DEP_1)
	v_add3_u32 v1, v4, v1, 0x88fffff
	v_lshrrev_b32_e32 v1, 21, v1
	s_and_not1_saveexec_b32 s7, s7
	s_cbranch_execnz .LBB150_4126
.LBB150_3911:
	s_or_b32 exec_lo, exec_lo, s7
	v_mov_b32_e32 v5, 0
	s_and_saveexec_b32 s7, s6
.LBB150_3912:
	v_lshrrev_b32_e32 v5, 24, v4
	s_delay_alu instid0(VALU_DEP_1)
	v_and_or_b32 v5, 0x80, v5, v1
.LBB150_3913:
	s_or_b32 exec_lo, exec_lo, s7
.LBB150_3914:
	s_delay_alu instid0(SALU_CYCLE_1)
	s_or_b32 exec_lo, exec_lo, s3
	s_mov_b32 s3, 0
	global_store_b8 v[2:3], v5, off
.LBB150_3915:
	s_and_b32 vcc_lo, exec_lo, s3
	s_cbranch_vccz .LBB150_3925
; %bb.3916:
	s_wait_xcnt 0x0
	v_and_b32_e32 v5, 0x7fffffff, v4
	s_mov_b32 s3, exec_lo
                                        ; implicit-def: $vgpr1
	s_delay_alu instid0(VALU_DEP_1)
	v_cmpx_gt_u32_e32 0x43f00000, v5
	s_xor_b32 s3, exec_lo, s3
	s_cbranch_execz .LBB150_3922
; %bb.3917:
	s_mov_b32 s6, exec_lo
                                        ; implicit-def: $vgpr1
	v_cmpx_lt_u32_e32 0x3c7fffff, v5
	s_xor_b32 s6, exec_lo, s6
; %bb.3918:
	v_bfe_u32 v1, v4, 20, 1
	s_delay_alu instid0(VALU_DEP_1) | instskip(NEXT) | instid1(VALU_DEP_1)
	v_add3_u32 v1, v4, v1, 0x407ffff
	v_and_b32_e32 v5, 0xff00000, v1
	v_lshrrev_b32_e32 v1, 20, v1
	s_delay_alu instid0(VALU_DEP_2) | instskip(NEXT) | instid1(VALU_DEP_2)
	v_cmp_ne_u32_e32 vcc_lo, 0x7f00000, v5
	v_cndmask_b32_e32 v1, 0x7e, v1, vcc_lo
; %bb.3919:
	s_and_not1_saveexec_b32 s6, s6
; %bb.3920:
	v_add_f32_e64 v1, 0x46800000, |v4|
; %bb.3921:
	s_or_b32 exec_lo, exec_lo, s6
                                        ; implicit-def: $vgpr5
.LBB150_3922:
	s_and_not1_saveexec_b32 s3, s3
; %bb.3923:
	v_mov_b32_e32 v1, 0x7f
	v_cmp_lt_u32_e32 vcc_lo, 0x7f800000, v5
	s_delay_alu instid0(VALU_DEP_2)
	v_cndmask_b32_e32 v1, 0x7e, v1, vcc_lo
; %bb.3924:
	s_or_b32 exec_lo, exec_lo, s3
	v_lshrrev_b32_e32 v5, 24, v4
	s_delay_alu instid0(VALU_DEP_1)
	v_and_or_b32 v1, 0x80, v5, v1
	global_store_b8 v[2:3], v1, off
.LBB150_3925:
	s_mov_b32 s3, 0
.LBB150_3926:
	s_delay_alu instid0(SALU_CYCLE_1)
	s_and_not1_b32 vcc_lo, exec_lo, s3
	s_cbranch_vccnz .LBB150_3936
; %bb.3927:
	s_wait_xcnt 0x0
	v_and_b32_e32 v5, 0x7fffffff, v4
	s_mov_b32 s3, exec_lo
                                        ; implicit-def: $vgpr1
	s_delay_alu instid0(VALU_DEP_1)
	v_cmpx_gt_u32_e32 0x47800000, v5
	s_xor_b32 s3, exec_lo, s3
	s_cbranch_execz .LBB150_3933
; %bb.3928:
	s_mov_b32 s6, exec_lo
                                        ; implicit-def: $vgpr1
	v_cmpx_lt_u32_e32 0x387fffff, v5
	s_xor_b32 s6, exec_lo, s6
; %bb.3929:
	v_bfe_u32 v1, v4, 21, 1
	s_delay_alu instid0(VALU_DEP_1) | instskip(NEXT) | instid1(VALU_DEP_1)
	v_add3_u32 v1, v4, v1, 0x80fffff
	v_lshrrev_b32_e32 v1, 21, v1
; %bb.3930:
	s_and_not1_saveexec_b32 s6, s6
; %bb.3931:
	v_add_f32_e64 v1, 0x43000000, |v4|
; %bb.3932:
	s_or_b32 exec_lo, exec_lo, s6
                                        ; implicit-def: $vgpr5
.LBB150_3933:
	s_and_not1_saveexec_b32 s3, s3
; %bb.3934:
	v_mov_b32_e32 v1, 0x7f
	v_cmp_lt_u32_e32 vcc_lo, 0x7f800000, v5
	s_delay_alu instid0(VALU_DEP_2)
	v_cndmask_b32_e32 v1, 0x7c, v1, vcc_lo
; %bb.3935:
	s_or_b32 exec_lo, exec_lo, s3
	v_lshrrev_b32_e32 v5, 24, v4
	s_delay_alu instid0(VALU_DEP_1)
	v_and_or_b32 v1, 0x80, v5, v1
	global_store_b8 v[2:3], v1, off
.LBB150_3936:
	s_mov_b32 s3, 0
	s_mov_b32 s6, -1
.LBB150_3937:
	s_and_not1_b32 vcc_lo, exec_lo, s3
	s_mov_b32 s3, 0
	s_cbranch_vccnz .LBB150_3944
; %bb.3938:
	s_cmp_gt_i32 s2, 14
	s_mov_b32 s3, -1
	s_cbranch_scc0 .LBB150_3942
; %bb.3939:
	s_cmp_eq_u32 s2, 15
	s_mov_b32 s0, -1
	s_cbranch_scc0 .LBB150_3941
; %bb.3940:
	s_wait_xcnt 0x0
	v_bfe_u32 v1, v4, 16, 1
	v_cmp_o_f32_e32 vcc_lo, v4, v4
	s_mov_b32 s0, 0
	s_mov_b32 s6, -1
	s_delay_alu instid0(VALU_DEP_2) | instskip(NEXT) | instid1(VALU_DEP_1)
	v_add3_u32 v1, v4, v1, 0x7fff
	v_lshrrev_b32_e32 v1, 16, v1
	s_delay_alu instid0(VALU_DEP_1)
	v_cndmask_b32_e32 v1, 0x7fc0, v1, vcc_lo
	global_store_b16 v[2:3], v1, off
.LBB150_3941:
	s_mov_b32 s3, 0
.LBB150_3942:
	s_delay_alu instid0(SALU_CYCLE_1)
	s_and_b32 vcc_lo, exec_lo, s3
	s_mov_b32 s3, 0
	s_cbranch_vccz .LBB150_3944
; %bb.3943:
	s_cmp_lg_u32 s2, 11
	s_mov_b32 s3, -1
	s_cselect_b32 s0, -1, 0
.LBB150_3944:
	s_delay_alu instid0(SALU_CYCLE_1)
	s_and_b32 vcc_lo, exec_lo, s0
	s_cbranch_vccnz .LBB150_4124
; %bb.3945:
	s_and_not1_b32 vcc_lo, exec_lo, s3
	s_cbranch_vccnz .LBB150_3947
.LBB150_3946:
	v_cmp_neq_f32_e32 vcc_lo, 0, v4
	s_mov_b32 s6, -1
	s_wait_xcnt 0x0
	v_cndmask_b32_e64 v1, 0, 1, vcc_lo
	global_store_b8 v[2:3], v1, off
.LBB150_3947:
	s_mov_b32 s0, 0
	s_branch .LBB150_3949
.LBB150_3948:
	s_mov_b32 s0, -1
	s_mov_b32 s6, 0
.LBB150_3949:
	s_and_b32 vcc_lo, exec_lo, s0
	s_cbranch_vccz .LBB150_3988
; %bb.3950:
	s_and_b32 s0, 0xffff, s20
	s_mov_b32 s2, -1
	s_cmp_lt_i32 s0, 5
	s_cbranch_scc1 .LBB150_3971
; %bb.3951:
	s_cmp_lt_i32 s0, 8
	s_cbranch_scc1 .LBB150_3961
; %bb.3952:
	;; [unrolled: 3-line block ×3, first 2 shown]
	s_cmp_gt_i32 s0, 9
	s_cbranch_scc0 .LBB150_3955
; %bb.3954:
	s_wait_xcnt 0x0
	v_cvt_f64_f32_e32 v[8:9], v4
	v_mov_b32_e32 v10, 0
	s_mov_b32 s2, 0
	s_delay_alu instid0(VALU_DEP_1)
	v_mov_b32_e32 v11, v10
	global_store_b128 v[2:3], v[8:11], off
.LBB150_3955:
	s_and_not1_b32 vcc_lo, exec_lo, s2
	s_cbranch_vccnz .LBB150_3957
; %bb.3956:
	s_wait_xcnt 0x0
	v_mov_b32_e32 v5, 0
	global_store_b64 v[2:3], v[4:5], off
.LBB150_3957:
	s_mov_b32 s2, 0
.LBB150_3958:
	s_delay_alu instid0(SALU_CYCLE_1)
	s_and_not1_b32 vcc_lo, exec_lo, s2
	s_cbranch_vccnz .LBB150_3960
; %bb.3959:
	s_wait_xcnt 0x0
	v_cvt_f16_f32_e32 v1, v4
	s_delay_alu instid0(VALU_DEP_1)
	v_and_b32_e32 v1, 0xffff, v1
	global_store_b32 v[2:3], v1, off
.LBB150_3960:
	s_mov_b32 s2, 0
.LBB150_3961:
	s_delay_alu instid0(SALU_CYCLE_1)
	s_and_not1_b32 vcc_lo, exec_lo, s2
	s_cbranch_vccnz .LBB150_3970
; %bb.3962:
	s_cmp_lt_i32 s0, 6
	s_mov_b32 s2, -1
	s_cbranch_scc1 .LBB150_3968
; %bb.3963:
	s_cmp_gt_i32 s0, 6
	s_cbranch_scc0 .LBB150_3965
; %bb.3964:
	s_wait_xcnt 0x0
	v_cvt_f64_f32_e32 v[8:9], v4
	s_mov_b32 s2, 0
	global_store_b64 v[2:3], v[8:9], off
.LBB150_3965:
	s_and_not1_b32 vcc_lo, exec_lo, s2
	s_cbranch_vccnz .LBB150_3967
; %bb.3966:
	global_store_b32 v[2:3], v4, off
.LBB150_3967:
	s_mov_b32 s2, 0
.LBB150_3968:
	s_delay_alu instid0(SALU_CYCLE_1)
	s_and_not1_b32 vcc_lo, exec_lo, s2
	s_cbranch_vccnz .LBB150_3970
; %bb.3969:
	s_wait_xcnt 0x0
	v_cvt_f16_f32_e32 v1, v4
	global_store_b16 v[2:3], v1, off
.LBB150_3970:
	s_mov_b32 s2, 0
.LBB150_3971:
	s_delay_alu instid0(SALU_CYCLE_1)
	s_and_not1_b32 vcc_lo, exec_lo, s2
	s_cbranch_vccnz .LBB150_3987
; %bb.3972:
	s_cmp_lt_i32 s0, 2
	s_mov_b32 s2, -1
	s_cbranch_scc1 .LBB150_3982
; %bb.3973:
	s_cmp_lt_i32 s0, 3
	s_cbranch_scc1 .LBB150_3979
; %bb.3974:
	s_cmp_gt_i32 s0, 3
	s_cbranch_scc0 .LBB150_3976
; %bb.3975:
	s_wait_xcnt 0x0
	v_trunc_f32_e32 v1, v4
	s_mov_b32 s2, 0
	s_delay_alu instid0(VALU_DEP_1) | instskip(SKIP_1) | instid1(VALU_DEP_2)
	v_mul_f32_e64 v5, 0x2f800000, |v1|
	v_ashrrev_i32_e32 v8, 31, v1
	v_floor_f32_e32 v5, v5
	s_delay_alu instid0(VALU_DEP_1) | instskip(SKIP_1) | instid1(VALU_DEP_2)
	v_fma_f32 v9, 0xcf800000, v5, |v1|
	v_cvt_u32_f32_e32 v1, v5
	v_cvt_u32_f32_e32 v5, v9
	s_delay_alu instid0(VALU_DEP_2) | instskip(NEXT) | instid1(VALU_DEP_2)
	v_dual_mov_b32 v9, v8 :: v_dual_bitop2_b32 v11, v1, v8 bitop3:0x14
	v_xor_b32_e32 v10, v5, v8
	s_delay_alu instid0(VALU_DEP_1)
	v_sub_nc_u64_e32 v[8:9], v[10:11], v[8:9]
	global_store_b64 v[2:3], v[8:9], off
.LBB150_3976:
	s_and_not1_b32 vcc_lo, exec_lo, s2
	s_cbranch_vccnz .LBB150_3978
; %bb.3977:
	s_wait_xcnt 0x0
	v_cvt_i32_f32_e32 v1, v4
	global_store_b32 v[2:3], v1, off
.LBB150_3978:
	s_mov_b32 s2, 0
.LBB150_3979:
	s_delay_alu instid0(SALU_CYCLE_1)
	s_and_not1_b32 vcc_lo, exec_lo, s2
	s_cbranch_vccnz .LBB150_3981
; %bb.3980:
	s_wait_xcnt 0x0
	v_cvt_i32_f32_e32 v1, v4
	global_store_b16 v[2:3], v1, off
.LBB150_3981:
	s_mov_b32 s2, 0
.LBB150_3982:
	s_delay_alu instid0(SALU_CYCLE_1)
	s_and_not1_b32 vcc_lo, exec_lo, s2
	s_cbranch_vccnz .LBB150_3987
; %bb.3983:
	s_cmp_gt_i32 s0, 0
	s_mov_b32 s0, -1
	s_cbranch_scc0 .LBB150_3985
; %bb.3984:
	s_wait_xcnt 0x0
	v_cvt_i32_f32_e32 v1, v4
	s_mov_b32 s0, 0
	global_store_b8 v[2:3], v1, off
.LBB150_3985:
	s_and_not1_b32 vcc_lo, exec_lo, s0
	s_cbranch_vccnz .LBB150_3987
; %bb.3986:
	s_wait_xcnt 0x0
	v_trunc_f32_e32 v1, v4
	s_delay_alu instid0(VALU_DEP_1) | instskip(NEXT) | instid1(VALU_DEP_1)
	v_mul_f32_e64 v4, 0x2f800000, |v1|
	v_floor_f32_e32 v4, v4
	s_delay_alu instid0(VALU_DEP_1) | instskip(SKIP_1) | instid1(VALU_DEP_2)
	v_fma_f32 v4, 0xcf800000, v4, |v1|
	v_ashrrev_i32_e32 v1, 31, v1
	v_cvt_u32_f32_e32 v4, v4
	s_delay_alu instid0(VALU_DEP_1) | instskip(NEXT) | instid1(VALU_DEP_1)
	v_xor_b32_e32 v4, v4, v1
	v_sub_nc_u32_e32 v1, v4, v1
	global_store_b8 v[2:3], v1, off
.LBB150_3987:
	s_mov_b32 s6, -1
.LBB150_3988:
	s_delay_alu instid0(SALU_CYCLE_1)
	s_and_not1_b32 vcc_lo, exec_lo, s6
	s_cbranch_vccnz .LBB150_4065
; %bb.3989:
	s_wait_xcnt 0x0
	v_dual_max_num_f32 v1, v7, v7 :: v_dual_max_num_f32 v2, v6, v6
	v_dual_max_num_f32 v3, v18, v18 :: v_dual_add_nc_u32 v0, s1, v0
	v_cmp_u_f32_e32 vcc_lo, v18, v18
	s_cmp_lt_i32 s20, 11
	s_delay_alu instid0(VALU_DEP_2) | instskip(NEXT) | instid1(VALU_DEP_1)
	v_maxmin_num_f32 v1, v2, v1, v3
	v_dual_cndmask_b32 v2, v1, v18 :: v_dual_ashrrev_i32 v1, 31, v0
	v_cmp_u_f32_e32 vcc_lo, v7, v7
	s_delay_alu instid0(VALU_DEP_2) | instskip(NEXT) | instid1(VALU_DEP_3)
	v_add_nc_u64_e32 v[0:1], s[4:5], v[0:1]
	v_cndmask_b32_e32 v2, v2, v7, vcc_lo
	v_cmp_u_f32_e32 vcc_lo, v6, v6
	s_delay_alu instid0(VALU_DEP_2)
	v_cndmask_b32_e32 v2, v2, v6, vcc_lo
	s_cbranch_scc1 .LBB150_4110
; %bb.3990:
	s_and_b32 s2, 0xffff, s20
	s_mov_b32 s3, -1
	s_mov_b32 s1, 0
	s_cmp_gt_i32 s2, 25
	s_mov_b32 s0, 0
	s_cbranch_scc0 .LBB150_4023
; %bb.3991:
	s_cmp_gt_i32 s2, 28
	s_cbranch_scc0 .LBB150_4007
; %bb.3992:
	s_cmp_gt_i32 s2, 43
	;; [unrolled: 3-line block ×3, first 2 shown]
	s_cbranch_scc0 .LBB150_3997
; %bb.3994:
	s_cmp_eq_u32 s2, 46
	s_mov_b32 s0, -1
	s_cbranch_scc0 .LBB150_3996
; %bb.3995:
	v_bfe_u32 v3, v2, 16, 1
	v_cmp_o_f32_e32 vcc_lo, v2, v2
	s_mov_b32 s0, 0
	s_delay_alu instid0(VALU_DEP_2) | instskip(NEXT) | instid1(VALU_DEP_1)
	v_add3_u32 v3, v2, v3, 0x7fff
	v_lshrrev_b32_e32 v3, 16, v3
	s_delay_alu instid0(VALU_DEP_1)
	v_cndmask_b32_e32 v3, 0x7fc0, v3, vcc_lo
	global_store_b32 v[0:1], v3, off
.LBB150_3996:
	s_mov_b32 s3, 0
.LBB150_3997:
	s_delay_alu instid0(SALU_CYCLE_1)
	s_and_b32 vcc_lo, exec_lo, s3
	s_cbranch_vccz .LBB150_4002
; %bb.3998:
	s_cmp_eq_u32 s2, 44
	s_mov_b32 s0, -1
	s_cbranch_scc0 .LBB150_4002
; %bb.3999:
	v_bfe_u32 v4, v2, 23, 8
	s_wait_xcnt 0x0
	v_mov_b32_e32 v3, 0xff
	s_mov_b32 s3, exec_lo
	s_delay_alu instid0(VALU_DEP_2)
	v_cmpx_ne_u32_e32 0xff, v4
	s_cbranch_execz .LBB150_4001
; %bb.4000:
	v_and_b32_e32 v3, 0x400000, v2
	v_and_or_b32 v4, 0x3fffff, v2, v4
	s_delay_alu instid0(VALU_DEP_2) | instskip(NEXT) | instid1(VALU_DEP_2)
	v_cmp_ne_u32_e32 vcc_lo, 0, v3
	v_cmp_ne_u32_e64 s0, 0, v4
	v_lshrrev_b32_e32 v3, 23, v2
	s_and_b32 s0, vcc_lo, s0
	s_delay_alu instid0(SALU_CYCLE_1) | instskip(NEXT) | instid1(VALU_DEP_1)
	v_cndmask_b32_e64 v4, 0, 1, s0
	v_add_nc_u32_e32 v3, v3, v4
.LBB150_4001:
	s_or_b32 exec_lo, exec_lo, s3
	s_mov_b32 s0, 0
	global_store_b8 v[0:1], v3, off
.LBB150_4002:
	s_mov_b32 s3, 0
.LBB150_4003:
	s_delay_alu instid0(SALU_CYCLE_1)
	s_and_b32 vcc_lo, exec_lo, s3
	s_cbranch_vccz .LBB150_4006
; %bb.4004:
	s_cmp_eq_u32 s2, 29
	s_mov_b32 s0, -1
	s_cbranch_scc0 .LBB150_4006
; %bb.4005:
	s_wait_xcnt 0x0
	v_trunc_f32_e32 v3, v2
	s_mov_b32 s0, 0
	s_delay_alu instid0(VALU_DEP_1) | instskip(NEXT) | instid1(VALU_DEP_1)
	v_mul_f32_e32 v4, 0x2f800000, v3
	v_floor_f32_e32 v4, v4
	s_delay_alu instid0(VALU_DEP_1) | instskip(SKIP_1) | instid1(VALU_DEP_2)
	v_fmamk_f32 v3, v4, 0xcf800000, v3
	v_cvt_u32_f32_e32 v5, v4
	v_cvt_u32_f32_e32 v4, v3
	global_store_b64 v[0:1], v[4:5], off
.LBB150_4006:
	s_mov_b32 s3, 0
.LBB150_4007:
	s_delay_alu instid0(SALU_CYCLE_1)
	s_and_b32 vcc_lo, exec_lo, s3
	s_cbranch_vccz .LBB150_4022
; %bb.4008:
	s_cmp_lt_i32 s2, 27
	s_mov_b32 s3, -1
	s_cbranch_scc1 .LBB150_4014
; %bb.4009:
	s_wait_xcnt 0x0
	v_cvt_u32_f32_e32 v3, v2
	s_cmp_gt_i32 s2, 27
	s_cbranch_scc0 .LBB150_4011
; %bb.4010:
	s_mov_b32 s3, 0
	global_store_b32 v[0:1], v3, off
.LBB150_4011:
	s_and_not1_b32 vcc_lo, exec_lo, s3
	s_cbranch_vccnz .LBB150_4013
; %bb.4012:
	global_store_b16 v[0:1], v3, off
.LBB150_4013:
	s_mov_b32 s3, 0
.LBB150_4014:
	s_delay_alu instid0(SALU_CYCLE_1)
	s_and_not1_b32 vcc_lo, exec_lo, s3
	s_cbranch_vccnz .LBB150_4022
; %bb.4015:
	s_wait_xcnt 0x0
	v_and_b32_e32 v3, 0x7fffffff, v2
	v_mov_b32_e32 v4, 0x80
	s_mov_b32 s3, exec_lo
	s_delay_alu instid0(VALU_DEP_2)
	v_cmpx_gt_u32_e32 0x43800000, v3
	s_cbranch_execz .LBB150_4021
; %bb.4016:
	v_cmp_lt_u32_e32 vcc_lo, 0x3bffffff, v3
	s_mov_b32 s4, 0
                                        ; implicit-def: $vgpr3
	s_and_saveexec_b32 s5, vcc_lo
	s_delay_alu instid0(SALU_CYCLE_1)
	s_xor_b32 s5, exec_lo, s5
	s_cbranch_execz .LBB150_4127
; %bb.4017:
	v_bfe_u32 v3, v2, 20, 1
	s_mov_b32 s4, exec_lo
	s_delay_alu instid0(VALU_DEP_1) | instskip(NEXT) | instid1(VALU_DEP_1)
	v_add3_u32 v3, v2, v3, 0x487ffff
	v_lshrrev_b32_e32 v3, 20, v3
	s_and_not1_saveexec_b32 s5, s5
	s_cbranch_execnz .LBB150_4128
.LBB150_4018:
	s_or_b32 exec_lo, exec_lo, s5
	v_mov_b32_e32 v4, 0
	s_and_saveexec_b32 s5, s4
.LBB150_4019:
	v_lshrrev_b32_e32 v4, 24, v2
	s_delay_alu instid0(VALU_DEP_1)
	v_and_or_b32 v4, 0x80, v4, v3
.LBB150_4020:
	s_or_b32 exec_lo, exec_lo, s5
.LBB150_4021:
	s_delay_alu instid0(SALU_CYCLE_1)
	s_or_b32 exec_lo, exec_lo, s3
	global_store_b8 v[0:1], v4, off
.LBB150_4022:
	s_mov_b32 s3, 0
.LBB150_4023:
	s_delay_alu instid0(SALU_CYCLE_1)
	s_and_b32 vcc_lo, exec_lo, s3
	s_cbranch_vccz .LBB150_4063
; %bb.4024:
	s_cmp_gt_i32 s2, 22
	s_mov_b32 s1, -1
	s_cbranch_scc0 .LBB150_4056
; %bb.4025:
	s_cmp_lt_i32 s2, 24
	s_cbranch_scc1 .LBB150_4045
; %bb.4026:
	s_cmp_gt_i32 s2, 24
	s_cbranch_scc0 .LBB150_4034
; %bb.4027:
	s_wait_xcnt 0x0
	v_and_b32_e32 v3, 0x7fffffff, v2
	v_mov_b32_e32 v4, 0x80
	s_mov_b32 s1, exec_lo
	s_delay_alu instid0(VALU_DEP_2)
	v_cmpx_gt_u32_e32 0x47800000, v3
	s_cbranch_execz .LBB150_4033
; %bb.4028:
	v_cmp_lt_u32_e32 vcc_lo, 0x37ffffff, v3
	s_mov_b32 s3, 0
                                        ; implicit-def: $vgpr3
	s_and_saveexec_b32 s4, vcc_lo
	s_delay_alu instid0(SALU_CYCLE_1)
	s_xor_b32 s4, exec_lo, s4
	s_cbranch_execz .LBB150_4130
; %bb.4029:
	v_bfe_u32 v3, v2, 21, 1
	s_mov_b32 s3, exec_lo
	s_delay_alu instid0(VALU_DEP_1) | instskip(NEXT) | instid1(VALU_DEP_1)
	v_add3_u32 v3, v2, v3, 0x88fffff
	v_lshrrev_b32_e32 v3, 21, v3
	s_and_not1_saveexec_b32 s4, s4
	s_cbranch_execnz .LBB150_4131
.LBB150_4030:
	s_or_b32 exec_lo, exec_lo, s4
	v_mov_b32_e32 v4, 0
	s_and_saveexec_b32 s4, s3
.LBB150_4031:
	v_lshrrev_b32_e32 v4, 24, v2
	s_delay_alu instid0(VALU_DEP_1)
	v_and_or_b32 v4, 0x80, v4, v3
.LBB150_4032:
	s_or_b32 exec_lo, exec_lo, s4
.LBB150_4033:
	s_delay_alu instid0(SALU_CYCLE_1)
	s_or_b32 exec_lo, exec_lo, s1
	s_mov_b32 s1, 0
	global_store_b8 v[0:1], v4, off
.LBB150_4034:
	s_and_b32 vcc_lo, exec_lo, s1
	s_cbranch_vccz .LBB150_4044
; %bb.4035:
	s_wait_xcnt 0x0
	v_and_b32_e32 v4, 0x7fffffff, v2
	s_mov_b32 s1, exec_lo
                                        ; implicit-def: $vgpr3
	s_delay_alu instid0(VALU_DEP_1)
	v_cmpx_gt_u32_e32 0x43f00000, v4
	s_xor_b32 s1, exec_lo, s1
	s_cbranch_execz .LBB150_4041
; %bb.4036:
	s_mov_b32 s3, exec_lo
                                        ; implicit-def: $vgpr3
	v_cmpx_lt_u32_e32 0x3c7fffff, v4
	s_xor_b32 s3, exec_lo, s3
; %bb.4037:
	v_bfe_u32 v3, v2, 20, 1
	s_delay_alu instid0(VALU_DEP_1) | instskip(NEXT) | instid1(VALU_DEP_1)
	v_add3_u32 v3, v2, v3, 0x407ffff
	v_and_b32_e32 v4, 0xff00000, v3
	v_lshrrev_b32_e32 v3, 20, v3
	s_delay_alu instid0(VALU_DEP_2) | instskip(NEXT) | instid1(VALU_DEP_2)
	v_cmp_ne_u32_e32 vcc_lo, 0x7f00000, v4
	v_cndmask_b32_e32 v3, 0x7e, v3, vcc_lo
; %bb.4038:
	s_and_not1_saveexec_b32 s3, s3
; %bb.4039:
	v_add_f32_e64 v3, 0x46800000, |v2|
; %bb.4040:
	s_or_b32 exec_lo, exec_lo, s3
                                        ; implicit-def: $vgpr4
.LBB150_4041:
	s_and_not1_saveexec_b32 s1, s1
; %bb.4042:
	v_mov_b32_e32 v3, 0x7f
	v_cmp_lt_u32_e32 vcc_lo, 0x7f800000, v4
	s_delay_alu instid0(VALU_DEP_2)
	v_cndmask_b32_e32 v3, 0x7e, v3, vcc_lo
; %bb.4043:
	s_or_b32 exec_lo, exec_lo, s1
	v_lshrrev_b32_e32 v4, 24, v2
	s_delay_alu instid0(VALU_DEP_1)
	v_and_or_b32 v3, 0x80, v4, v3
	global_store_b8 v[0:1], v3, off
.LBB150_4044:
	s_mov_b32 s1, 0
.LBB150_4045:
	s_delay_alu instid0(SALU_CYCLE_1)
	s_and_not1_b32 vcc_lo, exec_lo, s1
	s_cbranch_vccnz .LBB150_4055
; %bb.4046:
	s_wait_xcnt 0x0
	v_and_b32_e32 v4, 0x7fffffff, v2
	s_mov_b32 s1, exec_lo
                                        ; implicit-def: $vgpr3
	s_delay_alu instid0(VALU_DEP_1)
	v_cmpx_gt_u32_e32 0x47800000, v4
	s_xor_b32 s1, exec_lo, s1
	s_cbranch_execz .LBB150_4052
; %bb.4047:
	s_mov_b32 s3, exec_lo
                                        ; implicit-def: $vgpr3
	v_cmpx_lt_u32_e32 0x387fffff, v4
	s_xor_b32 s3, exec_lo, s3
; %bb.4048:
	v_bfe_u32 v3, v2, 21, 1
	s_delay_alu instid0(VALU_DEP_1) | instskip(NEXT) | instid1(VALU_DEP_1)
	v_add3_u32 v3, v2, v3, 0x80fffff
	v_lshrrev_b32_e32 v3, 21, v3
; %bb.4049:
	s_and_not1_saveexec_b32 s3, s3
; %bb.4050:
	v_add_f32_e64 v3, 0x43000000, |v2|
; %bb.4051:
	s_or_b32 exec_lo, exec_lo, s3
                                        ; implicit-def: $vgpr4
.LBB150_4052:
	s_and_not1_saveexec_b32 s1, s1
; %bb.4053:
	v_mov_b32_e32 v3, 0x7f
	v_cmp_lt_u32_e32 vcc_lo, 0x7f800000, v4
	s_delay_alu instid0(VALU_DEP_2)
	v_cndmask_b32_e32 v3, 0x7c, v3, vcc_lo
; %bb.4054:
	s_or_b32 exec_lo, exec_lo, s1
	v_lshrrev_b32_e32 v4, 24, v2
	s_delay_alu instid0(VALU_DEP_1)
	v_and_or_b32 v3, 0x80, v4, v3
	global_store_b8 v[0:1], v3, off
.LBB150_4055:
	s_mov_b32 s1, 0
.LBB150_4056:
	s_delay_alu instid0(SALU_CYCLE_1)
	s_and_not1_b32 vcc_lo, exec_lo, s1
	s_mov_b32 s1, 0
	s_cbranch_vccnz .LBB150_4063
; %bb.4057:
	s_cmp_gt_i32 s2, 14
	s_mov_b32 s1, -1
	s_cbranch_scc0 .LBB150_4061
; %bb.4058:
	s_cmp_eq_u32 s2, 15
	s_mov_b32 s0, -1
	s_cbranch_scc0 .LBB150_4060
; %bb.4059:
	s_wait_xcnt 0x0
	v_bfe_u32 v3, v2, 16, 1
	v_cmp_o_f32_e32 vcc_lo, v2, v2
	s_mov_b32 s0, 0
	s_delay_alu instid0(VALU_DEP_2) | instskip(NEXT) | instid1(VALU_DEP_1)
	v_add3_u32 v3, v2, v3, 0x7fff
	v_lshrrev_b32_e32 v3, 16, v3
	s_delay_alu instid0(VALU_DEP_1)
	v_cndmask_b32_e32 v3, 0x7fc0, v3, vcc_lo
	global_store_b16 v[0:1], v3, off
.LBB150_4060:
	s_mov_b32 s1, 0
.LBB150_4061:
	s_delay_alu instid0(SALU_CYCLE_1)
	s_and_b32 vcc_lo, exec_lo, s1
	s_mov_b32 s1, 0
	s_cbranch_vccz .LBB150_4063
; %bb.4062:
	s_cmp_lg_u32 s2, 11
	s_mov_b32 s1, -1
	s_cselect_b32 s0, -1, 0
.LBB150_4063:
	s_delay_alu instid0(SALU_CYCLE_1)
	s_and_b32 vcc_lo, exec_lo, s0
	s_cbranch_vccnz .LBB150_4129
.LBB150_4064:
	s_mov_b32 s0, 0
	s_branch .LBB150_4066
.LBB150_4065:
	s_mov_b32 s0, 0
	s_mov_b32 s1, 0
                                        ; implicit-def: $sgpr20
                                        ; implicit-def: $vgpr0_vgpr1
                                        ; implicit-def: $vgpr2
.LBB150_4066:
	s_and_not1_b32 s2, s19, exec_lo
	s_and_b32 s3, s16, exec_lo
	s_and_b32 s0, s0, exec_lo
	;; [unrolled: 1-line block ×3, first 2 shown]
	s_or_b32 s19, s2, s3
.LBB150_4067:
	s_wait_xcnt 0x0
	s_or_b32 exec_lo, exec_lo, s18
	s_and_saveexec_b32 s1, s19
	s_cbranch_execz .LBB150_4070
; %bb.4068:
	; divergent unreachable
	s_or_b32 exec_lo, exec_lo, s1
	s_and_saveexec_b32 s1, s16
	s_delay_alu instid0(SALU_CYCLE_1)
	s_xor_b32 s1, exec_lo, s1
	s_cbranch_execnz .LBB150_4071
.LBB150_4069:
	s_or_b32 exec_lo, exec_lo, s1
	s_and_saveexec_b32 s1, s0
	s_cbranch_execnz .LBB150_4072
	s_branch .LBB150_4109
.LBB150_4070:
	s_or_b32 exec_lo, exec_lo, s1
	s_and_saveexec_b32 s1, s16
	s_delay_alu instid0(SALU_CYCLE_1)
	s_xor_b32 s1, exec_lo, s1
	s_cbranch_execz .LBB150_4069
.LBB150_4071:
	s_wait_loadcnt 0x0
	v_cmp_neq_f32_e32 vcc_lo, 0, v2
	v_cndmask_b32_e64 v3, 0, 1, vcc_lo
	global_store_b8 v[0:1], v3, off
	s_wait_xcnt 0x0
	s_or_b32 exec_lo, exec_lo, s1
	s_and_saveexec_b32 s1, s0
	s_cbranch_execz .LBB150_4109
.LBB150_4072:
	s_sext_i32_i16 s1, s20
	s_mov_b32 s0, -1
	s_cmp_lt_i32 s1, 5
	s_cbranch_scc1 .LBB150_4093
; %bb.4073:
	s_cmp_lt_i32 s1, 8
	s_cbranch_scc1 .LBB150_4083
; %bb.4074:
	s_cmp_lt_i32 s1, 9
	s_cbranch_scc1 .LBB150_4080
; %bb.4075:
	s_cmp_gt_i32 s1, 9
	s_cbranch_scc0 .LBB150_4077
; %bb.4076:
	s_wait_loadcnt 0x0
	v_cvt_f64_f32_e32 v[4:5], v2
	v_mov_b32_e32 v6, 0
	s_mov_b32 s0, 0
	s_delay_alu instid0(VALU_DEP_1)
	v_mov_b32_e32 v7, v6
	global_store_b128 v[0:1], v[4:7], off
.LBB150_4077:
	s_and_not1_b32 vcc_lo, exec_lo, s0
	s_cbranch_vccnz .LBB150_4079
; %bb.4078:
	s_wait_loadcnt 0x0
	v_mov_b32_e32 v3, 0
	global_store_b64 v[0:1], v[2:3], off
.LBB150_4079:
	s_mov_b32 s0, 0
.LBB150_4080:
	s_delay_alu instid0(SALU_CYCLE_1)
	s_and_not1_b32 vcc_lo, exec_lo, s0
	s_cbranch_vccnz .LBB150_4082
; %bb.4081:
	s_wait_loadcnt 0x0
	v_cvt_f16_f32_e32 v3, v2
	s_delay_alu instid0(VALU_DEP_1)
	v_and_b32_e32 v3, 0xffff, v3
	global_store_b32 v[0:1], v3, off
.LBB150_4082:
	s_mov_b32 s0, 0
.LBB150_4083:
	s_delay_alu instid0(SALU_CYCLE_1)
	s_and_not1_b32 vcc_lo, exec_lo, s0
	s_cbranch_vccnz .LBB150_4092
; %bb.4084:
	s_sext_i32_i16 s1, s20
	s_mov_b32 s0, -1
	s_cmp_lt_i32 s1, 6
	s_cbranch_scc1 .LBB150_4090
; %bb.4085:
	s_cmp_gt_i32 s1, 6
	s_cbranch_scc0 .LBB150_4087
; %bb.4086:
	s_wait_loadcnt 0x0
	v_cvt_f64_f32_e32 v[4:5], v2
	s_mov_b32 s0, 0
	global_store_b64 v[0:1], v[4:5], off
.LBB150_4087:
	s_and_not1_b32 vcc_lo, exec_lo, s0
	s_cbranch_vccnz .LBB150_4089
; %bb.4088:
	s_wait_loadcnt 0x0
	global_store_b32 v[0:1], v2, off
.LBB150_4089:
	s_mov_b32 s0, 0
.LBB150_4090:
	s_delay_alu instid0(SALU_CYCLE_1)
	s_and_not1_b32 vcc_lo, exec_lo, s0
	s_cbranch_vccnz .LBB150_4092
; %bb.4091:
	s_wait_loadcnt 0x0
	v_cvt_f16_f32_e32 v3, v2
	global_store_b16 v[0:1], v3, off
.LBB150_4092:
	s_mov_b32 s0, 0
.LBB150_4093:
	s_delay_alu instid0(SALU_CYCLE_1)
	s_and_not1_b32 vcc_lo, exec_lo, s0
	s_cbranch_vccnz .LBB150_4109
; %bb.4094:
	s_sext_i32_i16 s1, s20
	s_mov_b32 s0, -1
	s_cmp_lt_i32 s1, 2
	s_cbranch_scc1 .LBB150_4104
; %bb.4095:
	s_cmp_lt_i32 s1, 3
	s_cbranch_scc1 .LBB150_4101
; %bb.4096:
	s_cmp_gt_i32 s1, 3
	s_cbranch_scc0 .LBB150_4098
; %bb.4097:
	s_wait_loadcnt 0x0
	v_trunc_f32_e32 v3, v2
	s_mov_b32 s0, 0
	s_delay_alu instid0(VALU_DEP_1) | instskip(NEXT) | instid1(VALU_DEP_1)
	v_mul_f32_e64 v4, 0x2f800000, |v3|
	v_floor_f32_e32 v5, v4
	v_ashrrev_i32_e32 v4, 31, v3
	s_delay_alu instid0(VALU_DEP_2) | instskip(SKIP_1) | instid1(VALU_DEP_3)
	v_fma_f32 v6, 0xcf800000, v5, |v3|
	v_cvt_u32_f32_e32 v3, v5
	v_mov_b32_e32 v5, v4
	s_delay_alu instid0(VALU_DEP_3) | instskip(NEXT) | instid1(VALU_DEP_3)
	v_cvt_u32_f32_e32 v6, v6
	v_xor_b32_e32 v7, v3, v4
	s_delay_alu instid0(VALU_DEP_2) | instskip(NEXT) | instid1(VALU_DEP_1)
	v_xor_b32_e32 v6, v6, v4
	v_sub_nc_u64_e32 v[4:5], v[6:7], v[4:5]
	global_store_b64 v[0:1], v[4:5], off
.LBB150_4098:
	s_and_not1_b32 vcc_lo, exec_lo, s0
	s_cbranch_vccnz .LBB150_4100
; %bb.4099:
	s_wait_loadcnt 0x0
	v_cvt_i32_f32_e32 v3, v2
	global_store_b32 v[0:1], v3, off
.LBB150_4100:
	s_mov_b32 s0, 0
.LBB150_4101:
	s_delay_alu instid0(SALU_CYCLE_1)
	s_and_not1_b32 vcc_lo, exec_lo, s0
	s_cbranch_vccnz .LBB150_4103
; %bb.4102:
	s_wait_loadcnt 0x0
	v_cvt_i32_f32_e32 v3, v2
	global_store_b16 v[0:1], v3, off
.LBB150_4103:
	s_mov_b32 s0, 0
.LBB150_4104:
	s_delay_alu instid0(SALU_CYCLE_1)
	s_and_not1_b32 vcc_lo, exec_lo, s0
	s_cbranch_vccnz .LBB150_4109
; %bb.4105:
	s_sext_i32_i16 s0, s20
	s_delay_alu instid0(SALU_CYCLE_1)
	s_cmp_gt_i32 s0, 0
	s_mov_b32 s0, -1
	s_cbranch_scc0 .LBB150_4107
; %bb.4106:
	s_wait_loadcnt 0x0
	v_cvt_i32_f32_e32 v3, v2
	s_mov_b32 s0, 0
	global_store_b8 v[0:1], v3, off
.LBB150_4107:
	s_and_not1_b32 vcc_lo, exec_lo, s0
	s_cbranch_vccnz .LBB150_4109
; %bb.4108:
	s_wait_loadcnt 0x0
	v_trunc_f32_e32 v2, v2
	s_delay_alu instid0(VALU_DEP_1) | instskip(NEXT) | instid1(VALU_DEP_1)
	v_mul_f32_e64 v3, 0x2f800000, |v2|
	v_floor_f32_e32 v3, v3
	s_delay_alu instid0(VALU_DEP_1) | instskip(SKIP_1) | instid1(VALU_DEP_2)
	v_fma_f32 v3, 0xcf800000, v3, |v2|
	v_ashrrev_i32_e32 v2, 31, v2
	v_cvt_u32_f32_e32 v3, v3
	s_delay_alu instid0(VALU_DEP_1) | instskip(NEXT) | instid1(VALU_DEP_1)
	v_xor_b32_e32 v3, v3, v2
	v_sub_nc_u32_e32 v2, v3, v2
	global_store_b8 v[0:1], v2, off
	s_endpgm
.LBB150_4109:
	s_endpgm
.LBB150_4110:
	s_mov_b32 s1, 0
	s_mov_b32 s0, -1
	s_branch .LBB150_4066
.LBB150_4111:
	s_or_b32 s16, s16, exec_lo
	s_trap 2
	s_cbranch_execz .LBB150_3580
	s_branch .LBB150_3581
.LBB150_4112:
	s_and_not1_saveexec_b32 s7, s7
	s_cbranch_execz .LBB150_3660
.LBB150_4113:
	v_add_f32_e64 v1, 0x46000000, |v4|
	s_and_not1_b32 s6, s6, exec_lo
	s_delay_alu instid0(VALU_DEP_1) | instskip(NEXT) | instid1(VALU_DEP_1)
	v_and_b32_e32 v1, 0xff, v1
	v_cmp_ne_u32_e32 vcc_lo, 0, v1
	s_and_b32 s8, vcc_lo, exec_lo
	s_delay_alu instid0(SALU_CYCLE_1)
	s_or_b32 s6, s6, s8
	s_or_b32 exec_lo, exec_lo, s7
	v_mov_b32_e32 v5, 0
	s_and_saveexec_b32 s7, s6
	s_cbranch_execnz .LBB150_3661
	s_branch .LBB150_3662
.LBB150_4114:
	s_or_b32 s16, s16, exec_lo
	s_trap 2
	s_cbranch_execz .LBB150_3708
	s_branch .LBB150_3709
.LBB150_4115:
	s_and_not1_saveexec_b32 s6, s6
	s_cbranch_execz .LBB150_3673
.LBB150_4116:
	v_add_f32_e64 v1, 0x42800000, |v4|
	s_and_not1_b32 s3, s3, exec_lo
	s_delay_alu instid0(VALU_DEP_1) | instskip(NEXT) | instid1(VALU_DEP_1)
	v_and_b32_e32 v1, 0xff, v1
	v_cmp_ne_u32_e32 vcc_lo, 0, v1
	s_and_b32 s7, vcc_lo, exec_lo
	s_delay_alu instid0(SALU_CYCLE_1)
	s_or_b32 s3, s3, s7
	s_or_b32 exec_lo, exec_lo, s6
	v_mov_b32_e32 v5, 0
	s_and_saveexec_b32 s6, s3
	s_cbranch_execnz .LBB150_3674
	s_branch .LBB150_3675
.LBB150_4117:
	s_and_not1_saveexec_b32 s8, s8
	s_cbranch_execz .LBB150_3779
.LBB150_4118:
	v_add_f32_e64 v1, 0x46000000, |v4|
	s_and_not1_b32 s7, s7, exec_lo
	s_delay_alu instid0(VALU_DEP_1) | instskip(NEXT) | instid1(VALU_DEP_1)
	v_and_b32_e32 v1, 0xff, v1
	v_cmp_ne_u32_e32 vcc_lo, 0, v1
	s_and_b32 s9, vcc_lo, exec_lo
	s_delay_alu instid0(SALU_CYCLE_1)
	s_or_b32 s7, s7, s9
	s_or_b32 exec_lo, exec_lo, s8
	v_mov_b32_e32 v5, 0
	s_and_saveexec_b32 s8, s7
	s_cbranch_execnz .LBB150_3780
	s_branch .LBB150_3781
.LBB150_4119:
	s_or_b32 s16, s16, exec_lo
	s_trap 2
	s_cbranch_execz .LBB150_3827
	s_branch .LBB150_3828
.LBB150_4120:
	s_and_not1_saveexec_b32 s7, s7
	s_cbranch_execz .LBB150_3792
.LBB150_4121:
	v_add_f32_e64 v1, 0x42800000, |v4|
	s_and_not1_b32 s6, s6, exec_lo
	s_delay_alu instid0(VALU_DEP_1) | instskip(NEXT) | instid1(VALU_DEP_1)
	v_and_b32_e32 v1, 0xff, v1
	v_cmp_ne_u32_e32 vcc_lo, 0, v1
	s_and_b32 s8, vcc_lo, exec_lo
	s_delay_alu instid0(SALU_CYCLE_1)
	s_or_b32 s6, s6, s8
	s_or_b32 exec_lo, exec_lo, s7
	v_mov_b32_e32 v5, 0
	s_and_saveexec_b32 s7, s6
	s_cbranch_execnz .LBB150_3793
	s_branch .LBB150_3794
.LBB150_4122:
	s_and_not1_saveexec_b32 s8, s8
	s_cbranch_execz .LBB150_3898
.LBB150_4123:
	v_add_f32_e64 v1, 0x46000000, |v4|
	s_and_not1_b32 s7, s7, exec_lo
	s_delay_alu instid0(VALU_DEP_1) | instskip(NEXT) | instid1(VALU_DEP_1)
	v_and_b32_e32 v1, 0xff, v1
	v_cmp_ne_u32_e32 vcc_lo, 0, v1
	s_and_b32 s9, vcc_lo, exec_lo
	s_delay_alu instid0(SALU_CYCLE_1)
	s_or_b32 s7, s7, s9
	s_or_b32 exec_lo, exec_lo, s8
	v_mov_b32_e32 v5, 0
	s_and_saveexec_b32 s8, s7
	s_cbranch_execnz .LBB150_3899
	s_branch .LBB150_3900
.LBB150_4124:
	s_or_b32 s16, s16, exec_lo
	s_trap 2
	s_cbranch_execz .LBB150_3946
	s_branch .LBB150_3947
.LBB150_4125:
	s_and_not1_saveexec_b32 s7, s7
	s_cbranch_execz .LBB150_3911
.LBB150_4126:
	v_add_f32_e64 v1, 0x42800000, |v4|
	s_and_not1_b32 s6, s6, exec_lo
	s_delay_alu instid0(VALU_DEP_1) | instskip(NEXT) | instid1(VALU_DEP_1)
	v_and_b32_e32 v1, 0xff, v1
	v_cmp_ne_u32_e32 vcc_lo, 0, v1
	s_and_b32 s8, vcc_lo, exec_lo
	s_delay_alu instid0(SALU_CYCLE_1)
	s_or_b32 s6, s6, s8
	s_or_b32 exec_lo, exec_lo, s7
	v_mov_b32_e32 v5, 0
	s_and_saveexec_b32 s7, s6
	s_cbranch_execnz .LBB150_3912
	s_branch .LBB150_3913
.LBB150_4127:
	s_and_not1_saveexec_b32 s5, s5
	s_cbranch_execz .LBB150_4018
.LBB150_4128:
	v_add_f32_e64 v3, 0x46000000, |v2|
	s_and_not1_b32 s4, s4, exec_lo
	s_delay_alu instid0(VALU_DEP_1) | instskip(NEXT) | instid1(VALU_DEP_1)
	v_and_b32_e32 v3, 0xff, v3
	v_cmp_ne_u32_e32 vcc_lo, 0, v3
	s_and_b32 s6, vcc_lo, exec_lo
	s_delay_alu instid0(SALU_CYCLE_1)
	s_or_b32 s4, s4, s6
	s_or_b32 exec_lo, exec_lo, s5
	v_mov_b32_e32 v4, 0
	s_and_saveexec_b32 s5, s4
	s_cbranch_execnz .LBB150_4019
	s_branch .LBB150_4020
.LBB150_4129:
	s_mov_b32 s1, 0
	s_or_b32 s16, s16, exec_lo
	s_trap 2
	s_branch .LBB150_4064
.LBB150_4130:
	s_and_not1_saveexec_b32 s4, s4
	s_cbranch_execz .LBB150_4030
.LBB150_4131:
	v_add_f32_e64 v3, 0x42800000, |v2|
	s_and_not1_b32 s3, s3, exec_lo
	s_delay_alu instid0(VALU_DEP_1) | instskip(NEXT) | instid1(VALU_DEP_1)
	v_and_b32_e32 v3, 0xff, v3
	v_cmp_ne_u32_e32 vcc_lo, 0, v3
	s_and_b32 s5, vcc_lo, exec_lo
	s_delay_alu instid0(SALU_CYCLE_1)
	s_or_b32 s3, s3, s5
	s_or_b32 exec_lo, exec_lo, s4
	v_mov_b32_e32 v4, 0
	s_and_saveexec_b32 s4, s3
	s_cbranch_execnz .LBB150_4031
	s_branch .LBB150_4032
	.section	.rodata,"a",@progbits
	.p2align	6, 0x0
	.amdhsa_kernel _ZN2at6native32elementwise_kernel_manual_unrollILi128ELi4EZNS0_15gpu_kernel_implIZZZNS0_12_GLOBAL__N_117clamp_kernel_implERNS_18TensorIteratorBaseEENKUlvE_clEvENKUlvE5_clEvEUlfffE_EEvS5_RKT_EUlibE_EEviT1_
		.amdhsa_group_segment_fixed_size 0
		.amdhsa_private_segment_fixed_size 0
		.amdhsa_kernarg_size 64
		.amdhsa_user_sgpr_count 2
		.amdhsa_user_sgpr_dispatch_ptr 0
		.amdhsa_user_sgpr_queue_ptr 0
		.amdhsa_user_sgpr_kernarg_segment_ptr 1
		.amdhsa_user_sgpr_dispatch_id 0
		.amdhsa_user_sgpr_kernarg_preload_length 0
		.amdhsa_user_sgpr_kernarg_preload_offset 0
		.amdhsa_user_sgpr_private_segment_size 0
		.amdhsa_wavefront_size32 1
		.amdhsa_uses_dynamic_stack 0
		.amdhsa_enable_private_segment 0
		.amdhsa_system_sgpr_workgroup_id_x 1
		.amdhsa_system_sgpr_workgroup_id_y 0
		.amdhsa_system_sgpr_workgroup_id_z 0
		.amdhsa_system_sgpr_workgroup_info 0
		.amdhsa_system_vgpr_workitem_id 0
		.amdhsa_next_free_vgpr 24
		.amdhsa_next_free_sgpr 42
		.amdhsa_named_barrier_count 0
		.amdhsa_reserve_vcc 1
		.amdhsa_float_round_mode_32 0
		.amdhsa_float_round_mode_16_64 0
		.amdhsa_float_denorm_mode_32 3
		.amdhsa_float_denorm_mode_16_64 3
		.amdhsa_fp16_overflow 0
		.amdhsa_memory_ordered 1
		.amdhsa_forward_progress 1
		.amdhsa_inst_pref_size 255
		.amdhsa_round_robin_scheduling 0
		.amdhsa_exception_fp_ieee_invalid_op 0
		.amdhsa_exception_fp_denorm_src 0
		.amdhsa_exception_fp_ieee_div_zero 0
		.amdhsa_exception_fp_ieee_overflow 0
		.amdhsa_exception_fp_ieee_underflow 0
		.amdhsa_exception_fp_ieee_inexact 0
		.amdhsa_exception_int_div_zero 0
	.end_amdhsa_kernel
	.section	.text._ZN2at6native32elementwise_kernel_manual_unrollILi128ELi4EZNS0_15gpu_kernel_implIZZZNS0_12_GLOBAL__N_117clamp_kernel_implERNS_18TensorIteratorBaseEENKUlvE_clEvENKUlvE5_clEvEUlfffE_EEvS5_RKT_EUlibE_EEviT1_,"axG",@progbits,_ZN2at6native32elementwise_kernel_manual_unrollILi128ELi4EZNS0_15gpu_kernel_implIZZZNS0_12_GLOBAL__N_117clamp_kernel_implERNS_18TensorIteratorBaseEENKUlvE_clEvENKUlvE5_clEvEUlfffE_EEvS5_RKT_EUlibE_EEviT1_,comdat
.Lfunc_end150:
	.size	_ZN2at6native32elementwise_kernel_manual_unrollILi128ELi4EZNS0_15gpu_kernel_implIZZZNS0_12_GLOBAL__N_117clamp_kernel_implERNS_18TensorIteratorBaseEENKUlvE_clEvENKUlvE5_clEvEUlfffE_EEvS5_RKT_EUlibE_EEviT1_, .Lfunc_end150-_ZN2at6native32elementwise_kernel_manual_unrollILi128ELi4EZNS0_15gpu_kernel_implIZZZNS0_12_GLOBAL__N_117clamp_kernel_implERNS_18TensorIteratorBaseEENKUlvE_clEvENKUlvE5_clEvEUlfffE_EEvS5_RKT_EUlibE_EEviT1_
                                        ; -- End function
	.set _ZN2at6native32elementwise_kernel_manual_unrollILi128ELi4EZNS0_15gpu_kernel_implIZZZNS0_12_GLOBAL__N_117clamp_kernel_implERNS_18TensorIteratorBaseEENKUlvE_clEvENKUlvE5_clEvEUlfffE_EEvS5_RKT_EUlibE_EEviT1_.num_vgpr, 24
	.set _ZN2at6native32elementwise_kernel_manual_unrollILi128ELi4EZNS0_15gpu_kernel_implIZZZNS0_12_GLOBAL__N_117clamp_kernel_implERNS_18TensorIteratorBaseEENKUlvE_clEvENKUlvE5_clEvEUlfffE_EEvS5_RKT_EUlibE_EEviT1_.num_agpr, 0
	.set _ZN2at6native32elementwise_kernel_manual_unrollILi128ELi4EZNS0_15gpu_kernel_implIZZZNS0_12_GLOBAL__N_117clamp_kernel_implERNS_18TensorIteratorBaseEENKUlvE_clEvENKUlvE5_clEvEUlfffE_EEvS5_RKT_EUlibE_EEviT1_.numbered_sgpr, 42
	.set _ZN2at6native32elementwise_kernel_manual_unrollILi128ELi4EZNS0_15gpu_kernel_implIZZZNS0_12_GLOBAL__N_117clamp_kernel_implERNS_18TensorIteratorBaseEENKUlvE_clEvENKUlvE5_clEvEUlfffE_EEvS5_RKT_EUlibE_EEviT1_.num_named_barrier, 0
	.set _ZN2at6native32elementwise_kernel_manual_unrollILi128ELi4EZNS0_15gpu_kernel_implIZZZNS0_12_GLOBAL__N_117clamp_kernel_implERNS_18TensorIteratorBaseEENKUlvE_clEvENKUlvE5_clEvEUlfffE_EEvS5_RKT_EUlibE_EEviT1_.private_seg_size, 0
	.set _ZN2at6native32elementwise_kernel_manual_unrollILi128ELi4EZNS0_15gpu_kernel_implIZZZNS0_12_GLOBAL__N_117clamp_kernel_implERNS_18TensorIteratorBaseEENKUlvE_clEvENKUlvE5_clEvEUlfffE_EEvS5_RKT_EUlibE_EEviT1_.uses_vcc, 1
	.set _ZN2at6native32elementwise_kernel_manual_unrollILi128ELi4EZNS0_15gpu_kernel_implIZZZNS0_12_GLOBAL__N_117clamp_kernel_implERNS_18TensorIteratorBaseEENKUlvE_clEvENKUlvE5_clEvEUlfffE_EEvS5_RKT_EUlibE_EEviT1_.uses_flat_scratch, 0
	.set _ZN2at6native32elementwise_kernel_manual_unrollILi128ELi4EZNS0_15gpu_kernel_implIZZZNS0_12_GLOBAL__N_117clamp_kernel_implERNS_18TensorIteratorBaseEENKUlvE_clEvENKUlvE5_clEvEUlfffE_EEvS5_RKT_EUlibE_EEviT1_.has_dyn_sized_stack, 0
	.set _ZN2at6native32elementwise_kernel_manual_unrollILi128ELi4EZNS0_15gpu_kernel_implIZZZNS0_12_GLOBAL__N_117clamp_kernel_implERNS_18TensorIteratorBaseEENKUlvE_clEvENKUlvE5_clEvEUlfffE_EEvS5_RKT_EUlibE_EEviT1_.has_recursion, 0
	.set _ZN2at6native32elementwise_kernel_manual_unrollILi128ELi4EZNS0_15gpu_kernel_implIZZZNS0_12_GLOBAL__N_117clamp_kernel_implERNS_18TensorIteratorBaseEENKUlvE_clEvENKUlvE5_clEvEUlfffE_EEvS5_RKT_EUlibE_EEviT1_.has_indirect_call, 0
	.section	.AMDGPU.csdata,"",@progbits
; Kernel info:
; codeLenInByte = 74728
; TotalNumSgprs: 44
; NumVgprs: 24
; ScratchSize: 0
; MemoryBound: 1
; FloatMode: 240
; IeeeMode: 1
; LDSByteSize: 0 bytes/workgroup (compile time only)
; SGPRBlocks: 0
; VGPRBlocks: 1
; NumSGPRsForWavesPerEU: 44
; NumVGPRsForWavesPerEU: 24
; NamedBarCnt: 0
; Occupancy: 16
; WaveLimiterHint : 0
; COMPUTE_PGM_RSRC2:SCRATCH_EN: 0
; COMPUTE_PGM_RSRC2:USER_SGPR: 2
; COMPUTE_PGM_RSRC2:TRAP_HANDLER: 0
; COMPUTE_PGM_RSRC2:TGID_X_EN: 1
; COMPUTE_PGM_RSRC2:TGID_Y_EN: 0
; COMPUTE_PGM_RSRC2:TGID_Z_EN: 0
; COMPUTE_PGM_RSRC2:TIDIG_COMP_CNT: 0
	.section	.text._ZN2at6native32elementwise_kernel_manual_unrollILi128ELi4EZNS0_15gpu_kernel_implIZZZNS0_12_GLOBAL__N_117clamp_kernel_implERNS_18TensorIteratorBaseEENKUlvE_clEvENKUlvE5_clEvEUlfffE_EEvS5_RKT_EUlibE0_EEviT1_,"axG",@progbits,_ZN2at6native32elementwise_kernel_manual_unrollILi128ELi4EZNS0_15gpu_kernel_implIZZZNS0_12_GLOBAL__N_117clamp_kernel_implERNS_18TensorIteratorBaseEENKUlvE_clEvENKUlvE5_clEvEUlfffE_EEvS5_RKT_EUlibE0_EEviT1_,comdat
	.globl	_ZN2at6native32elementwise_kernel_manual_unrollILi128ELi4EZNS0_15gpu_kernel_implIZZZNS0_12_GLOBAL__N_117clamp_kernel_implERNS_18TensorIteratorBaseEENKUlvE_clEvENKUlvE5_clEvEUlfffE_EEvS5_RKT_EUlibE0_EEviT1_ ; -- Begin function _ZN2at6native32elementwise_kernel_manual_unrollILi128ELi4EZNS0_15gpu_kernel_implIZZZNS0_12_GLOBAL__N_117clamp_kernel_implERNS_18TensorIteratorBaseEENKUlvE_clEvENKUlvE5_clEvEUlfffE_EEvS5_RKT_EUlibE0_EEviT1_
	.p2align	8
	.type	_ZN2at6native32elementwise_kernel_manual_unrollILi128ELi4EZNS0_15gpu_kernel_implIZZZNS0_12_GLOBAL__N_117clamp_kernel_implERNS_18TensorIteratorBaseEENKUlvE_clEvENKUlvE5_clEvEUlfffE_EEvS5_RKT_EUlibE0_EEviT1_,@function
_ZN2at6native32elementwise_kernel_manual_unrollILi128ELi4EZNS0_15gpu_kernel_implIZZZNS0_12_GLOBAL__N_117clamp_kernel_implERNS_18TensorIteratorBaseEENKUlvE_clEvENKUlvE5_clEvEUlfffE_EEvS5_RKT_EUlibE0_EEviT1_: ; @_ZN2at6native32elementwise_kernel_manual_unrollILi128ELi4EZNS0_15gpu_kernel_implIZZZNS0_12_GLOBAL__N_117clamp_kernel_implERNS_18TensorIteratorBaseEENKUlvE_clEvENKUlvE5_clEvEUlfffE_EEvS5_RKT_EUlibE0_EEviT1_
; %bb.0:
	s_clause 0x1
	s_load_b32 s33, s[0:1], 0x8
	s_load_b32 s44, s[0:1], 0x0
	s_bfe_u32 s2, ttmp6, 0x4000c
	s_and_b32 s3, ttmp6, 15
	s_add_co_i32 s2, s2, 1
	s_getreg_b32 s4, hwreg(HW_REG_IB_STS2, 6, 4)
	s_mul_i32 s2, ttmp9, s2
	s_mov_b32 s35, 0
	s_add_co_i32 s3, s3, s2
	s_cmp_eq_u32 s4, 0
	s_mov_b32 s29, -1
	s_cselect_b32 s2, ttmp9, s3
	s_mov_b32 s10, 0
	v_lshl_or_b32 v0, s2, 9, v0
	s_add_nc_u64 s[2:3], s[0:1], 8
	s_wait_xcnt 0x0
	s_mov_b32 s0, exec_lo
	s_delay_alu instid0(VALU_DEP_1) | instskip(SKIP_2) | instid1(SALU_CYCLE_1)
	v_or_b32_e32 v1, 0x180, v0
	s_wait_kmcnt 0x0
	s_add_co_i32 s34, s33, -1
	s_cmp_gt_u32 s34, 1
	s_cselect_b32 s36, -1, 0
	v_cmpx_le_i32_e64 s44, v1
	s_xor_b32 s37, exec_lo, s0
	s_cbranch_execz .LBB151_2109
; %bb.1:
	v_mov_b32_e32 v1, 0
	s_clause 0x3
	s_load_b128 s[20:23], s[2:3], 0x4
	s_load_b64 s[0:1], s[2:3], 0x14
	s_load_b256 s[12:19], s[2:3], 0xc4
	s_load_b256 s[4:11], s[2:3], 0x1c8
	s_cmp_lg_u32 s33, 0
	s_mov_b32 s25, 0
	s_cselect_b32 s45, -1, 0
	global_load_b32 v1, v1, s[2:3] offset:489
	s_min_u32 s42, s34, 15
	s_cmp_gt_u32 s33, 1
	s_mov_b32 s27, s25
	s_mov_b32 s48, s25
	;; [unrolled: 1-line block ×4, first 2 shown]
	s_cselect_b32 s41, -1, 0
	s_mov_b32 s43, s25
	s_mov_b32 s49, exec_lo
	s_wait_kmcnt 0x0
	s_mov_b32 s24, s21
	s_mov_b32 s26, s0
	s_wait_loadcnt 0x0
	v_readfirstlane_b32 s38, v1
	s_lshr_b32 s39, s38, 16
	s_lshr_b32 s40, s38, 8
	;; [unrolled: 1-line block ×3, first 2 shown]
	v_cmpx_gt_i32_e64 s44, v0
	s_cbranch_execz .LBB151_523
; %bb.2:
	s_and_not1_b32 vcc_lo, exec_lo, s36
	s_cbranch_vccnz .LBB151_8
; %bb.3:
	s_and_not1_b32 vcc_lo, exec_lo, s45
	s_cbranch_vccnz .LBB151_9
; %bb.4:
	v_dual_mov_b32 v6, 0 :: v_dual_mov_b32 v1, v0
	v_dual_mov_b32 v4, 0 :: v_dual_mov_b32 v2, 0
	v_mov_b32_e32 v8, 0
	s_add_co_i32 s0, s42, 1
	s_mov_b64 s[28:29], 0xffffffffffffffe0
	s_and_b32 s0, s0, 30
	s_add_nc_u64 s[28:29], s[2:3], s[28:29]
	s_mov_b64 s[30:31], s[2:3]
.LBB151_5:                              ; =>This Inner Loop Header: Depth=1
	s_clause 0x1
	s_load_b128 s[60:63], s[30:31], 0x4
	s_load_b64 s[46:47], s[30:31], 0x14
	s_load_b256 s[52:59], s[28:29], 0xe4
	s_add_co_i32 s0, s0, -2
	s_wait_xcnt 0x0
	s_add_nc_u64 s[30:31], s[30:31], 24
	s_cmp_lg_u32 s0, 0
	s_add_nc_u64 s[28:29], s[28:29], 32
	s_wait_kmcnt 0x0
	v_mul_hi_u32 v3, s61, v1
	s_delay_alu instid0(VALU_DEP_1) | instskip(NEXT) | instid1(VALU_DEP_1)
	v_add_nc_u32_e32 v3, v1, v3
	v_lshrrev_b32_e32 v3, s62, v3
	s_delay_alu instid0(VALU_DEP_1) | instskip(SKIP_1) | instid1(VALU_DEP_1)
	v_mul_hi_u32 v5, s46, v3
	v_mul_lo_u32 v7, v3, s60
	v_dual_add_nc_u32 v5, v3, v5 :: v_dual_sub_nc_u32 v7, v1, v7
	s_delay_alu instid0(VALU_DEP_1) | instskip(NEXT) | instid1(VALU_DEP_2)
	v_lshrrev_b32_e32 v1, s47, v5
	v_mad_u32 v8, v7, s53, v8
	v_mad_u32 v2, v7, s52, v2
	;; [unrolled: 1-line block ×4, first 2 shown]
	v_mul_lo_u32 v5, v1, s63
	s_delay_alu instid0(VALU_DEP_1) | instskip(NEXT) | instid1(VALU_DEP_1)
	v_sub_nc_u32_e32 v3, v3, v5
	v_mad_u32 v8, v3, s57, v8
	v_mad_u32 v2, v3, s56, v2
	;; [unrolled: 1-line block ×4, first 2 shown]
	s_cbranch_scc1 .LBB151_5
; %bb.6:
	s_bitcmp1_b32 s42, 0
	s_cselect_b32 s0, -1, 0
	s_delay_alu instid0(SALU_CYCLE_1)
	s_and_b32 vcc_lo, exec_lo, s0
	s_cbranch_vccnz .LBB151_10
; %bb.7:
	s_load_b96 s[56:58], s[30:31], 0x4
	s_load_b128 s[52:55], s[28:29], 0xe4
	s_wait_kmcnt 0x0
	v_mul_hi_u32 v3, s57, v1
	s_delay_alu instid0(VALU_DEP_1) | instskip(NEXT) | instid1(VALU_DEP_1)
	v_add_nc_u32_e32 v3, v1, v3
	v_lshrrev_b32_e32 v3, s58, v3
	s_delay_alu instid0(VALU_DEP_1) | instskip(NEXT) | instid1(VALU_DEP_1)
	v_mul_lo_u32 v3, v3, s56
	v_sub_nc_u32_e32 v1, v1, v3
	s_delay_alu instid0(VALU_DEP_1)
	v_mad_u32 v2, v1, s52, v2
	v_mad_u32 v8, v1, s53, v8
	;; [unrolled: 1-line block ×4, first 2 shown]
	s_cbranch_execz .LBB151_11
	s_branch .LBB151_13
.LBB151_8:
                                        ; implicit-def: $vgpr8
                                        ; implicit-def: $vgpr2
                                        ; implicit-def: $vgpr4
                                        ; implicit-def: $vgpr6
	s_branch .LBB151_11
.LBB151_9:
	v_dual_mov_b32 v8, 0 :: v_dual_mov_b32 v2, 0
	v_dual_mov_b32 v4, 0 :: v_dual_mov_b32 v6, 0
.LBB151_10:
	s_cbranch_execnz .LBB151_13
.LBB151_11:
	v_mov_b32_e32 v1, 0
	s_and_not1_b32 vcc_lo, exec_lo, s41
	s_delay_alu instid0(VALU_DEP_1) | instskip(NEXT) | instid1(VALU_DEP_1)
	v_mul_u64_e32 v[2:3], s[24:25], v[0:1]
	v_add_nc_u32_e32 v2, v0, v3
	s_delay_alu instid0(VALU_DEP_1) | instskip(NEXT) | instid1(VALU_DEP_1)
	v_lshrrev_b32_e32 v10, s22, v2
	v_mul_lo_u32 v2, v10, s20
	s_delay_alu instid0(VALU_DEP_1) | instskip(NEXT) | instid1(VALU_DEP_1)
	v_sub_nc_u32_e32 v3, v0, v2
	v_mul_lo_u32 v8, v3, s13
	v_mul_lo_u32 v2, v3, s12
	;; [unrolled: 1-line block ×4, first 2 shown]
	s_cbranch_vccnz .LBB151_13
; %bb.12:
	v_mov_b32_e32 v11, v1
	s_delay_alu instid0(VALU_DEP_1) | instskip(NEXT) | instid1(VALU_DEP_1)
	v_mul_u64_e32 v[12:13], s[26:27], v[10:11]
	v_add_nc_u32_e32 v1, v10, v13
	s_delay_alu instid0(VALU_DEP_1) | instskip(NEXT) | instid1(VALU_DEP_1)
	v_lshrrev_b32_e32 v1, s1, v1
	v_mul_lo_u32 v1, v1, s23
	s_delay_alu instid0(VALU_DEP_1) | instskip(NEXT) | instid1(VALU_DEP_1)
	v_sub_nc_u32_e32 v1, v10, v1
	v_mad_u32 v2, v1, s16, v2
	v_mad_u32 v8, v1, s17, v8
	;; [unrolled: 1-line block ×4, first 2 shown]
.LBB151_13:
	v_mov_b32_e32 v9, 0
	s_and_b32 s0, s40, 0xff
	s_delay_alu instid0(SALU_CYCLE_1) | instskip(NEXT) | instid1(VALU_DEP_1)
	s_cmp_lt_i32 s0, 11
	v_add_nc_u64_e32 v[8:9], s[6:7], v[8:9]
	s_cbranch_scc1 .LBB151_20
; %bb.14:
	s_and_b32 s29, 0xffff, s0
	s_delay_alu instid0(SALU_CYCLE_1)
	s_cmp_gt_i32 s29, 25
	s_cbranch_scc0 .LBB151_29
; %bb.15:
	s_cmp_gt_i32 s29, 28
	s_cbranch_scc0 .LBB151_39
; %bb.16:
	;; [unrolled: 3-line block ×4, first 2 shown]
	s_cmp_eq_u32 s29, 46
	s_mov_b32 s31, 0
	s_cbranch_scc0 .LBB151_48
; %bb.19:
	global_load_b32 v1, v[8:9], off
	s_mov_b32 s30, -1
	s_mov_b32 s28, 0
	s_wait_loadcnt 0x0
	v_lshlrev_b32_e32 v1, 16, v1
	s_branch .LBB151_50
.LBB151_20:
	s_mov_b32 s28, 0
	s_mov_b32 s30, 0
                                        ; implicit-def: $vgpr1
	s_cbranch_execnz .LBB151_116
.LBB151_21:
	s_and_not1_b32 vcc_lo, exec_lo, s30
	s_cbranch_vccnz .LBB151_163
.LBB151_22:
	v_mov_b32_e32 v7, 0
	s_and_b32 s0, s39, 0xff
	s_delay_alu instid0(SALU_CYCLE_1) | instskip(NEXT) | instid1(VALU_DEP_1)
	s_cmp_lt_i32 s0, 11
	v_add_nc_u64_e32 v[6:7], s[8:9], v[6:7]
	s_cbranch_scc1 .LBB151_30
; %bb.23:
	s_and_b32 s30, 0xffff, s0
	s_delay_alu instid0(SALU_CYCLE_1)
	s_cmp_gt_i32 s30, 25
	s_cbranch_scc0 .LBB151_40
; %bb.24:
	s_cmp_gt_i32 s30, 28
	s_cbranch_scc0 .LBB151_43
; %bb.25:
	;; [unrolled: 3-line block ×4, first 2 shown]
	s_cmp_eq_u32 s30, 46
	s_mov_b32 s43, 0
	s_cbranch_scc0 .LBB151_164
; %bb.28:
	global_load_b32 v3, v[6:7], off
	s_mov_b32 s31, -1
	s_mov_b32 s29, 0
	s_wait_loadcnt 0x0
	v_lshlrev_b32_e32 v8, 16, v3
	s_branch .LBB151_166
.LBB151_29:
	s_mov_b32 s28, 0
	s_mov_b32 s30, 0
                                        ; implicit-def: $vgpr1
	s_cbranch_execnz .LBB151_81
	s_branch .LBB151_115
.LBB151_30:
	s_mov_b32 s29, 0
	s_mov_b32 s31, 0
                                        ; implicit-def: $vgpr8
	s_cbranch_execnz .LBB151_232
.LBB151_31:
	s_and_not1_b32 vcc_lo, exec_lo, s31
	s_cbranch_vccnz .LBB151_280
.LBB151_32:
	v_mov_b32_e32 v5, 0
	s_and_b32 s0, 0xffff, s21
	s_delay_alu instid0(SALU_CYCLE_1) | instskip(NEXT) | instid1(VALU_DEP_1)
	s_cmp_lt_i32 s0, 11
	v_add_nc_u64_e32 v[4:5], s[10:11], v[4:5]
	s_cbranch_scc1 .LBB151_41
; %bb.33:
	s_cmp_gt_i32 s0, 25
	s_cbranch_scc0 .LBB151_44
; %bb.34:
	s_cmp_gt_i32 s0, 28
	s_cbranch_scc0 .LBB151_47
	;; [unrolled: 3-line block ×4, first 2 shown]
; %bb.37:
	s_cmp_eq_u32 s0, 46
	s_mov_b32 s43, 0
	s_cbranch_scc0 .LBB151_281
; %bb.38:
	global_load_b32 v3, v[4:5], off
	s_mov_b32 s31, -1
	s_mov_b32 s30, 0
	s_wait_loadcnt 0x0
	v_lshlrev_b32_e32 v3, 16, v3
	s_branch .LBB151_283
.LBB151_39:
	s_mov_b32 s31, -1
	s_mov_b32 s28, 0
	s_mov_b32 s30, 0
                                        ; implicit-def: $vgpr1
	s_branch .LBB151_62
.LBB151_40:
	s_mov_b32 s43, -1
	s_mov_b32 s29, 0
	s_mov_b32 s31, 0
                                        ; implicit-def: $vgpr8
	s_branch .LBB151_196
.LBB151_41:
	s_mov_b32 s43, -1
	s_mov_b32 s30, 0
	s_mov_b32 s31, 0
                                        ; implicit-def: $vgpr3
	s_branch .LBB151_348
.LBB151_42:
	s_mov_b32 s31, -1
	s_mov_b32 s28, 0
	s_mov_b32 s30, 0
                                        ; implicit-def: $vgpr1
	s_branch .LBB151_57
.LBB151_43:
	s_mov_b32 s43, -1
	s_mov_b32 s29, 0
	s_mov_b32 s31, 0
                                        ; implicit-def: $vgpr8
	s_branch .LBB151_177
.LBB151_44:
	s_mov_b32 s43, -1
	s_mov_b32 s30, 0
	s_mov_b32 s31, 0
                                        ; implicit-def: $vgpr3
	s_branch .LBB151_312
.LBB151_45:
	s_mov_b32 s31, -1
	s_mov_b32 s28, 0
	s_branch .LBB151_49
.LBB151_46:
	s_mov_b32 s43, -1
	s_mov_b32 s29, 0
	s_mov_b32 s31, 0
                                        ; implicit-def: $vgpr8
	s_branch .LBB151_172
.LBB151_47:
	s_mov_b32 s43, -1
	s_mov_b32 s30, 0
	s_mov_b32 s31, 0
                                        ; implicit-def: $vgpr3
	s_branch .LBB151_293
.LBB151_48:
	s_mov_b32 s28, -1
.LBB151_49:
	s_mov_b32 s30, 0
                                        ; implicit-def: $vgpr1
.LBB151_50:
	s_and_b32 vcc_lo, exec_lo, s31
	s_cbranch_vccz .LBB151_56
; %bb.51:
	s_cmp_eq_u32 s29, 44
	s_cbranch_scc0 .LBB151_55
; %bb.52:
	global_load_u8 v1, v[8:9], off
	s_mov_b32 s28, 0
	s_mov_b32 s30, -1
	s_wait_loadcnt 0x0
	v_lshlrev_b32_e32 v3, 23, v1
	v_cmp_ne_u32_e32 vcc_lo, 0xff, v1
	s_delay_alu instid0(VALU_DEP_2) | instskip(SKIP_1) | instid1(VALU_DEP_2)
	v_cndmask_b32_e32 v3, 0x7f800001, v3, vcc_lo
	v_cmp_ne_u32_e32 vcc_lo, 0, v1
	v_cndmask_b32_e32 v1, 0x400000, v3, vcc_lo
	s_branch .LBB151_56
.LBB151_53:
	s_mov_b32 s43, -1
	s_mov_b32 s29, 0
	s_branch .LBB151_165
.LBB151_54:
	s_mov_b32 s43, -1
	s_mov_b32 s30, 0
	s_mov_b32 s31, 0
                                        ; implicit-def: $vgpr3
	s_branch .LBB151_288
.LBB151_55:
	s_mov_b32 s28, -1
                                        ; implicit-def: $vgpr1
.LBB151_56:
	s_mov_b32 s31, 0
.LBB151_57:
	s_delay_alu instid0(SALU_CYCLE_1)
	s_and_b32 vcc_lo, exec_lo, s31
	s_cbranch_vccz .LBB151_61
; %bb.58:
	s_cmp_eq_u32 s29, 29
	s_cbranch_scc0 .LBB151_60
; %bb.59:
	global_load_b64 v[10:11], v[8:9], off
	s_mov_b32 s30, -1
	s_mov_b32 s28, 0
	s_mov_b32 s31, 0
	s_wait_loadcnt 0x0
	v_clz_i32_u32_e32 v1, v11
	s_delay_alu instid0(VALU_DEP_1) | instskip(NEXT) | instid1(VALU_DEP_1)
	v_min_u32_e32 v1, 32, v1
	v_lshlrev_b64_e32 v[10:11], v1, v[10:11]
	v_sub_nc_u32_e32 v1, 32, v1
	s_delay_alu instid0(VALU_DEP_2) | instskip(NEXT) | instid1(VALU_DEP_1)
	v_min_u32_e32 v3, 1, v10
	v_or_b32_e32 v3, v11, v3
	s_delay_alu instid0(VALU_DEP_1) | instskip(NEXT) | instid1(VALU_DEP_1)
	v_cvt_f32_u32_e32 v3, v3
	v_ldexp_f32 v1, v3, v1
	s_branch .LBB151_62
.LBB151_60:
	s_mov_b32 s28, -1
                                        ; implicit-def: $vgpr1
.LBB151_61:
	s_mov_b32 s31, 0
.LBB151_62:
	s_delay_alu instid0(SALU_CYCLE_1)
	s_and_b32 vcc_lo, exec_lo, s31
	s_cbranch_vccz .LBB151_80
; %bb.63:
	s_cmp_lt_i32 s29, 27
	s_cbranch_scc1 .LBB151_66
; %bb.64:
	s_cmp_gt_i32 s29, 27
	s_cbranch_scc0 .LBB151_67
; %bb.65:
	global_load_b32 v1, v[8:9], off
	s_mov_b32 s30, 0
	s_wait_loadcnt 0x0
	v_cvt_f32_u32_e32 v1, v1
	s_branch .LBB151_68
.LBB151_66:
	s_mov_b32 s30, -1
                                        ; implicit-def: $vgpr1
	s_branch .LBB151_71
.LBB151_67:
	s_mov_b32 s30, -1
                                        ; implicit-def: $vgpr1
.LBB151_68:
	s_delay_alu instid0(SALU_CYCLE_1)
	s_and_not1_b32 vcc_lo, exec_lo, s30
	s_cbranch_vccnz .LBB151_70
; %bb.69:
	global_load_u16 v1, v[8:9], off
	s_wait_loadcnt 0x0
	v_cvt_f32_u32_e32 v1, v1
.LBB151_70:
	s_mov_b32 s30, 0
.LBB151_71:
	s_delay_alu instid0(SALU_CYCLE_1)
	s_and_not1_b32 vcc_lo, exec_lo, s30
	s_cbranch_vccnz .LBB151_79
; %bb.72:
	global_load_u8 v3, v[8:9], off
	s_mov_b32 s30, 0
	s_mov_b32 s31, exec_lo
	s_wait_loadcnt 0x0
	v_cmpx_lt_i16_e32 0x7f, v3
	s_xor_b32 s31, exec_lo, s31
	s_cbranch_execz .LBB151_92
; %bb.73:
	s_mov_b32 s30, -1
	s_mov_b32 s43, exec_lo
	v_cmpx_eq_u16_e32 0x80, v3
; %bb.74:
	s_xor_b32 s30, exec_lo, -1
; %bb.75:
	s_or_b32 exec_lo, exec_lo, s43
	s_delay_alu instid0(SALU_CYCLE_1)
	s_and_b32 s30, s30, exec_lo
	s_or_saveexec_b32 s31, s31
	v_mov_b32_e32 v1, 0x7f800001
	s_xor_b32 exec_lo, exec_lo, s31
	s_cbranch_execnz .LBB151_93
.LBB151_76:
	s_or_b32 exec_lo, exec_lo, s31
	s_and_saveexec_b32 s31, s30
	s_cbranch_execz .LBB151_78
.LBB151_77:
	v_and_b32_e32 v1, 0xffff, v3
	s_delay_alu instid0(VALU_DEP_1) | instskip(SKIP_1) | instid1(VALU_DEP_2)
	v_and_b32_e32 v5, 7, v1
	v_bfe_u32 v11, v1, 3, 4
	v_clz_i32_u32_e32 v7, v5
	s_delay_alu instid0(VALU_DEP_2) | instskip(NEXT) | instid1(VALU_DEP_2)
	v_cmp_eq_u32_e32 vcc_lo, 0, v11
	v_min_u32_e32 v7, 32, v7
	s_delay_alu instid0(VALU_DEP_1) | instskip(NEXT) | instid1(VALU_DEP_1)
	v_subrev_nc_u32_e32 v10, 28, v7
	v_dual_lshlrev_b32 v1, v10, v1 :: v_dual_sub_nc_u32 v7, 29, v7
	s_delay_alu instid0(VALU_DEP_1) | instskip(NEXT) | instid1(VALU_DEP_1)
	v_dual_lshlrev_b32 v3, 24, v3 :: v_dual_bitop2_b32 v1, 7, v1 bitop3:0x40
	v_dual_cndmask_b32 v1, v5, v1, vcc_lo :: v_dual_cndmask_b32 v7, v11, v7, vcc_lo
	s_delay_alu instid0(VALU_DEP_2) | instskip(NEXT) | instid1(VALU_DEP_2)
	v_and_b32_e32 v3, 0x80000000, v3
	v_lshlrev_b32_e32 v1, 20, v1
	s_delay_alu instid0(VALU_DEP_3) | instskip(NEXT) | instid1(VALU_DEP_1)
	v_lshl_add_u32 v5, v7, 23, 0x3b800000
	v_or3_b32 v1, v3, v5, v1
.LBB151_78:
	s_or_b32 exec_lo, exec_lo, s31
.LBB151_79:
	s_mov_b32 s30, -1
.LBB151_80:
	s_branch .LBB151_115
.LBB151_81:
	s_cmp_gt_i32 s29, 22
	s_cbranch_scc0 .LBB151_91
; %bb.82:
	s_cmp_lt_i32 s29, 24
	s_cbranch_scc1 .LBB151_94
; %bb.83:
	s_cmp_gt_i32 s29, 24
	s_cbranch_scc0 .LBB151_95
; %bb.84:
	global_load_u8 v3, v[8:9], off
	s_mov_b32 s30, 0
	s_mov_b32 s31, exec_lo
	s_wait_loadcnt 0x0
	v_cmpx_lt_i16_e32 0x7f, v3
	s_xor_b32 s31, exec_lo, s31
	s_cbranch_execz .LBB151_107
; %bb.85:
	s_mov_b32 s30, -1
	s_mov_b32 s43, exec_lo
	v_cmpx_eq_u16_e32 0x80, v3
; %bb.86:
	s_xor_b32 s30, exec_lo, -1
; %bb.87:
	s_or_b32 exec_lo, exec_lo, s43
	s_delay_alu instid0(SALU_CYCLE_1)
	s_and_b32 s30, s30, exec_lo
	s_or_saveexec_b32 s31, s31
	v_mov_b32_e32 v1, 0x7f800001
	s_xor_b32 exec_lo, exec_lo, s31
	s_cbranch_execnz .LBB151_108
.LBB151_88:
	s_or_b32 exec_lo, exec_lo, s31
	s_and_saveexec_b32 s31, s30
	s_cbranch_execz .LBB151_90
.LBB151_89:
	v_and_b32_e32 v1, 0xffff, v3
	s_delay_alu instid0(VALU_DEP_1) | instskip(SKIP_1) | instid1(VALU_DEP_2)
	v_and_b32_e32 v5, 3, v1
	v_bfe_u32 v11, v1, 2, 5
	v_clz_i32_u32_e32 v7, v5
	s_delay_alu instid0(VALU_DEP_2) | instskip(NEXT) | instid1(VALU_DEP_2)
	v_cmp_eq_u32_e32 vcc_lo, 0, v11
	v_min_u32_e32 v7, 32, v7
	s_delay_alu instid0(VALU_DEP_1) | instskip(NEXT) | instid1(VALU_DEP_1)
	v_subrev_nc_u32_e32 v10, 29, v7
	v_dual_lshlrev_b32 v1, v10, v1 :: v_dual_sub_nc_u32 v7, 30, v7
	s_delay_alu instid0(VALU_DEP_1) | instskip(NEXT) | instid1(VALU_DEP_1)
	v_dual_lshlrev_b32 v3, 24, v3 :: v_dual_bitop2_b32 v1, 3, v1 bitop3:0x40
	v_dual_cndmask_b32 v1, v5, v1, vcc_lo :: v_dual_cndmask_b32 v7, v11, v7, vcc_lo
	s_delay_alu instid0(VALU_DEP_2) | instskip(NEXT) | instid1(VALU_DEP_2)
	v_and_b32_e32 v3, 0x80000000, v3
	v_lshlrev_b32_e32 v1, 21, v1
	s_delay_alu instid0(VALU_DEP_3) | instskip(NEXT) | instid1(VALU_DEP_1)
	v_lshl_add_u32 v5, v7, 23, 0x37800000
	v_or3_b32 v1, v3, v5, v1
.LBB151_90:
	s_or_b32 exec_lo, exec_lo, s31
	s_mov_b32 s30, 0
	s_branch .LBB151_96
.LBB151_91:
	s_mov_b32 s31, -1
                                        ; implicit-def: $vgpr1
	s_branch .LBB151_102
.LBB151_92:
	s_or_saveexec_b32 s31, s31
	v_mov_b32_e32 v1, 0x7f800001
	s_xor_b32 exec_lo, exec_lo, s31
	s_cbranch_execz .LBB151_76
.LBB151_93:
	v_cmp_ne_u16_e32 vcc_lo, 0, v3
	v_mov_b32_e32 v1, 0
	s_and_not1_b32 s30, s30, exec_lo
	s_and_b32 s43, vcc_lo, exec_lo
	s_delay_alu instid0(SALU_CYCLE_1)
	s_or_b32 s30, s30, s43
	s_or_b32 exec_lo, exec_lo, s31
	s_and_saveexec_b32 s31, s30
	s_cbranch_execnz .LBB151_77
	s_branch .LBB151_78
.LBB151_94:
	s_mov_b32 s30, -1
                                        ; implicit-def: $vgpr1
	s_branch .LBB151_99
.LBB151_95:
	s_mov_b32 s30, -1
                                        ; implicit-def: $vgpr1
.LBB151_96:
	s_delay_alu instid0(SALU_CYCLE_1)
	s_and_b32 vcc_lo, exec_lo, s30
	s_cbranch_vccz .LBB151_98
; %bb.97:
	global_load_u8 v1, v[8:9], off
	s_wait_loadcnt 0x0
	v_lshlrev_b32_e32 v1, 24, v1
	s_delay_alu instid0(VALU_DEP_1) | instskip(NEXT) | instid1(VALU_DEP_1)
	v_and_b32_e32 v3, 0x7f000000, v1
	v_clz_i32_u32_e32 v5, v3
	v_cmp_ne_u32_e32 vcc_lo, 0, v3
	v_add_nc_u32_e32 v10, 0x1000000, v3
	s_delay_alu instid0(VALU_DEP_3) | instskip(NEXT) | instid1(VALU_DEP_1)
	v_min_u32_e32 v5, 32, v5
	v_sub_nc_u32_e64 v5, v5, 4 clamp
	s_delay_alu instid0(VALU_DEP_1) | instskip(NEXT) | instid1(VALU_DEP_1)
	v_dual_lshlrev_b32 v7, v5, v3 :: v_dual_lshlrev_b32 v5, 23, v5
	v_lshrrev_b32_e32 v7, 4, v7
	s_delay_alu instid0(VALU_DEP_1) | instskip(NEXT) | instid1(VALU_DEP_1)
	v_dual_sub_nc_u32 v5, v7, v5 :: v_dual_ashrrev_i32 v7, 8, v10
	v_add_nc_u32_e32 v5, 0x3c000000, v5
	s_delay_alu instid0(VALU_DEP_1) | instskip(NEXT) | instid1(VALU_DEP_1)
	v_and_or_b32 v5, 0x7f800000, v7, v5
	v_cndmask_b32_e32 v3, 0, v5, vcc_lo
	s_delay_alu instid0(VALU_DEP_1)
	v_and_or_b32 v1, 0x80000000, v1, v3
.LBB151_98:
	s_mov_b32 s30, 0
.LBB151_99:
	s_delay_alu instid0(SALU_CYCLE_1)
	s_and_not1_b32 vcc_lo, exec_lo, s30
	s_cbranch_vccnz .LBB151_101
; %bb.100:
	global_load_u8 v1, v[8:9], off
	s_wait_loadcnt 0x0
	v_lshlrev_b32_e32 v3, 25, v1
	v_lshlrev_b16 v1, 8, v1
	s_delay_alu instid0(VALU_DEP_1) | instskip(SKIP_1) | instid1(VALU_DEP_2)
	v_and_or_b32 v7, 0x7f00, v1, 0.5
	v_bfe_i32 v1, v1, 0, 16
	v_add_f32_e32 v7, -0.5, v7
	v_lshrrev_b32_e32 v5, 4, v3
	v_cmp_gt_u32_e32 vcc_lo, 0x8000000, v3
	s_delay_alu instid0(VALU_DEP_2) | instskip(NEXT) | instid1(VALU_DEP_1)
	v_or_b32_e32 v5, 0x70000000, v5
	v_mul_f32_e32 v5, 0x7800000, v5
	s_delay_alu instid0(VALU_DEP_1) | instskip(NEXT) | instid1(VALU_DEP_1)
	v_cndmask_b32_e32 v3, v5, v7, vcc_lo
	v_and_or_b32 v1, 0x80000000, v1, v3
.LBB151_101:
	s_mov_b32 s31, 0
	s_mov_b32 s30, -1
.LBB151_102:
	s_and_not1_b32 vcc_lo, exec_lo, s31
	s_cbranch_vccnz .LBB151_115
; %bb.103:
	s_cmp_gt_i32 s29, 14
	s_cbranch_scc0 .LBB151_106
; %bb.104:
	s_cmp_eq_u32 s29, 15
	s_cbranch_scc0 .LBB151_109
; %bb.105:
	global_load_u16 v1, v[8:9], off
	s_mov_b32 s30, -1
	s_mov_b32 s28, 0
	s_wait_loadcnt 0x0
	v_lshlrev_b32_e32 v1, 16, v1
	s_branch .LBB151_110
.LBB151_106:
	s_mov_b32 s31, -1
                                        ; implicit-def: $vgpr1
	s_branch .LBB151_111
.LBB151_107:
	s_or_saveexec_b32 s31, s31
	v_mov_b32_e32 v1, 0x7f800001
	s_xor_b32 exec_lo, exec_lo, s31
	s_cbranch_execz .LBB151_88
.LBB151_108:
	v_cmp_ne_u16_e32 vcc_lo, 0, v3
	v_mov_b32_e32 v1, 0
	s_and_not1_b32 s30, s30, exec_lo
	s_and_b32 s43, vcc_lo, exec_lo
	s_delay_alu instid0(SALU_CYCLE_1)
	s_or_b32 s30, s30, s43
	s_or_b32 exec_lo, exec_lo, s31
	s_and_saveexec_b32 s31, s30
	s_cbranch_execnz .LBB151_89
	s_branch .LBB151_90
.LBB151_109:
	s_mov_b32 s28, -1
                                        ; implicit-def: $vgpr1
.LBB151_110:
	s_mov_b32 s31, 0
.LBB151_111:
	s_delay_alu instid0(SALU_CYCLE_1)
	s_and_b32 vcc_lo, exec_lo, s31
	s_cbranch_vccz .LBB151_115
; %bb.112:
	s_cmp_eq_u32 s29, 11
	s_cbranch_scc0 .LBB151_114
; %bb.113:
	global_load_u8 v1, v[8:9], off
	s_mov_b32 s28, 0
	s_mov_b32 s30, -1
	s_wait_loadcnt 0x0
	v_cmp_ne_u16_e32 vcc_lo, 0, v1
	v_cndmask_b32_e64 v1, 0, 1.0, vcc_lo
	s_branch .LBB151_115
.LBB151_114:
	s_mov_b32 s28, -1
                                        ; implicit-def: $vgpr1
.LBB151_115:
	s_branch .LBB151_21
.LBB151_116:
	s_and_b32 s0, 0xffff, s0
	s_delay_alu instid0(SALU_CYCLE_1)
	s_cmp_lt_i32 s0, 5
	s_cbranch_scc1 .LBB151_121
; %bb.117:
	s_cmp_lt_i32 s0, 8
	s_cbranch_scc1 .LBB151_122
; %bb.118:
	;; [unrolled: 3-line block ×3, first 2 shown]
	s_cmp_gt_i32 s0, 9
	s_cbranch_scc0 .LBB151_124
; %bb.120:
	global_load_b64 v[10:11], v[8:9], off
	s_mov_b32 s29, 0
	s_wait_loadcnt 0x0
	v_cvt_f32_f64_e32 v1, v[10:11]
	s_branch .LBB151_125
.LBB151_121:
                                        ; implicit-def: $vgpr1
	s_branch .LBB151_143
.LBB151_122:
	s_mov_b32 s29, -1
                                        ; implicit-def: $vgpr1
	s_branch .LBB151_131
.LBB151_123:
	s_mov_b32 s29, -1
                                        ; implicit-def: $vgpr1
	s_branch .LBB151_128
.LBB151_124:
	s_mov_b32 s29, -1
                                        ; implicit-def: $vgpr1
.LBB151_125:
	s_delay_alu instid0(SALU_CYCLE_1)
	s_and_not1_b32 vcc_lo, exec_lo, s29
	s_cbranch_vccnz .LBB151_127
; %bb.126:
	global_load_b32 v1, v[8:9], off
.LBB151_127:
	s_mov_b32 s29, 0
.LBB151_128:
	s_delay_alu instid0(SALU_CYCLE_1)
	s_and_not1_b32 vcc_lo, exec_lo, s29
	s_cbranch_vccnz .LBB151_130
; %bb.129:
	s_wait_loadcnt 0x0
	global_load_b32 v1, v[8:9], off
	s_wait_loadcnt 0x0
	v_cvt_f32_f16_e32 v1, v1
.LBB151_130:
	s_mov_b32 s29, 0
.LBB151_131:
	s_delay_alu instid0(SALU_CYCLE_1)
	s_and_not1_b32 vcc_lo, exec_lo, s29
	s_cbranch_vccnz .LBB151_142
; %bb.132:
	s_cmp_lt_i32 s0, 6
	s_cbranch_scc1 .LBB151_135
; %bb.133:
	s_cmp_gt_i32 s0, 6
	s_cbranch_scc0 .LBB151_136
; %bb.134:
	global_load_b64 v[10:11], v[8:9], off
	s_mov_b32 s29, 0
	s_wait_loadcnt 0x0
	v_cvt_f32_f64_e32 v1, v[10:11]
	s_branch .LBB151_137
.LBB151_135:
	s_mov_b32 s29, -1
                                        ; implicit-def: $vgpr1
	s_branch .LBB151_140
.LBB151_136:
	s_mov_b32 s29, -1
                                        ; implicit-def: $vgpr1
.LBB151_137:
	s_delay_alu instid0(SALU_CYCLE_1)
	s_and_not1_b32 vcc_lo, exec_lo, s29
	s_cbranch_vccnz .LBB151_139
; %bb.138:
	s_wait_loadcnt 0x0
	global_load_b32 v1, v[8:9], off
.LBB151_139:
	s_mov_b32 s29, 0
.LBB151_140:
	s_delay_alu instid0(SALU_CYCLE_1)
	s_and_not1_b32 vcc_lo, exec_lo, s29
	s_cbranch_vccnz .LBB151_142
; %bb.141:
	s_wait_loadcnt 0x0
	global_load_u16 v1, v[8:9], off
	s_wait_loadcnt 0x0
	v_cvt_f32_f16_e32 v1, v1
.LBB151_142:
	s_cbranch_execnz .LBB151_162
.LBB151_143:
	s_cmp_lt_i32 s0, 2
	s_cbranch_scc1 .LBB151_147
; %bb.144:
	s_cmp_lt_i32 s0, 3
	s_cbranch_scc1 .LBB151_148
; %bb.145:
	s_cmp_gt_i32 s0, 3
	s_cbranch_scc0 .LBB151_149
; %bb.146:
	global_load_b64 v[10:11], v[8:9], off
	s_mov_b32 s29, 0
	s_wait_loadcnt 0x0
	v_xor_b32_e32 v1, v10, v11
	v_cls_i32_e32 v3, v11
	s_delay_alu instid0(VALU_DEP_2) | instskip(NEXT) | instid1(VALU_DEP_1)
	v_ashrrev_i32_e32 v1, 31, v1
	v_add_nc_u32_e32 v1, 32, v1
	s_delay_alu instid0(VALU_DEP_1) | instskip(NEXT) | instid1(VALU_DEP_1)
	v_add_min_u32_e64 v1, v3, -1, v1
	v_lshlrev_b64_e32 v[10:11], v1, v[10:11]
	v_sub_nc_u32_e32 v1, 32, v1
	s_delay_alu instid0(VALU_DEP_2) | instskip(NEXT) | instid1(VALU_DEP_1)
	v_min_u32_e32 v3, 1, v10
	v_or_b32_e32 v3, v11, v3
	s_delay_alu instid0(VALU_DEP_1) | instskip(NEXT) | instid1(VALU_DEP_1)
	v_cvt_f32_i32_e32 v3, v3
	v_ldexp_f32 v1, v3, v1
	s_branch .LBB151_150
.LBB151_147:
	s_mov_b32 s29, -1
                                        ; implicit-def: $vgpr1
	s_branch .LBB151_156
.LBB151_148:
	s_mov_b32 s29, -1
                                        ; implicit-def: $vgpr1
	s_branch .LBB151_153
.LBB151_149:
	s_mov_b32 s29, -1
                                        ; implicit-def: $vgpr1
.LBB151_150:
	s_delay_alu instid0(SALU_CYCLE_1)
	s_and_not1_b32 vcc_lo, exec_lo, s29
	s_cbranch_vccnz .LBB151_152
; %bb.151:
	s_wait_loadcnt 0x0
	global_load_b32 v1, v[8:9], off
	s_wait_loadcnt 0x0
	v_cvt_f32_i32_e32 v1, v1
.LBB151_152:
	s_mov_b32 s29, 0
.LBB151_153:
	s_delay_alu instid0(SALU_CYCLE_1)
	s_and_not1_b32 vcc_lo, exec_lo, s29
	s_cbranch_vccnz .LBB151_155
; %bb.154:
	s_wait_loadcnt 0x0
	global_load_i16 v1, v[8:9], off
	s_wait_loadcnt 0x0
	v_cvt_f32_i32_e32 v1, v1
.LBB151_155:
	s_mov_b32 s29, 0
.LBB151_156:
	s_delay_alu instid0(SALU_CYCLE_1)
	s_and_not1_b32 vcc_lo, exec_lo, s29
	s_cbranch_vccnz .LBB151_162
; %bb.157:
	s_cmp_gt_i32 s0, 0
	s_mov_b32 s0, 0
	s_cbranch_scc0 .LBB151_159
; %bb.158:
	s_wait_loadcnt 0x0
	global_load_i8 v1, v[8:9], off
	s_wait_loadcnt 0x0
	v_cvt_f32_i32_e32 v1, v1
	s_branch .LBB151_160
.LBB151_159:
	s_mov_b32 s0, -1
                                        ; implicit-def: $vgpr1
.LBB151_160:
	s_delay_alu instid0(SALU_CYCLE_1)
	s_and_not1_b32 vcc_lo, exec_lo, s0
	s_cbranch_vccnz .LBB151_162
; %bb.161:
	s_wait_loadcnt 0x0
	global_load_u8 v1, v[8:9], off
	s_wait_loadcnt 0x0
	v_cvt_f32_ubyte0_e32 v1, v1
.LBB151_162:
	s_branch .LBB151_22
.LBB151_163:
	s_mov_b32 s0, 0
	s_mov_b32 s30, 0
	s_mov_b32 s29, 0
	s_branch .LBB151_521
.LBB151_164:
	s_mov_b32 s29, -1
.LBB151_165:
	s_mov_b32 s31, 0
                                        ; implicit-def: $vgpr8
.LBB151_166:
	s_and_b32 vcc_lo, exec_lo, s43
	s_cbranch_vccz .LBB151_171
; %bb.167:
	s_cmp_eq_u32 s30, 44
	s_cbranch_scc0 .LBB151_170
; %bb.168:
	global_load_u8 v3, v[6:7], off
	s_mov_b32 s29, 0
	s_mov_b32 s31, -1
	s_wait_loadcnt 0x0
	v_lshlrev_b32_e32 v5, 23, v3
	v_cmp_ne_u32_e32 vcc_lo, 0xff, v3
	s_delay_alu instid0(VALU_DEP_2) | instskip(SKIP_1) | instid1(VALU_DEP_2)
	v_cndmask_b32_e32 v5, 0x7f800001, v5, vcc_lo
	v_cmp_ne_u32_e32 vcc_lo, 0, v3
	v_cndmask_b32_e32 v8, 0x400000, v5, vcc_lo
	s_branch .LBB151_171
.LBB151_169:
	s_mov_b32 s43, -1
	s_mov_b32 s30, 0
	s_branch .LBB151_282
.LBB151_170:
	s_mov_b32 s29, -1
                                        ; implicit-def: $vgpr8
.LBB151_171:
	s_mov_b32 s43, 0
.LBB151_172:
	s_delay_alu instid0(SALU_CYCLE_1)
	s_and_b32 vcc_lo, exec_lo, s43
	s_cbranch_vccz .LBB151_176
; %bb.173:
	s_cmp_eq_u32 s30, 29
	s_cbranch_scc0 .LBB151_175
; %bb.174:
	global_load_b64 v[8:9], v[6:7], off
	s_mov_b32 s31, -1
	s_mov_b32 s29, 0
	s_mov_b32 s43, 0
	s_wait_loadcnt 0x0
	v_clz_i32_u32_e32 v3, v9
	s_delay_alu instid0(VALU_DEP_1) | instskip(NEXT) | instid1(VALU_DEP_1)
	v_min_u32_e32 v3, 32, v3
	v_lshlrev_b64_e32 v[8:9], v3, v[8:9]
	v_sub_nc_u32_e32 v3, 32, v3
	s_delay_alu instid0(VALU_DEP_2) | instskip(NEXT) | instid1(VALU_DEP_1)
	v_min_u32_e32 v5, 1, v8
	v_or_b32_e32 v5, v9, v5
	s_delay_alu instid0(VALU_DEP_1) | instskip(NEXT) | instid1(VALU_DEP_1)
	v_cvt_f32_u32_e32 v5, v5
	v_ldexp_f32 v8, v5, v3
	s_branch .LBB151_177
.LBB151_175:
	s_mov_b32 s29, -1
                                        ; implicit-def: $vgpr8
.LBB151_176:
	s_mov_b32 s43, 0
.LBB151_177:
	s_delay_alu instid0(SALU_CYCLE_1)
	s_and_b32 vcc_lo, exec_lo, s43
	s_cbranch_vccz .LBB151_195
; %bb.178:
	s_cmp_lt_i32 s30, 27
	s_cbranch_scc1 .LBB151_181
; %bb.179:
	s_cmp_gt_i32 s30, 27
	s_cbranch_scc0 .LBB151_182
; %bb.180:
	global_load_b32 v3, v[6:7], off
	s_mov_b32 s31, 0
	s_wait_loadcnt 0x0
	v_cvt_f32_u32_e32 v8, v3
	s_branch .LBB151_183
.LBB151_181:
	s_mov_b32 s31, -1
                                        ; implicit-def: $vgpr8
	s_branch .LBB151_186
.LBB151_182:
	s_mov_b32 s31, -1
                                        ; implicit-def: $vgpr8
.LBB151_183:
	s_delay_alu instid0(SALU_CYCLE_1)
	s_and_not1_b32 vcc_lo, exec_lo, s31
	s_cbranch_vccnz .LBB151_185
; %bb.184:
	global_load_u16 v3, v[6:7], off
	s_wait_loadcnt 0x0
	v_cvt_f32_u32_e32 v8, v3
.LBB151_185:
	s_mov_b32 s31, 0
.LBB151_186:
	s_delay_alu instid0(SALU_CYCLE_1)
	s_and_not1_b32 vcc_lo, exec_lo, s31
	s_cbranch_vccnz .LBB151_194
; %bb.187:
	global_load_u8 v3, v[6:7], off
	s_mov_b32 s31, 0
	s_mov_b32 s43, exec_lo
	s_wait_loadcnt 0x0
	v_cmpx_lt_i16_e32 0x7f, v3
	s_xor_b32 s43, exec_lo, s43
	s_cbranch_execz .LBB151_208
; %bb.188:
	s_mov_b32 s31, -1
	s_mov_b32 s46, exec_lo
	v_cmpx_eq_u16_e32 0x80, v3
; %bb.189:
	s_xor_b32 s31, exec_lo, -1
; %bb.190:
	s_or_b32 exec_lo, exec_lo, s46
	s_delay_alu instid0(SALU_CYCLE_1)
	s_and_b32 s31, s31, exec_lo
	s_or_saveexec_b32 s43, s43
	v_mov_b32_e32 v8, 0x7f800001
	s_xor_b32 exec_lo, exec_lo, s43
	s_cbranch_execnz .LBB151_209
.LBB151_191:
	s_or_b32 exec_lo, exec_lo, s43
	s_and_saveexec_b32 s43, s31
	s_cbranch_execz .LBB151_193
.LBB151_192:
	v_and_b32_e32 v5, 0xffff, v3
	s_delay_alu instid0(VALU_DEP_1) | instskip(SKIP_1) | instid1(VALU_DEP_2)
	v_dual_lshlrev_b32 v3, 24, v3 :: v_dual_bitop2_b32 v8, 7, v5 bitop3:0x40
	v_bfe_u32 v11, v5, 3, 4
	v_and_b32_e32 v3, 0x80000000, v3
	s_delay_alu instid0(VALU_DEP_3) | instskip(NEXT) | instid1(VALU_DEP_3)
	v_clz_i32_u32_e32 v9, v8
	v_cmp_eq_u32_e32 vcc_lo, 0, v11
	s_delay_alu instid0(VALU_DEP_2) | instskip(NEXT) | instid1(VALU_DEP_1)
	v_min_u32_e32 v9, 32, v9
	v_subrev_nc_u32_e32 v10, 28, v9
	v_sub_nc_u32_e32 v9, 29, v9
	s_delay_alu instid0(VALU_DEP_2) | instskip(NEXT) | instid1(VALU_DEP_2)
	v_lshlrev_b32_e32 v5, v10, v5
	v_cndmask_b32_e32 v9, v11, v9, vcc_lo
	s_delay_alu instid0(VALU_DEP_2) | instskip(NEXT) | instid1(VALU_DEP_1)
	v_and_b32_e32 v5, 7, v5
	v_cndmask_b32_e32 v5, v8, v5, vcc_lo
	s_delay_alu instid0(VALU_DEP_3) | instskip(NEXT) | instid1(VALU_DEP_2)
	v_lshl_add_u32 v8, v9, 23, 0x3b800000
	v_lshlrev_b32_e32 v5, 20, v5
	s_delay_alu instid0(VALU_DEP_1)
	v_or3_b32 v8, v3, v8, v5
.LBB151_193:
	s_or_b32 exec_lo, exec_lo, s43
.LBB151_194:
	s_mov_b32 s31, -1
.LBB151_195:
	s_mov_b32 s43, 0
.LBB151_196:
	s_delay_alu instid0(SALU_CYCLE_1)
	s_and_b32 vcc_lo, exec_lo, s43
	s_cbranch_vccz .LBB151_231
; %bb.197:
	s_cmp_gt_i32 s30, 22
	s_cbranch_scc0 .LBB151_207
; %bb.198:
	s_cmp_lt_i32 s30, 24
	s_cbranch_scc1 .LBB151_210
; %bb.199:
	s_cmp_gt_i32 s30, 24
	s_cbranch_scc0 .LBB151_211
; %bb.200:
	global_load_u8 v3, v[6:7], off
	s_mov_b32 s31, 0
	s_mov_b32 s43, exec_lo
	s_wait_loadcnt 0x0
	v_cmpx_lt_i16_e32 0x7f, v3
	s_xor_b32 s43, exec_lo, s43
	s_cbranch_execz .LBB151_223
; %bb.201:
	s_mov_b32 s31, -1
	s_mov_b32 s46, exec_lo
	v_cmpx_eq_u16_e32 0x80, v3
; %bb.202:
	s_xor_b32 s31, exec_lo, -1
; %bb.203:
	s_or_b32 exec_lo, exec_lo, s46
	s_delay_alu instid0(SALU_CYCLE_1)
	s_and_b32 s31, s31, exec_lo
	s_or_saveexec_b32 s43, s43
	v_mov_b32_e32 v8, 0x7f800001
	s_xor_b32 exec_lo, exec_lo, s43
	s_cbranch_execnz .LBB151_224
.LBB151_204:
	s_or_b32 exec_lo, exec_lo, s43
	s_and_saveexec_b32 s43, s31
	s_cbranch_execz .LBB151_206
.LBB151_205:
	v_and_b32_e32 v5, 0xffff, v3
	s_delay_alu instid0(VALU_DEP_1) | instskip(SKIP_1) | instid1(VALU_DEP_2)
	v_dual_lshlrev_b32 v3, 24, v3 :: v_dual_bitop2_b32 v8, 3, v5 bitop3:0x40
	v_bfe_u32 v11, v5, 2, 5
	v_and_b32_e32 v3, 0x80000000, v3
	s_delay_alu instid0(VALU_DEP_3) | instskip(NEXT) | instid1(VALU_DEP_3)
	v_clz_i32_u32_e32 v9, v8
	v_cmp_eq_u32_e32 vcc_lo, 0, v11
	s_delay_alu instid0(VALU_DEP_2) | instskip(NEXT) | instid1(VALU_DEP_1)
	v_min_u32_e32 v9, 32, v9
	v_subrev_nc_u32_e32 v10, 29, v9
	v_sub_nc_u32_e32 v9, 30, v9
	s_delay_alu instid0(VALU_DEP_2) | instskip(NEXT) | instid1(VALU_DEP_2)
	v_lshlrev_b32_e32 v5, v10, v5
	v_cndmask_b32_e32 v9, v11, v9, vcc_lo
	s_delay_alu instid0(VALU_DEP_2) | instskip(NEXT) | instid1(VALU_DEP_1)
	v_and_b32_e32 v5, 3, v5
	v_cndmask_b32_e32 v5, v8, v5, vcc_lo
	s_delay_alu instid0(VALU_DEP_3) | instskip(NEXT) | instid1(VALU_DEP_2)
	v_lshl_add_u32 v8, v9, 23, 0x37800000
	v_lshlrev_b32_e32 v5, 21, v5
	s_delay_alu instid0(VALU_DEP_1)
	v_or3_b32 v8, v3, v8, v5
.LBB151_206:
	s_or_b32 exec_lo, exec_lo, s43
	s_mov_b32 s31, 0
	s_branch .LBB151_212
.LBB151_207:
	s_mov_b32 s43, -1
                                        ; implicit-def: $vgpr8
	s_branch .LBB151_218
.LBB151_208:
	s_or_saveexec_b32 s43, s43
	v_mov_b32_e32 v8, 0x7f800001
	s_xor_b32 exec_lo, exec_lo, s43
	s_cbranch_execz .LBB151_191
.LBB151_209:
	v_cmp_ne_u16_e32 vcc_lo, 0, v3
	v_mov_b32_e32 v8, 0
	s_and_not1_b32 s31, s31, exec_lo
	s_and_b32 s46, vcc_lo, exec_lo
	s_delay_alu instid0(SALU_CYCLE_1)
	s_or_b32 s31, s31, s46
	s_or_b32 exec_lo, exec_lo, s43
	s_and_saveexec_b32 s43, s31
	s_cbranch_execnz .LBB151_192
	s_branch .LBB151_193
.LBB151_210:
	s_mov_b32 s31, -1
                                        ; implicit-def: $vgpr8
	s_branch .LBB151_215
.LBB151_211:
	s_mov_b32 s31, -1
                                        ; implicit-def: $vgpr8
.LBB151_212:
	s_delay_alu instid0(SALU_CYCLE_1)
	s_and_b32 vcc_lo, exec_lo, s31
	s_cbranch_vccz .LBB151_214
; %bb.213:
	global_load_u8 v3, v[6:7], off
	s_wait_loadcnt 0x0
	v_lshlrev_b32_e32 v3, 24, v3
	s_delay_alu instid0(VALU_DEP_1) | instskip(NEXT) | instid1(VALU_DEP_1)
	v_and_b32_e32 v5, 0x7f000000, v3
	v_clz_i32_u32_e32 v8, v5
	v_cmp_ne_u32_e32 vcc_lo, 0, v5
	v_add_nc_u32_e32 v10, 0x1000000, v5
	s_delay_alu instid0(VALU_DEP_3) | instskip(NEXT) | instid1(VALU_DEP_1)
	v_min_u32_e32 v8, 32, v8
	v_sub_nc_u32_e64 v8, v8, 4 clamp
	s_delay_alu instid0(VALU_DEP_1) | instskip(NEXT) | instid1(VALU_DEP_1)
	v_dual_lshlrev_b32 v9, v8, v5 :: v_dual_lshlrev_b32 v8, 23, v8
	v_lshrrev_b32_e32 v9, 4, v9
	s_delay_alu instid0(VALU_DEP_1) | instskip(NEXT) | instid1(VALU_DEP_1)
	v_dual_sub_nc_u32 v8, v9, v8 :: v_dual_ashrrev_i32 v9, 8, v10
	v_add_nc_u32_e32 v8, 0x3c000000, v8
	s_delay_alu instid0(VALU_DEP_1) | instskip(NEXT) | instid1(VALU_DEP_1)
	v_and_or_b32 v8, 0x7f800000, v9, v8
	v_cndmask_b32_e32 v5, 0, v8, vcc_lo
	s_delay_alu instid0(VALU_DEP_1)
	v_and_or_b32 v8, 0x80000000, v3, v5
.LBB151_214:
	s_mov_b32 s31, 0
.LBB151_215:
	s_delay_alu instid0(SALU_CYCLE_1)
	s_and_not1_b32 vcc_lo, exec_lo, s31
	s_cbranch_vccnz .LBB151_217
; %bb.216:
	global_load_u8 v3, v[6:7], off
	s_wait_loadcnt 0x0
	v_lshlrev_b32_e32 v5, 25, v3
	v_lshlrev_b16 v3, 8, v3
	s_delay_alu instid0(VALU_DEP_1) | instskip(SKIP_1) | instid1(VALU_DEP_2)
	v_and_or_b32 v9, 0x7f00, v3, 0.5
	v_bfe_i32 v3, v3, 0, 16
	v_add_f32_e32 v9, -0.5, v9
	v_lshrrev_b32_e32 v8, 4, v5
	v_cmp_gt_u32_e32 vcc_lo, 0x8000000, v5
	s_delay_alu instid0(VALU_DEP_2) | instskip(NEXT) | instid1(VALU_DEP_1)
	v_or_b32_e32 v8, 0x70000000, v8
	v_mul_f32_e32 v8, 0x7800000, v8
	s_delay_alu instid0(VALU_DEP_1) | instskip(NEXT) | instid1(VALU_DEP_1)
	v_cndmask_b32_e32 v5, v8, v9, vcc_lo
	v_and_or_b32 v8, 0x80000000, v3, v5
.LBB151_217:
	s_mov_b32 s43, 0
	s_mov_b32 s31, -1
.LBB151_218:
	s_and_not1_b32 vcc_lo, exec_lo, s43
	s_cbranch_vccnz .LBB151_231
; %bb.219:
	s_cmp_gt_i32 s30, 14
	s_cbranch_scc0 .LBB151_222
; %bb.220:
	s_cmp_eq_u32 s30, 15
	s_cbranch_scc0 .LBB151_225
; %bb.221:
	global_load_u16 v3, v[6:7], off
	s_mov_b32 s31, -1
	s_mov_b32 s29, 0
	s_wait_loadcnt 0x0
	v_lshlrev_b32_e32 v8, 16, v3
	s_branch .LBB151_226
.LBB151_222:
	s_mov_b32 s43, -1
                                        ; implicit-def: $vgpr8
	s_branch .LBB151_227
.LBB151_223:
	s_or_saveexec_b32 s43, s43
	v_mov_b32_e32 v8, 0x7f800001
	s_xor_b32 exec_lo, exec_lo, s43
	s_cbranch_execz .LBB151_204
.LBB151_224:
	v_cmp_ne_u16_e32 vcc_lo, 0, v3
	v_mov_b32_e32 v8, 0
	s_and_not1_b32 s31, s31, exec_lo
	s_and_b32 s46, vcc_lo, exec_lo
	s_delay_alu instid0(SALU_CYCLE_1)
	s_or_b32 s31, s31, s46
	s_or_b32 exec_lo, exec_lo, s43
	s_and_saveexec_b32 s43, s31
	s_cbranch_execnz .LBB151_205
	s_branch .LBB151_206
.LBB151_225:
	s_mov_b32 s29, -1
                                        ; implicit-def: $vgpr8
.LBB151_226:
	s_mov_b32 s43, 0
.LBB151_227:
	s_delay_alu instid0(SALU_CYCLE_1)
	s_and_b32 vcc_lo, exec_lo, s43
	s_cbranch_vccz .LBB151_231
; %bb.228:
	s_cmp_eq_u32 s30, 11
	s_cbranch_scc0 .LBB151_230
; %bb.229:
	global_load_u8 v3, v[6:7], off
	s_mov_b32 s29, 0
	s_mov_b32 s31, -1
	s_wait_loadcnt 0x0
	v_cmp_ne_u16_e32 vcc_lo, 0, v3
	v_cndmask_b32_e64 v8, 0, 1.0, vcc_lo
	s_branch .LBB151_231
.LBB151_230:
	s_mov_b32 s29, -1
                                        ; implicit-def: $vgpr8
.LBB151_231:
	s_branch .LBB151_31
.LBB151_232:
	s_and_b32 s0, 0xffff, s0
	s_delay_alu instid0(SALU_CYCLE_1)
	s_cmp_lt_i32 s0, 5
	s_cbranch_scc1 .LBB151_237
; %bb.233:
	s_cmp_lt_i32 s0, 8
	s_cbranch_scc1 .LBB151_238
; %bb.234:
	;; [unrolled: 3-line block ×3, first 2 shown]
	s_cmp_gt_i32 s0, 9
	s_cbranch_scc0 .LBB151_240
; %bb.236:
	global_load_b64 v[8:9], v[6:7], off
	s_mov_b32 s30, 0
	s_wait_loadcnt 0x0
	v_cvt_f32_f64_e32 v8, v[8:9]
	s_branch .LBB151_241
.LBB151_237:
	s_mov_b32 s30, -1
                                        ; implicit-def: $vgpr8
	s_branch .LBB151_259
.LBB151_238:
	s_mov_b32 s30, -1
                                        ; implicit-def: $vgpr8
	s_branch .LBB151_247
.LBB151_239:
	s_mov_b32 s30, -1
                                        ; implicit-def: $vgpr8
	s_branch .LBB151_244
.LBB151_240:
	s_mov_b32 s30, -1
                                        ; implicit-def: $vgpr8
.LBB151_241:
	s_delay_alu instid0(SALU_CYCLE_1)
	s_and_not1_b32 vcc_lo, exec_lo, s30
	s_cbranch_vccnz .LBB151_243
; %bb.242:
	global_load_b32 v8, v[6:7], off
.LBB151_243:
	s_mov_b32 s30, 0
.LBB151_244:
	s_delay_alu instid0(SALU_CYCLE_1)
	s_and_not1_b32 vcc_lo, exec_lo, s30
	s_cbranch_vccnz .LBB151_246
; %bb.245:
	global_load_b32 v3, v[6:7], off
	s_wait_loadcnt 0x0
	v_cvt_f32_f16_e32 v8, v3
.LBB151_246:
	s_mov_b32 s30, 0
.LBB151_247:
	s_delay_alu instid0(SALU_CYCLE_1)
	s_and_not1_b32 vcc_lo, exec_lo, s30
	s_cbranch_vccnz .LBB151_258
; %bb.248:
	s_cmp_lt_i32 s0, 6
	s_cbranch_scc1 .LBB151_251
; %bb.249:
	s_cmp_gt_i32 s0, 6
	s_cbranch_scc0 .LBB151_252
; %bb.250:
	s_wait_loadcnt 0x0
	global_load_b64 v[8:9], v[6:7], off
	s_mov_b32 s30, 0
	s_wait_loadcnt 0x0
	v_cvt_f32_f64_e32 v8, v[8:9]
	s_branch .LBB151_253
.LBB151_251:
	s_mov_b32 s30, -1
                                        ; implicit-def: $vgpr8
	s_branch .LBB151_256
.LBB151_252:
	s_mov_b32 s30, -1
                                        ; implicit-def: $vgpr8
.LBB151_253:
	s_delay_alu instid0(SALU_CYCLE_1)
	s_and_not1_b32 vcc_lo, exec_lo, s30
	s_cbranch_vccnz .LBB151_255
; %bb.254:
	s_wait_loadcnt 0x0
	global_load_b32 v8, v[6:7], off
.LBB151_255:
	s_mov_b32 s30, 0
.LBB151_256:
	s_delay_alu instid0(SALU_CYCLE_1)
	s_and_not1_b32 vcc_lo, exec_lo, s30
	s_cbranch_vccnz .LBB151_258
; %bb.257:
	global_load_u16 v3, v[6:7], off
	s_wait_loadcnt 0x0
	v_cvt_f32_f16_e32 v8, v3
.LBB151_258:
	s_mov_b32 s30, 0
.LBB151_259:
	s_delay_alu instid0(SALU_CYCLE_1)
	s_and_not1_b32 vcc_lo, exec_lo, s30
	s_cbranch_vccnz .LBB151_279
; %bb.260:
	s_cmp_lt_i32 s0, 2
	s_cbranch_scc1 .LBB151_264
; %bb.261:
	s_cmp_lt_i32 s0, 3
	s_cbranch_scc1 .LBB151_265
; %bb.262:
	s_cmp_gt_i32 s0, 3
	s_cbranch_scc0 .LBB151_266
; %bb.263:
	s_wait_loadcnt 0x0
	global_load_b64 v[8:9], v[6:7], off
	s_mov_b32 s30, 0
	s_wait_loadcnt 0x0
	v_xor_b32_e32 v3, v8, v9
	v_cls_i32_e32 v5, v9
	s_delay_alu instid0(VALU_DEP_2) | instskip(NEXT) | instid1(VALU_DEP_1)
	v_ashrrev_i32_e32 v3, 31, v3
	v_add_nc_u32_e32 v3, 32, v3
	s_delay_alu instid0(VALU_DEP_1) | instskip(NEXT) | instid1(VALU_DEP_1)
	v_add_min_u32_e64 v3, v5, -1, v3
	v_lshlrev_b64_e32 v[8:9], v3, v[8:9]
	v_sub_nc_u32_e32 v3, 32, v3
	s_delay_alu instid0(VALU_DEP_2) | instskip(NEXT) | instid1(VALU_DEP_1)
	v_min_u32_e32 v5, 1, v8
	v_or_b32_e32 v5, v9, v5
	s_delay_alu instid0(VALU_DEP_1) | instskip(NEXT) | instid1(VALU_DEP_1)
	v_cvt_f32_i32_e32 v5, v5
	v_ldexp_f32 v8, v5, v3
	s_branch .LBB151_267
.LBB151_264:
	s_mov_b32 s30, -1
                                        ; implicit-def: $vgpr8
	s_branch .LBB151_273
.LBB151_265:
	s_mov_b32 s30, -1
                                        ; implicit-def: $vgpr8
	s_branch .LBB151_270
.LBB151_266:
	s_mov_b32 s30, -1
                                        ; implicit-def: $vgpr8
.LBB151_267:
	s_delay_alu instid0(SALU_CYCLE_1)
	s_and_not1_b32 vcc_lo, exec_lo, s30
	s_cbranch_vccnz .LBB151_269
; %bb.268:
	global_load_b32 v3, v[6:7], off
	s_wait_loadcnt 0x0
	v_cvt_f32_i32_e32 v8, v3
.LBB151_269:
	s_mov_b32 s30, 0
.LBB151_270:
	s_delay_alu instid0(SALU_CYCLE_1)
	s_and_not1_b32 vcc_lo, exec_lo, s30
	s_cbranch_vccnz .LBB151_272
; %bb.271:
	global_load_i16 v3, v[6:7], off
	s_wait_loadcnt 0x0
	v_cvt_f32_i32_e32 v8, v3
.LBB151_272:
	s_mov_b32 s30, 0
.LBB151_273:
	s_delay_alu instid0(SALU_CYCLE_1)
	s_and_not1_b32 vcc_lo, exec_lo, s30
	s_cbranch_vccnz .LBB151_279
; %bb.274:
	s_cmp_gt_i32 s0, 0
	s_mov_b32 s0, 0
	s_cbranch_scc0 .LBB151_276
; %bb.275:
	global_load_i8 v3, v[6:7], off
	s_wait_loadcnt 0x0
	v_cvt_f32_i32_e32 v8, v3
	s_branch .LBB151_277
.LBB151_276:
	s_mov_b32 s0, -1
                                        ; implicit-def: $vgpr8
.LBB151_277:
	s_delay_alu instid0(SALU_CYCLE_1)
	s_and_not1_b32 vcc_lo, exec_lo, s0
	s_cbranch_vccnz .LBB151_279
; %bb.278:
	global_load_u8 v3, v[6:7], off
	s_wait_loadcnt 0x0
	v_cvt_f32_ubyte0_e32 v8, v3
.LBB151_279:
	s_branch .LBB151_32
.LBB151_280:
	s_mov_b32 s0, 0
	s_mov_b32 s30, 0
	s_branch .LBB151_521
.LBB151_281:
	s_mov_b32 s30, -1
.LBB151_282:
	s_mov_b32 s31, 0
                                        ; implicit-def: $vgpr3
.LBB151_283:
	s_and_b32 vcc_lo, exec_lo, s43
	s_cbranch_vccz .LBB151_287
; %bb.284:
	s_cmp_eq_u32 s0, 44
	s_cbranch_scc0 .LBB151_286
; %bb.285:
	global_load_u8 v3, v[4:5], off
	s_mov_b32 s30, 0
	s_mov_b32 s31, -1
	s_wait_loadcnt 0x0
	v_lshlrev_b32_e32 v6, 23, v3
	v_cmp_ne_u32_e32 vcc_lo, 0xff, v3
	s_delay_alu instid0(VALU_DEP_2) | instskip(SKIP_1) | instid1(VALU_DEP_2)
	v_cndmask_b32_e32 v6, 0x7f800001, v6, vcc_lo
	v_cmp_ne_u32_e32 vcc_lo, 0, v3
	v_cndmask_b32_e32 v3, 0x400000, v6, vcc_lo
	s_branch .LBB151_287
.LBB151_286:
	s_mov_b32 s30, -1
                                        ; implicit-def: $vgpr3
.LBB151_287:
	s_mov_b32 s43, 0
.LBB151_288:
	s_delay_alu instid0(SALU_CYCLE_1)
	s_and_b32 vcc_lo, exec_lo, s43
	s_cbranch_vccz .LBB151_292
; %bb.289:
	s_cmp_eq_u32 s0, 29
	s_cbranch_scc0 .LBB151_291
; %bb.290:
	global_load_b64 v[6:7], v[4:5], off
	s_mov_b32 s31, -1
	s_mov_b32 s30, 0
	s_mov_b32 s43, 0
	s_wait_loadcnt 0x0
	v_clz_i32_u32_e32 v3, v7
	s_delay_alu instid0(VALU_DEP_1) | instskip(NEXT) | instid1(VALU_DEP_1)
	v_min_u32_e32 v3, 32, v3
	v_lshlrev_b64_e32 v[6:7], v3, v[6:7]
	v_sub_nc_u32_e32 v3, 32, v3
	s_delay_alu instid0(VALU_DEP_2) | instskip(NEXT) | instid1(VALU_DEP_1)
	v_min_u32_e32 v6, 1, v6
	v_or_b32_e32 v6, v7, v6
	s_delay_alu instid0(VALU_DEP_1) | instskip(NEXT) | instid1(VALU_DEP_1)
	v_cvt_f32_u32_e32 v6, v6
	v_ldexp_f32 v3, v6, v3
	s_branch .LBB151_293
.LBB151_291:
	s_mov_b32 s30, -1
                                        ; implicit-def: $vgpr3
.LBB151_292:
	s_mov_b32 s43, 0
.LBB151_293:
	s_delay_alu instid0(SALU_CYCLE_1)
	s_and_b32 vcc_lo, exec_lo, s43
	s_cbranch_vccz .LBB151_311
; %bb.294:
	s_cmp_lt_i32 s0, 27
	s_cbranch_scc1 .LBB151_297
; %bb.295:
	s_cmp_gt_i32 s0, 27
	s_cbranch_scc0 .LBB151_298
; %bb.296:
	global_load_b32 v3, v[4:5], off
	s_mov_b32 s31, 0
	s_wait_loadcnt 0x0
	v_cvt_f32_u32_e32 v3, v3
	s_branch .LBB151_299
.LBB151_297:
	s_mov_b32 s31, -1
                                        ; implicit-def: $vgpr3
	s_branch .LBB151_302
.LBB151_298:
	s_mov_b32 s31, -1
                                        ; implicit-def: $vgpr3
.LBB151_299:
	s_delay_alu instid0(SALU_CYCLE_1)
	s_and_not1_b32 vcc_lo, exec_lo, s31
	s_cbranch_vccnz .LBB151_301
; %bb.300:
	global_load_u16 v3, v[4:5], off
	s_wait_loadcnt 0x0
	v_cvt_f32_u32_e32 v3, v3
.LBB151_301:
	s_mov_b32 s31, 0
.LBB151_302:
	s_delay_alu instid0(SALU_CYCLE_1)
	s_and_not1_b32 vcc_lo, exec_lo, s31
	s_cbranch_vccnz .LBB151_310
; %bb.303:
	global_load_u8 v6, v[4:5], off
	s_mov_b32 s31, 0
	s_mov_b32 s43, exec_lo
	s_wait_loadcnt 0x0
	v_cmpx_lt_i16_e32 0x7f, v6
	s_xor_b32 s43, exec_lo, s43
	s_cbranch_execz .LBB151_324
; %bb.304:
	s_mov_b32 s31, -1
	s_mov_b32 s46, exec_lo
	v_cmpx_eq_u16_e32 0x80, v6
; %bb.305:
	s_xor_b32 s31, exec_lo, -1
; %bb.306:
	s_or_b32 exec_lo, exec_lo, s46
	s_delay_alu instid0(SALU_CYCLE_1)
	s_and_b32 s31, s31, exec_lo
	s_or_saveexec_b32 s43, s43
	v_mov_b32_e32 v3, 0x7f800001
	s_xor_b32 exec_lo, exec_lo, s43
	s_cbranch_execnz .LBB151_325
.LBB151_307:
	s_or_b32 exec_lo, exec_lo, s43
	s_and_saveexec_b32 s43, s31
	s_cbranch_execz .LBB151_309
.LBB151_308:
	v_and_b32_e32 v3, 0xffff, v6
	s_delay_alu instid0(VALU_DEP_1) | instskip(SKIP_1) | instid1(VALU_DEP_2)
	v_and_b32_e32 v7, 7, v3
	v_bfe_u32 v11, v3, 3, 4
	v_clz_i32_u32_e32 v9, v7
	s_delay_alu instid0(VALU_DEP_2) | instskip(NEXT) | instid1(VALU_DEP_2)
	v_cmp_eq_u32_e32 vcc_lo, 0, v11
	v_min_u32_e32 v9, 32, v9
	s_delay_alu instid0(VALU_DEP_1) | instskip(NEXT) | instid1(VALU_DEP_1)
	v_subrev_nc_u32_e32 v10, 28, v9
	v_dual_lshlrev_b32 v3, v10, v3 :: v_dual_sub_nc_u32 v9, 29, v9
	s_delay_alu instid0(VALU_DEP_1) | instskip(NEXT) | instid1(VALU_DEP_2)
	v_dual_lshlrev_b32 v6, 24, v6 :: v_dual_bitop2_b32 v3, 7, v3 bitop3:0x40
	v_cndmask_b32_e32 v9, v11, v9, vcc_lo
	s_delay_alu instid0(VALU_DEP_2) | instskip(NEXT) | instid1(VALU_DEP_3)
	v_cndmask_b32_e32 v3, v7, v3, vcc_lo
	v_and_b32_e32 v6, 0x80000000, v6
	s_delay_alu instid0(VALU_DEP_3) | instskip(NEXT) | instid1(VALU_DEP_3)
	v_lshl_add_u32 v7, v9, 23, 0x3b800000
	v_lshlrev_b32_e32 v3, 20, v3
	s_delay_alu instid0(VALU_DEP_1)
	v_or3_b32 v3, v6, v7, v3
.LBB151_309:
	s_or_b32 exec_lo, exec_lo, s43
.LBB151_310:
	s_mov_b32 s31, -1
.LBB151_311:
	s_mov_b32 s43, 0
.LBB151_312:
	s_delay_alu instid0(SALU_CYCLE_1)
	s_and_b32 vcc_lo, exec_lo, s43
	s_cbranch_vccz .LBB151_347
; %bb.313:
	s_cmp_gt_i32 s0, 22
	s_cbranch_scc0 .LBB151_323
; %bb.314:
	s_cmp_lt_i32 s0, 24
	s_cbranch_scc1 .LBB151_326
; %bb.315:
	s_cmp_gt_i32 s0, 24
	s_cbranch_scc0 .LBB151_327
; %bb.316:
	global_load_u8 v6, v[4:5], off
	s_mov_b32 s31, 0
	s_mov_b32 s43, exec_lo
	s_wait_loadcnt 0x0
	v_cmpx_lt_i16_e32 0x7f, v6
	s_xor_b32 s43, exec_lo, s43
	s_cbranch_execz .LBB151_339
; %bb.317:
	s_mov_b32 s31, -1
	s_mov_b32 s46, exec_lo
	v_cmpx_eq_u16_e32 0x80, v6
; %bb.318:
	s_xor_b32 s31, exec_lo, -1
; %bb.319:
	s_or_b32 exec_lo, exec_lo, s46
	s_delay_alu instid0(SALU_CYCLE_1)
	s_and_b32 s31, s31, exec_lo
	s_or_saveexec_b32 s43, s43
	v_mov_b32_e32 v3, 0x7f800001
	s_xor_b32 exec_lo, exec_lo, s43
	s_cbranch_execnz .LBB151_340
.LBB151_320:
	s_or_b32 exec_lo, exec_lo, s43
	s_and_saveexec_b32 s43, s31
	s_cbranch_execz .LBB151_322
.LBB151_321:
	v_and_b32_e32 v3, 0xffff, v6
	s_delay_alu instid0(VALU_DEP_1) | instskip(SKIP_1) | instid1(VALU_DEP_2)
	v_and_b32_e32 v7, 3, v3
	v_bfe_u32 v11, v3, 2, 5
	v_clz_i32_u32_e32 v9, v7
	s_delay_alu instid0(VALU_DEP_2) | instskip(NEXT) | instid1(VALU_DEP_2)
	v_cmp_eq_u32_e32 vcc_lo, 0, v11
	v_min_u32_e32 v9, 32, v9
	s_delay_alu instid0(VALU_DEP_1) | instskip(NEXT) | instid1(VALU_DEP_1)
	v_subrev_nc_u32_e32 v10, 29, v9
	v_dual_lshlrev_b32 v3, v10, v3 :: v_dual_sub_nc_u32 v9, 30, v9
	s_delay_alu instid0(VALU_DEP_1) | instskip(NEXT) | instid1(VALU_DEP_2)
	v_dual_lshlrev_b32 v6, 24, v6 :: v_dual_bitop2_b32 v3, 3, v3 bitop3:0x40
	v_cndmask_b32_e32 v9, v11, v9, vcc_lo
	s_delay_alu instid0(VALU_DEP_2) | instskip(NEXT) | instid1(VALU_DEP_3)
	v_cndmask_b32_e32 v3, v7, v3, vcc_lo
	v_and_b32_e32 v6, 0x80000000, v6
	s_delay_alu instid0(VALU_DEP_3) | instskip(NEXT) | instid1(VALU_DEP_3)
	v_lshl_add_u32 v7, v9, 23, 0x37800000
	v_lshlrev_b32_e32 v3, 21, v3
	s_delay_alu instid0(VALU_DEP_1)
	v_or3_b32 v3, v6, v7, v3
.LBB151_322:
	s_or_b32 exec_lo, exec_lo, s43
	s_mov_b32 s31, 0
	s_branch .LBB151_328
.LBB151_323:
	s_mov_b32 s43, -1
                                        ; implicit-def: $vgpr3
	s_branch .LBB151_334
.LBB151_324:
	s_or_saveexec_b32 s43, s43
	v_mov_b32_e32 v3, 0x7f800001
	s_xor_b32 exec_lo, exec_lo, s43
	s_cbranch_execz .LBB151_307
.LBB151_325:
	v_cmp_ne_u16_e32 vcc_lo, 0, v6
	v_mov_b32_e32 v3, 0
	s_and_not1_b32 s31, s31, exec_lo
	s_and_b32 s46, vcc_lo, exec_lo
	s_delay_alu instid0(SALU_CYCLE_1)
	s_or_b32 s31, s31, s46
	s_or_b32 exec_lo, exec_lo, s43
	s_and_saveexec_b32 s43, s31
	s_cbranch_execnz .LBB151_308
	s_branch .LBB151_309
.LBB151_326:
	s_mov_b32 s31, -1
                                        ; implicit-def: $vgpr3
	s_branch .LBB151_331
.LBB151_327:
	s_mov_b32 s31, -1
                                        ; implicit-def: $vgpr3
.LBB151_328:
	s_delay_alu instid0(SALU_CYCLE_1)
	s_and_b32 vcc_lo, exec_lo, s31
	s_cbranch_vccz .LBB151_330
; %bb.329:
	global_load_u8 v3, v[4:5], off
	s_wait_loadcnt 0x0
	v_lshlrev_b32_e32 v3, 24, v3
	s_delay_alu instid0(VALU_DEP_1) | instskip(NEXT) | instid1(VALU_DEP_1)
	v_and_b32_e32 v6, 0x7f000000, v3
	v_clz_i32_u32_e32 v7, v6
	v_add_nc_u32_e32 v10, 0x1000000, v6
	v_cmp_ne_u32_e32 vcc_lo, 0, v6
	s_delay_alu instid0(VALU_DEP_3) | instskip(NEXT) | instid1(VALU_DEP_1)
	v_min_u32_e32 v7, 32, v7
	v_sub_nc_u32_e64 v7, v7, 4 clamp
	s_delay_alu instid0(VALU_DEP_1) | instskip(NEXT) | instid1(VALU_DEP_1)
	v_dual_lshlrev_b32 v9, v7, v6 :: v_dual_lshlrev_b32 v7, 23, v7
	v_lshrrev_b32_e32 v9, 4, v9
	s_delay_alu instid0(VALU_DEP_1) | instskip(NEXT) | instid1(VALU_DEP_1)
	v_dual_sub_nc_u32 v7, v9, v7 :: v_dual_ashrrev_i32 v9, 8, v10
	v_add_nc_u32_e32 v7, 0x3c000000, v7
	s_delay_alu instid0(VALU_DEP_1) | instskip(NEXT) | instid1(VALU_DEP_1)
	v_and_or_b32 v7, 0x7f800000, v9, v7
	v_cndmask_b32_e32 v6, 0, v7, vcc_lo
	s_delay_alu instid0(VALU_DEP_1)
	v_and_or_b32 v3, 0x80000000, v3, v6
.LBB151_330:
	s_mov_b32 s31, 0
.LBB151_331:
	s_delay_alu instid0(SALU_CYCLE_1)
	s_and_not1_b32 vcc_lo, exec_lo, s31
	s_cbranch_vccnz .LBB151_333
; %bb.332:
	global_load_u8 v3, v[4:5], off
	s_wait_loadcnt 0x0
	v_lshlrev_b32_e32 v6, 25, v3
	v_lshlrev_b16 v3, 8, v3
	s_delay_alu instid0(VALU_DEP_1) | instskip(SKIP_1) | instid1(VALU_DEP_2)
	v_and_or_b32 v9, 0x7f00, v3, 0.5
	v_bfe_i32 v3, v3, 0, 16
	v_dual_add_f32 v9, -0.5, v9 :: v_dual_lshrrev_b32 v7, 4, v6
	v_cmp_gt_u32_e32 vcc_lo, 0x8000000, v6
	s_delay_alu instid0(VALU_DEP_2) | instskip(NEXT) | instid1(VALU_DEP_1)
	v_or_b32_e32 v7, 0x70000000, v7
	v_mul_f32_e32 v7, 0x7800000, v7
	s_delay_alu instid0(VALU_DEP_1) | instskip(NEXT) | instid1(VALU_DEP_1)
	v_cndmask_b32_e32 v6, v7, v9, vcc_lo
	v_and_or_b32 v3, 0x80000000, v3, v6
.LBB151_333:
	s_mov_b32 s43, 0
	s_mov_b32 s31, -1
.LBB151_334:
	s_and_not1_b32 vcc_lo, exec_lo, s43
	s_cbranch_vccnz .LBB151_347
; %bb.335:
	s_cmp_gt_i32 s0, 14
	s_cbranch_scc0 .LBB151_338
; %bb.336:
	s_cmp_eq_u32 s0, 15
	s_cbranch_scc0 .LBB151_341
; %bb.337:
	global_load_u16 v3, v[4:5], off
	s_mov_b32 s31, -1
	s_mov_b32 s30, 0
	s_wait_loadcnt 0x0
	v_lshlrev_b32_e32 v3, 16, v3
	s_branch .LBB151_342
.LBB151_338:
	s_mov_b32 s43, -1
                                        ; implicit-def: $vgpr3
	s_branch .LBB151_343
.LBB151_339:
	s_or_saveexec_b32 s43, s43
	v_mov_b32_e32 v3, 0x7f800001
	s_xor_b32 exec_lo, exec_lo, s43
	s_cbranch_execz .LBB151_320
.LBB151_340:
	v_cmp_ne_u16_e32 vcc_lo, 0, v6
	v_mov_b32_e32 v3, 0
	s_and_not1_b32 s31, s31, exec_lo
	s_and_b32 s46, vcc_lo, exec_lo
	s_delay_alu instid0(SALU_CYCLE_1)
	s_or_b32 s31, s31, s46
	s_or_b32 exec_lo, exec_lo, s43
	s_and_saveexec_b32 s43, s31
	s_cbranch_execnz .LBB151_321
	s_branch .LBB151_322
.LBB151_341:
	s_mov_b32 s30, -1
                                        ; implicit-def: $vgpr3
.LBB151_342:
	s_mov_b32 s43, 0
.LBB151_343:
	s_delay_alu instid0(SALU_CYCLE_1)
	s_and_b32 vcc_lo, exec_lo, s43
	s_cbranch_vccz .LBB151_347
; %bb.344:
	s_cmp_eq_u32 s0, 11
	s_cbranch_scc0 .LBB151_346
; %bb.345:
	global_load_u8 v3, v[4:5], off
	s_mov_b32 s30, 0
	s_mov_b32 s31, -1
	s_wait_loadcnt 0x0
	v_cmp_ne_u16_e32 vcc_lo, 0, v3
	v_cndmask_b32_e64 v3, 0, 1.0, vcc_lo
	s_branch .LBB151_347
.LBB151_346:
	s_mov_b32 s30, -1
                                        ; implicit-def: $vgpr3
.LBB151_347:
	s_mov_b32 s43, 0
.LBB151_348:
	s_delay_alu instid0(SALU_CYCLE_1)
	s_and_b32 vcc_lo, exec_lo, s43
	s_cbranch_vccz .LBB151_397
; %bb.349:
	s_cmp_lt_i32 s0, 5
	s_cbranch_scc1 .LBB151_354
; %bb.350:
	s_cmp_lt_i32 s0, 8
	s_cbranch_scc1 .LBB151_355
	;; [unrolled: 3-line block ×3, first 2 shown]
; %bb.352:
	s_cmp_gt_i32 s0, 9
	s_cbranch_scc0 .LBB151_357
; %bb.353:
	global_load_b64 v[6:7], v[4:5], off
	s_mov_b32 s31, 0
	s_wait_loadcnt 0x0
	v_cvt_f32_f64_e32 v3, v[6:7]
	s_branch .LBB151_358
.LBB151_354:
	s_mov_b32 s31, -1
                                        ; implicit-def: $vgpr3
	s_branch .LBB151_376
.LBB151_355:
	s_mov_b32 s31, -1
                                        ; implicit-def: $vgpr3
	s_branch .LBB151_364
.LBB151_356:
	s_mov_b32 s31, -1
                                        ; implicit-def: $vgpr3
	s_branch .LBB151_361
.LBB151_357:
	s_mov_b32 s31, -1
                                        ; implicit-def: $vgpr3
.LBB151_358:
	s_delay_alu instid0(SALU_CYCLE_1)
	s_and_not1_b32 vcc_lo, exec_lo, s31
	s_cbranch_vccnz .LBB151_360
; %bb.359:
	global_load_b32 v3, v[4:5], off
.LBB151_360:
	s_mov_b32 s31, 0
.LBB151_361:
	s_delay_alu instid0(SALU_CYCLE_1)
	s_and_not1_b32 vcc_lo, exec_lo, s31
	s_cbranch_vccnz .LBB151_363
; %bb.362:
	s_wait_loadcnt 0x0
	global_load_b32 v3, v[4:5], off
	s_wait_loadcnt 0x0
	v_cvt_f32_f16_e32 v3, v3
.LBB151_363:
	s_mov_b32 s31, 0
.LBB151_364:
	s_delay_alu instid0(SALU_CYCLE_1)
	s_and_not1_b32 vcc_lo, exec_lo, s31
	s_cbranch_vccnz .LBB151_375
; %bb.365:
	s_cmp_lt_i32 s0, 6
	s_cbranch_scc1 .LBB151_368
; %bb.366:
	s_cmp_gt_i32 s0, 6
	s_cbranch_scc0 .LBB151_369
; %bb.367:
	global_load_b64 v[6:7], v[4:5], off
	s_mov_b32 s31, 0
	s_wait_loadcnt 0x0
	v_cvt_f32_f64_e32 v3, v[6:7]
	s_branch .LBB151_370
.LBB151_368:
	s_mov_b32 s31, -1
                                        ; implicit-def: $vgpr3
	s_branch .LBB151_373
.LBB151_369:
	s_mov_b32 s31, -1
                                        ; implicit-def: $vgpr3
.LBB151_370:
	s_delay_alu instid0(SALU_CYCLE_1)
	s_and_not1_b32 vcc_lo, exec_lo, s31
	s_cbranch_vccnz .LBB151_372
; %bb.371:
	s_wait_loadcnt 0x0
	global_load_b32 v3, v[4:5], off
.LBB151_372:
	s_mov_b32 s31, 0
.LBB151_373:
	s_delay_alu instid0(SALU_CYCLE_1)
	s_and_not1_b32 vcc_lo, exec_lo, s31
	s_cbranch_vccnz .LBB151_375
; %bb.374:
	s_wait_loadcnt 0x0
	global_load_u16 v3, v[4:5], off
	s_wait_loadcnt 0x0
	v_cvt_f32_f16_e32 v3, v3
.LBB151_375:
	s_mov_b32 s31, 0
.LBB151_376:
	s_delay_alu instid0(SALU_CYCLE_1)
	s_and_not1_b32 vcc_lo, exec_lo, s31
	s_cbranch_vccnz .LBB151_396
; %bb.377:
	s_cmp_lt_i32 s0, 2
	s_cbranch_scc1 .LBB151_381
; %bb.378:
	s_cmp_lt_i32 s0, 3
	s_cbranch_scc1 .LBB151_382
; %bb.379:
	s_cmp_gt_i32 s0, 3
	s_cbranch_scc0 .LBB151_383
; %bb.380:
	global_load_b64 v[6:7], v[4:5], off
	s_mov_b32 s31, 0
	s_wait_loadcnt 0x0
	v_xor_b32_e32 v3, v6, v7
	v_cls_i32_e32 v9, v7
	s_delay_alu instid0(VALU_DEP_2) | instskip(NEXT) | instid1(VALU_DEP_1)
	v_ashrrev_i32_e32 v3, 31, v3
	v_add_nc_u32_e32 v3, 32, v3
	s_delay_alu instid0(VALU_DEP_1) | instskip(NEXT) | instid1(VALU_DEP_1)
	v_add_min_u32_e64 v3, v9, -1, v3
	v_lshlrev_b64_e32 v[6:7], v3, v[6:7]
	v_sub_nc_u32_e32 v3, 32, v3
	s_delay_alu instid0(VALU_DEP_2) | instskip(NEXT) | instid1(VALU_DEP_1)
	v_min_u32_e32 v6, 1, v6
	v_or_b32_e32 v6, v7, v6
	s_delay_alu instid0(VALU_DEP_1) | instskip(NEXT) | instid1(VALU_DEP_1)
	v_cvt_f32_i32_e32 v6, v6
	v_ldexp_f32 v3, v6, v3
	s_branch .LBB151_384
.LBB151_381:
	s_mov_b32 s31, -1
                                        ; implicit-def: $vgpr3
	s_branch .LBB151_390
.LBB151_382:
	s_mov_b32 s31, -1
                                        ; implicit-def: $vgpr3
	s_branch .LBB151_387
.LBB151_383:
	s_mov_b32 s31, -1
                                        ; implicit-def: $vgpr3
.LBB151_384:
	s_delay_alu instid0(SALU_CYCLE_1)
	s_and_not1_b32 vcc_lo, exec_lo, s31
	s_cbranch_vccnz .LBB151_386
; %bb.385:
	s_wait_loadcnt 0x0
	global_load_b32 v3, v[4:5], off
	s_wait_loadcnt 0x0
	v_cvt_f32_i32_e32 v3, v3
.LBB151_386:
	s_mov_b32 s31, 0
.LBB151_387:
	s_delay_alu instid0(SALU_CYCLE_1)
	s_and_not1_b32 vcc_lo, exec_lo, s31
	s_cbranch_vccnz .LBB151_389
; %bb.388:
	s_wait_loadcnt 0x0
	global_load_i16 v3, v[4:5], off
	s_wait_loadcnt 0x0
	v_cvt_f32_i32_e32 v3, v3
.LBB151_389:
	s_mov_b32 s31, 0
.LBB151_390:
	s_delay_alu instid0(SALU_CYCLE_1)
	s_and_not1_b32 vcc_lo, exec_lo, s31
	s_cbranch_vccnz .LBB151_396
; %bb.391:
	s_cmp_gt_i32 s0, 0
	s_mov_b32 s0, 0
	s_cbranch_scc0 .LBB151_393
; %bb.392:
	s_wait_loadcnt 0x0
	global_load_i8 v3, v[4:5], off
	s_wait_loadcnt 0x0
	v_cvt_f32_i32_e32 v3, v3
	s_branch .LBB151_394
.LBB151_393:
	s_mov_b32 s0, -1
                                        ; implicit-def: $vgpr3
.LBB151_394:
	s_delay_alu instid0(SALU_CYCLE_1)
	s_and_not1_b32 vcc_lo, exec_lo, s0
	s_cbranch_vccnz .LBB151_396
; %bb.395:
	s_wait_loadcnt 0x0
	global_load_u8 v3, v[4:5], off
	s_wait_loadcnt 0x0
	v_cvt_f32_ubyte0_e32 v3, v3
.LBB151_396:
	s_mov_b32 s31, -1
.LBB151_397:
	s_delay_alu instid0(SALU_CYCLE_1)
	s_and_not1_b32 vcc_lo, exec_lo, s31
	s_cbranch_vccnz .LBB151_405
; %bb.398:
	s_wait_loadcnt 0x0
	s_delay_alu instid0(VALU_DEP_3) | instskip(NEXT) | instid1(VALU_DEP_2)
	v_dual_max_num_f32 v4, v8, v8 :: v_dual_max_num_f32 v5, v1, v1
	v_cmp_u_f32_e32 vcc_lo, v3, v3
	v_max_num_f32_e32 v6, v3, v3
	s_and_b32 s31, s38, 0xff
	s_delay_alu instid0(SALU_CYCLE_1) | instskip(NEXT) | instid1(VALU_DEP_1)
	s_cmp_lt_i32 s31, 11
	v_maxmin_num_f32 v4, v5, v4, v6
	s_delay_alu instid0(VALU_DEP_1) | instskip(SKIP_1) | instid1(VALU_DEP_2)
	v_cndmask_b32_e32 v4, v4, v3, vcc_lo
	v_cmp_u_f32_e32 vcc_lo, v8, v8
	v_dual_mov_b32 v3, 0 :: v_dual_cndmask_b32 v4, v4, v8
	v_cmp_u_f32_e32 vcc_lo, v1, v1
	s_delay_alu instid0(VALU_DEP_2) | instskip(NEXT) | instid1(VALU_DEP_3)
	v_add_nc_u64_e32 v[2:3], s[4:5], v[2:3]
	v_cndmask_b32_e32 v4, v4, v1, vcc_lo
	s_cbranch_scc1 .LBB151_406
; %bb.399:
	s_and_b32 s43, 0xffff, s31
	s_delay_alu instid0(SALU_CYCLE_1)
	s_cmp_gt_i32 s43, 25
	s_cbranch_scc0 .LBB151_407
; %bb.400:
	s_cmp_gt_i32 s43, 28
	s_cbranch_scc0 .LBB151_408
; %bb.401:
	s_cmp_gt_i32 s43, 43
	s_cbranch_scc0 .LBB151_409
; %bb.402:
	s_cmp_gt_i32 s43, 45
	s_cbranch_scc0 .LBB151_410
; %bb.403:
	s_mov_b32 s47, 0
	s_mov_b32 s0, -1
	s_cmp_eq_u32 s43, 46
	s_mov_b32 s46, 0
	s_cbranch_scc0 .LBB151_411
; %bb.404:
	v_bfe_u32 v1, v4, 16, 1
	v_cmp_o_f32_e32 vcc_lo, v4, v4
	s_mov_b32 s46, -1
	s_mov_b32 s0, 0
	s_delay_alu instid0(VALU_DEP_2) | instskip(NEXT) | instid1(VALU_DEP_1)
	v_add3_u32 v1, v4, v1, 0x7fff
	v_lshrrev_b32_e32 v1, 16, v1
	s_delay_alu instid0(VALU_DEP_1)
	v_cndmask_b32_e32 v1, 0x7fc0, v1, vcc_lo
	global_store_b32 v[2:3], v1, off
	s_branch .LBB151_411
.LBB151_405:
	s_mov_b32 s0, 0
	s_branch .LBB151_521
.LBB151_406:
	s_mov_b32 s43, -1
	s_mov_b32 s0, 0
	s_mov_b32 s46, 0
	s_branch .LBB151_480
.LBB151_407:
	s_mov_b32 s47, -1
	s_mov_b32 s0, 0
	s_mov_b32 s46, 0
	s_branch .LBB151_438
.LBB151_408:
	s_mov_b32 s47, -1
	s_mov_b32 s0, 0
	s_mov_b32 s46, 0
	s_branch .LBB151_421
.LBB151_409:
	s_mov_b32 s47, -1
	s_mov_b32 s0, 0
	s_mov_b32 s46, 0
	s_branch .LBB151_417
.LBB151_410:
	s_mov_b32 s47, -1
	s_mov_b32 s0, 0
	s_mov_b32 s46, 0
.LBB151_411:
	s_and_b32 vcc_lo, exec_lo, s47
	s_cbranch_vccz .LBB151_416
; %bb.412:
	s_cmp_eq_u32 s43, 44
	s_mov_b32 s0, -1
	s_cbranch_scc0 .LBB151_416
; %bb.413:
	v_bfe_u32 v5, v4, 23, 8
	s_wait_xcnt 0x0
	v_mov_b32_e32 v1, 0xff
	s_mov_b32 s46, exec_lo
	s_delay_alu instid0(VALU_DEP_2)
	v_cmpx_ne_u32_e32 0xff, v5
	s_cbranch_execz .LBB151_415
; %bb.414:
	v_and_b32_e32 v1, 0x400000, v4
	v_and_or_b32 v5, 0x3fffff, v4, v5
	s_delay_alu instid0(VALU_DEP_2) | instskip(NEXT) | instid1(VALU_DEP_2)
	v_cmp_ne_u32_e32 vcc_lo, 0, v1
	v_cmp_ne_u32_e64 s0, 0, v5
	v_lshrrev_b32_e32 v1, 23, v4
	s_and_b32 s0, vcc_lo, s0
	s_delay_alu instid0(SALU_CYCLE_1) | instskip(NEXT) | instid1(VALU_DEP_1)
	v_cndmask_b32_e64 v5, 0, 1, s0
	v_add_nc_u32_e32 v1, v1, v5
.LBB151_415:
	s_or_b32 exec_lo, exec_lo, s46
	s_mov_b32 s46, -1
	s_mov_b32 s0, 0
	global_store_b8 v[2:3], v1, off
.LBB151_416:
	s_mov_b32 s47, 0
.LBB151_417:
	s_delay_alu instid0(SALU_CYCLE_1)
	s_and_b32 vcc_lo, exec_lo, s47
	s_cbranch_vccz .LBB151_420
; %bb.418:
	s_cmp_eq_u32 s43, 29
	s_mov_b32 s0, -1
	s_cbranch_scc0 .LBB151_420
; %bb.419:
	s_wait_xcnt 0x0
	v_trunc_f32_e32 v1, v4
	s_mov_b32 s46, -1
	s_mov_b32 s0, 0
	s_mov_b32 s47, 0
	s_delay_alu instid0(VALU_DEP_1) | instskip(NEXT) | instid1(VALU_DEP_1)
	v_mul_f32_e32 v5, 0x2f800000, v1
	v_floor_f32_e32 v5, v5
	s_delay_alu instid0(VALU_DEP_1) | instskip(SKIP_1) | instid1(VALU_DEP_2)
	v_fmamk_f32 v1, v5, 0xcf800000, v1
	v_cvt_u32_f32_e32 v7, v5
	v_cvt_u32_f32_e32 v6, v1
	global_store_b64 v[2:3], v[6:7], off
	s_branch .LBB151_421
.LBB151_420:
	s_mov_b32 s47, 0
.LBB151_421:
	s_delay_alu instid0(SALU_CYCLE_1)
	s_and_b32 vcc_lo, exec_lo, s47
	s_cbranch_vccz .LBB151_437
; %bb.422:
	s_cmp_lt_i32 s43, 27
	s_mov_b32 s46, -1
	s_cbranch_scc1 .LBB151_428
; %bb.423:
	s_wait_xcnt 0x0
	v_cvt_u32_f32_e32 v1, v4
	s_cmp_gt_i32 s43, 27
	s_cbranch_scc0 .LBB151_425
; %bb.424:
	s_mov_b32 s46, 0
	global_store_b32 v[2:3], v1, off
.LBB151_425:
	s_and_not1_b32 vcc_lo, exec_lo, s46
	s_cbranch_vccnz .LBB151_427
; %bb.426:
	global_store_b16 v[2:3], v1, off
.LBB151_427:
	s_mov_b32 s46, 0
.LBB151_428:
	s_delay_alu instid0(SALU_CYCLE_1)
	s_and_not1_b32 vcc_lo, exec_lo, s46
	s_cbranch_vccnz .LBB151_436
; %bb.429:
	s_wait_xcnt 0x0
	v_and_b32_e32 v1, 0x7fffffff, v4
	v_mov_b32_e32 v5, 0x80
	s_mov_b32 s46, exec_lo
	s_delay_alu instid0(VALU_DEP_2)
	v_cmpx_gt_u32_e32 0x43800000, v1
	s_cbranch_execz .LBB151_435
; %bb.430:
	v_cmp_lt_u32_e32 vcc_lo, 0x3bffffff, v1
	s_mov_b32 s47, 0
                                        ; implicit-def: $vgpr1
	s_and_saveexec_b32 s48, vcc_lo
	s_delay_alu instid0(SALU_CYCLE_1)
	s_xor_b32 s48, exec_lo, s48
	s_cbranch_execz .LBB151_680
; %bb.431:
	v_bfe_u32 v1, v4, 20, 1
	s_mov_b32 s47, exec_lo
	s_delay_alu instid0(VALU_DEP_1) | instskip(NEXT) | instid1(VALU_DEP_1)
	v_add3_u32 v1, v4, v1, 0x487ffff
	v_lshrrev_b32_e32 v1, 20, v1
	s_and_not1_saveexec_b32 s48, s48
	s_cbranch_execnz .LBB151_681
.LBB151_432:
	s_or_b32 exec_lo, exec_lo, s48
	v_mov_b32_e32 v5, 0
	s_and_saveexec_b32 s48, s47
.LBB151_433:
	v_lshrrev_b32_e32 v5, 24, v4
	s_delay_alu instid0(VALU_DEP_1)
	v_and_or_b32 v5, 0x80, v5, v1
.LBB151_434:
	s_or_b32 exec_lo, exec_lo, s48
.LBB151_435:
	s_delay_alu instid0(SALU_CYCLE_1)
	s_or_b32 exec_lo, exec_lo, s46
	global_store_b8 v[2:3], v5, off
.LBB151_436:
	s_mov_b32 s46, -1
.LBB151_437:
	s_mov_b32 s47, 0
.LBB151_438:
	s_delay_alu instid0(SALU_CYCLE_1)
	s_and_b32 vcc_lo, exec_lo, s47
	s_cbranch_vccz .LBB151_479
; %bb.439:
	s_cmp_gt_i32 s43, 22
	s_mov_b32 s47, -1
	s_cbranch_scc0 .LBB151_471
; %bb.440:
	s_cmp_lt_i32 s43, 24
	s_mov_b32 s46, -1
	s_cbranch_scc1 .LBB151_460
; %bb.441:
	s_cmp_gt_i32 s43, 24
	s_cbranch_scc0 .LBB151_449
; %bb.442:
	s_wait_xcnt 0x0
	v_and_b32_e32 v1, 0x7fffffff, v4
	v_mov_b32_e32 v5, 0x80
	s_mov_b32 s46, exec_lo
	s_delay_alu instid0(VALU_DEP_2)
	v_cmpx_gt_u32_e32 0x47800000, v1
	s_cbranch_execz .LBB151_448
; %bb.443:
	v_cmp_lt_u32_e32 vcc_lo, 0x37ffffff, v1
	s_mov_b32 s47, 0
                                        ; implicit-def: $vgpr1
	s_and_saveexec_b32 s48, vcc_lo
	s_delay_alu instid0(SALU_CYCLE_1)
	s_xor_b32 s48, exec_lo, s48
	s_cbranch_execz .LBB151_812
; %bb.444:
	v_bfe_u32 v1, v4, 21, 1
	s_mov_b32 s47, exec_lo
	s_delay_alu instid0(VALU_DEP_1) | instskip(NEXT) | instid1(VALU_DEP_1)
	v_add3_u32 v1, v4, v1, 0x88fffff
	v_lshrrev_b32_e32 v1, 21, v1
	s_and_not1_saveexec_b32 s48, s48
	s_cbranch_execnz .LBB151_813
.LBB151_445:
	s_or_b32 exec_lo, exec_lo, s48
	v_mov_b32_e32 v5, 0
	s_and_saveexec_b32 s48, s47
.LBB151_446:
	v_lshrrev_b32_e32 v5, 24, v4
	s_delay_alu instid0(VALU_DEP_1)
	v_and_or_b32 v5, 0x80, v5, v1
.LBB151_447:
	s_or_b32 exec_lo, exec_lo, s48
.LBB151_448:
	s_delay_alu instid0(SALU_CYCLE_1)
	s_or_b32 exec_lo, exec_lo, s46
	s_mov_b32 s46, 0
	global_store_b8 v[2:3], v5, off
.LBB151_449:
	s_and_b32 vcc_lo, exec_lo, s46
	s_cbranch_vccz .LBB151_459
; %bb.450:
	s_wait_xcnt 0x0
	v_and_b32_e32 v5, 0x7fffffff, v4
	s_mov_b32 s46, exec_lo
                                        ; implicit-def: $vgpr1
	s_delay_alu instid0(VALU_DEP_1)
	v_cmpx_gt_u32_e32 0x43f00000, v5
	s_xor_b32 s46, exec_lo, s46
	s_cbranch_execz .LBB151_456
; %bb.451:
	s_mov_b32 s47, exec_lo
                                        ; implicit-def: $vgpr1
	v_cmpx_lt_u32_e32 0x3c7fffff, v5
	s_xor_b32 s47, exec_lo, s47
; %bb.452:
	v_bfe_u32 v1, v4, 20, 1
	s_delay_alu instid0(VALU_DEP_1) | instskip(NEXT) | instid1(VALU_DEP_1)
	v_add3_u32 v1, v4, v1, 0x407ffff
	v_and_b32_e32 v5, 0xff00000, v1
	v_lshrrev_b32_e32 v1, 20, v1
	s_delay_alu instid0(VALU_DEP_2) | instskip(NEXT) | instid1(VALU_DEP_2)
	v_cmp_ne_u32_e32 vcc_lo, 0x7f00000, v5
	v_cndmask_b32_e32 v1, 0x7e, v1, vcc_lo
; %bb.453:
	s_and_not1_saveexec_b32 s47, s47
; %bb.454:
	v_add_f32_e64 v1, 0x46800000, |v4|
; %bb.455:
	s_or_b32 exec_lo, exec_lo, s47
                                        ; implicit-def: $vgpr5
.LBB151_456:
	s_and_not1_saveexec_b32 s46, s46
; %bb.457:
	v_mov_b32_e32 v1, 0x7f
	v_cmp_lt_u32_e32 vcc_lo, 0x7f800000, v5
	s_delay_alu instid0(VALU_DEP_2)
	v_cndmask_b32_e32 v1, 0x7e, v1, vcc_lo
; %bb.458:
	s_or_b32 exec_lo, exec_lo, s46
	v_lshrrev_b32_e32 v5, 24, v4
	s_delay_alu instid0(VALU_DEP_1)
	v_and_or_b32 v1, 0x80, v5, v1
	global_store_b8 v[2:3], v1, off
.LBB151_459:
	s_mov_b32 s46, 0
.LBB151_460:
	s_delay_alu instid0(SALU_CYCLE_1)
	s_and_not1_b32 vcc_lo, exec_lo, s46
	s_cbranch_vccnz .LBB151_470
; %bb.461:
	s_wait_xcnt 0x0
	v_and_b32_e32 v5, 0x7fffffff, v4
	s_mov_b32 s46, exec_lo
                                        ; implicit-def: $vgpr1
	s_delay_alu instid0(VALU_DEP_1)
	v_cmpx_gt_u32_e32 0x47800000, v5
	s_xor_b32 s46, exec_lo, s46
	s_cbranch_execz .LBB151_467
; %bb.462:
	s_mov_b32 s47, exec_lo
                                        ; implicit-def: $vgpr1
	v_cmpx_lt_u32_e32 0x387fffff, v5
	s_xor_b32 s47, exec_lo, s47
; %bb.463:
	v_bfe_u32 v1, v4, 21, 1
	s_delay_alu instid0(VALU_DEP_1) | instskip(NEXT) | instid1(VALU_DEP_1)
	v_add3_u32 v1, v4, v1, 0x80fffff
	v_lshrrev_b32_e32 v1, 21, v1
; %bb.464:
	s_and_not1_saveexec_b32 s47, s47
; %bb.465:
	v_add_f32_e64 v1, 0x43000000, |v4|
; %bb.466:
	s_or_b32 exec_lo, exec_lo, s47
                                        ; implicit-def: $vgpr5
.LBB151_467:
	s_and_not1_saveexec_b32 s46, s46
; %bb.468:
	v_mov_b32_e32 v1, 0x7f
	v_cmp_lt_u32_e32 vcc_lo, 0x7f800000, v5
	s_delay_alu instid0(VALU_DEP_2)
	v_cndmask_b32_e32 v1, 0x7c, v1, vcc_lo
; %bb.469:
	s_or_b32 exec_lo, exec_lo, s46
	v_lshrrev_b32_e32 v5, 24, v4
	s_delay_alu instid0(VALU_DEP_1)
	v_and_or_b32 v1, 0x80, v5, v1
	global_store_b8 v[2:3], v1, off
.LBB151_470:
	s_mov_b32 s47, 0
	s_mov_b32 s46, -1
.LBB151_471:
	s_and_not1_b32 vcc_lo, exec_lo, s47
	s_cbranch_vccnz .LBB151_479
; %bb.472:
	s_cmp_gt_i32 s43, 14
	s_mov_b32 s47, -1
	s_cbranch_scc0 .LBB151_476
; %bb.473:
	s_cmp_eq_u32 s43, 15
	s_mov_b32 s0, -1
	s_cbranch_scc0 .LBB151_475
; %bb.474:
	s_wait_xcnt 0x0
	v_bfe_u32 v1, v4, 16, 1
	v_cmp_o_f32_e32 vcc_lo, v4, v4
	s_mov_b32 s46, -1
	s_mov_b32 s0, 0
	s_delay_alu instid0(VALU_DEP_2) | instskip(NEXT) | instid1(VALU_DEP_1)
	v_add3_u32 v1, v4, v1, 0x7fff
	v_lshrrev_b32_e32 v1, 16, v1
	s_delay_alu instid0(VALU_DEP_1)
	v_cndmask_b32_e32 v1, 0x7fc0, v1, vcc_lo
	global_store_b16 v[2:3], v1, off
.LBB151_475:
	s_mov_b32 s47, 0
.LBB151_476:
	s_delay_alu instid0(SALU_CYCLE_1)
	s_and_b32 vcc_lo, exec_lo, s47
	s_cbranch_vccz .LBB151_479
; %bb.477:
	s_cmp_eq_u32 s43, 11
	s_mov_b32 s0, -1
	s_cbranch_scc0 .LBB151_479
; %bb.478:
	v_cmp_neq_f32_e32 vcc_lo, 0, v4
	s_mov_b32 s0, 0
	s_mov_b32 s46, -1
	s_wait_xcnt 0x0
	v_cndmask_b32_e64 v1, 0, 1, vcc_lo
	global_store_b8 v[2:3], v1, off
.LBB151_479:
	s_mov_b32 s43, 0
.LBB151_480:
	s_delay_alu instid0(SALU_CYCLE_1)
	s_and_b32 vcc_lo, exec_lo, s43
	s_cbranch_vccz .LBB151_519
; %bb.481:
	s_and_b32 s31, 0xffff, s31
	s_mov_b32 s43, -1
	s_cmp_lt_i32 s31, 5
	s_cbranch_scc1 .LBB151_502
; %bb.482:
	s_cmp_lt_i32 s31, 8
	s_cbranch_scc1 .LBB151_492
; %bb.483:
	;; [unrolled: 3-line block ×3, first 2 shown]
	s_cmp_gt_i32 s31, 9
	s_cbranch_scc0 .LBB151_486
; %bb.485:
	s_wait_xcnt 0x0
	v_cvt_f64_f32_e32 v[6:7], v4
	v_mov_b32_e32 v8, 0
	s_mov_b32 s43, 0
	s_delay_alu instid0(VALU_DEP_1)
	v_mov_b32_e32 v9, v8
	global_store_b128 v[2:3], v[6:9], off
.LBB151_486:
	s_and_not1_b32 vcc_lo, exec_lo, s43
	s_cbranch_vccnz .LBB151_488
; %bb.487:
	s_wait_xcnt 0x0
	v_mov_b32_e32 v5, 0
	global_store_b64 v[2:3], v[4:5], off
.LBB151_488:
	s_mov_b32 s43, 0
.LBB151_489:
	s_delay_alu instid0(SALU_CYCLE_1)
	s_and_not1_b32 vcc_lo, exec_lo, s43
	s_cbranch_vccnz .LBB151_491
; %bb.490:
	s_wait_xcnt 0x0
	v_cvt_f16_f32_e32 v1, v4
	s_delay_alu instid0(VALU_DEP_1)
	v_and_b32_e32 v1, 0xffff, v1
	global_store_b32 v[2:3], v1, off
.LBB151_491:
	s_mov_b32 s43, 0
.LBB151_492:
	s_delay_alu instid0(SALU_CYCLE_1)
	s_and_not1_b32 vcc_lo, exec_lo, s43
	s_cbranch_vccnz .LBB151_501
; %bb.493:
	s_cmp_lt_i32 s31, 6
	s_mov_b32 s43, -1
	s_cbranch_scc1 .LBB151_499
; %bb.494:
	s_cmp_gt_i32 s31, 6
	s_cbranch_scc0 .LBB151_496
; %bb.495:
	s_wait_xcnt 0x0
	v_cvt_f64_f32_e32 v[6:7], v4
	s_mov_b32 s43, 0
	global_store_b64 v[2:3], v[6:7], off
.LBB151_496:
	s_and_not1_b32 vcc_lo, exec_lo, s43
	s_cbranch_vccnz .LBB151_498
; %bb.497:
	global_store_b32 v[2:3], v4, off
.LBB151_498:
	s_mov_b32 s43, 0
.LBB151_499:
	s_delay_alu instid0(SALU_CYCLE_1)
	s_and_not1_b32 vcc_lo, exec_lo, s43
	s_cbranch_vccnz .LBB151_501
; %bb.500:
	s_wait_xcnt 0x0
	v_cvt_f16_f32_e32 v1, v4
	global_store_b16 v[2:3], v1, off
.LBB151_501:
	s_mov_b32 s43, 0
.LBB151_502:
	s_delay_alu instid0(SALU_CYCLE_1)
	s_and_not1_b32 vcc_lo, exec_lo, s43
	s_cbranch_vccnz .LBB151_518
; %bb.503:
	s_cmp_lt_i32 s31, 2
	s_mov_b32 s43, -1
	s_cbranch_scc1 .LBB151_513
; %bb.504:
	s_cmp_lt_i32 s31, 3
	s_cbranch_scc1 .LBB151_510
; %bb.505:
	s_cmp_gt_i32 s31, 3
	s_cbranch_scc0 .LBB151_507
; %bb.506:
	s_wait_xcnt 0x0
	v_trunc_f32_e32 v1, v4
	s_mov_b32 s43, 0
	s_delay_alu instid0(VALU_DEP_1) | instskip(SKIP_1) | instid1(VALU_DEP_2)
	v_mul_f32_e64 v5, 0x2f800000, |v1|
	v_ashrrev_i32_e32 v6, 31, v1
	v_floor_f32_e32 v5, v5
	s_delay_alu instid0(VALU_DEP_1) | instskip(SKIP_1) | instid1(VALU_DEP_2)
	v_fma_f32 v7, 0xcf800000, v5, |v1|
	v_cvt_u32_f32_e32 v1, v5
	v_cvt_u32_f32_e32 v5, v7
	s_delay_alu instid0(VALU_DEP_2) | instskip(NEXT) | instid1(VALU_DEP_2)
	v_dual_mov_b32 v7, v6 :: v_dual_bitop2_b32 v9, v1, v6 bitop3:0x14
	v_xor_b32_e32 v8, v5, v6
	s_delay_alu instid0(VALU_DEP_1)
	v_sub_nc_u64_e32 v[6:7], v[8:9], v[6:7]
	global_store_b64 v[2:3], v[6:7], off
.LBB151_507:
	s_and_not1_b32 vcc_lo, exec_lo, s43
	s_cbranch_vccnz .LBB151_509
; %bb.508:
	s_wait_xcnt 0x0
	v_cvt_i32_f32_e32 v1, v4
	global_store_b32 v[2:3], v1, off
.LBB151_509:
	s_mov_b32 s43, 0
.LBB151_510:
	s_delay_alu instid0(SALU_CYCLE_1)
	s_and_not1_b32 vcc_lo, exec_lo, s43
	s_cbranch_vccnz .LBB151_512
; %bb.511:
	s_wait_xcnt 0x0
	v_cvt_i32_f32_e32 v1, v4
	global_store_b16 v[2:3], v1, off
.LBB151_512:
	s_mov_b32 s43, 0
.LBB151_513:
	s_delay_alu instid0(SALU_CYCLE_1)
	s_and_not1_b32 vcc_lo, exec_lo, s43
	s_cbranch_vccnz .LBB151_518
; %bb.514:
	s_cmp_gt_i32 s31, 0
	s_mov_b32 s31, -1
	s_cbranch_scc0 .LBB151_516
; %bb.515:
	s_wait_xcnt 0x0
	v_cvt_i32_f32_e32 v1, v4
	s_mov_b32 s31, 0
	global_store_b8 v[2:3], v1, off
.LBB151_516:
	s_and_not1_b32 vcc_lo, exec_lo, s31
	s_cbranch_vccnz .LBB151_518
; %bb.517:
	s_wait_xcnt 0x0
	v_trunc_f32_e32 v1, v4
	s_delay_alu instid0(VALU_DEP_1) | instskip(NEXT) | instid1(VALU_DEP_1)
	v_mul_f32_e64 v4, 0x2f800000, |v1|
	v_floor_f32_e32 v4, v4
	s_delay_alu instid0(VALU_DEP_1) | instskip(SKIP_1) | instid1(VALU_DEP_2)
	v_fma_f32 v4, 0xcf800000, v4, |v1|
	v_ashrrev_i32_e32 v1, 31, v1
	v_cvt_u32_f32_e32 v4, v4
	s_delay_alu instid0(VALU_DEP_1) | instskip(NEXT) | instid1(VALU_DEP_1)
	v_xor_b32_e32 v4, v4, v1
	v_sub_nc_u32_e32 v1, v4, v1
	global_store_b8 v[2:3], v1, off
.LBB151_518:
	s_mov_b32 s46, -1
.LBB151_519:
	s_delay_alu instid0(SALU_CYCLE_1)
	s_and_not1_b32 vcc_lo, exec_lo, s46
	s_cbranch_vccnz .LBB151_521
; %bb.520:
	v_add_nc_u32_e32 v0, 0x80, v0
	s_mov_b32 s31, -1
	s_branch .LBB151_522
.LBB151_521:
	s_mov_b32 s31, 0
                                        ; implicit-def: $vgpr0
.LBB151_522:
	s_and_b32 s43, s0, exec_lo
	s_and_b32 s46, s30, exec_lo
	;; [unrolled: 1-line block ×4, first 2 shown]
	s_or_not1_b32 s29, s31, exec_lo
.LBB151_523:
	s_wait_xcnt 0x0
	s_or_b32 exec_lo, exec_lo, s49
	s_mov_b32 s30, 0
	s_mov_b32 s28, 0
                                        ; implicit-def: $sgpr0
                                        ; implicit-def: $vgpr8_vgpr9
                                        ; implicit-def: $vgpr2
                                        ; implicit-def: $vgpr4
                                        ; implicit-def: $vgpr6
                                        ; implicit-def: $vgpr10
	s_and_saveexec_b32 s49, s29
	s_cbranch_execz .LBB151_531
; %bb.524:
	s_mov_b32 s31, -1
	s_mov_b32 s50, s48
	s_mov_b32 s53, s47
	;; [unrolled: 1-line block ×4, first 2 shown]
	s_mov_b32 s54, exec_lo
	v_cmpx_gt_i32_e64 s44, v0
	s_cbranch_execz .LBB151_1057
; %bb.525:
	s_and_not1_b32 vcc_lo, exec_lo, s36
	s_cbranch_vccnz .LBB151_534
; %bb.526:
	s_and_not1_b32 vcc_lo, exec_lo, s45
	s_cbranch_vccnz .LBB151_535
; %bb.527:
	s_wait_loadcnt 0x0
	v_dual_mov_b32 v6, 0 :: v_dual_mov_b32 v1, v0
	v_dual_mov_b32 v4, 0 :: v_dual_mov_b32 v2, 0
	v_mov_b32_e32 v8, 0
	s_add_co_i32 s0, s42, 1
	s_mov_b64 s[28:29], 0xffffffffffffffe0
	s_and_b32 s0, s0, 30
	s_add_nc_u64 s[28:29], s[2:3], s[28:29]
	s_mov_b64 s[30:31], s[2:3]
.LBB151_528:                            ; =>This Inner Loop Header: Depth=1
	s_clause 0x1
	s_load_b128 s[64:67], s[30:31], 0x4
	s_load_b64 s[50:51], s[30:31], 0x14
	s_load_b256 s[56:63], s[28:29], 0xe4
	s_add_co_i32 s0, s0, -2
	s_wait_xcnt 0x0
	s_add_nc_u64 s[30:31], s[30:31], 24
	s_cmp_eq_u32 s0, 0
	s_add_nc_u64 s[28:29], s[28:29], 32
	s_wait_kmcnt 0x0
	v_mul_hi_u32 v3, s65, v1
	s_delay_alu instid0(VALU_DEP_1) | instskip(NEXT) | instid1(VALU_DEP_1)
	v_add_nc_u32_e32 v3, v1, v3
	v_lshrrev_b32_e32 v3, s66, v3
	s_delay_alu instid0(VALU_DEP_1) | instskip(SKIP_1) | instid1(VALU_DEP_1)
	v_mul_hi_u32 v5, s50, v3
	v_mul_lo_u32 v7, v3, s64
	v_dual_add_nc_u32 v5, v3, v5 :: v_dual_sub_nc_u32 v7, v1, v7
	s_delay_alu instid0(VALU_DEP_1) | instskip(NEXT) | instid1(VALU_DEP_2)
	v_lshrrev_b32_e32 v1, s51, v5
	v_mad_u32 v8, v7, s57, v8
	v_mad_u32 v2, v7, s56, v2
	;; [unrolled: 1-line block ×4, first 2 shown]
	v_mul_lo_u32 v5, v1, s67
	s_delay_alu instid0(VALU_DEP_1) | instskip(NEXT) | instid1(VALU_DEP_1)
	v_sub_nc_u32_e32 v3, v3, v5
	v_mad_u32 v8, v3, s61, v8
	v_mad_u32 v2, v3, s60, v2
	;; [unrolled: 1-line block ×4, first 2 shown]
	s_cbranch_scc0 .LBB151_528
; %bb.529:
	s_bitcmp1_b32 s42, 0
	s_cselect_b32 s0, -1, 0
	s_delay_alu instid0(SALU_CYCLE_1)
	s_and_b32 vcc_lo, exec_lo, s0
	s_cbranch_vccnz .LBB151_536
; %bb.530:
	s_load_b96 s[60:62], s[30:31], 0x4
	s_load_b128 s[56:59], s[28:29], 0xe4
	s_wait_kmcnt 0x0
	v_mul_hi_u32 v3, s61, v1
	s_delay_alu instid0(VALU_DEP_1) | instskip(NEXT) | instid1(VALU_DEP_1)
	v_add_nc_u32_e32 v3, v1, v3
	v_lshrrev_b32_e32 v3, s62, v3
	s_delay_alu instid0(VALU_DEP_1) | instskip(NEXT) | instid1(VALU_DEP_1)
	v_mul_lo_u32 v3, v3, s60
	v_sub_nc_u32_e32 v1, v1, v3
	s_delay_alu instid0(VALU_DEP_1)
	v_mad_u32 v2, v1, s56, v2
	v_mad_u32 v8, v1, s57, v8
	;; [unrolled: 1-line block ×4, first 2 shown]
	s_branch .LBB151_536
.LBB151_531:
	s_or_b32 exec_lo, exec_lo, s49
	s_mov_b32 s1, 0
	s_and_saveexec_b32 s6, s48
	s_cbranch_execnz .LBB151_1685
.LBB151_532:
	s_or_b32 exec_lo, exec_lo, s6
	s_and_saveexec_b32 s6, s25
	s_delay_alu instid0(SALU_CYCLE_1)
	s_xor_b32 s6, exec_lo, s6
	s_cbranch_execz .LBB151_1686
.LBB151_533:
	s_wait_loadcnt 0x0
	global_load_u8 v0, v[8:9], off
	s_or_b32 s28, s28, exec_lo
	s_wait_loadcnt 0x0
	v_cmp_ne_u16_e32 vcc_lo, 0, v0
	v_cndmask_b32_e64 v10, 0, 1.0, vcc_lo
	s_wait_xcnt 0x0
	s_or_b32 exec_lo, exec_lo, s6
	s_and_saveexec_b32 s6, s30
	s_cbranch_execz .LBB151_1732
	s_branch .LBB151_1687
.LBB151_534:
                                        ; implicit-def: $vgpr8
                                        ; implicit-def: $vgpr2
                                        ; implicit-def: $vgpr4
                                        ; implicit-def: $vgpr6
	s_branch .LBB151_537
.LBB151_535:
	s_wait_loadcnt 0x0
	v_dual_mov_b32 v8, 0 :: v_dual_mov_b32 v2, 0
	v_dual_mov_b32 v4, 0 :: v_dual_mov_b32 v6, 0
.LBB151_536:
	s_cbranch_execnz .LBB151_539
.LBB151_537:
	s_wait_loadcnt 0x0
	v_mov_b32_e32 v1, 0
	s_and_not1_b32 vcc_lo, exec_lo, s41
	s_delay_alu instid0(VALU_DEP_1) | instskip(NEXT) | instid1(VALU_DEP_1)
	v_mul_u64_e32 v[2:3], s[24:25], v[0:1]
	v_add_nc_u32_e32 v2, v0, v3
	s_delay_alu instid0(VALU_DEP_1) | instskip(NEXT) | instid1(VALU_DEP_1)
	v_lshrrev_b32_e32 v10, s22, v2
	v_mul_lo_u32 v2, v10, s20
	s_delay_alu instid0(VALU_DEP_1) | instskip(NEXT) | instid1(VALU_DEP_1)
	v_sub_nc_u32_e32 v3, v0, v2
	v_mul_lo_u32 v8, v3, s13
	v_mul_lo_u32 v2, v3, s12
	;; [unrolled: 1-line block ×4, first 2 shown]
	s_cbranch_vccnz .LBB151_539
; %bb.538:
	v_mov_b32_e32 v11, v1
	s_delay_alu instid0(VALU_DEP_1) | instskip(NEXT) | instid1(VALU_DEP_1)
	v_mul_u64_e32 v[12:13], s[26:27], v[10:11]
	v_add_nc_u32_e32 v1, v10, v13
	s_delay_alu instid0(VALU_DEP_1) | instskip(NEXT) | instid1(VALU_DEP_1)
	v_lshrrev_b32_e32 v1, s1, v1
	v_mul_lo_u32 v1, v1, s23
	s_delay_alu instid0(VALU_DEP_1) | instskip(NEXT) | instid1(VALU_DEP_1)
	v_sub_nc_u32_e32 v1, v10, v1
	v_mad_u32 v2, v1, s16, v2
	v_mad_u32 v8, v1, s17, v8
	;; [unrolled: 1-line block ×4, first 2 shown]
.LBB151_539:
	v_mov_b32_e32 v9, 0
	s_and_b32 s0, s40, 0xff
	s_delay_alu instid0(SALU_CYCLE_1) | instskip(SKIP_1) | instid1(VALU_DEP_1)
	s_cmp_lt_i32 s0, 11
	s_wait_loadcnt 0x0
	v_add_nc_u64_e32 v[8:9], s[6:7], v[8:9]
	s_cbranch_scc1 .LBB151_546
; %bb.540:
	s_and_b32 s29, 0xffff, s0
	s_delay_alu instid0(SALU_CYCLE_1)
	s_cmp_gt_i32 s29, 25
	s_cbranch_scc0 .LBB151_555
; %bb.541:
	s_cmp_gt_i32 s29, 28
	s_cbranch_scc0 .LBB151_557
; %bb.542:
	;; [unrolled: 3-line block ×4, first 2 shown]
	s_cmp_eq_u32 s29, 46
	s_mov_b32 s31, 0
	s_cbranch_scc0 .LBB151_563
; %bb.545:
	global_load_b32 v1, v[8:9], off
	s_mov_b32 s30, -1
	s_mov_b32 s28, 0
	s_wait_loadcnt 0x0
	v_lshlrev_b32_e32 v1, 16, v1
	s_branch .LBB151_565
.LBB151_546:
	s_mov_b32 s30, 0
	s_mov_b32 s28, s48
                                        ; implicit-def: $vgpr1
	s_cbranch_execnz .LBB151_631
.LBB151_547:
	s_and_not1_b32 vcc_lo, exec_lo, s30
	s_cbranch_vccnz .LBB151_679
.LBB151_548:
	v_mov_b32_e32 v7, 0
	s_and_b32 s0, s39, 0xff
	s_delay_alu instid0(SALU_CYCLE_1) | instskip(NEXT) | instid1(VALU_DEP_1)
	s_cmp_lt_i32 s0, 11
	v_add_nc_u64_e32 v[6:7], s[8:9], v[6:7]
	s_cbranch_scc1 .LBB151_556
; %bb.549:
	s_and_b32 s30, 0xffff, s0
	s_delay_alu instid0(SALU_CYCLE_1)
	s_cmp_gt_i32 s30, 25
	s_cbranch_scc0 .LBB151_558
; %bb.550:
	s_cmp_gt_i32 s30, 28
	s_cbranch_scc0 .LBB151_560
; %bb.551:
	;; [unrolled: 3-line block ×4, first 2 shown]
	s_cmp_eq_u32 s30, 46
	s_mov_b32 s50, 0
	s_cbranch_scc0 .LBB151_682
; %bb.554:
	global_load_b32 v3, v[6:7], off
	s_mov_b32 s31, -1
	s_mov_b32 s29, 0
	s_wait_loadcnt 0x0
	s_wait_xcnt 0x1
	v_lshlrev_b32_e32 v8, 16, v3
	s_branch .LBB151_684
.LBB151_555:
	s_mov_b32 s31, -1
	s_mov_b32 s30, 0
	s_mov_b32 s28, s48
                                        ; implicit-def: $vgpr1
	s_branch .LBB151_595
.LBB151_556:
	s_mov_b32 s30, -1
	s_mov_b32 s31, 0
	s_mov_b32 s29, s47
                                        ; implicit-def: $vgpr8
	s_branch .LBB151_749
.LBB151_557:
	s_mov_b32 s31, -1
	s_mov_b32 s30, 0
	s_mov_b32 s28, s48
                                        ; implicit-def: $vgpr1
	s_branch .LBB151_576
.LBB151_558:
	s_mov_b32 s50, -1
	s_mov_b32 s31, 0
	s_mov_b32 s29, s47
                                        ; implicit-def: $vgpr8
	s_branch .LBB151_713
.LBB151_559:
	s_mov_b32 s31, -1
	s_mov_b32 s30, 0
	s_mov_b32 s28, s48
                                        ; implicit-def: $vgpr1
	s_branch .LBB151_571
.LBB151_560:
	s_mov_b32 s50, -1
	s_mov_b32 s31, 0
	s_mov_b32 s29, s47
                                        ; implicit-def: $vgpr8
	s_branch .LBB151_694
.LBB151_561:
	s_mov_b32 s31, -1
	s_mov_b32 s30, 0
	s_mov_b32 s28, s48
	s_branch .LBB151_564
.LBB151_562:
	s_mov_b32 s50, -1
	s_mov_b32 s31, 0
	s_mov_b32 s29, s47
                                        ; implicit-def: $vgpr8
	s_branch .LBB151_689
.LBB151_563:
	s_mov_b32 s28, -1
	s_mov_b32 s30, 0
.LBB151_564:
                                        ; implicit-def: $vgpr1
.LBB151_565:
	s_and_b32 vcc_lo, exec_lo, s31
	s_cbranch_vccz .LBB151_570
; %bb.566:
	s_cmp_eq_u32 s29, 44
	s_cbranch_scc0 .LBB151_569
; %bb.567:
	global_load_u8 v1, v[8:9], off
	s_mov_b32 s28, 0
	s_mov_b32 s30, -1
	s_wait_loadcnt 0x0
	v_lshlrev_b32_e32 v3, 23, v1
	v_cmp_ne_u32_e32 vcc_lo, 0xff, v1
	s_delay_alu instid0(VALU_DEP_2) | instskip(SKIP_1) | instid1(VALU_DEP_2)
	v_cndmask_b32_e32 v3, 0x7f800001, v3, vcc_lo
	v_cmp_ne_u32_e32 vcc_lo, 0, v1
	v_cndmask_b32_e32 v1, 0x400000, v3, vcc_lo
	s_branch .LBB151_570
.LBB151_568:
	s_mov_b32 s50, -1
	s_mov_b32 s31, 0
	s_mov_b32 s29, s47
	s_branch .LBB151_683
.LBB151_569:
	s_mov_b32 s28, -1
                                        ; implicit-def: $vgpr1
.LBB151_570:
	s_mov_b32 s31, 0
.LBB151_571:
	s_delay_alu instid0(SALU_CYCLE_1)
	s_and_b32 vcc_lo, exec_lo, s31
	s_cbranch_vccz .LBB151_575
; %bb.572:
	s_cmp_eq_u32 s29, 29
	s_cbranch_scc0 .LBB151_574
; %bb.573:
	global_load_b64 v[10:11], v[8:9], off
	s_mov_b32 s30, -1
	s_mov_b32 s28, 0
	s_mov_b32 s31, 0
	s_wait_loadcnt 0x0
	v_clz_i32_u32_e32 v1, v11
	s_delay_alu instid0(VALU_DEP_1) | instskip(NEXT) | instid1(VALU_DEP_1)
	v_min_u32_e32 v1, 32, v1
	v_lshlrev_b64_e32 v[10:11], v1, v[10:11]
	v_sub_nc_u32_e32 v1, 32, v1
	s_delay_alu instid0(VALU_DEP_2) | instskip(NEXT) | instid1(VALU_DEP_1)
	v_min_u32_e32 v3, 1, v10
	v_or_b32_e32 v3, v11, v3
	s_delay_alu instid0(VALU_DEP_1) | instskip(NEXT) | instid1(VALU_DEP_1)
	v_cvt_f32_u32_e32 v3, v3
	v_ldexp_f32 v1, v3, v1
	s_branch .LBB151_576
.LBB151_574:
	s_mov_b32 s28, -1
                                        ; implicit-def: $vgpr1
.LBB151_575:
	s_mov_b32 s31, 0
.LBB151_576:
	s_delay_alu instid0(SALU_CYCLE_1)
	s_and_b32 vcc_lo, exec_lo, s31
	s_cbranch_vccz .LBB151_594
; %bb.577:
	s_cmp_lt_i32 s29, 27
	s_cbranch_scc1 .LBB151_580
; %bb.578:
	s_cmp_gt_i32 s29, 27
	s_cbranch_scc0 .LBB151_581
; %bb.579:
	global_load_b32 v1, v[8:9], off
	s_mov_b32 s30, 0
	s_wait_loadcnt 0x0
	v_cvt_f32_u32_e32 v1, v1
	s_branch .LBB151_582
.LBB151_580:
	s_mov_b32 s30, -1
                                        ; implicit-def: $vgpr1
	s_branch .LBB151_585
.LBB151_581:
	s_mov_b32 s30, -1
                                        ; implicit-def: $vgpr1
.LBB151_582:
	s_delay_alu instid0(SALU_CYCLE_1)
	s_and_not1_b32 vcc_lo, exec_lo, s30
	s_cbranch_vccnz .LBB151_584
; %bb.583:
	global_load_u16 v1, v[8:9], off
	s_wait_loadcnt 0x0
	v_cvt_f32_u32_e32 v1, v1
.LBB151_584:
	s_mov_b32 s30, 0
.LBB151_585:
	s_delay_alu instid0(SALU_CYCLE_1)
	s_and_not1_b32 vcc_lo, exec_lo, s30
	s_cbranch_vccnz .LBB151_593
; %bb.586:
	global_load_u8 v3, v[8:9], off
	s_mov_b32 s30, 0
	s_mov_b32 s31, exec_lo
	s_wait_loadcnt 0x0
	v_cmpx_lt_i16_e32 0x7f, v3
	s_xor_b32 s31, exec_lo, s31
	s_cbranch_execz .LBB151_607
; %bb.587:
	s_mov_b32 s30, -1
	s_mov_b32 s50, exec_lo
	v_cmpx_eq_u16_e32 0x80, v3
; %bb.588:
	s_xor_b32 s30, exec_lo, -1
; %bb.589:
	s_or_b32 exec_lo, exec_lo, s50
	s_delay_alu instid0(SALU_CYCLE_1)
	s_and_b32 s30, s30, exec_lo
	s_or_saveexec_b32 s31, s31
	v_mov_b32_e32 v1, 0x7f800001
	s_xor_b32 exec_lo, exec_lo, s31
	s_cbranch_execnz .LBB151_608
.LBB151_590:
	s_or_b32 exec_lo, exec_lo, s31
	s_and_saveexec_b32 s31, s30
	s_cbranch_execz .LBB151_592
.LBB151_591:
	v_and_b32_e32 v1, 0xffff, v3
	s_delay_alu instid0(VALU_DEP_1) | instskip(SKIP_1) | instid1(VALU_DEP_2)
	v_and_b32_e32 v5, 7, v1
	v_bfe_u32 v11, v1, 3, 4
	v_clz_i32_u32_e32 v7, v5
	s_delay_alu instid0(VALU_DEP_2) | instskip(NEXT) | instid1(VALU_DEP_2)
	v_cmp_eq_u32_e32 vcc_lo, 0, v11
	v_min_u32_e32 v7, 32, v7
	s_delay_alu instid0(VALU_DEP_1) | instskip(NEXT) | instid1(VALU_DEP_1)
	v_subrev_nc_u32_e32 v10, 28, v7
	v_dual_lshlrev_b32 v1, v10, v1 :: v_dual_sub_nc_u32 v7, 29, v7
	s_delay_alu instid0(VALU_DEP_1) | instskip(NEXT) | instid1(VALU_DEP_1)
	v_dual_lshlrev_b32 v3, 24, v3 :: v_dual_bitop2_b32 v1, 7, v1 bitop3:0x40
	v_dual_cndmask_b32 v1, v5, v1, vcc_lo :: v_dual_cndmask_b32 v7, v11, v7, vcc_lo
	s_delay_alu instid0(VALU_DEP_2) | instskip(NEXT) | instid1(VALU_DEP_2)
	v_and_b32_e32 v3, 0x80000000, v3
	v_lshlrev_b32_e32 v1, 20, v1
	s_delay_alu instid0(VALU_DEP_3) | instskip(NEXT) | instid1(VALU_DEP_1)
	v_lshl_add_u32 v5, v7, 23, 0x3b800000
	v_or3_b32 v1, v3, v5, v1
.LBB151_592:
	s_or_b32 exec_lo, exec_lo, s31
.LBB151_593:
	s_mov_b32 s30, -1
.LBB151_594:
	s_mov_b32 s31, 0
.LBB151_595:
	s_delay_alu instid0(SALU_CYCLE_1)
	s_and_b32 vcc_lo, exec_lo, s31
	s_cbranch_vccz .LBB151_630
; %bb.596:
	s_cmp_gt_i32 s29, 22
	s_cbranch_scc0 .LBB151_606
; %bb.597:
	s_cmp_lt_i32 s29, 24
	s_cbranch_scc1 .LBB151_609
; %bb.598:
	s_cmp_gt_i32 s29, 24
	s_cbranch_scc0 .LBB151_610
; %bb.599:
	global_load_u8 v3, v[8:9], off
	s_mov_b32 s30, 0
	s_mov_b32 s31, exec_lo
	s_wait_loadcnt 0x0
	v_cmpx_lt_i16_e32 0x7f, v3
	s_xor_b32 s31, exec_lo, s31
	s_cbranch_execz .LBB151_622
; %bb.600:
	s_mov_b32 s30, -1
	s_mov_b32 s50, exec_lo
	v_cmpx_eq_u16_e32 0x80, v3
; %bb.601:
	s_xor_b32 s30, exec_lo, -1
; %bb.602:
	s_or_b32 exec_lo, exec_lo, s50
	s_delay_alu instid0(SALU_CYCLE_1)
	s_and_b32 s30, s30, exec_lo
	s_or_saveexec_b32 s31, s31
	v_mov_b32_e32 v1, 0x7f800001
	s_xor_b32 exec_lo, exec_lo, s31
	s_cbranch_execnz .LBB151_623
.LBB151_603:
	s_or_b32 exec_lo, exec_lo, s31
	s_and_saveexec_b32 s31, s30
	s_cbranch_execz .LBB151_605
.LBB151_604:
	v_and_b32_e32 v1, 0xffff, v3
	s_delay_alu instid0(VALU_DEP_1) | instskip(SKIP_1) | instid1(VALU_DEP_2)
	v_and_b32_e32 v5, 3, v1
	v_bfe_u32 v11, v1, 2, 5
	v_clz_i32_u32_e32 v7, v5
	s_delay_alu instid0(VALU_DEP_2) | instskip(NEXT) | instid1(VALU_DEP_2)
	v_cmp_eq_u32_e32 vcc_lo, 0, v11
	v_min_u32_e32 v7, 32, v7
	s_delay_alu instid0(VALU_DEP_1) | instskip(NEXT) | instid1(VALU_DEP_1)
	v_subrev_nc_u32_e32 v10, 29, v7
	v_dual_lshlrev_b32 v1, v10, v1 :: v_dual_sub_nc_u32 v7, 30, v7
	s_delay_alu instid0(VALU_DEP_1) | instskip(NEXT) | instid1(VALU_DEP_1)
	v_dual_lshlrev_b32 v3, 24, v3 :: v_dual_bitop2_b32 v1, 3, v1 bitop3:0x40
	v_dual_cndmask_b32 v1, v5, v1, vcc_lo :: v_dual_cndmask_b32 v7, v11, v7, vcc_lo
	s_delay_alu instid0(VALU_DEP_2) | instskip(NEXT) | instid1(VALU_DEP_2)
	v_and_b32_e32 v3, 0x80000000, v3
	v_lshlrev_b32_e32 v1, 21, v1
	s_delay_alu instid0(VALU_DEP_3) | instskip(NEXT) | instid1(VALU_DEP_1)
	v_lshl_add_u32 v5, v7, 23, 0x37800000
	v_or3_b32 v1, v3, v5, v1
.LBB151_605:
	s_or_b32 exec_lo, exec_lo, s31
	s_mov_b32 s30, 0
	s_branch .LBB151_611
.LBB151_606:
	s_mov_b32 s31, -1
                                        ; implicit-def: $vgpr1
	s_branch .LBB151_617
.LBB151_607:
	s_or_saveexec_b32 s31, s31
	v_mov_b32_e32 v1, 0x7f800001
	s_xor_b32 exec_lo, exec_lo, s31
	s_cbranch_execz .LBB151_590
.LBB151_608:
	v_cmp_ne_u16_e32 vcc_lo, 0, v3
	v_mov_b32_e32 v1, 0
	s_and_not1_b32 s30, s30, exec_lo
	s_and_b32 s50, vcc_lo, exec_lo
	s_delay_alu instid0(SALU_CYCLE_1)
	s_or_b32 s30, s30, s50
	s_or_b32 exec_lo, exec_lo, s31
	s_and_saveexec_b32 s31, s30
	s_cbranch_execnz .LBB151_591
	s_branch .LBB151_592
.LBB151_609:
	s_mov_b32 s30, -1
                                        ; implicit-def: $vgpr1
	s_branch .LBB151_614
.LBB151_610:
	s_mov_b32 s30, -1
                                        ; implicit-def: $vgpr1
.LBB151_611:
	s_delay_alu instid0(SALU_CYCLE_1)
	s_and_b32 vcc_lo, exec_lo, s30
	s_cbranch_vccz .LBB151_613
; %bb.612:
	global_load_u8 v1, v[8:9], off
	s_wait_loadcnt 0x0
	v_lshlrev_b32_e32 v1, 24, v1
	s_delay_alu instid0(VALU_DEP_1) | instskip(NEXT) | instid1(VALU_DEP_1)
	v_and_b32_e32 v3, 0x7f000000, v1
	v_clz_i32_u32_e32 v5, v3
	v_cmp_ne_u32_e32 vcc_lo, 0, v3
	v_add_nc_u32_e32 v10, 0x1000000, v3
	s_delay_alu instid0(VALU_DEP_3) | instskip(NEXT) | instid1(VALU_DEP_1)
	v_min_u32_e32 v5, 32, v5
	v_sub_nc_u32_e64 v5, v5, 4 clamp
	s_delay_alu instid0(VALU_DEP_1) | instskip(NEXT) | instid1(VALU_DEP_1)
	v_dual_lshlrev_b32 v7, v5, v3 :: v_dual_lshlrev_b32 v5, 23, v5
	v_lshrrev_b32_e32 v7, 4, v7
	s_delay_alu instid0(VALU_DEP_1) | instskip(NEXT) | instid1(VALU_DEP_1)
	v_dual_sub_nc_u32 v5, v7, v5 :: v_dual_ashrrev_i32 v7, 8, v10
	v_add_nc_u32_e32 v5, 0x3c000000, v5
	s_delay_alu instid0(VALU_DEP_1) | instskip(NEXT) | instid1(VALU_DEP_1)
	v_and_or_b32 v5, 0x7f800000, v7, v5
	v_cndmask_b32_e32 v3, 0, v5, vcc_lo
	s_delay_alu instid0(VALU_DEP_1)
	v_and_or_b32 v1, 0x80000000, v1, v3
.LBB151_613:
	s_mov_b32 s30, 0
.LBB151_614:
	s_delay_alu instid0(SALU_CYCLE_1)
	s_and_not1_b32 vcc_lo, exec_lo, s30
	s_cbranch_vccnz .LBB151_616
; %bb.615:
	global_load_u8 v1, v[8:9], off
	s_wait_loadcnt 0x0
	v_lshlrev_b32_e32 v3, 25, v1
	v_lshlrev_b16 v1, 8, v1
	s_delay_alu instid0(VALU_DEP_1) | instskip(SKIP_1) | instid1(VALU_DEP_2)
	v_and_or_b32 v7, 0x7f00, v1, 0.5
	v_bfe_i32 v1, v1, 0, 16
	v_add_f32_e32 v7, -0.5, v7
	v_lshrrev_b32_e32 v5, 4, v3
	v_cmp_gt_u32_e32 vcc_lo, 0x8000000, v3
	s_delay_alu instid0(VALU_DEP_2) | instskip(NEXT) | instid1(VALU_DEP_1)
	v_or_b32_e32 v5, 0x70000000, v5
	v_mul_f32_e32 v5, 0x7800000, v5
	s_delay_alu instid0(VALU_DEP_1) | instskip(NEXT) | instid1(VALU_DEP_1)
	v_cndmask_b32_e32 v3, v5, v7, vcc_lo
	v_and_or_b32 v1, 0x80000000, v1, v3
.LBB151_616:
	s_mov_b32 s31, 0
	s_mov_b32 s30, -1
.LBB151_617:
	s_and_not1_b32 vcc_lo, exec_lo, s31
	s_cbranch_vccnz .LBB151_630
; %bb.618:
	s_cmp_gt_i32 s29, 14
	s_cbranch_scc0 .LBB151_621
; %bb.619:
	s_cmp_eq_u32 s29, 15
	s_cbranch_scc0 .LBB151_624
; %bb.620:
	global_load_u16 v1, v[8:9], off
	s_mov_b32 s30, -1
	s_mov_b32 s28, 0
	s_wait_loadcnt 0x0
	v_lshlrev_b32_e32 v1, 16, v1
	s_branch .LBB151_625
.LBB151_621:
	s_mov_b32 s31, -1
                                        ; implicit-def: $vgpr1
	s_branch .LBB151_626
.LBB151_622:
	s_or_saveexec_b32 s31, s31
	v_mov_b32_e32 v1, 0x7f800001
	s_xor_b32 exec_lo, exec_lo, s31
	s_cbranch_execz .LBB151_603
.LBB151_623:
	v_cmp_ne_u16_e32 vcc_lo, 0, v3
	v_mov_b32_e32 v1, 0
	s_and_not1_b32 s30, s30, exec_lo
	s_and_b32 s50, vcc_lo, exec_lo
	s_delay_alu instid0(SALU_CYCLE_1)
	s_or_b32 s30, s30, s50
	s_or_b32 exec_lo, exec_lo, s31
	s_and_saveexec_b32 s31, s30
	s_cbranch_execnz .LBB151_604
	s_branch .LBB151_605
.LBB151_624:
	s_mov_b32 s28, -1
                                        ; implicit-def: $vgpr1
.LBB151_625:
	s_mov_b32 s31, 0
.LBB151_626:
	s_delay_alu instid0(SALU_CYCLE_1)
	s_and_b32 vcc_lo, exec_lo, s31
	s_cbranch_vccz .LBB151_630
; %bb.627:
	s_cmp_eq_u32 s29, 11
	s_cbranch_scc0 .LBB151_629
; %bb.628:
	global_load_u8 v1, v[8:9], off
	s_mov_b32 s28, 0
	s_mov_b32 s30, -1
	s_wait_loadcnt 0x0
	v_cmp_ne_u16_e32 vcc_lo, 0, v1
	v_cndmask_b32_e64 v1, 0, 1.0, vcc_lo
	s_branch .LBB151_630
.LBB151_629:
	s_mov_b32 s28, -1
                                        ; implicit-def: $vgpr1
.LBB151_630:
	s_branch .LBB151_547
.LBB151_631:
	s_and_b32 s0, 0xffff, s0
	s_delay_alu instid0(SALU_CYCLE_1)
	s_cmp_lt_i32 s0, 5
	s_cbranch_scc1 .LBB151_636
; %bb.632:
	s_cmp_lt_i32 s0, 8
	s_cbranch_scc1 .LBB151_637
; %bb.633:
	;; [unrolled: 3-line block ×3, first 2 shown]
	s_cmp_gt_i32 s0, 9
	s_cbranch_scc0 .LBB151_639
; %bb.635:
	global_load_b64 v[10:11], v[8:9], off
	s_mov_b32 s29, 0
	s_wait_loadcnt 0x0
	v_cvt_f32_f64_e32 v1, v[10:11]
	s_branch .LBB151_640
.LBB151_636:
	s_mov_b32 s29, -1
                                        ; implicit-def: $vgpr1
	s_branch .LBB151_658
.LBB151_637:
	s_mov_b32 s29, -1
                                        ; implicit-def: $vgpr1
	s_branch .LBB151_646
.LBB151_638:
	s_mov_b32 s29, -1
                                        ; implicit-def: $vgpr1
	s_branch .LBB151_643
.LBB151_639:
	s_mov_b32 s29, -1
                                        ; implicit-def: $vgpr1
.LBB151_640:
	s_delay_alu instid0(SALU_CYCLE_1)
	s_and_not1_b32 vcc_lo, exec_lo, s29
	s_cbranch_vccnz .LBB151_642
; %bb.641:
	global_load_b32 v1, v[8:9], off
.LBB151_642:
	s_mov_b32 s29, 0
.LBB151_643:
	s_delay_alu instid0(SALU_CYCLE_1)
	s_and_not1_b32 vcc_lo, exec_lo, s29
	s_cbranch_vccnz .LBB151_645
; %bb.644:
	s_wait_loadcnt 0x0
	global_load_b32 v1, v[8:9], off
	s_wait_loadcnt 0x0
	v_cvt_f32_f16_e32 v1, v1
.LBB151_645:
	s_mov_b32 s29, 0
.LBB151_646:
	s_delay_alu instid0(SALU_CYCLE_1)
	s_and_not1_b32 vcc_lo, exec_lo, s29
	s_cbranch_vccnz .LBB151_657
; %bb.647:
	s_cmp_lt_i32 s0, 6
	s_cbranch_scc1 .LBB151_650
; %bb.648:
	s_cmp_gt_i32 s0, 6
	s_cbranch_scc0 .LBB151_651
; %bb.649:
	global_load_b64 v[10:11], v[8:9], off
	s_mov_b32 s29, 0
	s_wait_loadcnt 0x0
	v_cvt_f32_f64_e32 v1, v[10:11]
	s_branch .LBB151_652
.LBB151_650:
	s_mov_b32 s29, -1
                                        ; implicit-def: $vgpr1
	s_branch .LBB151_655
.LBB151_651:
	s_mov_b32 s29, -1
                                        ; implicit-def: $vgpr1
.LBB151_652:
	s_delay_alu instid0(SALU_CYCLE_1)
	s_and_not1_b32 vcc_lo, exec_lo, s29
	s_cbranch_vccnz .LBB151_654
; %bb.653:
	s_wait_loadcnt 0x0
	global_load_b32 v1, v[8:9], off
.LBB151_654:
	s_mov_b32 s29, 0
.LBB151_655:
	s_delay_alu instid0(SALU_CYCLE_1)
	s_and_not1_b32 vcc_lo, exec_lo, s29
	s_cbranch_vccnz .LBB151_657
; %bb.656:
	s_wait_loadcnt 0x0
	global_load_u16 v1, v[8:9], off
	s_wait_loadcnt 0x0
	v_cvt_f32_f16_e32 v1, v1
.LBB151_657:
	s_mov_b32 s29, 0
.LBB151_658:
	s_delay_alu instid0(SALU_CYCLE_1)
	s_and_not1_b32 vcc_lo, exec_lo, s29
	s_cbranch_vccnz .LBB151_678
; %bb.659:
	s_cmp_lt_i32 s0, 2
	s_cbranch_scc1 .LBB151_663
; %bb.660:
	s_cmp_lt_i32 s0, 3
	s_cbranch_scc1 .LBB151_664
; %bb.661:
	s_cmp_gt_i32 s0, 3
	s_cbranch_scc0 .LBB151_665
; %bb.662:
	global_load_b64 v[10:11], v[8:9], off
	s_mov_b32 s29, 0
	s_wait_loadcnt 0x0
	v_xor_b32_e32 v1, v10, v11
	v_cls_i32_e32 v3, v11
	s_delay_alu instid0(VALU_DEP_2) | instskip(NEXT) | instid1(VALU_DEP_1)
	v_ashrrev_i32_e32 v1, 31, v1
	v_add_nc_u32_e32 v1, 32, v1
	s_delay_alu instid0(VALU_DEP_1) | instskip(NEXT) | instid1(VALU_DEP_1)
	v_add_min_u32_e64 v1, v3, -1, v1
	v_lshlrev_b64_e32 v[10:11], v1, v[10:11]
	v_sub_nc_u32_e32 v1, 32, v1
	s_delay_alu instid0(VALU_DEP_2) | instskip(NEXT) | instid1(VALU_DEP_1)
	v_min_u32_e32 v3, 1, v10
	v_or_b32_e32 v3, v11, v3
	s_delay_alu instid0(VALU_DEP_1) | instskip(NEXT) | instid1(VALU_DEP_1)
	v_cvt_f32_i32_e32 v3, v3
	v_ldexp_f32 v1, v3, v1
	s_branch .LBB151_666
.LBB151_663:
	s_mov_b32 s29, -1
                                        ; implicit-def: $vgpr1
	s_branch .LBB151_672
.LBB151_664:
	s_mov_b32 s29, -1
                                        ; implicit-def: $vgpr1
	s_branch .LBB151_669
.LBB151_665:
	s_mov_b32 s29, -1
                                        ; implicit-def: $vgpr1
.LBB151_666:
	s_delay_alu instid0(SALU_CYCLE_1)
	s_and_not1_b32 vcc_lo, exec_lo, s29
	s_cbranch_vccnz .LBB151_668
; %bb.667:
	s_wait_loadcnt 0x0
	global_load_b32 v1, v[8:9], off
	s_wait_loadcnt 0x0
	v_cvt_f32_i32_e32 v1, v1
.LBB151_668:
	s_mov_b32 s29, 0
.LBB151_669:
	s_delay_alu instid0(SALU_CYCLE_1)
	s_and_not1_b32 vcc_lo, exec_lo, s29
	s_cbranch_vccnz .LBB151_671
; %bb.670:
	s_wait_loadcnt 0x0
	global_load_i16 v1, v[8:9], off
	s_wait_loadcnt 0x0
	v_cvt_f32_i32_e32 v1, v1
.LBB151_671:
	s_mov_b32 s29, 0
.LBB151_672:
	s_delay_alu instid0(SALU_CYCLE_1)
	s_and_not1_b32 vcc_lo, exec_lo, s29
	s_cbranch_vccnz .LBB151_678
; %bb.673:
	s_cmp_gt_i32 s0, 0
	s_mov_b32 s0, 0
	s_cbranch_scc0 .LBB151_675
; %bb.674:
	s_wait_loadcnt 0x0
	global_load_i8 v1, v[8:9], off
	s_wait_loadcnt 0x0
	v_cvt_f32_i32_e32 v1, v1
	s_branch .LBB151_676
.LBB151_675:
	s_mov_b32 s0, -1
                                        ; implicit-def: $vgpr1
.LBB151_676:
	s_delay_alu instid0(SALU_CYCLE_1)
	s_and_not1_b32 vcc_lo, exec_lo, s0
	s_cbranch_vccnz .LBB151_678
; %bb.677:
	s_wait_loadcnt 0x0
	global_load_u8 v1, v[8:9], off
	s_wait_loadcnt 0x0
	v_cvt_f32_ubyte0_e32 v1, v1
.LBB151_678:
	s_branch .LBB151_548
.LBB151_679:
	s_mov_b32 s31, 0
	s_mov_b32 s0, s43
	;; [unrolled: 1-line block ×4, first 2 shown]
	s_branch .LBB151_1055
.LBB151_680:
	s_and_not1_saveexec_b32 s48, s48
	s_cbranch_execz .LBB151_432
.LBB151_681:
	v_add_f32_e64 v1, 0x46000000, |v4|
	s_and_not1_b32 s47, s47, exec_lo
	s_delay_alu instid0(VALU_DEP_1) | instskip(NEXT) | instid1(VALU_DEP_1)
	v_and_b32_e32 v1, 0xff, v1
	v_cmp_ne_u32_e32 vcc_lo, 0, v1
	s_and_b32 s50, vcc_lo, exec_lo
	s_delay_alu instid0(SALU_CYCLE_1)
	s_or_b32 s47, s47, s50
	s_or_b32 exec_lo, exec_lo, s48
	v_mov_b32_e32 v5, 0
	s_and_saveexec_b32 s48, s47
	s_cbranch_execnz .LBB151_433
	s_branch .LBB151_434
.LBB151_682:
	s_mov_b32 s29, -1
	s_mov_b32 s31, 0
.LBB151_683:
                                        ; implicit-def: $vgpr8
.LBB151_684:
	s_and_b32 vcc_lo, exec_lo, s50
	s_cbranch_vccz .LBB151_688
; %bb.685:
	s_cmp_eq_u32 s30, 44
	s_cbranch_scc0 .LBB151_687
; %bb.686:
	global_load_u8 v3, v[6:7], off
	s_mov_b32 s29, 0
	s_mov_b32 s31, -1
	s_wait_loadcnt 0x0
	v_lshlrev_b32_e32 v5, 23, v3
	v_cmp_ne_u32_e32 vcc_lo, 0xff, v3
	s_delay_alu instid0(VALU_DEP_2) | instskip(SKIP_2) | instid1(VALU_DEP_2)
	v_cndmask_b32_e32 v5, 0x7f800001, v5, vcc_lo
	v_cmp_ne_u32_e32 vcc_lo, 0, v3
	s_wait_xcnt 0x1
	v_cndmask_b32_e32 v8, 0x400000, v5, vcc_lo
	s_branch .LBB151_688
.LBB151_687:
	s_mov_b32 s29, -1
                                        ; implicit-def: $vgpr8
.LBB151_688:
	s_mov_b32 s50, 0
.LBB151_689:
	s_delay_alu instid0(SALU_CYCLE_1)
	s_and_b32 vcc_lo, exec_lo, s50
	s_cbranch_vccz .LBB151_693
; %bb.690:
	s_cmp_eq_u32 s30, 29
	s_cbranch_scc0 .LBB151_692
; %bb.691:
	global_load_b64 v[8:9], v[6:7], off
	s_mov_b32 s31, -1
	s_mov_b32 s29, 0
	s_mov_b32 s50, 0
	s_wait_loadcnt 0x0
	v_clz_i32_u32_e32 v3, v9
	s_delay_alu instid0(VALU_DEP_1) | instskip(NEXT) | instid1(VALU_DEP_1)
	v_min_u32_e32 v3, 32, v3
	v_lshlrev_b64_e32 v[8:9], v3, v[8:9]
	v_sub_nc_u32_e32 v3, 32, v3
	s_delay_alu instid0(VALU_DEP_2) | instskip(NEXT) | instid1(VALU_DEP_1)
	v_min_u32_e32 v5, 1, v8
	v_or_b32_e32 v5, v9, v5
	s_delay_alu instid0(VALU_DEP_1) | instskip(NEXT) | instid1(VALU_DEP_1)
	v_cvt_f32_u32_e32 v5, v5
	v_ldexp_f32 v8, v5, v3
	s_branch .LBB151_694
.LBB151_692:
	s_mov_b32 s29, -1
                                        ; implicit-def: $vgpr8
.LBB151_693:
	s_mov_b32 s50, 0
.LBB151_694:
	s_delay_alu instid0(SALU_CYCLE_1)
	s_and_b32 vcc_lo, exec_lo, s50
	s_cbranch_vccz .LBB151_712
; %bb.695:
	s_cmp_lt_i32 s30, 27
	s_cbranch_scc1 .LBB151_698
; %bb.696:
	s_cmp_gt_i32 s30, 27
	s_cbranch_scc0 .LBB151_699
; %bb.697:
	global_load_b32 v3, v[6:7], off
	s_mov_b32 s31, 0
	s_wait_loadcnt 0x0
	s_wait_xcnt 0x1
	v_cvt_f32_u32_e32 v8, v3
	s_branch .LBB151_700
.LBB151_698:
	s_mov_b32 s31, -1
                                        ; implicit-def: $vgpr8
	s_branch .LBB151_703
.LBB151_699:
	s_mov_b32 s31, -1
                                        ; implicit-def: $vgpr8
.LBB151_700:
	s_delay_alu instid0(SALU_CYCLE_1)
	s_and_not1_b32 vcc_lo, exec_lo, s31
	s_cbranch_vccnz .LBB151_702
; %bb.701:
	global_load_u16 v3, v[6:7], off
	s_wait_loadcnt 0x0
	s_wait_xcnt 0x1
	v_cvt_f32_u32_e32 v8, v3
.LBB151_702:
	s_mov_b32 s31, 0
.LBB151_703:
	s_delay_alu instid0(SALU_CYCLE_1)
	s_and_not1_b32 vcc_lo, exec_lo, s31
	s_cbranch_vccnz .LBB151_711
; %bb.704:
	global_load_u8 v3, v[6:7], off
	s_mov_b32 s31, 0
	s_mov_b32 s50, exec_lo
	s_wait_loadcnt 0x0
	v_cmpx_lt_i16_e32 0x7f, v3
	s_xor_b32 s50, exec_lo, s50
	s_cbranch_execz .LBB151_725
; %bb.705:
	s_mov_b32 s31, -1
	s_mov_b32 s51, exec_lo
	v_cmpx_eq_u16_e32 0x80, v3
; %bb.706:
	s_xor_b32 s31, exec_lo, -1
; %bb.707:
	s_or_b32 exec_lo, exec_lo, s51
	s_delay_alu instid0(SALU_CYCLE_1)
	s_and_b32 s31, s31, exec_lo
	s_or_saveexec_b32 s50, s50
	v_mov_b32_e32 v8, 0x7f800001
	s_xor_b32 exec_lo, exec_lo, s50
	s_cbranch_execnz .LBB151_726
.LBB151_708:
	s_or_b32 exec_lo, exec_lo, s50
	s_and_saveexec_b32 s50, s31
	s_cbranch_execz .LBB151_710
.LBB151_709:
	v_and_b32_e32 v5, 0xffff, v3
	s_delay_alu instid0(VALU_DEP_1) | instskip(SKIP_1) | instid1(VALU_DEP_2)
	v_dual_lshlrev_b32 v3, 24, v3 :: v_dual_bitop2_b32 v8, 7, v5 bitop3:0x40
	v_bfe_u32 v11, v5, 3, 4
	v_and_b32_e32 v3, 0x80000000, v3
	s_delay_alu instid0(VALU_DEP_3) | instskip(NEXT) | instid1(VALU_DEP_3)
	v_clz_i32_u32_e32 v9, v8
	v_cmp_eq_u32_e32 vcc_lo, 0, v11
	s_delay_alu instid0(VALU_DEP_2) | instskip(NEXT) | instid1(VALU_DEP_1)
	v_min_u32_e32 v9, 32, v9
	v_subrev_nc_u32_e32 v10, 28, v9
	v_sub_nc_u32_e32 v9, 29, v9
	s_delay_alu instid0(VALU_DEP_2) | instskip(NEXT) | instid1(VALU_DEP_2)
	v_lshlrev_b32_e32 v5, v10, v5
	v_cndmask_b32_e32 v9, v11, v9, vcc_lo
	s_delay_alu instid0(VALU_DEP_2) | instskip(NEXT) | instid1(VALU_DEP_1)
	v_and_b32_e32 v5, 7, v5
	v_cndmask_b32_e32 v5, v8, v5, vcc_lo
	s_delay_alu instid0(VALU_DEP_3) | instskip(NEXT) | instid1(VALU_DEP_2)
	v_lshl_add_u32 v8, v9, 23, 0x3b800000
	v_lshlrev_b32_e32 v5, 20, v5
	s_delay_alu instid0(VALU_DEP_1)
	v_or3_b32 v8, v3, v8, v5
.LBB151_710:
	s_or_b32 exec_lo, exec_lo, s50
.LBB151_711:
	s_mov_b32 s31, -1
.LBB151_712:
	s_mov_b32 s50, 0
.LBB151_713:
	s_delay_alu instid0(SALU_CYCLE_1)
	s_and_b32 vcc_lo, exec_lo, s50
	s_cbranch_vccz .LBB151_748
; %bb.714:
	s_cmp_gt_i32 s30, 22
	s_cbranch_scc0 .LBB151_724
; %bb.715:
	s_cmp_lt_i32 s30, 24
	s_cbranch_scc1 .LBB151_727
; %bb.716:
	s_cmp_gt_i32 s30, 24
	s_cbranch_scc0 .LBB151_728
; %bb.717:
	global_load_u8 v3, v[6:7], off
	s_mov_b32 s31, 0
	s_mov_b32 s50, exec_lo
	s_wait_loadcnt 0x0
	v_cmpx_lt_i16_e32 0x7f, v3
	s_xor_b32 s50, exec_lo, s50
	s_cbranch_execz .LBB151_740
; %bb.718:
	s_mov_b32 s31, -1
	s_mov_b32 s51, exec_lo
	v_cmpx_eq_u16_e32 0x80, v3
; %bb.719:
	s_xor_b32 s31, exec_lo, -1
; %bb.720:
	s_or_b32 exec_lo, exec_lo, s51
	s_delay_alu instid0(SALU_CYCLE_1)
	s_and_b32 s31, s31, exec_lo
	s_or_saveexec_b32 s50, s50
	v_mov_b32_e32 v8, 0x7f800001
	s_xor_b32 exec_lo, exec_lo, s50
	s_cbranch_execnz .LBB151_741
.LBB151_721:
	s_or_b32 exec_lo, exec_lo, s50
	s_and_saveexec_b32 s50, s31
	s_cbranch_execz .LBB151_723
.LBB151_722:
	v_and_b32_e32 v5, 0xffff, v3
	s_delay_alu instid0(VALU_DEP_1) | instskip(SKIP_1) | instid1(VALU_DEP_2)
	v_dual_lshlrev_b32 v3, 24, v3 :: v_dual_bitop2_b32 v8, 3, v5 bitop3:0x40
	v_bfe_u32 v11, v5, 2, 5
	v_and_b32_e32 v3, 0x80000000, v3
	s_delay_alu instid0(VALU_DEP_3) | instskip(NEXT) | instid1(VALU_DEP_3)
	v_clz_i32_u32_e32 v9, v8
	v_cmp_eq_u32_e32 vcc_lo, 0, v11
	s_delay_alu instid0(VALU_DEP_2) | instskip(NEXT) | instid1(VALU_DEP_1)
	v_min_u32_e32 v9, 32, v9
	v_subrev_nc_u32_e32 v10, 29, v9
	v_sub_nc_u32_e32 v9, 30, v9
	s_delay_alu instid0(VALU_DEP_2) | instskip(NEXT) | instid1(VALU_DEP_2)
	v_lshlrev_b32_e32 v5, v10, v5
	v_cndmask_b32_e32 v9, v11, v9, vcc_lo
	s_delay_alu instid0(VALU_DEP_2) | instskip(NEXT) | instid1(VALU_DEP_1)
	v_and_b32_e32 v5, 3, v5
	v_cndmask_b32_e32 v5, v8, v5, vcc_lo
	s_delay_alu instid0(VALU_DEP_3) | instskip(NEXT) | instid1(VALU_DEP_2)
	v_lshl_add_u32 v8, v9, 23, 0x37800000
	v_lshlrev_b32_e32 v5, 21, v5
	s_delay_alu instid0(VALU_DEP_1)
	v_or3_b32 v8, v3, v8, v5
.LBB151_723:
	s_or_b32 exec_lo, exec_lo, s50
	s_mov_b32 s31, 0
	s_branch .LBB151_729
.LBB151_724:
	s_mov_b32 s50, -1
                                        ; implicit-def: $vgpr8
	s_branch .LBB151_735
.LBB151_725:
	s_or_saveexec_b32 s50, s50
	v_mov_b32_e32 v8, 0x7f800001
	s_xor_b32 exec_lo, exec_lo, s50
	s_cbranch_execz .LBB151_708
.LBB151_726:
	v_cmp_ne_u16_e32 vcc_lo, 0, v3
	v_mov_b32_e32 v8, 0
	s_and_not1_b32 s31, s31, exec_lo
	s_and_b32 s51, vcc_lo, exec_lo
	s_delay_alu instid0(SALU_CYCLE_1)
	s_or_b32 s31, s31, s51
	s_or_b32 exec_lo, exec_lo, s50
	s_and_saveexec_b32 s50, s31
	s_cbranch_execnz .LBB151_709
	s_branch .LBB151_710
.LBB151_727:
	s_mov_b32 s31, -1
                                        ; implicit-def: $vgpr8
	s_branch .LBB151_732
.LBB151_728:
	s_mov_b32 s31, -1
                                        ; implicit-def: $vgpr8
.LBB151_729:
	s_delay_alu instid0(SALU_CYCLE_1)
	s_and_b32 vcc_lo, exec_lo, s31
	s_cbranch_vccz .LBB151_731
; %bb.730:
	global_load_u8 v3, v[6:7], off
	s_wait_loadcnt 0x0
	v_lshlrev_b32_e32 v3, 24, v3
	s_delay_alu instid0(VALU_DEP_1) | instskip(SKIP_1) | instid1(VALU_DEP_1)
	v_and_b32_e32 v5, 0x7f000000, v3
	s_wait_xcnt 0x1
	v_clz_i32_u32_e32 v8, v5
	v_cmp_ne_u32_e32 vcc_lo, 0, v5
	v_add_nc_u32_e32 v10, 0x1000000, v5
	s_delay_alu instid0(VALU_DEP_3) | instskip(NEXT) | instid1(VALU_DEP_1)
	v_min_u32_e32 v8, 32, v8
	v_sub_nc_u32_e64 v8, v8, 4 clamp
	s_delay_alu instid0(VALU_DEP_1) | instskip(NEXT) | instid1(VALU_DEP_1)
	v_dual_lshlrev_b32 v9, v8, v5 :: v_dual_lshlrev_b32 v8, 23, v8
	v_lshrrev_b32_e32 v9, 4, v9
	s_delay_alu instid0(VALU_DEP_1) | instskip(NEXT) | instid1(VALU_DEP_1)
	v_dual_sub_nc_u32 v8, v9, v8 :: v_dual_ashrrev_i32 v9, 8, v10
	v_add_nc_u32_e32 v8, 0x3c000000, v8
	s_delay_alu instid0(VALU_DEP_1) | instskip(NEXT) | instid1(VALU_DEP_1)
	v_and_or_b32 v8, 0x7f800000, v9, v8
	v_cndmask_b32_e32 v5, 0, v8, vcc_lo
	s_delay_alu instid0(VALU_DEP_1)
	v_and_or_b32 v8, 0x80000000, v3, v5
.LBB151_731:
	s_mov_b32 s31, 0
.LBB151_732:
	s_delay_alu instid0(SALU_CYCLE_1)
	s_and_not1_b32 vcc_lo, exec_lo, s31
	s_cbranch_vccnz .LBB151_734
; %bb.733:
	global_load_u8 v3, v[6:7], off
	s_wait_loadcnt 0x0
	v_lshlrev_b32_e32 v5, 25, v3
	v_lshlrev_b16 v3, 8, v3
	s_wait_xcnt 0x1
	s_delay_alu instid0(VALU_DEP_1) | instskip(SKIP_1) | instid1(VALU_DEP_2)
	v_and_or_b32 v9, 0x7f00, v3, 0.5
	v_bfe_i32 v3, v3, 0, 16
	v_add_f32_e32 v9, -0.5, v9
	v_lshrrev_b32_e32 v8, 4, v5
	v_cmp_gt_u32_e32 vcc_lo, 0x8000000, v5
	s_delay_alu instid0(VALU_DEP_2) | instskip(NEXT) | instid1(VALU_DEP_1)
	v_or_b32_e32 v8, 0x70000000, v8
	v_mul_f32_e32 v8, 0x7800000, v8
	s_delay_alu instid0(VALU_DEP_1) | instskip(NEXT) | instid1(VALU_DEP_1)
	v_cndmask_b32_e32 v5, v8, v9, vcc_lo
	v_and_or_b32 v8, 0x80000000, v3, v5
.LBB151_734:
	s_mov_b32 s50, 0
	s_mov_b32 s31, -1
.LBB151_735:
	s_and_not1_b32 vcc_lo, exec_lo, s50
	s_cbranch_vccnz .LBB151_748
; %bb.736:
	s_cmp_gt_i32 s30, 14
	s_cbranch_scc0 .LBB151_739
; %bb.737:
	s_cmp_eq_u32 s30, 15
	s_cbranch_scc0 .LBB151_742
; %bb.738:
	global_load_u16 v3, v[6:7], off
	s_mov_b32 s31, -1
	s_mov_b32 s29, 0
	s_wait_loadcnt 0x0
	s_wait_xcnt 0x1
	v_lshlrev_b32_e32 v8, 16, v3
	s_branch .LBB151_743
.LBB151_739:
	s_mov_b32 s50, -1
                                        ; implicit-def: $vgpr8
	s_branch .LBB151_744
.LBB151_740:
	s_or_saveexec_b32 s50, s50
	v_mov_b32_e32 v8, 0x7f800001
	s_xor_b32 exec_lo, exec_lo, s50
	s_cbranch_execz .LBB151_721
.LBB151_741:
	v_cmp_ne_u16_e32 vcc_lo, 0, v3
	v_mov_b32_e32 v8, 0
	s_and_not1_b32 s31, s31, exec_lo
	s_and_b32 s51, vcc_lo, exec_lo
	s_delay_alu instid0(SALU_CYCLE_1)
	s_or_b32 s31, s31, s51
	s_or_b32 exec_lo, exec_lo, s50
	s_and_saveexec_b32 s50, s31
	s_cbranch_execnz .LBB151_722
	s_branch .LBB151_723
.LBB151_742:
	s_mov_b32 s29, -1
                                        ; implicit-def: $vgpr8
.LBB151_743:
	s_mov_b32 s50, 0
.LBB151_744:
	s_delay_alu instid0(SALU_CYCLE_1)
	s_and_b32 vcc_lo, exec_lo, s50
	s_cbranch_vccz .LBB151_748
; %bb.745:
	s_cmp_eq_u32 s30, 11
	s_cbranch_scc0 .LBB151_747
; %bb.746:
	global_load_u8 v3, v[6:7], off
	s_mov_b32 s29, 0
	s_mov_b32 s31, -1
	s_wait_loadcnt 0x0
	v_cmp_ne_u16_e32 vcc_lo, 0, v3
	s_wait_xcnt 0x1
	v_cndmask_b32_e64 v8, 0, 1.0, vcc_lo
	s_branch .LBB151_748
.LBB151_747:
	s_mov_b32 s29, -1
                                        ; implicit-def: $vgpr8
.LBB151_748:
	s_mov_b32 s30, 0
.LBB151_749:
	s_delay_alu instid0(SALU_CYCLE_1)
	s_and_b32 vcc_lo, exec_lo, s30
	s_cbranch_vccz .LBB151_798
; %bb.750:
	s_and_b32 s0, 0xffff, s0
	s_delay_alu instid0(SALU_CYCLE_1)
	s_cmp_lt_i32 s0, 5
	s_cbranch_scc1 .LBB151_755
; %bb.751:
	s_cmp_lt_i32 s0, 8
	s_cbranch_scc1 .LBB151_756
; %bb.752:
	;; [unrolled: 3-line block ×3, first 2 shown]
	s_cmp_gt_i32 s0, 9
	s_cbranch_scc0 .LBB151_758
; %bb.754:
	global_load_b64 v[8:9], v[6:7], off
	s_mov_b32 s30, 0
	s_wait_loadcnt 0x0
	v_cvt_f32_f64_e32 v8, v[8:9]
	s_branch .LBB151_759
.LBB151_755:
	s_mov_b32 s30, -1
                                        ; implicit-def: $vgpr8
	s_branch .LBB151_777
.LBB151_756:
	s_mov_b32 s30, -1
                                        ; implicit-def: $vgpr8
	s_branch .LBB151_765
.LBB151_757:
	s_mov_b32 s30, -1
                                        ; implicit-def: $vgpr8
	s_branch .LBB151_762
.LBB151_758:
	s_mov_b32 s30, -1
                                        ; implicit-def: $vgpr8
.LBB151_759:
	s_delay_alu instid0(SALU_CYCLE_1)
	s_and_not1_b32 vcc_lo, exec_lo, s30
	s_cbranch_vccnz .LBB151_761
; %bb.760:
	global_load_b32 v8, v[6:7], off
.LBB151_761:
	s_mov_b32 s30, 0
.LBB151_762:
	s_delay_alu instid0(SALU_CYCLE_1)
	s_and_not1_b32 vcc_lo, exec_lo, s30
	s_cbranch_vccnz .LBB151_764
; %bb.763:
	global_load_b32 v3, v[6:7], off
	s_wait_loadcnt 0x0
	s_wait_xcnt 0x1
	v_cvt_f32_f16_e32 v8, v3
.LBB151_764:
	s_mov_b32 s30, 0
.LBB151_765:
	s_delay_alu instid0(SALU_CYCLE_1)
	s_and_not1_b32 vcc_lo, exec_lo, s30
	s_cbranch_vccnz .LBB151_776
; %bb.766:
	s_cmp_lt_i32 s0, 6
	s_cbranch_scc1 .LBB151_769
; %bb.767:
	s_cmp_gt_i32 s0, 6
	s_cbranch_scc0 .LBB151_770
; %bb.768:
	s_wait_loadcnt 0x0
	global_load_b64 v[8:9], v[6:7], off
	s_mov_b32 s30, 0
	s_wait_loadcnt 0x0
	v_cvt_f32_f64_e32 v8, v[8:9]
	s_branch .LBB151_771
.LBB151_769:
	s_mov_b32 s30, -1
                                        ; implicit-def: $vgpr8
	s_branch .LBB151_774
.LBB151_770:
	s_mov_b32 s30, -1
                                        ; implicit-def: $vgpr8
.LBB151_771:
	s_delay_alu instid0(SALU_CYCLE_1)
	s_and_not1_b32 vcc_lo, exec_lo, s30
	s_cbranch_vccnz .LBB151_773
; %bb.772:
	s_wait_loadcnt 0x0
	global_load_b32 v8, v[6:7], off
.LBB151_773:
	s_mov_b32 s30, 0
.LBB151_774:
	s_delay_alu instid0(SALU_CYCLE_1)
	s_and_not1_b32 vcc_lo, exec_lo, s30
	s_cbranch_vccnz .LBB151_776
; %bb.775:
	global_load_u16 v3, v[6:7], off
	s_wait_loadcnt 0x0
	s_wait_xcnt 0x1
	v_cvt_f32_f16_e32 v8, v3
.LBB151_776:
	s_mov_b32 s30, 0
.LBB151_777:
	s_delay_alu instid0(SALU_CYCLE_1)
	s_and_not1_b32 vcc_lo, exec_lo, s30
	s_cbranch_vccnz .LBB151_797
; %bb.778:
	s_cmp_lt_i32 s0, 2
	s_cbranch_scc1 .LBB151_782
; %bb.779:
	s_cmp_lt_i32 s0, 3
	s_cbranch_scc1 .LBB151_783
; %bb.780:
	s_cmp_gt_i32 s0, 3
	s_cbranch_scc0 .LBB151_784
; %bb.781:
	s_wait_loadcnt 0x0
	global_load_b64 v[8:9], v[6:7], off
	s_mov_b32 s30, 0
	s_wait_loadcnt 0x0
	v_xor_b32_e32 v3, v8, v9
	v_cls_i32_e32 v5, v9
	s_delay_alu instid0(VALU_DEP_2) | instskip(NEXT) | instid1(VALU_DEP_1)
	v_ashrrev_i32_e32 v3, 31, v3
	v_add_nc_u32_e32 v3, 32, v3
	s_delay_alu instid0(VALU_DEP_1) | instskip(NEXT) | instid1(VALU_DEP_1)
	v_add_min_u32_e64 v3, v5, -1, v3
	v_lshlrev_b64_e32 v[8:9], v3, v[8:9]
	v_sub_nc_u32_e32 v3, 32, v3
	s_delay_alu instid0(VALU_DEP_2) | instskip(NEXT) | instid1(VALU_DEP_1)
	v_min_u32_e32 v5, 1, v8
	v_or_b32_e32 v5, v9, v5
	s_delay_alu instid0(VALU_DEP_1) | instskip(NEXT) | instid1(VALU_DEP_1)
	v_cvt_f32_i32_e32 v5, v5
	v_ldexp_f32 v8, v5, v3
	s_branch .LBB151_785
.LBB151_782:
	s_mov_b32 s30, -1
                                        ; implicit-def: $vgpr8
	s_branch .LBB151_791
.LBB151_783:
	s_mov_b32 s30, -1
                                        ; implicit-def: $vgpr8
	s_branch .LBB151_788
.LBB151_784:
	s_mov_b32 s30, -1
                                        ; implicit-def: $vgpr8
.LBB151_785:
	s_delay_alu instid0(SALU_CYCLE_1)
	s_and_not1_b32 vcc_lo, exec_lo, s30
	s_cbranch_vccnz .LBB151_787
; %bb.786:
	global_load_b32 v3, v[6:7], off
	s_wait_loadcnt 0x0
	s_wait_xcnt 0x1
	v_cvt_f32_i32_e32 v8, v3
.LBB151_787:
	s_mov_b32 s30, 0
.LBB151_788:
	s_delay_alu instid0(SALU_CYCLE_1)
	s_and_not1_b32 vcc_lo, exec_lo, s30
	s_cbranch_vccnz .LBB151_790
; %bb.789:
	global_load_i16 v3, v[6:7], off
	s_wait_loadcnt 0x0
	s_wait_xcnt 0x1
	v_cvt_f32_i32_e32 v8, v3
.LBB151_790:
	s_mov_b32 s30, 0
.LBB151_791:
	s_delay_alu instid0(SALU_CYCLE_1)
	s_and_not1_b32 vcc_lo, exec_lo, s30
	s_cbranch_vccnz .LBB151_797
; %bb.792:
	s_cmp_gt_i32 s0, 0
	s_mov_b32 s0, 0
	s_cbranch_scc0 .LBB151_794
; %bb.793:
	global_load_i8 v3, v[6:7], off
	s_wait_loadcnt 0x0
	s_wait_xcnt 0x1
	v_cvt_f32_i32_e32 v8, v3
	s_branch .LBB151_795
.LBB151_794:
	s_mov_b32 s0, -1
                                        ; implicit-def: $vgpr8
.LBB151_795:
	s_delay_alu instid0(SALU_CYCLE_1)
	s_and_not1_b32 vcc_lo, exec_lo, s0
	s_cbranch_vccnz .LBB151_797
; %bb.796:
	global_load_u8 v3, v[6:7], off
	s_wait_loadcnt 0x0
	s_wait_xcnt 0x1
	v_cvt_f32_ubyte0_e32 v8, v3
.LBB151_797:
	s_mov_b32 s31, -1
.LBB151_798:
	s_delay_alu instid0(SALU_CYCLE_1)
	s_and_not1_b32 vcc_lo, exec_lo, s31
	s_cbranch_vccnz .LBB151_806
; %bb.799:
	v_mov_b32_e32 v5, 0
	s_and_b32 s0, 0xffff, s21
	s_delay_alu instid0(SALU_CYCLE_1) | instskip(NEXT) | instid1(VALU_DEP_1)
	s_cmp_lt_i32 s0, 11
	v_add_nc_u64_e32 v[4:5], s[10:11], v[4:5]
	s_cbranch_scc1 .LBB151_807
; %bb.800:
	s_cmp_gt_i32 s0, 25
	s_cbranch_scc0 .LBB151_808
; %bb.801:
	s_cmp_gt_i32 s0, 28
	s_cbranch_scc0 .LBB151_809
	;; [unrolled: 3-line block ×4, first 2 shown]
; %bb.804:
	s_cmp_eq_u32 s0, 46
	s_mov_b32 s50, 0
	s_cbranch_scc0 .LBB151_814
; %bb.805:
	global_load_b32 v3, v[4:5], off
	s_mov_b32 s31, -1
	s_mov_b32 s30, 0
	s_wait_loadcnt 0x0
	v_lshlrev_b32_e32 v3, 16, v3
	s_branch .LBB151_816
.LBB151_806:
	s_mov_b32 s31, 0
	s_mov_b32 s0, s43
	;; [unrolled: 1-line block ×3, first 2 shown]
	s_branch .LBB151_1055
.LBB151_807:
	s_mov_b32 s50, -1
	s_mov_b32 s31, 0
	s_mov_b32 s30, s46
                                        ; implicit-def: $vgpr3
	s_branch .LBB151_881
.LBB151_808:
	s_mov_b32 s50, -1
	s_mov_b32 s31, 0
	s_mov_b32 s30, s46
                                        ; implicit-def: $vgpr3
	s_branch .LBB151_845
.LBB151_809:
	s_mov_b32 s50, -1
	s_mov_b32 s31, 0
	s_mov_b32 s30, s46
                                        ; implicit-def: $vgpr3
	s_branch .LBB151_826
.LBB151_810:
	s_mov_b32 s50, -1
	s_mov_b32 s31, 0
	s_mov_b32 s30, s46
                                        ; implicit-def: $vgpr3
	s_branch .LBB151_821
.LBB151_811:
	s_mov_b32 s50, -1
	s_mov_b32 s31, 0
	s_mov_b32 s30, s46
	s_branch .LBB151_815
.LBB151_812:
	s_and_not1_saveexec_b32 s48, s48
	s_cbranch_execz .LBB151_445
.LBB151_813:
	v_add_f32_e64 v1, 0x42800000, |v4|
	s_and_not1_b32 s47, s47, exec_lo
	s_delay_alu instid0(VALU_DEP_1) | instskip(NEXT) | instid1(VALU_DEP_1)
	v_and_b32_e32 v1, 0xff, v1
	v_cmp_ne_u32_e32 vcc_lo, 0, v1
	s_and_b32 s50, vcc_lo, exec_lo
	s_delay_alu instid0(SALU_CYCLE_1)
	s_or_b32 s47, s47, s50
	s_or_b32 exec_lo, exec_lo, s48
	v_mov_b32_e32 v5, 0
	s_and_saveexec_b32 s48, s47
	s_cbranch_execnz .LBB151_446
	s_branch .LBB151_447
.LBB151_814:
	s_mov_b32 s30, -1
	s_mov_b32 s31, 0
.LBB151_815:
                                        ; implicit-def: $vgpr3
.LBB151_816:
	s_and_b32 vcc_lo, exec_lo, s50
	s_cbranch_vccz .LBB151_820
; %bb.817:
	s_cmp_eq_u32 s0, 44
	s_cbranch_scc0 .LBB151_819
; %bb.818:
	global_load_u8 v3, v[4:5], off
	s_mov_b32 s30, 0
	s_mov_b32 s31, -1
	s_wait_loadcnt 0x0
	s_wait_xcnt 0x1
	v_lshlrev_b32_e32 v6, 23, v3
	v_cmp_ne_u32_e32 vcc_lo, 0xff, v3
	s_delay_alu instid0(VALU_DEP_2) | instskip(SKIP_1) | instid1(VALU_DEP_2)
	v_cndmask_b32_e32 v6, 0x7f800001, v6, vcc_lo
	v_cmp_ne_u32_e32 vcc_lo, 0, v3
	v_cndmask_b32_e32 v3, 0x400000, v6, vcc_lo
	s_branch .LBB151_820
.LBB151_819:
	s_mov_b32 s30, -1
                                        ; implicit-def: $vgpr3
.LBB151_820:
	s_mov_b32 s50, 0
.LBB151_821:
	s_delay_alu instid0(SALU_CYCLE_1)
	s_and_b32 vcc_lo, exec_lo, s50
	s_cbranch_vccz .LBB151_825
; %bb.822:
	s_cmp_eq_u32 s0, 29
	s_cbranch_scc0 .LBB151_824
; %bb.823:
	global_load_b64 v[6:7], v[4:5], off
	s_mov_b32 s31, -1
	s_mov_b32 s30, 0
	s_mov_b32 s50, 0
	s_wait_loadcnt 0x0
	v_clz_i32_u32_e32 v3, v7
	s_delay_alu instid0(VALU_DEP_1) | instskip(NEXT) | instid1(VALU_DEP_1)
	v_min_u32_e32 v3, 32, v3
	v_lshlrev_b64_e32 v[6:7], v3, v[6:7]
	v_sub_nc_u32_e32 v3, 32, v3
	s_delay_alu instid0(VALU_DEP_2) | instskip(NEXT) | instid1(VALU_DEP_1)
	v_min_u32_e32 v6, 1, v6
	v_or_b32_e32 v6, v7, v6
	s_delay_alu instid0(VALU_DEP_1) | instskip(NEXT) | instid1(VALU_DEP_1)
	v_cvt_f32_u32_e32 v6, v6
	v_ldexp_f32 v3, v6, v3
	s_branch .LBB151_826
.LBB151_824:
	s_mov_b32 s30, -1
                                        ; implicit-def: $vgpr3
.LBB151_825:
	s_mov_b32 s50, 0
.LBB151_826:
	s_delay_alu instid0(SALU_CYCLE_1)
	s_and_b32 vcc_lo, exec_lo, s50
	s_cbranch_vccz .LBB151_844
; %bb.827:
	s_cmp_lt_i32 s0, 27
	s_cbranch_scc1 .LBB151_830
; %bb.828:
	s_cmp_gt_i32 s0, 27
	s_cbranch_scc0 .LBB151_831
; %bb.829:
	global_load_b32 v3, v[4:5], off
	s_mov_b32 s31, 0
	s_wait_loadcnt 0x0
	v_cvt_f32_u32_e32 v3, v3
	s_branch .LBB151_832
.LBB151_830:
	s_mov_b32 s31, -1
                                        ; implicit-def: $vgpr3
	s_branch .LBB151_835
.LBB151_831:
	s_mov_b32 s31, -1
                                        ; implicit-def: $vgpr3
.LBB151_832:
	s_delay_alu instid0(SALU_CYCLE_1)
	s_and_not1_b32 vcc_lo, exec_lo, s31
	s_cbranch_vccnz .LBB151_834
; %bb.833:
	global_load_u16 v3, v[4:5], off
	s_wait_loadcnt 0x0
	v_cvt_f32_u32_e32 v3, v3
.LBB151_834:
	s_mov_b32 s31, 0
.LBB151_835:
	s_delay_alu instid0(SALU_CYCLE_1)
	s_and_not1_b32 vcc_lo, exec_lo, s31
	s_cbranch_vccnz .LBB151_843
; %bb.836:
	global_load_u8 v6, v[4:5], off
	s_mov_b32 s31, 0
	s_mov_b32 s50, exec_lo
	s_wait_loadcnt 0x0
	v_cmpx_lt_i16_e32 0x7f, v6
	s_xor_b32 s50, exec_lo, s50
	s_cbranch_execz .LBB151_857
; %bb.837:
	s_mov_b32 s31, -1
	s_mov_b32 s51, exec_lo
	v_cmpx_eq_u16_e32 0x80, v6
; %bb.838:
	s_xor_b32 s31, exec_lo, -1
; %bb.839:
	s_or_b32 exec_lo, exec_lo, s51
	s_delay_alu instid0(SALU_CYCLE_1)
	s_and_b32 s31, s31, exec_lo
	s_or_saveexec_b32 s50, s50
	v_mov_b32_e32 v3, 0x7f800001
	s_xor_b32 exec_lo, exec_lo, s50
	s_cbranch_execnz .LBB151_858
.LBB151_840:
	s_or_b32 exec_lo, exec_lo, s50
	s_and_saveexec_b32 s50, s31
	s_cbranch_execz .LBB151_842
.LBB151_841:
	v_and_b32_e32 v3, 0xffff, v6
	s_delay_alu instid0(VALU_DEP_1) | instskip(SKIP_1) | instid1(VALU_DEP_2)
	v_and_b32_e32 v7, 7, v3
	v_bfe_u32 v11, v3, 3, 4
	v_clz_i32_u32_e32 v9, v7
	s_delay_alu instid0(VALU_DEP_2) | instskip(NEXT) | instid1(VALU_DEP_2)
	v_cmp_eq_u32_e32 vcc_lo, 0, v11
	v_min_u32_e32 v9, 32, v9
	s_delay_alu instid0(VALU_DEP_1) | instskip(NEXT) | instid1(VALU_DEP_1)
	v_subrev_nc_u32_e32 v10, 28, v9
	v_dual_lshlrev_b32 v3, v10, v3 :: v_dual_sub_nc_u32 v9, 29, v9
	s_delay_alu instid0(VALU_DEP_1) | instskip(NEXT) | instid1(VALU_DEP_2)
	v_dual_lshlrev_b32 v6, 24, v6 :: v_dual_bitop2_b32 v3, 7, v3 bitop3:0x40
	v_cndmask_b32_e32 v9, v11, v9, vcc_lo
	s_delay_alu instid0(VALU_DEP_2) | instskip(NEXT) | instid1(VALU_DEP_3)
	v_cndmask_b32_e32 v3, v7, v3, vcc_lo
	v_and_b32_e32 v6, 0x80000000, v6
	s_delay_alu instid0(VALU_DEP_3) | instskip(NEXT) | instid1(VALU_DEP_3)
	v_lshl_add_u32 v7, v9, 23, 0x3b800000
	v_lshlrev_b32_e32 v3, 20, v3
	s_delay_alu instid0(VALU_DEP_1)
	v_or3_b32 v3, v6, v7, v3
.LBB151_842:
	s_or_b32 exec_lo, exec_lo, s50
.LBB151_843:
	s_mov_b32 s31, -1
.LBB151_844:
	s_mov_b32 s50, 0
.LBB151_845:
	s_delay_alu instid0(SALU_CYCLE_1)
	s_and_b32 vcc_lo, exec_lo, s50
	s_cbranch_vccz .LBB151_880
; %bb.846:
	s_cmp_gt_i32 s0, 22
	s_cbranch_scc0 .LBB151_856
; %bb.847:
	s_cmp_lt_i32 s0, 24
	s_cbranch_scc1 .LBB151_859
; %bb.848:
	s_cmp_gt_i32 s0, 24
	s_cbranch_scc0 .LBB151_860
; %bb.849:
	global_load_u8 v6, v[4:5], off
	s_mov_b32 s31, 0
	s_mov_b32 s50, exec_lo
	s_wait_loadcnt 0x0
	v_cmpx_lt_i16_e32 0x7f, v6
	s_xor_b32 s50, exec_lo, s50
	s_cbranch_execz .LBB151_872
; %bb.850:
	s_mov_b32 s31, -1
	s_mov_b32 s51, exec_lo
	v_cmpx_eq_u16_e32 0x80, v6
; %bb.851:
	s_xor_b32 s31, exec_lo, -1
; %bb.852:
	s_or_b32 exec_lo, exec_lo, s51
	s_delay_alu instid0(SALU_CYCLE_1)
	s_and_b32 s31, s31, exec_lo
	s_or_saveexec_b32 s50, s50
	v_mov_b32_e32 v3, 0x7f800001
	s_xor_b32 exec_lo, exec_lo, s50
	s_cbranch_execnz .LBB151_873
.LBB151_853:
	s_or_b32 exec_lo, exec_lo, s50
	s_and_saveexec_b32 s50, s31
	s_cbranch_execz .LBB151_855
.LBB151_854:
	v_and_b32_e32 v3, 0xffff, v6
	s_delay_alu instid0(VALU_DEP_1) | instskip(SKIP_1) | instid1(VALU_DEP_2)
	v_and_b32_e32 v7, 3, v3
	v_bfe_u32 v11, v3, 2, 5
	v_clz_i32_u32_e32 v9, v7
	s_delay_alu instid0(VALU_DEP_2) | instskip(NEXT) | instid1(VALU_DEP_2)
	v_cmp_eq_u32_e32 vcc_lo, 0, v11
	v_min_u32_e32 v9, 32, v9
	s_delay_alu instid0(VALU_DEP_1) | instskip(NEXT) | instid1(VALU_DEP_1)
	v_subrev_nc_u32_e32 v10, 29, v9
	v_dual_lshlrev_b32 v3, v10, v3 :: v_dual_sub_nc_u32 v9, 30, v9
	s_delay_alu instid0(VALU_DEP_1) | instskip(NEXT) | instid1(VALU_DEP_2)
	v_dual_lshlrev_b32 v6, 24, v6 :: v_dual_bitop2_b32 v3, 3, v3 bitop3:0x40
	v_cndmask_b32_e32 v9, v11, v9, vcc_lo
	s_delay_alu instid0(VALU_DEP_2) | instskip(NEXT) | instid1(VALU_DEP_3)
	v_cndmask_b32_e32 v3, v7, v3, vcc_lo
	v_and_b32_e32 v6, 0x80000000, v6
	s_delay_alu instid0(VALU_DEP_3) | instskip(NEXT) | instid1(VALU_DEP_3)
	v_lshl_add_u32 v7, v9, 23, 0x37800000
	v_lshlrev_b32_e32 v3, 21, v3
	s_delay_alu instid0(VALU_DEP_1)
	v_or3_b32 v3, v6, v7, v3
.LBB151_855:
	s_or_b32 exec_lo, exec_lo, s50
	s_mov_b32 s31, 0
	s_branch .LBB151_861
.LBB151_856:
	s_mov_b32 s50, -1
                                        ; implicit-def: $vgpr3
	s_branch .LBB151_867
.LBB151_857:
	s_or_saveexec_b32 s50, s50
	v_mov_b32_e32 v3, 0x7f800001
	s_xor_b32 exec_lo, exec_lo, s50
	s_cbranch_execz .LBB151_840
.LBB151_858:
	v_cmp_ne_u16_e32 vcc_lo, 0, v6
	v_mov_b32_e32 v3, 0
	s_and_not1_b32 s31, s31, exec_lo
	s_and_b32 s51, vcc_lo, exec_lo
	s_delay_alu instid0(SALU_CYCLE_1)
	s_or_b32 s31, s31, s51
	s_or_b32 exec_lo, exec_lo, s50
	s_and_saveexec_b32 s50, s31
	s_cbranch_execnz .LBB151_841
	s_branch .LBB151_842
.LBB151_859:
	s_mov_b32 s31, -1
                                        ; implicit-def: $vgpr3
	s_branch .LBB151_864
.LBB151_860:
	s_mov_b32 s31, -1
                                        ; implicit-def: $vgpr3
.LBB151_861:
	s_delay_alu instid0(SALU_CYCLE_1)
	s_and_b32 vcc_lo, exec_lo, s31
	s_cbranch_vccz .LBB151_863
; %bb.862:
	global_load_u8 v3, v[4:5], off
	s_wait_loadcnt 0x0
	v_lshlrev_b32_e32 v3, 24, v3
	s_wait_xcnt 0x1
	s_delay_alu instid0(VALU_DEP_1) | instskip(NEXT) | instid1(VALU_DEP_1)
	v_and_b32_e32 v6, 0x7f000000, v3
	v_clz_i32_u32_e32 v7, v6
	v_add_nc_u32_e32 v10, 0x1000000, v6
	v_cmp_ne_u32_e32 vcc_lo, 0, v6
	s_delay_alu instid0(VALU_DEP_3) | instskip(NEXT) | instid1(VALU_DEP_1)
	v_min_u32_e32 v7, 32, v7
	v_sub_nc_u32_e64 v7, v7, 4 clamp
	s_delay_alu instid0(VALU_DEP_1) | instskip(NEXT) | instid1(VALU_DEP_1)
	v_dual_lshlrev_b32 v9, v7, v6 :: v_dual_lshlrev_b32 v7, 23, v7
	v_lshrrev_b32_e32 v9, 4, v9
	s_delay_alu instid0(VALU_DEP_1) | instskip(NEXT) | instid1(VALU_DEP_1)
	v_dual_sub_nc_u32 v7, v9, v7 :: v_dual_ashrrev_i32 v9, 8, v10
	v_add_nc_u32_e32 v7, 0x3c000000, v7
	s_delay_alu instid0(VALU_DEP_1) | instskip(NEXT) | instid1(VALU_DEP_1)
	v_and_or_b32 v7, 0x7f800000, v9, v7
	v_cndmask_b32_e32 v6, 0, v7, vcc_lo
	s_delay_alu instid0(VALU_DEP_1)
	v_and_or_b32 v3, 0x80000000, v3, v6
.LBB151_863:
	s_mov_b32 s31, 0
.LBB151_864:
	s_delay_alu instid0(SALU_CYCLE_1)
	s_and_not1_b32 vcc_lo, exec_lo, s31
	s_cbranch_vccnz .LBB151_866
; %bb.865:
	global_load_u8 v3, v[4:5], off
	s_wait_loadcnt 0x0
	s_wait_xcnt 0x1
	v_lshlrev_b32_e32 v6, 25, v3
	v_lshlrev_b16 v3, 8, v3
	s_delay_alu instid0(VALU_DEP_1) | instskip(SKIP_1) | instid1(VALU_DEP_2)
	v_and_or_b32 v9, 0x7f00, v3, 0.5
	v_bfe_i32 v3, v3, 0, 16
	v_dual_add_f32 v9, -0.5, v9 :: v_dual_lshrrev_b32 v7, 4, v6
	v_cmp_gt_u32_e32 vcc_lo, 0x8000000, v6
	s_delay_alu instid0(VALU_DEP_2) | instskip(NEXT) | instid1(VALU_DEP_1)
	v_or_b32_e32 v7, 0x70000000, v7
	v_mul_f32_e32 v7, 0x7800000, v7
	s_delay_alu instid0(VALU_DEP_1) | instskip(NEXT) | instid1(VALU_DEP_1)
	v_cndmask_b32_e32 v6, v7, v9, vcc_lo
	v_and_or_b32 v3, 0x80000000, v3, v6
.LBB151_866:
	s_mov_b32 s50, 0
	s_mov_b32 s31, -1
.LBB151_867:
	s_and_not1_b32 vcc_lo, exec_lo, s50
	s_cbranch_vccnz .LBB151_880
; %bb.868:
	s_cmp_gt_i32 s0, 14
	s_cbranch_scc0 .LBB151_871
; %bb.869:
	s_cmp_eq_u32 s0, 15
	s_cbranch_scc0 .LBB151_874
; %bb.870:
	global_load_u16 v3, v[4:5], off
	s_mov_b32 s31, -1
	s_mov_b32 s30, 0
	s_wait_loadcnt 0x0
	v_lshlrev_b32_e32 v3, 16, v3
	s_branch .LBB151_875
.LBB151_871:
	s_mov_b32 s50, -1
                                        ; implicit-def: $vgpr3
	s_branch .LBB151_876
.LBB151_872:
	s_or_saveexec_b32 s50, s50
	v_mov_b32_e32 v3, 0x7f800001
	s_xor_b32 exec_lo, exec_lo, s50
	s_cbranch_execz .LBB151_853
.LBB151_873:
	v_cmp_ne_u16_e32 vcc_lo, 0, v6
	v_mov_b32_e32 v3, 0
	s_and_not1_b32 s31, s31, exec_lo
	s_and_b32 s51, vcc_lo, exec_lo
	s_delay_alu instid0(SALU_CYCLE_1)
	s_or_b32 s31, s31, s51
	s_or_b32 exec_lo, exec_lo, s50
	s_and_saveexec_b32 s50, s31
	s_cbranch_execnz .LBB151_854
	s_branch .LBB151_855
.LBB151_874:
	s_mov_b32 s30, -1
                                        ; implicit-def: $vgpr3
.LBB151_875:
	s_mov_b32 s50, 0
.LBB151_876:
	s_delay_alu instid0(SALU_CYCLE_1)
	s_and_b32 vcc_lo, exec_lo, s50
	s_cbranch_vccz .LBB151_880
; %bb.877:
	s_cmp_eq_u32 s0, 11
	s_cbranch_scc0 .LBB151_879
; %bb.878:
	global_load_u8 v3, v[4:5], off
	s_mov_b32 s30, 0
	s_mov_b32 s31, -1
	s_wait_loadcnt 0x0
	v_cmp_ne_u16_e32 vcc_lo, 0, v3
	v_cndmask_b32_e64 v3, 0, 1.0, vcc_lo
	s_branch .LBB151_880
.LBB151_879:
	s_mov_b32 s30, -1
                                        ; implicit-def: $vgpr3
.LBB151_880:
	s_mov_b32 s50, 0
.LBB151_881:
	s_delay_alu instid0(SALU_CYCLE_1)
	s_and_b32 vcc_lo, exec_lo, s50
	s_cbranch_vccz .LBB151_930
; %bb.882:
	s_cmp_lt_i32 s0, 5
	s_cbranch_scc1 .LBB151_887
; %bb.883:
	s_cmp_lt_i32 s0, 8
	s_cbranch_scc1 .LBB151_888
	;; [unrolled: 3-line block ×3, first 2 shown]
; %bb.885:
	s_cmp_gt_i32 s0, 9
	s_cbranch_scc0 .LBB151_890
; %bb.886:
	global_load_b64 v[6:7], v[4:5], off
	s_mov_b32 s31, 0
	s_wait_loadcnt 0x0
	v_cvt_f32_f64_e32 v3, v[6:7]
	s_branch .LBB151_891
.LBB151_887:
	s_mov_b32 s31, -1
                                        ; implicit-def: $vgpr3
	s_branch .LBB151_909
.LBB151_888:
	s_mov_b32 s31, -1
                                        ; implicit-def: $vgpr3
	s_branch .LBB151_897
.LBB151_889:
	s_mov_b32 s31, -1
                                        ; implicit-def: $vgpr3
	s_branch .LBB151_894
.LBB151_890:
	s_mov_b32 s31, -1
                                        ; implicit-def: $vgpr3
.LBB151_891:
	s_delay_alu instid0(SALU_CYCLE_1)
	s_and_not1_b32 vcc_lo, exec_lo, s31
	s_cbranch_vccnz .LBB151_893
; %bb.892:
	global_load_b32 v3, v[4:5], off
.LBB151_893:
	s_mov_b32 s31, 0
.LBB151_894:
	s_delay_alu instid0(SALU_CYCLE_1)
	s_and_not1_b32 vcc_lo, exec_lo, s31
	s_cbranch_vccnz .LBB151_896
; %bb.895:
	s_wait_loadcnt 0x0
	global_load_b32 v3, v[4:5], off
	s_wait_loadcnt 0x0
	v_cvt_f32_f16_e32 v3, v3
.LBB151_896:
	s_mov_b32 s31, 0
.LBB151_897:
	s_delay_alu instid0(SALU_CYCLE_1)
	s_and_not1_b32 vcc_lo, exec_lo, s31
	s_cbranch_vccnz .LBB151_908
; %bb.898:
	s_cmp_lt_i32 s0, 6
	s_cbranch_scc1 .LBB151_901
; %bb.899:
	s_cmp_gt_i32 s0, 6
	s_cbranch_scc0 .LBB151_902
; %bb.900:
	global_load_b64 v[6:7], v[4:5], off
	s_mov_b32 s31, 0
	s_wait_loadcnt 0x0
	v_cvt_f32_f64_e32 v3, v[6:7]
	s_branch .LBB151_903
.LBB151_901:
	s_mov_b32 s31, -1
                                        ; implicit-def: $vgpr3
	s_branch .LBB151_906
.LBB151_902:
	s_mov_b32 s31, -1
                                        ; implicit-def: $vgpr3
.LBB151_903:
	s_delay_alu instid0(SALU_CYCLE_1)
	s_and_not1_b32 vcc_lo, exec_lo, s31
	s_cbranch_vccnz .LBB151_905
; %bb.904:
	s_wait_loadcnt 0x0
	global_load_b32 v3, v[4:5], off
.LBB151_905:
	s_mov_b32 s31, 0
.LBB151_906:
	s_delay_alu instid0(SALU_CYCLE_1)
	s_and_not1_b32 vcc_lo, exec_lo, s31
	s_cbranch_vccnz .LBB151_908
; %bb.907:
	s_wait_loadcnt 0x0
	global_load_u16 v3, v[4:5], off
	s_wait_loadcnt 0x0
	v_cvt_f32_f16_e32 v3, v3
.LBB151_908:
	s_mov_b32 s31, 0
.LBB151_909:
	s_delay_alu instid0(SALU_CYCLE_1)
	s_and_not1_b32 vcc_lo, exec_lo, s31
	s_cbranch_vccnz .LBB151_929
; %bb.910:
	s_cmp_lt_i32 s0, 2
	s_cbranch_scc1 .LBB151_914
; %bb.911:
	s_cmp_lt_i32 s0, 3
	s_cbranch_scc1 .LBB151_915
; %bb.912:
	s_cmp_gt_i32 s0, 3
	s_cbranch_scc0 .LBB151_916
; %bb.913:
	global_load_b64 v[6:7], v[4:5], off
	s_mov_b32 s31, 0
	s_wait_loadcnt 0x0
	v_xor_b32_e32 v3, v6, v7
	v_cls_i32_e32 v9, v7
	s_delay_alu instid0(VALU_DEP_2) | instskip(NEXT) | instid1(VALU_DEP_1)
	v_ashrrev_i32_e32 v3, 31, v3
	v_add_nc_u32_e32 v3, 32, v3
	s_delay_alu instid0(VALU_DEP_1) | instskip(NEXT) | instid1(VALU_DEP_1)
	v_add_min_u32_e64 v3, v9, -1, v3
	v_lshlrev_b64_e32 v[6:7], v3, v[6:7]
	v_sub_nc_u32_e32 v3, 32, v3
	s_delay_alu instid0(VALU_DEP_2) | instskip(NEXT) | instid1(VALU_DEP_1)
	v_min_u32_e32 v6, 1, v6
	v_or_b32_e32 v6, v7, v6
	s_delay_alu instid0(VALU_DEP_1) | instskip(NEXT) | instid1(VALU_DEP_1)
	v_cvt_f32_i32_e32 v6, v6
	v_ldexp_f32 v3, v6, v3
	s_branch .LBB151_917
.LBB151_914:
	s_mov_b32 s31, -1
                                        ; implicit-def: $vgpr3
	s_branch .LBB151_923
.LBB151_915:
	s_mov_b32 s31, -1
                                        ; implicit-def: $vgpr3
	s_branch .LBB151_920
.LBB151_916:
	s_mov_b32 s31, -1
                                        ; implicit-def: $vgpr3
.LBB151_917:
	s_delay_alu instid0(SALU_CYCLE_1)
	s_and_not1_b32 vcc_lo, exec_lo, s31
	s_cbranch_vccnz .LBB151_919
; %bb.918:
	s_wait_loadcnt 0x0
	global_load_b32 v3, v[4:5], off
	s_wait_loadcnt 0x0
	v_cvt_f32_i32_e32 v3, v3
.LBB151_919:
	s_mov_b32 s31, 0
.LBB151_920:
	s_delay_alu instid0(SALU_CYCLE_1)
	s_and_not1_b32 vcc_lo, exec_lo, s31
	s_cbranch_vccnz .LBB151_922
; %bb.921:
	s_wait_loadcnt 0x0
	global_load_i16 v3, v[4:5], off
	s_wait_loadcnt 0x0
	v_cvt_f32_i32_e32 v3, v3
.LBB151_922:
	s_mov_b32 s31, 0
.LBB151_923:
	s_delay_alu instid0(SALU_CYCLE_1)
	s_and_not1_b32 vcc_lo, exec_lo, s31
	s_cbranch_vccnz .LBB151_929
; %bb.924:
	s_cmp_gt_i32 s0, 0
	s_mov_b32 s0, 0
	s_cbranch_scc0 .LBB151_926
; %bb.925:
	s_wait_loadcnt 0x0
	global_load_i8 v3, v[4:5], off
	s_wait_loadcnt 0x0
	v_cvt_f32_i32_e32 v3, v3
	s_branch .LBB151_927
.LBB151_926:
	s_mov_b32 s0, -1
                                        ; implicit-def: $vgpr3
.LBB151_927:
	s_delay_alu instid0(SALU_CYCLE_1)
	s_and_not1_b32 vcc_lo, exec_lo, s0
	s_cbranch_vccnz .LBB151_929
; %bb.928:
	s_wait_loadcnt 0x0
	global_load_u8 v3, v[4:5], off
	s_wait_loadcnt 0x0
	v_cvt_f32_ubyte0_e32 v3, v3
.LBB151_929:
	s_mov_b32 s31, -1
.LBB151_930:
	s_delay_alu instid0(SALU_CYCLE_1)
	s_and_not1_b32 vcc_lo, exec_lo, s31
	s_cbranch_vccnz .LBB151_938
; %bb.931:
	s_wait_loadcnt 0x0
	s_delay_alu instid0(VALU_DEP_3) | instskip(NEXT) | instid1(VALU_DEP_2)
	v_dual_max_num_f32 v4, v8, v8 :: v_dual_max_num_f32 v5, v1, v1
	v_cmp_u_f32_e32 vcc_lo, v3, v3
	v_max_num_f32_e32 v6, v3, v3
	s_and_b32 s31, s38, 0xff
	s_delay_alu instid0(SALU_CYCLE_1) | instskip(NEXT) | instid1(VALU_DEP_1)
	s_cmp_lt_i32 s31, 11
	v_maxmin_num_f32 v4, v5, v4, v6
	s_delay_alu instid0(VALU_DEP_1) | instskip(SKIP_1) | instid1(VALU_DEP_2)
	v_cndmask_b32_e32 v4, v4, v3, vcc_lo
	v_cmp_u_f32_e32 vcc_lo, v8, v8
	v_dual_mov_b32 v3, 0 :: v_dual_cndmask_b32 v4, v4, v8
	v_cmp_u_f32_e32 vcc_lo, v1, v1
	s_delay_alu instid0(VALU_DEP_2) | instskip(NEXT) | instid1(VALU_DEP_3)
	v_add_nc_u64_e32 v[2:3], s[4:5], v[2:3]
	v_cndmask_b32_e32 v4, v4, v1, vcc_lo
	s_cbranch_scc1 .LBB151_939
; %bb.932:
	s_and_b32 s50, 0xffff, s31
	s_delay_alu instid0(SALU_CYCLE_1)
	s_cmp_gt_i32 s50, 25
	s_cbranch_scc0 .LBB151_940
; %bb.933:
	s_cmp_gt_i32 s50, 28
	s_cbranch_scc0 .LBB151_941
; %bb.934:
	;; [unrolled: 3-line block ×4, first 2 shown]
	s_mov_b32 s52, 0
	s_mov_b32 s0, -1
	s_cmp_eq_u32 s50, 46
	s_mov_b32 s51, 0
	s_cbranch_scc0 .LBB151_944
; %bb.937:
	v_bfe_u32 v1, v4, 16, 1
	v_cmp_o_f32_e32 vcc_lo, v4, v4
	s_mov_b32 s51, -1
	s_mov_b32 s0, 0
	s_delay_alu instid0(VALU_DEP_2) | instskip(NEXT) | instid1(VALU_DEP_1)
	v_add3_u32 v1, v4, v1, 0x7fff
	v_lshrrev_b32_e32 v1, 16, v1
	s_delay_alu instid0(VALU_DEP_1)
	v_cndmask_b32_e32 v1, 0x7fc0, v1, vcc_lo
	global_store_b32 v[2:3], v1, off
	s_branch .LBB151_944
.LBB151_938:
	s_mov_b32 s31, 0
	s_mov_b32 s0, s43
	s_branch .LBB151_1055
.LBB151_939:
	s_mov_b32 s50, -1
	s_mov_b32 s51, 0
	s_mov_b32 s0, s43
	s_branch .LBB151_1013
.LBB151_940:
	s_mov_b32 s52, -1
	s_mov_b32 s51, 0
	s_mov_b32 s0, s43
	s_branch .LBB151_971
.LBB151_941:
	s_mov_b32 s52, -1
	s_mov_b32 s51, 0
	s_mov_b32 s0, s43
	s_branch .LBB151_954
.LBB151_942:
	s_mov_b32 s52, -1
	s_mov_b32 s51, 0
	s_mov_b32 s0, s43
	s_branch .LBB151_950
.LBB151_943:
	s_mov_b32 s52, -1
	s_mov_b32 s51, 0
	s_mov_b32 s0, s43
.LBB151_944:
	s_and_b32 vcc_lo, exec_lo, s52
	s_cbranch_vccz .LBB151_949
; %bb.945:
	s_cmp_eq_u32 s50, 44
	s_mov_b32 s0, -1
	s_cbranch_scc0 .LBB151_949
; %bb.946:
	v_bfe_u32 v5, v4, 23, 8
	s_wait_xcnt 0x0
	v_mov_b32_e32 v1, 0xff
	s_mov_b32 s51, exec_lo
	s_delay_alu instid0(VALU_DEP_2)
	v_cmpx_ne_u32_e32 0xff, v5
	s_cbranch_execz .LBB151_948
; %bb.947:
	v_and_b32_e32 v1, 0x400000, v4
	v_and_or_b32 v5, 0x3fffff, v4, v5
	s_delay_alu instid0(VALU_DEP_2) | instskip(NEXT) | instid1(VALU_DEP_2)
	v_cmp_ne_u32_e32 vcc_lo, 0, v1
	v_cmp_ne_u32_e64 s0, 0, v5
	v_lshrrev_b32_e32 v1, 23, v4
	s_and_b32 s0, vcc_lo, s0
	s_delay_alu instid0(SALU_CYCLE_1) | instskip(NEXT) | instid1(VALU_DEP_1)
	v_cndmask_b32_e64 v5, 0, 1, s0
	v_add_nc_u32_e32 v1, v1, v5
.LBB151_948:
	s_or_b32 exec_lo, exec_lo, s51
	s_mov_b32 s51, -1
	s_mov_b32 s0, 0
	global_store_b8 v[2:3], v1, off
.LBB151_949:
	s_mov_b32 s52, 0
.LBB151_950:
	s_delay_alu instid0(SALU_CYCLE_1)
	s_and_b32 vcc_lo, exec_lo, s52
	s_cbranch_vccz .LBB151_953
; %bb.951:
	s_cmp_eq_u32 s50, 29
	s_mov_b32 s0, -1
	s_cbranch_scc0 .LBB151_953
; %bb.952:
	s_wait_xcnt 0x0
	v_trunc_f32_e32 v1, v4
	s_mov_b32 s51, -1
	s_mov_b32 s0, 0
	s_mov_b32 s52, 0
	s_delay_alu instid0(VALU_DEP_1) | instskip(NEXT) | instid1(VALU_DEP_1)
	v_mul_f32_e32 v5, 0x2f800000, v1
	v_floor_f32_e32 v5, v5
	s_delay_alu instid0(VALU_DEP_1) | instskip(SKIP_1) | instid1(VALU_DEP_2)
	v_fmamk_f32 v1, v5, 0xcf800000, v1
	v_cvt_u32_f32_e32 v7, v5
	v_cvt_u32_f32_e32 v6, v1
	global_store_b64 v[2:3], v[6:7], off
	s_branch .LBB151_954
.LBB151_953:
	s_mov_b32 s52, 0
.LBB151_954:
	s_delay_alu instid0(SALU_CYCLE_1)
	s_and_b32 vcc_lo, exec_lo, s52
	s_cbranch_vccz .LBB151_970
; %bb.955:
	s_cmp_lt_i32 s50, 27
	s_mov_b32 s51, -1
	s_cbranch_scc1 .LBB151_961
; %bb.956:
	s_cmp_gt_i32 s50, 27
	s_cbranch_scc0 .LBB151_958
; %bb.957:
	s_wait_xcnt 0x0
	v_cvt_u32_f32_e32 v1, v4
	s_mov_b32 s51, 0
	global_store_b32 v[2:3], v1, off
.LBB151_958:
	s_and_not1_b32 vcc_lo, exec_lo, s51
	s_cbranch_vccnz .LBB151_960
; %bb.959:
	s_wait_xcnt 0x0
	v_cvt_u32_f32_e32 v1, v4
	global_store_b16 v[2:3], v1, off
.LBB151_960:
	s_mov_b32 s51, 0
.LBB151_961:
	s_delay_alu instid0(SALU_CYCLE_1)
	s_and_not1_b32 vcc_lo, exec_lo, s51
	s_cbranch_vccnz .LBB151_969
; %bb.962:
	s_wait_xcnt 0x0
	v_and_b32_e32 v1, 0x7fffffff, v4
	v_mov_b32_e32 v5, 0x80
	s_mov_b32 s51, exec_lo
	s_delay_alu instid0(VALU_DEP_2)
	v_cmpx_gt_u32_e32 0x43800000, v1
	s_cbranch_execz .LBB151_968
; %bb.963:
	v_cmp_lt_u32_e32 vcc_lo, 0x3bffffff, v1
	s_mov_b32 s52, 0
                                        ; implicit-def: $vgpr1
	s_and_saveexec_b32 s53, vcc_lo
	s_delay_alu instid0(SALU_CYCLE_1)
	s_xor_b32 s53, exec_lo, s53
	s_cbranch_execz .LBB151_1213
; %bb.964:
	v_bfe_u32 v1, v4, 20, 1
	s_mov_b32 s52, exec_lo
	s_delay_alu instid0(VALU_DEP_1) | instskip(NEXT) | instid1(VALU_DEP_1)
	v_add3_u32 v1, v4, v1, 0x487ffff
	v_lshrrev_b32_e32 v1, 20, v1
	s_and_not1_saveexec_b32 s53, s53
	s_cbranch_execnz .LBB151_1214
.LBB151_965:
	s_or_b32 exec_lo, exec_lo, s53
	v_mov_b32_e32 v5, 0
	s_and_saveexec_b32 s53, s52
.LBB151_966:
	v_lshrrev_b32_e32 v5, 24, v4
	s_delay_alu instid0(VALU_DEP_1)
	v_and_or_b32 v5, 0x80, v5, v1
.LBB151_967:
	s_or_b32 exec_lo, exec_lo, s53
.LBB151_968:
	s_delay_alu instid0(SALU_CYCLE_1)
	s_or_b32 exec_lo, exec_lo, s51
	global_store_b8 v[2:3], v5, off
.LBB151_969:
	s_mov_b32 s51, -1
.LBB151_970:
	s_mov_b32 s52, 0
.LBB151_971:
	s_delay_alu instid0(SALU_CYCLE_1)
	s_and_b32 vcc_lo, exec_lo, s52
	s_cbranch_vccz .LBB151_1012
; %bb.972:
	s_cmp_gt_i32 s50, 22
	s_mov_b32 s52, -1
	s_cbranch_scc0 .LBB151_1004
; %bb.973:
	s_cmp_lt_i32 s50, 24
	s_mov_b32 s51, -1
	s_cbranch_scc1 .LBB151_993
; %bb.974:
	s_cmp_gt_i32 s50, 24
	s_cbranch_scc0 .LBB151_982
; %bb.975:
	s_wait_xcnt 0x0
	v_and_b32_e32 v1, 0x7fffffff, v4
	v_mov_b32_e32 v5, 0x80
	s_mov_b32 s51, exec_lo
	s_delay_alu instid0(VALU_DEP_2)
	v_cmpx_gt_u32_e32 0x47800000, v1
	s_cbranch_execz .LBB151_981
; %bb.976:
	v_cmp_lt_u32_e32 vcc_lo, 0x37ffffff, v1
	s_mov_b32 s52, 0
                                        ; implicit-def: $vgpr1
	s_and_saveexec_b32 s53, vcc_lo
	s_delay_alu instid0(SALU_CYCLE_1)
	s_xor_b32 s53, exec_lo, s53
	s_cbranch_execz .LBB151_1345
; %bb.977:
	v_bfe_u32 v1, v4, 21, 1
	s_mov_b32 s52, exec_lo
	s_delay_alu instid0(VALU_DEP_1) | instskip(NEXT) | instid1(VALU_DEP_1)
	v_add3_u32 v1, v4, v1, 0x88fffff
	v_lshrrev_b32_e32 v1, 21, v1
	s_and_not1_saveexec_b32 s53, s53
	s_cbranch_execnz .LBB151_1346
.LBB151_978:
	s_or_b32 exec_lo, exec_lo, s53
	v_mov_b32_e32 v5, 0
	s_and_saveexec_b32 s53, s52
.LBB151_979:
	v_lshrrev_b32_e32 v5, 24, v4
	s_delay_alu instid0(VALU_DEP_1)
	v_and_or_b32 v5, 0x80, v5, v1
.LBB151_980:
	s_or_b32 exec_lo, exec_lo, s53
.LBB151_981:
	s_delay_alu instid0(SALU_CYCLE_1)
	s_or_b32 exec_lo, exec_lo, s51
	s_mov_b32 s51, 0
	global_store_b8 v[2:3], v5, off
.LBB151_982:
	s_and_b32 vcc_lo, exec_lo, s51
	s_cbranch_vccz .LBB151_992
; %bb.983:
	s_wait_xcnt 0x0
	v_and_b32_e32 v5, 0x7fffffff, v4
	s_mov_b32 s51, exec_lo
                                        ; implicit-def: $vgpr1
	s_delay_alu instid0(VALU_DEP_1)
	v_cmpx_gt_u32_e32 0x43f00000, v5
	s_xor_b32 s51, exec_lo, s51
	s_cbranch_execz .LBB151_989
; %bb.984:
	s_mov_b32 s52, exec_lo
                                        ; implicit-def: $vgpr1
	v_cmpx_lt_u32_e32 0x3c7fffff, v5
	s_xor_b32 s52, exec_lo, s52
; %bb.985:
	v_bfe_u32 v1, v4, 20, 1
	s_delay_alu instid0(VALU_DEP_1) | instskip(NEXT) | instid1(VALU_DEP_1)
	v_add3_u32 v1, v4, v1, 0x407ffff
	v_and_b32_e32 v5, 0xff00000, v1
	v_lshrrev_b32_e32 v1, 20, v1
	s_delay_alu instid0(VALU_DEP_2) | instskip(NEXT) | instid1(VALU_DEP_2)
	v_cmp_ne_u32_e32 vcc_lo, 0x7f00000, v5
	v_cndmask_b32_e32 v1, 0x7e, v1, vcc_lo
; %bb.986:
	s_and_not1_saveexec_b32 s52, s52
; %bb.987:
	v_add_f32_e64 v1, 0x46800000, |v4|
; %bb.988:
	s_or_b32 exec_lo, exec_lo, s52
                                        ; implicit-def: $vgpr5
.LBB151_989:
	s_and_not1_saveexec_b32 s51, s51
; %bb.990:
	v_mov_b32_e32 v1, 0x7f
	v_cmp_lt_u32_e32 vcc_lo, 0x7f800000, v5
	s_delay_alu instid0(VALU_DEP_2)
	v_cndmask_b32_e32 v1, 0x7e, v1, vcc_lo
; %bb.991:
	s_or_b32 exec_lo, exec_lo, s51
	v_lshrrev_b32_e32 v5, 24, v4
	s_delay_alu instid0(VALU_DEP_1)
	v_and_or_b32 v1, 0x80, v5, v1
	global_store_b8 v[2:3], v1, off
.LBB151_992:
	s_mov_b32 s51, 0
.LBB151_993:
	s_delay_alu instid0(SALU_CYCLE_1)
	s_and_not1_b32 vcc_lo, exec_lo, s51
	s_cbranch_vccnz .LBB151_1003
; %bb.994:
	s_wait_xcnt 0x0
	v_and_b32_e32 v5, 0x7fffffff, v4
	s_mov_b32 s51, exec_lo
                                        ; implicit-def: $vgpr1
	s_delay_alu instid0(VALU_DEP_1)
	v_cmpx_gt_u32_e32 0x47800000, v5
	s_xor_b32 s51, exec_lo, s51
	s_cbranch_execz .LBB151_1000
; %bb.995:
	s_mov_b32 s52, exec_lo
                                        ; implicit-def: $vgpr1
	v_cmpx_lt_u32_e32 0x387fffff, v5
	s_xor_b32 s52, exec_lo, s52
; %bb.996:
	v_bfe_u32 v1, v4, 21, 1
	s_delay_alu instid0(VALU_DEP_1) | instskip(NEXT) | instid1(VALU_DEP_1)
	v_add3_u32 v1, v4, v1, 0x80fffff
	v_lshrrev_b32_e32 v1, 21, v1
; %bb.997:
	s_and_not1_saveexec_b32 s52, s52
; %bb.998:
	v_add_f32_e64 v1, 0x43000000, |v4|
; %bb.999:
	s_or_b32 exec_lo, exec_lo, s52
                                        ; implicit-def: $vgpr5
.LBB151_1000:
	s_and_not1_saveexec_b32 s51, s51
; %bb.1001:
	v_mov_b32_e32 v1, 0x7f
	v_cmp_lt_u32_e32 vcc_lo, 0x7f800000, v5
	s_delay_alu instid0(VALU_DEP_2)
	v_cndmask_b32_e32 v1, 0x7c, v1, vcc_lo
; %bb.1002:
	s_or_b32 exec_lo, exec_lo, s51
	v_lshrrev_b32_e32 v5, 24, v4
	s_delay_alu instid0(VALU_DEP_1)
	v_and_or_b32 v1, 0x80, v5, v1
	global_store_b8 v[2:3], v1, off
.LBB151_1003:
	s_mov_b32 s52, 0
	s_mov_b32 s51, -1
.LBB151_1004:
	s_and_not1_b32 vcc_lo, exec_lo, s52
	s_cbranch_vccnz .LBB151_1012
; %bb.1005:
	s_cmp_gt_i32 s50, 14
	s_mov_b32 s52, -1
	s_cbranch_scc0 .LBB151_1009
; %bb.1006:
	s_cmp_eq_u32 s50, 15
	s_mov_b32 s0, -1
	s_cbranch_scc0 .LBB151_1008
; %bb.1007:
	s_wait_xcnt 0x0
	v_bfe_u32 v1, v4, 16, 1
	v_cmp_o_f32_e32 vcc_lo, v4, v4
	s_mov_b32 s51, -1
	s_mov_b32 s0, 0
	s_delay_alu instid0(VALU_DEP_2) | instskip(NEXT) | instid1(VALU_DEP_1)
	v_add3_u32 v1, v4, v1, 0x7fff
	v_lshrrev_b32_e32 v1, 16, v1
	s_delay_alu instid0(VALU_DEP_1)
	v_cndmask_b32_e32 v1, 0x7fc0, v1, vcc_lo
	global_store_b16 v[2:3], v1, off
.LBB151_1008:
	s_mov_b32 s52, 0
.LBB151_1009:
	s_delay_alu instid0(SALU_CYCLE_1)
	s_and_b32 vcc_lo, exec_lo, s52
	s_cbranch_vccz .LBB151_1012
; %bb.1010:
	s_cmp_eq_u32 s50, 11
	s_mov_b32 s0, -1
	s_cbranch_scc0 .LBB151_1012
; %bb.1011:
	v_cmp_neq_f32_e32 vcc_lo, 0, v4
	s_mov_b32 s0, 0
	s_mov_b32 s51, -1
	s_wait_xcnt 0x0
	v_cndmask_b32_e64 v1, 0, 1, vcc_lo
	global_store_b8 v[2:3], v1, off
.LBB151_1012:
	s_mov_b32 s50, 0
.LBB151_1013:
	s_delay_alu instid0(SALU_CYCLE_1)
	s_and_b32 vcc_lo, exec_lo, s50
	s_cbranch_vccz .LBB151_1052
; %bb.1014:
	s_and_b32 s31, 0xffff, s31
	s_mov_b32 s50, -1
	s_cmp_lt_i32 s31, 5
	s_cbranch_scc1 .LBB151_1035
; %bb.1015:
	s_cmp_lt_i32 s31, 8
	s_cbranch_scc1 .LBB151_1025
; %bb.1016:
	;; [unrolled: 3-line block ×3, first 2 shown]
	s_cmp_gt_i32 s31, 9
	s_cbranch_scc0 .LBB151_1019
; %bb.1018:
	s_wait_xcnt 0x0
	v_cvt_f64_f32_e32 v[6:7], v4
	v_mov_b32_e32 v8, 0
	s_mov_b32 s50, 0
	s_delay_alu instid0(VALU_DEP_1)
	v_mov_b32_e32 v9, v8
	global_store_b128 v[2:3], v[6:9], off
.LBB151_1019:
	s_and_not1_b32 vcc_lo, exec_lo, s50
	s_cbranch_vccnz .LBB151_1021
; %bb.1020:
	s_wait_xcnt 0x0
	v_mov_b32_e32 v5, 0
	global_store_b64 v[2:3], v[4:5], off
.LBB151_1021:
	s_mov_b32 s50, 0
.LBB151_1022:
	s_delay_alu instid0(SALU_CYCLE_1)
	s_and_not1_b32 vcc_lo, exec_lo, s50
	s_cbranch_vccnz .LBB151_1024
; %bb.1023:
	s_wait_xcnt 0x0
	v_cvt_f16_f32_e32 v1, v4
	s_delay_alu instid0(VALU_DEP_1)
	v_and_b32_e32 v1, 0xffff, v1
	global_store_b32 v[2:3], v1, off
.LBB151_1024:
	s_mov_b32 s50, 0
.LBB151_1025:
	s_delay_alu instid0(SALU_CYCLE_1)
	s_and_not1_b32 vcc_lo, exec_lo, s50
	s_cbranch_vccnz .LBB151_1034
; %bb.1026:
	s_cmp_lt_i32 s31, 6
	s_mov_b32 s50, -1
	s_cbranch_scc1 .LBB151_1032
; %bb.1027:
	s_cmp_gt_i32 s31, 6
	s_cbranch_scc0 .LBB151_1029
; %bb.1028:
	s_wait_xcnt 0x0
	v_cvt_f64_f32_e32 v[6:7], v4
	s_mov_b32 s50, 0
	global_store_b64 v[2:3], v[6:7], off
.LBB151_1029:
	s_and_not1_b32 vcc_lo, exec_lo, s50
	s_cbranch_vccnz .LBB151_1031
; %bb.1030:
	global_store_b32 v[2:3], v4, off
.LBB151_1031:
	s_mov_b32 s50, 0
.LBB151_1032:
	s_delay_alu instid0(SALU_CYCLE_1)
	s_and_not1_b32 vcc_lo, exec_lo, s50
	s_cbranch_vccnz .LBB151_1034
; %bb.1033:
	s_wait_xcnt 0x0
	v_cvt_f16_f32_e32 v1, v4
	global_store_b16 v[2:3], v1, off
.LBB151_1034:
	s_mov_b32 s50, 0
.LBB151_1035:
	s_delay_alu instid0(SALU_CYCLE_1)
	s_and_not1_b32 vcc_lo, exec_lo, s50
	s_cbranch_vccnz .LBB151_1051
; %bb.1036:
	s_cmp_lt_i32 s31, 2
	s_mov_b32 s50, -1
	s_cbranch_scc1 .LBB151_1046
; %bb.1037:
	s_cmp_lt_i32 s31, 3
	s_cbranch_scc1 .LBB151_1043
; %bb.1038:
	s_cmp_gt_i32 s31, 3
	s_cbranch_scc0 .LBB151_1040
; %bb.1039:
	s_wait_xcnt 0x0
	v_trunc_f32_e32 v1, v4
	s_mov_b32 s50, 0
	s_delay_alu instid0(VALU_DEP_1) | instskip(SKIP_1) | instid1(VALU_DEP_2)
	v_mul_f32_e64 v5, 0x2f800000, |v1|
	v_ashrrev_i32_e32 v6, 31, v1
	v_floor_f32_e32 v5, v5
	s_delay_alu instid0(VALU_DEP_1) | instskip(SKIP_1) | instid1(VALU_DEP_2)
	v_fma_f32 v7, 0xcf800000, v5, |v1|
	v_cvt_u32_f32_e32 v1, v5
	v_cvt_u32_f32_e32 v5, v7
	s_delay_alu instid0(VALU_DEP_2) | instskip(NEXT) | instid1(VALU_DEP_2)
	v_dual_mov_b32 v7, v6 :: v_dual_bitop2_b32 v9, v1, v6 bitop3:0x14
	v_xor_b32_e32 v8, v5, v6
	s_delay_alu instid0(VALU_DEP_1)
	v_sub_nc_u64_e32 v[6:7], v[8:9], v[6:7]
	global_store_b64 v[2:3], v[6:7], off
.LBB151_1040:
	s_and_not1_b32 vcc_lo, exec_lo, s50
	s_cbranch_vccnz .LBB151_1042
; %bb.1041:
	s_wait_xcnt 0x0
	v_cvt_i32_f32_e32 v1, v4
	global_store_b32 v[2:3], v1, off
.LBB151_1042:
	s_mov_b32 s50, 0
.LBB151_1043:
	s_delay_alu instid0(SALU_CYCLE_1)
	s_and_not1_b32 vcc_lo, exec_lo, s50
	s_cbranch_vccnz .LBB151_1045
; %bb.1044:
	s_wait_xcnt 0x0
	v_cvt_i32_f32_e32 v1, v4
	global_store_b16 v[2:3], v1, off
.LBB151_1045:
	s_mov_b32 s50, 0
.LBB151_1046:
	s_delay_alu instid0(SALU_CYCLE_1)
	s_and_not1_b32 vcc_lo, exec_lo, s50
	s_cbranch_vccnz .LBB151_1051
; %bb.1047:
	s_cmp_gt_i32 s31, 0
	s_mov_b32 s31, -1
	s_cbranch_scc0 .LBB151_1049
; %bb.1048:
	s_wait_xcnt 0x0
	v_cvt_i32_f32_e32 v1, v4
	s_mov_b32 s31, 0
	global_store_b8 v[2:3], v1, off
.LBB151_1049:
	s_and_not1_b32 vcc_lo, exec_lo, s31
	s_cbranch_vccnz .LBB151_1051
; %bb.1050:
	s_wait_xcnt 0x0
	v_trunc_f32_e32 v1, v4
	s_delay_alu instid0(VALU_DEP_1) | instskip(NEXT) | instid1(VALU_DEP_1)
	v_mul_f32_e64 v4, 0x2f800000, |v1|
	v_floor_f32_e32 v4, v4
	s_delay_alu instid0(VALU_DEP_1) | instskip(SKIP_1) | instid1(VALU_DEP_2)
	v_fma_f32 v4, 0xcf800000, v4, |v1|
	v_ashrrev_i32_e32 v1, 31, v1
	v_cvt_u32_f32_e32 v4, v4
	s_delay_alu instid0(VALU_DEP_1) | instskip(NEXT) | instid1(VALU_DEP_1)
	v_xor_b32_e32 v4, v4, v1
	v_sub_nc_u32_e32 v1, v4, v1
	global_store_b8 v[2:3], v1, off
.LBB151_1051:
	s_mov_b32 s51, -1
.LBB151_1052:
	s_delay_alu instid0(SALU_CYCLE_1)
	s_and_not1_b32 vcc_lo, exec_lo, s51
	s_cbranch_vccnz .LBB151_1054
; %bb.1053:
	v_add_nc_u32_e32 v0, 0x80, v0
	s_mov_b32 s31, -1
	s_branch .LBB151_1056
.LBB151_1054:
	s_mov_b32 s31, 0
.LBB151_1055:
                                        ; implicit-def: $vgpr0
.LBB151_1056:
	s_and_not1_b32 s50, s43, exec_lo
	s_and_b32 s0, s0, exec_lo
	s_and_not1_b32 s52, s46, exec_lo
	s_and_b32 s30, s30, exec_lo
	s_or_b32 s51, s50, s0
	s_or_b32 s52, s52, s30
	s_and_not1_b32 s0, s47, exec_lo
	s_and_b32 s29, s29, exec_lo
	s_and_not1_b32 s30, s48, exec_lo
	s_and_b32 s28, s28, exec_lo
	s_or_b32 s53, s0, s29
	s_or_b32 s50, s30, s28
	s_or_not1_b32 s31, s31, exec_lo
.LBB151_1057:
	s_wait_xcnt 0x0
	s_or_b32 exec_lo, exec_lo, s54
	s_mov_b32 s29, 0
	s_mov_b32 s30, 0
	;; [unrolled: 1-line block ×3, first 2 shown]
                                        ; implicit-def: $sgpr0
                                        ; implicit-def: $vgpr8_vgpr9
                                        ; implicit-def: $vgpr2
                                        ; implicit-def: $vgpr4
                                        ; implicit-def: $vgpr6
                                        ; implicit-def: $vgpr10
	s_and_saveexec_b32 s54, s31
	s_cbranch_execz .LBB151_1684
; %bb.1058:
	s_mov_b32 s31, -1
	s_mov_b32 s56, s50
	s_mov_b32 s58, s53
	;; [unrolled: 1-line block ×4, first 2 shown]
	s_mov_b32 s55, exec_lo
	v_cmpx_gt_i32_e64 s44, v0
	s_cbranch_execz .LBB151_1590
; %bb.1059:
	s_and_not1_b32 vcc_lo, exec_lo, s36
	s_cbranch_vccnz .LBB151_1065
; %bb.1060:
	s_and_not1_b32 vcc_lo, exec_lo, s45
	s_cbranch_vccnz .LBB151_1066
; %bb.1061:
	s_wait_loadcnt 0x0
	v_dual_mov_b32 v6, 0 :: v_dual_mov_b32 v1, v0
	v_dual_mov_b32 v4, 0 :: v_dual_mov_b32 v2, 0
	v_mov_b32_e32 v8, 0
	s_add_co_i32 s0, s42, 1
	s_mov_b64 s[28:29], 0xffffffffffffffe0
	s_and_b32 s0, s0, 30
	s_add_nc_u64 s[28:29], s[2:3], s[28:29]
	s_mov_b64 s[30:31], s[2:3]
.LBB151_1062:                           ; =>This Inner Loop Header: Depth=1
	s_clause 0x1
	s_load_b128 s[64:67], s[30:31], 0x4
	s_load_b64 s[68:69], s[30:31], 0x14
	s_load_b256 s[56:63], s[28:29], 0xe4
	s_add_co_i32 s0, s0, -2
	s_wait_xcnt 0x0
	s_add_nc_u64 s[30:31], s[30:31], 24
	s_cmp_eq_u32 s0, 0
	s_add_nc_u64 s[28:29], s[28:29], 32
	s_wait_kmcnt 0x0
	v_mul_hi_u32 v3, s65, v1
	s_delay_alu instid0(VALU_DEP_1) | instskip(NEXT) | instid1(VALU_DEP_1)
	v_add_nc_u32_e32 v3, v1, v3
	v_lshrrev_b32_e32 v3, s66, v3
	s_delay_alu instid0(VALU_DEP_1) | instskip(SKIP_1) | instid1(VALU_DEP_1)
	v_mul_hi_u32 v5, s68, v3
	v_mul_lo_u32 v7, v3, s64
	v_dual_add_nc_u32 v5, v3, v5 :: v_dual_sub_nc_u32 v7, v1, v7
	s_delay_alu instid0(VALU_DEP_1) | instskip(NEXT) | instid1(VALU_DEP_2)
	v_lshrrev_b32_e32 v1, s69, v5
	v_mad_u32 v8, v7, s57, v8
	v_mad_u32 v2, v7, s56, v2
	;; [unrolled: 1-line block ×4, first 2 shown]
	v_mul_lo_u32 v5, v1, s67
	s_delay_alu instid0(VALU_DEP_1) | instskip(NEXT) | instid1(VALU_DEP_1)
	v_sub_nc_u32_e32 v3, v3, v5
	v_mad_u32 v8, v3, s61, v8
	v_mad_u32 v2, v3, s60, v2
	;; [unrolled: 1-line block ×4, first 2 shown]
	s_cbranch_scc0 .LBB151_1062
; %bb.1063:
	s_bitcmp1_b32 s42, 0
	s_cselect_b32 s0, -1, 0
	s_delay_alu instid0(SALU_CYCLE_1)
	s_and_b32 vcc_lo, exec_lo, s0
	s_cbranch_vccnz .LBB151_1067
; %bb.1064:
	s_load_b96 s[60:62], s[30:31], 0x4
	s_load_b128 s[56:59], s[28:29], 0xe4
	s_wait_kmcnt 0x0
	v_mul_hi_u32 v3, s61, v1
	s_delay_alu instid0(VALU_DEP_1) | instskip(NEXT) | instid1(VALU_DEP_1)
	v_add_nc_u32_e32 v3, v1, v3
	v_lshrrev_b32_e32 v3, s62, v3
	s_delay_alu instid0(VALU_DEP_1) | instskip(NEXT) | instid1(VALU_DEP_1)
	v_mul_lo_u32 v3, v3, s60
	v_sub_nc_u32_e32 v1, v1, v3
	s_delay_alu instid0(VALU_DEP_1)
	v_mad_u32 v2, v1, s56, v2
	v_mad_u32 v8, v1, s57, v8
	;; [unrolled: 1-line block ×4, first 2 shown]
	s_branch .LBB151_1067
.LBB151_1065:
	s_mov_b32 s0, -1
                                        ; implicit-def: $vgpr8
                                        ; implicit-def: $vgpr2
                                        ; implicit-def: $vgpr4
                                        ; implicit-def: $vgpr6
	s_branch .LBB151_1068
.LBB151_1066:
	s_wait_loadcnt 0x0
	v_dual_mov_b32 v8, 0 :: v_dual_mov_b32 v2, 0
	v_dual_mov_b32 v4, 0 :: v_dual_mov_b32 v6, 0
.LBB151_1067:
	s_mov_b32 s0, 0
.LBB151_1068:
	s_delay_alu instid0(SALU_CYCLE_1)
	s_and_not1_b32 vcc_lo, exec_lo, s0
	s_cbranch_vccnz .LBB151_1071
; %bb.1069:
	s_wait_loadcnt 0x0
	v_mov_b32_e32 v1, 0
	s_and_not1_b32 vcc_lo, exec_lo, s41
	s_delay_alu instid0(VALU_DEP_1) | instskip(NEXT) | instid1(VALU_DEP_1)
	v_mul_u64_e32 v[2:3], s[24:25], v[0:1]
	v_add_nc_u32_e32 v2, v0, v3
	s_delay_alu instid0(VALU_DEP_1) | instskip(NEXT) | instid1(VALU_DEP_1)
	v_lshrrev_b32_e32 v10, s22, v2
	v_mul_lo_u32 v2, v10, s20
	s_delay_alu instid0(VALU_DEP_1) | instskip(NEXT) | instid1(VALU_DEP_1)
	v_sub_nc_u32_e32 v3, v0, v2
	v_mul_lo_u32 v8, v3, s13
	v_mul_lo_u32 v2, v3, s12
	;; [unrolled: 1-line block ×4, first 2 shown]
	s_cbranch_vccnz .LBB151_1071
; %bb.1070:
	v_mov_b32_e32 v11, v1
	s_delay_alu instid0(VALU_DEP_1) | instskip(NEXT) | instid1(VALU_DEP_1)
	v_mul_u64_e32 v[12:13], s[26:27], v[10:11]
	v_add_nc_u32_e32 v1, v10, v13
	s_delay_alu instid0(VALU_DEP_1) | instskip(NEXT) | instid1(VALU_DEP_1)
	v_lshrrev_b32_e32 v1, s1, v1
	v_mul_lo_u32 v1, v1, s23
	s_delay_alu instid0(VALU_DEP_1) | instskip(NEXT) | instid1(VALU_DEP_1)
	v_sub_nc_u32_e32 v1, v10, v1
	v_mad_u32 v2, v1, s16, v2
	v_mad_u32 v8, v1, s17, v8
	;; [unrolled: 1-line block ×4, first 2 shown]
.LBB151_1071:
	v_mov_b32_e32 v9, 0
	s_and_b32 s0, s40, 0xff
	s_delay_alu instid0(SALU_CYCLE_1) | instskip(SKIP_1) | instid1(VALU_DEP_1)
	s_cmp_lt_i32 s0, 11
	s_wait_loadcnt 0x0
	v_add_nc_u64_e32 v[8:9], s[6:7], v[8:9]
	s_cbranch_scc1 .LBB151_1078
; %bb.1072:
	s_and_b32 s29, 0xffff, s0
	s_delay_alu instid0(SALU_CYCLE_1)
	s_cmp_gt_i32 s29, 25
	s_cbranch_scc0 .LBB151_1079
; %bb.1073:
	s_cmp_gt_i32 s29, 28
	s_cbranch_scc0 .LBB151_1080
; %bb.1074:
	;; [unrolled: 3-line block ×4, first 2 shown]
	s_cmp_eq_u32 s29, 46
	s_mov_b32 s31, 0
	s_cbranch_scc0 .LBB151_1083
; %bb.1077:
	global_load_b32 v1, v[8:9], off
	s_mov_b32 s30, -1
	s_mov_b32 s28, 0
	s_wait_loadcnt 0x0
	v_lshlrev_b32_e32 v1, 16, v1
	s_branch .LBB151_1085
.LBB151_1078:
	s_mov_b32 s29, -1
	s_mov_b32 s30, 0
	s_mov_b32 s28, s50
                                        ; implicit-def: $vgpr1
	s_branch .LBB151_1150
.LBB151_1079:
	s_mov_b32 s31, -1
	s_mov_b32 s30, 0
	s_mov_b32 s28, s50
                                        ; implicit-def: $vgpr1
	s_branch .LBB151_1114
.LBB151_1080:
	s_mov_b32 s31, -1
	s_mov_b32 s30, 0
	s_mov_b32 s28, s50
                                        ; implicit-def: $vgpr1
	s_branch .LBB151_1095
.LBB151_1081:
	s_mov_b32 s31, -1
	s_mov_b32 s30, 0
	s_mov_b32 s28, s50
                                        ; implicit-def: $vgpr1
	s_branch .LBB151_1090
.LBB151_1082:
	s_mov_b32 s31, -1
	s_mov_b32 s30, 0
	s_mov_b32 s28, s50
	s_branch .LBB151_1084
.LBB151_1083:
	s_mov_b32 s28, -1
	s_mov_b32 s30, 0
.LBB151_1084:
                                        ; implicit-def: $vgpr1
.LBB151_1085:
	s_and_b32 vcc_lo, exec_lo, s31
	s_cbranch_vccz .LBB151_1089
; %bb.1086:
	s_cmp_eq_u32 s29, 44
	s_cbranch_scc0 .LBB151_1088
; %bb.1087:
	global_load_u8 v1, v[8:9], off
	s_mov_b32 s28, 0
	s_mov_b32 s30, -1
	s_wait_loadcnt 0x0
	v_lshlrev_b32_e32 v3, 23, v1
	v_cmp_ne_u32_e32 vcc_lo, 0xff, v1
	s_delay_alu instid0(VALU_DEP_2) | instskip(SKIP_1) | instid1(VALU_DEP_2)
	v_cndmask_b32_e32 v3, 0x7f800001, v3, vcc_lo
	v_cmp_ne_u32_e32 vcc_lo, 0, v1
	v_cndmask_b32_e32 v1, 0x400000, v3, vcc_lo
	s_branch .LBB151_1089
.LBB151_1088:
	s_mov_b32 s28, -1
                                        ; implicit-def: $vgpr1
.LBB151_1089:
	s_mov_b32 s31, 0
.LBB151_1090:
	s_delay_alu instid0(SALU_CYCLE_1)
	s_and_b32 vcc_lo, exec_lo, s31
	s_cbranch_vccz .LBB151_1094
; %bb.1091:
	s_cmp_eq_u32 s29, 29
	s_cbranch_scc0 .LBB151_1093
; %bb.1092:
	global_load_b64 v[10:11], v[8:9], off
	s_mov_b32 s30, -1
	s_mov_b32 s28, 0
	s_mov_b32 s31, 0
	s_wait_loadcnt 0x0
	v_clz_i32_u32_e32 v1, v11
	s_delay_alu instid0(VALU_DEP_1) | instskip(NEXT) | instid1(VALU_DEP_1)
	v_min_u32_e32 v1, 32, v1
	v_lshlrev_b64_e32 v[10:11], v1, v[10:11]
	v_sub_nc_u32_e32 v1, 32, v1
	s_delay_alu instid0(VALU_DEP_2) | instskip(NEXT) | instid1(VALU_DEP_1)
	v_min_u32_e32 v3, 1, v10
	v_or_b32_e32 v3, v11, v3
	s_delay_alu instid0(VALU_DEP_1) | instskip(NEXT) | instid1(VALU_DEP_1)
	v_cvt_f32_u32_e32 v3, v3
	v_ldexp_f32 v1, v3, v1
	s_branch .LBB151_1095
.LBB151_1093:
	s_mov_b32 s28, -1
                                        ; implicit-def: $vgpr1
.LBB151_1094:
	s_mov_b32 s31, 0
.LBB151_1095:
	s_delay_alu instid0(SALU_CYCLE_1)
	s_and_b32 vcc_lo, exec_lo, s31
	s_cbranch_vccz .LBB151_1113
; %bb.1096:
	s_cmp_lt_i32 s29, 27
	s_cbranch_scc1 .LBB151_1099
; %bb.1097:
	s_cmp_gt_i32 s29, 27
	s_cbranch_scc0 .LBB151_1100
; %bb.1098:
	global_load_b32 v1, v[8:9], off
	s_mov_b32 s30, 0
	s_wait_loadcnt 0x0
	v_cvt_f32_u32_e32 v1, v1
	s_branch .LBB151_1101
.LBB151_1099:
	s_mov_b32 s30, -1
                                        ; implicit-def: $vgpr1
	s_branch .LBB151_1104
.LBB151_1100:
	s_mov_b32 s30, -1
                                        ; implicit-def: $vgpr1
.LBB151_1101:
	s_delay_alu instid0(SALU_CYCLE_1)
	s_and_not1_b32 vcc_lo, exec_lo, s30
	s_cbranch_vccnz .LBB151_1103
; %bb.1102:
	global_load_u16 v1, v[8:9], off
	s_wait_loadcnt 0x0
	v_cvt_f32_u32_e32 v1, v1
.LBB151_1103:
	s_mov_b32 s30, 0
.LBB151_1104:
	s_delay_alu instid0(SALU_CYCLE_1)
	s_and_not1_b32 vcc_lo, exec_lo, s30
	s_cbranch_vccnz .LBB151_1112
; %bb.1105:
	global_load_u8 v3, v[8:9], off
	s_mov_b32 s30, 0
	s_mov_b32 s31, exec_lo
	s_wait_loadcnt 0x0
	v_cmpx_lt_i16_e32 0x7f, v3
	s_xor_b32 s31, exec_lo, s31
	s_cbranch_execz .LBB151_1126
; %bb.1106:
	s_mov_b32 s30, -1
	s_mov_b32 s56, exec_lo
	v_cmpx_eq_u16_e32 0x80, v3
; %bb.1107:
	s_xor_b32 s30, exec_lo, -1
; %bb.1108:
	s_or_b32 exec_lo, exec_lo, s56
	s_delay_alu instid0(SALU_CYCLE_1)
	s_and_b32 s30, s30, exec_lo
	s_or_saveexec_b32 s31, s31
	v_mov_b32_e32 v1, 0x7f800001
	s_xor_b32 exec_lo, exec_lo, s31
	s_cbranch_execnz .LBB151_1127
.LBB151_1109:
	s_or_b32 exec_lo, exec_lo, s31
	s_and_saveexec_b32 s31, s30
	s_cbranch_execz .LBB151_1111
.LBB151_1110:
	v_and_b32_e32 v1, 0xffff, v3
	s_delay_alu instid0(VALU_DEP_1) | instskip(SKIP_1) | instid1(VALU_DEP_2)
	v_and_b32_e32 v5, 7, v1
	v_bfe_u32 v11, v1, 3, 4
	v_clz_i32_u32_e32 v7, v5
	s_delay_alu instid0(VALU_DEP_2) | instskip(NEXT) | instid1(VALU_DEP_2)
	v_cmp_eq_u32_e32 vcc_lo, 0, v11
	v_min_u32_e32 v7, 32, v7
	s_delay_alu instid0(VALU_DEP_1) | instskip(NEXT) | instid1(VALU_DEP_1)
	v_subrev_nc_u32_e32 v10, 28, v7
	v_dual_lshlrev_b32 v1, v10, v1 :: v_dual_sub_nc_u32 v7, 29, v7
	s_delay_alu instid0(VALU_DEP_1) | instskip(NEXT) | instid1(VALU_DEP_1)
	v_dual_lshlrev_b32 v3, 24, v3 :: v_dual_bitop2_b32 v1, 7, v1 bitop3:0x40
	v_dual_cndmask_b32 v1, v5, v1, vcc_lo :: v_dual_cndmask_b32 v7, v11, v7, vcc_lo
	s_delay_alu instid0(VALU_DEP_2) | instskip(NEXT) | instid1(VALU_DEP_2)
	v_and_b32_e32 v3, 0x80000000, v3
	v_lshlrev_b32_e32 v1, 20, v1
	s_delay_alu instid0(VALU_DEP_3) | instskip(NEXT) | instid1(VALU_DEP_1)
	v_lshl_add_u32 v5, v7, 23, 0x3b800000
	v_or3_b32 v1, v3, v5, v1
.LBB151_1111:
	s_or_b32 exec_lo, exec_lo, s31
.LBB151_1112:
	s_mov_b32 s30, -1
.LBB151_1113:
	s_mov_b32 s31, 0
.LBB151_1114:
	s_delay_alu instid0(SALU_CYCLE_1)
	s_and_b32 vcc_lo, exec_lo, s31
	s_cbranch_vccz .LBB151_1149
; %bb.1115:
	s_cmp_gt_i32 s29, 22
	s_cbranch_scc0 .LBB151_1125
; %bb.1116:
	s_cmp_lt_i32 s29, 24
	s_cbranch_scc1 .LBB151_1128
; %bb.1117:
	s_cmp_gt_i32 s29, 24
	s_cbranch_scc0 .LBB151_1129
; %bb.1118:
	global_load_u8 v3, v[8:9], off
	s_mov_b32 s30, 0
	s_mov_b32 s31, exec_lo
	s_wait_loadcnt 0x0
	v_cmpx_lt_i16_e32 0x7f, v3
	s_xor_b32 s31, exec_lo, s31
	s_cbranch_execz .LBB151_1141
; %bb.1119:
	s_mov_b32 s30, -1
	s_mov_b32 s56, exec_lo
	v_cmpx_eq_u16_e32 0x80, v3
; %bb.1120:
	s_xor_b32 s30, exec_lo, -1
; %bb.1121:
	s_or_b32 exec_lo, exec_lo, s56
	s_delay_alu instid0(SALU_CYCLE_1)
	s_and_b32 s30, s30, exec_lo
	s_or_saveexec_b32 s31, s31
	v_mov_b32_e32 v1, 0x7f800001
	s_xor_b32 exec_lo, exec_lo, s31
	s_cbranch_execnz .LBB151_1142
.LBB151_1122:
	s_or_b32 exec_lo, exec_lo, s31
	s_and_saveexec_b32 s31, s30
	s_cbranch_execz .LBB151_1124
.LBB151_1123:
	v_and_b32_e32 v1, 0xffff, v3
	s_delay_alu instid0(VALU_DEP_1) | instskip(SKIP_1) | instid1(VALU_DEP_2)
	v_and_b32_e32 v5, 3, v1
	v_bfe_u32 v11, v1, 2, 5
	v_clz_i32_u32_e32 v7, v5
	s_delay_alu instid0(VALU_DEP_2) | instskip(NEXT) | instid1(VALU_DEP_2)
	v_cmp_eq_u32_e32 vcc_lo, 0, v11
	v_min_u32_e32 v7, 32, v7
	s_delay_alu instid0(VALU_DEP_1) | instskip(NEXT) | instid1(VALU_DEP_1)
	v_subrev_nc_u32_e32 v10, 29, v7
	v_dual_lshlrev_b32 v1, v10, v1 :: v_dual_sub_nc_u32 v7, 30, v7
	s_delay_alu instid0(VALU_DEP_1) | instskip(NEXT) | instid1(VALU_DEP_1)
	v_dual_lshlrev_b32 v3, 24, v3 :: v_dual_bitop2_b32 v1, 3, v1 bitop3:0x40
	v_dual_cndmask_b32 v1, v5, v1, vcc_lo :: v_dual_cndmask_b32 v7, v11, v7, vcc_lo
	s_delay_alu instid0(VALU_DEP_2) | instskip(NEXT) | instid1(VALU_DEP_2)
	v_and_b32_e32 v3, 0x80000000, v3
	v_lshlrev_b32_e32 v1, 21, v1
	s_delay_alu instid0(VALU_DEP_3) | instskip(NEXT) | instid1(VALU_DEP_1)
	v_lshl_add_u32 v5, v7, 23, 0x37800000
	v_or3_b32 v1, v3, v5, v1
.LBB151_1124:
	s_or_b32 exec_lo, exec_lo, s31
	s_mov_b32 s30, 0
	s_branch .LBB151_1130
.LBB151_1125:
	s_mov_b32 s31, -1
                                        ; implicit-def: $vgpr1
	s_branch .LBB151_1136
.LBB151_1126:
	s_or_saveexec_b32 s31, s31
	v_mov_b32_e32 v1, 0x7f800001
	s_xor_b32 exec_lo, exec_lo, s31
	s_cbranch_execz .LBB151_1109
.LBB151_1127:
	v_cmp_ne_u16_e32 vcc_lo, 0, v3
	v_mov_b32_e32 v1, 0
	s_and_not1_b32 s30, s30, exec_lo
	s_and_b32 s56, vcc_lo, exec_lo
	s_delay_alu instid0(SALU_CYCLE_1)
	s_or_b32 s30, s30, s56
	s_or_b32 exec_lo, exec_lo, s31
	s_and_saveexec_b32 s31, s30
	s_cbranch_execnz .LBB151_1110
	s_branch .LBB151_1111
.LBB151_1128:
	s_mov_b32 s30, -1
                                        ; implicit-def: $vgpr1
	s_branch .LBB151_1133
.LBB151_1129:
	s_mov_b32 s30, -1
                                        ; implicit-def: $vgpr1
.LBB151_1130:
	s_delay_alu instid0(SALU_CYCLE_1)
	s_and_b32 vcc_lo, exec_lo, s30
	s_cbranch_vccz .LBB151_1132
; %bb.1131:
	global_load_u8 v1, v[8:9], off
	s_wait_loadcnt 0x0
	v_lshlrev_b32_e32 v1, 24, v1
	s_delay_alu instid0(VALU_DEP_1) | instskip(NEXT) | instid1(VALU_DEP_1)
	v_and_b32_e32 v3, 0x7f000000, v1
	v_clz_i32_u32_e32 v5, v3
	v_cmp_ne_u32_e32 vcc_lo, 0, v3
	v_add_nc_u32_e32 v10, 0x1000000, v3
	s_delay_alu instid0(VALU_DEP_3) | instskip(NEXT) | instid1(VALU_DEP_1)
	v_min_u32_e32 v5, 32, v5
	v_sub_nc_u32_e64 v5, v5, 4 clamp
	s_delay_alu instid0(VALU_DEP_1) | instskip(NEXT) | instid1(VALU_DEP_1)
	v_dual_lshlrev_b32 v7, v5, v3 :: v_dual_lshlrev_b32 v5, 23, v5
	v_lshrrev_b32_e32 v7, 4, v7
	s_delay_alu instid0(VALU_DEP_1) | instskip(NEXT) | instid1(VALU_DEP_1)
	v_dual_sub_nc_u32 v5, v7, v5 :: v_dual_ashrrev_i32 v7, 8, v10
	v_add_nc_u32_e32 v5, 0x3c000000, v5
	s_delay_alu instid0(VALU_DEP_1) | instskip(NEXT) | instid1(VALU_DEP_1)
	v_and_or_b32 v5, 0x7f800000, v7, v5
	v_cndmask_b32_e32 v3, 0, v5, vcc_lo
	s_delay_alu instid0(VALU_DEP_1)
	v_and_or_b32 v1, 0x80000000, v1, v3
.LBB151_1132:
	s_mov_b32 s30, 0
.LBB151_1133:
	s_delay_alu instid0(SALU_CYCLE_1)
	s_and_not1_b32 vcc_lo, exec_lo, s30
	s_cbranch_vccnz .LBB151_1135
; %bb.1134:
	global_load_u8 v1, v[8:9], off
	s_wait_loadcnt 0x0
	v_lshlrev_b32_e32 v3, 25, v1
	v_lshlrev_b16 v1, 8, v1
	s_delay_alu instid0(VALU_DEP_1) | instskip(SKIP_1) | instid1(VALU_DEP_2)
	v_and_or_b32 v7, 0x7f00, v1, 0.5
	v_bfe_i32 v1, v1, 0, 16
	v_add_f32_e32 v7, -0.5, v7
	v_lshrrev_b32_e32 v5, 4, v3
	v_cmp_gt_u32_e32 vcc_lo, 0x8000000, v3
	s_delay_alu instid0(VALU_DEP_2) | instskip(NEXT) | instid1(VALU_DEP_1)
	v_or_b32_e32 v5, 0x70000000, v5
	v_mul_f32_e32 v5, 0x7800000, v5
	s_delay_alu instid0(VALU_DEP_1) | instskip(NEXT) | instid1(VALU_DEP_1)
	v_cndmask_b32_e32 v3, v5, v7, vcc_lo
	v_and_or_b32 v1, 0x80000000, v1, v3
.LBB151_1135:
	s_mov_b32 s31, 0
	s_mov_b32 s30, -1
.LBB151_1136:
	s_and_not1_b32 vcc_lo, exec_lo, s31
	s_cbranch_vccnz .LBB151_1149
; %bb.1137:
	s_cmp_gt_i32 s29, 14
	s_cbranch_scc0 .LBB151_1140
; %bb.1138:
	s_cmp_eq_u32 s29, 15
	s_cbranch_scc0 .LBB151_1143
; %bb.1139:
	global_load_u16 v1, v[8:9], off
	s_mov_b32 s30, -1
	s_mov_b32 s28, 0
	s_wait_loadcnt 0x0
	v_lshlrev_b32_e32 v1, 16, v1
	s_branch .LBB151_1144
.LBB151_1140:
	s_mov_b32 s31, -1
                                        ; implicit-def: $vgpr1
	s_branch .LBB151_1145
.LBB151_1141:
	s_or_saveexec_b32 s31, s31
	v_mov_b32_e32 v1, 0x7f800001
	s_xor_b32 exec_lo, exec_lo, s31
	s_cbranch_execz .LBB151_1122
.LBB151_1142:
	v_cmp_ne_u16_e32 vcc_lo, 0, v3
	v_mov_b32_e32 v1, 0
	s_and_not1_b32 s30, s30, exec_lo
	s_and_b32 s56, vcc_lo, exec_lo
	s_delay_alu instid0(SALU_CYCLE_1)
	s_or_b32 s30, s30, s56
	s_or_b32 exec_lo, exec_lo, s31
	s_and_saveexec_b32 s31, s30
	s_cbranch_execnz .LBB151_1123
	s_branch .LBB151_1124
.LBB151_1143:
	s_mov_b32 s28, -1
                                        ; implicit-def: $vgpr1
.LBB151_1144:
	s_mov_b32 s31, 0
.LBB151_1145:
	s_delay_alu instid0(SALU_CYCLE_1)
	s_and_b32 vcc_lo, exec_lo, s31
	s_cbranch_vccz .LBB151_1149
; %bb.1146:
	s_cmp_eq_u32 s29, 11
	s_cbranch_scc0 .LBB151_1148
; %bb.1147:
	global_load_u8 v1, v[8:9], off
	s_mov_b32 s28, 0
	s_mov_b32 s30, -1
	s_wait_loadcnt 0x0
	v_cmp_ne_u16_e32 vcc_lo, 0, v1
	v_cndmask_b32_e64 v1, 0, 1.0, vcc_lo
	s_branch .LBB151_1149
.LBB151_1148:
	s_mov_b32 s28, -1
                                        ; implicit-def: $vgpr1
.LBB151_1149:
	s_mov_b32 s29, 0
.LBB151_1150:
	s_delay_alu instid0(SALU_CYCLE_1)
	s_and_b32 vcc_lo, exec_lo, s29
	s_cbranch_vccz .LBB151_1199
; %bb.1151:
	s_and_b32 s0, 0xffff, s0
	s_delay_alu instid0(SALU_CYCLE_1)
	s_cmp_lt_i32 s0, 5
	s_cbranch_scc1 .LBB151_1156
; %bb.1152:
	s_cmp_lt_i32 s0, 8
	s_cbranch_scc1 .LBB151_1157
; %bb.1153:
	;; [unrolled: 3-line block ×3, first 2 shown]
	s_cmp_gt_i32 s0, 9
	s_cbranch_scc0 .LBB151_1159
; %bb.1155:
	global_load_b64 v[10:11], v[8:9], off
	s_mov_b32 s29, 0
	s_wait_loadcnt 0x0
	v_cvt_f32_f64_e32 v1, v[10:11]
	s_branch .LBB151_1160
.LBB151_1156:
	s_mov_b32 s29, -1
                                        ; implicit-def: $vgpr1
	s_branch .LBB151_1178
.LBB151_1157:
	s_mov_b32 s29, -1
                                        ; implicit-def: $vgpr1
	s_branch .LBB151_1166
.LBB151_1158:
	s_mov_b32 s29, -1
                                        ; implicit-def: $vgpr1
	s_branch .LBB151_1163
.LBB151_1159:
	s_mov_b32 s29, -1
                                        ; implicit-def: $vgpr1
.LBB151_1160:
	s_delay_alu instid0(SALU_CYCLE_1)
	s_and_not1_b32 vcc_lo, exec_lo, s29
	s_cbranch_vccnz .LBB151_1162
; %bb.1161:
	global_load_b32 v1, v[8:9], off
.LBB151_1162:
	s_mov_b32 s29, 0
.LBB151_1163:
	s_delay_alu instid0(SALU_CYCLE_1)
	s_and_not1_b32 vcc_lo, exec_lo, s29
	s_cbranch_vccnz .LBB151_1165
; %bb.1164:
	s_wait_loadcnt 0x0
	global_load_b32 v1, v[8:9], off
	s_wait_loadcnt 0x0
	v_cvt_f32_f16_e32 v1, v1
.LBB151_1165:
	s_mov_b32 s29, 0
.LBB151_1166:
	s_delay_alu instid0(SALU_CYCLE_1)
	s_and_not1_b32 vcc_lo, exec_lo, s29
	s_cbranch_vccnz .LBB151_1177
; %bb.1167:
	s_cmp_lt_i32 s0, 6
	s_cbranch_scc1 .LBB151_1170
; %bb.1168:
	s_cmp_gt_i32 s0, 6
	s_cbranch_scc0 .LBB151_1171
; %bb.1169:
	global_load_b64 v[10:11], v[8:9], off
	s_mov_b32 s29, 0
	s_wait_loadcnt 0x0
	v_cvt_f32_f64_e32 v1, v[10:11]
	s_branch .LBB151_1172
.LBB151_1170:
	s_mov_b32 s29, -1
                                        ; implicit-def: $vgpr1
	s_branch .LBB151_1175
.LBB151_1171:
	s_mov_b32 s29, -1
                                        ; implicit-def: $vgpr1
.LBB151_1172:
	s_delay_alu instid0(SALU_CYCLE_1)
	s_and_not1_b32 vcc_lo, exec_lo, s29
	s_cbranch_vccnz .LBB151_1174
; %bb.1173:
	s_wait_loadcnt 0x0
	global_load_b32 v1, v[8:9], off
.LBB151_1174:
	s_mov_b32 s29, 0
.LBB151_1175:
	s_delay_alu instid0(SALU_CYCLE_1)
	s_and_not1_b32 vcc_lo, exec_lo, s29
	s_cbranch_vccnz .LBB151_1177
; %bb.1176:
	s_wait_loadcnt 0x0
	global_load_u16 v1, v[8:9], off
	s_wait_loadcnt 0x0
	v_cvt_f32_f16_e32 v1, v1
.LBB151_1177:
	s_mov_b32 s29, 0
.LBB151_1178:
	s_delay_alu instid0(SALU_CYCLE_1)
	s_and_not1_b32 vcc_lo, exec_lo, s29
	s_cbranch_vccnz .LBB151_1198
; %bb.1179:
	s_cmp_lt_i32 s0, 2
	s_cbranch_scc1 .LBB151_1183
; %bb.1180:
	s_cmp_lt_i32 s0, 3
	s_cbranch_scc1 .LBB151_1184
; %bb.1181:
	s_cmp_gt_i32 s0, 3
	s_cbranch_scc0 .LBB151_1185
; %bb.1182:
	global_load_b64 v[10:11], v[8:9], off
	s_mov_b32 s29, 0
	s_wait_loadcnt 0x0
	v_xor_b32_e32 v1, v10, v11
	v_cls_i32_e32 v3, v11
	s_delay_alu instid0(VALU_DEP_2) | instskip(NEXT) | instid1(VALU_DEP_1)
	v_ashrrev_i32_e32 v1, 31, v1
	v_add_nc_u32_e32 v1, 32, v1
	s_delay_alu instid0(VALU_DEP_1) | instskip(NEXT) | instid1(VALU_DEP_1)
	v_add_min_u32_e64 v1, v3, -1, v1
	v_lshlrev_b64_e32 v[10:11], v1, v[10:11]
	v_sub_nc_u32_e32 v1, 32, v1
	s_delay_alu instid0(VALU_DEP_2) | instskip(NEXT) | instid1(VALU_DEP_1)
	v_min_u32_e32 v3, 1, v10
	v_or_b32_e32 v3, v11, v3
	s_delay_alu instid0(VALU_DEP_1) | instskip(NEXT) | instid1(VALU_DEP_1)
	v_cvt_f32_i32_e32 v3, v3
	v_ldexp_f32 v1, v3, v1
	s_branch .LBB151_1186
.LBB151_1183:
	s_mov_b32 s29, -1
                                        ; implicit-def: $vgpr1
	s_branch .LBB151_1192
.LBB151_1184:
	s_mov_b32 s29, -1
                                        ; implicit-def: $vgpr1
	s_branch .LBB151_1189
.LBB151_1185:
	s_mov_b32 s29, -1
                                        ; implicit-def: $vgpr1
.LBB151_1186:
	s_delay_alu instid0(SALU_CYCLE_1)
	s_and_not1_b32 vcc_lo, exec_lo, s29
	s_cbranch_vccnz .LBB151_1188
; %bb.1187:
	s_wait_loadcnt 0x0
	global_load_b32 v1, v[8:9], off
	s_wait_loadcnt 0x0
	v_cvt_f32_i32_e32 v1, v1
.LBB151_1188:
	s_mov_b32 s29, 0
.LBB151_1189:
	s_delay_alu instid0(SALU_CYCLE_1)
	s_and_not1_b32 vcc_lo, exec_lo, s29
	s_cbranch_vccnz .LBB151_1191
; %bb.1190:
	s_wait_loadcnt 0x0
	global_load_i16 v1, v[8:9], off
	s_wait_loadcnt 0x0
	v_cvt_f32_i32_e32 v1, v1
.LBB151_1191:
	s_mov_b32 s29, 0
.LBB151_1192:
	s_delay_alu instid0(SALU_CYCLE_1)
	s_and_not1_b32 vcc_lo, exec_lo, s29
	s_cbranch_vccnz .LBB151_1198
; %bb.1193:
	s_cmp_gt_i32 s0, 0
	s_mov_b32 s0, 0
	s_cbranch_scc0 .LBB151_1195
; %bb.1194:
	s_wait_loadcnt 0x0
	global_load_i8 v1, v[8:9], off
	s_wait_loadcnt 0x0
	v_cvt_f32_i32_e32 v1, v1
	s_branch .LBB151_1196
.LBB151_1195:
	s_mov_b32 s0, -1
                                        ; implicit-def: $vgpr1
.LBB151_1196:
	s_delay_alu instid0(SALU_CYCLE_1)
	s_and_not1_b32 vcc_lo, exec_lo, s0
	s_cbranch_vccnz .LBB151_1198
; %bb.1197:
	s_wait_loadcnt 0x0
	global_load_u8 v1, v[8:9], off
	s_wait_loadcnt 0x0
	v_cvt_f32_ubyte0_e32 v1, v1
.LBB151_1198:
	s_mov_b32 s30, -1
.LBB151_1199:
	s_delay_alu instid0(SALU_CYCLE_1)
	s_and_not1_b32 vcc_lo, exec_lo, s30
	s_cbranch_vccnz .LBB151_1207
; %bb.1200:
	v_mov_b32_e32 v7, 0
	s_and_b32 s0, s39, 0xff
	s_delay_alu instid0(SALU_CYCLE_1) | instskip(NEXT) | instid1(VALU_DEP_1)
	s_cmp_lt_i32 s0, 11
	v_add_nc_u64_e32 v[6:7], s[8:9], v[6:7]
	s_cbranch_scc1 .LBB151_1208
; %bb.1201:
	s_and_b32 s30, 0xffff, s0
	s_delay_alu instid0(SALU_CYCLE_1)
	s_cmp_gt_i32 s30, 25
	s_cbranch_scc0 .LBB151_1209
; %bb.1202:
	s_cmp_gt_i32 s30, 28
	s_cbranch_scc0 .LBB151_1210
; %bb.1203:
	;; [unrolled: 3-line block ×4, first 2 shown]
	s_cmp_eq_u32 s30, 46
	s_mov_b32 s56, 0
	s_cbranch_scc0 .LBB151_1215
; %bb.1206:
	global_load_b32 v3, v[6:7], off
	s_mov_b32 s31, -1
	s_mov_b32 s29, 0
	s_wait_loadcnt 0x0
	s_wait_xcnt 0x1
	v_lshlrev_b32_e32 v8, 16, v3
	s_branch .LBB151_1217
.LBB151_1207:
	s_mov_b32 s31, 0
	s_mov_b32 s0, s51
	;; [unrolled: 1-line block ×4, first 2 shown]
	s_branch .LBB151_1588
.LBB151_1208:
	s_mov_b32 s30, -1
	s_mov_b32 s31, 0
	s_mov_b32 s29, s53
                                        ; implicit-def: $vgpr8
	s_branch .LBB151_1282
.LBB151_1209:
	s_mov_b32 s56, -1
	s_mov_b32 s31, 0
	s_mov_b32 s29, s53
                                        ; implicit-def: $vgpr8
	s_branch .LBB151_1246
.LBB151_1210:
	s_mov_b32 s56, -1
	s_mov_b32 s31, 0
	s_mov_b32 s29, s53
                                        ; implicit-def: $vgpr8
	s_branch .LBB151_1227
.LBB151_1211:
	s_mov_b32 s56, -1
	s_mov_b32 s31, 0
	s_mov_b32 s29, s53
                                        ; implicit-def: $vgpr8
	s_branch .LBB151_1222
.LBB151_1212:
	s_mov_b32 s56, -1
	s_mov_b32 s31, 0
	s_mov_b32 s29, s53
	s_branch .LBB151_1216
.LBB151_1213:
	s_and_not1_saveexec_b32 s53, s53
	s_cbranch_execz .LBB151_965
.LBB151_1214:
	v_add_f32_e64 v1, 0x46000000, |v4|
	s_and_not1_b32 s52, s52, exec_lo
	s_delay_alu instid0(VALU_DEP_1) | instskip(NEXT) | instid1(VALU_DEP_1)
	v_and_b32_e32 v1, 0xff, v1
	v_cmp_ne_u32_e32 vcc_lo, 0, v1
	s_and_b32 s55, vcc_lo, exec_lo
	s_delay_alu instid0(SALU_CYCLE_1)
	s_or_b32 s52, s52, s55
	s_or_b32 exec_lo, exec_lo, s53
	v_mov_b32_e32 v5, 0
	s_and_saveexec_b32 s53, s52
	s_cbranch_execnz .LBB151_966
	s_branch .LBB151_967
.LBB151_1215:
	s_mov_b32 s29, -1
	s_mov_b32 s31, 0
.LBB151_1216:
                                        ; implicit-def: $vgpr8
.LBB151_1217:
	s_and_b32 vcc_lo, exec_lo, s56
	s_cbranch_vccz .LBB151_1221
; %bb.1218:
	s_cmp_eq_u32 s30, 44
	s_cbranch_scc0 .LBB151_1220
; %bb.1219:
	global_load_u8 v3, v[6:7], off
	s_mov_b32 s29, 0
	s_mov_b32 s31, -1
	s_wait_loadcnt 0x0
	v_lshlrev_b32_e32 v5, 23, v3
	v_cmp_ne_u32_e32 vcc_lo, 0xff, v3
	s_delay_alu instid0(VALU_DEP_2) | instskip(SKIP_2) | instid1(VALU_DEP_2)
	v_cndmask_b32_e32 v5, 0x7f800001, v5, vcc_lo
	v_cmp_ne_u32_e32 vcc_lo, 0, v3
	s_wait_xcnt 0x1
	v_cndmask_b32_e32 v8, 0x400000, v5, vcc_lo
	s_branch .LBB151_1221
.LBB151_1220:
	s_mov_b32 s29, -1
                                        ; implicit-def: $vgpr8
.LBB151_1221:
	s_mov_b32 s56, 0
.LBB151_1222:
	s_delay_alu instid0(SALU_CYCLE_1)
	s_and_b32 vcc_lo, exec_lo, s56
	s_cbranch_vccz .LBB151_1226
; %bb.1223:
	s_cmp_eq_u32 s30, 29
	s_cbranch_scc0 .LBB151_1225
; %bb.1224:
	global_load_b64 v[8:9], v[6:7], off
	s_mov_b32 s31, -1
	s_mov_b32 s29, 0
	s_mov_b32 s56, 0
	s_wait_loadcnt 0x0
	v_clz_i32_u32_e32 v3, v9
	s_delay_alu instid0(VALU_DEP_1) | instskip(NEXT) | instid1(VALU_DEP_1)
	v_min_u32_e32 v3, 32, v3
	v_lshlrev_b64_e32 v[8:9], v3, v[8:9]
	v_sub_nc_u32_e32 v3, 32, v3
	s_delay_alu instid0(VALU_DEP_2) | instskip(NEXT) | instid1(VALU_DEP_1)
	v_min_u32_e32 v5, 1, v8
	v_or_b32_e32 v5, v9, v5
	s_delay_alu instid0(VALU_DEP_1) | instskip(NEXT) | instid1(VALU_DEP_1)
	v_cvt_f32_u32_e32 v5, v5
	v_ldexp_f32 v8, v5, v3
	s_branch .LBB151_1227
.LBB151_1225:
	s_mov_b32 s29, -1
                                        ; implicit-def: $vgpr8
.LBB151_1226:
	s_mov_b32 s56, 0
.LBB151_1227:
	s_delay_alu instid0(SALU_CYCLE_1)
	s_and_b32 vcc_lo, exec_lo, s56
	s_cbranch_vccz .LBB151_1245
; %bb.1228:
	s_cmp_lt_i32 s30, 27
	s_cbranch_scc1 .LBB151_1231
; %bb.1229:
	s_cmp_gt_i32 s30, 27
	s_cbranch_scc0 .LBB151_1232
; %bb.1230:
	global_load_b32 v3, v[6:7], off
	s_mov_b32 s31, 0
	s_wait_loadcnt 0x0
	s_wait_xcnt 0x1
	v_cvt_f32_u32_e32 v8, v3
	s_branch .LBB151_1233
.LBB151_1231:
	s_mov_b32 s31, -1
                                        ; implicit-def: $vgpr8
	s_branch .LBB151_1236
.LBB151_1232:
	s_mov_b32 s31, -1
                                        ; implicit-def: $vgpr8
.LBB151_1233:
	s_delay_alu instid0(SALU_CYCLE_1)
	s_and_not1_b32 vcc_lo, exec_lo, s31
	s_cbranch_vccnz .LBB151_1235
; %bb.1234:
	global_load_u16 v3, v[6:7], off
	s_wait_loadcnt 0x0
	s_wait_xcnt 0x1
	v_cvt_f32_u32_e32 v8, v3
.LBB151_1235:
	s_mov_b32 s31, 0
.LBB151_1236:
	s_delay_alu instid0(SALU_CYCLE_1)
	s_and_not1_b32 vcc_lo, exec_lo, s31
	s_cbranch_vccnz .LBB151_1244
; %bb.1237:
	global_load_u8 v3, v[6:7], off
	s_mov_b32 s31, 0
	s_mov_b32 s56, exec_lo
	s_wait_loadcnt 0x0
	v_cmpx_lt_i16_e32 0x7f, v3
	s_xor_b32 s56, exec_lo, s56
	s_cbranch_execz .LBB151_1258
; %bb.1238:
	s_mov_b32 s31, -1
	s_mov_b32 s57, exec_lo
	v_cmpx_eq_u16_e32 0x80, v3
; %bb.1239:
	s_xor_b32 s31, exec_lo, -1
; %bb.1240:
	s_or_b32 exec_lo, exec_lo, s57
	s_delay_alu instid0(SALU_CYCLE_1)
	s_and_b32 s31, s31, exec_lo
	s_or_saveexec_b32 s56, s56
	v_mov_b32_e32 v8, 0x7f800001
	s_xor_b32 exec_lo, exec_lo, s56
	s_cbranch_execnz .LBB151_1259
.LBB151_1241:
	s_or_b32 exec_lo, exec_lo, s56
	s_and_saveexec_b32 s56, s31
	s_cbranch_execz .LBB151_1243
.LBB151_1242:
	v_and_b32_e32 v5, 0xffff, v3
	s_delay_alu instid0(VALU_DEP_1) | instskip(SKIP_1) | instid1(VALU_DEP_2)
	v_dual_lshlrev_b32 v3, 24, v3 :: v_dual_bitop2_b32 v8, 7, v5 bitop3:0x40
	v_bfe_u32 v11, v5, 3, 4
	v_and_b32_e32 v3, 0x80000000, v3
	s_delay_alu instid0(VALU_DEP_3) | instskip(NEXT) | instid1(VALU_DEP_3)
	v_clz_i32_u32_e32 v9, v8
	v_cmp_eq_u32_e32 vcc_lo, 0, v11
	s_delay_alu instid0(VALU_DEP_2) | instskip(NEXT) | instid1(VALU_DEP_1)
	v_min_u32_e32 v9, 32, v9
	v_subrev_nc_u32_e32 v10, 28, v9
	v_sub_nc_u32_e32 v9, 29, v9
	s_delay_alu instid0(VALU_DEP_2) | instskip(NEXT) | instid1(VALU_DEP_2)
	v_lshlrev_b32_e32 v5, v10, v5
	v_cndmask_b32_e32 v9, v11, v9, vcc_lo
	s_delay_alu instid0(VALU_DEP_2) | instskip(NEXT) | instid1(VALU_DEP_1)
	v_and_b32_e32 v5, 7, v5
	v_cndmask_b32_e32 v5, v8, v5, vcc_lo
	s_delay_alu instid0(VALU_DEP_3) | instskip(NEXT) | instid1(VALU_DEP_2)
	v_lshl_add_u32 v8, v9, 23, 0x3b800000
	v_lshlrev_b32_e32 v5, 20, v5
	s_delay_alu instid0(VALU_DEP_1)
	v_or3_b32 v8, v3, v8, v5
.LBB151_1243:
	s_or_b32 exec_lo, exec_lo, s56
.LBB151_1244:
	s_mov_b32 s31, -1
.LBB151_1245:
	s_mov_b32 s56, 0
.LBB151_1246:
	s_delay_alu instid0(SALU_CYCLE_1)
	s_and_b32 vcc_lo, exec_lo, s56
	s_cbranch_vccz .LBB151_1281
; %bb.1247:
	s_cmp_gt_i32 s30, 22
	s_cbranch_scc0 .LBB151_1257
; %bb.1248:
	s_cmp_lt_i32 s30, 24
	s_cbranch_scc1 .LBB151_1260
; %bb.1249:
	s_cmp_gt_i32 s30, 24
	s_cbranch_scc0 .LBB151_1261
; %bb.1250:
	global_load_u8 v3, v[6:7], off
	s_mov_b32 s31, 0
	s_mov_b32 s56, exec_lo
	s_wait_loadcnt 0x0
	v_cmpx_lt_i16_e32 0x7f, v3
	s_xor_b32 s56, exec_lo, s56
	s_cbranch_execz .LBB151_1273
; %bb.1251:
	s_mov_b32 s31, -1
	s_mov_b32 s57, exec_lo
	v_cmpx_eq_u16_e32 0x80, v3
; %bb.1252:
	s_xor_b32 s31, exec_lo, -1
; %bb.1253:
	s_or_b32 exec_lo, exec_lo, s57
	s_delay_alu instid0(SALU_CYCLE_1)
	s_and_b32 s31, s31, exec_lo
	s_or_saveexec_b32 s56, s56
	v_mov_b32_e32 v8, 0x7f800001
	s_xor_b32 exec_lo, exec_lo, s56
	s_cbranch_execnz .LBB151_1274
.LBB151_1254:
	s_or_b32 exec_lo, exec_lo, s56
	s_and_saveexec_b32 s56, s31
	s_cbranch_execz .LBB151_1256
.LBB151_1255:
	v_and_b32_e32 v5, 0xffff, v3
	s_delay_alu instid0(VALU_DEP_1) | instskip(SKIP_1) | instid1(VALU_DEP_2)
	v_dual_lshlrev_b32 v3, 24, v3 :: v_dual_bitop2_b32 v8, 3, v5 bitop3:0x40
	v_bfe_u32 v11, v5, 2, 5
	v_and_b32_e32 v3, 0x80000000, v3
	s_delay_alu instid0(VALU_DEP_3) | instskip(NEXT) | instid1(VALU_DEP_3)
	v_clz_i32_u32_e32 v9, v8
	v_cmp_eq_u32_e32 vcc_lo, 0, v11
	s_delay_alu instid0(VALU_DEP_2) | instskip(NEXT) | instid1(VALU_DEP_1)
	v_min_u32_e32 v9, 32, v9
	v_subrev_nc_u32_e32 v10, 29, v9
	v_sub_nc_u32_e32 v9, 30, v9
	s_delay_alu instid0(VALU_DEP_2) | instskip(NEXT) | instid1(VALU_DEP_2)
	v_lshlrev_b32_e32 v5, v10, v5
	v_cndmask_b32_e32 v9, v11, v9, vcc_lo
	s_delay_alu instid0(VALU_DEP_2) | instskip(NEXT) | instid1(VALU_DEP_1)
	v_and_b32_e32 v5, 3, v5
	v_cndmask_b32_e32 v5, v8, v5, vcc_lo
	s_delay_alu instid0(VALU_DEP_3) | instskip(NEXT) | instid1(VALU_DEP_2)
	v_lshl_add_u32 v8, v9, 23, 0x37800000
	v_lshlrev_b32_e32 v5, 21, v5
	s_delay_alu instid0(VALU_DEP_1)
	v_or3_b32 v8, v3, v8, v5
.LBB151_1256:
	s_or_b32 exec_lo, exec_lo, s56
	s_mov_b32 s31, 0
	s_branch .LBB151_1262
.LBB151_1257:
	s_mov_b32 s56, -1
                                        ; implicit-def: $vgpr8
	s_branch .LBB151_1268
.LBB151_1258:
	s_or_saveexec_b32 s56, s56
	v_mov_b32_e32 v8, 0x7f800001
	s_xor_b32 exec_lo, exec_lo, s56
	s_cbranch_execz .LBB151_1241
.LBB151_1259:
	v_cmp_ne_u16_e32 vcc_lo, 0, v3
	v_mov_b32_e32 v8, 0
	s_and_not1_b32 s31, s31, exec_lo
	s_and_b32 s57, vcc_lo, exec_lo
	s_delay_alu instid0(SALU_CYCLE_1)
	s_or_b32 s31, s31, s57
	s_or_b32 exec_lo, exec_lo, s56
	s_and_saveexec_b32 s56, s31
	s_cbranch_execnz .LBB151_1242
	s_branch .LBB151_1243
.LBB151_1260:
	s_mov_b32 s31, -1
                                        ; implicit-def: $vgpr8
	s_branch .LBB151_1265
.LBB151_1261:
	s_mov_b32 s31, -1
                                        ; implicit-def: $vgpr8
.LBB151_1262:
	s_delay_alu instid0(SALU_CYCLE_1)
	s_and_b32 vcc_lo, exec_lo, s31
	s_cbranch_vccz .LBB151_1264
; %bb.1263:
	global_load_u8 v3, v[6:7], off
	s_wait_loadcnt 0x0
	v_lshlrev_b32_e32 v3, 24, v3
	s_delay_alu instid0(VALU_DEP_1) | instskip(SKIP_1) | instid1(VALU_DEP_1)
	v_and_b32_e32 v5, 0x7f000000, v3
	s_wait_xcnt 0x1
	v_clz_i32_u32_e32 v8, v5
	v_cmp_ne_u32_e32 vcc_lo, 0, v5
	v_add_nc_u32_e32 v10, 0x1000000, v5
	s_delay_alu instid0(VALU_DEP_3) | instskip(NEXT) | instid1(VALU_DEP_1)
	v_min_u32_e32 v8, 32, v8
	v_sub_nc_u32_e64 v8, v8, 4 clamp
	s_delay_alu instid0(VALU_DEP_1) | instskip(NEXT) | instid1(VALU_DEP_1)
	v_dual_lshlrev_b32 v9, v8, v5 :: v_dual_lshlrev_b32 v8, 23, v8
	v_lshrrev_b32_e32 v9, 4, v9
	s_delay_alu instid0(VALU_DEP_1) | instskip(NEXT) | instid1(VALU_DEP_1)
	v_dual_sub_nc_u32 v8, v9, v8 :: v_dual_ashrrev_i32 v9, 8, v10
	v_add_nc_u32_e32 v8, 0x3c000000, v8
	s_delay_alu instid0(VALU_DEP_1) | instskip(NEXT) | instid1(VALU_DEP_1)
	v_and_or_b32 v8, 0x7f800000, v9, v8
	v_cndmask_b32_e32 v5, 0, v8, vcc_lo
	s_delay_alu instid0(VALU_DEP_1)
	v_and_or_b32 v8, 0x80000000, v3, v5
.LBB151_1264:
	s_mov_b32 s31, 0
.LBB151_1265:
	s_delay_alu instid0(SALU_CYCLE_1)
	s_and_not1_b32 vcc_lo, exec_lo, s31
	s_cbranch_vccnz .LBB151_1267
; %bb.1266:
	global_load_u8 v3, v[6:7], off
	s_wait_loadcnt 0x0
	v_lshlrev_b32_e32 v5, 25, v3
	v_lshlrev_b16 v3, 8, v3
	s_wait_xcnt 0x1
	s_delay_alu instid0(VALU_DEP_1) | instskip(SKIP_1) | instid1(VALU_DEP_2)
	v_and_or_b32 v9, 0x7f00, v3, 0.5
	v_bfe_i32 v3, v3, 0, 16
	v_add_f32_e32 v9, -0.5, v9
	v_lshrrev_b32_e32 v8, 4, v5
	v_cmp_gt_u32_e32 vcc_lo, 0x8000000, v5
	s_delay_alu instid0(VALU_DEP_2) | instskip(NEXT) | instid1(VALU_DEP_1)
	v_or_b32_e32 v8, 0x70000000, v8
	v_mul_f32_e32 v8, 0x7800000, v8
	s_delay_alu instid0(VALU_DEP_1) | instskip(NEXT) | instid1(VALU_DEP_1)
	v_cndmask_b32_e32 v5, v8, v9, vcc_lo
	v_and_or_b32 v8, 0x80000000, v3, v5
.LBB151_1267:
	s_mov_b32 s56, 0
	s_mov_b32 s31, -1
.LBB151_1268:
	s_and_not1_b32 vcc_lo, exec_lo, s56
	s_cbranch_vccnz .LBB151_1281
; %bb.1269:
	s_cmp_gt_i32 s30, 14
	s_cbranch_scc0 .LBB151_1272
; %bb.1270:
	s_cmp_eq_u32 s30, 15
	s_cbranch_scc0 .LBB151_1275
; %bb.1271:
	global_load_u16 v3, v[6:7], off
	s_mov_b32 s31, -1
	s_mov_b32 s29, 0
	s_wait_loadcnt 0x0
	s_wait_xcnt 0x1
	v_lshlrev_b32_e32 v8, 16, v3
	s_branch .LBB151_1276
.LBB151_1272:
	s_mov_b32 s56, -1
                                        ; implicit-def: $vgpr8
	s_branch .LBB151_1277
.LBB151_1273:
	s_or_saveexec_b32 s56, s56
	v_mov_b32_e32 v8, 0x7f800001
	s_xor_b32 exec_lo, exec_lo, s56
	s_cbranch_execz .LBB151_1254
.LBB151_1274:
	v_cmp_ne_u16_e32 vcc_lo, 0, v3
	v_mov_b32_e32 v8, 0
	s_and_not1_b32 s31, s31, exec_lo
	s_and_b32 s57, vcc_lo, exec_lo
	s_delay_alu instid0(SALU_CYCLE_1)
	s_or_b32 s31, s31, s57
	s_or_b32 exec_lo, exec_lo, s56
	s_and_saveexec_b32 s56, s31
	s_cbranch_execnz .LBB151_1255
	s_branch .LBB151_1256
.LBB151_1275:
	s_mov_b32 s29, -1
                                        ; implicit-def: $vgpr8
.LBB151_1276:
	s_mov_b32 s56, 0
.LBB151_1277:
	s_delay_alu instid0(SALU_CYCLE_1)
	s_and_b32 vcc_lo, exec_lo, s56
	s_cbranch_vccz .LBB151_1281
; %bb.1278:
	s_cmp_eq_u32 s30, 11
	s_cbranch_scc0 .LBB151_1280
; %bb.1279:
	global_load_u8 v3, v[6:7], off
	s_mov_b32 s29, 0
	s_mov_b32 s31, -1
	s_wait_loadcnt 0x0
	v_cmp_ne_u16_e32 vcc_lo, 0, v3
	s_wait_xcnt 0x1
	v_cndmask_b32_e64 v8, 0, 1.0, vcc_lo
	s_branch .LBB151_1281
.LBB151_1280:
	s_mov_b32 s29, -1
                                        ; implicit-def: $vgpr8
.LBB151_1281:
	s_mov_b32 s30, 0
.LBB151_1282:
	s_delay_alu instid0(SALU_CYCLE_1)
	s_and_b32 vcc_lo, exec_lo, s30
	s_cbranch_vccz .LBB151_1331
; %bb.1283:
	s_and_b32 s0, 0xffff, s0
	s_delay_alu instid0(SALU_CYCLE_1)
	s_cmp_lt_i32 s0, 5
	s_cbranch_scc1 .LBB151_1288
; %bb.1284:
	s_cmp_lt_i32 s0, 8
	s_cbranch_scc1 .LBB151_1289
; %bb.1285:
	;; [unrolled: 3-line block ×3, first 2 shown]
	s_cmp_gt_i32 s0, 9
	s_cbranch_scc0 .LBB151_1291
; %bb.1287:
	global_load_b64 v[8:9], v[6:7], off
	s_mov_b32 s30, 0
	s_wait_loadcnt 0x0
	v_cvt_f32_f64_e32 v8, v[8:9]
	s_branch .LBB151_1292
.LBB151_1288:
	s_mov_b32 s30, -1
                                        ; implicit-def: $vgpr8
	s_branch .LBB151_1310
.LBB151_1289:
	s_mov_b32 s30, -1
                                        ; implicit-def: $vgpr8
	s_branch .LBB151_1298
.LBB151_1290:
	s_mov_b32 s30, -1
                                        ; implicit-def: $vgpr8
	s_branch .LBB151_1295
.LBB151_1291:
	s_mov_b32 s30, -1
                                        ; implicit-def: $vgpr8
.LBB151_1292:
	s_delay_alu instid0(SALU_CYCLE_1)
	s_and_not1_b32 vcc_lo, exec_lo, s30
	s_cbranch_vccnz .LBB151_1294
; %bb.1293:
	global_load_b32 v8, v[6:7], off
.LBB151_1294:
	s_mov_b32 s30, 0
.LBB151_1295:
	s_delay_alu instid0(SALU_CYCLE_1)
	s_and_not1_b32 vcc_lo, exec_lo, s30
	s_cbranch_vccnz .LBB151_1297
; %bb.1296:
	global_load_b32 v3, v[6:7], off
	s_wait_loadcnt 0x0
	s_wait_xcnt 0x1
	v_cvt_f32_f16_e32 v8, v3
.LBB151_1297:
	s_mov_b32 s30, 0
.LBB151_1298:
	s_delay_alu instid0(SALU_CYCLE_1)
	s_and_not1_b32 vcc_lo, exec_lo, s30
	s_cbranch_vccnz .LBB151_1309
; %bb.1299:
	s_cmp_lt_i32 s0, 6
	s_cbranch_scc1 .LBB151_1302
; %bb.1300:
	s_cmp_gt_i32 s0, 6
	s_cbranch_scc0 .LBB151_1303
; %bb.1301:
	s_wait_loadcnt 0x0
	global_load_b64 v[8:9], v[6:7], off
	s_mov_b32 s30, 0
	s_wait_loadcnt 0x0
	v_cvt_f32_f64_e32 v8, v[8:9]
	s_branch .LBB151_1304
.LBB151_1302:
	s_mov_b32 s30, -1
                                        ; implicit-def: $vgpr8
	s_branch .LBB151_1307
.LBB151_1303:
	s_mov_b32 s30, -1
                                        ; implicit-def: $vgpr8
.LBB151_1304:
	s_delay_alu instid0(SALU_CYCLE_1)
	s_and_not1_b32 vcc_lo, exec_lo, s30
	s_cbranch_vccnz .LBB151_1306
; %bb.1305:
	s_wait_loadcnt 0x0
	global_load_b32 v8, v[6:7], off
.LBB151_1306:
	s_mov_b32 s30, 0
.LBB151_1307:
	s_delay_alu instid0(SALU_CYCLE_1)
	s_and_not1_b32 vcc_lo, exec_lo, s30
	s_cbranch_vccnz .LBB151_1309
; %bb.1308:
	global_load_u16 v3, v[6:7], off
	s_wait_loadcnt 0x0
	s_wait_xcnt 0x1
	v_cvt_f32_f16_e32 v8, v3
.LBB151_1309:
	s_mov_b32 s30, 0
.LBB151_1310:
	s_delay_alu instid0(SALU_CYCLE_1)
	s_and_not1_b32 vcc_lo, exec_lo, s30
	s_cbranch_vccnz .LBB151_1330
; %bb.1311:
	s_cmp_lt_i32 s0, 2
	s_cbranch_scc1 .LBB151_1315
; %bb.1312:
	s_cmp_lt_i32 s0, 3
	s_cbranch_scc1 .LBB151_1316
; %bb.1313:
	s_cmp_gt_i32 s0, 3
	s_cbranch_scc0 .LBB151_1317
; %bb.1314:
	s_wait_loadcnt 0x0
	global_load_b64 v[8:9], v[6:7], off
	s_mov_b32 s30, 0
	s_wait_loadcnt 0x0
	v_xor_b32_e32 v3, v8, v9
	v_cls_i32_e32 v5, v9
	s_delay_alu instid0(VALU_DEP_2) | instskip(NEXT) | instid1(VALU_DEP_1)
	v_ashrrev_i32_e32 v3, 31, v3
	v_add_nc_u32_e32 v3, 32, v3
	s_delay_alu instid0(VALU_DEP_1) | instskip(NEXT) | instid1(VALU_DEP_1)
	v_add_min_u32_e64 v3, v5, -1, v3
	v_lshlrev_b64_e32 v[8:9], v3, v[8:9]
	v_sub_nc_u32_e32 v3, 32, v3
	s_delay_alu instid0(VALU_DEP_2) | instskip(NEXT) | instid1(VALU_DEP_1)
	v_min_u32_e32 v5, 1, v8
	v_or_b32_e32 v5, v9, v5
	s_delay_alu instid0(VALU_DEP_1) | instskip(NEXT) | instid1(VALU_DEP_1)
	v_cvt_f32_i32_e32 v5, v5
	v_ldexp_f32 v8, v5, v3
	s_branch .LBB151_1318
.LBB151_1315:
	s_mov_b32 s30, -1
                                        ; implicit-def: $vgpr8
	s_branch .LBB151_1324
.LBB151_1316:
	s_mov_b32 s30, -1
                                        ; implicit-def: $vgpr8
	s_branch .LBB151_1321
.LBB151_1317:
	s_mov_b32 s30, -1
                                        ; implicit-def: $vgpr8
.LBB151_1318:
	s_delay_alu instid0(SALU_CYCLE_1)
	s_and_not1_b32 vcc_lo, exec_lo, s30
	s_cbranch_vccnz .LBB151_1320
; %bb.1319:
	global_load_b32 v3, v[6:7], off
	s_wait_loadcnt 0x0
	s_wait_xcnt 0x1
	v_cvt_f32_i32_e32 v8, v3
.LBB151_1320:
	s_mov_b32 s30, 0
.LBB151_1321:
	s_delay_alu instid0(SALU_CYCLE_1)
	s_and_not1_b32 vcc_lo, exec_lo, s30
	s_cbranch_vccnz .LBB151_1323
; %bb.1322:
	global_load_i16 v3, v[6:7], off
	s_wait_loadcnt 0x0
	s_wait_xcnt 0x1
	v_cvt_f32_i32_e32 v8, v3
.LBB151_1323:
	s_mov_b32 s30, 0
.LBB151_1324:
	s_delay_alu instid0(SALU_CYCLE_1)
	s_and_not1_b32 vcc_lo, exec_lo, s30
	s_cbranch_vccnz .LBB151_1330
; %bb.1325:
	s_cmp_gt_i32 s0, 0
	s_mov_b32 s0, 0
	s_cbranch_scc0 .LBB151_1327
; %bb.1326:
	global_load_i8 v3, v[6:7], off
	s_wait_loadcnt 0x0
	s_wait_xcnt 0x1
	v_cvt_f32_i32_e32 v8, v3
	s_branch .LBB151_1328
.LBB151_1327:
	s_mov_b32 s0, -1
                                        ; implicit-def: $vgpr8
.LBB151_1328:
	s_delay_alu instid0(SALU_CYCLE_1)
	s_and_not1_b32 vcc_lo, exec_lo, s0
	s_cbranch_vccnz .LBB151_1330
; %bb.1329:
	global_load_u8 v3, v[6:7], off
	s_wait_loadcnt 0x0
	s_wait_xcnt 0x1
	v_cvt_f32_ubyte0_e32 v8, v3
.LBB151_1330:
	s_mov_b32 s31, -1
.LBB151_1331:
	s_delay_alu instid0(SALU_CYCLE_1)
	s_and_not1_b32 vcc_lo, exec_lo, s31
	s_cbranch_vccnz .LBB151_1339
; %bb.1332:
	v_mov_b32_e32 v5, 0
	s_and_b32 s0, 0xffff, s21
	s_delay_alu instid0(SALU_CYCLE_1) | instskip(NEXT) | instid1(VALU_DEP_1)
	s_cmp_lt_i32 s0, 11
	v_add_nc_u64_e32 v[4:5], s[10:11], v[4:5]
	s_cbranch_scc1 .LBB151_1340
; %bb.1333:
	s_cmp_gt_i32 s0, 25
	s_cbranch_scc0 .LBB151_1341
; %bb.1334:
	s_cmp_gt_i32 s0, 28
	s_cbranch_scc0 .LBB151_1342
	;; [unrolled: 3-line block ×4, first 2 shown]
; %bb.1337:
	s_cmp_eq_u32 s0, 46
	s_mov_b32 s56, 0
	s_cbranch_scc0 .LBB151_1347
; %bb.1338:
	global_load_b32 v3, v[4:5], off
	s_mov_b32 s31, -1
	s_mov_b32 s30, 0
	s_wait_loadcnt 0x0
	v_lshlrev_b32_e32 v3, 16, v3
	s_branch .LBB151_1349
.LBB151_1339:
	s_mov_b32 s31, 0
	s_mov_b32 s0, s51
	;; [unrolled: 1-line block ×3, first 2 shown]
	s_branch .LBB151_1588
.LBB151_1340:
	s_mov_b32 s56, -1
	s_mov_b32 s31, 0
	s_mov_b32 s30, s52
                                        ; implicit-def: $vgpr3
	s_branch .LBB151_1414
.LBB151_1341:
	s_mov_b32 s56, -1
	s_mov_b32 s31, 0
	s_mov_b32 s30, s52
                                        ; implicit-def: $vgpr3
	s_branch .LBB151_1378
.LBB151_1342:
	s_mov_b32 s56, -1
	s_mov_b32 s31, 0
	s_mov_b32 s30, s52
                                        ; implicit-def: $vgpr3
	s_branch .LBB151_1359
.LBB151_1343:
	s_mov_b32 s56, -1
	s_mov_b32 s31, 0
	s_mov_b32 s30, s52
                                        ; implicit-def: $vgpr3
	s_branch .LBB151_1354
.LBB151_1344:
	s_mov_b32 s56, -1
	s_mov_b32 s31, 0
	s_mov_b32 s30, s52
	s_branch .LBB151_1348
.LBB151_1345:
	s_and_not1_saveexec_b32 s53, s53
	s_cbranch_execz .LBB151_978
.LBB151_1346:
	v_add_f32_e64 v1, 0x42800000, |v4|
	s_and_not1_b32 s52, s52, exec_lo
	s_delay_alu instid0(VALU_DEP_1) | instskip(NEXT) | instid1(VALU_DEP_1)
	v_and_b32_e32 v1, 0xff, v1
	v_cmp_ne_u32_e32 vcc_lo, 0, v1
	s_and_b32 s55, vcc_lo, exec_lo
	s_delay_alu instid0(SALU_CYCLE_1)
	s_or_b32 s52, s52, s55
	s_or_b32 exec_lo, exec_lo, s53
	v_mov_b32_e32 v5, 0
	s_and_saveexec_b32 s53, s52
	s_cbranch_execnz .LBB151_979
	s_branch .LBB151_980
.LBB151_1347:
	s_mov_b32 s30, -1
	s_mov_b32 s31, 0
.LBB151_1348:
                                        ; implicit-def: $vgpr3
.LBB151_1349:
	s_and_b32 vcc_lo, exec_lo, s56
	s_cbranch_vccz .LBB151_1353
; %bb.1350:
	s_cmp_eq_u32 s0, 44
	s_cbranch_scc0 .LBB151_1352
; %bb.1351:
	global_load_u8 v3, v[4:5], off
	s_mov_b32 s30, 0
	s_mov_b32 s31, -1
	s_wait_loadcnt 0x0
	s_wait_xcnt 0x1
	v_lshlrev_b32_e32 v6, 23, v3
	v_cmp_ne_u32_e32 vcc_lo, 0xff, v3
	s_delay_alu instid0(VALU_DEP_2) | instskip(SKIP_1) | instid1(VALU_DEP_2)
	v_cndmask_b32_e32 v6, 0x7f800001, v6, vcc_lo
	v_cmp_ne_u32_e32 vcc_lo, 0, v3
	v_cndmask_b32_e32 v3, 0x400000, v6, vcc_lo
	s_branch .LBB151_1353
.LBB151_1352:
	s_mov_b32 s30, -1
                                        ; implicit-def: $vgpr3
.LBB151_1353:
	s_mov_b32 s56, 0
.LBB151_1354:
	s_delay_alu instid0(SALU_CYCLE_1)
	s_and_b32 vcc_lo, exec_lo, s56
	s_cbranch_vccz .LBB151_1358
; %bb.1355:
	s_cmp_eq_u32 s0, 29
	s_cbranch_scc0 .LBB151_1357
; %bb.1356:
	global_load_b64 v[6:7], v[4:5], off
	s_mov_b32 s31, -1
	s_mov_b32 s30, 0
	s_mov_b32 s56, 0
	s_wait_loadcnt 0x0
	v_clz_i32_u32_e32 v3, v7
	s_delay_alu instid0(VALU_DEP_1) | instskip(NEXT) | instid1(VALU_DEP_1)
	v_min_u32_e32 v3, 32, v3
	v_lshlrev_b64_e32 v[6:7], v3, v[6:7]
	v_sub_nc_u32_e32 v3, 32, v3
	s_delay_alu instid0(VALU_DEP_2) | instskip(NEXT) | instid1(VALU_DEP_1)
	v_min_u32_e32 v6, 1, v6
	v_or_b32_e32 v6, v7, v6
	s_delay_alu instid0(VALU_DEP_1) | instskip(NEXT) | instid1(VALU_DEP_1)
	v_cvt_f32_u32_e32 v6, v6
	v_ldexp_f32 v3, v6, v3
	s_branch .LBB151_1359
.LBB151_1357:
	s_mov_b32 s30, -1
                                        ; implicit-def: $vgpr3
.LBB151_1358:
	s_mov_b32 s56, 0
.LBB151_1359:
	s_delay_alu instid0(SALU_CYCLE_1)
	s_and_b32 vcc_lo, exec_lo, s56
	s_cbranch_vccz .LBB151_1377
; %bb.1360:
	s_cmp_lt_i32 s0, 27
	s_cbranch_scc1 .LBB151_1363
; %bb.1361:
	s_cmp_gt_i32 s0, 27
	s_cbranch_scc0 .LBB151_1364
; %bb.1362:
	global_load_b32 v3, v[4:5], off
	s_mov_b32 s31, 0
	s_wait_loadcnt 0x0
	v_cvt_f32_u32_e32 v3, v3
	s_branch .LBB151_1365
.LBB151_1363:
	s_mov_b32 s31, -1
                                        ; implicit-def: $vgpr3
	s_branch .LBB151_1368
.LBB151_1364:
	s_mov_b32 s31, -1
                                        ; implicit-def: $vgpr3
.LBB151_1365:
	s_delay_alu instid0(SALU_CYCLE_1)
	s_and_not1_b32 vcc_lo, exec_lo, s31
	s_cbranch_vccnz .LBB151_1367
; %bb.1366:
	global_load_u16 v3, v[4:5], off
	s_wait_loadcnt 0x0
	v_cvt_f32_u32_e32 v3, v3
.LBB151_1367:
	s_mov_b32 s31, 0
.LBB151_1368:
	s_delay_alu instid0(SALU_CYCLE_1)
	s_and_not1_b32 vcc_lo, exec_lo, s31
	s_cbranch_vccnz .LBB151_1376
; %bb.1369:
	global_load_u8 v6, v[4:5], off
	s_mov_b32 s31, 0
	s_mov_b32 s56, exec_lo
	s_wait_loadcnt 0x0
	v_cmpx_lt_i16_e32 0x7f, v6
	s_xor_b32 s56, exec_lo, s56
	s_cbranch_execz .LBB151_1390
; %bb.1370:
	s_mov_b32 s31, -1
	s_mov_b32 s57, exec_lo
	v_cmpx_eq_u16_e32 0x80, v6
; %bb.1371:
	s_xor_b32 s31, exec_lo, -1
; %bb.1372:
	s_or_b32 exec_lo, exec_lo, s57
	s_delay_alu instid0(SALU_CYCLE_1)
	s_and_b32 s31, s31, exec_lo
	s_or_saveexec_b32 s56, s56
	v_mov_b32_e32 v3, 0x7f800001
	s_xor_b32 exec_lo, exec_lo, s56
	s_cbranch_execnz .LBB151_1391
.LBB151_1373:
	s_or_b32 exec_lo, exec_lo, s56
	s_and_saveexec_b32 s56, s31
	s_cbranch_execz .LBB151_1375
.LBB151_1374:
	v_and_b32_e32 v3, 0xffff, v6
	s_delay_alu instid0(VALU_DEP_1) | instskip(SKIP_1) | instid1(VALU_DEP_2)
	v_and_b32_e32 v7, 7, v3
	v_bfe_u32 v11, v3, 3, 4
	v_clz_i32_u32_e32 v9, v7
	s_delay_alu instid0(VALU_DEP_2) | instskip(NEXT) | instid1(VALU_DEP_2)
	v_cmp_eq_u32_e32 vcc_lo, 0, v11
	v_min_u32_e32 v9, 32, v9
	s_delay_alu instid0(VALU_DEP_1) | instskip(NEXT) | instid1(VALU_DEP_1)
	v_subrev_nc_u32_e32 v10, 28, v9
	v_dual_lshlrev_b32 v3, v10, v3 :: v_dual_sub_nc_u32 v9, 29, v9
	s_delay_alu instid0(VALU_DEP_1) | instskip(NEXT) | instid1(VALU_DEP_2)
	v_dual_lshlrev_b32 v6, 24, v6 :: v_dual_bitop2_b32 v3, 7, v3 bitop3:0x40
	v_cndmask_b32_e32 v9, v11, v9, vcc_lo
	s_delay_alu instid0(VALU_DEP_2) | instskip(NEXT) | instid1(VALU_DEP_3)
	v_cndmask_b32_e32 v3, v7, v3, vcc_lo
	v_and_b32_e32 v6, 0x80000000, v6
	s_delay_alu instid0(VALU_DEP_3) | instskip(NEXT) | instid1(VALU_DEP_3)
	v_lshl_add_u32 v7, v9, 23, 0x3b800000
	v_lshlrev_b32_e32 v3, 20, v3
	s_delay_alu instid0(VALU_DEP_1)
	v_or3_b32 v3, v6, v7, v3
.LBB151_1375:
	s_or_b32 exec_lo, exec_lo, s56
.LBB151_1376:
	s_mov_b32 s31, -1
.LBB151_1377:
	s_mov_b32 s56, 0
.LBB151_1378:
	s_delay_alu instid0(SALU_CYCLE_1)
	s_and_b32 vcc_lo, exec_lo, s56
	s_cbranch_vccz .LBB151_1413
; %bb.1379:
	s_cmp_gt_i32 s0, 22
	s_cbranch_scc0 .LBB151_1389
; %bb.1380:
	s_cmp_lt_i32 s0, 24
	s_cbranch_scc1 .LBB151_1392
; %bb.1381:
	s_cmp_gt_i32 s0, 24
	s_cbranch_scc0 .LBB151_1393
; %bb.1382:
	global_load_u8 v6, v[4:5], off
	s_mov_b32 s31, 0
	s_mov_b32 s56, exec_lo
	s_wait_loadcnt 0x0
	v_cmpx_lt_i16_e32 0x7f, v6
	s_xor_b32 s56, exec_lo, s56
	s_cbranch_execz .LBB151_1405
; %bb.1383:
	s_mov_b32 s31, -1
	s_mov_b32 s57, exec_lo
	v_cmpx_eq_u16_e32 0x80, v6
; %bb.1384:
	s_xor_b32 s31, exec_lo, -1
; %bb.1385:
	s_or_b32 exec_lo, exec_lo, s57
	s_delay_alu instid0(SALU_CYCLE_1)
	s_and_b32 s31, s31, exec_lo
	s_or_saveexec_b32 s56, s56
	v_mov_b32_e32 v3, 0x7f800001
	s_xor_b32 exec_lo, exec_lo, s56
	s_cbranch_execnz .LBB151_1406
.LBB151_1386:
	s_or_b32 exec_lo, exec_lo, s56
	s_and_saveexec_b32 s56, s31
	s_cbranch_execz .LBB151_1388
.LBB151_1387:
	v_and_b32_e32 v3, 0xffff, v6
	s_delay_alu instid0(VALU_DEP_1) | instskip(SKIP_1) | instid1(VALU_DEP_2)
	v_and_b32_e32 v7, 3, v3
	v_bfe_u32 v11, v3, 2, 5
	v_clz_i32_u32_e32 v9, v7
	s_delay_alu instid0(VALU_DEP_2) | instskip(NEXT) | instid1(VALU_DEP_2)
	v_cmp_eq_u32_e32 vcc_lo, 0, v11
	v_min_u32_e32 v9, 32, v9
	s_delay_alu instid0(VALU_DEP_1) | instskip(NEXT) | instid1(VALU_DEP_1)
	v_subrev_nc_u32_e32 v10, 29, v9
	v_dual_lshlrev_b32 v3, v10, v3 :: v_dual_sub_nc_u32 v9, 30, v9
	s_delay_alu instid0(VALU_DEP_1) | instskip(NEXT) | instid1(VALU_DEP_2)
	v_dual_lshlrev_b32 v6, 24, v6 :: v_dual_bitop2_b32 v3, 3, v3 bitop3:0x40
	v_cndmask_b32_e32 v9, v11, v9, vcc_lo
	s_delay_alu instid0(VALU_DEP_2) | instskip(NEXT) | instid1(VALU_DEP_3)
	v_cndmask_b32_e32 v3, v7, v3, vcc_lo
	v_and_b32_e32 v6, 0x80000000, v6
	s_delay_alu instid0(VALU_DEP_3) | instskip(NEXT) | instid1(VALU_DEP_3)
	v_lshl_add_u32 v7, v9, 23, 0x37800000
	v_lshlrev_b32_e32 v3, 21, v3
	s_delay_alu instid0(VALU_DEP_1)
	v_or3_b32 v3, v6, v7, v3
.LBB151_1388:
	s_or_b32 exec_lo, exec_lo, s56
	s_mov_b32 s31, 0
	s_branch .LBB151_1394
.LBB151_1389:
	s_mov_b32 s56, -1
                                        ; implicit-def: $vgpr3
	s_branch .LBB151_1400
.LBB151_1390:
	s_or_saveexec_b32 s56, s56
	v_mov_b32_e32 v3, 0x7f800001
	s_xor_b32 exec_lo, exec_lo, s56
	s_cbranch_execz .LBB151_1373
.LBB151_1391:
	v_cmp_ne_u16_e32 vcc_lo, 0, v6
	v_mov_b32_e32 v3, 0
	s_and_not1_b32 s31, s31, exec_lo
	s_and_b32 s57, vcc_lo, exec_lo
	s_delay_alu instid0(SALU_CYCLE_1)
	s_or_b32 s31, s31, s57
	s_or_b32 exec_lo, exec_lo, s56
	s_and_saveexec_b32 s56, s31
	s_cbranch_execnz .LBB151_1374
	s_branch .LBB151_1375
.LBB151_1392:
	s_mov_b32 s31, -1
                                        ; implicit-def: $vgpr3
	s_branch .LBB151_1397
.LBB151_1393:
	s_mov_b32 s31, -1
                                        ; implicit-def: $vgpr3
.LBB151_1394:
	s_delay_alu instid0(SALU_CYCLE_1)
	s_and_b32 vcc_lo, exec_lo, s31
	s_cbranch_vccz .LBB151_1396
; %bb.1395:
	global_load_u8 v3, v[4:5], off
	s_wait_loadcnt 0x0
	v_lshlrev_b32_e32 v3, 24, v3
	s_wait_xcnt 0x1
	s_delay_alu instid0(VALU_DEP_1) | instskip(NEXT) | instid1(VALU_DEP_1)
	v_and_b32_e32 v6, 0x7f000000, v3
	v_clz_i32_u32_e32 v7, v6
	v_add_nc_u32_e32 v10, 0x1000000, v6
	v_cmp_ne_u32_e32 vcc_lo, 0, v6
	s_delay_alu instid0(VALU_DEP_3) | instskip(NEXT) | instid1(VALU_DEP_1)
	v_min_u32_e32 v7, 32, v7
	v_sub_nc_u32_e64 v7, v7, 4 clamp
	s_delay_alu instid0(VALU_DEP_1) | instskip(NEXT) | instid1(VALU_DEP_1)
	v_dual_lshlrev_b32 v9, v7, v6 :: v_dual_lshlrev_b32 v7, 23, v7
	v_lshrrev_b32_e32 v9, 4, v9
	s_delay_alu instid0(VALU_DEP_1) | instskip(NEXT) | instid1(VALU_DEP_1)
	v_dual_sub_nc_u32 v7, v9, v7 :: v_dual_ashrrev_i32 v9, 8, v10
	v_add_nc_u32_e32 v7, 0x3c000000, v7
	s_delay_alu instid0(VALU_DEP_1) | instskip(NEXT) | instid1(VALU_DEP_1)
	v_and_or_b32 v7, 0x7f800000, v9, v7
	v_cndmask_b32_e32 v6, 0, v7, vcc_lo
	s_delay_alu instid0(VALU_DEP_1)
	v_and_or_b32 v3, 0x80000000, v3, v6
.LBB151_1396:
	s_mov_b32 s31, 0
.LBB151_1397:
	s_delay_alu instid0(SALU_CYCLE_1)
	s_and_not1_b32 vcc_lo, exec_lo, s31
	s_cbranch_vccnz .LBB151_1399
; %bb.1398:
	global_load_u8 v3, v[4:5], off
	s_wait_loadcnt 0x0
	s_wait_xcnt 0x1
	v_lshlrev_b32_e32 v6, 25, v3
	v_lshlrev_b16 v3, 8, v3
	s_delay_alu instid0(VALU_DEP_1) | instskip(SKIP_1) | instid1(VALU_DEP_2)
	v_and_or_b32 v9, 0x7f00, v3, 0.5
	v_bfe_i32 v3, v3, 0, 16
	v_dual_add_f32 v9, -0.5, v9 :: v_dual_lshrrev_b32 v7, 4, v6
	v_cmp_gt_u32_e32 vcc_lo, 0x8000000, v6
	s_delay_alu instid0(VALU_DEP_2) | instskip(NEXT) | instid1(VALU_DEP_1)
	v_or_b32_e32 v7, 0x70000000, v7
	v_mul_f32_e32 v7, 0x7800000, v7
	s_delay_alu instid0(VALU_DEP_1) | instskip(NEXT) | instid1(VALU_DEP_1)
	v_cndmask_b32_e32 v6, v7, v9, vcc_lo
	v_and_or_b32 v3, 0x80000000, v3, v6
.LBB151_1399:
	s_mov_b32 s56, 0
	s_mov_b32 s31, -1
.LBB151_1400:
	s_and_not1_b32 vcc_lo, exec_lo, s56
	s_cbranch_vccnz .LBB151_1413
; %bb.1401:
	s_cmp_gt_i32 s0, 14
	s_cbranch_scc0 .LBB151_1404
; %bb.1402:
	s_cmp_eq_u32 s0, 15
	s_cbranch_scc0 .LBB151_1407
; %bb.1403:
	global_load_u16 v3, v[4:5], off
	s_mov_b32 s31, -1
	s_mov_b32 s30, 0
	s_wait_loadcnt 0x0
	v_lshlrev_b32_e32 v3, 16, v3
	s_branch .LBB151_1408
.LBB151_1404:
	s_mov_b32 s56, -1
                                        ; implicit-def: $vgpr3
	s_branch .LBB151_1409
.LBB151_1405:
	s_or_saveexec_b32 s56, s56
	v_mov_b32_e32 v3, 0x7f800001
	s_xor_b32 exec_lo, exec_lo, s56
	s_cbranch_execz .LBB151_1386
.LBB151_1406:
	v_cmp_ne_u16_e32 vcc_lo, 0, v6
	v_mov_b32_e32 v3, 0
	s_and_not1_b32 s31, s31, exec_lo
	s_and_b32 s57, vcc_lo, exec_lo
	s_delay_alu instid0(SALU_CYCLE_1)
	s_or_b32 s31, s31, s57
	s_or_b32 exec_lo, exec_lo, s56
	s_and_saveexec_b32 s56, s31
	s_cbranch_execnz .LBB151_1387
	s_branch .LBB151_1388
.LBB151_1407:
	s_mov_b32 s30, -1
                                        ; implicit-def: $vgpr3
.LBB151_1408:
	s_mov_b32 s56, 0
.LBB151_1409:
	s_delay_alu instid0(SALU_CYCLE_1)
	s_and_b32 vcc_lo, exec_lo, s56
	s_cbranch_vccz .LBB151_1413
; %bb.1410:
	s_cmp_eq_u32 s0, 11
	s_cbranch_scc0 .LBB151_1412
; %bb.1411:
	global_load_u8 v3, v[4:5], off
	s_mov_b32 s30, 0
	s_mov_b32 s31, -1
	s_wait_loadcnt 0x0
	v_cmp_ne_u16_e32 vcc_lo, 0, v3
	v_cndmask_b32_e64 v3, 0, 1.0, vcc_lo
	s_branch .LBB151_1413
.LBB151_1412:
	s_mov_b32 s30, -1
                                        ; implicit-def: $vgpr3
.LBB151_1413:
	s_mov_b32 s56, 0
.LBB151_1414:
	s_delay_alu instid0(SALU_CYCLE_1)
	s_and_b32 vcc_lo, exec_lo, s56
	s_cbranch_vccz .LBB151_1463
; %bb.1415:
	s_cmp_lt_i32 s0, 5
	s_cbranch_scc1 .LBB151_1420
; %bb.1416:
	s_cmp_lt_i32 s0, 8
	s_cbranch_scc1 .LBB151_1421
	;; [unrolled: 3-line block ×3, first 2 shown]
; %bb.1418:
	s_cmp_gt_i32 s0, 9
	s_cbranch_scc0 .LBB151_1423
; %bb.1419:
	global_load_b64 v[6:7], v[4:5], off
	s_mov_b32 s31, 0
	s_wait_loadcnt 0x0
	v_cvt_f32_f64_e32 v3, v[6:7]
	s_branch .LBB151_1424
.LBB151_1420:
	s_mov_b32 s31, -1
                                        ; implicit-def: $vgpr3
	s_branch .LBB151_1442
.LBB151_1421:
	s_mov_b32 s31, -1
                                        ; implicit-def: $vgpr3
	s_branch .LBB151_1430
.LBB151_1422:
	s_mov_b32 s31, -1
                                        ; implicit-def: $vgpr3
	s_branch .LBB151_1427
.LBB151_1423:
	s_mov_b32 s31, -1
                                        ; implicit-def: $vgpr3
.LBB151_1424:
	s_delay_alu instid0(SALU_CYCLE_1)
	s_and_not1_b32 vcc_lo, exec_lo, s31
	s_cbranch_vccnz .LBB151_1426
; %bb.1425:
	global_load_b32 v3, v[4:5], off
.LBB151_1426:
	s_mov_b32 s31, 0
.LBB151_1427:
	s_delay_alu instid0(SALU_CYCLE_1)
	s_and_not1_b32 vcc_lo, exec_lo, s31
	s_cbranch_vccnz .LBB151_1429
; %bb.1428:
	s_wait_loadcnt 0x0
	global_load_b32 v3, v[4:5], off
	s_wait_loadcnt 0x0
	v_cvt_f32_f16_e32 v3, v3
.LBB151_1429:
	s_mov_b32 s31, 0
.LBB151_1430:
	s_delay_alu instid0(SALU_CYCLE_1)
	s_and_not1_b32 vcc_lo, exec_lo, s31
	s_cbranch_vccnz .LBB151_1441
; %bb.1431:
	s_cmp_lt_i32 s0, 6
	s_cbranch_scc1 .LBB151_1434
; %bb.1432:
	s_cmp_gt_i32 s0, 6
	s_cbranch_scc0 .LBB151_1435
; %bb.1433:
	global_load_b64 v[6:7], v[4:5], off
	s_mov_b32 s31, 0
	s_wait_loadcnt 0x0
	v_cvt_f32_f64_e32 v3, v[6:7]
	s_branch .LBB151_1436
.LBB151_1434:
	s_mov_b32 s31, -1
                                        ; implicit-def: $vgpr3
	s_branch .LBB151_1439
.LBB151_1435:
	s_mov_b32 s31, -1
                                        ; implicit-def: $vgpr3
.LBB151_1436:
	s_delay_alu instid0(SALU_CYCLE_1)
	s_and_not1_b32 vcc_lo, exec_lo, s31
	s_cbranch_vccnz .LBB151_1438
; %bb.1437:
	s_wait_loadcnt 0x0
	global_load_b32 v3, v[4:5], off
.LBB151_1438:
	s_mov_b32 s31, 0
.LBB151_1439:
	s_delay_alu instid0(SALU_CYCLE_1)
	s_and_not1_b32 vcc_lo, exec_lo, s31
	s_cbranch_vccnz .LBB151_1441
; %bb.1440:
	s_wait_loadcnt 0x0
	global_load_u16 v3, v[4:5], off
	s_wait_loadcnt 0x0
	v_cvt_f32_f16_e32 v3, v3
.LBB151_1441:
	s_mov_b32 s31, 0
.LBB151_1442:
	s_delay_alu instid0(SALU_CYCLE_1)
	s_and_not1_b32 vcc_lo, exec_lo, s31
	s_cbranch_vccnz .LBB151_1462
; %bb.1443:
	s_cmp_lt_i32 s0, 2
	s_cbranch_scc1 .LBB151_1447
; %bb.1444:
	s_cmp_lt_i32 s0, 3
	s_cbranch_scc1 .LBB151_1448
; %bb.1445:
	s_cmp_gt_i32 s0, 3
	s_cbranch_scc0 .LBB151_1449
; %bb.1446:
	global_load_b64 v[6:7], v[4:5], off
	s_mov_b32 s31, 0
	s_wait_loadcnt 0x0
	v_xor_b32_e32 v3, v6, v7
	v_cls_i32_e32 v9, v7
	s_delay_alu instid0(VALU_DEP_2) | instskip(NEXT) | instid1(VALU_DEP_1)
	v_ashrrev_i32_e32 v3, 31, v3
	v_add_nc_u32_e32 v3, 32, v3
	s_delay_alu instid0(VALU_DEP_1) | instskip(NEXT) | instid1(VALU_DEP_1)
	v_add_min_u32_e64 v3, v9, -1, v3
	v_lshlrev_b64_e32 v[6:7], v3, v[6:7]
	v_sub_nc_u32_e32 v3, 32, v3
	s_delay_alu instid0(VALU_DEP_2) | instskip(NEXT) | instid1(VALU_DEP_1)
	v_min_u32_e32 v6, 1, v6
	v_or_b32_e32 v6, v7, v6
	s_delay_alu instid0(VALU_DEP_1) | instskip(NEXT) | instid1(VALU_DEP_1)
	v_cvt_f32_i32_e32 v6, v6
	v_ldexp_f32 v3, v6, v3
	s_branch .LBB151_1450
.LBB151_1447:
	s_mov_b32 s31, -1
                                        ; implicit-def: $vgpr3
	s_branch .LBB151_1456
.LBB151_1448:
	s_mov_b32 s31, -1
                                        ; implicit-def: $vgpr3
	s_branch .LBB151_1453
.LBB151_1449:
	s_mov_b32 s31, -1
                                        ; implicit-def: $vgpr3
.LBB151_1450:
	s_delay_alu instid0(SALU_CYCLE_1)
	s_and_not1_b32 vcc_lo, exec_lo, s31
	s_cbranch_vccnz .LBB151_1452
; %bb.1451:
	s_wait_loadcnt 0x0
	global_load_b32 v3, v[4:5], off
	s_wait_loadcnt 0x0
	v_cvt_f32_i32_e32 v3, v3
.LBB151_1452:
	s_mov_b32 s31, 0
.LBB151_1453:
	s_delay_alu instid0(SALU_CYCLE_1)
	s_and_not1_b32 vcc_lo, exec_lo, s31
	s_cbranch_vccnz .LBB151_1455
; %bb.1454:
	s_wait_loadcnt 0x0
	global_load_i16 v3, v[4:5], off
	s_wait_loadcnt 0x0
	v_cvt_f32_i32_e32 v3, v3
.LBB151_1455:
	s_mov_b32 s31, 0
.LBB151_1456:
	s_delay_alu instid0(SALU_CYCLE_1)
	s_and_not1_b32 vcc_lo, exec_lo, s31
	s_cbranch_vccnz .LBB151_1462
; %bb.1457:
	s_cmp_gt_i32 s0, 0
	s_mov_b32 s0, 0
	s_cbranch_scc0 .LBB151_1459
; %bb.1458:
	s_wait_loadcnt 0x0
	global_load_i8 v3, v[4:5], off
	s_wait_loadcnt 0x0
	v_cvt_f32_i32_e32 v3, v3
	s_branch .LBB151_1460
.LBB151_1459:
	s_mov_b32 s0, -1
                                        ; implicit-def: $vgpr3
.LBB151_1460:
	s_delay_alu instid0(SALU_CYCLE_1)
	s_and_not1_b32 vcc_lo, exec_lo, s0
	s_cbranch_vccnz .LBB151_1462
; %bb.1461:
	s_wait_loadcnt 0x0
	global_load_u8 v3, v[4:5], off
	s_wait_loadcnt 0x0
	v_cvt_f32_ubyte0_e32 v3, v3
.LBB151_1462:
	s_mov_b32 s31, -1
.LBB151_1463:
	s_delay_alu instid0(SALU_CYCLE_1)
	s_and_not1_b32 vcc_lo, exec_lo, s31
	s_cbranch_vccnz .LBB151_1471
; %bb.1464:
	s_wait_loadcnt 0x0
	s_delay_alu instid0(VALU_DEP_3) | instskip(NEXT) | instid1(VALU_DEP_2)
	v_dual_max_num_f32 v4, v8, v8 :: v_dual_max_num_f32 v5, v1, v1
	v_cmp_u_f32_e32 vcc_lo, v3, v3
	v_max_num_f32_e32 v6, v3, v3
	s_and_b32 s31, s38, 0xff
	s_delay_alu instid0(SALU_CYCLE_1) | instskip(NEXT) | instid1(VALU_DEP_1)
	s_cmp_lt_i32 s31, 11
	v_maxmin_num_f32 v4, v5, v4, v6
	s_delay_alu instid0(VALU_DEP_1) | instskip(SKIP_1) | instid1(VALU_DEP_2)
	v_cndmask_b32_e32 v4, v4, v3, vcc_lo
	v_cmp_u_f32_e32 vcc_lo, v8, v8
	v_dual_mov_b32 v3, 0 :: v_dual_cndmask_b32 v4, v4, v8
	v_cmp_u_f32_e32 vcc_lo, v1, v1
	s_delay_alu instid0(VALU_DEP_2) | instskip(NEXT) | instid1(VALU_DEP_3)
	v_add_nc_u64_e32 v[2:3], s[4:5], v[2:3]
	v_cndmask_b32_e32 v4, v4, v1, vcc_lo
	s_cbranch_scc1 .LBB151_1472
; %bb.1465:
	s_and_b32 s56, 0xffff, s31
	s_delay_alu instid0(SALU_CYCLE_1)
	s_cmp_gt_i32 s56, 25
	s_cbranch_scc0 .LBB151_1473
; %bb.1466:
	s_cmp_gt_i32 s56, 28
	s_cbranch_scc0 .LBB151_1474
; %bb.1467:
	;; [unrolled: 3-line block ×4, first 2 shown]
	s_mov_b32 s58, 0
	s_mov_b32 s0, -1
	s_cmp_eq_u32 s56, 46
	s_mov_b32 s57, 0
	s_cbranch_scc0 .LBB151_1477
; %bb.1470:
	v_bfe_u32 v1, v4, 16, 1
	v_cmp_o_f32_e32 vcc_lo, v4, v4
	s_mov_b32 s57, -1
	s_mov_b32 s0, 0
	s_delay_alu instid0(VALU_DEP_2) | instskip(NEXT) | instid1(VALU_DEP_1)
	v_add3_u32 v1, v4, v1, 0x7fff
	v_lshrrev_b32_e32 v1, 16, v1
	s_delay_alu instid0(VALU_DEP_1)
	v_cndmask_b32_e32 v1, 0x7fc0, v1, vcc_lo
	global_store_b32 v[2:3], v1, off
	s_branch .LBB151_1477
.LBB151_1471:
	s_mov_b32 s31, 0
	s_mov_b32 s0, s51
	s_branch .LBB151_1588
.LBB151_1472:
	s_mov_b32 s56, -1
	s_mov_b32 s57, 0
	s_mov_b32 s0, s51
	s_branch .LBB151_1546
.LBB151_1473:
	s_mov_b32 s58, -1
	s_mov_b32 s57, 0
	s_mov_b32 s0, s51
	s_branch .LBB151_1504
.LBB151_1474:
	s_mov_b32 s58, -1
	s_mov_b32 s57, 0
	s_mov_b32 s0, s51
	s_branch .LBB151_1487
.LBB151_1475:
	s_mov_b32 s58, -1
	s_mov_b32 s57, 0
	s_mov_b32 s0, s51
	s_branch .LBB151_1483
.LBB151_1476:
	s_mov_b32 s58, -1
	s_mov_b32 s57, 0
	s_mov_b32 s0, s51
.LBB151_1477:
	s_and_b32 vcc_lo, exec_lo, s58
	s_cbranch_vccz .LBB151_1482
; %bb.1478:
	s_cmp_eq_u32 s56, 44
	s_mov_b32 s0, -1
	s_cbranch_scc0 .LBB151_1482
; %bb.1479:
	v_bfe_u32 v5, v4, 23, 8
	s_wait_xcnt 0x0
	v_mov_b32_e32 v1, 0xff
	s_mov_b32 s57, exec_lo
	s_delay_alu instid0(VALU_DEP_2)
	v_cmpx_ne_u32_e32 0xff, v5
	s_cbranch_execz .LBB151_1481
; %bb.1480:
	v_and_b32_e32 v1, 0x400000, v4
	v_and_or_b32 v5, 0x3fffff, v4, v5
	s_delay_alu instid0(VALU_DEP_2) | instskip(NEXT) | instid1(VALU_DEP_2)
	v_cmp_ne_u32_e32 vcc_lo, 0, v1
	v_cmp_ne_u32_e64 s0, 0, v5
	v_lshrrev_b32_e32 v1, 23, v4
	s_and_b32 s0, vcc_lo, s0
	s_delay_alu instid0(SALU_CYCLE_1) | instskip(NEXT) | instid1(VALU_DEP_1)
	v_cndmask_b32_e64 v5, 0, 1, s0
	v_add_nc_u32_e32 v1, v1, v5
.LBB151_1481:
	s_or_b32 exec_lo, exec_lo, s57
	s_mov_b32 s57, -1
	s_mov_b32 s0, 0
	global_store_b8 v[2:3], v1, off
.LBB151_1482:
	s_mov_b32 s58, 0
.LBB151_1483:
	s_delay_alu instid0(SALU_CYCLE_1)
	s_and_b32 vcc_lo, exec_lo, s58
	s_cbranch_vccz .LBB151_1486
; %bb.1484:
	s_cmp_eq_u32 s56, 29
	s_mov_b32 s0, -1
	s_cbranch_scc0 .LBB151_1486
; %bb.1485:
	s_wait_xcnt 0x0
	v_trunc_f32_e32 v1, v4
	s_mov_b32 s57, -1
	s_mov_b32 s0, 0
	s_mov_b32 s58, 0
	s_delay_alu instid0(VALU_DEP_1) | instskip(NEXT) | instid1(VALU_DEP_1)
	v_mul_f32_e32 v5, 0x2f800000, v1
	v_floor_f32_e32 v5, v5
	s_delay_alu instid0(VALU_DEP_1) | instskip(SKIP_1) | instid1(VALU_DEP_2)
	v_fmamk_f32 v1, v5, 0xcf800000, v1
	v_cvt_u32_f32_e32 v7, v5
	v_cvt_u32_f32_e32 v6, v1
	global_store_b64 v[2:3], v[6:7], off
	s_branch .LBB151_1487
.LBB151_1486:
	s_mov_b32 s58, 0
.LBB151_1487:
	s_delay_alu instid0(SALU_CYCLE_1)
	s_and_b32 vcc_lo, exec_lo, s58
	s_cbranch_vccz .LBB151_1503
; %bb.1488:
	s_cmp_lt_i32 s56, 27
	s_mov_b32 s57, -1
	s_cbranch_scc1 .LBB151_1494
; %bb.1489:
	s_cmp_gt_i32 s56, 27
	s_cbranch_scc0 .LBB151_1491
; %bb.1490:
	s_wait_xcnt 0x0
	v_cvt_u32_f32_e32 v1, v4
	s_mov_b32 s57, 0
	global_store_b32 v[2:3], v1, off
.LBB151_1491:
	s_and_not1_b32 vcc_lo, exec_lo, s57
	s_cbranch_vccnz .LBB151_1493
; %bb.1492:
	s_wait_xcnt 0x0
	v_cvt_u32_f32_e32 v1, v4
	global_store_b16 v[2:3], v1, off
.LBB151_1493:
	s_mov_b32 s57, 0
.LBB151_1494:
	s_delay_alu instid0(SALU_CYCLE_1)
	s_and_not1_b32 vcc_lo, exec_lo, s57
	s_cbranch_vccnz .LBB151_1502
; %bb.1495:
	s_wait_xcnt 0x0
	v_and_b32_e32 v1, 0x7fffffff, v4
	v_mov_b32_e32 v5, 0x80
	s_mov_b32 s57, exec_lo
	s_delay_alu instid0(VALU_DEP_2)
	v_cmpx_gt_u32_e32 0x43800000, v1
	s_cbranch_execz .LBB151_1501
; %bb.1496:
	v_cmp_lt_u32_e32 vcc_lo, 0x3bffffff, v1
	s_mov_b32 s58, 0
                                        ; implicit-def: $vgpr1
	s_and_saveexec_b32 s59, vcc_lo
	s_delay_alu instid0(SALU_CYCLE_1)
	s_xor_b32 s59, exec_lo, s59
	s_cbranch_execz .LBB151_2814
; %bb.1497:
	v_bfe_u32 v1, v4, 20, 1
	s_mov_b32 s58, exec_lo
	s_delay_alu instid0(VALU_DEP_1) | instskip(NEXT) | instid1(VALU_DEP_1)
	v_add3_u32 v1, v4, v1, 0x487ffff
	v_lshrrev_b32_e32 v1, 20, v1
	s_and_not1_saveexec_b32 s59, s59
	s_cbranch_execnz .LBB151_2815
.LBB151_1498:
	s_or_b32 exec_lo, exec_lo, s59
	v_mov_b32_e32 v5, 0
	s_and_saveexec_b32 s59, s58
.LBB151_1499:
	v_lshrrev_b32_e32 v5, 24, v4
	s_delay_alu instid0(VALU_DEP_1)
	v_and_or_b32 v5, 0x80, v5, v1
.LBB151_1500:
	s_or_b32 exec_lo, exec_lo, s59
.LBB151_1501:
	s_delay_alu instid0(SALU_CYCLE_1)
	s_or_b32 exec_lo, exec_lo, s57
	global_store_b8 v[2:3], v5, off
.LBB151_1502:
	s_mov_b32 s57, -1
.LBB151_1503:
	s_mov_b32 s58, 0
.LBB151_1504:
	s_delay_alu instid0(SALU_CYCLE_1)
	s_and_b32 vcc_lo, exec_lo, s58
	s_cbranch_vccz .LBB151_1545
; %bb.1505:
	s_cmp_gt_i32 s56, 22
	s_mov_b32 s58, -1
	s_cbranch_scc0 .LBB151_1537
; %bb.1506:
	s_cmp_lt_i32 s56, 24
	s_mov_b32 s57, -1
	s_cbranch_scc1 .LBB151_1526
; %bb.1507:
	s_cmp_gt_i32 s56, 24
	s_cbranch_scc0 .LBB151_1515
; %bb.1508:
	s_wait_xcnt 0x0
	v_and_b32_e32 v1, 0x7fffffff, v4
	v_mov_b32_e32 v5, 0x80
	s_mov_b32 s57, exec_lo
	s_delay_alu instid0(VALU_DEP_2)
	v_cmpx_gt_u32_e32 0x47800000, v1
	s_cbranch_execz .LBB151_1514
; %bb.1509:
	v_cmp_lt_u32_e32 vcc_lo, 0x37ffffff, v1
	s_mov_b32 s58, 0
                                        ; implicit-def: $vgpr1
	s_and_saveexec_b32 s59, vcc_lo
	s_delay_alu instid0(SALU_CYCLE_1)
	s_xor_b32 s59, exec_lo, s59
	s_cbranch_execz .LBB151_2947
; %bb.1510:
	v_bfe_u32 v1, v4, 21, 1
	s_mov_b32 s58, exec_lo
	s_delay_alu instid0(VALU_DEP_1) | instskip(NEXT) | instid1(VALU_DEP_1)
	v_add3_u32 v1, v4, v1, 0x88fffff
	v_lshrrev_b32_e32 v1, 21, v1
	s_and_not1_saveexec_b32 s59, s59
	s_cbranch_execnz .LBB151_2948
.LBB151_1511:
	s_or_b32 exec_lo, exec_lo, s59
	v_mov_b32_e32 v5, 0
	s_and_saveexec_b32 s59, s58
.LBB151_1512:
	v_lshrrev_b32_e32 v5, 24, v4
	s_delay_alu instid0(VALU_DEP_1)
	v_and_or_b32 v5, 0x80, v5, v1
.LBB151_1513:
	s_or_b32 exec_lo, exec_lo, s59
.LBB151_1514:
	s_delay_alu instid0(SALU_CYCLE_1)
	s_or_b32 exec_lo, exec_lo, s57
	s_mov_b32 s57, 0
	global_store_b8 v[2:3], v5, off
.LBB151_1515:
	s_and_b32 vcc_lo, exec_lo, s57
	s_cbranch_vccz .LBB151_1525
; %bb.1516:
	s_wait_xcnt 0x0
	v_and_b32_e32 v5, 0x7fffffff, v4
	s_mov_b32 s57, exec_lo
                                        ; implicit-def: $vgpr1
	s_delay_alu instid0(VALU_DEP_1)
	v_cmpx_gt_u32_e32 0x43f00000, v5
	s_xor_b32 s57, exec_lo, s57
	s_cbranch_execz .LBB151_1522
; %bb.1517:
	s_mov_b32 s58, exec_lo
                                        ; implicit-def: $vgpr1
	v_cmpx_lt_u32_e32 0x3c7fffff, v5
	s_xor_b32 s58, exec_lo, s58
; %bb.1518:
	v_bfe_u32 v1, v4, 20, 1
	s_delay_alu instid0(VALU_DEP_1) | instskip(NEXT) | instid1(VALU_DEP_1)
	v_add3_u32 v1, v4, v1, 0x407ffff
	v_and_b32_e32 v5, 0xff00000, v1
	v_lshrrev_b32_e32 v1, 20, v1
	s_delay_alu instid0(VALU_DEP_2) | instskip(NEXT) | instid1(VALU_DEP_2)
	v_cmp_ne_u32_e32 vcc_lo, 0x7f00000, v5
	v_cndmask_b32_e32 v1, 0x7e, v1, vcc_lo
; %bb.1519:
	s_and_not1_saveexec_b32 s58, s58
; %bb.1520:
	v_add_f32_e64 v1, 0x46800000, |v4|
; %bb.1521:
	s_or_b32 exec_lo, exec_lo, s58
                                        ; implicit-def: $vgpr5
.LBB151_1522:
	s_and_not1_saveexec_b32 s57, s57
; %bb.1523:
	v_mov_b32_e32 v1, 0x7f
	v_cmp_lt_u32_e32 vcc_lo, 0x7f800000, v5
	s_delay_alu instid0(VALU_DEP_2)
	v_cndmask_b32_e32 v1, 0x7e, v1, vcc_lo
; %bb.1524:
	s_or_b32 exec_lo, exec_lo, s57
	v_lshrrev_b32_e32 v5, 24, v4
	s_delay_alu instid0(VALU_DEP_1)
	v_and_or_b32 v1, 0x80, v5, v1
	global_store_b8 v[2:3], v1, off
.LBB151_1525:
	s_mov_b32 s57, 0
.LBB151_1526:
	s_delay_alu instid0(SALU_CYCLE_1)
	s_and_not1_b32 vcc_lo, exec_lo, s57
	s_cbranch_vccnz .LBB151_1536
; %bb.1527:
	s_wait_xcnt 0x0
	v_and_b32_e32 v5, 0x7fffffff, v4
	s_mov_b32 s57, exec_lo
                                        ; implicit-def: $vgpr1
	s_delay_alu instid0(VALU_DEP_1)
	v_cmpx_gt_u32_e32 0x47800000, v5
	s_xor_b32 s57, exec_lo, s57
	s_cbranch_execz .LBB151_1533
; %bb.1528:
	s_mov_b32 s58, exec_lo
                                        ; implicit-def: $vgpr1
	v_cmpx_lt_u32_e32 0x387fffff, v5
	s_xor_b32 s58, exec_lo, s58
; %bb.1529:
	v_bfe_u32 v1, v4, 21, 1
	s_delay_alu instid0(VALU_DEP_1) | instskip(NEXT) | instid1(VALU_DEP_1)
	v_add3_u32 v1, v4, v1, 0x80fffff
	v_lshrrev_b32_e32 v1, 21, v1
; %bb.1530:
	s_and_not1_saveexec_b32 s58, s58
; %bb.1531:
	v_add_f32_e64 v1, 0x43000000, |v4|
; %bb.1532:
	s_or_b32 exec_lo, exec_lo, s58
                                        ; implicit-def: $vgpr5
.LBB151_1533:
	s_and_not1_saveexec_b32 s57, s57
; %bb.1534:
	v_mov_b32_e32 v1, 0x7f
	v_cmp_lt_u32_e32 vcc_lo, 0x7f800000, v5
	s_delay_alu instid0(VALU_DEP_2)
	v_cndmask_b32_e32 v1, 0x7c, v1, vcc_lo
; %bb.1535:
	s_or_b32 exec_lo, exec_lo, s57
	v_lshrrev_b32_e32 v5, 24, v4
	s_delay_alu instid0(VALU_DEP_1)
	v_and_or_b32 v1, 0x80, v5, v1
	global_store_b8 v[2:3], v1, off
.LBB151_1536:
	s_mov_b32 s58, 0
	s_mov_b32 s57, -1
.LBB151_1537:
	s_and_not1_b32 vcc_lo, exec_lo, s58
	s_cbranch_vccnz .LBB151_1545
; %bb.1538:
	s_cmp_gt_i32 s56, 14
	s_mov_b32 s58, -1
	s_cbranch_scc0 .LBB151_1542
; %bb.1539:
	s_cmp_eq_u32 s56, 15
	s_mov_b32 s0, -1
	s_cbranch_scc0 .LBB151_1541
; %bb.1540:
	s_wait_xcnt 0x0
	v_bfe_u32 v1, v4, 16, 1
	v_cmp_o_f32_e32 vcc_lo, v4, v4
	s_mov_b32 s57, -1
	s_mov_b32 s0, 0
	s_delay_alu instid0(VALU_DEP_2) | instskip(NEXT) | instid1(VALU_DEP_1)
	v_add3_u32 v1, v4, v1, 0x7fff
	v_lshrrev_b32_e32 v1, 16, v1
	s_delay_alu instid0(VALU_DEP_1)
	v_cndmask_b32_e32 v1, 0x7fc0, v1, vcc_lo
	global_store_b16 v[2:3], v1, off
.LBB151_1541:
	s_mov_b32 s58, 0
.LBB151_1542:
	s_delay_alu instid0(SALU_CYCLE_1)
	s_and_b32 vcc_lo, exec_lo, s58
	s_cbranch_vccz .LBB151_1545
; %bb.1543:
	s_cmp_eq_u32 s56, 11
	s_mov_b32 s0, -1
	s_cbranch_scc0 .LBB151_1545
; %bb.1544:
	v_cmp_neq_f32_e32 vcc_lo, 0, v4
	s_mov_b32 s0, 0
	s_mov_b32 s57, -1
	s_wait_xcnt 0x0
	v_cndmask_b32_e64 v1, 0, 1, vcc_lo
	global_store_b8 v[2:3], v1, off
.LBB151_1545:
	s_mov_b32 s56, 0
.LBB151_1546:
	s_delay_alu instid0(SALU_CYCLE_1)
	s_and_b32 vcc_lo, exec_lo, s56
	s_cbranch_vccz .LBB151_1585
; %bb.1547:
	s_and_b32 s31, 0xffff, s31
	s_mov_b32 s56, -1
	s_cmp_lt_i32 s31, 5
	s_cbranch_scc1 .LBB151_1568
; %bb.1548:
	s_cmp_lt_i32 s31, 8
	s_cbranch_scc1 .LBB151_1558
; %bb.1549:
	;; [unrolled: 3-line block ×3, first 2 shown]
	s_cmp_gt_i32 s31, 9
	s_cbranch_scc0 .LBB151_1552
; %bb.1551:
	s_wait_xcnt 0x0
	v_cvt_f64_f32_e32 v[6:7], v4
	v_mov_b32_e32 v8, 0
	s_mov_b32 s56, 0
	s_delay_alu instid0(VALU_DEP_1)
	v_mov_b32_e32 v9, v8
	global_store_b128 v[2:3], v[6:9], off
.LBB151_1552:
	s_and_not1_b32 vcc_lo, exec_lo, s56
	s_cbranch_vccnz .LBB151_1554
; %bb.1553:
	s_wait_xcnt 0x0
	v_mov_b32_e32 v5, 0
	global_store_b64 v[2:3], v[4:5], off
.LBB151_1554:
	s_mov_b32 s56, 0
.LBB151_1555:
	s_delay_alu instid0(SALU_CYCLE_1)
	s_and_not1_b32 vcc_lo, exec_lo, s56
	s_cbranch_vccnz .LBB151_1557
; %bb.1556:
	s_wait_xcnt 0x0
	v_cvt_f16_f32_e32 v1, v4
	s_delay_alu instid0(VALU_DEP_1)
	v_and_b32_e32 v1, 0xffff, v1
	global_store_b32 v[2:3], v1, off
.LBB151_1557:
	s_mov_b32 s56, 0
.LBB151_1558:
	s_delay_alu instid0(SALU_CYCLE_1)
	s_and_not1_b32 vcc_lo, exec_lo, s56
	s_cbranch_vccnz .LBB151_1567
; %bb.1559:
	s_cmp_lt_i32 s31, 6
	s_mov_b32 s56, -1
	s_cbranch_scc1 .LBB151_1565
; %bb.1560:
	s_cmp_gt_i32 s31, 6
	s_cbranch_scc0 .LBB151_1562
; %bb.1561:
	s_wait_xcnt 0x0
	v_cvt_f64_f32_e32 v[6:7], v4
	s_mov_b32 s56, 0
	global_store_b64 v[2:3], v[6:7], off
.LBB151_1562:
	s_and_not1_b32 vcc_lo, exec_lo, s56
	s_cbranch_vccnz .LBB151_1564
; %bb.1563:
	global_store_b32 v[2:3], v4, off
.LBB151_1564:
	s_mov_b32 s56, 0
.LBB151_1565:
	s_delay_alu instid0(SALU_CYCLE_1)
	s_and_not1_b32 vcc_lo, exec_lo, s56
	s_cbranch_vccnz .LBB151_1567
; %bb.1566:
	s_wait_xcnt 0x0
	v_cvt_f16_f32_e32 v1, v4
	global_store_b16 v[2:3], v1, off
.LBB151_1567:
	s_mov_b32 s56, 0
.LBB151_1568:
	s_delay_alu instid0(SALU_CYCLE_1)
	s_and_not1_b32 vcc_lo, exec_lo, s56
	s_cbranch_vccnz .LBB151_1584
; %bb.1569:
	s_cmp_lt_i32 s31, 2
	s_mov_b32 s56, -1
	s_cbranch_scc1 .LBB151_1579
; %bb.1570:
	s_cmp_lt_i32 s31, 3
	s_cbranch_scc1 .LBB151_1576
; %bb.1571:
	s_cmp_gt_i32 s31, 3
	s_cbranch_scc0 .LBB151_1573
; %bb.1572:
	s_wait_xcnt 0x0
	v_trunc_f32_e32 v1, v4
	s_mov_b32 s56, 0
	s_delay_alu instid0(VALU_DEP_1) | instskip(SKIP_1) | instid1(VALU_DEP_2)
	v_mul_f32_e64 v5, 0x2f800000, |v1|
	v_ashrrev_i32_e32 v6, 31, v1
	v_floor_f32_e32 v5, v5
	s_delay_alu instid0(VALU_DEP_1) | instskip(SKIP_1) | instid1(VALU_DEP_2)
	v_fma_f32 v7, 0xcf800000, v5, |v1|
	v_cvt_u32_f32_e32 v1, v5
	v_cvt_u32_f32_e32 v5, v7
	s_delay_alu instid0(VALU_DEP_2) | instskip(NEXT) | instid1(VALU_DEP_2)
	v_dual_mov_b32 v7, v6 :: v_dual_bitop2_b32 v9, v1, v6 bitop3:0x14
	v_xor_b32_e32 v8, v5, v6
	s_delay_alu instid0(VALU_DEP_1)
	v_sub_nc_u64_e32 v[6:7], v[8:9], v[6:7]
	global_store_b64 v[2:3], v[6:7], off
.LBB151_1573:
	s_and_not1_b32 vcc_lo, exec_lo, s56
	s_cbranch_vccnz .LBB151_1575
; %bb.1574:
	s_wait_xcnt 0x0
	v_cvt_i32_f32_e32 v1, v4
	global_store_b32 v[2:3], v1, off
.LBB151_1575:
	s_mov_b32 s56, 0
.LBB151_1576:
	s_delay_alu instid0(SALU_CYCLE_1)
	s_and_not1_b32 vcc_lo, exec_lo, s56
	s_cbranch_vccnz .LBB151_1578
; %bb.1577:
	s_wait_xcnt 0x0
	v_cvt_i32_f32_e32 v1, v4
	global_store_b16 v[2:3], v1, off
.LBB151_1578:
	s_mov_b32 s56, 0
.LBB151_1579:
	s_delay_alu instid0(SALU_CYCLE_1)
	s_and_not1_b32 vcc_lo, exec_lo, s56
	s_cbranch_vccnz .LBB151_1584
; %bb.1580:
	s_cmp_gt_i32 s31, 0
	s_mov_b32 s31, -1
	s_cbranch_scc0 .LBB151_1582
; %bb.1581:
	s_wait_xcnt 0x0
	v_cvt_i32_f32_e32 v1, v4
	s_mov_b32 s31, 0
	global_store_b8 v[2:3], v1, off
.LBB151_1582:
	s_and_not1_b32 vcc_lo, exec_lo, s31
	s_cbranch_vccnz .LBB151_1584
; %bb.1583:
	s_wait_xcnt 0x0
	v_trunc_f32_e32 v1, v4
	s_delay_alu instid0(VALU_DEP_1) | instskip(NEXT) | instid1(VALU_DEP_1)
	v_mul_f32_e64 v4, 0x2f800000, |v1|
	v_floor_f32_e32 v4, v4
	s_delay_alu instid0(VALU_DEP_1) | instskip(SKIP_1) | instid1(VALU_DEP_2)
	v_fma_f32 v4, 0xcf800000, v4, |v1|
	v_ashrrev_i32_e32 v1, 31, v1
	v_cvt_u32_f32_e32 v4, v4
	s_delay_alu instid0(VALU_DEP_1) | instskip(NEXT) | instid1(VALU_DEP_1)
	v_xor_b32_e32 v4, v4, v1
	v_sub_nc_u32_e32 v1, v4, v1
	global_store_b8 v[2:3], v1, off
.LBB151_1584:
	s_mov_b32 s57, -1
.LBB151_1585:
	s_delay_alu instid0(SALU_CYCLE_1)
	s_and_not1_b32 vcc_lo, exec_lo, s57
	s_cbranch_vccnz .LBB151_1587
; %bb.1586:
	v_add_nc_u32_e32 v0, 0x80, v0
	s_mov_b32 s31, -1
	s_branch .LBB151_1589
.LBB151_1587:
	s_mov_b32 s31, 0
.LBB151_1588:
                                        ; implicit-def: $vgpr0
.LBB151_1589:
	s_and_not1_b32 s56, s51, exec_lo
	s_and_b32 s0, s0, exec_lo
	s_and_not1_b32 s57, s52, exec_lo
	s_and_b32 s30, s30, exec_lo
	s_or_b32 s59, s56, s0
	s_or_b32 s57, s57, s30
	s_and_not1_b32 s0, s53, exec_lo
	s_and_b32 s29, s29, exec_lo
	s_and_not1_b32 s30, s50, exec_lo
	s_and_b32 s28, s28, exec_lo
	s_or_b32 s58, s0, s29
	s_or_b32 s56, s30, s28
	s_or_not1_b32 s31, s31, exec_lo
.LBB151_1590:
	s_wait_xcnt 0x0
	s_or_b32 exec_lo, exec_lo, s55
	s_mov_b32 s29, 0
	s_mov_b32 s30, 0
	;; [unrolled: 1-line block ×3, first 2 shown]
                                        ; implicit-def: $sgpr0
                                        ; implicit-def: $vgpr8_vgpr9
                                        ; implicit-def: $vgpr2
                                        ; implicit-def: $vgpr4
                                        ; implicit-def: $vgpr6
                                        ; implicit-def: $vgpr10
	s_and_saveexec_b32 s55, s31
	s_cbranch_execz .LBB151_1683
; %bb.1591:
	v_cmp_gt_i32_e32 vcc_lo, s44, v0
	s_mov_b32 s31, s56
                                        ; implicit-def: $sgpr0
                                        ; implicit-def: $vgpr8_vgpr9
                                        ; implicit-def: $vgpr2
                                        ; implicit-def: $vgpr4
                                        ; implicit-def: $vgpr6
                                        ; implicit-def: $vgpr10
	s_and_saveexec_b32 s44, vcc_lo
	s_cbranch_execz .LBB151_1682
; %bb.1592:
	s_and_not1_b32 vcc_lo, exec_lo, s36
	s_cbranch_vccnz .LBB151_1598
; %bb.1593:
	s_and_not1_b32 vcc_lo, exec_lo, s45
	s_cbranch_vccnz .LBB151_1599
; %bb.1594:
	s_wait_loadcnt 0x0
	v_dual_mov_b32 v6, 0 :: v_dual_mov_b32 v1, v0
	v_dual_mov_b32 v4, 0 :: v_dual_mov_b32 v2, 0
	v_mov_b32_e32 v8, 0
	s_add_co_i32 s0, s42, 1
	s_mov_b64 s[28:29], 0xffffffffffffffe0
	s_and_b32 s0, s0, 30
	s_add_nc_u64 s[28:29], s[2:3], s[28:29]
	s_mov_b64 s[30:31], s[2:3]
.LBB151_1595:                           ; =>This Inner Loop Header: Depth=1
	s_clause 0x1
	s_load_b128 s[68:71], s[30:31], 0x4
	s_load_b64 s[72:73], s[30:31], 0x14
	s_load_b256 s[60:67], s[28:29], 0xe4
	s_add_co_i32 s0, s0, -2
	s_wait_xcnt 0x0
	s_add_nc_u64 s[30:31], s[30:31], 24
	s_cmp_eq_u32 s0, 0
	s_add_nc_u64 s[28:29], s[28:29], 32
	s_wait_kmcnt 0x0
	v_mul_hi_u32 v3, s69, v1
	s_delay_alu instid0(VALU_DEP_1) | instskip(NEXT) | instid1(VALU_DEP_1)
	v_add_nc_u32_e32 v3, v1, v3
	v_lshrrev_b32_e32 v3, s70, v3
	s_delay_alu instid0(VALU_DEP_1) | instskip(SKIP_1) | instid1(VALU_DEP_1)
	v_mul_hi_u32 v5, s72, v3
	v_mul_lo_u32 v7, v3, s68
	v_dual_add_nc_u32 v5, v3, v5 :: v_dual_sub_nc_u32 v7, v1, v7
	s_delay_alu instid0(VALU_DEP_1) | instskip(NEXT) | instid1(VALU_DEP_2)
	v_lshrrev_b32_e32 v1, s73, v5
	v_mad_u32 v8, v7, s61, v8
	v_mad_u32 v2, v7, s60, v2
	;; [unrolled: 1-line block ×4, first 2 shown]
	v_mul_lo_u32 v5, v1, s71
	s_delay_alu instid0(VALU_DEP_1) | instskip(NEXT) | instid1(VALU_DEP_1)
	v_sub_nc_u32_e32 v3, v3, v5
	v_mad_u32 v8, v3, s65, v8
	v_mad_u32 v2, v3, s64, v2
	;; [unrolled: 1-line block ×4, first 2 shown]
	s_cbranch_scc0 .LBB151_1595
; %bb.1596:
	s_bitcmp1_b32 s42, 0
	s_cselect_b32 s0, -1, 0
	s_delay_alu instid0(SALU_CYCLE_1)
	s_and_b32 vcc_lo, exec_lo, s0
	s_cbranch_vccnz .LBB151_1600
; %bb.1597:
	s_load_b96 s[64:66], s[30:31], 0x4
	s_load_b128 s[60:63], s[28:29], 0xe4
	s_wait_kmcnt 0x0
	v_mul_hi_u32 v3, s65, v1
	s_delay_alu instid0(VALU_DEP_1) | instskip(NEXT) | instid1(VALU_DEP_1)
	v_add_nc_u32_e32 v3, v1, v3
	v_lshrrev_b32_e32 v3, s66, v3
	s_delay_alu instid0(VALU_DEP_1) | instskip(NEXT) | instid1(VALU_DEP_1)
	v_mul_lo_u32 v3, v3, s64
	v_sub_nc_u32_e32 v1, v1, v3
	s_delay_alu instid0(VALU_DEP_1)
	v_mad_u32 v2, v1, s60, v2
	v_mad_u32 v8, v1, s61, v8
	v_mad_u32 v6, v1, s62, v6
	v_mad_u32 v4, v1, s63, v4
	s_branch .LBB151_1600
.LBB151_1598:
	s_mov_b32 s0, -1
                                        ; implicit-def: $vgpr8
                                        ; implicit-def: $vgpr2
                                        ; implicit-def: $vgpr4
                                        ; implicit-def: $vgpr6
	s_branch .LBB151_1601
.LBB151_1599:
	s_wait_loadcnt 0x0
	v_dual_mov_b32 v8, 0 :: v_dual_mov_b32 v2, 0
	v_dual_mov_b32 v4, 0 :: v_dual_mov_b32 v6, 0
.LBB151_1600:
	s_mov_b32 s0, 0
.LBB151_1601:
	s_delay_alu instid0(SALU_CYCLE_1)
	s_and_not1_b32 vcc_lo, exec_lo, s0
	s_cbranch_vccnz .LBB151_1604
; %bb.1602:
	s_wait_loadcnt 0x0
	v_mov_b32_e32 v1, 0
	s_and_not1_b32 vcc_lo, exec_lo, s41
	s_delay_alu instid0(VALU_DEP_1) | instskip(NEXT) | instid1(VALU_DEP_1)
	v_mul_u64_e32 v[2:3], s[24:25], v[0:1]
	v_add_nc_u32_e32 v2, v0, v3
	s_delay_alu instid0(VALU_DEP_1) | instskip(NEXT) | instid1(VALU_DEP_1)
	v_lshrrev_b32_e32 v10, s22, v2
	v_mul_lo_u32 v2, v10, s20
	s_delay_alu instid0(VALU_DEP_1) | instskip(NEXT) | instid1(VALU_DEP_1)
	v_sub_nc_u32_e32 v0, v0, v2
	v_mul_lo_u32 v8, v0, s13
	v_mul_lo_u32 v2, v0, s12
	;; [unrolled: 1-line block ×4, first 2 shown]
	s_cbranch_vccnz .LBB151_1604
; %bb.1603:
	v_mov_b32_e32 v11, v1
	s_delay_alu instid0(VALU_DEP_1) | instskip(NEXT) | instid1(VALU_DEP_1)
	v_mul_u64_e32 v[0:1], s[26:27], v[10:11]
	v_add_nc_u32_e32 v0, v10, v1
	s_delay_alu instid0(VALU_DEP_1) | instskip(NEXT) | instid1(VALU_DEP_1)
	v_lshrrev_b32_e32 v0, s1, v0
	v_mul_lo_u32 v0, v0, s23
	s_delay_alu instid0(VALU_DEP_1) | instskip(NEXT) | instid1(VALU_DEP_1)
	v_sub_nc_u32_e32 v0, v10, v0
	v_mad_u32 v2, v0, s16, v2
	v_mad_u32 v8, v0, s17, v8
	;; [unrolled: 1-line block ×4, first 2 shown]
.LBB151_1604:
	v_mov_b32_e32 v9, 0
	s_and_b32 s0, s40, 0xff
	s_delay_alu instid0(SALU_CYCLE_1) | instskip(SKIP_1) | instid1(VALU_DEP_1)
	s_cmp_lt_i32 s0, 11
	s_wait_loadcnt 0x0
	v_add_nc_u64_e32 v[8:9], s[6:7], v[8:9]
	s_cbranch_scc1 .LBB151_1611
; %bb.1605:
	s_and_b32 s1, 0xffff, s0
	s_mov_b32 s7, 0
	s_cmp_gt_i32 s1, 25
	s_cbranch_scc0 .LBB151_1612
; %bb.1606:
	s_cmp_gt_i32 s1, 28
	s_cbranch_scc0 .LBB151_1613
; %bb.1607:
	;; [unrolled: 3-line block ×4, first 2 shown]
	s_cmp_eq_u32 s1, 46
	s_mov_b32 s13, 0
	s_cbranch_scc0 .LBB151_1616
; %bb.1610:
	global_load_b32 v0, v[8:9], off
	s_mov_b32 s6, 0
	s_mov_b32 s12, -1
	s_wait_loadcnt 0x0
	v_lshlrev_b32_e32 v10, 16, v0
	s_branch .LBB151_1618
.LBB151_1611:
	s_mov_b32 s1, -1
	s_mov_b32 s12, 0
	s_mov_b32 s7, 0
	;; [unrolled: 1-line block ×3, first 2 shown]
                                        ; implicit-def: $vgpr10
	s_branch .LBB151_1681
.LBB151_1612:
	s_mov_b32 s13, -1
	s_mov_b32 s12, 0
	s_mov_b32 s6, s56
                                        ; implicit-def: $vgpr10
	s_branch .LBB151_1647
.LBB151_1613:
	s_mov_b32 s13, -1
	s_mov_b32 s12, 0
	s_mov_b32 s6, s56
                                        ; implicit-def: $vgpr10
	s_branch .LBB151_1628
.LBB151_1614:
	s_mov_b32 s13, -1
	s_mov_b32 s12, 0
	s_mov_b32 s6, s56
                                        ; implicit-def: $vgpr10
	s_branch .LBB151_1623
.LBB151_1615:
	s_mov_b32 s13, -1
	s_mov_b32 s12, 0
	s_mov_b32 s6, s56
	s_branch .LBB151_1617
.LBB151_1616:
	s_mov_b32 s6, -1
	s_mov_b32 s12, 0
.LBB151_1617:
                                        ; implicit-def: $vgpr10
.LBB151_1618:
	s_and_b32 vcc_lo, exec_lo, s13
	s_cbranch_vccz .LBB151_1622
; %bb.1619:
	s_cmp_eq_u32 s1, 44
	s_cbranch_scc0 .LBB151_1621
; %bb.1620:
	global_load_u8 v0, v[8:9], off
	s_mov_b32 s6, 0
	s_mov_b32 s12, -1
	s_wait_loadcnt 0x0
	v_lshlrev_b32_e32 v1, 23, v0
	v_cmp_ne_u32_e32 vcc_lo, 0xff, v0
	s_delay_alu instid0(VALU_DEP_2) | instskip(SKIP_1) | instid1(VALU_DEP_2)
	v_cndmask_b32_e32 v1, 0x7f800001, v1, vcc_lo
	v_cmp_ne_u32_e32 vcc_lo, 0, v0
	v_cndmask_b32_e32 v10, 0x400000, v1, vcc_lo
	s_branch .LBB151_1622
.LBB151_1621:
	s_mov_b32 s6, -1
                                        ; implicit-def: $vgpr10
.LBB151_1622:
	s_mov_b32 s13, 0
.LBB151_1623:
	s_delay_alu instid0(SALU_CYCLE_1)
	s_and_b32 vcc_lo, exec_lo, s13
	s_cbranch_vccz .LBB151_1627
; %bb.1624:
	s_cmp_eq_u32 s1, 29
	s_cbranch_scc0 .LBB151_1626
; %bb.1625:
	global_load_b64 v[0:1], v[8:9], off
	s_mov_b32 s6, 0
	s_mov_b32 s12, -1
	s_mov_b32 s13, 0
	s_wait_loadcnt 0x0
	v_clz_i32_u32_e32 v3, v1
	s_delay_alu instid0(VALU_DEP_1) | instskip(NEXT) | instid1(VALU_DEP_1)
	v_min_u32_e32 v3, 32, v3
	v_lshlrev_b64_e32 v[0:1], v3, v[0:1]
	s_delay_alu instid0(VALU_DEP_1) | instskip(NEXT) | instid1(VALU_DEP_1)
	v_min_u32_e32 v0, 1, v0
	v_dual_sub_nc_u32 v1, 32, v3 :: v_dual_bitop2_b32 v0, v1, v0 bitop3:0x54
	s_delay_alu instid0(VALU_DEP_1) | instskip(NEXT) | instid1(VALU_DEP_1)
	v_cvt_f32_u32_e32 v0, v0
	v_ldexp_f32 v10, v0, v1
	s_branch .LBB151_1628
.LBB151_1626:
	s_mov_b32 s6, -1
                                        ; implicit-def: $vgpr10
.LBB151_1627:
	s_mov_b32 s13, 0
.LBB151_1628:
	s_delay_alu instid0(SALU_CYCLE_1)
	s_and_b32 vcc_lo, exec_lo, s13
	s_cbranch_vccz .LBB151_1646
; %bb.1629:
	s_cmp_lt_i32 s1, 27
	s_cbranch_scc1 .LBB151_1632
; %bb.1630:
	s_cmp_gt_i32 s1, 27
	s_cbranch_scc0 .LBB151_1633
; %bb.1631:
	global_load_b32 v0, v[8:9], off
	s_mov_b32 s12, 0
	s_wait_loadcnt 0x0
	v_cvt_f32_u32_e32 v10, v0
	s_branch .LBB151_1634
.LBB151_1632:
	s_mov_b32 s12, -1
                                        ; implicit-def: $vgpr10
	s_branch .LBB151_1637
.LBB151_1633:
	s_mov_b32 s12, -1
                                        ; implicit-def: $vgpr10
.LBB151_1634:
	s_delay_alu instid0(SALU_CYCLE_1)
	s_and_not1_b32 vcc_lo, exec_lo, s12
	s_cbranch_vccnz .LBB151_1636
; %bb.1635:
	global_load_u16 v0, v[8:9], off
	s_wait_loadcnt 0x0
	v_cvt_f32_u32_e32 v10, v0
.LBB151_1636:
	s_mov_b32 s12, 0
.LBB151_1637:
	s_delay_alu instid0(SALU_CYCLE_1)
	s_and_not1_b32 vcc_lo, exec_lo, s12
	s_cbranch_vccnz .LBB151_1645
; %bb.1638:
	global_load_u8 v0, v[8:9], off
	s_mov_b32 s12, 0
	s_mov_b32 s13, exec_lo
	s_wait_loadcnt 0x0
	v_cmpx_lt_i16_e32 0x7f, v0
	s_xor_b32 s13, exec_lo, s13
	s_cbranch_execz .LBB151_1659
; %bb.1639:
	s_mov_b32 s12, -1
	s_mov_b32 s14, exec_lo
	v_cmpx_eq_u16_e32 0x80, v0
; %bb.1640:
	s_xor_b32 s12, exec_lo, -1
; %bb.1641:
	s_or_b32 exec_lo, exec_lo, s14
	s_delay_alu instid0(SALU_CYCLE_1)
	s_and_b32 s12, s12, exec_lo
	s_or_saveexec_b32 s13, s13
	v_mov_b32_e32 v10, 0x7f800001
	s_xor_b32 exec_lo, exec_lo, s13
	s_cbranch_execnz .LBB151_1660
.LBB151_1642:
	s_or_b32 exec_lo, exec_lo, s13
	s_and_saveexec_b32 s13, s12
	s_cbranch_execz .LBB151_1644
.LBB151_1643:
	v_and_b32_e32 v1, 0xffff, v0
	s_delay_alu instid0(VALU_DEP_1) | instskip(SKIP_1) | instid1(VALU_DEP_2)
	v_dual_lshlrev_b32 v0, 24, v0 :: v_dual_bitop2_b32 v3, 7, v1 bitop3:0x40
	v_bfe_u32 v10, v1, 3, 4
	v_and_b32_e32 v0, 0x80000000, v0
	s_delay_alu instid0(VALU_DEP_3) | instskip(NEXT) | instid1(VALU_DEP_3)
	v_clz_i32_u32_e32 v5, v3
	v_cmp_eq_u32_e32 vcc_lo, 0, v10
	s_delay_alu instid0(VALU_DEP_2) | instskip(NEXT) | instid1(VALU_DEP_1)
	v_min_u32_e32 v5, 32, v5
	v_subrev_nc_u32_e32 v7, 28, v5
	v_sub_nc_u32_e32 v5, 29, v5
	s_delay_alu instid0(VALU_DEP_2) | instskip(NEXT) | instid1(VALU_DEP_2)
	v_lshlrev_b32_e32 v1, v7, v1
	v_cndmask_b32_e32 v5, v10, v5, vcc_lo
	s_delay_alu instid0(VALU_DEP_2) | instskip(NEXT) | instid1(VALU_DEP_1)
	v_and_b32_e32 v1, 7, v1
	v_cndmask_b32_e32 v1, v3, v1, vcc_lo
	s_delay_alu instid0(VALU_DEP_3) | instskip(NEXT) | instid1(VALU_DEP_2)
	v_lshl_add_u32 v3, v5, 23, 0x3b800000
	v_lshlrev_b32_e32 v1, 20, v1
	s_delay_alu instid0(VALU_DEP_1)
	v_or3_b32 v10, v0, v3, v1
.LBB151_1644:
	s_or_b32 exec_lo, exec_lo, s13
.LBB151_1645:
	s_mov_b32 s12, -1
.LBB151_1646:
	s_mov_b32 s13, 0
.LBB151_1647:
	s_delay_alu instid0(SALU_CYCLE_1)
	s_and_b32 vcc_lo, exec_lo, s13
	s_cbranch_vccz .LBB151_1680
; %bb.1648:
	s_cmp_gt_i32 s1, 22
	s_cbranch_scc0 .LBB151_1658
; %bb.1649:
	s_cmp_lt_i32 s1, 24
	s_cbranch_scc1 .LBB151_1661
; %bb.1650:
	s_cmp_gt_i32 s1, 24
	s_cbranch_scc0 .LBB151_1662
; %bb.1651:
	global_load_u8 v0, v[8:9], off
	s_mov_b32 s12, exec_lo
	s_wait_loadcnt 0x0
	v_cmpx_lt_i16_e32 0x7f, v0
	s_xor_b32 s12, exec_lo, s12
	s_cbranch_execz .LBB151_1674
; %bb.1652:
	s_mov_b32 s7, -1
	s_mov_b32 s13, exec_lo
	v_cmpx_eq_u16_e32 0x80, v0
; %bb.1653:
	s_xor_b32 s7, exec_lo, -1
; %bb.1654:
	s_or_b32 exec_lo, exec_lo, s13
	s_delay_alu instid0(SALU_CYCLE_1)
	s_and_b32 s7, s7, exec_lo
	s_or_saveexec_b32 s12, s12
	v_mov_b32_e32 v10, 0x7f800001
	s_xor_b32 exec_lo, exec_lo, s12
	s_cbranch_execnz .LBB151_1675
.LBB151_1655:
	s_or_b32 exec_lo, exec_lo, s12
	s_and_saveexec_b32 s12, s7
	s_cbranch_execz .LBB151_1657
.LBB151_1656:
	v_and_b32_e32 v1, 0xffff, v0
	s_delay_alu instid0(VALU_DEP_1) | instskip(SKIP_1) | instid1(VALU_DEP_2)
	v_dual_lshlrev_b32 v0, 24, v0 :: v_dual_bitop2_b32 v3, 3, v1 bitop3:0x40
	v_bfe_u32 v10, v1, 2, 5
	v_and_b32_e32 v0, 0x80000000, v0
	s_delay_alu instid0(VALU_DEP_3) | instskip(NEXT) | instid1(VALU_DEP_3)
	v_clz_i32_u32_e32 v5, v3
	v_cmp_eq_u32_e32 vcc_lo, 0, v10
	s_delay_alu instid0(VALU_DEP_2) | instskip(NEXT) | instid1(VALU_DEP_1)
	v_min_u32_e32 v5, 32, v5
	v_subrev_nc_u32_e32 v7, 29, v5
	v_sub_nc_u32_e32 v5, 30, v5
	s_delay_alu instid0(VALU_DEP_2) | instskip(NEXT) | instid1(VALU_DEP_2)
	v_lshlrev_b32_e32 v1, v7, v1
	v_cndmask_b32_e32 v5, v10, v5, vcc_lo
	s_delay_alu instid0(VALU_DEP_2) | instskip(NEXT) | instid1(VALU_DEP_1)
	v_and_b32_e32 v1, 3, v1
	v_cndmask_b32_e32 v1, v3, v1, vcc_lo
	s_delay_alu instid0(VALU_DEP_3) | instskip(NEXT) | instid1(VALU_DEP_2)
	v_lshl_add_u32 v3, v5, 23, 0x37800000
	v_lshlrev_b32_e32 v1, 21, v1
	s_delay_alu instid0(VALU_DEP_1)
	v_or3_b32 v10, v0, v3, v1
.LBB151_1657:
	s_or_b32 exec_lo, exec_lo, s12
	s_mov_b32 s7, 0
	s_branch .LBB151_1663
.LBB151_1658:
	s_mov_b32 s7, -1
                                        ; implicit-def: $vgpr10
	s_branch .LBB151_1669
.LBB151_1659:
	s_or_saveexec_b32 s13, s13
	v_mov_b32_e32 v10, 0x7f800001
	s_xor_b32 exec_lo, exec_lo, s13
	s_cbranch_execz .LBB151_1642
.LBB151_1660:
	v_cmp_ne_u16_e32 vcc_lo, 0, v0
	v_mov_b32_e32 v10, 0
	s_and_not1_b32 s12, s12, exec_lo
	s_and_b32 s14, vcc_lo, exec_lo
	s_delay_alu instid0(SALU_CYCLE_1)
	s_or_b32 s12, s12, s14
	s_or_b32 exec_lo, exec_lo, s13
	s_and_saveexec_b32 s13, s12
	s_cbranch_execnz .LBB151_1643
	s_branch .LBB151_1644
.LBB151_1661:
	s_mov_b32 s7, -1
                                        ; implicit-def: $vgpr10
	s_branch .LBB151_1666
.LBB151_1662:
	s_mov_b32 s7, -1
                                        ; implicit-def: $vgpr10
.LBB151_1663:
	s_delay_alu instid0(SALU_CYCLE_1)
	s_and_b32 vcc_lo, exec_lo, s7
	s_cbranch_vccz .LBB151_1665
; %bb.1664:
	global_load_u8 v0, v[8:9], off
	s_wait_loadcnt 0x0
	v_lshlrev_b32_e32 v0, 24, v0
	s_delay_alu instid0(VALU_DEP_1) | instskip(NEXT) | instid1(VALU_DEP_1)
	v_and_b32_e32 v1, 0x7f000000, v0
	v_clz_i32_u32_e32 v3, v1
	v_add_nc_u32_e32 v7, 0x1000000, v1
	v_cmp_ne_u32_e32 vcc_lo, 0, v1
	s_delay_alu instid0(VALU_DEP_3) | instskip(NEXT) | instid1(VALU_DEP_1)
	v_min_u32_e32 v3, 32, v3
	v_sub_nc_u32_e64 v3, v3, 4 clamp
	s_delay_alu instid0(VALU_DEP_1) | instskip(NEXT) | instid1(VALU_DEP_1)
	v_dual_lshlrev_b32 v5, v3, v1 :: v_dual_lshlrev_b32 v3, 23, v3
	v_lshrrev_b32_e32 v5, 4, v5
	s_delay_alu instid0(VALU_DEP_1) | instskip(SKIP_1) | instid1(VALU_DEP_2)
	v_sub_nc_u32_e32 v3, v5, v3
	v_ashrrev_i32_e32 v5, 8, v7
	v_add_nc_u32_e32 v3, 0x3c000000, v3
	s_delay_alu instid0(VALU_DEP_1) | instskip(NEXT) | instid1(VALU_DEP_1)
	v_and_or_b32 v3, 0x7f800000, v5, v3
	v_cndmask_b32_e32 v1, 0, v3, vcc_lo
	s_delay_alu instid0(VALU_DEP_1)
	v_and_or_b32 v10, 0x80000000, v0, v1
.LBB151_1665:
	s_mov_b32 s7, 0
.LBB151_1666:
	s_delay_alu instid0(SALU_CYCLE_1)
	s_and_not1_b32 vcc_lo, exec_lo, s7
	s_cbranch_vccnz .LBB151_1668
; %bb.1667:
	global_load_u8 v0, v[8:9], off
	s_wait_loadcnt 0x0
	v_lshlrev_b32_e32 v1, 25, v0
	v_lshlrev_b16 v0, 8, v0
	s_delay_alu instid0(VALU_DEP_1) | instskip(SKIP_1) | instid1(VALU_DEP_2)
	v_and_or_b32 v5, 0x7f00, v0, 0.5
	v_bfe_i32 v0, v0, 0, 16
	v_add_f32_e32 v5, -0.5, v5
	v_lshrrev_b32_e32 v3, 4, v1
	v_cmp_gt_u32_e32 vcc_lo, 0x8000000, v1
	s_delay_alu instid0(VALU_DEP_2) | instskip(NEXT) | instid1(VALU_DEP_1)
	v_or_b32_e32 v3, 0x70000000, v3
	v_mul_f32_e32 v3, 0x7800000, v3
	s_delay_alu instid0(VALU_DEP_1) | instskip(NEXT) | instid1(VALU_DEP_1)
	v_cndmask_b32_e32 v1, v3, v5, vcc_lo
	v_and_or_b32 v10, 0x80000000, v0, v1
.LBB151_1668:
	s_mov_b32 s7, 0
	s_mov_b32 s12, -1
.LBB151_1669:
	s_and_not1_b32 vcc_lo, exec_lo, s7
	s_mov_b32 s7, 0
	s_cbranch_vccnz .LBB151_1680
; %bb.1670:
	s_cmp_gt_i32 s1, 14
	s_cbranch_scc0 .LBB151_1673
; %bb.1671:
	s_cmp_eq_u32 s1, 15
	s_cbranch_scc0 .LBB151_1676
; %bb.1672:
	global_load_u16 v0, v[8:9], off
	s_mov_b32 s6, 0
	s_mov_b32 s12, -1
	s_wait_loadcnt 0x0
	v_lshlrev_b32_e32 v10, 16, v0
	s_branch .LBB151_1678
.LBB151_1673:
	s_mov_b32 s7, -1
	s_branch .LBB151_1677
.LBB151_1674:
	s_or_saveexec_b32 s12, s12
	v_mov_b32_e32 v10, 0x7f800001
	s_xor_b32 exec_lo, exec_lo, s12
	s_cbranch_execz .LBB151_1655
.LBB151_1675:
	v_cmp_ne_u16_e32 vcc_lo, 0, v0
	v_mov_b32_e32 v10, 0
	s_and_not1_b32 s7, s7, exec_lo
	s_and_b32 s13, vcc_lo, exec_lo
	s_delay_alu instid0(SALU_CYCLE_1)
	s_or_b32 s7, s7, s13
	s_or_b32 exec_lo, exec_lo, s12
	s_and_saveexec_b32 s12, s7
	s_cbranch_execnz .LBB151_1656
	s_branch .LBB151_1657
.LBB151_1676:
	s_mov_b32 s6, -1
.LBB151_1677:
                                        ; implicit-def: $vgpr10
.LBB151_1678:
	s_and_b32 vcc_lo, exec_lo, s7
	s_mov_b32 s7, 0
	s_cbranch_vccz .LBB151_1680
; %bb.1679:
	s_cmp_lg_u32 s1, 11
	s_mov_b32 s7, -1
	s_cselect_b32 s1, -1, 0
	s_and_not1_b32 s6, s6, exec_lo
	s_and_b32 s1, s1, exec_lo
	s_delay_alu instid0(SALU_CYCLE_1)
	s_or_b32 s6, s6, s1
.LBB151_1680:
	s_mov_b32 s1, 0
.LBB151_1681:
	s_delay_alu instid0(SALU_CYCLE_1)
	s_and_b32 s30, s1, exec_lo
	s_and_not1_b32 s1, s56, exec_lo
	s_and_b32 s6, s6, exec_lo
	s_and_b32 s28, s12, exec_lo
	;; [unrolled: 1-line block ×3, first 2 shown]
	s_or_b32 s31, s1, s6
.LBB151_1682:
	s_wait_xcnt 0x0
	s_or_b32 exec_lo, exec_lo, s44
	s_delay_alu instid0(SALU_CYCLE_1)
	s_and_not1_b32 s1, s56, exec_lo
	s_and_b32 s6, s31, exec_lo
	s_and_b32 s28, s28, exec_lo
	;; [unrolled: 1-line block ×4, first 2 shown]
	s_or_b32 s56, s1, s6
.LBB151_1683:
	s_or_b32 exec_lo, exec_lo, s55
	s_delay_alu instid0(SALU_CYCLE_1)
	s_and_not1_b32 s1, s51, exec_lo
	s_and_b32 s6, s59, exec_lo
	s_and_not1_b32 s7, s53, exec_lo
	s_or_b32 s51, s1, s6
	s_and_not1_b32 s1, s52, exec_lo
	s_and_b32 s6, s57, exec_lo
	s_and_b32 s12, s58, exec_lo
	s_or_b32 s52, s1, s6
	s_and_not1_b32 s1, s50, exec_lo
	s_and_b32 s6, s56, exec_lo
	s_or_b32 s53, s7, s12
	s_and_b32 s28, s28, exec_lo
	s_and_b32 s30, s30, exec_lo
	;; [unrolled: 1-line block ×3, first 2 shown]
	s_or_b32 s50, s1, s6
.LBB151_1684:
	s_or_b32 exec_lo, exec_lo, s54
	s_delay_alu instid0(SALU_CYCLE_1)
	s_and_not1_b32 s1, s43, exec_lo
	s_and_b32 s6, s51, exec_lo
	s_and_not1_b32 s7, s47, exec_lo
	s_or_b32 s43, s1, s6
	s_and_not1_b32 s1, s46, exec_lo
	s_and_b32 s6, s52, exec_lo
	s_and_b32 s12, s53, exec_lo
	s_or_b32 s46, s1, s6
	s_and_not1_b32 s1, s48, exec_lo
	s_and_b32 s6, s50, exec_lo
	s_or_b32 s47, s7, s12
	s_and_b32 s28, s28, exec_lo
	s_and_b32 s30, s30, exec_lo
	;; [unrolled: 1-line block ×3, first 2 shown]
	s_or_b32 s48, s1, s6
	s_or_b32 exec_lo, exec_lo, s49
	s_mov_b32 s1, 0
	s_and_saveexec_b32 s6, s48
	s_cbranch_execz .LBB151_532
.LBB151_1685:
	s_mov_b32 s1, exec_lo
	s_and_not1_b32 s25, s25, exec_lo
	s_trap 2
	s_or_b32 exec_lo, exec_lo, s6
	s_and_saveexec_b32 s6, s25
	s_delay_alu instid0(SALU_CYCLE_1)
	s_xor_b32 s6, exec_lo, s6
	s_cbranch_execnz .LBB151_533
.LBB151_1686:
	s_or_b32 exec_lo, exec_lo, s6
	s_and_saveexec_b32 s6, s30
	s_cbranch_execz .LBB151_1732
.LBB151_1687:
	s_sext_i32_i16 s7, s0
	s_delay_alu instid0(SALU_CYCLE_1)
	s_cmp_lt_i32 s7, 5
	s_cbranch_scc1 .LBB151_1692
; %bb.1688:
	s_cmp_lt_i32 s7, 8
	s_cbranch_scc1 .LBB151_1693
; %bb.1689:
	;; [unrolled: 3-line block ×3, first 2 shown]
	s_cmp_gt_i32 s7, 9
	s_cbranch_scc0 .LBB151_1695
; %bb.1691:
	s_wait_loadcnt 0x0
	global_load_b64 v[0:1], v[8:9], off
	s_mov_b32 s7, 0
	s_wait_loadcnt 0x0
	v_cvt_f32_f64_e32 v10, v[0:1]
	s_branch .LBB151_1696
.LBB151_1692:
                                        ; implicit-def: $vgpr10
	s_branch .LBB151_1713
.LBB151_1693:
                                        ; implicit-def: $vgpr10
	s_branch .LBB151_1702
.LBB151_1694:
	s_mov_b32 s7, -1
                                        ; implicit-def: $vgpr10
	s_branch .LBB151_1699
.LBB151_1695:
	s_mov_b32 s7, -1
                                        ; implicit-def: $vgpr10
.LBB151_1696:
	s_delay_alu instid0(SALU_CYCLE_1)
	s_and_not1_b32 vcc_lo, exec_lo, s7
	s_cbranch_vccnz .LBB151_1698
; %bb.1697:
	s_wait_loadcnt 0x0
	global_load_b32 v10, v[8:9], off
.LBB151_1698:
	s_mov_b32 s7, 0
.LBB151_1699:
	s_delay_alu instid0(SALU_CYCLE_1)
	s_and_not1_b32 vcc_lo, exec_lo, s7
	s_cbranch_vccnz .LBB151_1701
; %bb.1700:
	s_wait_loadcnt 0x0
	global_load_b32 v0, v[8:9], off
	s_wait_loadcnt 0x0
	v_cvt_f32_f16_e32 v10, v0
.LBB151_1701:
	s_cbranch_execnz .LBB151_1712
.LBB151_1702:
	s_sext_i32_i16 s7, s0
	s_delay_alu instid0(SALU_CYCLE_1)
	s_cmp_lt_i32 s7, 6
	s_cbranch_scc1 .LBB151_1705
; %bb.1703:
	s_cmp_gt_i32 s7, 6
	s_cbranch_scc0 .LBB151_1706
; %bb.1704:
	s_wait_loadcnt 0x0
	global_load_b64 v[0:1], v[8:9], off
	s_mov_b32 s7, 0
	s_wait_loadcnt 0x0
	v_cvt_f32_f64_e32 v10, v[0:1]
	s_branch .LBB151_1707
.LBB151_1705:
	s_mov_b32 s7, -1
                                        ; implicit-def: $vgpr10
	s_branch .LBB151_1710
.LBB151_1706:
	s_mov_b32 s7, -1
                                        ; implicit-def: $vgpr10
.LBB151_1707:
	s_delay_alu instid0(SALU_CYCLE_1)
	s_and_not1_b32 vcc_lo, exec_lo, s7
	s_cbranch_vccnz .LBB151_1709
; %bb.1708:
	s_wait_loadcnt 0x0
	global_load_b32 v10, v[8:9], off
.LBB151_1709:
	s_mov_b32 s7, 0
.LBB151_1710:
	s_delay_alu instid0(SALU_CYCLE_1)
	s_and_not1_b32 vcc_lo, exec_lo, s7
	s_cbranch_vccnz .LBB151_1712
; %bb.1711:
	s_wait_loadcnt 0x0
	global_load_u16 v0, v[8:9], off
	s_wait_loadcnt 0x0
	v_cvt_f32_f16_e32 v10, v0
.LBB151_1712:
	s_cbranch_execnz .LBB151_1731
.LBB151_1713:
	s_sext_i32_i16 s7, s0
	s_delay_alu instid0(SALU_CYCLE_1)
	s_cmp_lt_i32 s7, 2
	s_cbranch_scc1 .LBB151_1717
; %bb.1714:
	s_cmp_lt_i32 s7, 3
	s_cbranch_scc1 .LBB151_1718
; %bb.1715:
	s_cmp_gt_i32 s7, 3
	s_cbranch_scc0 .LBB151_1719
; %bb.1716:
	s_wait_loadcnt 0x0
	global_load_b64 v[0:1], v[8:9], off
	s_mov_b32 s7, 0
	s_wait_loadcnt 0x0
	v_xor_b32_e32 v3, v0, v1
	v_cls_i32_e32 v5, v1
	s_delay_alu instid0(VALU_DEP_2) | instskip(NEXT) | instid1(VALU_DEP_1)
	v_ashrrev_i32_e32 v3, 31, v3
	v_add_nc_u32_e32 v3, 32, v3
	s_delay_alu instid0(VALU_DEP_1) | instskip(NEXT) | instid1(VALU_DEP_1)
	v_add_min_u32_e64 v3, v5, -1, v3
	v_lshlrev_b64_e32 v[0:1], v3, v[0:1]
	s_delay_alu instid0(VALU_DEP_1) | instskip(NEXT) | instid1(VALU_DEP_1)
	v_min_u32_e32 v0, 1, v0
	v_dual_sub_nc_u32 v1, 32, v3 :: v_dual_bitop2_b32 v0, v1, v0 bitop3:0x54
	s_delay_alu instid0(VALU_DEP_1) | instskip(NEXT) | instid1(VALU_DEP_1)
	v_cvt_f32_i32_e32 v0, v0
	v_ldexp_f32 v10, v0, v1
	s_branch .LBB151_1720
.LBB151_1717:
                                        ; implicit-def: $vgpr10
	s_branch .LBB151_1726
.LBB151_1718:
	s_mov_b32 s7, -1
                                        ; implicit-def: $vgpr10
	s_branch .LBB151_1723
.LBB151_1719:
	s_mov_b32 s7, -1
                                        ; implicit-def: $vgpr10
.LBB151_1720:
	s_delay_alu instid0(SALU_CYCLE_1)
	s_and_not1_b32 vcc_lo, exec_lo, s7
	s_cbranch_vccnz .LBB151_1722
; %bb.1721:
	s_wait_loadcnt 0x0
	global_load_b32 v0, v[8:9], off
	s_wait_loadcnt 0x0
	v_cvt_f32_i32_e32 v10, v0
.LBB151_1722:
	s_mov_b32 s7, 0
.LBB151_1723:
	s_delay_alu instid0(SALU_CYCLE_1)
	s_and_not1_b32 vcc_lo, exec_lo, s7
	s_cbranch_vccnz .LBB151_1725
; %bb.1724:
	s_wait_loadcnt 0x0
	global_load_i16 v0, v[8:9], off
	s_wait_loadcnt 0x0
	v_cvt_f32_i32_e32 v10, v0
.LBB151_1725:
	s_cbranch_execnz .LBB151_1731
.LBB151_1726:
	s_sext_i32_i16 s0, s0
	s_delay_alu instid0(SALU_CYCLE_1)
	s_cmp_gt_i32 s0, 0
	s_mov_b32 s0, 0
	s_cbranch_scc0 .LBB151_1728
; %bb.1727:
	s_wait_loadcnt 0x0
	global_load_i8 v0, v[8:9], off
	s_wait_loadcnt 0x0
	v_cvt_f32_i32_e32 v10, v0
	s_branch .LBB151_1729
.LBB151_1728:
	s_mov_b32 s0, -1
                                        ; implicit-def: $vgpr10
.LBB151_1729:
	s_delay_alu instid0(SALU_CYCLE_1)
	s_and_not1_b32 vcc_lo, exec_lo, s0
	s_cbranch_vccnz .LBB151_1731
; %bb.1730:
	s_wait_loadcnt 0x0
	global_load_u8 v0, v[8:9], off
	s_wait_loadcnt 0x0
	v_cvt_f32_ubyte0_e32 v10, v0
.LBB151_1731:
	s_or_b32 s28, s28, exec_lo
.LBB151_1732:
	s_wait_xcnt 0x0
	s_or_b32 exec_lo, exec_lo, s6
	s_mov_b32 s13, 0
	s_mov_b32 s12, 0
	;; [unrolled: 1-line block ×3, first 2 shown]
                                        ; implicit-def: $sgpr0
                                        ; implicit-def: $vgpr0_vgpr1
                                        ; implicit-def: $vgpr7
	s_and_saveexec_b32 s6, s28
	s_cbranch_execz .LBB151_1740
; %bb.1733:
	v_mov_b32_e32 v7, 0
	s_and_b32 s0, s39, 0xff
	s_delay_alu instid0(SALU_CYCLE_1) | instskip(SKIP_1) | instid1(VALU_DEP_1)
	s_cmp_lt_i32 s0, 11
	s_wait_loadcnt 0x0
	v_add_nc_u64_e32 v[0:1], s[8:9], v[6:7]
	s_cbranch_scc1 .LBB151_1743
; %bb.1734:
	s_and_b32 s7, 0xffff, s0
	s_mov_b32 s9, 0
	s_cmp_gt_i32 s7, 25
	s_cbranch_scc0 .LBB151_1744
; %bb.1735:
	s_cmp_gt_i32 s7, 28
	s_cbranch_scc0 .LBB151_1745
; %bb.1736:
	;; [unrolled: 3-line block ×4, first 2 shown]
	s_cmp_eq_u32 s7, 46
	s_cbranch_scc0 .LBB151_1748
; %bb.1739:
	global_load_b32 v3, v[0:1], off
	s_mov_b32 s8, 0
	s_mov_b32 s12, -1
	s_wait_loadcnt 0x0
	v_lshlrev_b32_e32 v7, 16, v3
	s_branch .LBB151_1750
.LBB151_1740:
	s_or_b32 exec_lo, exec_lo, s6
	s_and_saveexec_b32 s6, s47
	s_cbranch_execnz .LBB151_1813
.LBB151_1741:
	s_or_b32 exec_lo, exec_lo, s6
	s_and_saveexec_b32 s6, s13
	s_delay_alu instid0(SALU_CYCLE_1)
	s_xor_b32 s6, exec_lo, s6
	s_cbranch_execz .LBB151_1814
.LBB151_1742:
	s_wait_loadcnt 0x0
	global_load_u8 v3, v[0:1], off
	s_or_b32 s7, s7, exec_lo
	s_wait_loadcnt 0x0
	v_cmp_ne_u16_e32 vcc_lo, 0, v3
	v_cndmask_b32_e64 v7, 0, 1.0, vcc_lo
	s_wait_xcnt 0x0
	s_or_b32 exec_lo, exec_lo, s6
	s_and_saveexec_b32 s6, s12
	s_cbranch_execz .LBB151_1860
	s_branch .LBB151_1815
.LBB151_1743:
	s_mov_b32 s13, -1
	s_mov_b32 s9, 0
	s_mov_b32 s8, s47
                                        ; implicit-def: $vgpr7
	s_branch .LBB151_1812
.LBB151_1744:
	s_mov_b32 s8, s47
                                        ; implicit-def: $vgpr7
	s_cbranch_execnz .LBB151_1779
	s_branch .LBB151_1811
.LBB151_1745:
	s_mov_b32 s13, -1
	s_mov_b32 s8, s47
                                        ; implicit-def: $vgpr7
	s_branch .LBB151_1760
.LBB151_1746:
	s_mov_b32 s13, -1
	s_mov_b32 s8, s47
                                        ; implicit-def: $vgpr7
	s_branch .LBB151_1755
.LBB151_1747:
	s_mov_b32 s13, -1
	s_mov_b32 s8, s47
	s_branch .LBB151_1749
.LBB151_1748:
	s_mov_b32 s8, -1
.LBB151_1749:
                                        ; implicit-def: $vgpr7
.LBB151_1750:
	s_and_b32 vcc_lo, exec_lo, s13
	s_cbranch_vccz .LBB151_1754
; %bb.1751:
	s_cmp_eq_u32 s7, 44
	s_cbranch_scc0 .LBB151_1753
; %bb.1752:
	global_load_u8 v3, v[0:1], off
	s_mov_b32 s8, 0
	s_mov_b32 s12, -1
	s_wait_loadcnt 0x0
	v_lshlrev_b32_e32 v5, 23, v3
	v_cmp_ne_u32_e32 vcc_lo, 0xff, v3
	s_delay_alu instid0(VALU_DEP_2) | instskip(SKIP_1) | instid1(VALU_DEP_2)
	v_cndmask_b32_e32 v5, 0x7f800001, v5, vcc_lo
	v_cmp_ne_u32_e32 vcc_lo, 0, v3
	v_cndmask_b32_e32 v7, 0x400000, v5, vcc_lo
	s_branch .LBB151_1754
.LBB151_1753:
	s_mov_b32 s8, -1
                                        ; implicit-def: $vgpr7
.LBB151_1754:
	s_mov_b32 s13, 0
.LBB151_1755:
	s_delay_alu instid0(SALU_CYCLE_1)
	s_and_b32 vcc_lo, exec_lo, s13
	s_cbranch_vccz .LBB151_1759
; %bb.1756:
	s_cmp_eq_u32 s7, 29
	s_cbranch_scc0 .LBB151_1758
; %bb.1757:
	global_load_b64 v[6:7], v[0:1], off
	s_mov_b32 s8, 0
	s_mov_b32 s12, -1
	s_mov_b32 s13, 0
	s_wait_loadcnt 0x0
	v_clz_i32_u32_e32 v3, v7
	s_delay_alu instid0(VALU_DEP_1) | instskip(NEXT) | instid1(VALU_DEP_1)
	v_min_u32_e32 v3, 32, v3
	v_lshlrev_b64_e32 v[6:7], v3, v[6:7]
	v_sub_nc_u32_e32 v3, 32, v3
	s_delay_alu instid0(VALU_DEP_2) | instskip(NEXT) | instid1(VALU_DEP_1)
	v_min_u32_e32 v5, 1, v6
	v_or_b32_e32 v5, v7, v5
	s_delay_alu instid0(VALU_DEP_1) | instskip(NEXT) | instid1(VALU_DEP_1)
	v_cvt_f32_u32_e32 v5, v5
	v_ldexp_f32 v7, v5, v3
	s_branch .LBB151_1760
.LBB151_1758:
	s_mov_b32 s8, -1
                                        ; implicit-def: $vgpr7
.LBB151_1759:
	s_mov_b32 s13, 0
.LBB151_1760:
	s_delay_alu instid0(SALU_CYCLE_1)
	s_and_b32 vcc_lo, exec_lo, s13
	s_cbranch_vccz .LBB151_1778
; %bb.1761:
	s_cmp_lt_i32 s7, 27
	s_cbranch_scc1 .LBB151_1764
; %bb.1762:
	s_cmp_gt_i32 s7, 27
	s_cbranch_scc0 .LBB151_1765
; %bb.1763:
	global_load_b32 v3, v[0:1], off
	s_mov_b32 s12, 0
	s_wait_loadcnt 0x0
	v_cvt_f32_u32_e32 v7, v3
	s_branch .LBB151_1766
.LBB151_1764:
	s_mov_b32 s12, -1
                                        ; implicit-def: $vgpr7
	s_branch .LBB151_1769
.LBB151_1765:
	s_mov_b32 s12, -1
                                        ; implicit-def: $vgpr7
.LBB151_1766:
	s_delay_alu instid0(SALU_CYCLE_1)
	s_and_not1_b32 vcc_lo, exec_lo, s12
	s_cbranch_vccnz .LBB151_1768
; %bb.1767:
	global_load_u16 v3, v[0:1], off
	s_wait_loadcnt 0x0
	v_cvt_f32_u32_e32 v7, v3
.LBB151_1768:
	s_mov_b32 s12, 0
.LBB151_1769:
	s_delay_alu instid0(SALU_CYCLE_1)
	s_and_not1_b32 vcc_lo, exec_lo, s12
	s_cbranch_vccnz .LBB151_1777
; %bb.1770:
	global_load_u8 v3, v[0:1], off
	s_mov_b32 s12, 0
	s_mov_b32 s13, exec_lo
	s_wait_loadcnt 0x0
	v_cmpx_lt_i16_e32 0x7f, v3
	s_xor_b32 s13, exec_lo, s13
	s_cbranch_execz .LBB151_1790
; %bb.1771:
	s_mov_b32 s12, -1
	s_mov_b32 s14, exec_lo
	v_cmpx_eq_u16_e32 0x80, v3
; %bb.1772:
	s_xor_b32 s12, exec_lo, -1
; %bb.1773:
	s_or_b32 exec_lo, exec_lo, s14
	s_delay_alu instid0(SALU_CYCLE_1)
	s_and_b32 s12, s12, exec_lo
	s_or_saveexec_b32 s13, s13
	v_mov_b32_e32 v7, 0x7f800001
	s_xor_b32 exec_lo, exec_lo, s13
	s_cbranch_execnz .LBB151_1791
.LBB151_1774:
	s_or_b32 exec_lo, exec_lo, s13
	s_and_saveexec_b32 s13, s12
	s_cbranch_execz .LBB151_1776
.LBB151_1775:
	v_and_b32_e32 v5, 0xffff, v3
	s_delay_alu instid0(VALU_DEP_1) | instskip(SKIP_1) | instid1(VALU_DEP_2)
	v_and_b32_e32 v6, 7, v5
	v_bfe_u32 v9, v5, 3, 4
	v_clz_i32_u32_e32 v7, v6
	s_delay_alu instid0(VALU_DEP_2) | instskip(NEXT) | instid1(VALU_DEP_2)
	v_cmp_eq_u32_e32 vcc_lo, 0, v9
	v_min_u32_e32 v7, 32, v7
	s_delay_alu instid0(VALU_DEP_1) | instskip(NEXT) | instid1(VALU_DEP_1)
	v_subrev_nc_u32_e32 v8, 28, v7
	v_dual_lshlrev_b32 v5, v8, v5 :: v_dual_sub_nc_u32 v7, 29, v7
	s_delay_alu instid0(VALU_DEP_1) | instskip(NEXT) | instid1(VALU_DEP_1)
	v_dual_lshlrev_b32 v3, 24, v3 :: v_dual_bitop2_b32 v5, 7, v5 bitop3:0x40
	v_dual_cndmask_b32 v5, v6, v5, vcc_lo :: v_dual_cndmask_b32 v7, v9, v7, vcc_lo
	s_delay_alu instid0(VALU_DEP_2) | instskip(NEXT) | instid1(VALU_DEP_2)
	v_and_b32_e32 v3, 0x80000000, v3
	v_lshlrev_b32_e32 v5, 20, v5
	s_delay_alu instid0(VALU_DEP_3) | instskip(NEXT) | instid1(VALU_DEP_1)
	v_lshl_add_u32 v6, v7, 23, 0x3b800000
	v_or3_b32 v7, v3, v6, v5
.LBB151_1776:
	s_or_b32 exec_lo, exec_lo, s13
.LBB151_1777:
	s_mov_b32 s12, -1
.LBB151_1778:
	s_branch .LBB151_1811
.LBB151_1779:
	s_cmp_gt_i32 s7, 22
	s_cbranch_scc0 .LBB151_1789
; %bb.1780:
	s_cmp_lt_i32 s7, 24
	s_cbranch_scc1 .LBB151_1792
; %bb.1781:
	s_cmp_gt_i32 s7, 24
	s_cbranch_scc0 .LBB151_1793
; %bb.1782:
	global_load_u8 v3, v[0:1], off
	s_mov_b32 s12, exec_lo
	s_wait_loadcnt 0x0
	v_cmpx_lt_i16_e32 0x7f, v3
	s_xor_b32 s12, exec_lo, s12
	s_cbranch_execz .LBB151_1805
; %bb.1783:
	s_mov_b32 s9, -1
	s_mov_b32 s13, exec_lo
	v_cmpx_eq_u16_e32 0x80, v3
; %bb.1784:
	s_xor_b32 s9, exec_lo, -1
; %bb.1785:
	s_or_b32 exec_lo, exec_lo, s13
	s_delay_alu instid0(SALU_CYCLE_1)
	s_and_b32 s9, s9, exec_lo
	s_or_saveexec_b32 s12, s12
	v_mov_b32_e32 v7, 0x7f800001
	s_xor_b32 exec_lo, exec_lo, s12
	s_cbranch_execnz .LBB151_1806
.LBB151_1786:
	s_or_b32 exec_lo, exec_lo, s12
	s_and_saveexec_b32 s12, s9
	s_cbranch_execz .LBB151_1788
.LBB151_1787:
	v_and_b32_e32 v5, 0xffff, v3
	s_delay_alu instid0(VALU_DEP_1) | instskip(SKIP_1) | instid1(VALU_DEP_2)
	v_and_b32_e32 v6, 3, v5
	v_bfe_u32 v9, v5, 2, 5
	v_clz_i32_u32_e32 v7, v6
	s_delay_alu instid0(VALU_DEP_2) | instskip(NEXT) | instid1(VALU_DEP_2)
	v_cmp_eq_u32_e32 vcc_lo, 0, v9
	v_min_u32_e32 v7, 32, v7
	s_delay_alu instid0(VALU_DEP_1) | instskip(NEXT) | instid1(VALU_DEP_1)
	v_subrev_nc_u32_e32 v8, 29, v7
	v_dual_lshlrev_b32 v5, v8, v5 :: v_dual_sub_nc_u32 v7, 30, v7
	s_delay_alu instid0(VALU_DEP_1) | instskip(NEXT) | instid1(VALU_DEP_1)
	v_dual_lshlrev_b32 v3, 24, v3 :: v_dual_bitop2_b32 v5, 3, v5 bitop3:0x40
	v_dual_cndmask_b32 v5, v6, v5, vcc_lo :: v_dual_cndmask_b32 v7, v9, v7, vcc_lo
	s_delay_alu instid0(VALU_DEP_2) | instskip(NEXT) | instid1(VALU_DEP_2)
	v_and_b32_e32 v3, 0x80000000, v3
	v_lshlrev_b32_e32 v5, 21, v5
	s_delay_alu instid0(VALU_DEP_3) | instskip(NEXT) | instid1(VALU_DEP_1)
	v_lshl_add_u32 v6, v7, 23, 0x37800000
	v_or3_b32 v7, v3, v6, v5
.LBB151_1788:
	s_or_b32 exec_lo, exec_lo, s12
	s_mov_b32 s9, 0
	s_branch .LBB151_1794
.LBB151_1789:
	s_mov_b32 s9, -1
                                        ; implicit-def: $vgpr7
	s_branch .LBB151_1800
.LBB151_1790:
	s_or_saveexec_b32 s13, s13
	v_mov_b32_e32 v7, 0x7f800001
	s_xor_b32 exec_lo, exec_lo, s13
	s_cbranch_execz .LBB151_1774
.LBB151_1791:
	v_cmp_ne_u16_e32 vcc_lo, 0, v3
	v_mov_b32_e32 v7, 0
	s_and_not1_b32 s12, s12, exec_lo
	s_and_b32 s14, vcc_lo, exec_lo
	s_delay_alu instid0(SALU_CYCLE_1)
	s_or_b32 s12, s12, s14
	s_or_b32 exec_lo, exec_lo, s13
	s_and_saveexec_b32 s13, s12
	s_cbranch_execnz .LBB151_1775
	s_branch .LBB151_1776
.LBB151_1792:
	s_mov_b32 s9, -1
                                        ; implicit-def: $vgpr7
	s_branch .LBB151_1797
.LBB151_1793:
	s_mov_b32 s9, -1
                                        ; implicit-def: $vgpr7
.LBB151_1794:
	s_delay_alu instid0(SALU_CYCLE_1)
	s_and_b32 vcc_lo, exec_lo, s9
	s_cbranch_vccz .LBB151_1796
; %bb.1795:
	global_load_u8 v3, v[0:1], off
	s_wait_loadcnt 0x0
	v_lshlrev_b32_e32 v3, 24, v3
	s_delay_alu instid0(VALU_DEP_1) | instskip(NEXT) | instid1(VALU_DEP_1)
	v_and_b32_e32 v5, 0x7f000000, v3
	v_clz_i32_u32_e32 v6, v5
	v_cmp_ne_u32_e32 vcc_lo, 0, v5
	v_add_nc_u32_e32 v8, 0x1000000, v5
	s_delay_alu instid0(VALU_DEP_3) | instskip(NEXT) | instid1(VALU_DEP_1)
	v_min_u32_e32 v6, 32, v6
	v_sub_nc_u32_e64 v6, v6, 4 clamp
	s_delay_alu instid0(VALU_DEP_1) | instskip(NEXT) | instid1(VALU_DEP_1)
	v_dual_lshlrev_b32 v7, v6, v5 :: v_dual_lshlrev_b32 v6, 23, v6
	v_lshrrev_b32_e32 v7, 4, v7
	s_delay_alu instid0(VALU_DEP_1) | instskip(NEXT) | instid1(VALU_DEP_1)
	v_dual_sub_nc_u32 v6, v7, v6 :: v_dual_ashrrev_i32 v7, 8, v8
	v_add_nc_u32_e32 v6, 0x3c000000, v6
	s_delay_alu instid0(VALU_DEP_1) | instskip(NEXT) | instid1(VALU_DEP_1)
	v_and_or_b32 v6, 0x7f800000, v7, v6
	v_cndmask_b32_e32 v5, 0, v6, vcc_lo
	s_delay_alu instid0(VALU_DEP_1)
	v_and_or_b32 v7, 0x80000000, v3, v5
.LBB151_1796:
	s_mov_b32 s9, 0
.LBB151_1797:
	s_delay_alu instid0(SALU_CYCLE_1)
	s_and_not1_b32 vcc_lo, exec_lo, s9
	s_cbranch_vccnz .LBB151_1799
; %bb.1798:
	global_load_u8 v3, v[0:1], off
	s_wait_loadcnt 0x0
	v_lshlrev_b32_e32 v5, 25, v3
	v_lshlrev_b16 v3, 8, v3
	s_delay_alu instid0(VALU_DEP_1) | instskip(NEXT) | instid1(VALU_DEP_3)
	v_and_or_b32 v7, 0x7f00, v3, 0.5
	v_lshrrev_b32_e32 v6, 4, v5
	v_bfe_i32 v3, v3, 0, 16
	s_delay_alu instid0(VALU_DEP_3) | instskip(NEXT) | instid1(VALU_DEP_3)
	v_add_f32_e32 v7, -0.5, v7
	v_or_b32_e32 v6, 0x70000000, v6
	s_delay_alu instid0(VALU_DEP_1) | instskip(SKIP_1) | instid1(VALU_DEP_2)
	v_mul_f32_e32 v6, 0x7800000, v6
	v_cmp_gt_u32_e32 vcc_lo, 0x8000000, v5
	v_cndmask_b32_e32 v5, v6, v7, vcc_lo
	s_delay_alu instid0(VALU_DEP_1)
	v_and_or_b32 v7, 0x80000000, v3, v5
.LBB151_1799:
	s_mov_b32 s9, 0
	s_mov_b32 s12, -1
.LBB151_1800:
	s_and_not1_b32 vcc_lo, exec_lo, s9
	s_mov_b32 s9, 0
	s_cbranch_vccnz .LBB151_1811
; %bb.1801:
	s_cmp_gt_i32 s7, 14
	s_cbranch_scc0 .LBB151_1804
; %bb.1802:
	s_cmp_eq_u32 s7, 15
	s_cbranch_scc0 .LBB151_1807
; %bb.1803:
	global_load_u16 v3, v[0:1], off
	s_mov_b32 s8, 0
	s_mov_b32 s12, -1
	s_wait_loadcnt 0x0
	v_lshlrev_b32_e32 v7, 16, v3
	s_branch .LBB151_1809
.LBB151_1804:
	s_mov_b32 s9, -1
	s_branch .LBB151_1808
.LBB151_1805:
	s_or_saveexec_b32 s12, s12
	v_mov_b32_e32 v7, 0x7f800001
	s_xor_b32 exec_lo, exec_lo, s12
	s_cbranch_execz .LBB151_1786
.LBB151_1806:
	v_cmp_ne_u16_e32 vcc_lo, 0, v3
	v_mov_b32_e32 v7, 0
	s_and_not1_b32 s9, s9, exec_lo
	s_and_b32 s13, vcc_lo, exec_lo
	s_delay_alu instid0(SALU_CYCLE_1)
	s_or_b32 s9, s9, s13
	s_or_b32 exec_lo, exec_lo, s12
	s_and_saveexec_b32 s12, s9
	s_cbranch_execnz .LBB151_1787
	s_branch .LBB151_1788
.LBB151_1807:
	s_mov_b32 s8, -1
.LBB151_1808:
                                        ; implicit-def: $vgpr7
.LBB151_1809:
	s_and_b32 vcc_lo, exec_lo, s9
	s_mov_b32 s9, 0
	s_cbranch_vccz .LBB151_1811
; %bb.1810:
	s_cmp_lg_u32 s7, 11
	s_mov_b32 s9, -1
	s_cselect_b32 s7, -1, 0
	s_and_not1_b32 s8, s8, exec_lo
	s_and_b32 s7, s7, exec_lo
	s_delay_alu instid0(SALU_CYCLE_1)
	s_or_b32 s8, s8, s7
.LBB151_1811:
	s_mov_b32 s13, 0
.LBB151_1812:
	s_and_not1_b32 s14, s47, exec_lo
	s_and_b32 s8, s8, exec_lo
	s_and_b32 s7, s12, exec_lo
	s_and_b32 s12, s13, exec_lo
	s_and_b32 s13, s9, exec_lo
	s_or_b32 s47, s14, s8
	s_wait_xcnt 0x0
	s_or_b32 exec_lo, exec_lo, s6
	s_and_saveexec_b32 s6, s47
	s_cbranch_execz .LBB151_1741
.LBB151_1813:
	s_or_b32 s1, s1, exec_lo
	s_and_not1_b32 s13, s13, exec_lo
	s_trap 2
	s_or_b32 exec_lo, exec_lo, s6
	s_and_saveexec_b32 s6, s13
	s_delay_alu instid0(SALU_CYCLE_1)
	s_xor_b32 s6, exec_lo, s6
	s_cbranch_execnz .LBB151_1742
.LBB151_1814:
	s_or_b32 exec_lo, exec_lo, s6
	s_and_saveexec_b32 s6, s12
	s_cbranch_execz .LBB151_1860
.LBB151_1815:
	s_sext_i32_i16 s8, s0
	s_delay_alu instid0(SALU_CYCLE_1)
	s_cmp_lt_i32 s8, 5
	s_cbranch_scc1 .LBB151_1820
; %bb.1816:
	s_cmp_lt_i32 s8, 8
	s_cbranch_scc1 .LBB151_1821
; %bb.1817:
	s_cmp_lt_i32 s8, 9
	s_cbranch_scc1 .LBB151_1822
; %bb.1818:
	s_cmp_gt_i32 s8, 9
	s_cbranch_scc0 .LBB151_1823
; %bb.1819:
	s_wait_loadcnt 0x0
	global_load_b64 v[6:7], v[0:1], off
	s_mov_b32 s8, 0
	s_wait_loadcnt 0x0
	v_cvt_f32_f64_e32 v7, v[6:7]
	s_branch .LBB151_1824
.LBB151_1820:
                                        ; implicit-def: $vgpr7
	s_branch .LBB151_1841
.LBB151_1821:
                                        ; implicit-def: $vgpr7
	s_branch .LBB151_1830
.LBB151_1822:
	s_mov_b32 s8, -1
                                        ; implicit-def: $vgpr7
	s_branch .LBB151_1827
.LBB151_1823:
	s_mov_b32 s8, -1
                                        ; implicit-def: $vgpr7
.LBB151_1824:
	s_delay_alu instid0(SALU_CYCLE_1)
	s_and_not1_b32 vcc_lo, exec_lo, s8
	s_cbranch_vccnz .LBB151_1826
; %bb.1825:
	s_wait_loadcnt 0x0
	global_load_b32 v7, v[0:1], off
.LBB151_1826:
	s_mov_b32 s8, 0
.LBB151_1827:
	s_delay_alu instid0(SALU_CYCLE_1)
	s_and_not1_b32 vcc_lo, exec_lo, s8
	s_cbranch_vccnz .LBB151_1829
; %bb.1828:
	s_wait_loadcnt 0x0
	global_load_b32 v3, v[0:1], off
	s_wait_loadcnt 0x0
	v_cvt_f32_f16_e32 v7, v3
.LBB151_1829:
	s_cbranch_execnz .LBB151_1840
.LBB151_1830:
	s_sext_i32_i16 s8, s0
	s_delay_alu instid0(SALU_CYCLE_1)
	s_cmp_lt_i32 s8, 6
	s_cbranch_scc1 .LBB151_1833
; %bb.1831:
	s_cmp_gt_i32 s8, 6
	s_cbranch_scc0 .LBB151_1834
; %bb.1832:
	s_wait_loadcnt 0x0
	global_load_b64 v[6:7], v[0:1], off
	s_mov_b32 s8, 0
	s_wait_loadcnt 0x0
	v_cvt_f32_f64_e32 v7, v[6:7]
	s_branch .LBB151_1835
.LBB151_1833:
	s_mov_b32 s8, -1
                                        ; implicit-def: $vgpr7
	s_branch .LBB151_1838
.LBB151_1834:
	s_mov_b32 s8, -1
                                        ; implicit-def: $vgpr7
.LBB151_1835:
	s_delay_alu instid0(SALU_CYCLE_1)
	s_and_not1_b32 vcc_lo, exec_lo, s8
	s_cbranch_vccnz .LBB151_1837
; %bb.1836:
	s_wait_loadcnt 0x0
	global_load_b32 v7, v[0:1], off
.LBB151_1837:
	s_mov_b32 s8, 0
.LBB151_1838:
	s_delay_alu instid0(SALU_CYCLE_1)
	s_and_not1_b32 vcc_lo, exec_lo, s8
	s_cbranch_vccnz .LBB151_1840
; %bb.1839:
	s_wait_loadcnt 0x0
	global_load_u16 v3, v[0:1], off
	s_wait_loadcnt 0x0
	v_cvt_f32_f16_e32 v7, v3
.LBB151_1840:
	s_cbranch_execnz .LBB151_1859
.LBB151_1841:
	s_sext_i32_i16 s8, s0
	s_delay_alu instid0(SALU_CYCLE_1)
	s_cmp_lt_i32 s8, 2
	s_cbranch_scc1 .LBB151_1845
; %bb.1842:
	s_cmp_lt_i32 s8, 3
	s_cbranch_scc1 .LBB151_1846
; %bb.1843:
	s_cmp_gt_i32 s8, 3
	s_cbranch_scc0 .LBB151_1847
; %bb.1844:
	s_wait_loadcnt 0x0
	global_load_b64 v[6:7], v[0:1], off
	s_mov_b32 s8, 0
	s_wait_loadcnt 0x0
	v_xor_b32_e32 v3, v6, v7
	v_cls_i32_e32 v5, v7
	s_delay_alu instid0(VALU_DEP_2) | instskip(NEXT) | instid1(VALU_DEP_1)
	v_ashrrev_i32_e32 v3, 31, v3
	v_add_nc_u32_e32 v3, 32, v3
	s_delay_alu instid0(VALU_DEP_1) | instskip(NEXT) | instid1(VALU_DEP_1)
	v_add_min_u32_e64 v3, v5, -1, v3
	v_lshlrev_b64_e32 v[6:7], v3, v[6:7]
	v_sub_nc_u32_e32 v3, 32, v3
	s_delay_alu instid0(VALU_DEP_2) | instskip(NEXT) | instid1(VALU_DEP_1)
	v_min_u32_e32 v5, 1, v6
	v_or_b32_e32 v5, v7, v5
	s_delay_alu instid0(VALU_DEP_1) | instskip(NEXT) | instid1(VALU_DEP_1)
	v_cvt_f32_i32_e32 v5, v5
	v_ldexp_f32 v7, v5, v3
	s_branch .LBB151_1848
.LBB151_1845:
                                        ; implicit-def: $vgpr7
	s_branch .LBB151_1854
.LBB151_1846:
	s_mov_b32 s8, -1
                                        ; implicit-def: $vgpr7
	s_branch .LBB151_1851
.LBB151_1847:
	s_mov_b32 s8, -1
                                        ; implicit-def: $vgpr7
.LBB151_1848:
	s_delay_alu instid0(SALU_CYCLE_1)
	s_and_not1_b32 vcc_lo, exec_lo, s8
	s_cbranch_vccnz .LBB151_1850
; %bb.1849:
	s_wait_loadcnt 0x0
	global_load_b32 v3, v[0:1], off
	s_wait_loadcnt 0x0
	v_cvt_f32_i32_e32 v7, v3
.LBB151_1850:
	s_mov_b32 s8, 0
.LBB151_1851:
	s_delay_alu instid0(SALU_CYCLE_1)
	s_and_not1_b32 vcc_lo, exec_lo, s8
	s_cbranch_vccnz .LBB151_1853
; %bb.1852:
	s_wait_loadcnt 0x0
	global_load_i16 v3, v[0:1], off
	s_wait_loadcnt 0x0
	v_cvt_f32_i32_e32 v7, v3
.LBB151_1853:
	s_cbranch_execnz .LBB151_1859
.LBB151_1854:
	s_sext_i32_i16 s0, s0
	s_delay_alu instid0(SALU_CYCLE_1)
	s_cmp_gt_i32 s0, 0
	s_mov_b32 s0, 0
	s_cbranch_scc0 .LBB151_1856
; %bb.1855:
	s_wait_loadcnt 0x0
	global_load_i8 v3, v[0:1], off
	s_wait_loadcnt 0x0
	v_cvt_f32_i32_e32 v7, v3
	s_branch .LBB151_1857
.LBB151_1856:
	s_mov_b32 s0, -1
                                        ; implicit-def: $vgpr7
.LBB151_1857:
	s_delay_alu instid0(SALU_CYCLE_1)
	s_and_not1_b32 vcc_lo, exec_lo, s0
	s_cbranch_vccnz .LBB151_1859
; %bb.1858:
	s_wait_loadcnt 0x0
	global_load_u8 v0, v[0:1], off
	s_wait_loadcnt 0x0
	v_cvt_f32_ubyte0_e32 v7, v0
.LBB151_1859:
	s_or_b32 s7, s7, exec_lo
.LBB151_1860:
	s_wait_xcnt 0x0
	s_or_b32 exec_lo, exec_lo, s6
	s_mov_b32 s8, 0
	s_mov_b32 s6, 0
	;; [unrolled: 1-line block ×3, first 2 shown]
                                        ; implicit-def: $vgpr0_vgpr1
                                        ; implicit-def: $vgpr3
	s_and_saveexec_b32 s0, s7
	s_cbranch_execz .LBB151_1868
; %bb.1861:
	v_mov_b32_e32 v5, 0
	s_and_b32 s6, 0xffff, s21
	s_delay_alu instid0(SALU_CYCLE_1) | instskip(SKIP_1) | instid1(VALU_DEP_1)
	s_cmp_lt_i32 s6, 11
	s_wait_loadcnt 0x0
	v_add_nc_u64_e32 v[0:1], s[10:11], v[4:5]
	s_cbranch_scc1 .LBB151_1871
; %bb.1862:
	s_cmp_gt_i32 s6, 25
	s_cbranch_scc0 .LBB151_1872
; %bb.1863:
	s_cmp_gt_i32 s6, 28
	s_cbranch_scc0 .LBB151_1873
	;; [unrolled: 3-line block ×4, first 2 shown]
; %bb.1866:
	s_cmp_eq_u32 s6, 46
	s_mov_b32 s10, 0
	s_cbranch_scc0 .LBB151_1876
; %bb.1867:
	global_load_b32 v3, v[0:1], off
	s_mov_b32 s7, 0
	s_mov_b32 s9, -1
	s_wait_loadcnt 0x0
	v_lshlrev_b32_e32 v3, 16, v3
	s_branch .LBB151_1878
.LBB151_1868:
	s_or_b32 exec_lo, exec_lo, s0
	s_and_saveexec_b32 s0, s46
	s_cbranch_execnz .LBB151_1941
.LBB151_1869:
	s_or_b32 exec_lo, exec_lo, s0
	s_and_saveexec_b32 s0, s8
	s_delay_alu instid0(SALU_CYCLE_1)
	s_xor_b32 s0, exec_lo, s0
	s_cbranch_execz .LBB151_1942
.LBB151_1870:
	s_wait_loadcnt 0x0
	global_load_u8 v3, v[0:1], off
	s_or_b32 s9, s9, exec_lo
	s_wait_loadcnt 0x0
	v_cmp_ne_u16_e32 vcc_lo, 0, v3
	v_cndmask_b32_e64 v3, 0, 1.0, vcc_lo
	s_wait_xcnt 0x0
	s_or_b32 exec_lo, exec_lo, s0
	s_and_saveexec_b32 s0, s6
	s_cbranch_execz .LBB151_1988
	s_branch .LBB151_1943
.LBB151_1871:
	s_mov_b32 s6, -1
	s_mov_b32 s7, s46
                                        ; implicit-def: $vgpr3
	s_branch .LBB151_1940
.LBB151_1872:
	s_mov_b32 s7, s46
                                        ; implicit-def: $vgpr3
	s_cbranch_execnz .LBB151_1907
	s_branch .LBB151_1939
.LBB151_1873:
	s_mov_b32 s10, -1
	s_mov_b32 s7, s46
                                        ; implicit-def: $vgpr3
	s_branch .LBB151_1888
.LBB151_1874:
	s_mov_b32 s10, -1
	s_mov_b32 s7, s46
                                        ; implicit-def: $vgpr3
	s_branch .LBB151_1883
.LBB151_1875:
	s_mov_b32 s10, -1
	s_mov_b32 s7, s46
	s_branch .LBB151_1877
.LBB151_1876:
	s_mov_b32 s7, -1
.LBB151_1877:
                                        ; implicit-def: $vgpr3
.LBB151_1878:
	s_and_b32 vcc_lo, exec_lo, s10
	s_cbranch_vccz .LBB151_1882
; %bb.1879:
	s_cmp_eq_u32 s6, 44
	s_cbranch_scc0 .LBB151_1881
; %bb.1880:
	global_load_u8 v3, v[0:1], off
	s_mov_b32 s7, 0
	s_mov_b32 s9, -1
	s_wait_loadcnt 0x0
	v_lshlrev_b32_e32 v4, 23, v3
	v_cmp_ne_u32_e32 vcc_lo, 0xff, v3
	s_delay_alu instid0(VALU_DEP_2) | instskip(SKIP_1) | instid1(VALU_DEP_2)
	v_cndmask_b32_e32 v4, 0x7f800001, v4, vcc_lo
	v_cmp_ne_u32_e32 vcc_lo, 0, v3
	v_cndmask_b32_e32 v3, 0x400000, v4, vcc_lo
	s_branch .LBB151_1882
.LBB151_1881:
	s_mov_b32 s7, -1
                                        ; implicit-def: $vgpr3
.LBB151_1882:
	s_mov_b32 s10, 0
.LBB151_1883:
	s_delay_alu instid0(SALU_CYCLE_1)
	s_and_b32 vcc_lo, exec_lo, s10
	s_cbranch_vccz .LBB151_1887
; %bb.1884:
	s_cmp_eq_u32 s6, 29
	s_cbranch_scc0 .LBB151_1886
; %bb.1885:
	global_load_b64 v[4:5], v[0:1], off
	s_mov_b32 s7, 0
	s_mov_b32 s9, -1
	s_mov_b32 s10, 0
	s_wait_loadcnt 0x0
	v_clz_i32_u32_e32 v3, v5
	s_delay_alu instid0(VALU_DEP_1) | instskip(NEXT) | instid1(VALU_DEP_1)
	v_min_u32_e32 v3, 32, v3
	v_lshlrev_b64_e32 v[4:5], v3, v[4:5]
	v_sub_nc_u32_e32 v3, 32, v3
	s_delay_alu instid0(VALU_DEP_2) | instskip(NEXT) | instid1(VALU_DEP_1)
	v_min_u32_e32 v4, 1, v4
	v_or_b32_e32 v4, v5, v4
	s_delay_alu instid0(VALU_DEP_1) | instskip(NEXT) | instid1(VALU_DEP_1)
	v_cvt_f32_u32_e32 v4, v4
	v_ldexp_f32 v3, v4, v3
	s_branch .LBB151_1888
.LBB151_1886:
	s_mov_b32 s7, -1
                                        ; implicit-def: $vgpr3
.LBB151_1887:
	s_mov_b32 s10, 0
.LBB151_1888:
	s_delay_alu instid0(SALU_CYCLE_1)
	s_and_b32 vcc_lo, exec_lo, s10
	s_cbranch_vccz .LBB151_1906
; %bb.1889:
	s_cmp_lt_i32 s6, 27
	s_cbranch_scc1 .LBB151_1892
; %bb.1890:
	s_cmp_gt_i32 s6, 27
	s_cbranch_scc0 .LBB151_1893
; %bb.1891:
	global_load_b32 v3, v[0:1], off
	s_mov_b32 s9, 0
	s_wait_loadcnt 0x0
	v_cvt_f32_u32_e32 v3, v3
	s_branch .LBB151_1894
.LBB151_1892:
	s_mov_b32 s9, -1
                                        ; implicit-def: $vgpr3
	s_branch .LBB151_1897
.LBB151_1893:
	s_mov_b32 s9, -1
                                        ; implicit-def: $vgpr3
.LBB151_1894:
	s_delay_alu instid0(SALU_CYCLE_1)
	s_and_not1_b32 vcc_lo, exec_lo, s9
	s_cbranch_vccnz .LBB151_1896
; %bb.1895:
	global_load_u16 v3, v[0:1], off
	s_wait_loadcnt 0x0
	v_cvt_f32_u32_e32 v3, v3
.LBB151_1896:
	s_mov_b32 s9, 0
.LBB151_1897:
	s_delay_alu instid0(SALU_CYCLE_1)
	s_and_not1_b32 vcc_lo, exec_lo, s9
	s_cbranch_vccnz .LBB151_1905
; %bb.1898:
	global_load_u8 v4, v[0:1], off
	s_mov_b32 s9, 0
	s_mov_b32 s10, exec_lo
	s_wait_loadcnt 0x0
	v_cmpx_lt_i16_e32 0x7f, v4
	s_xor_b32 s10, exec_lo, s10
	s_cbranch_execz .LBB151_1918
; %bb.1899:
	s_mov_b32 s9, -1
	s_mov_b32 s11, exec_lo
	v_cmpx_eq_u16_e32 0x80, v4
; %bb.1900:
	s_xor_b32 s9, exec_lo, -1
; %bb.1901:
	s_or_b32 exec_lo, exec_lo, s11
	s_delay_alu instid0(SALU_CYCLE_1)
	s_and_b32 s9, s9, exec_lo
	s_or_saveexec_b32 s10, s10
	v_mov_b32_e32 v3, 0x7f800001
	s_xor_b32 exec_lo, exec_lo, s10
	s_cbranch_execnz .LBB151_1919
.LBB151_1902:
	s_or_b32 exec_lo, exec_lo, s10
	s_and_saveexec_b32 s10, s9
	s_cbranch_execz .LBB151_1904
.LBB151_1903:
	v_and_b32_e32 v3, 0xffff, v4
	s_delay_alu instid0(VALU_DEP_1) | instskip(SKIP_1) | instid1(VALU_DEP_2)
	v_and_b32_e32 v5, 7, v3
	v_bfe_u32 v9, v3, 3, 4
	v_clz_i32_u32_e32 v6, v5
	s_delay_alu instid0(VALU_DEP_2) | instskip(NEXT) | instid1(VALU_DEP_2)
	v_cmp_eq_u32_e32 vcc_lo, 0, v9
	v_min_u32_e32 v6, 32, v6
	s_delay_alu instid0(VALU_DEP_1) | instskip(NEXT) | instid1(VALU_DEP_1)
	v_subrev_nc_u32_e32 v8, 28, v6
	v_dual_lshlrev_b32 v3, v8, v3 :: v_dual_sub_nc_u32 v6, 29, v6
	s_delay_alu instid0(VALU_DEP_1) | instskip(NEXT) | instid1(VALU_DEP_2)
	v_dual_lshlrev_b32 v4, 24, v4 :: v_dual_bitop2_b32 v3, 7, v3 bitop3:0x40
	v_cndmask_b32_e32 v6, v9, v6, vcc_lo
	s_delay_alu instid0(VALU_DEP_2) | instskip(NEXT) | instid1(VALU_DEP_3)
	v_cndmask_b32_e32 v3, v5, v3, vcc_lo
	v_and_b32_e32 v4, 0x80000000, v4
	s_delay_alu instid0(VALU_DEP_3) | instskip(NEXT) | instid1(VALU_DEP_3)
	v_lshl_add_u32 v5, v6, 23, 0x3b800000
	v_lshlrev_b32_e32 v3, 20, v3
	s_delay_alu instid0(VALU_DEP_1)
	v_or3_b32 v3, v4, v5, v3
.LBB151_1904:
	s_or_b32 exec_lo, exec_lo, s10
.LBB151_1905:
	s_mov_b32 s9, -1
.LBB151_1906:
	s_branch .LBB151_1939
.LBB151_1907:
	s_cmp_gt_i32 s6, 22
	s_cbranch_scc0 .LBB151_1917
; %bb.1908:
	s_cmp_lt_i32 s6, 24
	s_cbranch_scc1 .LBB151_1920
; %bb.1909:
	s_cmp_gt_i32 s6, 24
	s_cbranch_scc0 .LBB151_1921
; %bb.1910:
	global_load_u8 v4, v[0:1], off
	s_mov_b32 s9, exec_lo
	s_wait_loadcnt 0x0
	v_cmpx_lt_i16_e32 0x7f, v4
	s_xor_b32 s9, exec_lo, s9
	s_cbranch_execz .LBB151_1933
; %bb.1911:
	s_mov_b32 s8, -1
	s_mov_b32 s10, exec_lo
	v_cmpx_eq_u16_e32 0x80, v4
; %bb.1912:
	s_xor_b32 s8, exec_lo, -1
; %bb.1913:
	s_or_b32 exec_lo, exec_lo, s10
	s_delay_alu instid0(SALU_CYCLE_1)
	s_and_b32 s8, s8, exec_lo
	s_or_saveexec_b32 s9, s9
	v_mov_b32_e32 v3, 0x7f800001
	s_xor_b32 exec_lo, exec_lo, s9
	s_cbranch_execnz .LBB151_1934
.LBB151_1914:
	s_or_b32 exec_lo, exec_lo, s9
	s_and_saveexec_b32 s9, s8
	s_cbranch_execz .LBB151_1916
.LBB151_1915:
	v_and_b32_e32 v3, 0xffff, v4
	s_delay_alu instid0(VALU_DEP_1) | instskip(SKIP_1) | instid1(VALU_DEP_2)
	v_and_b32_e32 v5, 3, v3
	v_bfe_u32 v9, v3, 2, 5
	v_clz_i32_u32_e32 v6, v5
	s_delay_alu instid0(VALU_DEP_2) | instskip(NEXT) | instid1(VALU_DEP_2)
	v_cmp_eq_u32_e32 vcc_lo, 0, v9
	v_min_u32_e32 v6, 32, v6
	s_delay_alu instid0(VALU_DEP_1) | instskip(NEXT) | instid1(VALU_DEP_1)
	v_subrev_nc_u32_e32 v8, 29, v6
	v_dual_lshlrev_b32 v3, v8, v3 :: v_dual_sub_nc_u32 v6, 30, v6
	s_delay_alu instid0(VALU_DEP_1) | instskip(NEXT) | instid1(VALU_DEP_2)
	v_dual_lshlrev_b32 v4, 24, v4 :: v_dual_bitop2_b32 v3, 3, v3 bitop3:0x40
	v_cndmask_b32_e32 v6, v9, v6, vcc_lo
	s_delay_alu instid0(VALU_DEP_2) | instskip(NEXT) | instid1(VALU_DEP_3)
	v_cndmask_b32_e32 v3, v5, v3, vcc_lo
	v_and_b32_e32 v4, 0x80000000, v4
	s_delay_alu instid0(VALU_DEP_3) | instskip(NEXT) | instid1(VALU_DEP_3)
	v_lshl_add_u32 v5, v6, 23, 0x37800000
	v_lshlrev_b32_e32 v3, 21, v3
	s_delay_alu instid0(VALU_DEP_1)
	v_or3_b32 v3, v4, v5, v3
.LBB151_1916:
	s_or_b32 exec_lo, exec_lo, s9
	s_mov_b32 s8, 0
	s_branch .LBB151_1922
.LBB151_1917:
	s_mov_b32 s8, -1
                                        ; implicit-def: $vgpr3
	s_branch .LBB151_1928
.LBB151_1918:
	s_or_saveexec_b32 s10, s10
	v_mov_b32_e32 v3, 0x7f800001
	s_xor_b32 exec_lo, exec_lo, s10
	s_cbranch_execz .LBB151_1902
.LBB151_1919:
	v_cmp_ne_u16_e32 vcc_lo, 0, v4
	v_mov_b32_e32 v3, 0
	s_and_not1_b32 s9, s9, exec_lo
	s_and_b32 s11, vcc_lo, exec_lo
	s_delay_alu instid0(SALU_CYCLE_1)
	s_or_b32 s9, s9, s11
	s_or_b32 exec_lo, exec_lo, s10
	s_and_saveexec_b32 s10, s9
	s_cbranch_execnz .LBB151_1903
	s_branch .LBB151_1904
.LBB151_1920:
	s_mov_b32 s8, -1
                                        ; implicit-def: $vgpr3
	s_branch .LBB151_1925
.LBB151_1921:
	s_mov_b32 s8, -1
                                        ; implicit-def: $vgpr3
.LBB151_1922:
	s_delay_alu instid0(SALU_CYCLE_1)
	s_and_b32 vcc_lo, exec_lo, s8
	s_cbranch_vccz .LBB151_1924
; %bb.1923:
	global_load_u8 v3, v[0:1], off
	s_wait_loadcnt 0x0
	v_lshlrev_b32_e32 v3, 24, v3
	s_delay_alu instid0(VALU_DEP_1) | instskip(NEXT) | instid1(VALU_DEP_1)
	v_and_b32_e32 v4, 0x7f000000, v3
	v_clz_i32_u32_e32 v5, v4
	v_add_nc_u32_e32 v8, 0x1000000, v4
	v_cmp_ne_u32_e32 vcc_lo, 0, v4
	s_delay_alu instid0(VALU_DEP_3) | instskip(NEXT) | instid1(VALU_DEP_1)
	v_min_u32_e32 v5, 32, v5
	v_sub_nc_u32_e64 v5, v5, 4 clamp
	s_delay_alu instid0(VALU_DEP_1) | instskip(NEXT) | instid1(VALU_DEP_1)
	v_dual_lshlrev_b32 v6, v5, v4 :: v_dual_lshlrev_b32 v5, 23, v5
	v_lshrrev_b32_e32 v6, 4, v6
	s_delay_alu instid0(VALU_DEP_1) | instskip(NEXT) | instid1(VALU_DEP_1)
	v_dual_sub_nc_u32 v5, v6, v5 :: v_dual_ashrrev_i32 v6, 8, v8
	v_add_nc_u32_e32 v5, 0x3c000000, v5
	s_delay_alu instid0(VALU_DEP_1) | instskip(NEXT) | instid1(VALU_DEP_1)
	v_and_or_b32 v5, 0x7f800000, v6, v5
	v_cndmask_b32_e32 v4, 0, v5, vcc_lo
	s_delay_alu instid0(VALU_DEP_1)
	v_and_or_b32 v3, 0x80000000, v3, v4
.LBB151_1924:
	s_mov_b32 s8, 0
.LBB151_1925:
	s_delay_alu instid0(SALU_CYCLE_1)
	s_and_not1_b32 vcc_lo, exec_lo, s8
	s_cbranch_vccnz .LBB151_1927
; %bb.1926:
	global_load_u8 v3, v[0:1], off
	s_wait_loadcnt 0x0
	v_lshlrev_b32_e32 v4, 25, v3
	v_lshlrev_b16 v3, 8, v3
	s_delay_alu instid0(VALU_DEP_1) | instskip(SKIP_1) | instid1(VALU_DEP_2)
	v_and_or_b32 v6, 0x7f00, v3, 0.5
	v_bfe_i32 v3, v3, 0, 16
	v_dual_add_f32 v6, -0.5, v6 :: v_dual_lshrrev_b32 v5, 4, v4
	v_cmp_gt_u32_e32 vcc_lo, 0x8000000, v4
	s_delay_alu instid0(VALU_DEP_2) | instskip(NEXT) | instid1(VALU_DEP_1)
	v_or_b32_e32 v5, 0x70000000, v5
	v_mul_f32_e32 v5, 0x7800000, v5
	s_delay_alu instid0(VALU_DEP_1) | instskip(NEXT) | instid1(VALU_DEP_1)
	v_cndmask_b32_e32 v4, v5, v6, vcc_lo
	v_and_or_b32 v3, 0x80000000, v3, v4
.LBB151_1927:
	s_mov_b32 s8, 0
	s_mov_b32 s9, -1
.LBB151_1928:
	s_and_not1_b32 vcc_lo, exec_lo, s8
	s_mov_b32 s8, 0
	s_cbranch_vccnz .LBB151_1939
; %bb.1929:
	s_cmp_gt_i32 s6, 14
	s_cbranch_scc0 .LBB151_1932
; %bb.1930:
	s_cmp_eq_u32 s6, 15
	s_cbranch_scc0 .LBB151_1935
; %bb.1931:
	global_load_u16 v3, v[0:1], off
	s_mov_b32 s7, 0
	s_mov_b32 s9, -1
	s_wait_loadcnt 0x0
	v_lshlrev_b32_e32 v3, 16, v3
	s_branch .LBB151_1937
.LBB151_1932:
	s_mov_b32 s8, -1
	s_branch .LBB151_1936
.LBB151_1933:
	s_or_saveexec_b32 s9, s9
	v_mov_b32_e32 v3, 0x7f800001
	s_xor_b32 exec_lo, exec_lo, s9
	s_cbranch_execz .LBB151_1914
.LBB151_1934:
	v_cmp_ne_u16_e32 vcc_lo, 0, v4
	v_mov_b32_e32 v3, 0
	s_and_not1_b32 s8, s8, exec_lo
	s_and_b32 s10, vcc_lo, exec_lo
	s_delay_alu instid0(SALU_CYCLE_1)
	s_or_b32 s8, s8, s10
	s_or_b32 exec_lo, exec_lo, s9
	s_and_saveexec_b32 s9, s8
	s_cbranch_execnz .LBB151_1915
	s_branch .LBB151_1916
.LBB151_1935:
	s_mov_b32 s7, -1
.LBB151_1936:
                                        ; implicit-def: $vgpr3
.LBB151_1937:
	s_and_b32 vcc_lo, exec_lo, s8
	s_mov_b32 s8, 0
	s_cbranch_vccz .LBB151_1939
; %bb.1938:
	s_cmp_lg_u32 s6, 11
	s_mov_b32 s8, -1
	s_cselect_b32 s6, -1, 0
	s_and_not1_b32 s7, s7, exec_lo
	s_and_b32 s6, s6, exec_lo
	s_delay_alu instid0(SALU_CYCLE_1)
	s_or_b32 s7, s7, s6
.LBB151_1939:
	s_mov_b32 s6, 0
.LBB151_1940:
	s_and_not1_b32 s10, s46, exec_lo
	s_and_b32 s7, s7, exec_lo
	s_and_b32 s9, s9, exec_lo
	;; [unrolled: 1-line block ×4, first 2 shown]
	s_or_b32 s46, s10, s7
	s_wait_xcnt 0x0
	s_or_b32 exec_lo, exec_lo, s0
	s_and_saveexec_b32 s0, s46
	s_cbranch_execz .LBB151_1869
.LBB151_1941:
	s_or_b32 s1, s1, exec_lo
	s_and_not1_b32 s8, s8, exec_lo
	s_trap 2
	s_or_b32 exec_lo, exec_lo, s0
	s_and_saveexec_b32 s0, s8
	s_delay_alu instid0(SALU_CYCLE_1)
	s_xor_b32 s0, exec_lo, s0
	s_cbranch_execnz .LBB151_1870
.LBB151_1942:
	s_or_b32 exec_lo, exec_lo, s0
	s_and_saveexec_b32 s0, s6
	s_cbranch_execz .LBB151_1988
.LBB151_1943:
	s_sext_i32_i16 s6, s21
	s_delay_alu instid0(SALU_CYCLE_1)
	s_cmp_lt_i32 s6, 5
	s_cbranch_scc1 .LBB151_1948
; %bb.1944:
	s_cmp_lt_i32 s6, 8
	s_cbranch_scc1 .LBB151_1949
; %bb.1945:
	;; [unrolled: 3-line block ×3, first 2 shown]
	s_cmp_gt_i32 s6, 9
	s_cbranch_scc0 .LBB151_1951
; %bb.1947:
	s_wait_loadcnt 0x0
	global_load_b64 v[4:5], v[0:1], off
	s_mov_b32 s6, 0
	s_wait_loadcnt 0x0
	v_cvt_f32_f64_e32 v3, v[4:5]
	s_branch .LBB151_1952
.LBB151_1948:
                                        ; implicit-def: $vgpr3
	s_branch .LBB151_1969
.LBB151_1949:
                                        ; implicit-def: $vgpr3
	s_branch .LBB151_1958
.LBB151_1950:
	s_mov_b32 s6, -1
                                        ; implicit-def: $vgpr3
	s_branch .LBB151_1955
.LBB151_1951:
	s_mov_b32 s6, -1
                                        ; implicit-def: $vgpr3
.LBB151_1952:
	s_delay_alu instid0(SALU_CYCLE_1)
	s_and_not1_b32 vcc_lo, exec_lo, s6
	s_cbranch_vccnz .LBB151_1954
; %bb.1953:
	s_wait_loadcnt 0x0
	global_load_b32 v3, v[0:1], off
.LBB151_1954:
	s_mov_b32 s6, 0
.LBB151_1955:
	s_delay_alu instid0(SALU_CYCLE_1)
	s_and_not1_b32 vcc_lo, exec_lo, s6
	s_cbranch_vccnz .LBB151_1957
; %bb.1956:
	s_wait_loadcnt 0x0
	global_load_b32 v3, v[0:1], off
	s_wait_loadcnt 0x0
	v_cvt_f32_f16_e32 v3, v3
.LBB151_1957:
	s_cbranch_execnz .LBB151_1968
.LBB151_1958:
	s_sext_i32_i16 s6, s21
	s_delay_alu instid0(SALU_CYCLE_1)
	s_cmp_lt_i32 s6, 6
	s_cbranch_scc1 .LBB151_1961
; %bb.1959:
	s_cmp_gt_i32 s6, 6
	s_cbranch_scc0 .LBB151_1962
; %bb.1960:
	s_wait_loadcnt 0x0
	global_load_b64 v[4:5], v[0:1], off
	s_mov_b32 s6, 0
	s_wait_loadcnt 0x0
	v_cvt_f32_f64_e32 v3, v[4:5]
	s_branch .LBB151_1963
.LBB151_1961:
	s_mov_b32 s6, -1
                                        ; implicit-def: $vgpr3
	s_branch .LBB151_1966
.LBB151_1962:
	s_mov_b32 s6, -1
                                        ; implicit-def: $vgpr3
.LBB151_1963:
	s_delay_alu instid0(SALU_CYCLE_1)
	s_and_not1_b32 vcc_lo, exec_lo, s6
	s_cbranch_vccnz .LBB151_1965
; %bb.1964:
	s_wait_loadcnt 0x0
	global_load_b32 v3, v[0:1], off
.LBB151_1965:
	s_mov_b32 s6, 0
.LBB151_1966:
	s_delay_alu instid0(SALU_CYCLE_1)
	s_and_not1_b32 vcc_lo, exec_lo, s6
	s_cbranch_vccnz .LBB151_1968
; %bb.1967:
	s_wait_loadcnt 0x0
	global_load_u16 v3, v[0:1], off
	s_wait_loadcnt 0x0
	v_cvt_f32_f16_e32 v3, v3
.LBB151_1968:
	s_cbranch_execnz .LBB151_1987
.LBB151_1969:
	s_sext_i32_i16 s6, s21
	s_delay_alu instid0(SALU_CYCLE_1)
	s_cmp_lt_i32 s6, 2
	s_cbranch_scc1 .LBB151_1973
; %bb.1970:
	s_cmp_lt_i32 s6, 3
	s_cbranch_scc1 .LBB151_1974
; %bb.1971:
	s_cmp_gt_i32 s6, 3
	s_cbranch_scc0 .LBB151_1975
; %bb.1972:
	s_wait_loadcnt 0x0
	global_load_b64 v[4:5], v[0:1], off
	s_mov_b32 s6, 0
	s_wait_loadcnt 0x0
	v_xor_b32_e32 v3, v4, v5
	v_cls_i32_e32 v6, v5
	s_delay_alu instid0(VALU_DEP_2) | instskip(NEXT) | instid1(VALU_DEP_1)
	v_ashrrev_i32_e32 v3, 31, v3
	v_add_nc_u32_e32 v3, 32, v3
	s_delay_alu instid0(VALU_DEP_1) | instskip(NEXT) | instid1(VALU_DEP_1)
	v_add_min_u32_e64 v3, v6, -1, v3
	v_lshlrev_b64_e32 v[4:5], v3, v[4:5]
	v_sub_nc_u32_e32 v3, 32, v3
	s_delay_alu instid0(VALU_DEP_2) | instskip(NEXT) | instid1(VALU_DEP_1)
	v_min_u32_e32 v4, 1, v4
	v_or_b32_e32 v4, v5, v4
	s_delay_alu instid0(VALU_DEP_1) | instskip(NEXT) | instid1(VALU_DEP_1)
	v_cvt_f32_i32_e32 v4, v4
	v_ldexp_f32 v3, v4, v3
	s_branch .LBB151_1976
.LBB151_1973:
                                        ; implicit-def: $vgpr3
	s_branch .LBB151_1982
.LBB151_1974:
	s_mov_b32 s6, -1
                                        ; implicit-def: $vgpr3
	s_branch .LBB151_1979
.LBB151_1975:
	s_mov_b32 s6, -1
                                        ; implicit-def: $vgpr3
.LBB151_1976:
	s_delay_alu instid0(SALU_CYCLE_1)
	s_and_not1_b32 vcc_lo, exec_lo, s6
	s_cbranch_vccnz .LBB151_1978
; %bb.1977:
	s_wait_loadcnt 0x0
	global_load_b32 v3, v[0:1], off
	s_wait_loadcnt 0x0
	v_cvt_f32_i32_e32 v3, v3
.LBB151_1978:
	s_mov_b32 s6, 0
.LBB151_1979:
	s_delay_alu instid0(SALU_CYCLE_1)
	s_and_not1_b32 vcc_lo, exec_lo, s6
	s_cbranch_vccnz .LBB151_1981
; %bb.1980:
	s_wait_loadcnt 0x0
	global_load_i16 v3, v[0:1], off
	s_wait_loadcnt 0x0
	v_cvt_f32_i32_e32 v3, v3
.LBB151_1981:
	s_cbranch_execnz .LBB151_1987
.LBB151_1982:
	s_sext_i32_i16 s6, s21
	s_delay_alu instid0(SALU_CYCLE_1)
	s_cmp_gt_i32 s6, 0
	s_mov_b32 s6, 0
	s_cbranch_scc0 .LBB151_1984
; %bb.1983:
	s_wait_loadcnt 0x0
	global_load_i8 v3, v[0:1], off
	s_wait_loadcnt 0x0
	v_cvt_f32_i32_e32 v3, v3
	s_branch .LBB151_1985
.LBB151_1984:
	s_mov_b32 s6, -1
                                        ; implicit-def: $vgpr3
.LBB151_1985:
	s_delay_alu instid0(SALU_CYCLE_1)
	s_and_not1_b32 vcc_lo, exec_lo, s6
	s_cbranch_vccnz .LBB151_1987
; %bb.1986:
	s_wait_loadcnt 0x0
	global_load_u8 v0, v[0:1], off
	s_wait_loadcnt 0x0
	v_cvt_f32_ubyte0_e32 v3, v0
.LBB151_1987:
	s_or_b32 s9, s9, exec_lo
.LBB151_1988:
	s_wait_xcnt 0x0
	s_or_b32 exec_lo, exec_lo, s0
	s_mov_b32 s0, 0
	s_mov_b32 s8, 0
                                        ; implicit-def: $sgpr6
                                        ; implicit-def: $vgpr0_vgpr1
                                        ; implicit-def: $vgpr4
	s_and_saveexec_b32 s7, s9
	s_cbranch_execz .LBB151_1996
; %bb.1989:
	s_wait_loadcnt 0x0
	v_dual_max_num_f32 v0, v7, v7 :: v_dual_max_num_f32 v1, v10, v10
	s_delay_alu instid0(VALU_DEP_2) | instskip(SKIP_2) | instid1(SALU_CYCLE_1)
	v_cmp_u_f32_e32 vcc_lo, v3, v3
	v_max_num_f32_e32 v4, v3, v3
	s_and_b32 s6, s38, 0xff
	s_cmp_lt_i32 s6, 11
	s_delay_alu instid0(VALU_DEP_1) | instskip(NEXT) | instid1(VALU_DEP_1)
	v_maxmin_num_f32 v0, v1, v0, v4
	v_cndmask_b32_e32 v0, v0, v3, vcc_lo
	v_cmp_u_f32_e32 vcc_lo, v7, v7
	s_delay_alu instid0(VALU_DEP_2) | instskip(SKIP_1) | instid1(VALU_DEP_2)
	v_dual_mov_b32 v3, 0 :: v_dual_cndmask_b32 v4, v0, v7
	v_cmp_u_f32_e32 vcc_lo, v10, v10
	v_add_nc_u64_e32 v[0:1], s[4:5], v[2:3]
	s_delay_alu instid0(VALU_DEP_3)
	v_cndmask_b32_e32 v4, v4, v10, vcc_lo
	s_cbranch_scc1 .LBB151_1999
; %bb.1990:
	s_and_b32 s4, 0xffff, s6
	s_mov_b32 s5, -1
	s_cmp_gt_i32 s4, 25
	s_mov_b32 s0, s43
	s_cbranch_scc0 .LBB151_2027
; %bb.1991:
	s_cmp_gt_i32 s4, 28
	s_mov_b32 s0, s43
	s_cbranch_scc0 .LBB151_2011
; %bb.1992:
	;; [unrolled: 4-line block ×4, first 2 shown]
	s_cmp_eq_u32 s4, 46
	s_mov_b32 s0, -1
	s_cbranch_scc0 .LBB151_2000
; %bb.1995:
	v_bfe_u32 v2, v4, 16, 1
	v_cmp_o_f32_e32 vcc_lo, v4, v4
	s_mov_b32 s0, 0
	s_mov_b32 s5, 0
	s_delay_alu instid0(VALU_DEP_2) | instskip(NEXT) | instid1(VALU_DEP_1)
	v_add3_u32 v2, v4, v2, 0x7fff
	v_lshrrev_b32_e32 v2, 16, v2
	s_delay_alu instid0(VALU_DEP_1)
	v_cndmask_b32_e32 v2, 0x7fc0, v2, vcc_lo
	global_store_b32 v[0:1], v2, off
	s_branch .LBB151_2001
.LBB151_1996:
	s_or_b32 exec_lo, exec_lo, s7
	s_and_saveexec_b32 s4, s43
	s_cbranch_execnz .LBB151_2069
.LBB151_1997:
	s_or_b32 exec_lo, exec_lo, s4
	s_and_saveexec_b32 s4, s0
	s_delay_alu instid0(SALU_CYCLE_1)
	s_xor_b32 s0, exec_lo, s4
	s_cbranch_execz .LBB151_2070
.LBB151_1998:
	v_cmp_neq_f32_e32 vcc_lo, 0, v4
	v_cndmask_b32_e64 v2, 0, 1, vcc_lo
	s_wait_loadcnt 0x0
	global_store_b8 v[0:1], v2, off
	s_wait_xcnt 0x0
	s_or_b32 exec_lo, exec_lo, s0
	s_and_saveexec_b32 s0, s8
	s_delay_alu instid0(SALU_CYCLE_1)
	s_xor_b32 s0, exec_lo, s0
	s_cbranch_execz .LBB151_2108
	s_branch .LBB151_2071
.LBB151_1999:
	s_mov_b32 s9, 0
	s_mov_b32 s5, -1
	s_mov_b32 s0, s43
	s_branch .LBB151_2068
.LBB151_2000:
	s_mov_b32 s5, 0
.LBB151_2001:
	s_delay_alu instid0(SALU_CYCLE_1)
	s_and_b32 vcc_lo, exec_lo, s5
	s_cbranch_vccz .LBB151_2006
; %bb.2002:
	s_cmp_eq_u32 s4, 44
	s_mov_b32 s0, -1
	s_cbranch_scc0 .LBB151_2006
; %bb.2003:
	v_bfe_u32 v3, v4, 23, 8
	s_wait_xcnt 0x0
	v_mov_b32_e32 v2, 0xff
	s_mov_b32 s5, exec_lo
	s_delay_alu instid0(VALU_DEP_2)
	v_cmpx_ne_u32_e32 0xff, v3
	s_cbranch_execz .LBB151_2005
; %bb.2004:
	v_and_b32_e32 v2, 0x400000, v4
	v_and_or_b32 v3, 0x3fffff, v4, v3
	s_delay_alu instid0(VALU_DEP_2) | instskip(NEXT) | instid1(VALU_DEP_2)
	v_cmp_ne_u32_e32 vcc_lo, 0, v2
	v_cmp_ne_u32_e64 s0, 0, v3
	v_lshrrev_b32_e32 v2, 23, v4
	s_and_b32 s0, vcc_lo, s0
	s_delay_alu instid0(SALU_CYCLE_1) | instskip(NEXT) | instid1(VALU_DEP_1)
	v_cndmask_b32_e64 v3, 0, 1, s0
	v_add_nc_u32_e32 v2, v2, v3
.LBB151_2005:
	s_or_b32 exec_lo, exec_lo, s5
	s_mov_b32 s0, 0
	global_store_b8 v[0:1], v2, off
.LBB151_2006:
	s_mov_b32 s5, 0
.LBB151_2007:
	s_delay_alu instid0(SALU_CYCLE_1)
	s_and_b32 vcc_lo, exec_lo, s5
	s_cbranch_vccz .LBB151_2010
; %bb.2008:
	s_cmp_eq_u32 s4, 29
	s_mov_b32 s0, -1
	s_cbranch_scc0 .LBB151_2010
; %bb.2009:
	s_wait_xcnt 0x0
	v_trunc_f32_e32 v2, v4
	s_mov_b32 s0, 0
	s_mov_b32 s5, 0
	s_delay_alu instid0(VALU_DEP_1) | instskip(NEXT) | instid1(VALU_DEP_1)
	v_mul_f32_e32 v3, 0x2f800000, v2
	v_floor_f32_e32 v3, v3
	s_delay_alu instid0(VALU_DEP_1) | instskip(SKIP_1) | instid1(VALU_DEP_2)
	v_fmamk_f32 v2, v3, 0xcf800000, v2
	v_cvt_u32_f32_e32 v3, v3
	v_cvt_u32_f32_e32 v2, v2
	global_store_b64 v[0:1], v[2:3], off
	s_branch .LBB151_2011
.LBB151_2010:
	s_mov_b32 s5, 0
.LBB151_2011:
	s_delay_alu instid0(SALU_CYCLE_1)
	s_and_b32 vcc_lo, exec_lo, s5
	s_cbranch_vccz .LBB151_2026
; %bb.2012:
	s_cmp_lt_i32 s4, 27
	s_mov_b32 s5, -1
	s_cbranch_scc1 .LBB151_2018
; %bb.2013:
	s_cmp_gt_i32 s4, 27
	s_cbranch_scc0 .LBB151_2015
; %bb.2014:
	s_wait_xcnt 0x0
	v_cvt_u32_f32_e32 v2, v4
	s_mov_b32 s5, 0
	global_store_b32 v[0:1], v2, off
.LBB151_2015:
	s_and_not1_b32 vcc_lo, exec_lo, s5
	s_cbranch_vccnz .LBB151_2017
; %bb.2016:
	s_wait_xcnt 0x0
	v_cvt_u32_f32_e32 v2, v4
	global_store_b16 v[0:1], v2, off
.LBB151_2017:
	s_mov_b32 s5, 0
.LBB151_2018:
	s_delay_alu instid0(SALU_CYCLE_1)
	s_and_not1_b32 vcc_lo, exec_lo, s5
	s_cbranch_vccnz .LBB151_2026
; %bb.2019:
	s_wait_xcnt 0x0
	v_and_b32_e32 v2, 0x7fffffff, v4
	v_mov_b32_e32 v3, 0x80
	s_mov_b32 s5, exec_lo
	s_delay_alu instid0(VALU_DEP_2)
	v_cmpx_gt_u32_e32 0x43800000, v2
	s_cbranch_execz .LBB151_2025
; %bb.2020:
	v_cmp_lt_u32_e32 vcc_lo, 0x3bffffff, v2
                                        ; implicit-def: $vgpr2
	s_and_saveexec_b32 s9, vcc_lo
	s_delay_alu instid0(SALU_CYCLE_1)
	s_xor_b32 s9, exec_lo, s9
	s_cbranch_execz .LBB151_2167
; %bb.2021:
	v_bfe_u32 v2, v4, 20, 1
	s_mov_b32 s8, exec_lo
	s_delay_alu instid0(VALU_DEP_1) | instskip(NEXT) | instid1(VALU_DEP_1)
	v_add3_u32 v2, v4, v2, 0x487ffff
	v_lshrrev_b32_e32 v2, 20, v2
	s_and_not1_saveexec_b32 s9, s9
	s_cbranch_execnz .LBB151_2168
.LBB151_2022:
	s_or_b32 exec_lo, exec_lo, s9
	v_mov_b32_e32 v3, 0
	s_and_saveexec_b32 s9, s8
.LBB151_2023:
	v_lshrrev_b32_e32 v3, 24, v4
	s_delay_alu instid0(VALU_DEP_1)
	v_and_or_b32 v3, 0x80, v3, v2
.LBB151_2024:
	s_or_b32 exec_lo, exec_lo, s9
.LBB151_2025:
	s_delay_alu instid0(SALU_CYCLE_1)
	s_or_b32 exec_lo, exec_lo, s5
	global_store_b8 v[0:1], v3, off
.LBB151_2026:
	s_mov_b32 s5, 0
.LBB151_2027:
	s_delay_alu instid0(SALU_CYCLE_1)
	s_and_b32 vcc_lo, exec_lo, s5
	s_mov_b32 s5, 0
	s_cbranch_vccz .LBB151_2067
; %bb.2028:
	s_cmp_gt_i32 s4, 22
	s_mov_b32 s8, -1
	s_cbranch_scc0 .LBB151_2060
; %bb.2029:
	s_cmp_lt_i32 s4, 24
	s_cbranch_scc1 .LBB151_2049
; %bb.2030:
	s_cmp_gt_i32 s4, 24
	s_cbranch_scc0 .LBB151_2038
; %bb.2031:
	s_wait_xcnt 0x0
	v_and_b32_e32 v2, 0x7fffffff, v4
	v_mov_b32_e32 v3, 0x80
	s_mov_b32 s8, exec_lo
	s_delay_alu instid0(VALU_DEP_2)
	v_cmpx_gt_u32_e32 0x47800000, v2
	s_cbranch_execz .LBB151_2037
; %bb.2032:
	v_cmp_lt_u32_e32 vcc_lo, 0x37ffffff, v2
	s_mov_b32 s9, 0
                                        ; implicit-def: $vgpr2
	s_and_saveexec_b32 s10, vcc_lo
	s_delay_alu instid0(SALU_CYCLE_1)
	s_xor_b32 s10, exec_lo, s10
	s_cbranch_execz .LBB151_2293
; %bb.2033:
	v_bfe_u32 v2, v4, 21, 1
	s_mov_b32 s9, exec_lo
	s_delay_alu instid0(VALU_DEP_1) | instskip(NEXT) | instid1(VALU_DEP_1)
	v_add3_u32 v2, v4, v2, 0x88fffff
	v_lshrrev_b32_e32 v2, 21, v2
	s_and_not1_saveexec_b32 s10, s10
	s_cbranch_execnz .LBB151_2294
.LBB151_2034:
	s_or_b32 exec_lo, exec_lo, s10
	v_mov_b32_e32 v3, 0
	s_and_saveexec_b32 s10, s9
.LBB151_2035:
	v_lshrrev_b32_e32 v3, 24, v4
	s_delay_alu instid0(VALU_DEP_1)
	v_and_or_b32 v3, 0x80, v3, v2
.LBB151_2036:
	s_or_b32 exec_lo, exec_lo, s10
.LBB151_2037:
	s_delay_alu instid0(SALU_CYCLE_1)
	s_or_b32 exec_lo, exec_lo, s8
	s_mov_b32 s8, 0
	global_store_b8 v[0:1], v3, off
.LBB151_2038:
	s_and_b32 vcc_lo, exec_lo, s8
	s_cbranch_vccz .LBB151_2048
; %bb.2039:
	s_wait_xcnt 0x0
	v_and_b32_e32 v3, 0x7fffffff, v4
	s_mov_b32 s8, exec_lo
                                        ; implicit-def: $vgpr2
	s_delay_alu instid0(VALU_DEP_1)
	v_cmpx_gt_u32_e32 0x43f00000, v3
	s_xor_b32 s8, exec_lo, s8
	s_cbranch_execz .LBB151_2045
; %bb.2040:
	s_mov_b32 s9, exec_lo
                                        ; implicit-def: $vgpr2
	v_cmpx_lt_u32_e32 0x3c7fffff, v3
	s_xor_b32 s9, exec_lo, s9
; %bb.2041:
	v_bfe_u32 v2, v4, 20, 1
	s_delay_alu instid0(VALU_DEP_1) | instskip(NEXT) | instid1(VALU_DEP_1)
	v_add3_u32 v2, v4, v2, 0x407ffff
	v_and_b32_e32 v3, 0xff00000, v2
	v_lshrrev_b32_e32 v2, 20, v2
	s_delay_alu instid0(VALU_DEP_2) | instskip(NEXT) | instid1(VALU_DEP_2)
	v_cmp_ne_u32_e32 vcc_lo, 0x7f00000, v3
	v_cndmask_b32_e32 v2, 0x7e, v2, vcc_lo
; %bb.2042:
	s_and_not1_saveexec_b32 s9, s9
; %bb.2043:
	v_add_f32_e64 v2, 0x46800000, |v4|
; %bb.2044:
	s_or_b32 exec_lo, exec_lo, s9
                                        ; implicit-def: $vgpr3
.LBB151_2045:
	s_and_not1_saveexec_b32 s8, s8
; %bb.2046:
	v_mov_b32_e32 v2, 0x7f
	v_cmp_lt_u32_e32 vcc_lo, 0x7f800000, v3
	s_delay_alu instid0(VALU_DEP_2)
	v_cndmask_b32_e32 v2, 0x7e, v2, vcc_lo
; %bb.2047:
	s_or_b32 exec_lo, exec_lo, s8
	v_lshrrev_b32_e32 v3, 24, v4
	s_delay_alu instid0(VALU_DEP_1)
	v_and_or_b32 v2, 0x80, v3, v2
	global_store_b8 v[0:1], v2, off
.LBB151_2048:
	s_mov_b32 s8, 0
.LBB151_2049:
	s_delay_alu instid0(SALU_CYCLE_1)
	s_and_not1_b32 vcc_lo, exec_lo, s8
	s_cbranch_vccnz .LBB151_2059
; %bb.2050:
	s_wait_xcnt 0x0
	v_and_b32_e32 v3, 0x7fffffff, v4
	s_mov_b32 s8, exec_lo
                                        ; implicit-def: $vgpr2
	s_delay_alu instid0(VALU_DEP_1)
	v_cmpx_gt_u32_e32 0x47800000, v3
	s_xor_b32 s8, exec_lo, s8
	s_cbranch_execz .LBB151_2056
; %bb.2051:
	s_mov_b32 s9, exec_lo
                                        ; implicit-def: $vgpr2
	v_cmpx_lt_u32_e32 0x387fffff, v3
	s_xor_b32 s9, exec_lo, s9
; %bb.2052:
	v_bfe_u32 v2, v4, 21, 1
	s_delay_alu instid0(VALU_DEP_1) | instskip(NEXT) | instid1(VALU_DEP_1)
	v_add3_u32 v2, v4, v2, 0x80fffff
	v_lshrrev_b32_e32 v2, 21, v2
; %bb.2053:
	s_and_not1_saveexec_b32 s9, s9
; %bb.2054:
	v_add_f32_e64 v2, 0x43000000, |v4|
; %bb.2055:
	s_or_b32 exec_lo, exec_lo, s9
                                        ; implicit-def: $vgpr3
.LBB151_2056:
	s_and_not1_saveexec_b32 s8, s8
; %bb.2057:
	v_mov_b32_e32 v2, 0x7f
	v_cmp_lt_u32_e32 vcc_lo, 0x7f800000, v3
	s_delay_alu instid0(VALU_DEP_2)
	v_cndmask_b32_e32 v2, 0x7c, v2, vcc_lo
; %bb.2058:
	s_or_b32 exec_lo, exec_lo, s8
	v_lshrrev_b32_e32 v3, 24, v4
	s_delay_alu instid0(VALU_DEP_1)
	v_and_or_b32 v2, 0x80, v3, v2
	global_store_b8 v[0:1], v2, off
.LBB151_2059:
	s_mov_b32 s8, 0
.LBB151_2060:
	s_delay_alu instid0(SALU_CYCLE_1)
	s_and_not1_b32 vcc_lo, exec_lo, s8
	s_mov_b32 s9, 0
	s_cbranch_vccnz .LBB151_2068
; %bb.2061:
	s_cmp_gt_i32 s4, 14
	s_mov_b32 s8, -1
	s_cbranch_scc0 .LBB151_2065
; %bb.2062:
	s_cmp_eq_u32 s4, 15
	s_mov_b32 s0, -1
	s_cbranch_scc0 .LBB151_2064
; %bb.2063:
	s_wait_xcnt 0x0
	v_bfe_u32 v2, v4, 16, 1
	v_cmp_o_f32_e32 vcc_lo, v4, v4
	s_mov_b32 s0, 0
	s_delay_alu instid0(VALU_DEP_2) | instskip(NEXT) | instid1(VALU_DEP_1)
	v_add3_u32 v2, v4, v2, 0x7fff
	v_lshrrev_b32_e32 v2, 16, v2
	s_delay_alu instid0(VALU_DEP_1)
	v_cndmask_b32_e32 v2, 0x7fc0, v2, vcc_lo
	global_store_b16 v[0:1], v2, off
.LBB151_2064:
	s_mov_b32 s8, 0
.LBB151_2065:
	s_delay_alu instid0(SALU_CYCLE_1)
	s_and_b32 vcc_lo, exec_lo, s8
	s_cbranch_vccz .LBB151_2068
; %bb.2066:
	s_cmp_lg_u32 s4, 11
	s_mov_b32 s9, -1
	s_cselect_b32 s4, -1, 0
	s_and_not1_b32 s0, s0, exec_lo
	s_and_b32 s4, s4, exec_lo
	s_delay_alu instid0(SALU_CYCLE_1)
	s_or_b32 s0, s0, s4
	s_branch .LBB151_2068
.LBB151_2067:
	s_mov_b32 s9, 0
.LBB151_2068:
	s_and_b32 s8, s5, exec_lo
	s_and_not1_b32 s4, s43, exec_lo
	s_and_b32 s5, s0, exec_lo
	s_and_b32 s0, s9, exec_lo
	s_or_b32 s43, s4, s5
	s_wait_xcnt 0x0
	s_or_b32 exec_lo, exec_lo, s7
	s_and_saveexec_b32 s4, s43
	s_cbranch_execz .LBB151_1997
.LBB151_2069:
	s_or_b32 s1, s1, exec_lo
	s_and_not1_b32 s0, s0, exec_lo
	s_trap 2
	s_or_b32 exec_lo, exec_lo, s4
	s_and_saveexec_b32 s4, s0
	s_delay_alu instid0(SALU_CYCLE_1)
	s_xor_b32 s0, exec_lo, s4
	s_cbranch_execnz .LBB151_1998
.LBB151_2070:
	s_or_b32 exec_lo, exec_lo, s0
	s_and_saveexec_b32 s0, s8
	s_delay_alu instid0(SALU_CYCLE_1)
	s_xor_b32 s0, exec_lo, s0
	s_cbranch_execz .LBB151_2108
.LBB151_2071:
	s_sext_i32_i16 s5, s6
	s_mov_b32 s4, -1
	s_cmp_lt_i32 s5, 5
	s_cbranch_scc1 .LBB151_2092
; %bb.2072:
	s_cmp_lt_i32 s5, 8
	s_cbranch_scc1 .LBB151_2082
; %bb.2073:
	;; [unrolled: 3-line block ×3, first 2 shown]
	s_cmp_gt_i32 s5, 9
	s_cbranch_scc0 .LBB151_2076
; %bb.2075:
	s_wait_loadcnt 0x0
	v_cvt_f64_f32_e32 v[6:7], v4
	v_mov_b32_e32 v8, 0
	s_mov_b32 s4, 0
	s_delay_alu instid0(VALU_DEP_1)
	v_mov_b32_e32 v9, v8
	global_store_b128 v[0:1], v[6:9], off
.LBB151_2076:
	s_and_not1_b32 vcc_lo, exec_lo, s4
	s_cbranch_vccnz .LBB151_2078
; %bb.2077:
	v_mov_b32_e32 v5, 0
	s_wait_loadcnt 0x0
	global_store_b64 v[0:1], v[4:5], off
.LBB151_2078:
	s_mov_b32 s4, 0
.LBB151_2079:
	s_delay_alu instid0(SALU_CYCLE_1)
	s_and_not1_b32 vcc_lo, exec_lo, s4
	s_cbranch_vccnz .LBB151_2081
; %bb.2080:
	v_cvt_f16_f32_e32 v2, v4
	s_delay_alu instid0(VALU_DEP_1)
	v_and_b32_e32 v2, 0xffff, v2
	s_wait_loadcnt 0x0
	global_store_b32 v[0:1], v2, off
.LBB151_2081:
	s_mov_b32 s4, 0
.LBB151_2082:
	s_delay_alu instid0(SALU_CYCLE_1)
	s_and_not1_b32 vcc_lo, exec_lo, s4
	s_cbranch_vccnz .LBB151_2091
; %bb.2083:
	s_sext_i32_i16 s5, s6
	s_mov_b32 s4, -1
	s_cmp_lt_i32 s5, 6
	s_cbranch_scc1 .LBB151_2089
; %bb.2084:
	s_cmp_gt_i32 s5, 6
	s_cbranch_scc0 .LBB151_2086
; %bb.2085:
	s_wait_loadcnt 0x0
	v_cvt_f64_f32_e32 v[2:3], v4
	s_mov_b32 s4, 0
	global_store_b64 v[0:1], v[2:3], off
.LBB151_2086:
	s_and_not1_b32 vcc_lo, exec_lo, s4
	s_cbranch_vccnz .LBB151_2088
; %bb.2087:
	s_wait_loadcnt 0x0
	global_store_b32 v[0:1], v4, off
.LBB151_2088:
	s_mov_b32 s4, 0
.LBB151_2089:
	s_delay_alu instid0(SALU_CYCLE_1)
	s_and_not1_b32 vcc_lo, exec_lo, s4
	s_cbranch_vccnz .LBB151_2091
; %bb.2090:
	s_wait_xcnt 0x0
	v_cvt_f16_f32_e32 v2, v4
	s_wait_loadcnt 0x0
	global_store_b16 v[0:1], v2, off
.LBB151_2091:
	s_mov_b32 s4, 0
.LBB151_2092:
	s_delay_alu instid0(SALU_CYCLE_1)
	s_and_not1_b32 vcc_lo, exec_lo, s4
	s_cbranch_vccnz .LBB151_2108
; %bb.2093:
	s_sext_i32_i16 s5, s6
	s_mov_b32 s4, -1
	s_cmp_lt_i32 s5, 2
	s_cbranch_scc1 .LBB151_2103
; %bb.2094:
	s_cmp_lt_i32 s5, 3
	s_cbranch_scc1 .LBB151_2100
; %bb.2095:
	s_cmp_gt_i32 s5, 3
	s_cbranch_scc0 .LBB151_2097
; %bb.2096:
	s_wait_xcnt 0x0
	v_trunc_f32_e32 v2, v4
	s_mov_b32 s4, 0
	s_wait_loadcnt 0x0
	s_delay_alu instid0(VALU_DEP_1) | instskip(NEXT) | instid1(VALU_DEP_1)
	v_mul_f32_e64 v3, 0x2f800000, |v2|
	v_floor_f32_e32 v3, v3
	s_delay_alu instid0(VALU_DEP_1) | instskip(SKIP_2) | instid1(VALU_DEP_3)
	v_fma_f32 v5, 0xcf800000, v3, |v2|
	v_ashrrev_i32_e32 v2, 31, v2
	v_cvt_u32_f32_e32 v6, v3
	v_cvt_u32_f32_e32 v5, v5
	s_delay_alu instid0(VALU_DEP_3) | instskip(NEXT) | instid1(VALU_DEP_3)
	v_mov_b32_e32 v3, v2
	v_xor_b32_e32 v7, v6, v2
	s_delay_alu instid0(VALU_DEP_3) | instskip(NEXT) | instid1(VALU_DEP_1)
	v_xor_b32_e32 v6, v5, v2
	v_sub_nc_u64_e32 v[2:3], v[6:7], v[2:3]
	global_store_b64 v[0:1], v[2:3], off
.LBB151_2097:
	s_and_not1_b32 vcc_lo, exec_lo, s4
	s_cbranch_vccnz .LBB151_2099
; %bb.2098:
	s_wait_xcnt 0x0
	v_cvt_i32_f32_e32 v2, v4
	s_wait_loadcnt 0x0
	global_store_b32 v[0:1], v2, off
.LBB151_2099:
	s_mov_b32 s4, 0
.LBB151_2100:
	s_delay_alu instid0(SALU_CYCLE_1)
	s_and_not1_b32 vcc_lo, exec_lo, s4
	s_cbranch_vccnz .LBB151_2102
; %bb.2101:
	s_wait_xcnt 0x0
	v_cvt_i32_f32_e32 v2, v4
	s_wait_loadcnt 0x0
	global_store_b16 v[0:1], v2, off
.LBB151_2102:
	s_mov_b32 s4, 0
.LBB151_2103:
	s_delay_alu instid0(SALU_CYCLE_1)
	s_and_not1_b32 vcc_lo, exec_lo, s4
	s_cbranch_vccnz .LBB151_2108
; %bb.2104:
	s_sext_i32_i16 s4, s6
	s_delay_alu instid0(SALU_CYCLE_1)
	s_cmp_gt_i32 s4, 0
	s_mov_b32 s4, -1
	s_cbranch_scc0 .LBB151_2106
; %bb.2105:
	s_wait_xcnt 0x0
	v_cvt_i32_f32_e32 v2, v4
	s_mov_b32 s4, 0
	s_wait_loadcnt 0x0
	global_store_b8 v[0:1], v2, off
.LBB151_2106:
	s_and_not1_b32 vcc_lo, exec_lo, s4
	s_cbranch_vccnz .LBB151_2108
; %bb.2107:
	s_wait_xcnt 0x0
	v_trunc_f32_e32 v2, v4
	s_wait_loadcnt 0x0
	s_delay_alu instid0(VALU_DEP_1) | instskip(NEXT) | instid1(VALU_DEP_1)
	v_mul_f32_e64 v3, 0x2f800000, |v2|
	v_floor_f32_e32 v3, v3
	s_delay_alu instid0(VALU_DEP_1) | instskip(SKIP_1) | instid1(VALU_DEP_2)
	v_fma_f32 v3, 0xcf800000, v3, |v2|
	v_ashrrev_i32_e32 v2, 31, v2
	v_cvt_u32_f32_e32 v3, v3
	s_delay_alu instid0(VALU_DEP_1) | instskip(NEXT) | instid1(VALU_DEP_1)
	v_xor_b32_e32 v3, v3, v2
	v_sub_nc_u32_e32 v2, v3, v2
	global_store_b8 v[0:1], v2, off
.LBB151_2108:
	s_wait_xcnt 0x0
	s_or_b32 exec_lo, exec_lo, s0
	s_delay_alu instid0(SALU_CYCLE_1)
	s_and_b32 s10, s1, exec_lo
                                        ; implicit-def: $vgpr1
                                        ; implicit-def: $vgpr0
.LBB151_2109:
	s_or_saveexec_b32 s11, s37
	s_mov_b32 s0, 0
                                        ; implicit-def: $vgpr2_vgpr3
                                        ; implicit-def: $sgpr1
                                        ; implicit-def: $vgpr4
	s_xor_b32 exec_lo, exec_lo, s11
	s_cbranch_execz .LBB151_4157
; %bb.2110:
	s_wait_loadcnt 0x0
	v_cndmask_b32_e64 v3, 0, 1, s36
	s_and_not1_b32 vcc_lo, exec_lo, s36
	s_cbranch_vccnz .LBB151_2116
; %bb.2111:
	s_cmp_lg_u32 s33, 0
	s_mov_b32 s6, 0
	s_cbranch_scc0 .LBB151_2120
; %bb.2112:
	s_min_u32 s7, s34, 15
	v_dual_mov_b32 v28, 0 :: v_dual_mov_b32 v2, v0
	v_dual_mov_b32 v26, 0 :: v_dual_mov_b32 v6, 0
	v_mov_b32_e32 v30, 0
	s_add_co_i32 s4, s7, 1
	s_mov_b64 s[0:1], 0xffffffffffffffe0
	s_and_b32 s8, s4, 30
	s_add_nc_u64 s[0:1], s[2:3], s[0:1]
	s_mov_b64 s[4:5], s[2:3]
.LBB151_2113:                           ; =>This Inner Loop Header: Depth=1
	s_clause 0x1
	s_load_b128 s[20:23], s[4:5], 0x4
	s_load_b64 s[24:25], s[4:5], 0x14
	s_load_b256 s[12:19], s[0:1], 0xe4
	s_add_co_i32 s8, s8, -2
	s_wait_xcnt 0x0
	s_add_nc_u64 s[4:5], s[4:5], 24
	s_cmp_lg_u32 s8, 0
	s_add_nc_u64 s[0:1], s[0:1], 32
	s_wait_kmcnt 0x0
	v_mul_hi_u32 v4, s21, v2
	s_delay_alu instid0(VALU_DEP_1) | instskip(NEXT) | instid1(VALU_DEP_1)
	v_add_nc_u32_e32 v4, v2, v4
	v_lshrrev_b32_e32 v4, s22, v4
	s_delay_alu instid0(VALU_DEP_1) | instskip(SKIP_1) | instid1(VALU_DEP_1)
	v_mul_hi_u32 v5, s24, v4
	v_mul_lo_u32 v7, v4, s20
	v_dual_add_nc_u32 v5, v4, v5 :: v_dual_sub_nc_u32 v7, v2, v7
	s_delay_alu instid0(VALU_DEP_1) | instskip(NEXT) | instid1(VALU_DEP_2)
	v_lshrrev_b32_e32 v2, s25, v5
	v_mad_u32 v8, v7, s13, v30
	v_mad_u32 v6, v7, s12, v6
	;; [unrolled: 1-line block ×4, first 2 shown]
	v_mul_lo_u32 v5, v2, s23
	s_delay_alu instid0(VALU_DEP_1) | instskip(NEXT) | instid1(VALU_DEP_1)
	v_sub_nc_u32_e32 v4, v4, v5
	v_mad_u32 v30, v4, s17, v8
	v_mad_u32 v6, v4, s16, v6
	;; [unrolled: 1-line block ×4, first 2 shown]
	s_cbranch_scc1 .LBB151_2113
; %bb.2114:
	s_bitcmp1_b32 s7, 0
	s_cselect_b32 s7, -1, 0
	s_delay_alu instid0(SALU_CYCLE_1)
	s_and_b32 vcc_lo, exec_lo, s7
	s_cbranch_vccnz .LBB151_2117
; %bb.2115:
	s_load_b96 s[16:18], s[4:5], 0x4
	s_load_b128 s[12:15], s[0:1], 0xe4
	s_wait_kmcnt 0x0
	v_mul_hi_u32 v4, s17, v2
	s_delay_alu instid0(VALU_DEP_1) | instskip(NEXT) | instid1(VALU_DEP_1)
	v_add_nc_u32_e32 v4, v2, v4
	v_lshrrev_b32_e32 v4, s18, v4
	s_delay_alu instid0(VALU_DEP_1) | instskip(NEXT) | instid1(VALU_DEP_1)
	v_mul_lo_u32 v4, v4, s16
	v_sub_nc_u32_e32 v2, v2, v4
	s_delay_alu instid0(VALU_DEP_1)
	v_mad_u32 v6, v2, s12, v6
	v_mad_u32 v30, v2, s13, v30
	;; [unrolled: 1-line block ×4, first 2 shown]
	s_and_not1_b32 vcc_lo, exec_lo, s6
	s_cbranch_vccz .LBB151_2118
	s_branch .LBB151_2121
.LBB151_2116:
	s_mov_b32 s6, -1
                                        ; implicit-def: $vgpr30
                                        ; implicit-def: $vgpr6
                                        ; implicit-def: $vgpr26
                                        ; implicit-def: $vgpr28
.LBB151_2117:
	s_delay_alu instid0(SALU_CYCLE_1)
	s_and_not1_b32 vcc_lo, exec_lo, s6
	s_cbranch_vccnz .LBB151_2121
.LBB151_2118:
	s_clause 0x1
	s_load_b96 s[12:14], s[2:3], 0x4
	s_load_b128 s[4:7], s[2:3], 0xc4
	s_cmp_lt_u32 s33, 2
	s_wait_kmcnt 0x0
	v_mul_hi_u32 v2, s13, v0
	s_delay_alu instid0(VALU_DEP_1) | instskip(NEXT) | instid1(VALU_DEP_1)
	v_add_nc_u32_e32 v2, v0, v2
	v_lshrrev_b32_e32 v2, s14, v2
	s_delay_alu instid0(VALU_DEP_1) | instskip(NEXT) | instid1(VALU_DEP_1)
	v_mul_lo_u32 v4, v2, s12
	v_sub_nc_u32_e32 v4, v0, v4
	s_delay_alu instid0(VALU_DEP_1)
	v_mul_lo_u32 v30, v4, s5
	v_mul_lo_u32 v6, v4, s4
	;; [unrolled: 1-line block ×4, first 2 shown]
	s_cbranch_scc1 .LBB151_2121
; %bb.2119:
	s_clause 0x1
	s_load_b96 s[12:14], s[2:3], 0x10
	s_load_b128 s[4:7], s[2:3], 0xd4
	s_wait_kmcnt 0x0
	v_mul_hi_u32 v4, s13, v2
	s_delay_alu instid0(VALU_DEP_1) | instskip(NEXT) | instid1(VALU_DEP_1)
	v_add_nc_u32_e32 v4, v2, v4
	v_lshrrev_b32_e32 v4, s14, v4
	s_delay_alu instid0(VALU_DEP_1) | instskip(NEXT) | instid1(VALU_DEP_1)
	v_mul_lo_u32 v4, v4, s12
	v_sub_nc_u32_e32 v2, v2, v4
	s_delay_alu instid0(VALU_DEP_1)
	v_mad_u32 v6, v2, s4, v6
	v_mad_u32 v30, v2, s5, v30
	;; [unrolled: 1-line block ×4, first 2 shown]
	s_branch .LBB151_2121
.LBB151_2120:
	v_dual_mov_b32 v30, 0 :: v_dual_mov_b32 v6, 0
	v_dual_mov_b32 v26, 0 :: v_dual_mov_b32 v28, 0
	s_and_not1_b32 vcc_lo, exec_lo, s6
	s_cbranch_vccz .LBB151_2118
.LBB151_2121:
	v_cmp_ne_u32_e32 vcc_lo, 1, v3
	v_add_nc_u32_e32 v2, 0x80, v0
	s_cbranch_vccnz .LBB151_2127
; %bb.2122:
	s_cmp_lg_u32 s33, 0
	s_mov_b32 s6, 0
	s_cbranch_scc0 .LBB151_2131
; %bb.2123:
	s_min_u32 s7, s34, 15
	v_dual_mov_b32 v22, 0 :: v_dual_mov_b32 v5, v2
	v_dual_mov_b32 v20, 0 :: v_dual_mov_b32 v4, 0
	v_mov_b32_e32 v24, 0
	s_add_co_i32 s4, s7, 1
	s_mov_b64 s[0:1], 0xffffffffffffffe0
	s_and_b32 s8, s4, 30
	s_add_nc_u64 s[0:1], s[2:3], s[0:1]
	s_mov_b64 s[4:5], s[2:3]
.LBB151_2124:                           ; =>This Inner Loop Header: Depth=1
	s_clause 0x1
	s_load_b128 s[20:23], s[4:5], 0x4
	s_load_b64 s[24:25], s[4:5], 0x14
	s_load_b256 s[12:19], s[0:1], 0xe4
	s_add_co_i32 s8, s8, -2
	s_wait_xcnt 0x0
	s_add_nc_u64 s[4:5], s[4:5], 24
	s_cmp_lg_u32 s8, 0
	s_add_nc_u64 s[0:1], s[0:1], 32
	s_wait_kmcnt 0x0
	v_mul_hi_u32 v7, s21, v5
	s_delay_alu instid0(VALU_DEP_1) | instskip(NEXT) | instid1(VALU_DEP_1)
	v_add_nc_u32_e32 v7, v5, v7
	v_lshrrev_b32_e32 v7, s22, v7
	s_delay_alu instid0(VALU_DEP_1) | instskip(SKIP_1) | instid1(VALU_DEP_1)
	v_mul_hi_u32 v8, s24, v7
	v_mul_lo_u32 v9, v7, s20
	v_dual_add_nc_u32 v8, v7, v8 :: v_dual_sub_nc_u32 v9, v5, v9
	s_delay_alu instid0(VALU_DEP_1) | instskip(NEXT) | instid1(VALU_DEP_2)
	v_lshrrev_b32_e32 v5, s25, v8
	v_mad_u32 v10, v9, s13, v24
	v_mad_u32 v4, v9, s12, v4
	;; [unrolled: 1-line block ×4, first 2 shown]
	v_mul_lo_u32 v8, v5, s23
	s_delay_alu instid0(VALU_DEP_1) | instskip(NEXT) | instid1(VALU_DEP_1)
	v_sub_nc_u32_e32 v7, v7, v8
	v_mad_u32 v24, v7, s17, v10
	v_mad_u32 v4, v7, s16, v4
	;; [unrolled: 1-line block ×4, first 2 shown]
	s_cbranch_scc1 .LBB151_2124
; %bb.2125:
	s_bitcmp1_b32 s7, 0
	s_cselect_b32 s7, -1, 0
	s_delay_alu instid0(SALU_CYCLE_1)
	s_and_b32 vcc_lo, exec_lo, s7
	s_cbranch_vccnz .LBB151_2128
; %bb.2126:
	s_load_b96 s[16:18], s[4:5], 0x4
	s_load_b128 s[12:15], s[0:1], 0xe4
	s_wait_kmcnt 0x0
	v_mul_hi_u32 v7, s17, v5
	s_delay_alu instid0(VALU_DEP_1) | instskip(NEXT) | instid1(VALU_DEP_1)
	v_add_nc_u32_e32 v7, v5, v7
	v_lshrrev_b32_e32 v7, s18, v7
	s_delay_alu instid0(VALU_DEP_1) | instskip(NEXT) | instid1(VALU_DEP_1)
	v_mul_lo_u32 v7, v7, s16
	v_sub_nc_u32_e32 v5, v5, v7
	s_delay_alu instid0(VALU_DEP_1)
	v_mad_u32 v4, v5, s12, v4
	v_mad_u32 v24, v5, s13, v24
	;; [unrolled: 1-line block ×4, first 2 shown]
	s_and_not1_b32 vcc_lo, exec_lo, s6
	s_cbranch_vccz .LBB151_2129
	s_branch .LBB151_2132
.LBB151_2127:
	s_mov_b32 s6, -1
                                        ; implicit-def: $vgpr24
                                        ; implicit-def: $vgpr4
                                        ; implicit-def: $vgpr20
                                        ; implicit-def: $vgpr22
.LBB151_2128:
	s_delay_alu instid0(SALU_CYCLE_1)
	s_and_not1_b32 vcc_lo, exec_lo, s6
	s_cbranch_vccnz .LBB151_2132
.LBB151_2129:
	s_clause 0x1
	s_load_b96 s[12:14], s[2:3], 0x4
	s_load_b128 s[4:7], s[2:3], 0xc4
	s_cmp_lt_u32 s33, 2
	s_wait_kmcnt 0x0
	v_mul_hi_u32 v4, s13, v2
	s_delay_alu instid0(VALU_DEP_1) | instskip(NEXT) | instid1(VALU_DEP_1)
	v_add_nc_u32_e32 v4, v2, v4
	v_lshrrev_b32_e32 v5, s14, v4
	s_delay_alu instid0(VALU_DEP_1) | instskip(NEXT) | instid1(VALU_DEP_1)
	v_mul_lo_u32 v4, v5, s12
	v_sub_nc_u32_e32 v2, v2, v4
	s_delay_alu instid0(VALU_DEP_1)
	v_mul_lo_u32 v24, v2, s5
	v_mul_lo_u32 v4, v2, s4
	;; [unrolled: 1-line block ×4, first 2 shown]
	s_cbranch_scc1 .LBB151_2132
; %bb.2130:
	s_clause 0x1
	s_load_b96 s[12:14], s[2:3], 0x10
	s_load_b128 s[4:7], s[2:3], 0xd4
	s_wait_kmcnt 0x0
	v_mul_hi_u32 v2, s13, v5
	s_delay_alu instid0(VALU_DEP_1) | instskip(NEXT) | instid1(VALU_DEP_1)
	v_add_nc_u32_e32 v2, v5, v2
	v_lshrrev_b32_e32 v2, s14, v2
	s_delay_alu instid0(VALU_DEP_1) | instskip(NEXT) | instid1(VALU_DEP_1)
	v_mul_lo_u32 v2, v2, s12
	v_sub_nc_u32_e32 v2, v5, v2
	s_delay_alu instid0(VALU_DEP_1)
	v_mad_u32 v4, v2, s4, v4
	v_mad_u32 v24, v2, s5, v24
	;; [unrolled: 1-line block ×4, first 2 shown]
	s_branch .LBB151_2132
.LBB151_2131:
	v_dual_mov_b32 v24, 0 :: v_dual_mov_b32 v4, 0
	v_dual_mov_b32 v20, 0 :: v_dual_mov_b32 v22, 0
	s_and_not1_b32 vcc_lo, exec_lo, s6
	s_cbranch_vccz .LBB151_2129
.LBB151_2132:
	v_cmp_ne_u32_e32 vcc_lo, 1, v3
	v_add_nc_u32_e32 v0, 0x100, v0
	s_cbranch_vccnz .LBB151_2138
; %bb.2133:
	s_cmp_lg_u32 s33, 0
	s_mov_b32 s6, 0
	s_cbranch_scc0 .LBB151_2142
; %bb.2134:
	s_min_u32 s7, s34, 15
	v_dual_mov_b32 v16, 0 :: v_dual_mov_b32 v5, v0
	v_dual_mov_b32 v14, 0 :: v_dual_mov_b32 v2, 0
	v_mov_b32_e32 v18, 0
	s_add_co_i32 s4, s7, 1
	s_mov_b64 s[0:1], 0xffffffffffffffe0
	s_and_b32 s8, s4, 30
	s_add_nc_u64 s[0:1], s[2:3], s[0:1]
	s_mov_b64 s[4:5], s[2:3]
.LBB151_2135:                           ; =>This Inner Loop Header: Depth=1
	s_clause 0x1
	s_load_b128 s[20:23], s[4:5], 0x4
	s_load_b64 s[24:25], s[4:5], 0x14
	s_load_b256 s[12:19], s[0:1], 0xe4
	s_add_co_i32 s8, s8, -2
	s_wait_xcnt 0x0
	s_add_nc_u64 s[4:5], s[4:5], 24
	s_cmp_lg_u32 s8, 0
	s_add_nc_u64 s[0:1], s[0:1], 32
	s_wait_kmcnt 0x0
	v_mul_hi_u32 v7, s21, v5
	s_delay_alu instid0(VALU_DEP_1) | instskip(NEXT) | instid1(VALU_DEP_1)
	v_add_nc_u32_e32 v7, v5, v7
	v_lshrrev_b32_e32 v7, s22, v7
	s_delay_alu instid0(VALU_DEP_1) | instskip(SKIP_1) | instid1(VALU_DEP_1)
	v_mul_hi_u32 v8, s24, v7
	v_mul_lo_u32 v9, v7, s20
	v_dual_add_nc_u32 v8, v7, v8 :: v_dual_sub_nc_u32 v9, v5, v9
	s_delay_alu instid0(VALU_DEP_1) | instskip(NEXT) | instid1(VALU_DEP_2)
	v_lshrrev_b32_e32 v5, s25, v8
	v_mad_u32 v10, v9, s13, v18
	v_mad_u32 v2, v9, s12, v2
	;; [unrolled: 1-line block ×4, first 2 shown]
	v_mul_lo_u32 v8, v5, s23
	s_delay_alu instid0(VALU_DEP_1) | instskip(NEXT) | instid1(VALU_DEP_1)
	v_sub_nc_u32_e32 v7, v7, v8
	v_mad_u32 v18, v7, s17, v10
	v_mad_u32 v2, v7, s16, v2
	;; [unrolled: 1-line block ×4, first 2 shown]
	s_cbranch_scc1 .LBB151_2135
; %bb.2136:
	s_bitcmp1_b32 s7, 0
	s_cselect_b32 s7, -1, 0
	s_delay_alu instid0(SALU_CYCLE_1)
	s_and_b32 vcc_lo, exec_lo, s7
	s_cbranch_vccnz .LBB151_2139
; %bb.2137:
	s_load_b96 s[16:18], s[4:5], 0x4
	s_load_b128 s[12:15], s[0:1], 0xe4
	s_wait_kmcnt 0x0
	v_mul_hi_u32 v7, s17, v5
	s_delay_alu instid0(VALU_DEP_1) | instskip(NEXT) | instid1(VALU_DEP_1)
	v_add_nc_u32_e32 v7, v5, v7
	v_lshrrev_b32_e32 v7, s18, v7
	s_delay_alu instid0(VALU_DEP_1) | instskip(NEXT) | instid1(VALU_DEP_1)
	v_mul_lo_u32 v7, v7, s16
	v_sub_nc_u32_e32 v5, v5, v7
	s_delay_alu instid0(VALU_DEP_1)
	v_mad_u32 v2, v5, s12, v2
	v_mad_u32 v18, v5, s13, v18
	;; [unrolled: 1-line block ×4, first 2 shown]
	s_and_not1_b32 vcc_lo, exec_lo, s6
	s_cbranch_vccz .LBB151_2140
	s_branch .LBB151_2143
.LBB151_2138:
	s_mov_b32 s6, -1
                                        ; implicit-def: $vgpr18
                                        ; implicit-def: $vgpr2
                                        ; implicit-def: $vgpr14
                                        ; implicit-def: $vgpr16
.LBB151_2139:
	s_delay_alu instid0(SALU_CYCLE_1)
	s_and_not1_b32 vcc_lo, exec_lo, s6
	s_cbranch_vccnz .LBB151_2143
.LBB151_2140:
	s_clause 0x1
	s_load_b96 s[12:14], s[2:3], 0x4
	s_load_b128 s[4:7], s[2:3], 0xc4
	s_cmp_lt_u32 s33, 2
	s_wait_kmcnt 0x0
	v_mul_hi_u32 v2, s13, v0
	s_delay_alu instid0(VALU_DEP_1) | instskip(NEXT) | instid1(VALU_DEP_1)
	v_add_nc_u32_e32 v2, v0, v2
	v_lshrrev_b32_e32 v5, s14, v2
	s_delay_alu instid0(VALU_DEP_1) | instskip(NEXT) | instid1(VALU_DEP_1)
	v_mul_lo_u32 v2, v5, s12
	v_sub_nc_u32_e32 v0, v0, v2
	s_delay_alu instid0(VALU_DEP_1)
	v_mul_lo_u32 v18, v0, s5
	v_mul_lo_u32 v2, v0, s4
	;; [unrolled: 1-line block ×4, first 2 shown]
	s_cbranch_scc1 .LBB151_2143
; %bb.2141:
	s_clause 0x1
	s_load_b96 s[12:14], s[2:3], 0x10
	s_load_b128 s[4:7], s[2:3], 0xd4
	s_wait_kmcnt 0x0
	v_mul_hi_u32 v0, s13, v5
	s_delay_alu instid0(VALU_DEP_1) | instskip(NEXT) | instid1(VALU_DEP_1)
	v_add_nc_u32_e32 v0, v5, v0
	v_lshrrev_b32_e32 v0, s14, v0
	s_delay_alu instid0(VALU_DEP_1) | instskip(NEXT) | instid1(VALU_DEP_1)
	v_mul_lo_u32 v0, v0, s12
	v_sub_nc_u32_e32 v0, v5, v0
	s_delay_alu instid0(VALU_DEP_1)
	v_mad_u32 v2, v0, s4, v2
	v_mad_u32 v18, v0, s5, v18
	;; [unrolled: 1-line block ×4, first 2 shown]
	s_branch .LBB151_2143
.LBB151_2142:
	v_dual_mov_b32 v18, 0 :: v_dual_mov_b32 v2, 0
	v_dual_mov_b32 v14, 0 :: v_dual_mov_b32 v16, 0
	s_and_not1_b32 vcc_lo, exec_lo, s6
	s_cbranch_vccz .LBB151_2140
.LBB151_2143:
	v_cmp_ne_u32_e32 vcc_lo, 1, v3
	s_cbranch_vccnz .LBB151_2149
; %bb.2144:
	s_cmp_lg_u32 s33, 0
	s_mov_b32 s6, 0
	s_cbranch_scc0 .LBB151_2153
; %bb.2145:
	s_min_u32 s7, s34, 15
	v_dual_mov_b32 v10, 0 :: v_dual_mov_b32 v3, v1
	v_dual_mov_b32 v8, 0 :: v_dual_mov_b32 v0, 0
	v_mov_b32_e32 v12, 0
	s_add_co_i32 s4, s7, 1
	s_mov_b64 s[0:1], 0xffffffffffffffe0
	s_and_b32 s8, s4, 30
	s_add_nc_u64 s[0:1], s[2:3], s[0:1]
	s_mov_b64 s[4:5], s[2:3]
.LBB151_2146:                           ; =>This Inner Loop Header: Depth=1
	s_clause 0x1
	s_load_b128 s[20:23], s[4:5], 0x4
	s_load_b64 s[24:25], s[4:5], 0x14
	s_load_b256 s[12:19], s[0:1], 0xe4
	s_add_co_i32 s8, s8, -2
	s_wait_xcnt 0x0
	s_add_nc_u64 s[4:5], s[4:5], 24
	s_cmp_lg_u32 s8, 0
	s_add_nc_u64 s[0:1], s[0:1], 32
	s_wait_kmcnt 0x0
	v_mul_hi_u32 v5, s21, v3
	s_delay_alu instid0(VALU_DEP_1) | instskip(NEXT) | instid1(VALU_DEP_1)
	v_add_nc_u32_e32 v5, v3, v5
	v_lshrrev_b32_e32 v5, s22, v5
	s_delay_alu instid0(VALU_DEP_1) | instskip(SKIP_1) | instid1(VALU_DEP_1)
	v_mul_hi_u32 v7, s24, v5
	v_mul_lo_u32 v9, v5, s20
	v_dual_add_nc_u32 v7, v5, v7 :: v_dual_sub_nc_u32 v9, v3, v9
	s_delay_alu instid0(VALU_DEP_1) | instskip(NEXT) | instid1(VALU_DEP_2)
	v_lshrrev_b32_e32 v3, s25, v7
	v_mad_u32 v11, v9, s13, v12
	v_mad_u32 v0, v9, s12, v0
	;; [unrolled: 1-line block ×4, first 2 shown]
	v_mul_lo_u32 v7, v3, s23
	s_delay_alu instid0(VALU_DEP_1) | instskip(NEXT) | instid1(VALU_DEP_1)
	v_sub_nc_u32_e32 v5, v5, v7
	v_mad_u32 v12, v5, s17, v11
	v_mad_u32 v0, v5, s16, v0
	;; [unrolled: 1-line block ×4, first 2 shown]
	s_cbranch_scc1 .LBB151_2146
; %bb.2147:
	s_bitcmp1_b32 s7, 0
	s_cselect_b32 s7, -1, 0
	s_delay_alu instid0(SALU_CYCLE_1)
	s_and_b32 vcc_lo, exec_lo, s7
	s_cbranch_vccnz .LBB151_2150
; %bb.2148:
	s_load_b96 s[16:18], s[4:5], 0x4
	s_load_b128 s[12:15], s[0:1], 0xe4
	s_wait_kmcnt 0x0
	v_mul_hi_u32 v5, s17, v3
	s_delay_alu instid0(VALU_DEP_1) | instskip(NEXT) | instid1(VALU_DEP_1)
	v_add_nc_u32_e32 v5, v3, v5
	v_lshrrev_b32_e32 v5, s18, v5
	s_delay_alu instid0(VALU_DEP_1) | instskip(NEXT) | instid1(VALU_DEP_1)
	v_mul_lo_u32 v5, v5, s16
	v_sub_nc_u32_e32 v3, v3, v5
	s_delay_alu instid0(VALU_DEP_1)
	v_mad_u32 v0, v3, s12, v0
	v_mad_u32 v12, v3, s13, v12
	;; [unrolled: 1-line block ×4, first 2 shown]
	s_and_not1_b32 vcc_lo, exec_lo, s6
	s_cbranch_vccz .LBB151_2151
	s_branch .LBB151_2154
.LBB151_2149:
	s_mov_b32 s6, -1
                                        ; implicit-def: $vgpr12
                                        ; implicit-def: $vgpr0
                                        ; implicit-def: $vgpr8
                                        ; implicit-def: $vgpr10
.LBB151_2150:
	s_delay_alu instid0(SALU_CYCLE_1)
	s_and_not1_b32 vcc_lo, exec_lo, s6
	s_cbranch_vccnz .LBB151_2154
.LBB151_2151:
	s_clause 0x1
	s_load_b96 s[12:14], s[2:3], 0x4
	s_load_b128 s[4:7], s[2:3], 0xc4
	s_cmp_lt_u32 s33, 2
	s_wait_kmcnt 0x0
	v_mul_hi_u32 v0, s13, v1
	s_delay_alu instid0(VALU_DEP_1) | instskip(NEXT) | instid1(VALU_DEP_1)
	v_add_nc_u32_e32 v0, v1, v0
	v_lshrrev_b32_e32 v3, s14, v0
	s_delay_alu instid0(VALU_DEP_1) | instskip(NEXT) | instid1(VALU_DEP_1)
	v_mul_lo_u32 v0, v3, s12
	v_sub_nc_u32_e32 v1, v1, v0
	s_delay_alu instid0(VALU_DEP_1)
	v_mul_lo_u32 v12, v1, s5
	v_mul_lo_u32 v0, v1, s4
	;; [unrolled: 1-line block ×4, first 2 shown]
	s_cbranch_scc1 .LBB151_2154
; %bb.2152:
	s_clause 0x1
	s_load_b96 s[12:14], s[2:3], 0x10
	s_load_b128 s[4:7], s[2:3], 0xd4
	s_wait_kmcnt 0x0
	v_mul_hi_u32 v1, s13, v3
	s_delay_alu instid0(VALU_DEP_1) | instskip(NEXT) | instid1(VALU_DEP_1)
	v_add_nc_u32_e32 v1, v3, v1
	v_lshrrev_b32_e32 v1, s14, v1
	s_delay_alu instid0(VALU_DEP_1) | instskip(NEXT) | instid1(VALU_DEP_1)
	v_mul_lo_u32 v1, v1, s12
	v_sub_nc_u32_e32 v1, v3, v1
	s_delay_alu instid0(VALU_DEP_1)
	v_mad_u32 v0, v1, s4, v0
	v_mad_u32 v12, v1, s5, v12
	;; [unrolled: 1-line block ×4, first 2 shown]
	s_branch .LBB151_2154
.LBB151_2153:
	v_dual_mov_b32 v12, 0 :: v_dual_mov_b32 v0, 0
	v_dual_mov_b32 v8, 0 :: v_dual_mov_b32 v10, 0
	s_and_not1_b32 vcc_lo, exec_lo, s6
	s_cbranch_vccz .LBB151_2151
.LBB151_2154:
	v_mov_b32_e32 v31, 0
	s_load_b128 s[4:7], s[2:3], 0x1c8
	global_load_u8 v1, v31, s[2:3] offset:490
	s_wait_kmcnt 0x0
	v_add_nc_u64_e32 v[30:31], s[6:7], v[30:31]
	s_wait_loadcnt 0x0
	v_and_b32_e32 v3, 0xffff, v1
	v_readfirstlane_b32 s13, v1
	s_delay_alu instid0(VALU_DEP_2)
	v_cmp_gt_i32_e32 vcc_lo, 11, v3
	s_cbranch_vccnz .LBB151_2161
; %bb.2155:
	s_and_b32 s0, 0xffff, s13
	s_mov_b32 s8, 0
	s_cmp_gt_i32 s0, 25
	s_cbranch_scc0 .LBB151_2163
; %bb.2156:
	s_cmp_gt_i32 s0, 28
	s_cbranch_scc0 .LBB151_2164
; %bb.2157:
	;; [unrolled: 3-line block ×4, first 2 shown]
	s_cmp_eq_u32 s0, 46
	s_mov_b32 s12, 0
	s_cbranch_scc0 .LBB151_2169
; %bb.2160:
	global_load_b32 v1, v[30:31], off
	s_mov_b32 s1, 0
	s_mov_b32 s9, -1
	s_wait_loadcnt 0x0
	v_lshlrev_b32_e32 v1, 16, v1
	s_branch .LBB151_2171
.LBB151_2161:
	s_mov_b32 s9, 0
	s_mov_b32 s12, s10
                                        ; implicit-def: $vgpr1
	s_cbranch_execnz .LBB151_2234
.LBB151_2162:
	s_and_not1_b32 vcc_lo, exec_lo, s9
	s_cbranch_vccz .LBB151_2279
	s_branch .LBB151_4155
.LBB151_2163:
	s_mov_b32 s9, 0
	s_mov_b32 s1, 0
                                        ; implicit-def: $vgpr1
	s_cbranch_execnz .LBB151_2199
	s_branch .LBB151_2230
.LBB151_2164:
	s_mov_b32 s12, -1
	s_mov_b32 s9, 0
	s_mov_b32 s1, 0
                                        ; implicit-def: $vgpr1
	s_branch .LBB151_2180
.LBB151_2165:
	s_mov_b32 s9, 0
	s_mov_b32 s1, 0
                                        ; implicit-def: $vgpr1
	s_cbranch_execnz .LBB151_2176
	s_branch .LBB151_2179
.LBB151_2166:
	s_mov_b32 s12, -1
	s_mov_b32 s9, 0
	s_mov_b32 s1, 0
	s_branch .LBB151_2170
.LBB151_2167:
	s_and_not1_saveexec_b32 s9, s9
	s_cbranch_execz .LBB151_2022
.LBB151_2168:
	v_add_f32_e64 v2, 0x46000000, |v4|
	s_and_not1_b32 s8, s8, exec_lo
	s_delay_alu instid0(VALU_DEP_1) | instskip(NEXT) | instid1(VALU_DEP_1)
	v_and_b32_e32 v2, 0xff, v2
	v_cmp_ne_u32_e32 vcc_lo, 0, v2
	s_and_b32 s10, vcc_lo, exec_lo
	s_delay_alu instid0(SALU_CYCLE_1)
	s_or_b32 s8, s8, s10
	s_or_b32 exec_lo, exec_lo, s9
	v_mov_b32_e32 v3, 0
	s_and_saveexec_b32 s9, s8
	s_cbranch_execnz .LBB151_2023
	s_branch .LBB151_2024
.LBB151_2169:
	s_mov_b32 s1, -1
	s_mov_b32 s9, 0
.LBB151_2170:
                                        ; implicit-def: $vgpr1
.LBB151_2171:
	s_and_b32 vcc_lo, exec_lo, s12
	s_cbranch_vccz .LBB151_2174
; %bb.2172:
	s_cmp_eq_u32 s0, 44
	s_cbranch_scc0 .LBB151_2175
; %bb.2173:
	global_load_u8 v1, v[30:31], off
	s_mov_b32 s1, 0
	s_mov_b32 s9, -1
	s_wait_loadcnt 0x0
	v_lshlrev_b32_e32 v3, 23, v1
	v_cmp_ne_u32_e32 vcc_lo, 0xff, v1
	s_delay_alu instid0(VALU_DEP_2) | instskip(SKIP_1) | instid1(VALU_DEP_2)
	v_cndmask_b32_e32 v3, 0x7f800001, v3, vcc_lo
	v_cmp_ne_u32_e32 vcc_lo, 0, v1
	v_cndmask_b32_e32 v1, 0x400000, v3, vcc_lo
.LBB151_2174:
	s_branch .LBB151_2179
.LBB151_2175:
	s_mov_b32 s1, -1
                                        ; implicit-def: $vgpr1
	s_branch .LBB151_2179
.LBB151_2176:
	s_cmp_eq_u32 s0, 29
	s_cbranch_scc0 .LBB151_2178
; %bb.2177:
	global_load_b64 v[32:33], v[30:31], off
	s_mov_b32 s1, 0
	s_mov_b32 s9, -1
	s_mov_b32 s12, 0
	s_wait_loadcnt 0x0
	v_clz_i32_u32_e32 v1, v33
	s_delay_alu instid0(VALU_DEP_1) | instskip(NEXT) | instid1(VALU_DEP_1)
	v_min_u32_e32 v1, 32, v1
	v_lshlrev_b64_e32 v[32:33], v1, v[32:33]
	v_sub_nc_u32_e32 v1, 32, v1
	s_delay_alu instid0(VALU_DEP_2) | instskip(NEXT) | instid1(VALU_DEP_1)
	v_min_u32_e32 v3, 1, v32
	v_or_b32_e32 v3, v33, v3
	s_delay_alu instid0(VALU_DEP_1) | instskip(NEXT) | instid1(VALU_DEP_1)
	v_cvt_f32_u32_e32 v3, v3
	v_ldexp_f32 v1, v3, v1
	s_branch .LBB151_2180
.LBB151_2178:
	s_mov_b32 s1, -1
                                        ; implicit-def: $vgpr1
.LBB151_2179:
	s_mov_b32 s12, 0
.LBB151_2180:
	s_delay_alu instid0(SALU_CYCLE_1)
	s_and_b32 vcc_lo, exec_lo, s12
	s_cbranch_vccz .LBB151_2198
; %bb.2181:
	s_cmp_lt_i32 s0, 27
	s_cbranch_scc1 .LBB151_2184
; %bb.2182:
	s_cmp_gt_i32 s0, 27
	s_cbranch_scc0 .LBB151_2185
; %bb.2183:
	global_load_b32 v1, v[30:31], off
	s_mov_b32 s9, 0
	s_wait_loadcnt 0x0
	v_cvt_f32_u32_e32 v1, v1
	s_branch .LBB151_2186
.LBB151_2184:
	s_mov_b32 s9, -1
                                        ; implicit-def: $vgpr1
	s_branch .LBB151_2189
.LBB151_2185:
	s_mov_b32 s9, -1
                                        ; implicit-def: $vgpr1
.LBB151_2186:
	s_delay_alu instid0(SALU_CYCLE_1)
	s_and_not1_b32 vcc_lo, exec_lo, s9
	s_cbranch_vccnz .LBB151_2188
; %bb.2187:
	global_load_u16 v1, v[30:31], off
	s_wait_loadcnt 0x0
	v_cvt_f32_u32_e32 v1, v1
.LBB151_2188:
	s_mov_b32 s9, 0
.LBB151_2189:
	s_delay_alu instid0(SALU_CYCLE_1)
	s_and_not1_b32 vcc_lo, exec_lo, s9
	s_cbranch_vccnz .LBB151_2197
; %bb.2190:
	global_load_u8 v3, v[30:31], off
	s_mov_b32 s9, 0
	s_mov_b32 s12, exec_lo
	s_wait_loadcnt 0x0
	v_cmpx_lt_i16_e32 0x7f, v3
	s_xor_b32 s12, exec_lo, s12
	s_cbranch_execz .LBB151_2210
; %bb.2191:
	s_mov_b32 s9, -1
	s_mov_b32 s14, exec_lo
	v_cmpx_eq_u16_e32 0x80, v3
; %bb.2192:
	s_xor_b32 s9, exec_lo, -1
; %bb.2193:
	s_or_b32 exec_lo, exec_lo, s14
	s_delay_alu instid0(SALU_CYCLE_1)
	s_and_b32 s9, s9, exec_lo
	s_or_saveexec_b32 s12, s12
	v_mov_b32_e32 v1, 0x7f800001
	s_xor_b32 exec_lo, exec_lo, s12
	s_cbranch_execnz .LBB151_2211
.LBB151_2194:
	s_or_b32 exec_lo, exec_lo, s12
	s_and_saveexec_b32 s12, s9
	s_cbranch_execz .LBB151_2196
.LBB151_2195:
	v_and_b32_e32 v1, 0xffff, v3
	s_delay_alu instid0(VALU_DEP_1) | instskip(SKIP_1) | instid1(VALU_DEP_2)
	v_and_b32_e32 v5, 7, v1
	v_bfe_u32 v11, v1, 3, 4
	v_clz_i32_u32_e32 v7, v5
	s_delay_alu instid0(VALU_DEP_2) | instskip(NEXT) | instid1(VALU_DEP_2)
	v_cmp_eq_u32_e32 vcc_lo, 0, v11
	v_min_u32_e32 v7, 32, v7
	s_delay_alu instid0(VALU_DEP_1) | instskip(NEXT) | instid1(VALU_DEP_1)
	v_subrev_nc_u32_e32 v9, 28, v7
	v_dual_lshlrev_b32 v1, v9, v1 :: v_dual_sub_nc_u32 v7, 29, v7
	s_delay_alu instid0(VALU_DEP_1) | instskip(NEXT) | instid1(VALU_DEP_1)
	v_dual_lshlrev_b32 v3, 24, v3 :: v_dual_bitop2_b32 v1, 7, v1 bitop3:0x40
	v_dual_cndmask_b32 v1, v5, v1, vcc_lo :: v_dual_cndmask_b32 v7, v11, v7, vcc_lo
	s_delay_alu instid0(VALU_DEP_2) | instskip(NEXT) | instid1(VALU_DEP_2)
	v_and_b32_e32 v3, 0x80000000, v3
	v_lshlrev_b32_e32 v1, 20, v1
	s_delay_alu instid0(VALU_DEP_3) | instskip(NEXT) | instid1(VALU_DEP_1)
	v_lshl_add_u32 v5, v7, 23, 0x3b800000
	v_or3_b32 v1, v3, v5, v1
.LBB151_2196:
	s_or_b32 exec_lo, exec_lo, s12
.LBB151_2197:
	s_mov_b32 s9, -1
.LBB151_2198:
	s_branch .LBB151_2230
.LBB151_2199:
	s_cmp_gt_i32 s0, 22
	s_cbranch_scc0 .LBB151_2209
; %bb.2200:
	s_cmp_lt_i32 s0, 24
	s_cbranch_scc1 .LBB151_2212
; %bb.2201:
	s_cmp_gt_i32 s0, 24
	s_cbranch_scc0 .LBB151_2213
; %bb.2202:
	global_load_u8 v3, v[30:31], off
	s_mov_b32 s9, exec_lo
	s_wait_loadcnt 0x0
	v_cmpx_lt_i16_e32 0x7f, v3
	s_xor_b32 s9, exec_lo, s9
	s_cbranch_execz .LBB151_2224
; %bb.2203:
	s_mov_b32 s8, -1
	s_mov_b32 s12, exec_lo
	v_cmpx_eq_u16_e32 0x80, v3
; %bb.2204:
	s_xor_b32 s8, exec_lo, -1
; %bb.2205:
	s_or_b32 exec_lo, exec_lo, s12
	s_delay_alu instid0(SALU_CYCLE_1)
	s_and_b32 s8, s8, exec_lo
	s_or_saveexec_b32 s9, s9
	v_mov_b32_e32 v1, 0x7f800001
	s_xor_b32 exec_lo, exec_lo, s9
	s_cbranch_execnz .LBB151_2225
.LBB151_2206:
	s_or_b32 exec_lo, exec_lo, s9
	s_and_saveexec_b32 s9, s8
	s_cbranch_execz .LBB151_2208
.LBB151_2207:
	v_and_b32_e32 v1, 0xffff, v3
	s_delay_alu instid0(VALU_DEP_1) | instskip(SKIP_1) | instid1(VALU_DEP_2)
	v_and_b32_e32 v5, 3, v1
	v_bfe_u32 v11, v1, 2, 5
	v_clz_i32_u32_e32 v7, v5
	s_delay_alu instid0(VALU_DEP_2) | instskip(NEXT) | instid1(VALU_DEP_2)
	v_cmp_eq_u32_e32 vcc_lo, 0, v11
	v_min_u32_e32 v7, 32, v7
	s_delay_alu instid0(VALU_DEP_1) | instskip(NEXT) | instid1(VALU_DEP_1)
	v_subrev_nc_u32_e32 v9, 29, v7
	v_dual_lshlrev_b32 v1, v9, v1 :: v_dual_sub_nc_u32 v7, 30, v7
	s_delay_alu instid0(VALU_DEP_1) | instskip(NEXT) | instid1(VALU_DEP_1)
	v_dual_lshlrev_b32 v3, 24, v3 :: v_dual_bitop2_b32 v1, 3, v1 bitop3:0x40
	v_dual_cndmask_b32 v1, v5, v1, vcc_lo :: v_dual_cndmask_b32 v7, v11, v7, vcc_lo
	s_delay_alu instid0(VALU_DEP_2) | instskip(NEXT) | instid1(VALU_DEP_2)
	v_and_b32_e32 v3, 0x80000000, v3
	v_lshlrev_b32_e32 v1, 21, v1
	s_delay_alu instid0(VALU_DEP_3) | instskip(NEXT) | instid1(VALU_DEP_1)
	v_lshl_add_u32 v5, v7, 23, 0x37800000
	v_or3_b32 v1, v3, v5, v1
.LBB151_2208:
	s_or_b32 exec_lo, exec_lo, s9
	s_mov_b32 s8, 0
	s_branch .LBB151_2214
.LBB151_2209:
                                        ; implicit-def: $vgpr1
	s_mov_b32 s8, 0
	s_branch .LBB151_2220
.LBB151_2210:
	s_or_saveexec_b32 s12, s12
	v_mov_b32_e32 v1, 0x7f800001
	s_xor_b32 exec_lo, exec_lo, s12
	s_cbranch_execz .LBB151_2194
.LBB151_2211:
	v_cmp_ne_u16_e32 vcc_lo, 0, v3
	v_mov_b32_e32 v1, 0
	s_and_not1_b32 s9, s9, exec_lo
	s_and_b32 s14, vcc_lo, exec_lo
	s_delay_alu instid0(SALU_CYCLE_1)
	s_or_b32 s9, s9, s14
	s_or_b32 exec_lo, exec_lo, s12
	s_and_saveexec_b32 s12, s9
	s_cbranch_execnz .LBB151_2195
	s_branch .LBB151_2196
.LBB151_2212:
	s_mov_b32 s8, -1
                                        ; implicit-def: $vgpr1
	s_branch .LBB151_2217
.LBB151_2213:
	s_mov_b32 s8, -1
                                        ; implicit-def: $vgpr1
.LBB151_2214:
	s_delay_alu instid0(SALU_CYCLE_1)
	s_and_b32 vcc_lo, exec_lo, s8
	s_cbranch_vccz .LBB151_2216
; %bb.2215:
	global_load_u8 v1, v[30:31], off
	s_wait_loadcnt 0x0
	v_lshlrev_b32_e32 v1, 24, v1
	s_delay_alu instid0(VALU_DEP_1) | instskip(NEXT) | instid1(VALU_DEP_1)
	v_and_b32_e32 v3, 0x7f000000, v1
	v_clz_i32_u32_e32 v5, v3
	v_add_nc_u32_e32 v9, 0x1000000, v3
	v_cmp_ne_u32_e32 vcc_lo, 0, v3
	s_delay_alu instid0(VALU_DEP_3) | instskip(NEXT) | instid1(VALU_DEP_1)
	v_min_u32_e32 v5, 32, v5
	v_sub_nc_u32_e64 v5, v5, 4 clamp
	s_delay_alu instid0(VALU_DEP_1) | instskip(NEXT) | instid1(VALU_DEP_1)
	v_dual_lshlrev_b32 v7, v5, v3 :: v_dual_lshlrev_b32 v5, 23, v5
	v_lshrrev_b32_e32 v7, 4, v7
	s_delay_alu instid0(VALU_DEP_1) | instskip(SKIP_1) | instid1(VALU_DEP_2)
	v_sub_nc_u32_e32 v5, v7, v5
	v_ashrrev_i32_e32 v7, 8, v9
	v_add_nc_u32_e32 v5, 0x3c000000, v5
	s_delay_alu instid0(VALU_DEP_1) | instskip(NEXT) | instid1(VALU_DEP_1)
	v_and_or_b32 v5, 0x7f800000, v7, v5
	v_cndmask_b32_e32 v3, 0, v5, vcc_lo
	s_delay_alu instid0(VALU_DEP_1)
	v_and_or_b32 v1, 0x80000000, v1, v3
.LBB151_2216:
	s_mov_b32 s8, 0
.LBB151_2217:
	s_delay_alu instid0(SALU_CYCLE_1)
	s_and_not1_b32 vcc_lo, exec_lo, s8
	s_cbranch_vccnz .LBB151_2219
; %bb.2218:
	global_load_u8 v1, v[30:31], off
	s_wait_loadcnt 0x0
	v_lshlrev_b32_e32 v3, 25, v1
	v_lshlrev_b16 v1, 8, v1
	s_delay_alu instid0(VALU_DEP_1) | instskip(SKIP_1) | instid1(VALU_DEP_2)
	v_and_or_b32 v7, 0x7f00, v1, 0.5
	v_bfe_i32 v1, v1, 0, 16
	v_add_f32_e32 v7, -0.5, v7
	v_lshrrev_b32_e32 v5, 4, v3
	v_cmp_gt_u32_e32 vcc_lo, 0x8000000, v3
	s_delay_alu instid0(VALU_DEP_2) | instskip(NEXT) | instid1(VALU_DEP_1)
	v_or_b32_e32 v5, 0x70000000, v5
	v_mul_f32_e32 v5, 0x7800000, v5
	s_delay_alu instid0(VALU_DEP_1) | instskip(NEXT) | instid1(VALU_DEP_1)
	v_cndmask_b32_e32 v3, v5, v7, vcc_lo
	v_and_or_b32 v1, 0x80000000, v1, v3
.LBB151_2219:
	s_mov_b32 s9, -1
	s_mov_b32 s8, 0
	s_cbranch_execnz .LBB151_2230
.LBB151_2220:
	s_cmp_gt_i32 s0, 14
	s_cbranch_scc0 .LBB151_2223
; %bb.2221:
	s_cmp_eq_u32 s0, 15
	s_cbranch_scc0 .LBB151_2226
; %bb.2222:
	global_load_u16 v1, v[30:31], off
	s_mov_b32 s1, 0
	s_mov_b32 s9, -1
	s_wait_loadcnt 0x0
	v_lshlrev_b32_e32 v1, 16, v1
	s_branch .LBB151_2228
.LBB151_2223:
	s_mov_b32 s8, -1
	s_branch .LBB151_2227
.LBB151_2224:
	s_or_saveexec_b32 s9, s9
	v_mov_b32_e32 v1, 0x7f800001
	s_xor_b32 exec_lo, exec_lo, s9
	s_cbranch_execz .LBB151_2206
.LBB151_2225:
	v_cmp_ne_u16_e32 vcc_lo, 0, v3
	v_mov_b32_e32 v1, 0
	s_and_not1_b32 s8, s8, exec_lo
	s_and_b32 s12, vcc_lo, exec_lo
	s_delay_alu instid0(SALU_CYCLE_1)
	s_or_b32 s8, s8, s12
	s_or_b32 exec_lo, exec_lo, s9
	s_and_saveexec_b32 s9, s8
	s_cbranch_execnz .LBB151_2207
	s_branch .LBB151_2208
.LBB151_2226:
	s_mov_b32 s1, -1
.LBB151_2227:
                                        ; implicit-def: $vgpr1
.LBB151_2228:
	s_and_b32 vcc_lo, exec_lo, s8
	s_mov_b32 s8, 0
	s_cbranch_vccz .LBB151_2230
; %bb.2229:
	s_cmp_lg_u32 s0, 11
	s_mov_b32 s8, -1
	s_cselect_b32 s1, -1, 0
.LBB151_2230:
	s_delay_alu instid0(SALU_CYCLE_1)
	s_and_b32 vcc_lo, exec_lo, s1
	s_mov_b32 s12, s10
	s_cbranch_vccnz .LBB151_2291
; %bb.2231:
	s_and_not1_b32 vcc_lo, exec_lo, s8
	s_cbranch_vccnz .LBB151_2233
.LBB151_2232:
	global_load_u8 v1, v[30:31], off
	s_mov_b32 s9, -1
	s_wait_loadcnt 0x0
	v_cmp_ne_u16_e32 vcc_lo, 0, v1
	v_cndmask_b32_e64 v1, 0, 1.0, vcc_lo
.LBB151_2233:
	s_branch .LBB151_2162
.LBB151_2234:
	s_and_b32 s0, 0xffff, s13
	s_delay_alu instid0(SALU_CYCLE_1)
	s_cmp_lt_i32 s0, 5
	s_cbranch_scc1 .LBB151_2239
; %bb.2235:
	s_cmp_lt_i32 s0, 8
	s_cbranch_scc1 .LBB151_2240
; %bb.2236:
	;; [unrolled: 3-line block ×3, first 2 shown]
	s_cmp_gt_i32 s0, 9
	s_cbranch_scc0 .LBB151_2242
; %bb.2238:
	global_load_b64 v[32:33], v[30:31], off
	s_mov_b32 s1, 0
	s_wait_loadcnt 0x0
	v_cvt_f32_f64_e32 v1, v[32:33]
	s_branch .LBB151_2243
.LBB151_2239:
                                        ; implicit-def: $vgpr1
	s_branch .LBB151_2260
.LBB151_2240:
                                        ; implicit-def: $vgpr1
	s_branch .LBB151_2249
.LBB151_2241:
	s_mov_b32 s1, -1
                                        ; implicit-def: $vgpr1
	s_branch .LBB151_2246
.LBB151_2242:
	s_mov_b32 s1, -1
                                        ; implicit-def: $vgpr1
.LBB151_2243:
	s_delay_alu instid0(SALU_CYCLE_1)
	s_and_not1_b32 vcc_lo, exec_lo, s1
	s_cbranch_vccnz .LBB151_2245
; %bb.2244:
	global_load_b32 v1, v[30:31], off
.LBB151_2245:
	s_mov_b32 s1, 0
.LBB151_2246:
	s_delay_alu instid0(SALU_CYCLE_1)
	s_and_not1_b32 vcc_lo, exec_lo, s1
	s_cbranch_vccnz .LBB151_2248
; %bb.2247:
	s_wait_loadcnt 0x0
	global_load_b32 v1, v[30:31], off
	s_wait_loadcnt 0x0
	v_cvt_f32_f16_e32 v1, v1
.LBB151_2248:
	s_cbranch_execnz .LBB151_2259
.LBB151_2249:
	s_cmp_lt_i32 s0, 6
	s_cbranch_scc1 .LBB151_2252
; %bb.2250:
	s_cmp_gt_i32 s0, 6
	s_cbranch_scc0 .LBB151_2253
; %bb.2251:
	global_load_b64 v[32:33], v[30:31], off
	s_mov_b32 s1, 0
	s_wait_loadcnt 0x0
	v_cvt_f32_f64_e32 v1, v[32:33]
	s_branch .LBB151_2254
.LBB151_2252:
	s_mov_b32 s1, -1
                                        ; implicit-def: $vgpr1
	s_branch .LBB151_2257
.LBB151_2253:
	s_mov_b32 s1, -1
                                        ; implicit-def: $vgpr1
.LBB151_2254:
	s_delay_alu instid0(SALU_CYCLE_1)
	s_and_not1_b32 vcc_lo, exec_lo, s1
	s_cbranch_vccnz .LBB151_2256
; %bb.2255:
	s_wait_loadcnt 0x0
	global_load_b32 v1, v[30:31], off
.LBB151_2256:
	s_mov_b32 s1, 0
.LBB151_2257:
	s_delay_alu instid0(SALU_CYCLE_1)
	s_and_not1_b32 vcc_lo, exec_lo, s1
	s_cbranch_vccnz .LBB151_2259
; %bb.2258:
	s_wait_loadcnt 0x0
	global_load_u16 v1, v[30:31], off
	s_wait_loadcnt 0x0
	v_cvt_f32_f16_e32 v1, v1
.LBB151_2259:
	s_cbranch_execnz .LBB151_2278
.LBB151_2260:
	s_cmp_lt_i32 s0, 2
	s_cbranch_scc1 .LBB151_2264
; %bb.2261:
	s_cmp_lt_i32 s0, 3
	s_cbranch_scc1 .LBB151_2265
; %bb.2262:
	s_cmp_gt_i32 s0, 3
	s_cbranch_scc0 .LBB151_2266
; %bb.2263:
	global_load_b64 v[32:33], v[30:31], off
	s_mov_b32 s1, 0
	s_wait_loadcnt 0x0
	v_xor_b32_e32 v1, v32, v33
	v_cls_i32_e32 v3, v33
	s_delay_alu instid0(VALU_DEP_2) | instskip(NEXT) | instid1(VALU_DEP_1)
	v_ashrrev_i32_e32 v1, 31, v1
	v_add_nc_u32_e32 v1, 32, v1
	s_delay_alu instid0(VALU_DEP_1) | instskip(NEXT) | instid1(VALU_DEP_1)
	v_add_min_u32_e64 v1, v3, -1, v1
	v_lshlrev_b64_e32 v[32:33], v1, v[32:33]
	v_sub_nc_u32_e32 v1, 32, v1
	s_delay_alu instid0(VALU_DEP_2) | instskip(NEXT) | instid1(VALU_DEP_1)
	v_min_u32_e32 v3, 1, v32
	v_or_b32_e32 v3, v33, v3
	s_delay_alu instid0(VALU_DEP_1) | instskip(NEXT) | instid1(VALU_DEP_1)
	v_cvt_f32_i32_e32 v3, v3
	v_ldexp_f32 v1, v3, v1
	s_branch .LBB151_2267
.LBB151_2264:
                                        ; implicit-def: $vgpr1
	s_branch .LBB151_2273
.LBB151_2265:
	s_mov_b32 s1, -1
                                        ; implicit-def: $vgpr1
	s_branch .LBB151_2270
.LBB151_2266:
	s_mov_b32 s1, -1
                                        ; implicit-def: $vgpr1
.LBB151_2267:
	s_delay_alu instid0(SALU_CYCLE_1)
	s_and_not1_b32 vcc_lo, exec_lo, s1
	s_cbranch_vccnz .LBB151_2269
; %bb.2268:
	s_wait_loadcnt 0x0
	global_load_b32 v1, v[30:31], off
	s_wait_loadcnt 0x0
	v_cvt_f32_i32_e32 v1, v1
.LBB151_2269:
	s_mov_b32 s1, 0
.LBB151_2270:
	s_delay_alu instid0(SALU_CYCLE_1)
	s_and_not1_b32 vcc_lo, exec_lo, s1
	s_cbranch_vccnz .LBB151_2272
; %bb.2271:
	s_wait_loadcnt 0x0
	global_load_i16 v1, v[30:31], off
	s_wait_loadcnt 0x0
	v_cvt_f32_i32_e32 v1, v1
.LBB151_2272:
	s_cbranch_execnz .LBB151_2278
.LBB151_2273:
	s_cmp_gt_i32 s0, 0
	s_mov_b32 s0, 0
	s_cbranch_scc0 .LBB151_2275
; %bb.2274:
	s_wait_loadcnt 0x0
	global_load_i8 v1, v[30:31], off
	s_wait_loadcnt 0x0
	v_cvt_f32_i32_e32 v1, v1
	s_branch .LBB151_2276
.LBB151_2275:
	s_mov_b32 s0, -1
                                        ; implicit-def: $vgpr1
.LBB151_2276:
	s_delay_alu instid0(SALU_CYCLE_1)
	s_and_not1_b32 vcc_lo, exec_lo, s0
	s_cbranch_vccnz .LBB151_2278
; %bb.2277:
	s_wait_loadcnt 0x0
	global_load_u8 v1, v[30:31], off
	s_wait_loadcnt 0x0
	v_cvt_f32_ubyte0_e32 v1, v1
.LBB151_2278:
.LBB151_2279:
	v_mov_b32_e32 v29, 0
	s_load_b64 s[0:1], s[2:3], 0x1d8
	global_load_u8 v3, v29, s[2:3] offset:491
	s_wait_kmcnt 0x0
	v_add_nc_u64_e32 v[28:29], s[0:1], v[28:29]
	s_wait_loadcnt 0x0
	v_and_b32_e32 v5, 0xffff, v3
	v_readfirstlane_b32 s14, v3
	s_delay_alu instid0(VALU_DEP_2)
	v_cmp_gt_i32_e32 vcc_lo, 11, v5
	s_cbranch_vccnz .LBB151_2286
; %bb.2280:
	s_and_b32 s8, 0xffff, s14
	s_mov_b32 s15, 0
	s_cmp_gt_i32 s8, 25
	s_cbranch_scc0 .LBB151_2288
; %bb.2281:
	s_cmp_gt_i32 s8, 28
	s_cbranch_scc0 .LBB151_2289
; %bb.2282:
	;; [unrolled: 3-line block ×4, first 2 shown]
	s_cmp_eq_u32 s8, 46
	s_mov_b32 s17, 0
	s_cbranch_scc0 .LBB151_2295
; %bb.2285:
	global_load_b32 v3, v[28:29], off
	s_mov_b32 s9, 0
	s_mov_b32 s16, -1
	s_wait_loadcnt 0x0
	v_lshlrev_b32_e32 v3, 16, v3
	s_branch .LBB151_2297
.LBB151_2286:
	s_mov_b32 s16, 0
                                        ; implicit-def: $vgpr3
	s_cbranch_execnz .LBB151_2362
.LBB151_2287:
	s_and_not1_b32 vcc_lo, exec_lo, s16
	s_cbranch_vccnz .LBB151_4155
	s_branch .LBB151_2409
.LBB151_2288:
	s_mov_b32 s16, 0
	s_mov_b32 s9, 0
                                        ; implicit-def: $vgpr3
	s_cbranch_execnz .LBB151_2326
	s_branch .LBB151_2358
.LBB151_2289:
	s_mov_b32 s17, -1
	s_mov_b32 s16, 0
	s_mov_b32 s9, 0
                                        ; implicit-def: $vgpr3
	s_branch .LBB151_2307
.LBB151_2290:
	s_mov_b32 s17, -1
	s_mov_b32 s16, 0
	s_mov_b32 s9, 0
                                        ; implicit-def: $vgpr3
	s_branch .LBB151_2302
.LBB151_2291:
	s_or_b32 s12, s10, exec_lo
	s_trap 2
	s_cbranch_execz .LBB151_2232
	s_branch .LBB151_2233
.LBB151_2292:
	s_mov_b32 s17, -1
	s_mov_b32 s16, 0
	s_mov_b32 s9, 0
	s_branch .LBB151_2296
.LBB151_2293:
	s_and_not1_saveexec_b32 s10, s10
	s_cbranch_execz .LBB151_2034
.LBB151_2294:
	v_add_f32_e64 v2, 0x42800000, |v4|
	s_and_not1_b32 s9, s9, exec_lo
	s_delay_alu instid0(VALU_DEP_1) | instskip(NEXT) | instid1(VALU_DEP_1)
	v_and_b32_e32 v2, 0xff, v2
	v_cmp_ne_u32_e32 vcc_lo, 0, v2
	s_and_b32 s11, vcc_lo, exec_lo
	s_delay_alu instid0(SALU_CYCLE_1)
	s_or_b32 s9, s9, s11
	s_or_b32 exec_lo, exec_lo, s10
	v_mov_b32_e32 v3, 0
	s_and_saveexec_b32 s10, s9
	s_cbranch_execnz .LBB151_2035
	s_branch .LBB151_2036
.LBB151_2295:
	s_mov_b32 s9, -1
	s_mov_b32 s16, 0
.LBB151_2296:
                                        ; implicit-def: $vgpr3
.LBB151_2297:
	s_and_b32 vcc_lo, exec_lo, s17
	s_cbranch_vccz .LBB151_2301
; %bb.2298:
	s_cmp_eq_u32 s8, 44
	s_cbranch_scc0 .LBB151_2300
; %bb.2299:
	global_load_u8 v3, v[28:29], off
	s_mov_b32 s9, 0
	s_mov_b32 s16, -1
	s_wait_loadcnt 0x0
	v_lshlrev_b32_e32 v5, 23, v3
	v_cmp_ne_u32_e32 vcc_lo, 0xff, v3
	s_delay_alu instid0(VALU_DEP_2) | instskip(SKIP_1) | instid1(VALU_DEP_2)
	v_cndmask_b32_e32 v5, 0x7f800001, v5, vcc_lo
	v_cmp_ne_u32_e32 vcc_lo, 0, v3
	v_cndmask_b32_e32 v3, 0x400000, v5, vcc_lo
	s_branch .LBB151_2301
.LBB151_2300:
	s_mov_b32 s9, -1
                                        ; implicit-def: $vgpr3
.LBB151_2301:
	s_mov_b32 s17, 0
.LBB151_2302:
	s_delay_alu instid0(SALU_CYCLE_1)
	s_and_b32 vcc_lo, exec_lo, s17
	s_cbranch_vccz .LBB151_2306
; %bb.2303:
	s_cmp_eq_u32 s8, 29
	s_cbranch_scc0 .LBB151_2305
; %bb.2304:
	global_load_b64 v[30:31], v[28:29], off
	s_mov_b32 s9, 0
	s_mov_b32 s16, -1
	s_mov_b32 s17, 0
	s_wait_loadcnt 0x0
	v_clz_i32_u32_e32 v3, v31
	s_delay_alu instid0(VALU_DEP_1) | instskip(NEXT) | instid1(VALU_DEP_1)
	v_min_u32_e32 v3, 32, v3
	v_lshlrev_b64_e32 v[30:31], v3, v[30:31]
	v_sub_nc_u32_e32 v3, 32, v3
	s_delay_alu instid0(VALU_DEP_2) | instskip(NEXT) | instid1(VALU_DEP_1)
	v_min_u32_e32 v5, 1, v30
	v_or_b32_e32 v5, v31, v5
	s_delay_alu instid0(VALU_DEP_1) | instskip(NEXT) | instid1(VALU_DEP_1)
	v_cvt_f32_u32_e32 v5, v5
	v_ldexp_f32 v3, v5, v3
	s_branch .LBB151_2307
.LBB151_2305:
	s_mov_b32 s9, -1
                                        ; implicit-def: $vgpr3
.LBB151_2306:
	s_mov_b32 s17, 0
.LBB151_2307:
	s_delay_alu instid0(SALU_CYCLE_1)
	s_and_b32 vcc_lo, exec_lo, s17
	s_cbranch_vccz .LBB151_2325
; %bb.2308:
	s_cmp_lt_i32 s8, 27
	s_cbranch_scc1 .LBB151_2311
; %bb.2309:
	s_cmp_gt_i32 s8, 27
	s_cbranch_scc0 .LBB151_2312
; %bb.2310:
	global_load_b32 v3, v[28:29], off
	s_mov_b32 s16, 0
	s_wait_loadcnt 0x0
	v_cvt_f32_u32_e32 v3, v3
	s_branch .LBB151_2313
.LBB151_2311:
	s_mov_b32 s16, -1
                                        ; implicit-def: $vgpr3
	s_branch .LBB151_2316
.LBB151_2312:
	s_mov_b32 s16, -1
                                        ; implicit-def: $vgpr3
.LBB151_2313:
	s_delay_alu instid0(SALU_CYCLE_1)
	s_and_not1_b32 vcc_lo, exec_lo, s16
	s_cbranch_vccnz .LBB151_2315
; %bb.2314:
	global_load_u16 v3, v[28:29], off
	s_wait_loadcnt 0x0
	v_cvt_f32_u32_e32 v3, v3
.LBB151_2315:
	s_mov_b32 s16, 0
.LBB151_2316:
	s_delay_alu instid0(SALU_CYCLE_1)
	s_and_not1_b32 vcc_lo, exec_lo, s16
	s_cbranch_vccnz .LBB151_2324
; %bb.2317:
	global_load_u8 v5, v[28:29], off
	s_mov_b32 s16, 0
	s_mov_b32 s17, exec_lo
	s_wait_loadcnt 0x0
	v_cmpx_lt_i16_e32 0x7f, v5
	s_xor_b32 s17, exec_lo, s17
	s_cbranch_execz .LBB151_2337
; %bb.2318:
	s_mov_b32 s16, -1
	s_mov_b32 s18, exec_lo
	v_cmpx_eq_u16_e32 0x80, v5
; %bb.2319:
	s_xor_b32 s16, exec_lo, -1
; %bb.2320:
	s_or_b32 exec_lo, exec_lo, s18
	s_delay_alu instid0(SALU_CYCLE_1)
	s_and_b32 s16, s16, exec_lo
	s_or_saveexec_b32 s17, s17
	v_mov_b32_e32 v3, 0x7f800001
	s_xor_b32 exec_lo, exec_lo, s17
	s_cbranch_execnz .LBB151_2338
.LBB151_2321:
	s_or_b32 exec_lo, exec_lo, s17
	s_and_saveexec_b32 s17, s16
	s_cbranch_execz .LBB151_2323
.LBB151_2322:
	v_and_b32_e32 v3, 0xffff, v5
	s_delay_alu instid0(VALU_DEP_1) | instskip(SKIP_1) | instid1(VALU_DEP_2)
	v_and_b32_e32 v7, 7, v3
	v_bfe_u32 v13, v3, 3, 4
	v_clz_i32_u32_e32 v9, v7
	s_delay_alu instid0(VALU_DEP_2) | instskip(NEXT) | instid1(VALU_DEP_2)
	v_cmp_eq_u32_e32 vcc_lo, 0, v13
	v_min_u32_e32 v9, 32, v9
	s_delay_alu instid0(VALU_DEP_1) | instskip(NEXT) | instid1(VALU_DEP_1)
	v_subrev_nc_u32_e32 v11, 28, v9
	v_dual_lshlrev_b32 v3, v11, v3 :: v_dual_sub_nc_u32 v9, 29, v9
	s_delay_alu instid0(VALU_DEP_1) | instskip(NEXT) | instid1(VALU_DEP_1)
	v_dual_lshlrev_b32 v5, 24, v5 :: v_dual_bitop2_b32 v3, 7, v3 bitop3:0x40
	v_dual_cndmask_b32 v3, v7, v3, vcc_lo :: v_dual_cndmask_b32 v9, v13, v9, vcc_lo
	s_delay_alu instid0(VALU_DEP_2) | instskip(NEXT) | instid1(VALU_DEP_2)
	v_and_b32_e32 v5, 0x80000000, v5
	v_lshlrev_b32_e32 v3, 20, v3
	s_delay_alu instid0(VALU_DEP_3) | instskip(NEXT) | instid1(VALU_DEP_1)
	v_lshl_add_u32 v7, v9, 23, 0x3b800000
	v_or3_b32 v3, v5, v7, v3
.LBB151_2323:
	s_or_b32 exec_lo, exec_lo, s17
.LBB151_2324:
	s_mov_b32 s16, -1
.LBB151_2325:
	s_branch .LBB151_2358
.LBB151_2326:
	s_cmp_gt_i32 s8, 22
	s_cbranch_scc0 .LBB151_2336
; %bb.2327:
	s_cmp_lt_i32 s8, 24
	s_cbranch_scc1 .LBB151_2339
; %bb.2328:
	s_cmp_gt_i32 s8, 24
	s_cbranch_scc0 .LBB151_2340
; %bb.2329:
	global_load_u8 v5, v[28:29], off
	s_mov_b32 s16, exec_lo
	s_wait_loadcnt 0x0
	v_cmpx_lt_i16_e32 0x7f, v5
	s_xor_b32 s16, exec_lo, s16
	s_cbranch_execz .LBB151_2352
; %bb.2330:
	s_mov_b32 s15, -1
	s_mov_b32 s17, exec_lo
	v_cmpx_eq_u16_e32 0x80, v5
; %bb.2331:
	s_xor_b32 s15, exec_lo, -1
; %bb.2332:
	s_or_b32 exec_lo, exec_lo, s17
	s_delay_alu instid0(SALU_CYCLE_1)
	s_and_b32 s15, s15, exec_lo
	s_or_saveexec_b32 s16, s16
	v_mov_b32_e32 v3, 0x7f800001
	s_xor_b32 exec_lo, exec_lo, s16
	s_cbranch_execnz .LBB151_2353
.LBB151_2333:
	s_or_b32 exec_lo, exec_lo, s16
	s_and_saveexec_b32 s16, s15
	s_cbranch_execz .LBB151_2335
.LBB151_2334:
	v_and_b32_e32 v3, 0xffff, v5
	s_delay_alu instid0(VALU_DEP_1) | instskip(SKIP_1) | instid1(VALU_DEP_2)
	v_and_b32_e32 v7, 3, v3
	v_bfe_u32 v13, v3, 2, 5
	v_clz_i32_u32_e32 v9, v7
	s_delay_alu instid0(VALU_DEP_2) | instskip(NEXT) | instid1(VALU_DEP_2)
	v_cmp_eq_u32_e32 vcc_lo, 0, v13
	v_min_u32_e32 v9, 32, v9
	s_delay_alu instid0(VALU_DEP_1) | instskip(NEXT) | instid1(VALU_DEP_1)
	v_subrev_nc_u32_e32 v11, 29, v9
	v_dual_lshlrev_b32 v3, v11, v3 :: v_dual_sub_nc_u32 v9, 30, v9
	s_delay_alu instid0(VALU_DEP_1) | instskip(NEXT) | instid1(VALU_DEP_1)
	v_dual_lshlrev_b32 v5, 24, v5 :: v_dual_bitop2_b32 v3, 3, v3 bitop3:0x40
	v_dual_cndmask_b32 v3, v7, v3, vcc_lo :: v_dual_cndmask_b32 v9, v13, v9, vcc_lo
	s_delay_alu instid0(VALU_DEP_2) | instskip(NEXT) | instid1(VALU_DEP_2)
	v_and_b32_e32 v5, 0x80000000, v5
	v_lshlrev_b32_e32 v3, 21, v3
	s_delay_alu instid0(VALU_DEP_3) | instskip(NEXT) | instid1(VALU_DEP_1)
	v_lshl_add_u32 v7, v9, 23, 0x37800000
	v_or3_b32 v3, v5, v7, v3
.LBB151_2335:
	s_or_b32 exec_lo, exec_lo, s16
	s_mov_b32 s15, 0
	s_branch .LBB151_2341
.LBB151_2336:
	s_mov_b32 s15, -1
                                        ; implicit-def: $vgpr3
	s_branch .LBB151_2347
.LBB151_2337:
	s_or_saveexec_b32 s17, s17
	v_mov_b32_e32 v3, 0x7f800001
	s_xor_b32 exec_lo, exec_lo, s17
	s_cbranch_execz .LBB151_2321
.LBB151_2338:
	v_cmp_ne_u16_e32 vcc_lo, 0, v5
	v_mov_b32_e32 v3, 0
	s_and_not1_b32 s16, s16, exec_lo
	s_and_b32 s18, vcc_lo, exec_lo
	s_delay_alu instid0(SALU_CYCLE_1)
	s_or_b32 s16, s16, s18
	s_or_b32 exec_lo, exec_lo, s17
	s_and_saveexec_b32 s17, s16
	s_cbranch_execnz .LBB151_2322
	s_branch .LBB151_2323
.LBB151_2339:
	s_mov_b32 s15, -1
                                        ; implicit-def: $vgpr3
	s_branch .LBB151_2344
.LBB151_2340:
	s_mov_b32 s15, -1
                                        ; implicit-def: $vgpr3
.LBB151_2341:
	s_delay_alu instid0(SALU_CYCLE_1)
	s_and_b32 vcc_lo, exec_lo, s15
	s_cbranch_vccz .LBB151_2343
; %bb.2342:
	global_load_u8 v3, v[28:29], off
	s_wait_loadcnt 0x0
	v_lshlrev_b32_e32 v3, 24, v3
	s_delay_alu instid0(VALU_DEP_1) | instskip(NEXT) | instid1(VALU_DEP_1)
	v_and_b32_e32 v5, 0x7f000000, v3
	v_clz_i32_u32_e32 v7, v5
	v_add_nc_u32_e32 v11, 0x1000000, v5
	v_cmp_ne_u32_e32 vcc_lo, 0, v5
	s_delay_alu instid0(VALU_DEP_3) | instskip(NEXT) | instid1(VALU_DEP_1)
	v_min_u32_e32 v7, 32, v7
	v_sub_nc_u32_e64 v7, v7, 4 clamp
	s_delay_alu instid0(VALU_DEP_1) | instskip(NEXT) | instid1(VALU_DEP_1)
	v_dual_lshlrev_b32 v9, v7, v5 :: v_dual_lshlrev_b32 v7, 23, v7
	v_lshrrev_b32_e32 v9, 4, v9
	s_delay_alu instid0(VALU_DEP_1) | instskip(SKIP_1) | instid1(VALU_DEP_2)
	v_sub_nc_u32_e32 v7, v9, v7
	v_ashrrev_i32_e32 v9, 8, v11
	v_add_nc_u32_e32 v7, 0x3c000000, v7
	s_delay_alu instid0(VALU_DEP_1) | instskip(NEXT) | instid1(VALU_DEP_1)
	v_and_or_b32 v7, 0x7f800000, v9, v7
	v_cndmask_b32_e32 v5, 0, v7, vcc_lo
	s_delay_alu instid0(VALU_DEP_1)
	v_and_or_b32 v3, 0x80000000, v3, v5
.LBB151_2343:
	s_mov_b32 s15, 0
.LBB151_2344:
	s_delay_alu instid0(SALU_CYCLE_1)
	s_and_not1_b32 vcc_lo, exec_lo, s15
	s_cbranch_vccnz .LBB151_2346
; %bb.2345:
	global_load_u8 v3, v[28:29], off
	s_wait_loadcnt 0x0
	v_lshlrev_b32_e32 v5, 25, v3
	v_lshlrev_b16 v3, 8, v3
	s_delay_alu instid0(VALU_DEP_1) | instskip(SKIP_1) | instid1(VALU_DEP_2)
	v_and_or_b32 v9, 0x7f00, v3, 0.5
	v_bfe_i32 v3, v3, 0, 16
	v_add_f32_e32 v9, -0.5, v9
	v_lshrrev_b32_e32 v7, 4, v5
	v_cmp_gt_u32_e32 vcc_lo, 0x8000000, v5
	s_delay_alu instid0(VALU_DEP_2) | instskip(NEXT) | instid1(VALU_DEP_1)
	v_or_b32_e32 v7, 0x70000000, v7
	v_mul_f32_e32 v7, 0x7800000, v7
	s_delay_alu instid0(VALU_DEP_1) | instskip(NEXT) | instid1(VALU_DEP_1)
	v_cndmask_b32_e32 v5, v7, v9, vcc_lo
	v_and_or_b32 v3, 0x80000000, v3, v5
.LBB151_2346:
	s_mov_b32 s15, 0
	s_mov_b32 s16, -1
.LBB151_2347:
	s_and_not1_b32 vcc_lo, exec_lo, s15
	s_mov_b32 s15, 0
	s_cbranch_vccnz .LBB151_2358
; %bb.2348:
	s_cmp_gt_i32 s8, 14
	s_cbranch_scc0 .LBB151_2351
; %bb.2349:
	s_cmp_eq_u32 s8, 15
	s_cbranch_scc0 .LBB151_2354
; %bb.2350:
	global_load_u16 v3, v[28:29], off
	s_mov_b32 s9, 0
	s_mov_b32 s16, -1
	s_wait_loadcnt 0x0
	v_lshlrev_b32_e32 v3, 16, v3
	s_branch .LBB151_2356
.LBB151_2351:
	s_mov_b32 s15, -1
	s_branch .LBB151_2355
.LBB151_2352:
	s_or_saveexec_b32 s16, s16
	v_mov_b32_e32 v3, 0x7f800001
	s_xor_b32 exec_lo, exec_lo, s16
	s_cbranch_execz .LBB151_2333
.LBB151_2353:
	v_cmp_ne_u16_e32 vcc_lo, 0, v5
	v_mov_b32_e32 v3, 0
	s_and_not1_b32 s15, s15, exec_lo
	s_and_b32 s17, vcc_lo, exec_lo
	s_delay_alu instid0(SALU_CYCLE_1)
	s_or_b32 s15, s15, s17
	s_or_b32 exec_lo, exec_lo, s16
	s_and_saveexec_b32 s16, s15
	s_cbranch_execnz .LBB151_2334
	s_branch .LBB151_2335
.LBB151_2354:
	s_mov_b32 s9, -1
.LBB151_2355:
                                        ; implicit-def: $vgpr3
.LBB151_2356:
	s_and_b32 vcc_lo, exec_lo, s15
	s_mov_b32 s15, 0
	s_cbranch_vccz .LBB151_2358
; %bb.2357:
	s_cmp_lg_u32 s8, 11
	s_mov_b32 s15, -1
	s_cselect_b32 s9, -1, 0
.LBB151_2358:
	s_delay_alu instid0(SALU_CYCLE_1)
	s_and_b32 vcc_lo, exec_lo, s9
	s_cbranch_vccnz .LBB151_2421
; %bb.2359:
	s_and_not1_b32 vcc_lo, exec_lo, s15
	s_cbranch_vccnz .LBB151_2361
.LBB151_2360:
	global_load_u8 v3, v[28:29], off
	s_mov_b32 s16, -1
	s_wait_loadcnt 0x0
	v_cmp_ne_u16_e32 vcc_lo, 0, v3
	v_cndmask_b32_e64 v3, 0, 1.0, vcc_lo
.LBB151_2361:
	s_branch .LBB151_2287
.LBB151_2362:
	s_and_b32 s8, 0xffff, s14
	s_delay_alu instid0(SALU_CYCLE_1)
	s_cmp_lt_i32 s8, 5
	s_cbranch_scc1 .LBB151_2367
; %bb.2363:
	s_cmp_lt_i32 s8, 8
	s_cbranch_scc1 .LBB151_2368
; %bb.2364:
	s_cmp_lt_i32 s8, 9
	s_cbranch_scc1 .LBB151_2369
; %bb.2365:
	s_cmp_gt_i32 s8, 9
	s_cbranch_scc0 .LBB151_2370
; %bb.2366:
	global_load_b64 v[30:31], v[28:29], off
	s_mov_b32 s9, 0
	s_wait_loadcnt 0x0
	v_cvt_f32_f64_e32 v3, v[30:31]
	s_branch .LBB151_2371
.LBB151_2367:
                                        ; implicit-def: $vgpr3
	s_branch .LBB151_2389
.LBB151_2368:
	s_mov_b32 s9, -1
                                        ; implicit-def: $vgpr3
	s_branch .LBB151_2377
.LBB151_2369:
	s_mov_b32 s9, -1
                                        ; implicit-def: $vgpr3
	s_branch .LBB151_2374
.LBB151_2370:
	s_mov_b32 s9, -1
                                        ; implicit-def: $vgpr3
.LBB151_2371:
	s_delay_alu instid0(SALU_CYCLE_1)
	s_and_not1_b32 vcc_lo, exec_lo, s9
	s_cbranch_vccnz .LBB151_2373
; %bb.2372:
	global_load_b32 v3, v[28:29], off
.LBB151_2373:
	s_mov_b32 s9, 0
.LBB151_2374:
	s_delay_alu instid0(SALU_CYCLE_1)
	s_and_not1_b32 vcc_lo, exec_lo, s9
	s_cbranch_vccnz .LBB151_2376
; %bb.2375:
	s_wait_loadcnt 0x0
	global_load_b32 v3, v[28:29], off
	s_wait_loadcnt 0x0
	v_cvt_f32_f16_e32 v3, v3
.LBB151_2376:
	s_mov_b32 s9, 0
.LBB151_2377:
	s_delay_alu instid0(SALU_CYCLE_1)
	s_and_not1_b32 vcc_lo, exec_lo, s9
	s_cbranch_vccnz .LBB151_2388
; %bb.2378:
	s_cmp_lt_i32 s8, 6
	s_cbranch_scc1 .LBB151_2381
; %bb.2379:
	s_cmp_gt_i32 s8, 6
	s_cbranch_scc0 .LBB151_2382
; %bb.2380:
	global_load_b64 v[30:31], v[28:29], off
	s_mov_b32 s9, 0
	s_wait_loadcnt 0x0
	v_cvt_f32_f64_e32 v3, v[30:31]
	s_branch .LBB151_2383
.LBB151_2381:
	s_mov_b32 s9, -1
                                        ; implicit-def: $vgpr3
	s_branch .LBB151_2386
.LBB151_2382:
	s_mov_b32 s9, -1
                                        ; implicit-def: $vgpr3
.LBB151_2383:
	s_delay_alu instid0(SALU_CYCLE_1)
	s_and_not1_b32 vcc_lo, exec_lo, s9
	s_cbranch_vccnz .LBB151_2385
; %bb.2384:
	s_wait_loadcnt 0x0
	global_load_b32 v3, v[28:29], off
.LBB151_2385:
	s_mov_b32 s9, 0
.LBB151_2386:
	s_delay_alu instid0(SALU_CYCLE_1)
	s_and_not1_b32 vcc_lo, exec_lo, s9
	s_cbranch_vccnz .LBB151_2388
; %bb.2387:
	s_wait_loadcnt 0x0
	global_load_u16 v3, v[28:29], off
	s_wait_loadcnt 0x0
	v_cvt_f32_f16_e32 v3, v3
.LBB151_2388:
	s_cbranch_execnz .LBB151_2408
.LBB151_2389:
	s_cmp_lt_i32 s8, 2
	s_cbranch_scc1 .LBB151_2393
; %bb.2390:
	s_cmp_lt_i32 s8, 3
	s_cbranch_scc1 .LBB151_2394
; %bb.2391:
	s_cmp_gt_i32 s8, 3
	s_cbranch_scc0 .LBB151_2395
; %bb.2392:
	global_load_b64 v[30:31], v[28:29], off
	s_mov_b32 s9, 0
	s_wait_loadcnt 0x0
	v_xor_b32_e32 v3, v30, v31
	v_cls_i32_e32 v5, v31
	s_delay_alu instid0(VALU_DEP_2) | instskip(NEXT) | instid1(VALU_DEP_1)
	v_ashrrev_i32_e32 v3, 31, v3
	v_add_nc_u32_e32 v3, 32, v3
	s_delay_alu instid0(VALU_DEP_1) | instskip(NEXT) | instid1(VALU_DEP_1)
	v_add_min_u32_e64 v3, v5, -1, v3
	v_lshlrev_b64_e32 v[30:31], v3, v[30:31]
	v_sub_nc_u32_e32 v3, 32, v3
	s_delay_alu instid0(VALU_DEP_2) | instskip(NEXT) | instid1(VALU_DEP_1)
	v_min_u32_e32 v5, 1, v30
	v_or_b32_e32 v5, v31, v5
	s_delay_alu instid0(VALU_DEP_1) | instskip(NEXT) | instid1(VALU_DEP_1)
	v_cvt_f32_i32_e32 v5, v5
	v_ldexp_f32 v3, v5, v3
	s_branch .LBB151_2396
.LBB151_2393:
	s_mov_b32 s9, -1
                                        ; implicit-def: $vgpr3
	s_branch .LBB151_2402
.LBB151_2394:
	s_mov_b32 s9, -1
                                        ; implicit-def: $vgpr3
	s_branch .LBB151_2399
.LBB151_2395:
	s_mov_b32 s9, -1
                                        ; implicit-def: $vgpr3
.LBB151_2396:
	s_delay_alu instid0(SALU_CYCLE_1)
	s_and_not1_b32 vcc_lo, exec_lo, s9
	s_cbranch_vccnz .LBB151_2398
; %bb.2397:
	s_wait_loadcnt 0x0
	global_load_b32 v3, v[28:29], off
	s_wait_loadcnt 0x0
	v_cvt_f32_i32_e32 v3, v3
.LBB151_2398:
	s_mov_b32 s9, 0
.LBB151_2399:
	s_delay_alu instid0(SALU_CYCLE_1)
	s_and_not1_b32 vcc_lo, exec_lo, s9
	s_cbranch_vccnz .LBB151_2401
; %bb.2400:
	s_wait_loadcnt 0x0
	global_load_i16 v3, v[28:29], off
	s_wait_loadcnt 0x0
	v_cvt_f32_i32_e32 v3, v3
.LBB151_2401:
	s_mov_b32 s9, 0
.LBB151_2402:
	s_delay_alu instid0(SALU_CYCLE_1)
	s_and_not1_b32 vcc_lo, exec_lo, s9
	s_cbranch_vccnz .LBB151_2408
; %bb.2403:
	s_cmp_gt_i32 s8, 0
	s_mov_b32 s8, 0
	s_cbranch_scc0 .LBB151_2405
; %bb.2404:
	s_wait_loadcnt 0x0
	global_load_i8 v3, v[28:29], off
	s_wait_loadcnt 0x0
	v_cvt_f32_i32_e32 v3, v3
	s_branch .LBB151_2406
.LBB151_2405:
	s_mov_b32 s8, -1
                                        ; implicit-def: $vgpr3
.LBB151_2406:
	s_delay_alu instid0(SALU_CYCLE_1)
	s_and_not1_b32 vcc_lo, exec_lo, s8
	s_cbranch_vccnz .LBB151_2408
; %bb.2407:
	s_wait_loadcnt 0x0
	global_load_u8 v3, v[28:29], off
	s_wait_loadcnt 0x0
	v_cvt_f32_ubyte0_e32 v3, v3
.LBB151_2408:
.LBB151_2409:
	s_clause 0x1
	s_load_b64 s[8:9], s[2:3], 0x1e0
	s_load_b32 s15, s[2:3], 0x1ec
	v_mov_b32_e32 v27, 0
	s_wait_kmcnt 0x0
	s_delay_alu instid0(VALU_DEP_1) | instskip(SKIP_1) | instid1(SALU_CYCLE_1)
	v_add_nc_u64_e32 v[26:27], s[8:9], v[26:27]
	s_and_b32 s15, s15, 0xff
	s_cmp_lt_i32 s15, 11
	s_cbranch_scc1 .LBB151_2416
; %bb.2410:
	s_and_b32 s16, 0xffff, s15
	s_mov_b32 s18, 0
	s_cmp_gt_i32 s16, 25
	s_cbranch_scc0 .LBB151_2418
; %bb.2411:
	s_cmp_gt_i32 s16, 28
	s_cbranch_scc0 .LBB151_2419
; %bb.2412:
	;; [unrolled: 3-line block ×4, first 2 shown]
	s_cmp_eq_u32 s16, 46
	s_mov_b32 s20, 0
	s_cbranch_scc0 .LBB151_2423
; %bb.2415:
	global_load_b32 v5, v[26:27], off
	s_mov_b32 s17, 0
	s_mov_b32 s19, -1
	s_wait_loadcnt 0x0
	v_lshlrev_b32_e32 v5, 16, v5
	s_branch .LBB151_2425
.LBB151_2416:
	s_mov_b32 s19, 0
                                        ; implicit-def: $vgpr5
	s_cbranch_execnz .LBB151_2491
.LBB151_2417:
	s_and_not1_b32 vcc_lo, exec_lo, s19
	s_cbranch_vccnz .LBB151_4155
	s_branch .LBB151_2539
.LBB151_2418:
	s_mov_b32 s20, -1
	s_mov_b32 s19, 0
	s_mov_b32 s17, 0
                                        ; implicit-def: $vgpr5
	s_branch .LBB151_2454
.LBB151_2419:
	s_mov_b32 s20, -1
	s_mov_b32 s19, 0
	s_mov_b32 s17, 0
                                        ; implicit-def: $vgpr5
	s_branch .LBB151_2435
.LBB151_2420:
	s_mov_b32 s20, -1
	s_mov_b32 s19, 0
	s_mov_b32 s17, 0
                                        ; implicit-def: $vgpr5
	s_branch .LBB151_2430
.LBB151_2421:
	s_or_b32 s12, s12, exec_lo
	s_trap 2
	s_cbranch_execz .LBB151_2360
	s_branch .LBB151_2361
.LBB151_2422:
	s_mov_b32 s20, -1
	s_mov_b32 s19, 0
	s_mov_b32 s17, 0
	s_branch .LBB151_2424
.LBB151_2423:
	s_mov_b32 s17, -1
	s_mov_b32 s19, 0
.LBB151_2424:
                                        ; implicit-def: $vgpr5
.LBB151_2425:
	s_and_b32 vcc_lo, exec_lo, s20
	s_cbranch_vccz .LBB151_2429
; %bb.2426:
	s_cmp_eq_u32 s16, 44
	s_cbranch_scc0 .LBB151_2428
; %bb.2427:
	global_load_u8 v5, v[26:27], off
	s_mov_b32 s17, 0
	s_mov_b32 s19, -1
	s_wait_loadcnt 0x0
	v_lshlrev_b32_e32 v7, 23, v5
	v_cmp_ne_u32_e32 vcc_lo, 0xff, v5
	s_delay_alu instid0(VALU_DEP_2) | instskip(SKIP_1) | instid1(VALU_DEP_2)
	v_cndmask_b32_e32 v7, 0x7f800001, v7, vcc_lo
	v_cmp_ne_u32_e32 vcc_lo, 0, v5
	v_cndmask_b32_e32 v5, 0x400000, v7, vcc_lo
	s_branch .LBB151_2429
.LBB151_2428:
	s_mov_b32 s17, -1
                                        ; implicit-def: $vgpr5
.LBB151_2429:
	s_mov_b32 s20, 0
.LBB151_2430:
	s_delay_alu instid0(SALU_CYCLE_1)
	s_and_b32 vcc_lo, exec_lo, s20
	s_cbranch_vccz .LBB151_2434
; %bb.2431:
	s_cmp_eq_u32 s16, 29
	s_cbranch_scc0 .LBB151_2433
; %bb.2432:
	global_load_b64 v[28:29], v[26:27], off
	s_mov_b32 s17, 0
	s_mov_b32 s19, -1
	s_mov_b32 s20, 0
	s_wait_loadcnt 0x0
	v_clz_i32_u32_e32 v5, v29
	s_delay_alu instid0(VALU_DEP_1) | instskip(NEXT) | instid1(VALU_DEP_1)
	v_min_u32_e32 v5, 32, v5
	v_lshlrev_b64_e32 v[28:29], v5, v[28:29]
	v_sub_nc_u32_e32 v5, 32, v5
	s_delay_alu instid0(VALU_DEP_2) | instskip(NEXT) | instid1(VALU_DEP_1)
	v_min_u32_e32 v7, 1, v28
	v_or_b32_e32 v7, v29, v7
	s_delay_alu instid0(VALU_DEP_1) | instskip(NEXT) | instid1(VALU_DEP_1)
	v_cvt_f32_u32_e32 v7, v7
	v_ldexp_f32 v5, v7, v5
	s_branch .LBB151_2435
.LBB151_2433:
	s_mov_b32 s17, -1
                                        ; implicit-def: $vgpr5
.LBB151_2434:
	s_mov_b32 s20, 0
.LBB151_2435:
	s_delay_alu instid0(SALU_CYCLE_1)
	s_and_b32 vcc_lo, exec_lo, s20
	s_cbranch_vccz .LBB151_2453
; %bb.2436:
	s_cmp_lt_i32 s16, 27
	s_cbranch_scc1 .LBB151_2439
; %bb.2437:
	s_cmp_gt_i32 s16, 27
	s_cbranch_scc0 .LBB151_2440
; %bb.2438:
	global_load_b32 v5, v[26:27], off
	s_mov_b32 s19, 0
	s_wait_loadcnt 0x0
	v_cvt_f32_u32_e32 v5, v5
	s_branch .LBB151_2441
.LBB151_2439:
	s_mov_b32 s19, -1
                                        ; implicit-def: $vgpr5
	s_branch .LBB151_2444
.LBB151_2440:
	s_mov_b32 s19, -1
                                        ; implicit-def: $vgpr5
.LBB151_2441:
	s_delay_alu instid0(SALU_CYCLE_1)
	s_and_not1_b32 vcc_lo, exec_lo, s19
	s_cbranch_vccnz .LBB151_2443
; %bb.2442:
	global_load_u16 v5, v[26:27], off
	s_wait_loadcnt 0x0
	v_cvt_f32_u32_e32 v5, v5
.LBB151_2443:
	s_mov_b32 s19, 0
.LBB151_2444:
	s_delay_alu instid0(SALU_CYCLE_1)
	s_and_not1_b32 vcc_lo, exec_lo, s19
	s_cbranch_vccnz .LBB151_2452
; %bb.2445:
	global_load_u8 v7, v[26:27], off
	s_mov_b32 s19, 0
	s_mov_b32 s20, exec_lo
	s_wait_loadcnt 0x0
	v_cmpx_lt_i16_e32 0x7f, v7
	s_xor_b32 s20, exec_lo, s20
	s_cbranch_execz .LBB151_2466
; %bb.2446:
	s_mov_b32 s19, -1
	s_mov_b32 s21, exec_lo
	v_cmpx_eq_u16_e32 0x80, v7
; %bb.2447:
	s_xor_b32 s19, exec_lo, -1
; %bb.2448:
	s_or_b32 exec_lo, exec_lo, s21
	s_delay_alu instid0(SALU_CYCLE_1)
	s_and_b32 s19, s19, exec_lo
	s_or_saveexec_b32 s20, s20
	v_mov_b32_e32 v5, 0x7f800001
	s_xor_b32 exec_lo, exec_lo, s20
	s_cbranch_execnz .LBB151_2467
.LBB151_2449:
	s_or_b32 exec_lo, exec_lo, s20
	s_and_saveexec_b32 s20, s19
	s_cbranch_execz .LBB151_2451
.LBB151_2450:
	v_and_b32_e32 v5, 0xffff, v7
	s_delay_alu instid0(VALU_DEP_1) | instskip(SKIP_1) | instid1(VALU_DEP_2)
	v_and_b32_e32 v9, 7, v5
	v_bfe_u32 v15, v5, 3, 4
	v_clz_i32_u32_e32 v11, v9
	s_delay_alu instid0(VALU_DEP_2) | instskip(NEXT) | instid1(VALU_DEP_2)
	v_cmp_eq_u32_e32 vcc_lo, 0, v15
	v_min_u32_e32 v11, 32, v11
	s_delay_alu instid0(VALU_DEP_1) | instskip(NEXT) | instid1(VALU_DEP_1)
	v_subrev_nc_u32_e32 v13, 28, v11
	v_dual_lshlrev_b32 v5, v13, v5 :: v_dual_sub_nc_u32 v11, 29, v11
	s_delay_alu instid0(VALU_DEP_1) | instskip(NEXT) | instid1(VALU_DEP_1)
	v_dual_lshlrev_b32 v7, 24, v7 :: v_dual_bitop2_b32 v5, 7, v5 bitop3:0x40
	v_dual_cndmask_b32 v5, v9, v5, vcc_lo :: v_dual_cndmask_b32 v11, v15, v11, vcc_lo
	s_delay_alu instid0(VALU_DEP_2) | instskip(NEXT) | instid1(VALU_DEP_2)
	v_and_b32_e32 v7, 0x80000000, v7
	v_lshlrev_b32_e32 v5, 20, v5
	s_delay_alu instid0(VALU_DEP_3) | instskip(NEXT) | instid1(VALU_DEP_1)
	v_lshl_add_u32 v9, v11, 23, 0x3b800000
	v_or3_b32 v5, v7, v9, v5
.LBB151_2451:
	s_or_b32 exec_lo, exec_lo, s20
.LBB151_2452:
	s_mov_b32 s19, -1
.LBB151_2453:
	s_mov_b32 s20, 0
.LBB151_2454:
	s_delay_alu instid0(SALU_CYCLE_1)
	s_and_b32 vcc_lo, exec_lo, s20
	s_cbranch_vccz .LBB151_2487
; %bb.2455:
	s_cmp_gt_i32 s16, 22
	s_cbranch_scc0 .LBB151_2465
; %bb.2456:
	s_cmp_lt_i32 s16, 24
	s_cbranch_scc1 .LBB151_2468
; %bb.2457:
	s_cmp_gt_i32 s16, 24
	s_cbranch_scc0 .LBB151_2469
; %bb.2458:
	global_load_u8 v7, v[26:27], off
	s_mov_b32 s19, exec_lo
	s_wait_loadcnt 0x0
	v_cmpx_lt_i16_e32 0x7f, v7
	s_xor_b32 s19, exec_lo, s19
	s_cbranch_execz .LBB151_2481
; %bb.2459:
	s_mov_b32 s18, -1
	s_mov_b32 s20, exec_lo
	v_cmpx_eq_u16_e32 0x80, v7
; %bb.2460:
	s_xor_b32 s18, exec_lo, -1
; %bb.2461:
	s_or_b32 exec_lo, exec_lo, s20
	s_delay_alu instid0(SALU_CYCLE_1)
	s_and_b32 s18, s18, exec_lo
	s_or_saveexec_b32 s19, s19
	v_mov_b32_e32 v5, 0x7f800001
	s_xor_b32 exec_lo, exec_lo, s19
	s_cbranch_execnz .LBB151_2482
.LBB151_2462:
	s_or_b32 exec_lo, exec_lo, s19
	s_and_saveexec_b32 s19, s18
	s_cbranch_execz .LBB151_2464
.LBB151_2463:
	v_and_b32_e32 v5, 0xffff, v7
	s_delay_alu instid0(VALU_DEP_1) | instskip(SKIP_1) | instid1(VALU_DEP_2)
	v_and_b32_e32 v9, 3, v5
	v_bfe_u32 v15, v5, 2, 5
	v_clz_i32_u32_e32 v11, v9
	s_delay_alu instid0(VALU_DEP_2) | instskip(NEXT) | instid1(VALU_DEP_2)
	v_cmp_eq_u32_e32 vcc_lo, 0, v15
	v_min_u32_e32 v11, 32, v11
	s_delay_alu instid0(VALU_DEP_1) | instskip(NEXT) | instid1(VALU_DEP_1)
	v_subrev_nc_u32_e32 v13, 29, v11
	v_dual_lshlrev_b32 v5, v13, v5 :: v_dual_sub_nc_u32 v11, 30, v11
	s_delay_alu instid0(VALU_DEP_1) | instskip(NEXT) | instid1(VALU_DEP_1)
	v_dual_lshlrev_b32 v7, 24, v7 :: v_dual_bitop2_b32 v5, 3, v5 bitop3:0x40
	v_dual_cndmask_b32 v5, v9, v5, vcc_lo :: v_dual_cndmask_b32 v11, v15, v11, vcc_lo
	s_delay_alu instid0(VALU_DEP_2) | instskip(NEXT) | instid1(VALU_DEP_2)
	v_and_b32_e32 v7, 0x80000000, v7
	v_lshlrev_b32_e32 v5, 21, v5
	s_delay_alu instid0(VALU_DEP_3) | instskip(NEXT) | instid1(VALU_DEP_1)
	v_lshl_add_u32 v9, v11, 23, 0x37800000
	v_or3_b32 v5, v7, v9, v5
.LBB151_2464:
	s_or_b32 exec_lo, exec_lo, s19
	s_mov_b32 s18, 0
	s_branch .LBB151_2470
.LBB151_2465:
	s_mov_b32 s18, -1
                                        ; implicit-def: $vgpr5
	s_branch .LBB151_2476
.LBB151_2466:
	s_or_saveexec_b32 s20, s20
	v_mov_b32_e32 v5, 0x7f800001
	s_xor_b32 exec_lo, exec_lo, s20
	s_cbranch_execz .LBB151_2449
.LBB151_2467:
	v_cmp_ne_u16_e32 vcc_lo, 0, v7
	v_mov_b32_e32 v5, 0
	s_and_not1_b32 s19, s19, exec_lo
	s_and_b32 s21, vcc_lo, exec_lo
	s_delay_alu instid0(SALU_CYCLE_1)
	s_or_b32 s19, s19, s21
	s_or_b32 exec_lo, exec_lo, s20
	s_and_saveexec_b32 s20, s19
	s_cbranch_execnz .LBB151_2450
	s_branch .LBB151_2451
.LBB151_2468:
	s_mov_b32 s18, -1
                                        ; implicit-def: $vgpr5
	s_branch .LBB151_2473
.LBB151_2469:
	s_mov_b32 s18, -1
                                        ; implicit-def: $vgpr5
.LBB151_2470:
	s_delay_alu instid0(SALU_CYCLE_1)
	s_and_b32 vcc_lo, exec_lo, s18
	s_cbranch_vccz .LBB151_2472
; %bb.2471:
	global_load_u8 v5, v[26:27], off
	s_wait_loadcnt 0x0
	v_lshlrev_b32_e32 v5, 24, v5
	s_delay_alu instid0(VALU_DEP_1) | instskip(NEXT) | instid1(VALU_DEP_1)
	v_and_b32_e32 v7, 0x7f000000, v5
	v_clz_i32_u32_e32 v9, v7
	v_add_nc_u32_e32 v13, 0x1000000, v7
	v_cmp_ne_u32_e32 vcc_lo, 0, v7
	s_delay_alu instid0(VALU_DEP_3) | instskip(NEXT) | instid1(VALU_DEP_1)
	v_min_u32_e32 v9, 32, v9
	v_sub_nc_u32_e64 v9, v9, 4 clamp
	s_delay_alu instid0(VALU_DEP_1) | instskip(NEXT) | instid1(VALU_DEP_1)
	v_dual_lshlrev_b32 v11, v9, v7 :: v_dual_lshlrev_b32 v9, 23, v9
	v_lshrrev_b32_e32 v11, 4, v11
	s_delay_alu instid0(VALU_DEP_1) | instskip(SKIP_1) | instid1(VALU_DEP_2)
	v_sub_nc_u32_e32 v9, v11, v9
	v_ashrrev_i32_e32 v11, 8, v13
	v_add_nc_u32_e32 v9, 0x3c000000, v9
	s_delay_alu instid0(VALU_DEP_1) | instskip(NEXT) | instid1(VALU_DEP_1)
	v_and_or_b32 v9, 0x7f800000, v11, v9
	v_cndmask_b32_e32 v7, 0, v9, vcc_lo
	s_delay_alu instid0(VALU_DEP_1)
	v_and_or_b32 v5, 0x80000000, v5, v7
.LBB151_2472:
	s_mov_b32 s18, 0
.LBB151_2473:
	s_delay_alu instid0(SALU_CYCLE_1)
	s_and_not1_b32 vcc_lo, exec_lo, s18
	s_cbranch_vccnz .LBB151_2475
; %bb.2474:
	global_load_u8 v5, v[26:27], off
	s_wait_loadcnt 0x0
	v_lshlrev_b32_e32 v7, 25, v5
	v_lshlrev_b16 v5, 8, v5
	s_delay_alu instid0(VALU_DEP_1) | instskip(SKIP_1) | instid1(VALU_DEP_2)
	v_and_or_b32 v11, 0x7f00, v5, 0.5
	v_bfe_i32 v5, v5, 0, 16
	v_add_f32_e32 v11, -0.5, v11
	v_lshrrev_b32_e32 v9, 4, v7
	v_cmp_gt_u32_e32 vcc_lo, 0x8000000, v7
	s_delay_alu instid0(VALU_DEP_2) | instskip(NEXT) | instid1(VALU_DEP_1)
	v_or_b32_e32 v9, 0x70000000, v9
	v_mul_f32_e32 v9, 0x7800000, v9
	s_delay_alu instid0(VALU_DEP_1) | instskip(NEXT) | instid1(VALU_DEP_1)
	v_cndmask_b32_e32 v7, v9, v11, vcc_lo
	v_and_or_b32 v5, 0x80000000, v5, v7
.LBB151_2475:
	s_mov_b32 s18, 0
	s_mov_b32 s19, -1
.LBB151_2476:
	s_and_not1_b32 vcc_lo, exec_lo, s18
	s_mov_b32 s18, 0
	s_cbranch_vccnz .LBB151_2487
; %bb.2477:
	s_cmp_gt_i32 s16, 14
	s_cbranch_scc0 .LBB151_2480
; %bb.2478:
	s_cmp_eq_u32 s16, 15
	s_cbranch_scc0 .LBB151_2483
; %bb.2479:
	global_load_u16 v5, v[26:27], off
	s_mov_b32 s17, 0
	s_mov_b32 s19, -1
	s_wait_loadcnt 0x0
	v_lshlrev_b32_e32 v5, 16, v5
	s_branch .LBB151_2485
.LBB151_2480:
	s_mov_b32 s18, -1
	s_branch .LBB151_2484
.LBB151_2481:
	s_or_saveexec_b32 s19, s19
	v_mov_b32_e32 v5, 0x7f800001
	s_xor_b32 exec_lo, exec_lo, s19
	s_cbranch_execz .LBB151_2462
.LBB151_2482:
	v_cmp_ne_u16_e32 vcc_lo, 0, v7
	v_mov_b32_e32 v5, 0
	s_and_not1_b32 s18, s18, exec_lo
	s_and_b32 s20, vcc_lo, exec_lo
	s_delay_alu instid0(SALU_CYCLE_1)
	s_or_b32 s18, s18, s20
	s_or_b32 exec_lo, exec_lo, s19
	s_and_saveexec_b32 s19, s18
	s_cbranch_execnz .LBB151_2463
	s_branch .LBB151_2464
.LBB151_2483:
	s_mov_b32 s17, -1
.LBB151_2484:
                                        ; implicit-def: $vgpr5
.LBB151_2485:
	s_and_b32 vcc_lo, exec_lo, s18
	s_mov_b32 s18, 0
	s_cbranch_vccz .LBB151_2487
; %bb.2486:
	s_cmp_lg_u32 s16, 11
	s_mov_b32 s18, -1
	s_cselect_b32 s17, -1, 0
.LBB151_2487:
	s_delay_alu instid0(SALU_CYCLE_1)
	s_and_b32 vcc_lo, exec_lo, s17
	s_cbranch_vccnz .LBB151_2550
; %bb.2488:
	s_and_not1_b32 vcc_lo, exec_lo, s18
	s_cbranch_vccnz .LBB151_2490
.LBB151_2489:
	global_load_u8 v5, v[26:27], off
	s_mov_b32 s19, -1
	s_wait_loadcnt 0x0
	v_cmp_ne_u16_e32 vcc_lo, 0, v5
	v_cndmask_b32_e64 v5, 0, 1.0, vcc_lo
.LBB151_2490:
	s_branch .LBB151_2417
.LBB151_2491:
	s_and_b32 s16, 0xffff, s15
	s_delay_alu instid0(SALU_CYCLE_1)
	s_cmp_lt_i32 s16, 5
	s_cbranch_scc1 .LBB151_2496
; %bb.2492:
	s_cmp_lt_i32 s16, 8
	s_cbranch_scc1 .LBB151_2497
; %bb.2493:
	;; [unrolled: 3-line block ×3, first 2 shown]
	s_cmp_gt_i32 s16, 9
	s_cbranch_scc0 .LBB151_2499
; %bb.2495:
	global_load_b64 v[28:29], v[26:27], off
	s_mov_b32 s17, 0
	s_wait_loadcnt 0x0
	v_cvt_f32_f64_e32 v5, v[28:29]
	s_branch .LBB151_2500
.LBB151_2496:
	s_mov_b32 s17, -1
                                        ; implicit-def: $vgpr5
	s_branch .LBB151_2518
.LBB151_2497:
	s_mov_b32 s17, -1
                                        ; implicit-def: $vgpr5
	s_branch .LBB151_2506
.LBB151_2498:
	s_mov_b32 s17, -1
                                        ; implicit-def: $vgpr5
	s_branch .LBB151_2503
.LBB151_2499:
	s_mov_b32 s17, -1
                                        ; implicit-def: $vgpr5
.LBB151_2500:
	s_delay_alu instid0(SALU_CYCLE_1)
	s_and_not1_b32 vcc_lo, exec_lo, s17
	s_cbranch_vccnz .LBB151_2502
; %bb.2501:
	global_load_b32 v5, v[26:27], off
.LBB151_2502:
	s_mov_b32 s17, 0
.LBB151_2503:
	s_delay_alu instid0(SALU_CYCLE_1)
	s_and_not1_b32 vcc_lo, exec_lo, s17
	s_cbranch_vccnz .LBB151_2505
; %bb.2504:
	s_wait_loadcnt 0x0
	global_load_b32 v5, v[26:27], off
	s_wait_loadcnt 0x0
	v_cvt_f32_f16_e32 v5, v5
.LBB151_2505:
	s_mov_b32 s17, 0
.LBB151_2506:
	s_delay_alu instid0(SALU_CYCLE_1)
	s_and_not1_b32 vcc_lo, exec_lo, s17
	s_cbranch_vccnz .LBB151_2517
; %bb.2507:
	s_cmp_lt_i32 s16, 6
	s_cbranch_scc1 .LBB151_2510
; %bb.2508:
	s_cmp_gt_i32 s16, 6
	s_cbranch_scc0 .LBB151_2511
; %bb.2509:
	global_load_b64 v[28:29], v[26:27], off
	s_mov_b32 s17, 0
	s_wait_loadcnt 0x0
	v_cvt_f32_f64_e32 v5, v[28:29]
	s_branch .LBB151_2512
.LBB151_2510:
	s_mov_b32 s17, -1
                                        ; implicit-def: $vgpr5
	s_branch .LBB151_2515
.LBB151_2511:
	s_mov_b32 s17, -1
                                        ; implicit-def: $vgpr5
.LBB151_2512:
	s_delay_alu instid0(SALU_CYCLE_1)
	s_and_not1_b32 vcc_lo, exec_lo, s17
	s_cbranch_vccnz .LBB151_2514
; %bb.2513:
	s_wait_loadcnt 0x0
	global_load_b32 v5, v[26:27], off
.LBB151_2514:
	s_mov_b32 s17, 0
.LBB151_2515:
	s_delay_alu instid0(SALU_CYCLE_1)
	s_and_not1_b32 vcc_lo, exec_lo, s17
	s_cbranch_vccnz .LBB151_2517
; %bb.2516:
	s_wait_loadcnt 0x0
	global_load_u16 v5, v[26:27], off
	s_wait_loadcnt 0x0
	v_cvt_f32_f16_e32 v5, v5
.LBB151_2517:
	s_mov_b32 s17, 0
.LBB151_2518:
	s_delay_alu instid0(SALU_CYCLE_1)
	s_and_not1_b32 vcc_lo, exec_lo, s17
	s_cbranch_vccnz .LBB151_2538
; %bb.2519:
	s_cmp_lt_i32 s16, 2
	s_cbranch_scc1 .LBB151_2523
; %bb.2520:
	s_cmp_lt_i32 s16, 3
	s_cbranch_scc1 .LBB151_2524
; %bb.2521:
	s_cmp_gt_i32 s16, 3
	s_cbranch_scc0 .LBB151_2525
; %bb.2522:
	global_load_b64 v[28:29], v[26:27], off
	s_mov_b32 s17, 0
	s_wait_loadcnt 0x0
	v_xor_b32_e32 v5, v28, v29
	v_cls_i32_e32 v7, v29
	s_delay_alu instid0(VALU_DEP_2) | instskip(NEXT) | instid1(VALU_DEP_1)
	v_ashrrev_i32_e32 v5, 31, v5
	v_add_nc_u32_e32 v5, 32, v5
	s_delay_alu instid0(VALU_DEP_1) | instskip(NEXT) | instid1(VALU_DEP_1)
	v_add_min_u32_e64 v5, v7, -1, v5
	v_lshlrev_b64_e32 v[28:29], v5, v[28:29]
	v_sub_nc_u32_e32 v5, 32, v5
	s_delay_alu instid0(VALU_DEP_2) | instskip(NEXT) | instid1(VALU_DEP_1)
	v_min_u32_e32 v7, 1, v28
	v_or_b32_e32 v7, v29, v7
	s_delay_alu instid0(VALU_DEP_1) | instskip(NEXT) | instid1(VALU_DEP_1)
	v_cvt_f32_i32_e32 v7, v7
	v_ldexp_f32 v5, v7, v5
	s_branch .LBB151_2526
.LBB151_2523:
	s_mov_b32 s17, -1
                                        ; implicit-def: $vgpr5
	s_branch .LBB151_2532
.LBB151_2524:
	s_mov_b32 s17, -1
                                        ; implicit-def: $vgpr5
	s_branch .LBB151_2529
.LBB151_2525:
	s_mov_b32 s17, -1
                                        ; implicit-def: $vgpr5
.LBB151_2526:
	s_delay_alu instid0(SALU_CYCLE_1)
	s_and_not1_b32 vcc_lo, exec_lo, s17
	s_cbranch_vccnz .LBB151_2528
; %bb.2527:
	s_wait_loadcnt 0x0
	global_load_b32 v5, v[26:27], off
	s_wait_loadcnt 0x0
	v_cvt_f32_i32_e32 v5, v5
.LBB151_2528:
	s_mov_b32 s17, 0
.LBB151_2529:
	s_delay_alu instid0(SALU_CYCLE_1)
	s_and_not1_b32 vcc_lo, exec_lo, s17
	s_cbranch_vccnz .LBB151_2531
; %bb.2530:
	s_wait_loadcnt 0x0
	global_load_i16 v5, v[26:27], off
	s_wait_loadcnt 0x0
	v_cvt_f32_i32_e32 v5, v5
.LBB151_2531:
	s_mov_b32 s17, 0
.LBB151_2532:
	s_delay_alu instid0(SALU_CYCLE_1)
	s_and_not1_b32 vcc_lo, exec_lo, s17
	s_cbranch_vccnz .LBB151_2538
; %bb.2533:
	s_cmp_gt_i32 s16, 0
	s_mov_b32 s16, 0
	s_cbranch_scc0 .LBB151_2535
; %bb.2534:
	s_wait_loadcnt 0x0
	global_load_i8 v5, v[26:27], off
	s_wait_loadcnt 0x0
	v_cvt_f32_i32_e32 v5, v5
	s_branch .LBB151_2536
.LBB151_2535:
	s_mov_b32 s16, -1
                                        ; implicit-def: $vgpr5
.LBB151_2536:
	s_delay_alu instid0(SALU_CYCLE_1)
	s_and_not1_b32 vcc_lo, exec_lo, s16
	s_cbranch_vccnz .LBB151_2538
; %bb.2537:
	s_wait_loadcnt 0x0
	global_load_u8 v5, v[26:27], off
	s_wait_loadcnt 0x0
	v_cvt_f32_ubyte0_e32 v5, v5
.LBB151_2538:
.LBB151_2539:
	v_mov_b32_e32 v25, 0
	s_and_b32 s13, 0xffff, s13
	s_delay_alu instid0(SALU_CYCLE_1) | instskip(NEXT) | instid1(VALU_DEP_1)
	s_cmp_lt_i32 s13, 11
	v_add_nc_u64_e32 v[24:25], s[6:7], v[24:25]
	s_cbranch_scc1 .LBB151_2546
; %bb.2540:
	s_cmp_gt_i32 s13, 25
	s_mov_b32 s17, 0
	s_cbranch_scc0 .LBB151_2547
; %bb.2541:
	s_cmp_gt_i32 s13, 28
	s_cbranch_scc0 .LBB151_2548
; %bb.2542:
	s_cmp_gt_i32 s13, 43
	;; [unrolled: 3-line block ×3, first 2 shown]
	s_cbranch_scc0 .LBB151_2551
; %bb.2544:
	s_cmp_eq_u32 s13, 46
	s_mov_b32 s19, 0
	s_cbranch_scc0 .LBB151_2552
; %bb.2545:
	global_load_b32 v7, v[24:25], off
	s_mov_b32 s16, 0
	s_mov_b32 s18, -1
	s_wait_loadcnt 0x0
	s_wait_xcnt 0x1
	v_lshlrev_b32_e32 v26, 16, v7
	s_branch .LBB151_2554
.LBB151_2546:
	s_mov_b32 s16, -1
	s_mov_b32 s18, 0
                                        ; implicit-def: $vgpr26
	s_branch .LBB151_2620
.LBB151_2547:
	s_mov_b32 s19, -1
	s_mov_b32 s18, 0
	s_mov_b32 s16, 0
                                        ; implicit-def: $vgpr26
	s_branch .LBB151_2583
.LBB151_2548:
	s_mov_b32 s19, -1
	s_mov_b32 s18, 0
	s_mov_b32 s16, 0
                                        ; implicit-def: $vgpr26
	s_branch .LBB151_2564
.LBB151_2549:
	s_mov_b32 s19, -1
	s_mov_b32 s18, 0
	s_mov_b32 s16, 0
                                        ; implicit-def: $vgpr26
	s_branch .LBB151_2559
.LBB151_2550:
	s_or_b32 s12, s12, exec_lo
	s_trap 2
	s_cbranch_execz .LBB151_2489
	s_branch .LBB151_2490
.LBB151_2551:
	s_mov_b32 s19, -1
	s_mov_b32 s18, 0
	s_mov_b32 s16, 0
	s_branch .LBB151_2553
.LBB151_2552:
	s_mov_b32 s16, -1
	s_mov_b32 s18, 0
.LBB151_2553:
                                        ; implicit-def: $vgpr26
.LBB151_2554:
	s_and_b32 vcc_lo, exec_lo, s19
	s_cbranch_vccz .LBB151_2558
; %bb.2555:
	s_cmp_eq_u32 s13, 44
	s_cbranch_scc0 .LBB151_2557
; %bb.2556:
	global_load_u8 v7, v[24:25], off
	s_mov_b32 s16, 0
	s_mov_b32 s18, -1
	s_wait_loadcnt 0x0
	v_lshlrev_b32_e32 v9, 23, v7
	v_cmp_ne_u32_e32 vcc_lo, 0xff, v7
	s_delay_alu instid0(VALU_DEP_2) | instskip(SKIP_2) | instid1(VALU_DEP_2)
	v_cndmask_b32_e32 v9, 0x7f800001, v9, vcc_lo
	v_cmp_ne_u32_e32 vcc_lo, 0, v7
	s_wait_xcnt 0x1
	v_cndmask_b32_e32 v26, 0x400000, v9, vcc_lo
	s_branch .LBB151_2558
.LBB151_2557:
	s_mov_b32 s16, -1
                                        ; implicit-def: $vgpr26
.LBB151_2558:
	s_mov_b32 s19, 0
.LBB151_2559:
	s_delay_alu instid0(SALU_CYCLE_1)
	s_and_b32 vcc_lo, exec_lo, s19
	s_cbranch_vccz .LBB151_2563
; %bb.2560:
	s_cmp_eq_u32 s13, 29
	s_cbranch_scc0 .LBB151_2562
; %bb.2561:
	global_load_b64 v[26:27], v[24:25], off
	s_mov_b32 s16, 0
	s_mov_b32 s18, -1
	s_mov_b32 s19, 0
	s_wait_loadcnt 0x0
	v_clz_i32_u32_e32 v7, v27
	s_delay_alu instid0(VALU_DEP_1) | instskip(NEXT) | instid1(VALU_DEP_1)
	v_min_u32_e32 v7, 32, v7
	v_lshlrev_b64_e32 v[26:27], v7, v[26:27]
	v_sub_nc_u32_e32 v7, 32, v7
	s_delay_alu instid0(VALU_DEP_2) | instskip(NEXT) | instid1(VALU_DEP_1)
	v_min_u32_e32 v9, 1, v26
	v_or_b32_e32 v9, v27, v9
	s_delay_alu instid0(VALU_DEP_1) | instskip(NEXT) | instid1(VALU_DEP_1)
	v_cvt_f32_u32_e32 v9, v9
	v_ldexp_f32 v26, v9, v7
	s_branch .LBB151_2564
.LBB151_2562:
	s_mov_b32 s16, -1
                                        ; implicit-def: $vgpr26
.LBB151_2563:
	s_mov_b32 s19, 0
.LBB151_2564:
	s_delay_alu instid0(SALU_CYCLE_1)
	s_and_b32 vcc_lo, exec_lo, s19
	s_cbranch_vccz .LBB151_2582
; %bb.2565:
	s_cmp_lt_i32 s13, 27
	s_cbranch_scc1 .LBB151_2568
; %bb.2566:
	s_cmp_gt_i32 s13, 27
	s_cbranch_scc0 .LBB151_2569
; %bb.2567:
	global_load_b32 v7, v[24:25], off
	s_mov_b32 s18, 0
	s_wait_loadcnt 0x0
	s_wait_xcnt 0x1
	v_cvt_f32_u32_e32 v26, v7
	s_branch .LBB151_2570
.LBB151_2568:
	s_mov_b32 s18, -1
                                        ; implicit-def: $vgpr26
	s_branch .LBB151_2573
.LBB151_2569:
	s_mov_b32 s18, -1
                                        ; implicit-def: $vgpr26
.LBB151_2570:
	s_delay_alu instid0(SALU_CYCLE_1)
	s_and_not1_b32 vcc_lo, exec_lo, s18
	s_cbranch_vccnz .LBB151_2572
; %bb.2571:
	global_load_u16 v7, v[24:25], off
	s_wait_loadcnt 0x0
	s_wait_xcnt 0x1
	v_cvt_f32_u32_e32 v26, v7
.LBB151_2572:
	s_mov_b32 s18, 0
.LBB151_2573:
	s_delay_alu instid0(SALU_CYCLE_1)
	s_and_not1_b32 vcc_lo, exec_lo, s18
	s_cbranch_vccnz .LBB151_2581
; %bb.2574:
	global_load_u8 v7, v[24:25], off
	s_mov_b32 s18, 0
	s_mov_b32 s19, exec_lo
	s_wait_loadcnt 0x0
	v_cmpx_lt_i16_e32 0x7f, v7
	s_xor_b32 s19, exec_lo, s19
	s_cbranch_execz .LBB151_2595
; %bb.2575:
	s_mov_b32 s18, -1
	s_mov_b32 s20, exec_lo
	v_cmpx_eq_u16_e32 0x80, v7
; %bb.2576:
	s_xor_b32 s18, exec_lo, -1
; %bb.2577:
	s_or_b32 exec_lo, exec_lo, s20
	s_delay_alu instid0(SALU_CYCLE_1)
	s_and_b32 s18, s18, exec_lo
	s_or_saveexec_b32 s19, s19
	v_mov_b32_e32 v26, 0x7f800001
	s_xor_b32 exec_lo, exec_lo, s19
	s_cbranch_execnz .LBB151_2596
.LBB151_2578:
	s_or_b32 exec_lo, exec_lo, s19
	s_and_saveexec_b32 s19, s18
	s_cbranch_execz .LBB151_2580
.LBB151_2579:
	v_and_b32_e32 v9, 0xffff, v7
	s_delay_alu instid0(VALU_DEP_1) | instskip(SKIP_1) | instid1(VALU_DEP_2)
	v_dual_lshlrev_b32 v7, 24, v7 :: v_dual_bitop2_b32 v11, 7, v9 bitop3:0x40
	v_bfe_u32 v17, v9, 3, 4
	v_and_b32_e32 v7, 0x80000000, v7
	s_delay_alu instid0(VALU_DEP_3) | instskip(NEXT) | instid1(VALU_DEP_3)
	v_clz_i32_u32_e32 v13, v11
	v_cmp_eq_u32_e32 vcc_lo, 0, v17
	s_delay_alu instid0(VALU_DEP_2) | instskip(NEXT) | instid1(VALU_DEP_1)
	v_min_u32_e32 v13, 32, v13
	v_subrev_nc_u32_e32 v15, 28, v13
	v_sub_nc_u32_e32 v13, 29, v13
	s_delay_alu instid0(VALU_DEP_2) | instskip(NEXT) | instid1(VALU_DEP_2)
	v_lshlrev_b32_e32 v9, v15, v9
	v_cndmask_b32_e32 v13, v17, v13, vcc_lo
	s_delay_alu instid0(VALU_DEP_2) | instskip(NEXT) | instid1(VALU_DEP_1)
	v_and_b32_e32 v9, 7, v9
	v_cndmask_b32_e32 v9, v11, v9, vcc_lo
	s_delay_alu instid0(VALU_DEP_3) | instskip(NEXT) | instid1(VALU_DEP_2)
	v_lshl_add_u32 v11, v13, 23, 0x3b800000
	v_lshlrev_b32_e32 v9, 20, v9
	s_delay_alu instid0(VALU_DEP_1)
	v_or3_b32 v26, v7, v11, v9
.LBB151_2580:
	s_or_b32 exec_lo, exec_lo, s19
.LBB151_2581:
	s_mov_b32 s18, -1
.LBB151_2582:
	s_mov_b32 s19, 0
.LBB151_2583:
	s_delay_alu instid0(SALU_CYCLE_1)
	s_and_b32 vcc_lo, exec_lo, s19
	s_cbranch_vccz .LBB151_2616
; %bb.2584:
	s_cmp_gt_i32 s13, 22
	s_cbranch_scc0 .LBB151_2594
; %bb.2585:
	s_cmp_lt_i32 s13, 24
	s_cbranch_scc1 .LBB151_2597
; %bb.2586:
	s_cmp_gt_i32 s13, 24
	s_cbranch_scc0 .LBB151_2598
; %bb.2587:
	global_load_u8 v7, v[24:25], off
	s_mov_b32 s18, exec_lo
	s_wait_loadcnt 0x0
	v_cmpx_lt_i16_e32 0x7f, v7
	s_xor_b32 s18, exec_lo, s18
	s_cbranch_execz .LBB151_2610
; %bb.2588:
	s_mov_b32 s17, -1
	s_mov_b32 s19, exec_lo
	v_cmpx_eq_u16_e32 0x80, v7
; %bb.2589:
	s_xor_b32 s17, exec_lo, -1
; %bb.2590:
	s_or_b32 exec_lo, exec_lo, s19
	s_delay_alu instid0(SALU_CYCLE_1)
	s_and_b32 s17, s17, exec_lo
	s_or_saveexec_b32 s18, s18
	v_mov_b32_e32 v26, 0x7f800001
	s_xor_b32 exec_lo, exec_lo, s18
	s_cbranch_execnz .LBB151_2611
.LBB151_2591:
	s_or_b32 exec_lo, exec_lo, s18
	s_and_saveexec_b32 s18, s17
	s_cbranch_execz .LBB151_2593
.LBB151_2592:
	v_and_b32_e32 v9, 0xffff, v7
	s_delay_alu instid0(VALU_DEP_1) | instskip(SKIP_1) | instid1(VALU_DEP_2)
	v_dual_lshlrev_b32 v7, 24, v7 :: v_dual_bitop2_b32 v11, 3, v9 bitop3:0x40
	v_bfe_u32 v17, v9, 2, 5
	v_and_b32_e32 v7, 0x80000000, v7
	s_delay_alu instid0(VALU_DEP_3) | instskip(NEXT) | instid1(VALU_DEP_3)
	v_clz_i32_u32_e32 v13, v11
	v_cmp_eq_u32_e32 vcc_lo, 0, v17
	s_delay_alu instid0(VALU_DEP_2) | instskip(NEXT) | instid1(VALU_DEP_1)
	v_min_u32_e32 v13, 32, v13
	v_subrev_nc_u32_e32 v15, 29, v13
	v_sub_nc_u32_e32 v13, 30, v13
	s_delay_alu instid0(VALU_DEP_2) | instskip(NEXT) | instid1(VALU_DEP_2)
	v_lshlrev_b32_e32 v9, v15, v9
	v_cndmask_b32_e32 v13, v17, v13, vcc_lo
	s_delay_alu instid0(VALU_DEP_2) | instskip(NEXT) | instid1(VALU_DEP_1)
	v_and_b32_e32 v9, 3, v9
	v_cndmask_b32_e32 v9, v11, v9, vcc_lo
	s_delay_alu instid0(VALU_DEP_3) | instskip(NEXT) | instid1(VALU_DEP_2)
	v_lshl_add_u32 v11, v13, 23, 0x37800000
	v_lshlrev_b32_e32 v9, 21, v9
	s_delay_alu instid0(VALU_DEP_1)
	v_or3_b32 v26, v7, v11, v9
.LBB151_2593:
	s_or_b32 exec_lo, exec_lo, s18
	s_mov_b32 s17, 0
	s_branch .LBB151_2599
.LBB151_2594:
	s_mov_b32 s17, -1
                                        ; implicit-def: $vgpr26
	s_branch .LBB151_2605
.LBB151_2595:
	s_or_saveexec_b32 s19, s19
	v_mov_b32_e32 v26, 0x7f800001
	s_xor_b32 exec_lo, exec_lo, s19
	s_cbranch_execz .LBB151_2578
.LBB151_2596:
	v_cmp_ne_u16_e32 vcc_lo, 0, v7
	v_mov_b32_e32 v26, 0
	s_and_not1_b32 s18, s18, exec_lo
	s_and_b32 s20, vcc_lo, exec_lo
	s_delay_alu instid0(SALU_CYCLE_1)
	s_or_b32 s18, s18, s20
	s_or_b32 exec_lo, exec_lo, s19
	s_and_saveexec_b32 s19, s18
	s_cbranch_execnz .LBB151_2579
	s_branch .LBB151_2580
.LBB151_2597:
	s_mov_b32 s17, -1
                                        ; implicit-def: $vgpr26
	s_branch .LBB151_2602
.LBB151_2598:
	s_mov_b32 s17, -1
                                        ; implicit-def: $vgpr26
.LBB151_2599:
	s_delay_alu instid0(SALU_CYCLE_1)
	s_and_b32 vcc_lo, exec_lo, s17
	s_cbranch_vccz .LBB151_2601
; %bb.2600:
	global_load_u8 v7, v[24:25], off
	s_wait_loadcnt 0x0
	v_lshlrev_b32_e32 v7, 24, v7
	s_delay_alu instid0(VALU_DEP_1) | instskip(NEXT) | instid1(VALU_DEP_1)
	v_and_b32_e32 v9, 0x7f000000, v7
	v_clz_i32_u32_e32 v11, v9
	v_add_nc_u32_e32 v15, 0x1000000, v9
	v_cmp_ne_u32_e32 vcc_lo, 0, v9
	s_delay_alu instid0(VALU_DEP_3) | instskip(NEXT) | instid1(VALU_DEP_1)
	v_min_u32_e32 v11, 32, v11
	v_sub_nc_u32_e64 v11, v11, 4 clamp
	s_delay_alu instid0(VALU_DEP_1) | instskip(NEXT) | instid1(VALU_DEP_1)
	v_dual_lshlrev_b32 v13, v11, v9 :: v_dual_lshlrev_b32 v11, 23, v11
	v_lshrrev_b32_e32 v13, 4, v13
	s_delay_alu instid0(VALU_DEP_1) | instskip(SKIP_1) | instid1(VALU_DEP_2)
	v_sub_nc_u32_e32 v11, v13, v11
	v_ashrrev_i32_e32 v13, 8, v15
	v_add_nc_u32_e32 v11, 0x3c000000, v11
	s_delay_alu instid0(VALU_DEP_1) | instskip(NEXT) | instid1(VALU_DEP_1)
	v_and_or_b32 v11, 0x7f800000, v13, v11
	v_cndmask_b32_e32 v9, 0, v11, vcc_lo
	s_wait_xcnt 0x1
	s_delay_alu instid0(VALU_DEP_1)
	v_and_or_b32 v26, 0x80000000, v7, v9
.LBB151_2601:
	s_mov_b32 s17, 0
.LBB151_2602:
	s_delay_alu instid0(SALU_CYCLE_1)
	s_and_not1_b32 vcc_lo, exec_lo, s17
	s_cbranch_vccnz .LBB151_2604
; %bb.2603:
	global_load_u8 v7, v[24:25], off
	s_wait_loadcnt 0x0
	v_lshlrev_b32_e32 v9, 25, v7
	v_lshlrev_b16 v7, 8, v7
	s_delay_alu instid0(VALU_DEP_1) | instskip(SKIP_1) | instid1(VALU_DEP_2)
	v_and_or_b32 v13, 0x7f00, v7, 0.5
	v_bfe_i32 v7, v7, 0, 16
	v_add_f32_e32 v13, -0.5, v13
	v_lshrrev_b32_e32 v11, 4, v9
	v_cmp_gt_u32_e32 vcc_lo, 0x8000000, v9
	s_delay_alu instid0(VALU_DEP_2) | instskip(NEXT) | instid1(VALU_DEP_1)
	v_or_b32_e32 v11, 0x70000000, v11
	v_mul_f32_e32 v11, 0x7800000, v11
	s_delay_alu instid0(VALU_DEP_1) | instskip(SKIP_1) | instid1(VALU_DEP_1)
	v_cndmask_b32_e32 v9, v11, v13, vcc_lo
	s_wait_xcnt 0x1
	v_and_or_b32 v26, 0x80000000, v7, v9
.LBB151_2604:
	s_mov_b32 s17, 0
	s_mov_b32 s18, -1
.LBB151_2605:
	s_and_not1_b32 vcc_lo, exec_lo, s17
	s_mov_b32 s17, 0
	s_cbranch_vccnz .LBB151_2616
; %bb.2606:
	s_cmp_gt_i32 s13, 14
	s_cbranch_scc0 .LBB151_2609
; %bb.2607:
	s_cmp_eq_u32 s13, 15
	s_cbranch_scc0 .LBB151_2612
; %bb.2608:
	global_load_u16 v7, v[24:25], off
	s_mov_b32 s16, 0
	s_mov_b32 s18, -1
	s_wait_loadcnt 0x0
	s_wait_xcnt 0x1
	v_lshlrev_b32_e32 v26, 16, v7
	s_branch .LBB151_2614
.LBB151_2609:
	s_mov_b32 s17, -1
	s_branch .LBB151_2613
.LBB151_2610:
	s_or_saveexec_b32 s18, s18
	v_mov_b32_e32 v26, 0x7f800001
	s_xor_b32 exec_lo, exec_lo, s18
	s_cbranch_execz .LBB151_2591
.LBB151_2611:
	v_cmp_ne_u16_e32 vcc_lo, 0, v7
	v_mov_b32_e32 v26, 0
	s_and_not1_b32 s17, s17, exec_lo
	s_and_b32 s19, vcc_lo, exec_lo
	s_delay_alu instid0(SALU_CYCLE_1)
	s_or_b32 s17, s17, s19
	s_or_b32 exec_lo, exec_lo, s18
	s_and_saveexec_b32 s18, s17
	s_cbranch_execnz .LBB151_2592
	s_branch .LBB151_2593
.LBB151_2612:
	s_mov_b32 s16, -1
.LBB151_2613:
                                        ; implicit-def: $vgpr26
.LBB151_2614:
	s_and_b32 vcc_lo, exec_lo, s17
	s_mov_b32 s17, 0
	s_cbranch_vccz .LBB151_2616
; %bb.2615:
	s_cmp_lg_u32 s13, 11
	s_mov_b32 s17, -1
	s_cselect_b32 s16, -1, 0
.LBB151_2616:
	s_delay_alu instid0(SALU_CYCLE_1)
	s_and_b32 vcc_lo, exec_lo, s16
	s_cbranch_vccnz .LBB151_2681
; %bb.2617:
	s_and_not1_b32 vcc_lo, exec_lo, s17
	s_cbranch_vccnz .LBB151_2619
.LBB151_2618:
	global_load_u8 v7, v[24:25], off
	s_mov_b32 s18, -1
	s_wait_loadcnt 0x0
	v_cmp_ne_u16_e32 vcc_lo, 0, v7
	s_wait_xcnt 0x1
	v_cndmask_b32_e64 v26, 0, 1.0, vcc_lo
.LBB151_2619:
	s_mov_b32 s16, 0
.LBB151_2620:
	s_delay_alu instid0(SALU_CYCLE_1)
	s_and_b32 vcc_lo, exec_lo, s16
	s_cbranch_vccz .LBB151_2669
; %bb.2621:
	s_cmp_lt_i32 s13, 5
	s_cbranch_scc1 .LBB151_2626
; %bb.2622:
	s_cmp_lt_i32 s13, 8
	s_cbranch_scc1 .LBB151_2627
	;; [unrolled: 3-line block ×3, first 2 shown]
; %bb.2624:
	s_cmp_gt_i32 s13, 9
	s_cbranch_scc0 .LBB151_2629
; %bb.2625:
	global_load_b64 v[26:27], v[24:25], off
	s_mov_b32 s16, 0
	s_wait_loadcnt 0x0
	v_cvt_f32_f64_e32 v26, v[26:27]
	s_branch .LBB151_2630
.LBB151_2626:
	s_mov_b32 s16, -1
                                        ; implicit-def: $vgpr26
	s_branch .LBB151_2648
.LBB151_2627:
	s_mov_b32 s16, -1
                                        ; implicit-def: $vgpr26
	s_branch .LBB151_2636
.LBB151_2628:
	s_mov_b32 s16, -1
                                        ; implicit-def: $vgpr26
	s_branch .LBB151_2633
.LBB151_2629:
	s_mov_b32 s16, -1
                                        ; implicit-def: $vgpr26
.LBB151_2630:
	s_delay_alu instid0(SALU_CYCLE_1)
	s_and_not1_b32 vcc_lo, exec_lo, s16
	s_cbranch_vccnz .LBB151_2632
; %bb.2631:
	global_load_b32 v26, v[24:25], off
.LBB151_2632:
	s_mov_b32 s16, 0
.LBB151_2633:
	s_delay_alu instid0(SALU_CYCLE_1)
	s_and_not1_b32 vcc_lo, exec_lo, s16
	s_cbranch_vccnz .LBB151_2635
; %bb.2634:
	global_load_b32 v7, v[24:25], off
	s_wait_loadcnt 0x0
	s_wait_xcnt 0x1
	v_cvt_f32_f16_e32 v26, v7
.LBB151_2635:
	s_mov_b32 s16, 0
.LBB151_2636:
	s_delay_alu instid0(SALU_CYCLE_1)
	s_and_not1_b32 vcc_lo, exec_lo, s16
	s_cbranch_vccnz .LBB151_2647
; %bb.2637:
	s_cmp_lt_i32 s13, 6
	s_cbranch_scc1 .LBB151_2640
; %bb.2638:
	s_cmp_gt_i32 s13, 6
	s_cbranch_scc0 .LBB151_2641
; %bb.2639:
	s_wait_loadcnt 0x0
	global_load_b64 v[26:27], v[24:25], off
	s_mov_b32 s16, 0
	s_wait_loadcnt 0x0
	v_cvt_f32_f64_e32 v26, v[26:27]
	s_branch .LBB151_2642
.LBB151_2640:
	s_mov_b32 s16, -1
                                        ; implicit-def: $vgpr26
	s_branch .LBB151_2645
.LBB151_2641:
	s_mov_b32 s16, -1
                                        ; implicit-def: $vgpr26
.LBB151_2642:
	s_delay_alu instid0(SALU_CYCLE_1)
	s_and_not1_b32 vcc_lo, exec_lo, s16
	s_cbranch_vccnz .LBB151_2644
; %bb.2643:
	s_wait_loadcnt 0x0
	global_load_b32 v26, v[24:25], off
.LBB151_2644:
	s_mov_b32 s16, 0
.LBB151_2645:
	s_delay_alu instid0(SALU_CYCLE_1)
	s_and_not1_b32 vcc_lo, exec_lo, s16
	s_cbranch_vccnz .LBB151_2647
; %bb.2646:
	global_load_u16 v7, v[24:25], off
	s_wait_loadcnt 0x0
	s_wait_xcnt 0x1
	v_cvt_f32_f16_e32 v26, v7
.LBB151_2647:
	s_mov_b32 s16, 0
.LBB151_2648:
	s_delay_alu instid0(SALU_CYCLE_1)
	s_and_not1_b32 vcc_lo, exec_lo, s16
	s_cbranch_vccnz .LBB151_2668
; %bb.2649:
	s_cmp_lt_i32 s13, 2
	s_cbranch_scc1 .LBB151_2653
; %bb.2650:
	s_cmp_lt_i32 s13, 3
	s_cbranch_scc1 .LBB151_2654
; %bb.2651:
	s_cmp_gt_i32 s13, 3
	s_cbranch_scc0 .LBB151_2655
; %bb.2652:
	s_wait_loadcnt 0x0
	global_load_b64 v[26:27], v[24:25], off
	s_mov_b32 s16, 0
	s_wait_loadcnt 0x0
	v_xor_b32_e32 v7, v26, v27
	v_cls_i32_e32 v9, v27
	s_delay_alu instid0(VALU_DEP_2) | instskip(NEXT) | instid1(VALU_DEP_1)
	v_ashrrev_i32_e32 v7, 31, v7
	v_add_nc_u32_e32 v7, 32, v7
	s_delay_alu instid0(VALU_DEP_1) | instskip(NEXT) | instid1(VALU_DEP_1)
	v_add_min_u32_e64 v7, v9, -1, v7
	v_lshlrev_b64_e32 v[26:27], v7, v[26:27]
	v_sub_nc_u32_e32 v7, 32, v7
	s_delay_alu instid0(VALU_DEP_2) | instskip(NEXT) | instid1(VALU_DEP_1)
	v_min_u32_e32 v9, 1, v26
	v_or_b32_e32 v9, v27, v9
	s_delay_alu instid0(VALU_DEP_1) | instskip(NEXT) | instid1(VALU_DEP_1)
	v_cvt_f32_i32_e32 v9, v9
	v_ldexp_f32 v26, v9, v7
	s_branch .LBB151_2656
.LBB151_2653:
	s_mov_b32 s16, -1
                                        ; implicit-def: $vgpr26
	s_branch .LBB151_2662
.LBB151_2654:
	s_mov_b32 s16, -1
                                        ; implicit-def: $vgpr26
	s_branch .LBB151_2659
.LBB151_2655:
	s_mov_b32 s16, -1
                                        ; implicit-def: $vgpr26
.LBB151_2656:
	s_delay_alu instid0(SALU_CYCLE_1)
	s_and_not1_b32 vcc_lo, exec_lo, s16
	s_cbranch_vccnz .LBB151_2658
; %bb.2657:
	global_load_b32 v7, v[24:25], off
	s_wait_loadcnt 0x0
	s_wait_xcnt 0x1
	v_cvt_f32_i32_e32 v26, v7
.LBB151_2658:
	s_mov_b32 s16, 0
.LBB151_2659:
	s_delay_alu instid0(SALU_CYCLE_1)
	s_and_not1_b32 vcc_lo, exec_lo, s16
	s_cbranch_vccnz .LBB151_2661
; %bb.2660:
	global_load_i16 v7, v[24:25], off
	s_wait_loadcnt 0x0
	s_wait_xcnt 0x1
	v_cvt_f32_i32_e32 v26, v7
.LBB151_2661:
	s_mov_b32 s16, 0
.LBB151_2662:
	s_delay_alu instid0(SALU_CYCLE_1)
	s_and_not1_b32 vcc_lo, exec_lo, s16
	s_cbranch_vccnz .LBB151_2668
; %bb.2663:
	s_cmp_gt_i32 s13, 0
	s_mov_b32 s16, 0
	s_cbranch_scc0 .LBB151_2665
; %bb.2664:
	global_load_i8 v7, v[24:25], off
	s_wait_loadcnt 0x0
	s_wait_xcnt 0x1
	v_cvt_f32_i32_e32 v26, v7
	s_branch .LBB151_2666
.LBB151_2665:
	s_mov_b32 s16, -1
                                        ; implicit-def: $vgpr26
.LBB151_2666:
	s_delay_alu instid0(SALU_CYCLE_1)
	s_and_not1_b32 vcc_lo, exec_lo, s16
	s_cbranch_vccnz .LBB151_2668
; %bb.2667:
	global_load_u8 v7, v[24:25], off
	s_wait_loadcnt 0x0
	s_wait_xcnt 0x1
	v_cvt_f32_ubyte0_e32 v26, v7
.LBB151_2668:
	s_mov_b32 s18, -1
.LBB151_2669:
	s_delay_alu instid0(SALU_CYCLE_1)
	s_and_not1_b32 vcc_lo, exec_lo, s18
	s_cbranch_vccnz .LBB151_4155
; %bb.2670:
	v_mov_b32_e32 v23, 0
	s_and_b32 s14, 0xffff, s14
	s_delay_alu instid0(SALU_CYCLE_1) | instskip(NEXT) | instid1(VALU_DEP_1)
	s_cmp_lt_i32 s14, 11
	v_add_nc_u64_e32 v[22:23], s[0:1], v[22:23]
	s_cbranch_scc1 .LBB151_2677
; %bb.2671:
	s_cmp_gt_i32 s14, 25
	s_mov_b32 s17, 0
	s_cbranch_scc0 .LBB151_2678
; %bb.2672:
	s_cmp_gt_i32 s14, 28
	s_cbranch_scc0 .LBB151_2679
; %bb.2673:
	s_cmp_gt_i32 s14, 43
	;; [unrolled: 3-line block ×3, first 2 shown]
	s_cbranch_scc0 .LBB151_2682
; %bb.2675:
	s_cmp_eq_u32 s14, 46
	s_mov_b32 s19, 0
	s_cbranch_scc0 .LBB151_2683
; %bb.2676:
	global_load_b32 v7, v[22:23], off
	s_mov_b32 s16, 0
	s_mov_b32 s18, -1
	s_wait_loadcnt 0x0
	s_wait_xcnt 0x1
	v_lshlrev_b32_e32 v24, 16, v7
	s_branch .LBB151_2685
.LBB151_2677:
	s_mov_b32 s16, -1
	s_mov_b32 s18, 0
                                        ; implicit-def: $vgpr24
	s_branch .LBB151_2751
.LBB151_2678:
	s_mov_b32 s19, -1
	s_mov_b32 s18, 0
	s_mov_b32 s16, 0
                                        ; implicit-def: $vgpr24
	s_branch .LBB151_2714
.LBB151_2679:
	s_mov_b32 s19, -1
	s_mov_b32 s18, 0
	s_mov_b32 s16, 0
                                        ; implicit-def: $vgpr24
	s_branch .LBB151_2695
.LBB151_2680:
	s_mov_b32 s19, -1
	s_mov_b32 s18, 0
	s_mov_b32 s16, 0
                                        ; implicit-def: $vgpr24
	s_branch .LBB151_2690
.LBB151_2681:
	s_or_b32 s12, s12, exec_lo
	s_trap 2
	s_cbranch_execz .LBB151_2618
	s_branch .LBB151_2619
.LBB151_2682:
	s_mov_b32 s19, -1
	s_mov_b32 s18, 0
	s_mov_b32 s16, 0
	s_branch .LBB151_2684
.LBB151_2683:
	s_mov_b32 s16, -1
	s_mov_b32 s18, 0
.LBB151_2684:
                                        ; implicit-def: $vgpr24
.LBB151_2685:
	s_and_b32 vcc_lo, exec_lo, s19
	s_cbranch_vccz .LBB151_2689
; %bb.2686:
	s_cmp_eq_u32 s14, 44
	s_cbranch_scc0 .LBB151_2688
; %bb.2687:
	global_load_u8 v7, v[22:23], off
	s_mov_b32 s16, 0
	s_mov_b32 s18, -1
	s_wait_loadcnt 0x0
	v_lshlrev_b32_e32 v9, 23, v7
	v_cmp_ne_u32_e32 vcc_lo, 0xff, v7
	s_delay_alu instid0(VALU_DEP_2) | instskip(SKIP_2) | instid1(VALU_DEP_2)
	v_cndmask_b32_e32 v9, 0x7f800001, v9, vcc_lo
	v_cmp_ne_u32_e32 vcc_lo, 0, v7
	s_wait_xcnt 0x1
	v_cndmask_b32_e32 v24, 0x400000, v9, vcc_lo
	s_branch .LBB151_2689
.LBB151_2688:
	s_mov_b32 s16, -1
                                        ; implicit-def: $vgpr24
.LBB151_2689:
	s_mov_b32 s19, 0
.LBB151_2690:
	s_delay_alu instid0(SALU_CYCLE_1)
	s_and_b32 vcc_lo, exec_lo, s19
	s_cbranch_vccz .LBB151_2694
; %bb.2691:
	s_cmp_eq_u32 s14, 29
	s_cbranch_scc0 .LBB151_2693
; %bb.2692:
	global_load_b64 v[24:25], v[22:23], off
	s_mov_b32 s16, 0
	s_mov_b32 s18, -1
	s_mov_b32 s19, 0
	s_wait_loadcnt 0x0
	v_clz_i32_u32_e32 v7, v25
	s_delay_alu instid0(VALU_DEP_1) | instskip(NEXT) | instid1(VALU_DEP_1)
	v_min_u32_e32 v7, 32, v7
	v_lshlrev_b64_e32 v[24:25], v7, v[24:25]
	v_sub_nc_u32_e32 v7, 32, v7
	s_delay_alu instid0(VALU_DEP_2) | instskip(NEXT) | instid1(VALU_DEP_1)
	v_min_u32_e32 v9, 1, v24
	v_or_b32_e32 v9, v25, v9
	s_delay_alu instid0(VALU_DEP_1) | instskip(NEXT) | instid1(VALU_DEP_1)
	v_cvt_f32_u32_e32 v9, v9
	v_ldexp_f32 v24, v9, v7
	s_branch .LBB151_2695
.LBB151_2693:
	s_mov_b32 s16, -1
                                        ; implicit-def: $vgpr24
.LBB151_2694:
	s_mov_b32 s19, 0
.LBB151_2695:
	s_delay_alu instid0(SALU_CYCLE_1)
	s_and_b32 vcc_lo, exec_lo, s19
	s_cbranch_vccz .LBB151_2713
; %bb.2696:
	s_cmp_lt_i32 s14, 27
	s_cbranch_scc1 .LBB151_2699
; %bb.2697:
	s_cmp_gt_i32 s14, 27
	s_cbranch_scc0 .LBB151_2700
; %bb.2698:
	global_load_b32 v7, v[22:23], off
	s_mov_b32 s18, 0
	s_wait_loadcnt 0x0
	s_wait_xcnt 0x1
	v_cvt_f32_u32_e32 v24, v7
	s_branch .LBB151_2701
.LBB151_2699:
	s_mov_b32 s18, -1
                                        ; implicit-def: $vgpr24
	s_branch .LBB151_2704
.LBB151_2700:
	s_mov_b32 s18, -1
                                        ; implicit-def: $vgpr24
.LBB151_2701:
	s_delay_alu instid0(SALU_CYCLE_1)
	s_and_not1_b32 vcc_lo, exec_lo, s18
	s_cbranch_vccnz .LBB151_2703
; %bb.2702:
	global_load_u16 v7, v[22:23], off
	s_wait_loadcnt 0x0
	s_wait_xcnt 0x1
	v_cvt_f32_u32_e32 v24, v7
.LBB151_2703:
	s_mov_b32 s18, 0
.LBB151_2704:
	s_delay_alu instid0(SALU_CYCLE_1)
	s_and_not1_b32 vcc_lo, exec_lo, s18
	s_cbranch_vccnz .LBB151_2712
; %bb.2705:
	global_load_u8 v7, v[22:23], off
	s_mov_b32 s18, 0
	s_mov_b32 s19, exec_lo
	s_wait_loadcnt 0x0
	v_cmpx_lt_i16_e32 0x7f, v7
	s_xor_b32 s19, exec_lo, s19
	s_cbranch_execz .LBB151_2726
; %bb.2706:
	s_mov_b32 s18, -1
	s_mov_b32 s20, exec_lo
	v_cmpx_eq_u16_e32 0x80, v7
; %bb.2707:
	s_xor_b32 s18, exec_lo, -1
; %bb.2708:
	s_or_b32 exec_lo, exec_lo, s20
	s_delay_alu instid0(SALU_CYCLE_1)
	s_and_b32 s18, s18, exec_lo
	s_or_saveexec_b32 s19, s19
	v_mov_b32_e32 v24, 0x7f800001
	s_xor_b32 exec_lo, exec_lo, s19
	s_cbranch_execnz .LBB151_2727
.LBB151_2709:
	s_or_b32 exec_lo, exec_lo, s19
	s_and_saveexec_b32 s19, s18
	s_cbranch_execz .LBB151_2711
.LBB151_2710:
	v_and_b32_e32 v9, 0xffff, v7
	s_delay_alu instid0(VALU_DEP_1) | instskip(SKIP_1) | instid1(VALU_DEP_2)
	v_dual_lshlrev_b32 v7, 24, v7 :: v_dual_bitop2_b32 v11, 7, v9 bitop3:0x40
	v_bfe_u32 v17, v9, 3, 4
	v_and_b32_e32 v7, 0x80000000, v7
	s_delay_alu instid0(VALU_DEP_3) | instskip(NEXT) | instid1(VALU_DEP_3)
	v_clz_i32_u32_e32 v13, v11
	v_cmp_eq_u32_e32 vcc_lo, 0, v17
	s_delay_alu instid0(VALU_DEP_2) | instskip(NEXT) | instid1(VALU_DEP_1)
	v_min_u32_e32 v13, 32, v13
	v_subrev_nc_u32_e32 v15, 28, v13
	v_sub_nc_u32_e32 v13, 29, v13
	s_delay_alu instid0(VALU_DEP_2) | instskip(NEXT) | instid1(VALU_DEP_2)
	v_lshlrev_b32_e32 v9, v15, v9
	v_cndmask_b32_e32 v13, v17, v13, vcc_lo
	s_delay_alu instid0(VALU_DEP_2) | instskip(NEXT) | instid1(VALU_DEP_1)
	v_and_b32_e32 v9, 7, v9
	v_cndmask_b32_e32 v9, v11, v9, vcc_lo
	s_delay_alu instid0(VALU_DEP_3) | instskip(NEXT) | instid1(VALU_DEP_2)
	v_lshl_add_u32 v11, v13, 23, 0x3b800000
	v_lshlrev_b32_e32 v9, 20, v9
	s_delay_alu instid0(VALU_DEP_1)
	v_or3_b32 v24, v7, v11, v9
.LBB151_2711:
	s_or_b32 exec_lo, exec_lo, s19
.LBB151_2712:
	s_mov_b32 s18, -1
.LBB151_2713:
	s_mov_b32 s19, 0
.LBB151_2714:
	s_delay_alu instid0(SALU_CYCLE_1)
	s_and_b32 vcc_lo, exec_lo, s19
	s_cbranch_vccz .LBB151_2747
; %bb.2715:
	s_cmp_gt_i32 s14, 22
	s_cbranch_scc0 .LBB151_2725
; %bb.2716:
	s_cmp_lt_i32 s14, 24
	s_cbranch_scc1 .LBB151_2728
; %bb.2717:
	s_cmp_gt_i32 s14, 24
	s_cbranch_scc0 .LBB151_2729
; %bb.2718:
	global_load_u8 v7, v[22:23], off
	s_mov_b32 s18, exec_lo
	s_wait_loadcnt 0x0
	v_cmpx_lt_i16_e32 0x7f, v7
	s_xor_b32 s18, exec_lo, s18
	s_cbranch_execz .LBB151_2741
; %bb.2719:
	s_mov_b32 s17, -1
	s_mov_b32 s19, exec_lo
	v_cmpx_eq_u16_e32 0x80, v7
; %bb.2720:
	s_xor_b32 s17, exec_lo, -1
; %bb.2721:
	s_or_b32 exec_lo, exec_lo, s19
	s_delay_alu instid0(SALU_CYCLE_1)
	s_and_b32 s17, s17, exec_lo
	s_or_saveexec_b32 s18, s18
	v_mov_b32_e32 v24, 0x7f800001
	s_xor_b32 exec_lo, exec_lo, s18
	s_cbranch_execnz .LBB151_2742
.LBB151_2722:
	s_or_b32 exec_lo, exec_lo, s18
	s_and_saveexec_b32 s18, s17
	s_cbranch_execz .LBB151_2724
.LBB151_2723:
	v_and_b32_e32 v9, 0xffff, v7
	s_delay_alu instid0(VALU_DEP_1) | instskip(SKIP_1) | instid1(VALU_DEP_2)
	v_dual_lshlrev_b32 v7, 24, v7 :: v_dual_bitop2_b32 v11, 3, v9 bitop3:0x40
	v_bfe_u32 v17, v9, 2, 5
	v_and_b32_e32 v7, 0x80000000, v7
	s_delay_alu instid0(VALU_DEP_3) | instskip(NEXT) | instid1(VALU_DEP_3)
	v_clz_i32_u32_e32 v13, v11
	v_cmp_eq_u32_e32 vcc_lo, 0, v17
	s_delay_alu instid0(VALU_DEP_2) | instskip(NEXT) | instid1(VALU_DEP_1)
	v_min_u32_e32 v13, 32, v13
	v_subrev_nc_u32_e32 v15, 29, v13
	v_sub_nc_u32_e32 v13, 30, v13
	s_delay_alu instid0(VALU_DEP_2) | instskip(NEXT) | instid1(VALU_DEP_2)
	v_lshlrev_b32_e32 v9, v15, v9
	v_cndmask_b32_e32 v13, v17, v13, vcc_lo
	s_delay_alu instid0(VALU_DEP_2) | instskip(NEXT) | instid1(VALU_DEP_1)
	v_and_b32_e32 v9, 3, v9
	v_cndmask_b32_e32 v9, v11, v9, vcc_lo
	s_delay_alu instid0(VALU_DEP_3) | instskip(NEXT) | instid1(VALU_DEP_2)
	v_lshl_add_u32 v11, v13, 23, 0x37800000
	v_lshlrev_b32_e32 v9, 21, v9
	s_delay_alu instid0(VALU_DEP_1)
	v_or3_b32 v24, v7, v11, v9
.LBB151_2724:
	s_or_b32 exec_lo, exec_lo, s18
	s_mov_b32 s17, 0
	s_branch .LBB151_2730
.LBB151_2725:
	s_mov_b32 s17, -1
                                        ; implicit-def: $vgpr24
	s_branch .LBB151_2736
.LBB151_2726:
	s_or_saveexec_b32 s19, s19
	v_mov_b32_e32 v24, 0x7f800001
	s_xor_b32 exec_lo, exec_lo, s19
	s_cbranch_execz .LBB151_2709
.LBB151_2727:
	v_cmp_ne_u16_e32 vcc_lo, 0, v7
	v_mov_b32_e32 v24, 0
	s_and_not1_b32 s18, s18, exec_lo
	s_and_b32 s20, vcc_lo, exec_lo
	s_delay_alu instid0(SALU_CYCLE_1)
	s_or_b32 s18, s18, s20
	s_or_b32 exec_lo, exec_lo, s19
	s_and_saveexec_b32 s19, s18
	s_cbranch_execnz .LBB151_2710
	s_branch .LBB151_2711
.LBB151_2728:
	s_mov_b32 s17, -1
                                        ; implicit-def: $vgpr24
	s_branch .LBB151_2733
.LBB151_2729:
	s_mov_b32 s17, -1
                                        ; implicit-def: $vgpr24
.LBB151_2730:
	s_delay_alu instid0(SALU_CYCLE_1)
	s_and_b32 vcc_lo, exec_lo, s17
	s_cbranch_vccz .LBB151_2732
; %bb.2731:
	global_load_u8 v7, v[22:23], off
	s_wait_loadcnt 0x0
	v_lshlrev_b32_e32 v7, 24, v7
	s_delay_alu instid0(VALU_DEP_1) | instskip(NEXT) | instid1(VALU_DEP_1)
	v_and_b32_e32 v9, 0x7f000000, v7
	v_clz_i32_u32_e32 v11, v9
	v_add_nc_u32_e32 v15, 0x1000000, v9
	v_cmp_ne_u32_e32 vcc_lo, 0, v9
	s_delay_alu instid0(VALU_DEP_3) | instskip(NEXT) | instid1(VALU_DEP_1)
	v_min_u32_e32 v11, 32, v11
	v_sub_nc_u32_e64 v11, v11, 4 clamp
	s_delay_alu instid0(VALU_DEP_1) | instskip(NEXT) | instid1(VALU_DEP_1)
	v_dual_lshlrev_b32 v13, v11, v9 :: v_dual_lshlrev_b32 v11, 23, v11
	v_lshrrev_b32_e32 v13, 4, v13
	s_delay_alu instid0(VALU_DEP_1) | instskip(SKIP_1) | instid1(VALU_DEP_2)
	v_sub_nc_u32_e32 v11, v13, v11
	v_ashrrev_i32_e32 v13, 8, v15
	v_add_nc_u32_e32 v11, 0x3c000000, v11
	s_delay_alu instid0(VALU_DEP_1) | instskip(NEXT) | instid1(VALU_DEP_1)
	v_and_or_b32 v11, 0x7f800000, v13, v11
	v_cndmask_b32_e32 v9, 0, v11, vcc_lo
	s_wait_xcnt 0x1
	s_delay_alu instid0(VALU_DEP_1)
	v_and_or_b32 v24, 0x80000000, v7, v9
.LBB151_2732:
	s_mov_b32 s17, 0
.LBB151_2733:
	s_delay_alu instid0(SALU_CYCLE_1)
	s_and_not1_b32 vcc_lo, exec_lo, s17
	s_cbranch_vccnz .LBB151_2735
; %bb.2734:
	global_load_u8 v7, v[22:23], off
	s_wait_loadcnt 0x0
	v_lshlrev_b32_e32 v9, 25, v7
	v_lshlrev_b16 v7, 8, v7
	s_delay_alu instid0(VALU_DEP_1) | instskip(SKIP_1) | instid1(VALU_DEP_2)
	v_and_or_b32 v13, 0x7f00, v7, 0.5
	v_bfe_i32 v7, v7, 0, 16
	v_add_f32_e32 v13, -0.5, v13
	v_lshrrev_b32_e32 v11, 4, v9
	v_cmp_gt_u32_e32 vcc_lo, 0x8000000, v9
	s_delay_alu instid0(VALU_DEP_2) | instskip(NEXT) | instid1(VALU_DEP_1)
	v_or_b32_e32 v11, 0x70000000, v11
	v_mul_f32_e32 v11, 0x7800000, v11
	s_delay_alu instid0(VALU_DEP_1) | instskip(SKIP_1) | instid1(VALU_DEP_1)
	v_cndmask_b32_e32 v9, v11, v13, vcc_lo
	s_wait_xcnt 0x1
	v_and_or_b32 v24, 0x80000000, v7, v9
.LBB151_2735:
	s_mov_b32 s17, 0
	s_mov_b32 s18, -1
.LBB151_2736:
	s_and_not1_b32 vcc_lo, exec_lo, s17
	s_mov_b32 s17, 0
	s_cbranch_vccnz .LBB151_2747
; %bb.2737:
	s_cmp_gt_i32 s14, 14
	s_cbranch_scc0 .LBB151_2740
; %bb.2738:
	s_cmp_eq_u32 s14, 15
	s_cbranch_scc0 .LBB151_2743
; %bb.2739:
	global_load_u16 v7, v[22:23], off
	s_mov_b32 s16, 0
	s_mov_b32 s18, -1
	s_wait_loadcnt 0x0
	s_wait_xcnt 0x1
	v_lshlrev_b32_e32 v24, 16, v7
	s_branch .LBB151_2745
.LBB151_2740:
	s_mov_b32 s17, -1
	s_branch .LBB151_2744
.LBB151_2741:
	s_or_saveexec_b32 s18, s18
	v_mov_b32_e32 v24, 0x7f800001
	s_xor_b32 exec_lo, exec_lo, s18
	s_cbranch_execz .LBB151_2722
.LBB151_2742:
	v_cmp_ne_u16_e32 vcc_lo, 0, v7
	v_mov_b32_e32 v24, 0
	s_and_not1_b32 s17, s17, exec_lo
	s_and_b32 s19, vcc_lo, exec_lo
	s_delay_alu instid0(SALU_CYCLE_1)
	s_or_b32 s17, s17, s19
	s_or_b32 exec_lo, exec_lo, s18
	s_and_saveexec_b32 s18, s17
	s_cbranch_execnz .LBB151_2723
	s_branch .LBB151_2724
.LBB151_2743:
	s_mov_b32 s16, -1
.LBB151_2744:
                                        ; implicit-def: $vgpr24
.LBB151_2745:
	s_and_b32 vcc_lo, exec_lo, s17
	s_mov_b32 s17, 0
	s_cbranch_vccz .LBB151_2747
; %bb.2746:
	s_cmp_lg_u32 s14, 11
	s_mov_b32 s17, -1
	s_cselect_b32 s16, -1, 0
.LBB151_2747:
	s_delay_alu instid0(SALU_CYCLE_1)
	s_and_b32 vcc_lo, exec_lo, s16
	s_cbranch_vccnz .LBB151_2812
; %bb.2748:
	s_and_not1_b32 vcc_lo, exec_lo, s17
	s_cbranch_vccnz .LBB151_2750
.LBB151_2749:
	global_load_u8 v7, v[22:23], off
	s_mov_b32 s18, -1
	s_wait_loadcnt 0x0
	v_cmp_ne_u16_e32 vcc_lo, 0, v7
	s_wait_xcnt 0x1
	v_cndmask_b32_e64 v24, 0, 1.0, vcc_lo
.LBB151_2750:
	s_mov_b32 s16, 0
.LBB151_2751:
	s_delay_alu instid0(SALU_CYCLE_1)
	s_and_b32 vcc_lo, exec_lo, s16
	s_cbranch_vccz .LBB151_2800
; %bb.2752:
	s_cmp_lt_i32 s14, 5
	s_cbranch_scc1 .LBB151_2757
; %bb.2753:
	s_cmp_lt_i32 s14, 8
	s_cbranch_scc1 .LBB151_2758
	;; [unrolled: 3-line block ×3, first 2 shown]
; %bb.2755:
	s_cmp_gt_i32 s14, 9
	s_cbranch_scc0 .LBB151_2760
; %bb.2756:
	global_load_b64 v[24:25], v[22:23], off
	s_mov_b32 s16, 0
	s_wait_loadcnt 0x0
	v_cvt_f32_f64_e32 v24, v[24:25]
	s_branch .LBB151_2761
.LBB151_2757:
	s_mov_b32 s16, -1
                                        ; implicit-def: $vgpr24
	s_branch .LBB151_2779
.LBB151_2758:
	s_mov_b32 s16, -1
                                        ; implicit-def: $vgpr24
	s_branch .LBB151_2767
.LBB151_2759:
	s_mov_b32 s16, -1
                                        ; implicit-def: $vgpr24
	s_branch .LBB151_2764
.LBB151_2760:
	s_mov_b32 s16, -1
                                        ; implicit-def: $vgpr24
.LBB151_2761:
	s_delay_alu instid0(SALU_CYCLE_1)
	s_and_not1_b32 vcc_lo, exec_lo, s16
	s_cbranch_vccnz .LBB151_2763
; %bb.2762:
	global_load_b32 v24, v[22:23], off
.LBB151_2763:
	s_mov_b32 s16, 0
.LBB151_2764:
	s_delay_alu instid0(SALU_CYCLE_1)
	s_and_not1_b32 vcc_lo, exec_lo, s16
	s_cbranch_vccnz .LBB151_2766
; %bb.2765:
	global_load_b32 v7, v[22:23], off
	s_wait_loadcnt 0x0
	s_wait_xcnt 0x1
	v_cvt_f32_f16_e32 v24, v7
.LBB151_2766:
	s_mov_b32 s16, 0
.LBB151_2767:
	s_delay_alu instid0(SALU_CYCLE_1)
	s_and_not1_b32 vcc_lo, exec_lo, s16
	s_cbranch_vccnz .LBB151_2778
; %bb.2768:
	s_cmp_lt_i32 s14, 6
	s_cbranch_scc1 .LBB151_2771
; %bb.2769:
	s_cmp_gt_i32 s14, 6
	s_cbranch_scc0 .LBB151_2772
; %bb.2770:
	s_wait_loadcnt 0x0
	global_load_b64 v[24:25], v[22:23], off
	s_mov_b32 s16, 0
	s_wait_loadcnt 0x0
	v_cvt_f32_f64_e32 v24, v[24:25]
	s_branch .LBB151_2773
.LBB151_2771:
	s_mov_b32 s16, -1
                                        ; implicit-def: $vgpr24
	s_branch .LBB151_2776
.LBB151_2772:
	s_mov_b32 s16, -1
                                        ; implicit-def: $vgpr24
.LBB151_2773:
	s_delay_alu instid0(SALU_CYCLE_1)
	s_and_not1_b32 vcc_lo, exec_lo, s16
	s_cbranch_vccnz .LBB151_2775
; %bb.2774:
	s_wait_loadcnt 0x0
	global_load_b32 v24, v[22:23], off
.LBB151_2775:
	s_mov_b32 s16, 0
.LBB151_2776:
	s_delay_alu instid0(SALU_CYCLE_1)
	s_and_not1_b32 vcc_lo, exec_lo, s16
	s_cbranch_vccnz .LBB151_2778
; %bb.2777:
	global_load_u16 v7, v[22:23], off
	s_wait_loadcnt 0x0
	s_wait_xcnt 0x1
	v_cvt_f32_f16_e32 v24, v7
.LBB151_2778:
	s_mov_b32 s16, 0
.LBB151_2779:
	s_delay_alu instid0(SALU_CYCLE_1)
	s_and_not1_b32 vcc_lo, exec_lo, s16
	s_cbranch_vccnz .LBB151_2799
; %bb.2780:
	s_cmp_lt_i32 s14, 2
	s_cbranch_scc1 .LBB151_2784
; %bb.2781:
	s_cmp_lt_i32 s14, 3
	s_cbranch_scc1 .LBB151_2785
; %bb.2782:
	s_cmp_gt_i32 s14, 3
	s_cbranch_scc0 .LBB151_2786
; %bb.2783:
	s_wait_loadcnt 0x0
	global_load_b64 v[24:25], v[22:23], off
	s_mov_b32 s16, 0
	s_wait_loadcnt 0x0
	v_xor_b32_e32 v7, v24, v25
	v_cls_i32_e32 v9, v25
	s_delay_alu instid0(VALU_DEP_2) | instskip(NEXT) | instid1(VALU_DEP_1)
	v_ashrrev_i32_e32 v7, 31, v7
	v_add_nc_u32_e32 v7, 32, v7
	s_delay_alu instid0(VALU_DEP_1) | instskip(NEXT) | instid1(VALU_DEP_1)
	v_add_min_u32_e64 v7, v9, -1, v7
	v_lshlrev_b64_e32 v[24:25], v7, v[24:25]
	v_sub_nc_u32_e32 v7, 32, v7
	s_delay_alu instid0(VALU_DEP_2) | instskip(NEXT) | instid1(VALU_DEP_1)
	v_min_u32_e32 v9, 1, v24
	v_or_b32_e32 v9, v25, v9
	s_delay_alu instid0(VALU_DEP_1) | instskip(NEXT) | instid1(VALU_DEP_1)
	v_cvt_f32_i32_e32 v9, v9
	v_ldexp_f32 v24, v9, v7
	s_branch .LBB151_2787
.LBB151_2784:
	s_mov_b32 s16, -1
                                        ; implicit-def: $vgpr24
	s_branch .LBB151_2793
.LBB151_2785:
	s_mov_b32 s16, -1
                                        ; implicit-def: $vgpr24
	s_branch .LBB151_2790
.LBB151_2786:
	s_mov_b32 s16, -1
                                        ; implicit-def: $vgpr24
.LBB151_2787:
	s_delay_alu instid0(SALU_CYCLE_1)
	s_and_not1_b32 vcc_lo, exec_lo, s16
	s_cbranch_vccnz .LBB151_2789
; %bb.2788:
	global_load_b32 v7, v[22:23], off
	s_wait_loadcnt 0x0
	s_wait_xcnt 0x1
	v_cvt_f32_i32_e32 v24, v7
.LBB151_2789:
	s_mov_b32 s16, 0
.LBB151_2790:
	s_delay_alu instid0(SALU_CYCLE_1)
	s_and_not1_b32 vcc_lo, exec_lo, s16
	s_cbranch_vccnz .LBB151_2792
; %bb.2791:
	global_load_i16 v7, v[22:23], off
	s_wait_loadcnt 0x0
	s_wait_xcnt 0x1
	v_cvt_f32_i32_e32 v24, v7
.LBB151_2792:
	s_mov_b32 s16, 0
.LBB151_2793:
	s_delay_alu instid0(SALU_CYCLE_1)
	s_and_not1_b32 vcc_lo, exec_lo, s16
	s_cbranch_vccnz .LBB151_2799
; %bb.2794:
	s_cmp_gt_i32 s14, 0
	s_mov_b32 s16, 0
	s_cbranch_scc0 .LBB151_2796
; %bb.2795:
	global_load_i8 v7, v[22:23], off
	s_wait_loadcnt 0x0
	s_wait_xcnt 0x1
	v_cvt_f32_i32_e32 v24, v7
	s_branch .LBB151_2797
.LBB151_2796:
	s_mov_b32 s16, -1
                                        ; implicit-def: $vgpr24
.LBB151_2797:
	s_delay_alu instid0(SALU_CYCLE_1)
	s_and_not1_b32 vcc_lo, exec_lo, s16
	s_cbranch_vccnz .LBB151_2799
; %bb.2798:
	global_load_u8 v7, v[22:23], off
	s_wait_loadcnt 0x0
	s_wait_xcnt 0x1
	v_cvt_f32_ubyte0_e32 v24, v7
.LBB151_2799:
	s_mov_b32 s18, -1
.LBB151_2800:
	s_delay_alu instid0(SALU_CYCLE_1)
	s_and_not1_b32 vcc_lo, exec_lo, s18
	s_cbranch_vccnz .LBB151_4155
; %bb.2801:
	v_mov_b32_e32 v21, 0
	s_and_b32 s15, 0xffff, s15
	s_delay_alu instid0(SALU_CYCLE_1) | instskip(NEXT) | instid1(VALU_DEP_1)
	s_cmp_lt_i32 s15, 11
	v_add_nc_u64_e32 v[20:21], s[8:9], v[20:21]
	s_cbranch_scc1 .LBB151_2808
; %bb.2802:
	s_cmp_gt_i32 s15, 25
	s_mov_b32 s17, 0
	s_cbranch_scc0 .LBB151_2809
; %bb.2803:
	s_cmp_gt_i32 s15, 28
	s_cbranch_scc0 .LBB151_2810
; %bb.2804:
	s_cmp_gt_i32 s15, 43
	;; [unrolled: 3-line block ×3, first 2 shown]
	s_cbranch_scc0 .LBB151_2813
; %bb.2806:
	s_cmp_eq_u32 s15, 46
	s_mov_b32 s19, 0
	s_cbranch_scc0 .LBB151_2816
; %bb.2807:
	global_load_b32 v7, v[20:21], off
	s_mov_b32 s16, 0
	s_mov_b32 s18, -1
	s_wait_loadcnt 0x0
	s_wait_xcnt 0x1
	v_lshlrev_b32_e32 v22, 16, v7
	s_branch .LBB151_2818
.LBB151_2808:
	s_mov_b32 s16, -1
	s_mov_b32 s18, 0
                                        ; implicit-def: $vgpr22
	s_branch .LBB151_2884
.LBB151_2809:
	s_mov_b32 s19, -1
	s_mov_b32 s18, 0
	s_mov_b32 s16, 0
                                        ; implicit-def: $vgpr22
	s_branch .LBB151_2847
.LBB151_2810:
	s_mov_b32 s19, -1
	s_mov_b32 s18, 0
	s_mov_b32 s16, 0
                                        ; implicit-def: $vgpr22
	s_branch .LBB151_2828
.LBB151_2811:
	s_mov_b32 s19, -1
	s_mov_b32 s18, 0
	s_mov_b32 s16, 0
                                        ; implicit-def: $vgpr22
	s_branch .LBB151_2823
.LBB151_2812:
	s_or_b32 s12, s12, exec_lo
	s_trap 2
	s_cbranch_execz .LBB151_2749
	s_branch .LBB151_2750
.LBB151_2813:
	s_mov_b32 s19, -1
	s_mov_b32 s18, 0
	s_mov_b32 s16, 0
	s_branch .LBB151_2817
.LBB151_2814:
	s_and_not1_saveexec_b32 s59, s59
	s_cbranch_execz .LBB151_1498
.LBB151_2815:
	v_add_f32_e64 v1, 0x46000000, |v4|
	s_and_not1_b32 s58, s58, exec_lo
	s_delay_alu instid0(VALU_DEP_1) | instskip(NEXT) | instid1(VALU_DEP_1)
	v_and_b32_e32 v1, 0xff, v1
	v_cmp_ne_u32_e32 vcc_lo, 0, v1
	s_and_b32 s60, vcc_lo, exec_lo
	s_delay_alu instid0(SALU_CYCLE_1)
	s_or_b32 s58, s58, s60
	s_or_b32 exec_lo, exec_lo, s59
	v_mov_b32_e32 v5, 0
	s_and_saveexec_b32 s59, s58
	s_cbranch_execnz .LBB151_1499
	s_branch .LBB151_1500
.LBB151_2816:
	s_mov_b32 s16, -1
	s_mov_b32 s18, 0
.LBB151_2817:
                                        ; implicit-def: $vgpr22
.LBB151_2818:
	s_and_b32 vcc_lo, exec_lo, s19
	s_cbranch_vccz .LBB151_2822
; %bb.2819:
	s_cmp_eq_u32 s15, 44
	s_cbranch_scc0 .LBB151_2821
; %bb.2820:
	global_load_u8 v7, v[20:21], off
	s_mov_b32 s16, 0
	s_mov_b32 s18, -1
	s_wait_loadcnt 0x0
	v_lshlrev_b32_e32 v9, 23, v7
	v_cmp_ne_u32_e32 vcc_lo, 0xff, v7
	s_delay_alu instid0(VALU_DEP_2) | instskip(SKIP_2) | instid1(VALU_DEP_2)
	v_cndmask_b32_e32 v9, 0x7f800001, v9, vcc_lo
	v_cmp_ne_u32_e32 vcc_lo, 0, v7
	s_wait_xcnt 0x1
	v_cndmask_b32_e32 v22, 0x400000, v9, vcc_lo
	s_branch .LBB151_2822
.LBB151_2821:
	s_mov_b32 s16, -1
                                        ; implicit-def: $vgpr22
.LBB151_2822:
	s_mov_b32 s19, 0
.LBB151_2823:
	s_delay_alu instid0(SALU_CYCLE_1)
	s_and_b32 vcc_lo, exec_lo, s19
	s_cbranch_vccz .LBB151_2827
; %bb.2824:
	s_cmp_eq_u32 s15, 29
	s_cbranch_scc0 .LBB151_2826
; %bb.2825:
	global_load_b64 v[22:23], v[20:21], off
	s_mov_b32 s16, 0
	s_mov_b32 s18, -1
	s_mov_b32 s19, 0
	s_wait_loadcnt 0x0
	v_clz_i32_u32_e32 v7, v23
	s_delay_alu instid0(VALU_DEP_1) | instskip(NEXT) | instid1(VALU_DEP_1)
	v_min_u32_e32 v7, 32, v7
	v_lshlrev_b64_e32 v[22:23], v7, v[22:23]
	v_sub_nc_u32_e32 v7, 32, v7
	s_delay_alu instid0(VALU_DEP_2) | instskip(NEXT) | instid1(VALU_DEP_1)
	v_min_u32_e32 v9, 1, v22
	v_or_b32_e32 v9, v23, v9
	s_delay_alu instid0(VALU_DEP_1) | instskip(NEXT) | instid1(VALU_DEP_1)
	v_cvt_f32_u32_e32 v9, v9
	v_ldexp_f32 v22, v9, v7
	s_branch .LBB151_2828
.LBB151_2826:
	s_mov_b32 s16, -1
                                        ; implicit-def: $vgpr22
.LBB151_2827:
	s_mov_b32 s19, 0
.LBB151_2828:
	s_delay_alu instid0(SALU_CYCLE_1)
	s_and_b32 vcc_lo, exec_lo, s19
	s_cbranch_vccz .LBB151_2846
; %bb.2829:
	s_cmp_lt_i32 s15, 27
	s_cbranch_scc1 .LBB151_2832
; %bb.2830:
	s_cmp_gt_i32 s15, 27
	s_cbranch_scc0 .LBB151_2833
; %bb.2831:
	global_load_b32 v7, v[20:21], off
	s_mov_b32 s18, 0
	s_wait_loadcnt 0x0
	s_wait_xcnt 0x1
	v_cvt_f32_u32_e32 v22, v7
	s_branch .LBB151_2834
.LBB151_2832:
	s_mov_b32 s18, -1
                                        ; implicit-def: $vgpr22
	s_branch .LBB151_2837
.LBB151_2833:
	s_mov_b32 s18, -1
                                        ; implicit-def: $vgpr22
.LBB151_2834:
	s_delay_alu instid0(SALU_CYCLE_1)
	s_and_not1_b32 vcc_lo, exec_lo, s18
	s_cbranch_vccnz .LBB151_2836
; %bb.2835:
	global_load_u16 v7, v[20:21], off
	s_wait_loadcnt 0x0
	s_wait_xcnt 0x1
	v_cvt_f32_u32_e32 v22, v7
.LBB151_2836:
	s_mov_b32 s18, 0
.LBB151_2837:
	s_delay_alu instid0(SALU_CYCLE_1)
	s_and_not1_b32 vcc_lo, exec_lo, s18
	s_cbranch_vccnz .LBB151_2845
; %bb.2838:
	global_load_u8 v7, v[20:21], off
	s_mov_b32 s18, 0
	s_mov_b32 s19, exec_lo
	s_wait_loadcnt 0x0
	v_cmpx_lt_i16_e32 0x7f, v7
	s_xor_b32 s19, exec_lo, s19
	s_cbranch_execz .LBB151_2859
; %bb.2839:
	s_mov_b32 s18, -1
	s_mov_b32 s20, exec_lo
	v_cmpx_eq_u16_e32 0x80, v7
; %bb.2840:
	s_xor_b32 s18, exec_lo, -1
; %bb.2841:
	s_or_b32 exec_lo, exec_lo, s20
	s_delay_alu instid0(SALU_CYCLE_1)
	s_and_b32 s18, s18, exec_lo
	s_or_saveexec_b32 s19, s19
	v_mov_b32_e32 v22, 0x7f800001
	s_xor_b32 exec_lo, exec_lo, s19
	s_cbranch_execnz .LBB151_2860
.LBB151_2842:
	s_or_b32 exec_lo, exec_lo, s19
	s_and_saveexec_b32 s19, s18
	s_cbranch_execz .LBB151_2844
.LBB151_2843:
	v_and_b32_e32 v9, 0xffff, v7
	s_delay_alu instid0(VALU_DEP_1) | instskip(SKIP_1) | instid1(VALU_DEP_2)
	v_dual_lshlrev_b32 v7, 24, v7 :: v_dual_bitop2_b32 v11, 7, v9 bitop3:0x40
	v_bfe_u32 v17, v9, 3, 4
	v_and_b32_e32 v7, 0x80000000, v7
	s_delay_alu instid0(VALU_DEP_3) | instskip(NEXT) | instid1(VALU_DEP_3)
	v_clz_i32_u32_e32 v13, v11
	v_cmp_eq_u32_e32 vcc_lo, 0, v17
	s_delay_alu instid0(VALU_DEP_2) | instskip(NEXT) | instid1(VALU_DEP_1)
	v_min_u32_e32 v13, 32, v13
	v_subrev_nc_u32_e32 v15, 28, v13
	v_sub_nc_u32_e32 v13, 29, v13
	s_delay_alu instid0(VALU_DEP_2) | instskip(NEXT) | instid1(VALU_DEP_2)
	v_lshlrev_b32_e32 v9, v15, v9
	v_cndmask_b32_e32 v13, v17, v13, vcc_lo
	s_delay_alu instid0(VALU_DEP_2) | instskip(NEXT) | instid1(VALU_DEP_1)
	v_and_b32_e32 v9, 7, v9
	v_cndmask_b32_e32 v9, v11, v9, vcc_lo
	s_delay_alu instid0(VALU_DEP_3) | instskip(NEXT) | instid1(VALU_DEP_2)
	v_lshl_add_u32 v11, v13, 23, 0x3b800000
	v_lshlrev_b32_e32 v9, 20, v9
	s_delay_alu instid0(VALU_DEP_1)
	v_or3_b32 v22, v7, v11, v9
.LBB151_2844:
	s_or_b32 exec_lo, exec_lo, s19
.LBB151_2845:
	s_mov_b32 s18, -1
.LBB151_2846:
	s_mov_b32 s19, 0
.LBB151_2847:
	s_delay_alu instid0(SALU_CYCLE_1)
	s_and_b32 vcc_lo, exec_lo, s19
	s_cbranch_vccz .LBB151_2880
; %bb.2848:
	s_cmp_gt_i32 s15, 22
	s_cbranch_scc0 .LBB151_2858
; %bb.2849:
	s_cmp_lt_i32 s15, 24
	s_cbranch_scc1 .LBB151_2861
; %bb.2850:
	s_cmp_gt_i32 s15, 24
	s_cbranch_scc0 .LBB151_2862
; %bb.2851:
	global_load_u8 v7, v[20:21], off
	s_mov_b32 s18, exec_lo
	s_wait_loadcnt 0x0
	v_cmpx_lt_i16_e32 0x7f, v7
	s_xor_b32 s18, exec_lo, s18
	s_cbranch_execz .LBB151_2874
; %bb.2852:
	s_mov_b32 s17, -1
	s_mov_b32 s19, exec_lo
	v_cmpx_eq_u16_e32 0x80, v7
; %bb.2853:
	s_xor_b32 s17, exec_lo, -1
; %bb.2854:
	s_or_b32 exec_lo, exec_lo, s19
	s_delay_alu instid0(SALU_CYCLE_1)
	s_and_b32 s17, s17, exec_lo
	s_or_saveexec_b32 s18, s18
	v_mov_b32_e32 v22, 0x7f800001
	s_xor_b32 exec_lo, exec_lo, s18
	s_cbranch_execnz .LBB151_2875
.LBB151_2855:
	s_or_b32 exec_lo, exec_lo, s18
	s_and_saveexec_b32 s18, s17
	s_cbranch_execz .LBB151_2857
.LBB151_2856:
	v_and_b32_e32 v9, 0xffff, v7
	s_delay_alu instid0(VALU_DEP_1) | instskip(SKIP_1) | instid1(VALU_DEP_2)
	v_dual_lshlrev_b32 v7, 24, v7 :: v_dual_bitop2_b32 v11, 3, v9 bitop3:0x40
	v_bfe_u32 v17, v9, 2, 5
	v_and_b32_e32 v7, 0x80000000, v7
	s_delay_alu instid0(VALU_DEP_3) | instskip(NEXT) | instid1(VALU_DEP_3)
	v_clz_i32_u32_e32 v13, v11
	v_cmp_eq_u32_e32 vcc_lo, 0, v17
	s_delay_alu instid0(VALU_DEP_2) | instskip(NEXT) | instid1(VALU_DEP_1)
	v_min_u32_e32 v13, 32, v13
	v_subrev_nc_u32_e32 v15, 29, v13
	v_sub_nc_u32_e32 v13, 30, v13
	s_delay_alu instid0(VALU_DEP_2) | instskip(NEXT) | instid1(VALU_DEP_2)
	v_lshlrev_b32_e32 v9, v15, v9
	v_cndmask_b32_e32 v13, v17, v13, vcc_lo
	s_delay_alu instid0(VALU_DEP_2) | instskip(NEXT) | instid1(VALU_DEP_1)
	v_and_b32_e32 v9, 3, v9
	v_cndmask_b32_e32 v9, v11, v9, vcc_lo
	s_delay_alu instid0(VALU_DEP_3) | instskip(NEXT) | instid1(VALU_DEP_2)
	v_lshl_add_u32 v11, v13, 23, 0x37800000
	v_lshlrev_b32_e32 v9, 21, v9
	s_delay_alu instid0(VALU_DEP_1)
	v_or3_b32 v22, v7, v11, v9
.LBB151_2857:
	s_or_b32 exec_lo, exec_lo, s18
	s_mov_b32 s17, 0
	s_branch .LBB151_2863
.LBB151_2858:
	s_mov_b32 s17, -1
                                        ; implicit-def: $vgpr22
	s_branch .LBB151_2869
.LBB151_2859:
	s_or_saveexec_b32 s19, s19
	v_mov_b32_e32 v22, 0x7f800001
	s_xor_b32 exec_lo, exec_lo, s19
	s_cbranch_execz .LBB151_2842
.LBB151_2860:
	v_cmp_ne_u16_e32 vcc_lo, 0, v7
	v_mov_b32_e32 v22, 0
	s_and_not1_b32 s18, s18, exec_lo
	s_and_b32 s20, vcc_lo, exec_lo
	s_delay_alu instid0(SALU_CYCLE_1)
	s_or_b32 s18, s18, s20
	s_or_b32 exec_lo, exec_lo, s19
	s_and_saveexec_b32 s19, s18
	s_cbranch_execnz .LBB151_2843
	s_branch .LBB151_2844
.LBB151_2861:
	s_mov_b32 s17, -1
                                        ; implicit-def: $vgpr22
	s_branch .LBB151_2866
.LBB151_2862:
	s_mov_b32 s17, -1
                                        ; implicit-def: $vgpr22
.LBB151_2863:
	s_delay_alu instid0(SALU_CYCLE_1)
	s_and_b32 vcc_lo, exec_lo, s17
	s_cbranch_vccz .LBB151_2865
; %bb.2864:
	global_load_u8 v7, v[20:21], off
	s_wait_loadcnt 0x0
	v_lshlrev_b32_e32 v7, 24, v7
	s_delay_alu instid0(VALU_DEP_1) | instskip(NEXT) | instid1(VALU_DEP_1)
	v_and_b32_e32 v9, 0x7f000000, v7
	v_clz_i32_u32_e32 v11, v9
	v_add_nc_u32_e32 v15, 0x1000000, v9
	v_cmp_ne_u32_e32 vcc_lo, 0, v9
	s_delay_alu instid0(VALU_DEP_3) | instskip(NEXT) | instid1(VALU_DEP_1)
	v_min_u32_e32 v11, 32, v11
	v_sub_nc_u32_e64 v11, v11, 4 clamp
	s_delay_alu instid0(VALU_DEP_1) | instskip(NEXT) | instid1(VALU_DEP_1)
	v_dual_lshlrev_b32 v13, v11, v9 :: v_dual_lshlrev_b32 v11, 23, v11
	v_lshrrev_b32_e32 v13, 4, v13
	s_delay_alu instid0(VALU_DEP_1) | instskip(SKIP_1) | instid1(VALU_DEP_2)
	v_sub_nc_u32_e32 v11, v13, v11
	v_ashrrev_i32_e32 v13, 8, v15
	v_add_nc_u32_e32 v11, 0x3c000000, v11
	s_delay_alu instid0(VALU_DEP_1) | instskip(NEXT) | instid1(VALU_DEP_1)
	v_and_or_b32 v11, 0x7f800000, v13, v11
	v_cndmask_b32_e32 v9, 0, v11, vcc_lo
	s_wait_xcnt 0x1
	s_delay_alu instid0(VALU_DEP_1)
	v_and_or_b32 v22, 0x80000000, v7, v9
.LBB151_2865:
	s_mov_b32 s17, 0
.LBB151_2866:
	s_delay_alu instid0(SALU_CYCLE_1)
	s_and_not1_b32 vcc_lo, exec_lo, s17
	s_cbranch_vccnz .LBB151_2868
; %bb.2867:
	global_load_u8 v7, v[20:21], off
	s_wait_loadcnt 0x0
	v_lshlrev_b32_e32 v9, 25, v7
	v_lshlrev_b16 v7, 8, v7
	s_delay_alu instid0(VALU_DEP_1) | instskip(SKIP_1) | instid1(VALU_DEP_2)
	v_and_or_b32 v13, 0x7f00, v7, 0.5
	v_bfe_i32 v7, v7, 0, 16
	v_add_f32_e32 v13, -0.5, v13
	v_lshrrev_b32_e32 v11, 4, v9
	v_cmp_gt_u32_e32 vcc_lo, 0x8000000, v9
	s_delay_alu instid0(VALU_DEP_2) | instskip(NEXT) | instid1(VALU_DEP_1)
	v_or_b32_e32 v11, 0x70000000, v11
	v_mul_f32_e32 v11, 0x7800000, v11
	s_delay_alu instid0(VALU_DEP_1) | instskip(SKIP_1) | instid1(VALU_DEP_1)
	v_cndmask_b32_e32 v9, v11, v13, vcc_lo
	s_wait_xcnt 0x1
	v_and_or_b32 v22, 0x80000000, v7, v9
.LBB151_2868:
	s_mov_b32 s17, 0
	s_mov_b32 s18, -1
.LBB151_2869:
	s_and_not1_b32 vcc_lo, exec_lo, s17
	s_mov_b32 s17, 0
	s_cbranch_vccnz .LBB151_2880
; %bb.2870:
	s_cmp_gt_i32 s15, 14
	s_cbranch_scc0 .LBB151_2873
; %bb.2871:
	s_cmp_eq_u32 s15, 15
	s_cbranch_scc0 .LBB151_2876
; %bb.2872:
	global_load_u16 v7, v[20:21], off
	s_mov_b32 s16, 0
	s_mov_b32 s18, -1
	s_wait_loadcnt 0x0
	s_wait_xcnt 0x1
	v_lshlrev_b32_e32 v22, 16, v7
	s_branch .LBB151_2878
.LBB151_2873:
	s_mov_b32 s17, -1
	s_branch .LBB151_2877
.LBB151_2874:
	s_or_saveexec_b32 s18, s18
	v_mov_b32_e32 v22, 0x7f800001
	s_xor_b32 exec_lo, exec_lo, s18
	s_cbranch_execz .LBB151_2855
.LBB151_2875:
	v_cmp_ne_u16_e32 vcc_lo, 0, v7
	v_mov_b32_e32 v22, 0
	s_and_not1_b32 s17, s17, exec_lo
	s_and_b32 s19, vcc_lo, exec_lo
	s_delay_alu instid0(SALU_CYCLE_1)
	s_or_b32 s17, s17, s19
	s_or_b32 exec_lo, exec_lo, s18
	s_and_saveexec_b32 s18, s17
	s_cbranch_execnz .LBB151_2856
	s_branch .LBB151_2857
.LBB151_2876:
	s_mov_b32 s16, -1
.LBB151_2877:
                                        ; implicit-def: $vgpr22
.LBB151_2878:
	s_and_b32 vcc_lo, exec_lo, s17
	s_mov_b32 s17, 0
	s_cbranch_vccz .LBB151_2880
; %bb.2879:
	s_cmp_lg_u32 s15, 11
	s_mov_b32 s17, -1
	s_cselect_b32 s16, -1, 0
.LBB151_2880:
	s_delay_alu instid0(SALU_CYCLE_1)
	s_and_b32 vcc_lo, exec_lo, s16
	s_cbranch_vccnz .LBB151_2945
; %bb.2881:
	s_and_not1_b32 vcc_lo, exec_lo, s17
	s_cbranch_vccnz .LBB151_2883
.LBB151_2882:
	global_load_u8 v7, v[20:21], off
	s_mov_b32 s18, -1
	s_wait_loadcnt 0x0
	v_cmp_ne_u16_e32 vcc_lo, 0, v7
	s_wait_xcnt 0x1
	v_cndmask_b32_e64 v22, 0, 1.0, vcc_lo
.LBB151_2883:
	s_mov_b32 s16, 0
.LBB151_2884:
	s_delay_alu instid0(SALU_CYCLE_1)
	s_and_b32 vcc_lo, exec_lo, s16
	s_cbranch_vccz .LBB151_2933
; %bb.2885:
	s_cmp_lt_i32 s15, 5
	s_cbranch_scc1 .LBB151_2890
; %bb.2886:
	s_cmp_lt_i32 s15, 8
	s_cbranch_scc1 .LBB151_2891
	;; [unrolled: 3-line block ×3, first 2 shown]
; %bb.2888:
	s_cmp_gt_i32 s15, 9
	s_cbranch_scc0 .LBB151_2893
; %bb.2889:
	global_load_b64 v[22:23], v[20:21], off
	s_mov_b32 s16, 0
	s_wait_loadcnt 0x0
	v_cvt_f32_f64_e32 v22, v[22:23]
	s_branch .LBB151_2894
.LBB151_2890:
	s_mov_b32 s16, -1
                                        ; implicit-def: $vgpr22
	s_branch .LBB151_2912
.LBB151_2891:
	s_mov_b32 s16, -1
                                        ; implicit-def: $vgpr22
	s_branch .LBB151_2900
.LBB151_2892:
	s_mov_b32 s16, -1
                                        ; implicit-def: $vgpr22
	s_branch .LBB151_2897
.LBB151_2893:
	s_mov_b32 s16, -1
                                        ; implicit-def: $vgpr22
.LBB151_2894:
	s_delay_alu instid0(SALU_CYCLE_1)
	s_and_not1_b32 vcc_lo, exec_lo, s16
	s_cbranch_vccnz .LBB151_2896
; %bb.2895:
	global_load_b32 v22, v[20:21], off
.LBB151_2896:
	s_mov_b32 s16, 0
.LBB151_2897:
	s_delay_alu instid0(SALU_CYCLE_1)
	s_and_not1_b32 vcc_lo, exec_lo, s16
	s_cbranch_vccnz .LBB151_2899
; %bb.2898:
	global_load_b32 v7, v[20:21], off
	s_wait_loadcnt 0x0
	s_wait_xcnt 0x1
	v_cvt_f32_f16_e32 v22, v7
.LBB151_2899:
	s_mov_b32 s16, 0
.LBB151_2900:
	s_delay_alu instid0(SALU_CYCLE_1)
	s_and_not1_b32 vcc_lo, exec_lo, s16
	s_cbranch_vccnz .LBB151_2911
; %bb.2901:
	s_cmp_lt_i32 s15, 6
	s_cbranch_scc1 .LBB151_2904
; %bb.2902:
	s_cmp_gt_i32 s15, 6
	s_cbranch_scc0 .LBB151_2905
; %bb.2903:
	s_wait_loadcnt 0x0
	global_load_b64 v[22:23], v[20:21], off
	s_mov_b32 s16, 0
	s_wait_loadcnt 0x0
	v_cvt_f32_f64_e32 v22, v[22:23]
	s_branch .LBB151_2906
.LBB151_2904:
	s_mov_b32 s16, -1
                                        ; implicit-def: $vgpr22
	s_branch .LBB151_2909
.LBB151_2905:
	s_mov_b32 s16, -1
                                        ; implicit-def: $vgpr22
.LBB151_2906:
	s_delay_alu instid0(SALU_CYCLE_1)
	s_and_not1_b32 vcc_lo, exec_lo, s16
	s_cbranch_vccnz .LBB151_2908
; %bb.2907:
	s_wait_loadcnt 0x0
	global_load_b32 v22, v[20:21], off
.LBB151_2908:
	s_mov_b32 s16, 0
.LBB151_2909:
	s_delay_alu instid0(SALU_CYCLE_1)
	s_and_not1_b32 vcc_lo, exec_lo, s16
	s_cbranch_vccnz .LBB151_2911
; %bb.2910:
	global_load_u16 v7, v[20:21], off
	s_wait_loadcnt 0x0
	s_wait_xcnt 0x1
	v_cvt_f32_f16_e32 v22, v7
.LBB151_2911:
	s_mov_b32 s16, 0
.LBB151_2912:
	s_delay_alu instid0(SALU_CYCLE_1)
	s_and_not1_b32 vcc_lo, exec_lo, s16
	s_cbranch_vccnz .LBB151_2932
; %bb.2913:
	s_cmp_lt_i32 s15, 2
	s_cbranch_scc1 .LBB151_2917
; %bb.2914:
	s_cmp_lt_i32 s15, 3
	s_cbranch_scc1 .LBB151_2918
; %bb.2915:
	s_cmp_gt_i32 s15, 3
	s_cbranch_scc0 .LBB151_2919
; %bb.2916:
	s_wait_loadcnt 0x0
	global_load_b64 v[22:23], v[20:21], off
	s_mov_b32 s16, 0
	s_wait_loadcnt 0x0
	v_xor_b32_e32 v7, v22, v23
	v_cls_i32_e32 v9, v23
	s_delay_alu instid0(VALU_DEP_2) | instskip(NEXT) | instid1(VALU_DEP_1)
	v_ashrrev_i32_e32 v7, 31, v7
	v_add_nc_u32_e32 v7, 32, v7
	s_delay_alu instid0(VALU_DEP_1) | instskip(NEXT) | instid1(VALU_DEP_1)
	v_add_min_u32_e64 v7, v9, -1, v7
	v_lshlrev_b64_e32 v[22:23], v7, v[22:23]
	v_sub_nc_u32_e32 v7, 32, v7
	s_delay_alu instid0(VALU_DEP_2) | instskip(NEXT) | instid1(VALU_DEP_1)
	v_min_u32_e32 v9, 1, v22
	v_or_b32_e32 v9, v23, v9
	s_delay_alu instid0(VALU_DEP_1) | instskip(NEXT) | instid1(VALU_DEP_1)
	v_cvt_f32_i32_e32 v9, v9
	v_ldexp_f32 v22, v9, v7
	s_branch .LBB151_2920
.LBB151_2917:
	s_mov_b32 s16, -1
                                        ; implicit-def: $vgpr22
	s_branch .LBB151_2926
.LBB151_2918:
	s_mov_b32 s16, -1
                                        ; implicit-def: $vgpr22
	s_branch .LBB151_2923
.LBB151_2919:
	s_mov_b32 s16, -1
                                        ; implicit-def: $vgpr22
.LBB151_2920:
	s_delay_alu instid0(SALU_CYCLE_1)
	s_and_not1_b32 vcc_lo, exec_lo, s16
	s_cbranch_vccnz .LBB151_2922
; %bb.2921:
	global_load_b32 v7, v[20:21], off
	s_wait_loadcnt 0x0
	s_wait_xcnt 0x1
	v_cvt_f32_i32_e32 v22, v7
.LBB151_2922:
	s_mov_b32 s16, 0
.LBB151_2923:
	s_delay_alu instid0(SALU_CYCLE_1)
	s_and_not1_b32 vcc_lo, exec_lo, s16
	s_cbranch_vccnz .LBB151_2925
; %bb.2924:
	global_load_i16 v7, v[20:21], off
	s_wait_loadcnt 0x0
	s_wait_xcnt 0x1
	v_cvt_f32_i32_e32 v22, v7
.LBB151_2925:
	s_mov_b32 s16, 0
.LBB151_2926:
	s_delay_alu instid0(SALU_CYCLE_1)
	s_and_not1_b32 vcc_lo, exec_lo, s16
	s_cbranch_vccnz .LBB151_2932
; %bb.2927:
	s_cmp_gt_i32 s15, 0
	s_mov_b32 s16, 0
	s_cbranch_scc0 .LBB151_2929
; %bb.2928:
	global_load_i8 v7, v[20:21], off
	s_wait_loadcnt 0x0
	s_wait_xcnt 0x1
	v_cvt_f32_i32_e32 v22, v7
	s_branch .LBB151_2930
.LBB151_2929:
	s_mov_b32 s16, -1
                                        ; implicit-def: $vgpr22
.LBB151_2930:
	s_delay_alu instid0(SALU_CYCLE_1)
	s_and_not1_b32 vcc_lo, exec_lo, s16
	s_cbranch_vccnz .LBB151_2932
; %bb.2931:
	global_load_u8 v7, v[20:21], off
	s_wait_loadcnt 0x0
	s_wait_xcnt 0x1
	v_cvt_f32_ubyte0_e32 v22, v7
.LBB151_2932:
	s_mov_b32 s18, -1
.LBB151_2933:
	s_delay_alu instid0(SALU_CYCLE_1)
	s_and_not1_b32 vcc_lo, exec_lo, s18
	s_cbranch_vccnz .LBB151_4155
; %bb.2934:
	v_mov_b32_e32 v19, 0
	s_cmp_lt_i32 s13, 11
	s_delay_alu instid0(VALU_DEP_1)
	v_add_nc_u64_e32 v[18:19], s[6:7], v[18:19]
	s_cbranch_scc1 .LBB151_2941
; %bb.2935:
	s_cmp_gt_i32 s13, 25
	s_mov_b32 s17, 0
	s_cbranch_scc0 .LBB151_2942
; %bb.2936:
	s_cmp_gt_i32 s13, 28
	s_cbranch_scc0 .LBB151_2943
; %bb.2937:
	s_cmp_gt_i32 s13, 43
	;; [unrolled: 3-line block ×3, first 2 shown]
	s_cbranch_scc0 .LBB151_2946
; %bb.2939:
	s_cmp_eq_u32 s13, 46
	s_mov_b32 s19, 0
	s_cbranch_scc0 .LBB151_2949
; %bb.2940:
	global_load_b32 v7, v[18:19], off
	s_mov_b32 s16, 0
	s_mov_b32 s18, -1
	s_wait_loadcnt 0x0
	s_wait_xcnt 0x1
	v_lshlrev_b32_e32 v20, 16, v7
	s_branch .LBB151_2951
.LBB151_2941:
	s_mov_b32 s16, -1
	s_mov_b32 s18, 0
                                        ; implicit-def: $vgpr20
	s_branch .LBB151_3017
.LBB151_2942:
	s_mov_b32 s19, -1
	s_mov_b32 s18, 0
	s_mov_b32 s16, 0
                                        ; implicit-def: $vgpr20
	s_branch .LBB151_2980
.LBB151_2943:
	s_mov_b32 s19, -1
	s_mov_b32 s18, 0
	s_mov_b32 s16, 0
                                        ; implicit-def: $vgpr20
	s_branch .LBB151_2961
.LBB151_2944:
	s_mov_b32 s19, -1
	s_mov_b32 s18, 0
	s_mov_b32 s16, 0
                                        ; implicit-def: $vgpr20
	s_branch .LBB151_2956
.LBB151_2945:
	s_or_b32 s12, s12, exec_lo
	s_trap 2
	s_cbranch_execz .LBB151_2882
	s_branch .LBB151_2883
.LBB151_2946:
	s_mov_b32 s19, -1
	s_mov_b32 s18, 0
	s_mov_b32 s16, 0
	s_branch .LBB151_2950
.LBB151_2947:
	s_and_not1_saveexec_b32 s59, s59
	s_cbranch_execz .LBB151_1511
.LBB151_2948:
	v_add_f32_e64 v1, 0x42800000, |v4|
	s_and_not1_b32 s58, s58, exec_lo
	s_delay_alu instid0(VALU_DEP_1) | instskip(NEXT) | instid1(VALU_DEP_1)
	v_and_b32_e32 v1, 0xff, v1
	v_cmp_ne_u32_e32 vcc_lo, 0, v1
	s_and_b32 s60, vcc_lo, exec_lo
	s_delay_alu instid0(SALU_CYCLE_1)
	s_or_b32 s58, s58, s60
	s_or_b32 exec_lo, exec_lo, s59
	v_mov_b32_e32 v5, 0
	s_and_saveexec_b32 s59, s58
	s_cbranch_execnz .LBB151_1512
	s_branch .LBB151_1513
.LBB151_2949:
	s_mov_b32 s16, -1
	s_mov_b32 s18, 0
.LBB151_2950:
                                        ; implicit-def: $vgpr20
.LBB151_2951:
	s_and_b32 vcc_lo, exec_lo, s19
	s_cbranch_vccz .LBB151_2955
; %bb.2952:
	s_cmp_eq_u32 s13, 44
	s_cbranch_scc0 .LBB151_2954
; %bb.2953:
	global_load_u8 v7, v[18:19], off
	s_mov_b32 s16, 0
	s_mov_b32 s18, -1
	s_wait_loadcnt 0x0
	v_lshlrev_b32_e32 v9, 23, v7
	v_cmp_ne_u32_e32 vcc_lo, 0xff, v7
	s_delay_alu instid0(VALU_DEP_2) | instskip(SKIP_2) | instid1(VALU_DEP_2)
	v_cndmask_b32_e32 v9, 0x7f800001, v9, vcc_lo
	v_cmp_ne_u32_e32 vcc_lo, 0, v7
	s_wait_xcnt 0x1
	v_cndmask_b32_e32 v20, 0x400000, v9, vcc_lo
	s_branch .LBB151_2955
.LBB151_2954:
	s_mov_b32 s16, -1
                                        ; implicit-def: $vgpr20
.LBB151_2955:
	s_mov_b32 s19, 0
.LBB151_2956:
	s_delay_alu instid0(SALU_CYCLE_1)
	s_and_b32 vcc_lo, exec_lo, s19
	s_cbranch_vccz .LBB151_2960
; %bb.2957:
	s_cmp_eq_u32 s13, 29
	s_cbranch_scc0 .LBB151_2959
; %bb.2958:
	global_load_b64 v[20:21], v[18:19], off
	s_mov_b32 s16, 0
	s_mov_b32 s18, -1
	s_mov_b32 s19, 0
	s_wait_loadcnt 0x0
	v_clz_i32_u32_e32 v7, v21
	s_delay_alu instid0(VALU_DEP_1) | instskip(NEXT) | instid1(VALU_DEP_1)
	v_min_u32_e32 v7, 32, v7
	v_lshlrev_b64_e32 v[20:21], v7, v[20:21]
	v_sub_nc_u32_e32 v7, 32, v7
	s_delay_alu instid0(VALU_DEP_2) | instskip(NEXT) | instid1(VALU_DEP_1)
	v_min_u32_e32 v9, 1, v20
	v_or_b32_e32 v9, v21, v9
	s_delay_alu instid0(VALU_DEP_1) | instskip(NEXT) | instid1(VALU_DEP_1)
	v_cvt_f32_u32_e32 v9, v9
	v_ldexp_f32 v20, v9, v7
	s_branch .LBB151_2961
.LBB151_2959:
	s_mov_b32 s16, -1
                                        ; implicit-def: $vgpr20
.LBB151_2960:
	s_mov_b32 s19, 0
.LBB151_2961:
	s_delay_alu instid0(SALU_CYCLE_1)
	s_and_b32 vcc_lo, exec_lo, s19
	s_cbranch_vccz .LBB151_2979
; %bb.2962:
	s_cmp_lt_i32 s13, 27
	s_cbranch_scc1 .LBB151_2965
; %bb.2963:
	s_cmp_gt_i32 s13, 27
	s_cbranch_scc0 .LBB151_2966
; %bb.2964:
	global_load_b32 v7, v[18:19], off
	s_mov_b32 s18, 0
	s_wait_loadcnt 0x0
	s_wait_xcnt 0x1
	v_cvt_f32_u32_e32 v20, v7
	s_branch .LBB151_2967
.LBB151_2965:
	s_mov_b32 s18, -1
                                        ; implicit-def: $vgpr20
	s_branch .LBB151_2970
.LBB151_2966:
	s_mov_b32 s18, -1
                                        ; implicit-def: $vgpr20
.LBB151_2967:
	s_delay_alu instid0(SALU_CYCLE_1)
	s_and_not1_b32 vcc_lo, exec_lo, s18
	s_cbranch_vccnz .LBB151_2969
; %bb.2968:
	global_load_u16 v7, v[18:19], off
	s_wait_loadcnt 0x0
	s_wait_xcnt 0x1
	v_cvt_f32_u32_e32 v20, v7
.LBB151_2969:
	s_mov_b32 s18, 0
.LBB151_2970:
	s_delay_alu instid0(SALU_CYCLE_1)
	s_and_not1_b32 vcc_lo, exec_lo, s18
	s_cbranch_vccnz .LBB151_2978
; %bb.2971:
	global_load_u8 v7, v[18:19], off
	s_mov_b32 s18, 0
	s_mov_b32 s19, exec_lo
	s_wait_loadcnt 0x0
	v_cmpx_lt_i16_e32 0x7f, v7
	s_xor_b32 s19, exec_lo, s19
	s_cbranch_execz .LBB151_2992
; %bb.2972:
	s_mov_b32 s18, -1
	s_mov_b32 s20, exec_lo
	v_cmpx_eq_u16_e32 0x80, v7
; %bb.2973:
	s_xor_b32 s18, exec_lo, -1
; %bb.2974:
	s_or_b32 exec_lo, exec_lo, s20
	s_delay_alu instid0(SALU_CYCLE_1)
	s_and_b32 s18, s18, exec_lo
	s_or_saveexec_b32 s19, s19
	v_mov_b32_e32 v20, 0x7f800001
	s_xor_b32 exec_lo, exec_lo, s19
	s_cbranch_execnz .LBB151_2993
.LBB151_2975:
	s_or_b32 exec_lo, exec_lo, s19
	s_and_saveexec_b32 s19, s18
	s_cbranch_execz .LBB151_2977
.LBB151_2976:
	v_and_b32_e32 v9, 0xffff, v7
	s_delay_alu instid0(VALU_DEP_1) | instskip(SKIP_1) | instid1(VALU_DEP_2)
	v_dual_lshlrev_b32 v7, 24, v7 :: v_dual_bitop2_b32 v11, 7, v9 bitop3:0x40
	v_bfe_u32 v17, v9, 3, 4
	v_and_b32_e32 v7, 0x80000000, v7
	s_delay_alu instid0(VALU_DEP_3) | instskip(NEXT) | instid1(VALU_DEP_3)
	v_clz_i32_u32_e32 v13, v11
	v_cmp_eq_u32_e32 vcc_lo, 0, v17
	s_delay_alu instid0(VALU_DEP_2) | instskip(NEXT) | instid1(VALU_DEP_1)
	v_min_u32_e32 v13, 32, v13
	v_subrev_nc_u32_e32 v15, 28, v13
	v_sub_nc_u32_e32 v13, 29, v13
	s_delay_alu instid0(VALU_DEP_2) | instskip(NEXT) | instid1(VALU_DEP_2)
	v_lshlrev_b32_e32 v9, v15, v9
	v_cndmask_b32_e32 v13, v17, v13, vcc_lo
	s_delay_alu instid0(VALU_DEP_2) | instskip(NEXT) | instid1(VALU_DEP_1)
	v_and_b32_e32 v9, 7, v9
	v_cndmask_b32_e32 v9, v11, v9, vcc_lo
	s_delay_alu instid0(VALU_DEP_3) | instskip(NEXT) | instid1(VALU_DEP_2)
	v_lshl_add_u32 v11, v13, 23, 0x3b800000
	v_lshlrev_b32_e32 v9, 20, v9
	s_delay_alu instid0(VALU_DEP_1)
	v_or3_b32 v20, v7, v11, v9
.LBB151_2977:
	s_or_b32 exec_lo, exec_lo, s19
.LBB151_2978:
	s_mov_b32 s18, -1
.LBB151_2979:
	s_mov_b32 s19, 0
.LBB151_2980:
	s_delay_alu instid0(SALU_CYCLE_1)
	s_and_b32 vcc_lo, exec_lo, s19
	s_cbranch_vccz .LBB151_3013
; %bb.2981:
	s_cmp_gt_i32 s13, 22
	s_cbranch_scc0 .LBB151_2991
; %bb.2982:
	s_cmp_lt_i32 s13, 24
	s_cbranch_scc1 .LBB151_2994
; %bb.2983:
	s_cmp_gt_i32 s13, 24
	s_cbranch_scc0 .LBB151_2995
; %bb.2984:
	global_load_u8 v7, v[18:19], off
	s_mov_b32 s18, exec_lo
	s_wait_loadcnt 0x0
	v_cmpx_lt_i16_e32 0x7f, v7
	s_xor_b32 s18, exec_lo, s18
	s_cbranch_execz .LBB151_3007
; %bb.2985:
	s_mov_b32 s17, -1
	s_mov_b32 s19, exec_lo
	v_cmpx_eq_u16_e32 0x80, v7
; %bb.2986:
	s_xor_b32 s17, exec_lo, -1
; %bb.2987:
	s_or_b32 exec_lo, exec_lo, s19
	s_delay_alu instid0(SALU_CYCLE_1)
	s_and_b32 s17, s17, exec_lo
	s_or_saveexec_b32 s18, s18
	v_mov_b32_e32 v20, 0x7f800001
	s_xor_b32 exec_lo, exec_lo, s18
	s_cbranch_execnz .LBB151_3008
.LBB151_2988:
	s_or_b32 exec_lo, exec_lo, s18
	s_and_saveexec_b32 s18, s17
	s_cbranch_execz .LBB151_2990
.LBB151_2989:
	v_and_b32_e32 v9, 0xffff, v7
	s_delay_alu instid0(VALU_DEP_1) | instskip(SKIP_1) | instid1(VALU_DEP_2)
	v_dual_lshlrev_b32 v7, 24, v7 :: v_dual_bitop2_b32 v11, 3, v9 bitop3:0x40
	v_bfe_u32 v17, v9, 2, 5
	v_and_b32_e32 v7, 0x80000000, v7
	s_delay_alu instid0(VALU_DEP_3) | instskip(NEXT) | instid1(VALU_DEP_3)
	v_clz_i32_u32_e32 v13, v11
	v_cmp_eq_u32_e32 vcc_lo, 0, v17
	s_delay_alu instid0(VALU_DEP_2) | instskip(NEXT) | instid1(VALU_DEP_1)
	v_min_u32_e32 v13, 32, v13
	v_subrev_nc_u32_e32 v15, 29, v13
	v_sub_nc_u32_e32 v13, 30, v13
	s_delay_alu instid0(VALU_DEP_2) | instskip(NEXT) | instid1(VALU_DEP_2)
	v_lshlrev_b32_e32 v9, v15, v9
	v_cndmask_b32_e32 v13, v17, v13, vcc_lo
	s_delay_alu instid0(VALU_DEP_2) | instskip(NEXT) | instid1(VALU_DEP_1)
	v_and_b32_e32 v9, 3, v9
	v_cndmask_b32_e32 v9, v11, v9, vcc_lo
	s_delay_alu instid0(VALU_DEP_3) | instskip(NEXT) | instid1(VALU_DEP_2)
	v_lshl_add_u32 v11, v13, 23, 0x37800000
	v_lshlrev_b32_e32 v9, 21, v9
	s_delay_alu instid0(VALU_DEP_1)
	v_or3_b32 v20, v7, v11, v9
.LBB151_2990:
	s_or_b32 exec_lo, exec_lo, s18
	s_mov_b32 s17, 0
	s_branch .LBB151_2996
.LBB151_2991:
	s_mov_b32 s17, -1
                                        ; implicit-def: $vgpr20
	s_branch .LBB151_3002
.LBB151_2992:
	s_or_saveexec_b32 s19, s19
	v_mov_b32_e32 v20, 0x7f800001
	s_xor_b32 exec_lo, exec_lo, s19
	s_cbranch_execz .LBB151_2975
.LBB151_2993:
	v_cmp_ne_u16_e32 vcc_lo, 0, v7
	v_mov_b32_e32 v20, 0
	s_and_not1_b32 s18, s18, exec_lo
	s_and_b32 s20, vcc_lo, exec_lo
	s_delay_alu instid0(SALU_CYCLE_1)
	s_or_b32 s18, s18, s20
	s_or_b32 exec_lo, exec_lo, s19
	s_and_saveexec_b32 s19, s18
	s_cbranch_execnz .LBB151_2976
	s_branch .LBB151_2977
.LBB151_2994:
	s_mov_b32 s17, -1
                                        ; implicit-def: $vgpr20
	s_branch .LBB151_2999
.LBB151_2995:
	s_mov_b32 s17, -1
                                        ; implicit-def: $vgpr20
.LBB151_2996:
	s_delay_alu instid0(SALU_CYCLE_1)
	s_and_b32 vcc_lo, exec_lo, s17
	s_cbranch_vccz .LBB151_2998
; %bb.2997:
	global_load_u8 v7, v[18:19], off
	s_wait_loadcnt 0x0
	v_lshlrev_b32_e32 v7, 24, v7
	s_delay_alu instid0(VALU_DEP_1) | instskip(NEXT) | instid1(VALU_DEP_1)
	v_and_b32_e32 v9, 0x7f000000, v7
	v_clz_i32_u32_e32 v11, v9
	v_add_nc_u32_e32 v15, 0x1000000, v9
	v_cmp_ne_u32_e32 vcc_lo, 0, v9
	s_delay_alu instid0(VALU_DEP_3) | instskip(NEXT) | instid1(VALU_DEP_1)
	v_min_u32_e32 v11, 32, v11
	v_sub_nc_u32_e64 v11, v11, 4 clamp
	s_delay_alu instid0(VALU_DEP_1) | instskip(NEXT) | instid1(VALU_DEP_1)
	v_dual_lshlrev_b32 v13, v11, v9 :: v_dual_lshlrev_b32 v11, 23, v11
	v_lshrrev_b32_e32 v13, 4, v13
	s_delay_alu instid0(VALU_DEP_1) | instskip(SKIP_1) | instid1(VALU_DEP_2)
	v_sub_nc_u32_e32 v11, v13, v11
	v_ashrrev_i32_e32 v13, 8, v15
	v_add_nc_u32_e32 v11, 0x3c000000, v11
	s_delay_alu instid0(VALU_DEP_1) | instskip(NEXT) | instid1(VALU_DEP_1)
	v_and_or_b32 v11, 0x7f800000, v13, v11
	v_cndmask_b32_e32 v9, 0, v11, vcc_lo
	s_wait_xcnt 0x1
	s_delay_alu instid0(VALU_DEP_1)
	v_and_or_b32 v20, 0x80000000, v7, v9
.LBB151_2998:
	s_mov_b32 s17, 0
.LBB151_2999:
	s_delay_alu instid0(SALU_CYCLE_1)
	s_and_not1_b32 vcc_lo, exec_lo, s17
	s_cbranch_vccnz .LBB151_3001
; %bb.3000:
	global_load_u8 v7, v[18:19], off
	s_wait_loadcnt 0x0
	v_lshlrev_b32_e32 v9, 25, v7
	v_lshlrev_b16 v7, 8, v7
	s_delay_alu instid0(VALU_DEP_1) | instskip(SKIP_1) | instid1(VALU_DEP_2)
	v_and_or_b32 v13, 0x7f00, v7, 0.5
	v_bfe_i32 v7, v7, 0, 16
	v_add_f32_e32 v13, -0.5, v13
	v_lshrrev_b32_e32 v11, 4, v9
	v_cmp_gt_u32_e32 vcc_lo, 0x8000000, v9
	s_delay_alu instid0(VALU_DEP_2) | instskip(NEXT) | instid1(VALU_DEP_1)
	v_or_b32_e32 v11, 0x70000000, v11
	v_mul_f32_e32 v11, 0x7800000, v11
	s_delay_alu instid0(VALU_DEP_1) | instskip(SKIP_1) | instid1(VALU_DEP_1)
	v_cndmask_b32_e32 v9, v11, v13, vcc_lo
	s_wait_xcnt 0x1
	v_and_or_b32 v20, 0x80000000, v7, v9
.LBB151_3001:
	s_mov_b32 s17, 0
	s_mov_b32 s18, -1
.LBB151_3002:
	s_and_not1_b32 vcc_lo, exec_lo, s17
	s_mov_b32 s17, 0
	s_cbranch_vccnz .LBB151_3013
; %bb.3003:
	s_cmp_gt_i32 s13, 14
	s_cbranch_scc0 .LBB151_3006
; %bb.3004:
	s_cmp_eq_u32 s13, 15
	s_cbranch_scc0 .LBB151_3009
; %bb.3005:
	global_load_u16 v7, v[18:19], off
	s_mov_b32 s16, 0
	s_mov_b32 s18, -1
	s_wait_loadcnt 0x0
	s_wait_xcnt 0x1
	v_lshlrev_b32_e32 v20, 16, v7
	s_branch .LBB151_3011
.LBB151_3006:
	s_mov_b32 s17, -1
	s_branch .LBB151_3010
.LBB151_3007:
	s_or_saveexec_b32 s18, s18
	v_mov_b32_e32 v20, 0x7f800001
	s_xor_b32 exec_lo, exec_lo, s18
	s_cbranch_execz .LBB151_2988
.LBB151_3008:
	v_cmp_ne_u16_e32 vcc_lo, 0, v7
	v_mov_b32_e32 v20, 0
	s_and_not1_b32 s17, s17, exec_lo
	s_and_b32 s19, vcc_lo, exec_lo
	s_delay_alu instid0(SALU_CYCLE_1)
	s_or_b32 s17, s17, s19
	s_or_b32 exec_lo, exec_lo, s18
	s_and_saveexec_b32 s18, s17
	s_cbranch_execnz .LBB151_2989
	s_branch .LBB151_2990
.LBB151_3009:
	s_mov_b32 s16, -1
.LBB151_3010:
                                        ; implicit-def: $vgpr20
.LBB151_3011:
	s_and_b32 vcc_lo, exec_lo, s17
	s_mov_b32 s17, 0
	s_cbranch_vccz .LBB151_3013
; %bb.3012:
	s_cmp_lg_u32 s13, 11
	s_mov_b32 s17, -1
	s_cselect_b32 s16, -1, 0
.LBB151_3013:
	s_delay_alu instid0(SALU_CYCLE_1)
	s_and_b32 vcc_lo, exec_lo, s16
	s_cbranch_vccnz .LBB151_3078
; %bb.3014:
	s_and_not1_b32 vcc_lo, exec_lo, s17
	s_cbranch_vccnz .LBB151_3016
.LBB151_3015:
	global_load_u8 v7, v[18:19], off
	s_mov_b32 s18, -1
	s_wait_loadcnt 0x0
	v_cmp_ne_u16_e32 vcc_lo, 0, v7
	s_wait_xcnt 0x1
	v_cndmask_b32_e64 v20, 0, 1.0, vcc_lo
.LBB151_3016:
	s_mov_b32 s16, 0
.LBB151_3017:
	s_delay_alu instid0(SALU_CYCLE_1)
	s_and_b32 vcc_lo, exec_lo, s16
	s_cbranch_vccz .LBB151_3066
; %bb.3018:
	s_cmp_lt_i32 s13, 5
	s_cbranch_scc1 .LBB151_3023
; %bb.3019:
	s_cmp_lt_i32 s13, 8
	s_cbranch_scc1 .LBB151_3024
	;; [unrolled: 3-line block ×3, first 2 shown]
; %bb.3021:
	s_cmp_gt_i32 s13, 9
	s_cbranch_scc0 .LBB151_3026
; %bb.3022:
	global_load_b64 v[20:21], v[18:19], off
	s_mov_b32 s16, 0
	s_wait_loadcnt 0x0
	v_cvt_f32_f64_e32 v20, v[20:21]
	s_branch .LBB151_3027
.LBB151_3023:
	s_mov_b32 s16, -1
                                        ; implicit-def: $vgpr20
	s_branch .LBB151_3045
.LBB151_3024:
	s_mov_b32 s16, -1
                                        ; implicit-def: $vgpr20
	s_branch .LBB151_3033
.LBB151_3025:
	s_mov_b32 s16, -1
                                        ; implicit-def: $vgpr20
	s_branch .LBB151_3030
.LBB151_3026:
	s_mov_b32 s16, -1
                                        ; implicit-def: $vgpr20
.LBB151_3027:
	s_delay_alu instid0(SALU_CYCLE_1)
	s_and_not1_b32 vcc_lo, exec_lo, s16
	s_cbranch_vccnz .LBB151_3029
; %bb.3028:
	global_load_b32 v20, v[18:19], off
.LBB151_3029:
	s_mov_b32 s16, 0
.LBB151_3030:
	s_delay_alu instid0(SALU_CYCLE_1)
	s_and_not1_b32 vcc_lo, exec_lo, s16
	s_cbranch_vccnz .LBB151_3032
; %bb.3031:
	global_load_b32 v7, v[18:19], off
	s_wait_loadcnt 0x0
	s_wait_xcnt 0x1
	v_cvt_f32_f16_e32 v20, v7
.LBB151_3032:
	s_mov_b32 s16, 0
.LBB151_3033:
	s_delay_alu instid0(SALU_CYCLE_1)
	s_and_not1_b32 vcc_lo, exec_lo, s16
	s_cbranch_vccnz .LBB151_3044
; %bb.3034:
	s_cmp_lt_i32 s13, 6
	s_cbranch_scc1 .LBB151_3037
; %bb.3035:
	s_cmp_gt_i32 s13, 6
	s_cbranch_scc0 .LBB151_3038
; %bb.3036:
	s_wait_loadcnt 0x0
	global_load_b64 v[20:21], v[18:19], off
	s_mov_b32 s16, 0
	s_wait_loadcnt 0x0
	v_cvt_f32_f64_e32 v20, v[20:21]
	s_branch .LBB151_3039
.LBB151_3037:
	s_mov_b32 s16, -1
                                        ; implicit-def: $vgpr20
	s_branch .LBB151_3042
.LBB151_3038:
	s_mov_b32 s16, -1
                                        ; implicit-def: $vgpr20
.LBB151_3039:
	s_delay_alu instid0(SALU_CYCLE_1)
	s_and_not1_b32 vcc_lo, exec_lo, s16
	s_cbranch_vccnz .LBB151_3041
; %bb.3040:
	s_wait_loadcnt 0x0
	global_load_b32 v20, v[18:19], off
.LBB151_3041:
	s_mov_b32 s16, 0
.LBB151_3042:
	s_delay_alu instid0(SALU_CYCLE_1)
	s_and_not1_b32 vcc_lo, exec_lo, s16
	s_cbranch_vccnz .LBB151_3044
; %bb.3043:
	global_load_u16 v7, v[18:19], off
	s_wait_loadcnt 0x0
	s_wait_xcnt 0x1
	v_cvt_f32_f16_e32 v20, v7
.LBB151_3044:
	s_mov_b32 s16, 0
.LBB151_3045:
	s_delay_alu instid0(SALU_CYCLE_1)
	s_and_not1_b32 vcc_lo, exec_lo, s16
	s_cbranch_vccnz .LBB151_3065
; %bb.3046:
	s_cmp_lt_i32 s13, 2
	s_cbranch_scc1 .LBB151_3050
; %bb.3047:
	s_cmp_lt_i32 s13, 3
	s_cbranch_scc1 .LBB151_3051
; %bb.3048:
	s_cmp_gt_i32 s13, 3
	s_cbranch_scc0 .LBB151_3052
; %bb.3049:
	s_wait_loadcnt 0x0
	global_load_b64 v[20:21], v[18:19], off
	s_mov_b32 s16, 0
	s_wait_loadcnt 0x0
	v_xor_b32_e32 v7, v20, v21
	v_cls_i32_e32 v9, v21
	s_delay_alu instid0(VALU_DEP_2) | instskip(NEXT) | instid1(VALU_DEP_1)
	v_ashrrev_i32_e32 v7, 31, v7
	v_add_nc_u32_e32 v7, 32, v7
	s_delay_alu instid0(VALU_DEP_1) | instskip(NEXT) | instid1(VALU_DEP_1)
	v_add_min_u32_e64 v7, v9, -1, v7
	v_lshlrev_b64_e32 v[20:21], v7, v[20:21]
	v_sub_nc_u32_e32 v7, 32, v7
	s_delay_alu instid0(VALU_DEP_2) | instskip(NEXT) | instid1(VALU_DEP_1)
	v_min_u32_e32 v9, 1, v20
	v_or_b32_e32 v9, v21, v9
	s_delay_alu instid0(VALU_DEP_1) | instskip(NEXT) | instid1(VALU_DEP_1)
	v_cvt_f32_i32_e32 v9, v9
	v_ldexp_f32 v20, v9, v7
	s_branch .LBB151_3053
.LBB151_3050:
	s_mov_b32 s16, -1
                                        ; implicit-def: $vgpr20
	s_branch .LBB151_3059
.LBB151_3051:
	s_mov_b32 s16, -1
                                        ; implicit-def: $vgpr20
	s_branch .LBB151_3056
.LBB151_3052:
	s_mov_b32 s16, -1
                                        ; implicit-def: $vgpr20
.LBB151_3053:
	s_delay_alu instid0(SALU_CYCLE_1)
	s_and_not1_b32 vcc_lo, exec_lo, s16
	s_cbranch_vccnz .LBB151_3055
; %bb.3054:
	global_load_b32 v7, v[18:19], off
	s_wait_loadcnt 0x0
	s_wait_xcnt 0x1
	v_cvt_f32_i32_e32 v20, v7
.LBB151_3055:
	s_mov_b32 s16, 0
.LBB151_3056:
	s_delay_alu instid0(SALU_CYCLE_1)
	s_and_not1_b32 vcc_lo, exec_lo, s16
	s_cbranch_vccnz .LBB151_3058
; %bb.3057:
	global_load_i16 v7, v[18:19], off
	s_wait_loadcnt 0x0
	s_wait_xcnt 0x1
	v_cvt_f32_i32_e32 v20, v7
.LBB151_3058:
	s_mov_b32 s16, 0
.LBB151_3059:
	s_delay_alu instid0(SALU_CYCLE_1)
	s_and_not1_b32 vcc_lo, exec_lo, s16
	s_cbranch_vccnz .LBB151_3065
; %bb.3060:
	s_cmp_gt_i32 s13, 0
	s_mov_b32 s16, 0
	s_cbranch_scc0 .LBB151_3062
; %bb.3061:
	global_load_i8 v7, v[18:19], off
	s_wait_loadcnt 0x0
	s_wait_xcnt 0x1
	v_cvt_f32_i32_e32 v20, v7
	s_branch .LBB151_3063
.LBB151_3062:
	s_mov_b32 s16, -1
                                        ; implicit-def: $vgpr20
.LBB151_3063:
	s_delay_alu instid0(SALU_CYCLE_1)
	s_and_not1_b32 vcc_lo, exec_lo, s16
	s_cbranch_vccnz .LBB151_3065
; %bb.3064:
	global_load_u8 v7, v[18:19], off
	s_wait_loadcnt 0x0
	s_wait_xcnt 0x1
	v_cvt_f32_ubyte0_e32 v20, v7
.LBB151_3065:
	s_mov_b32 s18, -1
.LBB151_3066:
	s_delay_alu instid0(SALU_CYCLE_1)
	s_and_not1_b32 vcc_lo, exec_lo, s18
	s_cbranch_vccnz .LBB151_4155
; %bb.3067:
	v_mov_b32_e32 v17, 0
	s_cmp_lt_i32 s14, 11
	s_delay_alu instid0(VALU_DEP_1)
	v_add_nc_u64_e32 v[16:17], s[0:1], v[16:17]
	s_cbranch_scc1 .LBB151_3074
; %bb.3068:
	s_cmp_gt_i32 s14, 25
	s_mov_b32 s17, 0
	s_cbranch_scc0 .LBB151_3075
; %bb.3069:
	s_cmp_gt_i32 s14, 28
	s_cbranch_scc0 .LBB151_3076
; %bb.3070:
	s_cmp_gt_i32 s14, 43
	;; [unrolled: 3-line block ×3, first 2 shown]
	s_cbranch_scc0 .LBB151_3079
; %bb.3072:
	s_cmp_eq_u32 s14, 46
	s_mov_b32 s19, 0
	s_cbranch_scc0 .LBB151_3080
; %bb.3073:
	global_load_b32 v7, v[16:17], off
	s_mov_b32 s16, 0
	s_mov_b32 s18, -1
	s_wait_loadcnt 0x0
	s_wait_xcnt 0x1
	v_lshlrev_b32_e32 v18, 16, v7
	s_branch .LBB151_3082
.LBB151_3074:
	s_mov_b32 s16, -1
	s_mov_b32 s18, 0
                                        ; implicit-def: $vgpr18
	s_branch .LBB151_3148
.LBB151_3075:
	s_mov_b32 s19, -1
	s_mov_b32 s18, 0
	s_mov_b32 s16, 0
                                        ; implicit-def: $vgpr18
	s_branch .LBB151_3111
.LBB151_3076:
	s_mov_b32 s19, -1
	s_mov_b32 s18, 0
	s_mov_b32 s16, 0
                                        ; implicit-def: $vgpr18
	s_branch .LBB151_3092
.LBB151_3077:
	s_mov_b32 s19, -1
	s_mov_b32 s18, 0
	s_mov_b32 s16, 0
                                        ; implicit-def: $vgpr18
	s_branch .LBB151_3087
.LBB151_3078:
	s_or_b32 s12, s12, exec_lo
	s_trap 2
	s_cbranch_execz .LBB151_3015
	s_branch .LBB151_3016
.LBB151_3079:
	s_mov_b32 s19, -1
	s_mov_b32 s18, 0
	s_mov_b32 s16, 0
	s_branch .LBB151_3081
.LBB151_3080:
	s_mov_b32 s16, -1
	s_mov_b32 s18, 0
.LBB151_3081:
                                        ; implicit-def: $vgpr18
.LBB151_3082:
	s_and_b32 vcc_lo, exec_lo, s19
	s_cbranch_vccz .LBB151_3086
; %bb.3083:
	s_cmp_eq_u32 s14, 44
	s_cbranch_scc0 .LBB151_3085
; %bb.3084:
	global_load_u8 v7, v[16:17], off
	s_mov_b32 s16, 0
	s_mov_b32 s18, -1
	s_wait_loadcnt 0x0
	v_lshlrev_b32_e32 v9, 23, v7
	v_cmp_ne_u32_e32 vcc_lo, 0xff, v7
	s_delay_alu instid0(VALU_DEP_2) | instskip(SKIP_2) | instid1(VALU_DEP_2)
	v_cndmask_b32_e32 v9, 0x7f800001, v9, vcc_lo
	v_cmp_ne_u32_e32 vcc_lo, 0, v7
	s_wait_xcnt 0x1
	v_cndmask_b32_e32 v18, 0x400000, v9, vcc_lo
	s_branch .LBB151_3086
.LBB151_3085:
	s_mov_b32 s16, -1
                                        ; implicit-def: $vgpr18
.LBB151_3086:
	s_mov_b32 s19, 0
.LBB151_3087:
	s_delay_alu instid0(SALU_CYCLE_1)
	s_and_b32 vcc_lo, exec_lo, s19
	s_cbranch_vccz .LBB151_3091
; %bb.3088:
	s_cmp_eq_u32 s14, 29
	s_cbranch_scc0 .LBB151_3090
; %bb.3089:
	global_load_b64 v[18:19], v[16:17], off
	s_mov_b32 s16, 0
	s_mov_b32 s18, -1
	s_mov_b32 s19, 0
	s_wait_loadcnt 0x0
	v_clz_i32_u32_e32 v7, v19
	s_delay_alu instid0(VALU_DEP_1) | instskip(NEXT) | instid1(VALU_DEP_1)
	v_min_u32_e32 v7, 32, v7
	v_lshlrev_b64_e32 v[18:19], v7, v[18:19]
	v_sub_nc_u32_e32 v7, 32, v7
	s_delay_alu instid0(VALU_DEP_2) | instskip(NEXT) | instid1(VALU_DEP_1)
	v_min_u32_e32 v9, 1, v18
	v_or_b32_e32 v9, v19, v9
	s_delay_alu instid0(VALU_DEP_1) | instskip(NEXT) | instid1(VALU_DEP_1)
	v_cvt_f32_u32_e32 v9, v9
	v_ldexp_f32 v18, v9, v7
	s_branch .LBB151_3092
.LBB151_3090:
	s_mov_b32 s16, -1
                                        ; implicit-def: $vgpr18
.LBB151_3091:
	s_mov_b32 s19, 0
.LBB151_3092:
	s_delay_alu instid0(SALU_CYCLE_1)
	s_and_b32 vcc_lo, exec_lo, s19
	s_cbranch_vccz .LBB151_3110
; %bb.3093:
	s_cmp_lt_i32 s14, 27
	s_cbranch_scc1 .LBB151_3096
; %bb.3094:
	s_cmp_gt_i32 s14, 27
	s_cbranch_scc0 .LBB151_3097
; %bb.3095:
	global_load_b32 v7, v[16:17], off
	s_mov_b32 s18, 0
	s_wait_loadcnt 0x0
	s_wait_xcnt 0x1
	v_cvt_f32_u32_e32 v18, v7
	s_branch .LBB151_3098
.LBB151_3096:
	s_mov_b32 s18, -1
                                        ; implicit-def: $vgpr18
	s_branch .LBB151_3101
.LBB151_3097:
	s_mov_b32 s18, -1
                                        ; implicit-def: $vgpr18
.LBB151_3098:
	s_delay_alu instid0(SALU_CYCLE_1)
	s_and_not1_b32 vcc_lo, exec_lo, s18
	s_cbranch_vccnz .LBB151_3100
; %bb.3099:
	global_load_u16 v7, v[16:17], off
	s_wait_loadcnt 0x0
	s_wait_xcnt 0x1
	v_cvt_f32_u32_e32 v18, v7
.LBB151_3100:
	s_mov_b32 s18, 0
.LBB151_3101:
	s_delay_alu instid0(SALU_CYCLE_1)
	s_and_not1_b32 vcc_lo, exec_lo, s18
	s_cbranch_vccnz .LBB151_3109
; %bb.3102:
	global_load_u8 v7, v[16:17], off
	s_mov_b32 s18, 0
	s_mov_b32 s19, exec_lo
	s_wait_loadcnt 0x0
	v_cmpx_lt_i16_e32 0x7f, v7
	s_xor_b32 s19, exec_lo, s19
	s_cbranch_execz .LBB151_3123
; %bb.3103:
	s_mov_b32 s18, -1
	s_mov_b32 s20, exec_lo
	v_cmpx_eq_u16_e32 0x80, v7
; %bb.3104:
	s_xor_b32 s18, exec_lo, -1
; %bb.3105:
	s_or_b32 exec_lo, exec_lo, s20
	s_delay_alu instid0(SALU_CYCLE_1)
	s_and_b32 s18, s18, exec_lo
	s_or_saveexec_b32 s19, s19
	v_mov_b32_e32 v18, 0x7f800001
	s_xor_b32 exec_lo, exec_lo, s19
	s_cbranch_execnz .LBB151_3124
.LBB151_3106:
	s_or_b32 exec_lo, exec_lo, s19
	s_and_saveexec_b32 s19, s18
	s_cbranch_execz .LBB151_3108
.LBB151_3107:
	v_and_b32_e32 v9, 0xffff, v7
	s_delay_alu instid0(VALU_DEP_1) | instskip(SKIP_1) | instid1(VALU_DEP_2)
	v_dual_lshlrev_b32 v7, 24, v7 :: v_dual_bitop2_b32 v11, 7, v9 bitop3:0x40
	v_bfe_u32 v18, v9, 3, 4
	v_and_b32_e32 v7, 0x80000000, v7
	s_delay_alu instid0(VALU_DEP_3) | instskip(NEXT) | instid1(VALU_DEP_3)
	v_clz_i32_u32_e32 v13, v11
	v_cmp_eq_u32_e32 vcc_lo, 0, v18
	s_delay_alu instid0(VALU_DEP_2) | instskip(NEXT) | instid1(VALU_DEP_1)
	v_min_u32_e32 v13, 32, v13
	v_subrev_nc_u32_e32 v15, 28, v13
	v_sub_nc_u32_e32 v13, 29, v13
	s_delay_alu instid0(VALU_DEP_2) | instskip(NEXT) | instid1(VALU_DEP_2)
	v_lshlrev_b32_e32 v9, v15, v9
	v_cndmask_b32_e32 v13, v18, v13, vcc_lo
	s_delay_alu instid0(VALU_DEP_2) | instskip(NEXT) | instid1(VALU_DEP_1)
	v_and_b32_e32 v9, 7, v9
	v_cndmask_b32_e32 v9, v11, v9, vcc_lo
	s_delay_alu instid0(VALU_DEP_3) | instskip(NEXT) | instid1(VALU_DEP_2)
	v_lshl_add_u32 v11, v13, 23, 0x3b800000
	v_lshlrev_b32_e32 v9, 20, v9
	s_delay_alu instid0(VALU_DEP_1)
	v_or3_b32 v18, v7, v11, v9
.LBB151_3108:
	s_or_b32 exec_lo, exec_lo, s19
.LBB151_3109:
	s_mov_b32 s18, -1
.LBB151_3110:
	s_mov_b32 s19, 0
.LBB151_3111:
	s_delay_alu instid0(SALU_CYCLE_1)
	s_and_b32 vcc_lo, exec_lo, s19
	s_cbranch_vccz .LBB151_3144
; %bb.3112:
	s_cmp_gt_i32 s14, 22
	s_cbranch_scc0 .LBB151_3122
; %bb.3113:
	s_cmp_lt_i32 s14, 24
	s_cbranch_scc1 .LBB151_3125
; %bb.3114:
	s_cmp_gt_i32 s14, 24
	s_cbranch_scc0 .LBB151_3126
; %bb.3115:
	global_load_u8 v7, v[16:17], off
	s_mov_b32 s18, exec_lo
	s_wait_loadcnt 0x0
	v_cmpx_lt_i16_e32 0x7f, v7
	s_xor_b32 s18, exec_lo, s18
	s_cbranch_execz .LBB151_3138
; %bb.3116:
	s_mov_b32 s17, -1
	s_mov_b32 s19, exec_lo
	v_cmpx_eq_u16_e32 0x80, v7
; %bb.3117:
	s_xor_b32 s17, exec_lo, -1
; %bb.3118:
	s_or_b32 exec_lo, exec_lo, s19
	s_delay_alu instid0(SALU_CYCLE_1)
	s_and_b32 s17, s17, exec_lo
	s_or_saveexec_b32 s18, s18
	v_mov_b32_e32 v18, 0x7f800001
	s_xor_b32 exec_lo, exec_lo, s18
	s_cbranch_execnz .LBB151_3139
.LBB151_3119:
	s_or_b32 exec_lo, exec_lo, s18
	s_and_saveexec_b32 s18, s17
	s_cbranch_execz .LBB151_3121
.LBB151_3120:
	v_and_b32_e32 v9, 0xffff, v7
	s_delay_alu instid0(VALU_DEP_1) | instskip(SKIP_1) | instid1(VALU_DEP_2)
	v_dual_lshlrev_b32 v7, 24, v7 :: v_dual_bitop2_b32 v11, 3, v9 bitop3:0x40
	v_bfe_u32 v18, v9, 2, 5
	v_and_b32_e32 v7, 0x80000000, v7
	s_delay_alu instid0(VALU_DEP_3) | instskip(NEXT) | instid1(VALU_DEP_3)
	v_clz_i32_u32_e32 v13, v11
	v_cmp_eq_u32_e32 vcc_lo, 0, v18
	s_delay_alu instid0(VALU_DEP_2) | instskip(NEXT) | instid1(VALU_DEP_1)
	v_min_u32_e32 v13, 32, v13
	v_subrev_nc_u32_e32 v15, 29, v13
	v_sub_nc_u32_e32 v13, 30, v13
	s_delay_alu instid0(VALU_DEP_2) | instskip(NEXT) | instid1(VALU_DEP_2)
	v_lshlrev_b32_e32 v9, v15, v9
	v_cndmask_b32_e32 v13, v18, v13, vcc_lo
	s_delay_alu instid0(VALU_DEP_2) | instskip(NEXT) | instid1(VALU_DEP_1)
	v_and_b32_e32 v9, 3, v9
	v_cndmask_b32_e32 v9, v11, v9, vcc_lo
	s_delay_alu instid0(VALU_DEP_3) | instskip(NEXT) | instid1(VALU_DEP_2)
	v_lshl_add_u32 v11, v13, 23, 0x37800000
	v_lshlrev_b32_e32 v9, 21, v9
	s_delay_alu instid0(VALU_DEP_1)
	v_or3_b32 v18, v7, v11, v9
.LBB151_3121:
	s_or_b32 exec_lo, exec_lo, s18
	s_mov_b32 s17, 0
	s_branch .LBB151_3127
.LBB151_3122:
	s_mov_b32 s17, -1
                                        ; implicit-def: $vgpr18
	s_branch .LBB151_3133
.LBB151_3123:
	s_or_saveexec_b32 s19, s19
	v_mov_b32_e32 v18, 0x7f800001
	s_xor_b32 exec_lo, exec_lo, s19
	s_cbranch_execz .LBB151_3106
.LBB151_3124:
	v_cmp_ne_u16_e32 vcc_lo, 0, v7
	v_mov_b32_e32 v18, 0
	s_and_not1_b32 s18, s18, exec_lo
	s_and_b32 s20, vcc_lo, exec_lo
	s_delay_alu instid0(SALU_CYCLE_1)
	s_or_b32 s18, s18, s20
	s_or_b32 exec_lo, exec_lo, s19
	s_and_saveexec_b32 s19, s18
	s_cbranch_execnz .LBB151_3107
	s_branch .LBB151_3108
.LBB151_3125:
	s_mov_b32 s17, -1
                                        ; implicit-def: $vgpr18
	s_branch .LBB151_3130
.LBB151_3126:
	s_mov_b32 s17, -1
                                        ; implicit-def: $vgpr18
.LBB151_3127:
	s_delay_alu instid0(SALU_CYCLE_1)
	s_and_b32 vcc_lo, exec_lo, s17
	s_cbranch_vccz .LBB151_3129
; %bb.3128:
	global_load_u8 v7, v[16:17], off
	s_wait_loadcnt 0x0
	v_lshlrev_b32_e32 v7, 24, v7
	s_delay_alu instid0(VALU_DEP_1) | instskip(NEXT) | instid1(VALU_DEP_1)
	v_and_b32_e32 v9, 0x7f000000, v7
	v_clz_i32_u32_e32 v11, v9
	v_add_nc_u32_e32 v15, 0x1000000, v9
	v_cmp_ne_u32_e32 vcc_lo, 0, v9
	s_delay_alu instid0(VALU_DEP_3) | instskip(NEXT) | instid1(VALU_DEP_1)
	v_min_u32_e32 v11, 32, v11
	v_sub_nc_u32_e64 v11, v11, 4 clamp
	s_delay_alu instid0(VALU_DEP_1) | instskip(NEXT) | instid1(VALU_DEP_1)
	v_dual_lshlrev_b32 v13, v11, v9 :: v_dual_lshlrev_b32 v11, 23, v11
	v_lshrrev_b32_e32 v13, 4, v13
	s_delay_alu instid0(VALU_DEP_1) | instskip(SKIP_1) | instid1(VALU_DEP_2)
	v_sub_nc_u32_e32 v11, v13, v11
	v_ashrrev_i32_e32 v13, 8, v15
	v_add_nc_u32_e32 v11, 0x3c000000, v11
	s_delay_alu instid0(VALU_DEP_1) | instskip(NEXT) | instid1(VALU_DEP_1)
	v_and_or_b32 v11, 0x7f800000, v13, v11
	v_cndmask_b32_e32 v9, 0, v11, vcc_lo
	s_wait_xcnt 0x1
	s_delay_alu instid0(VALU_DEP_1)
	v_and_or_b32 v18, 0x80000000, v7, v9
.LBB151_3129:
	s_mov_b32 s17, 0
.LBB151_3130:
	s_delay_alu instid0(SALU_CYCLE_1)
	s_and_not1_b32 vcc_lo, exec_lo, s17
	s_cbranch_vccnz .LBB151_3132
; %bb.3131:
	global_load_u8 v7, v[16:17], off
	s_wait_loadcnt 0x0
	v_lshlrev_b32_e32 v9, 25, v7
	v_lshlrev_b16 v7, 8, v7
	s_delay_alu instid0(VALU_DEP_1) | instskip(SKIP_1) | instid1(VALU_DEP_2)
	v_and_or_b32 v13, 0x7f00, v7, 0.5
	v_bfe_i32 v7, v7, 0, 16
	v_add_f32_e32 v13, -0.5, v13
	v_lshrrev_b32_e32 v11, 4, v9
	v_cmp_gt_u32_e32 vcc_lo, 0x8000000, v9
	s_delay_alu instid0(VALU_DEP_2) | instskip(NEXT) | instid1(VALU_DEP_1)
	v_or_b32_e32 v11, 0x70000000, v11
	v_mul_f32_e32 v11, 0x7800000, v11
	s_delay_alu instid0(VALU_DEP_1) | instskip(SKIP_1) | instid1(VALU_DEP_1)
	v_cndmask_b32_e32 v9, v11, v13, vcc_lo
	s_wait_xcnt 0x1
	v_and_or_b32 v18, 0x80000000, v7, v9
.LBB151_3132:
	s_mov_b32 s17, 0
	s_mov_b32 s18, -1
.LBB151_3133:
	s_and_not1_b32 vcc_lo, exec_lo, s17
	s_mov_b32 s17, 0
	s_cbranch_vccnz .LBB151_3144
; %bb.3134:
	s_cmp_gt_i32 s14, 14
	s_cbranch_scc0 .LBB151_3137
; %bb.3135:
	s_cmp_eq_u32 s14, 15
	s_cbranch_scc0 .LBB151_3140
; %bb.3136:
	global_load_u16 v7, v[16:17], off
	s_mov_b32 s16, 0
	s_mov_b32 s18, -1
	s_wait_loadcnt 0x0
	s_wait_xcnt 0x1
	v_lshlrev_b32_e32 v18, 16, v7
	s_branch .LBB151_3142
.LBB151_3137:
	s_mov_b32 s17, -1
	s_branch .LBB151_3141
.LBB151_3138:
	s_or_saveexec_b32 s18, s18
	v_mov_b32_e32 v18, 0x7f800001
	s_xor_b32 exec_lo, exec_lo, s18
	s_cbranch_execz .LBB151_3119
.LBB151_3139:
	v_cmp_ne_u16_e32 vcc_lo, 0, v7
	v_mov_b32_e32 v18, 0
	s_and_not1_b32 s17, s17, exec_lo
	s_and_b32 s19, vcc_lo, exec_lo
	s_delay_alu instid0(SALU_CYCLE_1)
	s_or_b32 s17, s17, s19
	s_or_b32 exec_lo, exec_lo, s18
	s_and_saveexec_b32 s18, s17
	s_cbranch_execnz .LBB151_3120
	s_branch .LBB151_3121
.LBB151_3140:
	s_mov_b32 s16, -1
.LBB151_3141:
                                        ; implicit-def: $vgpr18
.LBB151_3142:
	s_and_b32 vcc_lo, exec_lo, s17
	s_mov_b32 s17, 0
	s_cbranch_vccz .LBB151_3144
; %bb.3143:
	s_cmp_lg_u32 s14, 11
	s_mov_b32 s17, -1
	s_cselect_b32 s16, -1, 0
.LBB151_3144:
	s_delay_alu instid0(SALU_CYCLE_1)
	s_and_b32 vcc_lo, exec_lo, s16
	s_cbranch_vccnz .LBB151_3209
; %bb.3145:
	s_and_not1_b32 vcc_lo, exec_lo, s17
	s_cbranch_vccnz .LBB151_3147
.LBB151_3146:
	global_load_u8 v7, v[16:17], off
	s_mov_b32 s18, -1
	s_wait_loadcnt 0x0
	v_cmp_ne_u16_e32 vcc_lo, 0, v7
	s_wait_xcnt 0x1
	v_cndmask_b32_e64 v18, 0, 1.0, vcc_lo
.LBB151_3147:
	s_mov_b32 s16, 0
.LBB151_3148:
	s_delay_alu instid0(SALU_CYCLE_1)
	s_and_b32 vcc_lo, exec_lo, s16
	s_cbranch_vccz .LBB151_3197
; %bb.3149:
	s_cmp_lt_i32 s14, 5
	s_cbranch_scc1 .LBB151_3154
; %bb.3150:
	s_cmp_lt_i32 s14, 8
	s_cbranch_scc1 .LBB151_3155
	;; [unrolled: 3-line block ×3, first 2 shown]
; %bb.3152:
	s_cmp_gt_i32 s14, 9
	s_cbranch_scc0 .LBB151_3157
; %bb.3153:
	global_load_b64 v[18:19], v[16:17], off
	s_mov_b32 s16, 0
	s_wait_loadcnt 0x0
	v_cvt_f32_f64_e32 v18, v[18:19]
	s_branch .LBB151_3158
.LBB151_3154:
	s_mov_b32 s16, -1
                                        ; implicit-def: $vgpr18
	s_branch .LBB151_3176
.LBB151_3155:
	s_mov_b32 s16, -1
                                        ; implicit-def: $vgpr18
	s_branch .LBB151_3164
.LBB151_3156:
	s_mov_b32 s16, -1
                                        ; implicit-def: $vgpr18
	s_branch .LBB151_3161
.LBB151_3157:
	s_mov_b32 s16, -1
                                        ; implicit-def: $vgpr18
.LBB151_3158:
	s_delay_alu instid0(SALU_CYCLE_1)
	s_and_not1_b32 vcc_lo, exec_lo, s16
	s_cbranch_vccnz .LBB151_3160
; %bb.3159:
	global_load_b32 v18, v[16:17], off
.LBB151_3160:
	s_mov_b32 s16, 0
.LBB151_3161:
	s_delay_alu instid0(SALU_CYCLE_1)
	s_and_not1_b32 vcc_lo, exec_lo, s16
	s_cbranch_vccnz .LBB151_3163
; %bb.3162:
	global_load_b32 v7, v[16:17], off
	s_wait_loadcnt 0x0
	s_wait_xcnt 0x1
	v_cvt_f32_f16_e32 v18, v7
.LBB151_3163:
	s_mov_b32 s16, 0
.LBB151_3164:
	s_delay_alu instid0(SALU_CYCLE_1)
	s_and_not1_b32 vcc_lo, exec_lo, s16
	s_cbranch_vccnz .LBB151_3175
; %bb.3165:
	s_cmp_lt_i32 s14, 6
	s_cbranch_scc1 .LBB151_3168
; %bb.3166:
	s_cmp_gt_i32 s14, 6
	s_cbranch_scc0 .LBB151_3169
; %bb.3167:
	s_wait_loadcnt 0x0
	global_load_b64 v[18:19], v[16:17], off
	s_mov_b32 s16, 0
	s_wait_loadcnt 0x0
	v_cvt_f32_f64_e32 v18, v[18:19]
	s_branch .LBB151_3170
.LBB151_3168:
	s_mov_b32 s16, -1
                                        ; implicit-def: $vgpr18
	s_branch .LBB151_3173
.LBB151_3169:
	s_mov_b32 s16, -1
                                        ; implicit-def: $vgpr18
.LBB151_3170:
	s_delay_alu instid0(SALU_CYCLE_1)
	s_and_not1_b32 vcc_lo, exec_lo, s16
	s_cbranch_vccnz .LBB151_3172
; %bb.3171:
	s_wait_loadcnt 0x0
	global_load_b32 v18, v[16:17], off
.LBB151_3172:
	s_mov_b32 s16, 0
.LBB151_3173:
	s_delay_alu instid0(SALU_CYCLE_1)
	s_and_not1_b32 vcc_lo, exec_lo, s16
	s_cbranch_vccnz .LBB151_3175
; %bb.3174:
	global_load_u16 v7, v[16:17], off
	s_wait_loadcnt 0x0
	s_wait_xcnt 0x1
	v_cvt_f32_f16_e32 v18, v7
.LBB151_3175:
	s_mov_b32 s16, 0
.LBB151_3176:
	s_delay_alu instid0(SALU_CYCLE_1)
	s_and_not1_b32 vcc_lo, exec_lo, s16
	s_cbranch_vccnz .LBB151_3196
; %bb.3177:
	s_cmp_lt_i32 s14, 2
	s_cbranch_scc1 .LBB151_3181
; %bb.3178:
	s_cmp_lt_i32 s14, 3
	s_cbranch_scc1 .LBB151_3182
; %bb.3179:
	s_cmp_gt_i32 s14, 3
	s_cbranch_scc0 .LBB151_3183
; %bb.3180:
	s_wait_loadcnt 0x0
	global_load_b64 v[18:19], v[16:17], off
	s_mov_b32 s16, 0
	s_wait_loadcnt 0x0
	v_xor_b32_e32 v7, v18, v19
	v_cls_i32_e32 v9, v19
	s_delay_alu instid0(VALU_DEP_2) | instskip(NEXT) | instid1(VALU_DEP_1)
	v_ashrrev_i32_e32 v7, 31, v7
	v_add_nc_u32_e32 v7, 32, v7
	s_delay_alu instid0(VALU_DEP_1) | instskip(NEXT) | instid1(VALU_DEP_1)
	v_add_min_u32_e64 v7, v9, -1, v7
	v_lshlrev_b64_e32 v[18:19], v7, v[18:19]
	v_sub_nc_u32_e32 v7, 32, v7
	s_delay_alu instid0(VALU_DEP_2) | instskip(NEXT) | instid1(VALU_DEP_1)
	v_min_u32_e32 v9, 1, v18
	v_or_b32_e32 v9, v19, v9
	s_delay_alu instid0(VALU_DEP_1) | instskip(NEXT) | instid1(VALU_DEP_1)
	v_cvt_f32_i32_e32 v9, v9
	v_ldexp_f32 v18, v9, v7
	s_branch .LBB151_3184
.LBB151_3181:
	s_mov_b32 s16, -1
                                        ; implicit-def: $vgpr18
	s_branch .LBB151_3190
.LBB151_3182:
	s_mov_b32 s16, -1
                                        ; implicit-def: $vgpr18
	s_branch .LBB151_3187
.LBB151_3183:
	s_mov_b32 s16, -1
                                        ; implicit-def: $vgpr18
.LBB151_3184:
	s_delay_alu instid0(SALU_CYCLE_1)
	s_and_not1_b32 vcc_lo, exec_lo, s16
	s_cbranch_vccnz .LBB151_3186
; %bb.3185:
	global_load_b32 v7, v[16:17], off
	s_wait_loadcnt 0x0
	s_wait_xcnt 0x1
	v_cvt_f32_i32_e32 v18, v7
.LBB151_3186:
	s_mov_b32 s16, 0
.LBB151_3187:
	s_delay_alu instid0(SALU_CYCLE_1)
	s_and_not1_b32 vcc_lo, exec_lo, s16
	s_cbranch_vccnz .LBB151_3189
; %bb.3188:
	global_load_i16 v7, v[16:17], off
	s_wait_loadcnt 0x0
	s_wait_xcnt 0x1
	v_cvt_f32_i32_e32 v18, v7
.LBB151_3189:
	s_mov_b32 s16, 0
.LBB151_3190:
	s_delay_alu instid0(SALU_CYCLE_1)
	s_and_not1_b32 vcc_lo, exec_lo, s16
	s_cbranch_vccnz .LBB151_3196
; %bb.3191:
	s_cmp_gt_i32 s14, 0
	s_mov_b32 s16, 0
	s_cbranch_scc0 .LBB151_3193
; %bb.3192:
	global_load_i8 v7, v[16:17], off
	s_wait_loadcnt 0x0
	s_wait_xcnt 0x1
	v_cvt_f32_i32_e32 v18, v7
	s_branch .LBB151_3194
.LBB151_3193:
	s_mov_b32 s16, -1
                                        ; implicit-def: $vgpr18
.LBB151_3194:
	s_delay_alu instid0(SALU_CYCLE_1)
	s_and_not1_b32 vcc_lo, exec_lo, s16
	s_cbranch_vccnz .LBB151_3196
; %bb.3195:
	global_load_u8 v7, v[16:17], off
	s_wait_loadcnt 0x0
	s_wait_xcnt 0x1
	v_cvt_f32_ubyte0_e32 v18, v7
.LBB151_3196:
	s_mov_b32 s18, -1
.LBB151_3197:
	s_delay_alu instid0(SALU_CYCLE_1)
	s_and_not1_b32 vcc_lo, exec_lo, s18
	s_cbranch_vccnz .LBB151_4155
; %bb.3198:
	v_mov_b32_e32 v15, 0
	s_cmp_lt_i32 s15, 11
	s_delay_alu instid0(VALU_DEP_1)
	v_add_nc_u64_e32 v[14:15], s[8:9], v[14:15]
	s_cbranch_scc1 .LBB151_3205
; %bb.3199:
	s_cmp_gt_i32 s15, 25
	s_mov_b32 s17, 0
	s_cbranch_scc0 .LBB151_3206
; %bb.3200:
	s_cmp_gt_i32 s15, 28
	s_cbranch_scc0 .LBB151_3207
; %bb.3201:
	s_cmp_gt_i32 s15, 43
	;; [unrolled: 3-line block ×3, first 2 shown]
	s_cbranch_scc0 .LBB151_3210
; %bb.3203:
	s_cmp_eq_u32 s15, 46
	s_mov_b32 s19, 0
	s_cbranch_scc0 .LBB151_3211
; %bb.3204:
	global_load_b32 v7, v[14:15], off
	s_mov_b32 s16, 0
	s_mov_b32 s18, -1
	s_wait_loadcnt 0x0
	s_wait_xcnt 0x1
	v_lshlrev_b32_e32 v16, 16, v7
	s_branch .LBB151_3213
.LBB151_3205:
	s_mov_b32 s16, -1
	s_mov_b32 s18, 0
                                        ; implicit-def: $vgpr16
	s_branch .LBB151_3279
.LBB151_3206:
	s_mov_b32 s19, -1
	s_mov_b32 s18, 0
	s_mov_b32 s16, 0
                                        ; implicit-def: $vgpr16
	s_branch .LBB151_3242
.LBB151_3207:
	s_mov_b32 s19, -1
	s_mov_b32 s18, 0
	s_mov_b32 s16, 0
                                        ; implicit-def: $vgpr16
	s_branch .LBB151_3223
.LBB151_3208:
	s_mov_b32 s19, -1
	s_mov_b32 s18, 0
	s_mov_b32 s16, 0
                                        ; implicit-def: $vgpr16
	s_branch .LBB151_3218
.LBB151_3209:
	s_or_b32 s12, s12, exec_lo
	s_trap 2
	s_cbranch_execz .LBB151_3146
	s_branch .LBB151_3147
.LBB151_3210:
	s_mov_b32 s19, -1
	s_mov_b32 s18, 0
	s_mov_b32 s16, 0
	s_branch .LBB151_3212
.LBB151_3211:
	s_mov_b32 s16, -1
	s_mov_b32 s18, 0
.LBB151_3212:
                                        ; implicit-def: $vgpr16
.LBB151_3213:
	s_and_b32 vcc_lo, exec_lo, s19
	s_cbranch_vccz .LBB151_3217
; %bb.3214:
	s_cmp_eq_u32 s15, 44
	s_cbranch_scc0 .LBB151_3216
; %bb.3215:
	global_load_u8 v7, v[14:15], off
	s_mov_b32 s16, 0
	s_mov_b32 s18, -1
	s_wait_loadcnt 0x0
	v_lshlrev_b32_e32 v9, 23, v7
	v_cmp_ne_u32_e32 vcc_lo, 0xff, v7
	s_delay_alu instid0(VALU_DEP_2) | instskip(SKIP_2) | instid1(VALU_DEP_2)
	v_cndmask_b32_e32 v9, 0x7f800001, v9, vcc_lo
	v_cmp_ne_u32_e32 vcc_lo, 0, v7
	s_wait_xcnt 0x1
	v_cndmask_b32_e32 v16, 0x400000, v9, vcc_lo
	s_branch .LBB151_3217
.LBB151_3216:
	s_mov_b32 s16, -1
                                        ; implicit-def: $vgpr16
.LBB151_3217:
	s_mov_b32 s19, 0
.LBB151_3218:
	s_delay_alu instid0(SALU_CYCLE_1)
	s_and_b32 vcc_lo, exec_lo, s19
	s_cbranch_vccz .LBB151_3222
; %bb.3219:
	s_cmp_eq_u32 s15, 29
	s_cbranch_scc0 .LBB151_3221
; %bb.3220:
	global_load_b64 v[16:17], v[14:15], off
	s_mov_b32 s16, 0
	s_mov_b32 s18, -1
	s_mov_b32 s19, 0
	s_wait_loadcnt 0x0
	v_clz_i32_u32_e32 v7, v17
	s_delay_alu instid0(VALU_DEP_1) | instskip(NEXT) | instid1(VALU_DEP_1)
	v_min_u32_e32 v7, 32, v7
	v_lshlrev_b64_e32 v[16:17], v7, v[16:17]
	v_sub_nc_u32_e32 v7, 32, v7
	s_delay_alu instid0(VALU_DEP_2) | instskip(NEXT) | instid1(VALU_DEP_1)
	v_min_u32_e32 v9, 1, v16
	v_or_b32_e32 v9, v17, v9
	s_delay_alu instid0(VALU_DEP_1) | instskip(NEXT) | instid1(VALU_DEP_1)
	v_cvt_f32_u32_e32 v9, v9
	v_ldexp_f32 v16, v9, v7
	s_branch .LBB151_3223
.LBB151_3221:
	s_mov_b32 s16, -1
                                        ; implicit-def: $vgpr16
.LBB151_3222:
	s_mov_b32 s19, 0
.LBB151_3223:
	s_delay_alu instid0(SALU_CYCLE_1)
	s_and_b32 vcc_lo, exec_lo, s19
	s_cbranch_vccz .LBB151_3241
; %bb.3224:
	s_cmp_lt_i32 s15, 27
	s_cbranch_scc1 .LBB151_3227
; %bb.3225:
	s_cmp_gt_i32 s15, 27
	s_cbranch_scc0 .LBB151_3228
; %bb.3226:
	global_load_b32 v7, v[14:15], off
	s_mov_b32 s18, 0
	s_wait_loadcnt 0x0
	s_wait_xcnt 0x1
	v_cvt_f32_u32_e32 v16, v7
	s_branch .LBB151_3229
.LBB151_3227:
	s_mov_b32 s18, -1
                                        ; implicit-def: $vgpr16
	s_branch .LBB151_3232
.LBB151_3228:
	s_mov_b32 s18, -1
                                        ; implicit-def: $vgpr16
.LBB151_3229:
	s_delay_alu instid0(SALU_CYCLE_1)
	s_and_not1_b32 vcc_lo, exec_lo, s18
	s_cbranch_vccnz .LBB151_3231
; %bb.3230:
	global_load_u16 v7, v[14:15], off
	s_wait_loadcnt 0x0
	s_wait_xcnt 0x1
	v_cvt_f32_u32_e32 v16, v7
.LBB151_3231:
	s_mov_b32 s18, 0
.LBB151_3232:
	s_delay_alu instid0(SALU_CYCLE_1)
	s_and_not1_b32 vcc_lo, exec_lo, s18
	s_cbranch_vccnz .LBB151_3240
; %bb.3233:
	global_load_u8 v7, v[14:15], off
	s_mov_b32 s18, 0
	s_mov_b32 s19, exec_lo
	s_wait_loadcnt 0x0
	v_cmpx_lt_i16_e32 0x7f, v7
	s_xor_b32 s19, exec_lo, s19
	s_cbranch_execz .LBB151_3254
; %bb.3234:
	s_mov_b32 s18, -1
	s_mov_b32 s20, exec_lo
	v_cmpx_eq_u16_e32 0x80, v7
; %bb.3235:
	s_xor_b32 s18, exec_lo, -1
; %bb.3236:
	s_or_b32 exec_lo, exec_lo, s20
	s_delay_alu instid0(SALU_CYCLE_1)
	s_and_b32 s18, s18, exec_lo
	s_or_saveexec_b32 s19, s19
	v_mov_b32_e32 v16, 0x7f800001
	s_xor_b32 exec_lo, exec_lo, s19
	s_cbranch_execnz .LBB151_3255
.LBB151_3237:
	s_or_b32 exec_lo, exec_lo, s19
	s_and_saveexec_b32 s19, s18
	s_cbranch_execz .LBB151_3239
.LBB151_3238:
	v_and_b32_e32 v9, 0xffff, v7
	s_delay_alu instid0(VALU_DEP_1) | instskip(SKIP_1) | instid1(VALU_DEP_2)
	v_dual_lshlrev_b32 v7, 24, v7 :: v_dual_bitop2_b32 v11, 7, v9 bitop3:0x40
	v_bfe_u32 v17, v9, 3, 4
	v_and_b32_e32 v7, 0x80000000, v7
	s_delay_alu instid0(VALU_DEP_3) | instskip(NEXT) | instid1(VALU_DEP_3)
	v_clz_i32_u32_e32 v13, v11
	v_cmp_eq_u32_e32 vcc_lo, 0, v17
	s_delay_alu instid0(VALU_DEP_2) | instskip(NEXT) | instid1(VALU_DEP_1)
	v_min_u32_e32 v13, 32, v13
	v_subrev_nc_u32_e32 v16, 28, v13
	v_sub_nc_u32_e32 v13, 29, v13
	s_delay_alu instid0(VALU_DEP_2) | instskip(NEXT) | instid1(VALU_DEP_2)
	v_lshlrev_b32_e32 v9, v16, v9
	v_cndmask_b32_e32 v13, v17, v13, vcc_lo
	s_delay_alu instid0(VALU_DEP_2) | instskip(NEXT) | instid1(VALU_DEP_1)
	v_and_b32_e32 v9, 7, v9
	v_cndmask_b32_e32 v9, v11, v9, vcc_lo
	s_delay_alu instid0(VALU_DEP_3) | instskip(NEXT) | instid1(VALU_DEP_2)
	v_lshl_add_u32 v11, v13, 23, 0x3b800000
	v_lshlrev_b32_e32 v9, 20, v9
	s_delay_alu instid0(VALU_DEP_1)
	v_or3_b32 v16, v7, v11, v9
.LBB151_3239:
	s_or_b32 exec_lo, exec_lo, s19
.LBB151_3240:
	s_mov_b32 s18, -1
.LBB151_3241:
	s_mov_b32 s19, 0
.LBB151_3242:
	s_delay_alu instid0(SALU_CYCLE_1)
	s_and_b32 vcc_lo, exec_lo, s19
	s_cbranch_vccz .LBB151_3275
; %bb.3243:
	s_cmp_gt_i32 s15, 22
	s_cbranch_scc0 .LBB151_3253
; %bb.3244:
	s_cmp_lt_i32 s15, 24
	s_cbranch_scc1 .LBB151_3256
; %bb.3245:
	s_cmp_gt_i32 s15, 24
	s_cbranch_scc0 .LBB151_3257
; %bb.3246:
	global_load_u8 v7, v[14:15], off
	s_mov_b32 s18, exec_lo
	s_wait_loadcnt 0x0
	v_cmpx_lt_i16_e32 0x7f, v7
	s_xor_b32 s18, exec_lo, s18
	s_cbranch_execz .LBB151_3269
; %bb.3247:
	s_mov_b32 s17, -1
	s_mov_b32 s19, exec_lo
	v_cmpx_eq_u16_e32 0x80, v7
; %bb.3248:
	s_xor_b32 s17, exec_lo, -1
; %bb.3249:
	s_or_b32 exec_lo, exec_lo, s19
	s_delay_alu instid0(SALU_CYCLE_1)
	s_and_b32 s17, s17, exec_lo
	s_or_saveexec_b32 s18, s18
	v_mov_b32_e32 v16, 0x7f800001
	s_xor_b32 exec_lo, exec_lo, s18
	s_cbranch_execnz .LBB151_3270
.LBB151_3250:
	s_or_b32 exec_lo, exec_lo, s18
	s_and_saveexec_b32 s18, s17
	s_cbranch_execz .LBB151_3252
.LBB151_3251:
	v_and_b32_e32 v9, 0xffff, v7
	s_delay_alu instid0(VALU_DEP_1) | instskip(SKIP_1) | instid1(VALU_DEP_2)
	v_dual_lshlrev_b32 v7, 24, v7 :: v_dual_bitop2_b32 v11, 3, v9 bitop3:0x40
	v_bfe_u32 v17, v9, 2, 5
	v_and_b32_e32 v7, 0x80000000, v7
	s_delay_alu instid0(VALU_DEP_3) | instskip(NEXT) | instid1(VALU_DEP_3)
	v_clz_i32_u32_e32 v13, v11
	v_cmp_eq_u32_e32 vcc_lo, 0, v17
	s_delay_alu instid0(VALU_DEP_2) | instskip(NEXT) | instid1(VALU_DEP_1)
	v_min_u32_e32 v13, 32, v13
	v_subrev_nc_u32_e32 v16, 29, v13
	v_sub_nc_u32_e32 v13, 30, v13
	s_delay_alu instid0(VALU_DEP_2) | instskip(NEXT) | instid1(VALU_DEP_2)
	v_lshlrev_b32_e32 v9, v16, v9
	v_cndmask_b32_e32 v13, v17, v13, vcc_lo
	s_delay_alu instid0(VALU_DEP_2) | instskip(NEXT) | instid1(VALU_DEP_1)
	v_and_b32_e32 v9, 3, v9
	v_cndmask_b32_e32 v9, v11, v9, vcc_lo
	s_delay_alu instid0(VALU_DEP_3) | instskip(NEXT) | instid1(VALU_DEP_2)
	v_lshl_add_u32 v11, v13, 23, 0x37800000
	v_lshlrev_b32_e32 v9, 21, v9
	s_delay_alu instid0(VALU_DEP_1)
	v_or3_b32 v16, v7, v11, v9
.LBB151_3252:
	s_or_b32 exec_lo, exec_lo, s18
	s_mov_b32 s17, 0
	s_branch .LBB151_3258
.LBB151_3253:
	s_mov_b32 s17, -1
                                        ; implicit-def: $vgpr16
	s_branch .LBB151_3264
.LBB151_3254:
	s_or_saveexec_b32 s19, s19
	v_mov_b32_e32 v16, 0x7f800001
	s_xor_b32 exec_lo, exec_lo, s19
	s_cbranch_execz .LBB151_3237
.LBB151_3255:
	v_cmp_ne_u16_e32 vcc_lo, 0, v7
	v_mov_b32_e32 v16, 0
	s_and_not1_b32 s18, s18, exec_lo
	s_and_b32 s20, vcc_lo, exec_lo
	s_delay_alu instid0(SALU_CYCLE_1)
	s_or_b32 s18, s18, s20
	s_or_b32 exec_lo, exec_lo, s19
	s_and_saveexec_b32 s19, s18
	s_cbranch_execnz .LBB151_3238
	s_branch .LBB151_3239
.LBB151_3256:
	s_mov_b32 s17, -1
                                        ; implicit-def: $vgpr16
	s_branch .LBB151_3261
.LBB151_3257:
	s_mov_b32 s17, -1
                                        ; implicit-def: $vgpr16
.LBB151_3258:
	s_delay_alu instid0(SALU_CYCLE_1)
	s_and_b32 vcc_lo, exec_lo, s17
	s_cbranch_vccz .LBB151_3260
; %bb.3259:
	global_load_u8 v7, v[14:15], off
	s_wait_loadcnt 0x0
	v_lshlrev_b32_e32 v7, 24, v7
	s_delay_alu instid0(VALU_DEP_1) | instskip(NEXT) | instid1(VALU_DEP_1)
	v_and_b32_e32 v9, 0x7f000000, v7
	v_clz_i32_u32_e32 v11, v9
	v_cmp_ne_u32_e32 vcc_lo, 0, v9
	s_wait_xcnt 0x1
	v_add_nc_u32_e32 v16, 0x1000000, v9
	s_delay_alu instid0(VALU_DEP_3) | instskip(NEXT) | instid1(VALU_DEP_1)
	v_min_u32_e32 v11, 32, v11
	v_sub_nc_u32_e64 v11, v11, 4 clamp
	s_delay_alu instid0(VALU_DEP_1) | instskip(NEXT) | instid1(VALU_DEP_1)
	v_dual_lshlrev_b32 v13, v11, v9 :: v_dual_lshlrev_b32 v11, 23, v11
	v_lshrrev_b32_e32 v13, 4, v13
	s_delay_alu instid0(VALU_DEP_1) | instskip(NEXT) | instid1(VALU_DEP_1)
	v_dual_sub_nc_u32 v11, v13, v11 :: v_dual_ashrrev_i32 v13, 8, v16
	v_add_nc_u32_e32 v11, 0x3c000000, v11
	s_delay_alu instid0(VALU_DEP_1) | instskip(NEXT) | instid1(VALU_DEP_1)
	v_and_or_b32 v11, 0x7f800000, v13, v11
	v_cndmask_b32_e32 v9, 0, v11, vcc_lo
	s_delay_alu instid0(VALU_DEP_1)
	v_and_or_b32 v16, 0x80000000, v7, v9
.LBB151_3260:
	s_mov_b32 s17, 0
.LBB151_3261:
	s_delay_alu instid0(SALU_CYCLE_1)
	s_and_not1_b32 vcc_lo, exec_lo, s17
	s_cbranch_vccnz .LBB151_3263
; %bb.3262:
	global_load_u8 v7, v[14:15], off
	s_wait_loadcnt 0x0
	v_lshlrev_b32_e32 v9, 25, v7
	v_lshlrev_b16 v7, 8, v7
	s_delay_alu instid0(VALU_DEP_1) | instskip(SKIP_1) | instid1(VALU_DEP_2)
	v_and_or_b32 v13, 0x7f00, v7, 0.5
	v_bfe_i32 v7, v7, 0, 16
	v_add_f32_e32 v13, -0.5, v13
	v_lshrrev_b32_e32 v11, 4, v9
	v_cmp_gt_u32_e32 vcc_lo, 0x8000000, v9
	s_delay_alu instid0(VALU_DEP_2) | instskip(NEXT) | instid1(VALU_DEP_1)
	v_or_b32_e32 v11, 0x70000000, v11
	v_mul_f32_e32 v11, 0x7800000, v11
	s_delay_alu instid0(VALU_DEP_1) | instskip(SKIP_1) | instid1(VALU_DEP_1)
	v_cndmask_b32_e32 v9, v11, v13, vcc_lo
	s_wait_xcnt 0x1
	v_and_or_b32 v16, 0x80000000, v7, v9
.LBB151_3263:
	s_mov_b32 s17, 0
	s_mov_b32 s18, -1
.LBB151_3264:
	s_and_not1_b32 vcc_lo, exec_lo, s17
	s_mov_b32 s17, 0
	s_cbranch_vccnz .LBB151_3275
; %bb.3265:
	s_cmp_gt_i32 s15, 14
	s_cbranch_scc0 .LBB151_3268
; %bb.3266:
	s_cmp_eq_u32 s15, 15
	s_cbranch_scc0 .LBB151_3271
; %bb.3267:
	global_load_u16 v7, v[14:15], off
	s_mov_b32 s16, 0
	s_mov_b32 s18, -1
	s_wait_loadcnt 0x0
	s_wait_xcnt 0x1
	v_lshlrev_b32_e32 v16, 16, v7
	s_branch .LBB151_3273
.LBB151_3268:
	s_mov_b32 s17, -1
	s_branch .LBB151_3272
.LBB151_3269:
	s_or_saveexec_b32 s18, s18
	v_mov_b32_e32 v16, 0x7f800001
	s_xor_b32 exec_lo, exec_lo, s18
	s_cbranch_execz .LBB151_3250
.LBB151_3270:
	v_cmp_ne_u16_e32 vcc_lo, 0, v7
	v_mov_b32_e32 v16, 0
	s_and_not1_b32 s17, s17, exec_lo
	s_and_b32 s19, vcc_lo, exec_lo
	s_delay_alu instid0(SALU_CYCLE_1)
	s_or_b32 s17, s17, s19
	s_or_b32 exec_lo, exec_lo, s18
	s_and_saveexec_b32 s18, s17
	s_cbranch_execnz .LBB151_3251
	s_branch .LBB151_3252
.LBB151_3271:
	s_mov_b32 s16, -1
.LBB151_3272:
                                        ; implicit-def: $vgpr16
.LBB151_3273:
	s_and_b32 vcc_lo, exec_lo, s17
	s_mov_b32 s17, 0
	s_cbranch_vccz .LBB151_3275
; %bb.3274:
	s_cmp_lg_u32 s15, 11
	s_mov_b32 s17, -1
	s_cselect_b32 s16, -1, 0
.LBB151_3275:
	s_delay_alu instid0(SALU_CYCLE_1)
	s_and_b32 vcc_lo, exec_lo, s16
	s_cbranch_vccnz .LBB151_3340
; %bb.3276:
	s_and_not1_b32 vcc_lo, exec_lo, s17
	s_cbranch_vccnz .LBB151_3278
.LBB151_3277:
	global_load_u8 v7, v[14:15], off
	s_mov_b32 s18, -1
	s_wait_loadcnt 0x0
	v_cmp_ne_u16_e32 vcc_lo, 0, v7
	s_wait_xcnt 0x1
	v_cndmask_b32_e64 v16, 0, 1.0, vcc_lo
.LBB151_3278:
	s_mov_b32 s16, 0
.LBB151_3279:
	s_delay_alu instid0(SALU_CYCLE_1)
	s_and_b32 vcc_lo, exec_lo, s16
	s_cbranch_vccz .LBB151_3328
; %bb.3280:
	s_cmp_lt_i32 s15, 5
	s_cbranch_scc1 .LBB151_3285
; %bb.3281:
	s_cmp_lt_i32 s15, 8
	s_cbranch_scc1 .LBB151_3286
	;; [unrolled: 3-line block ×3, first 2 shown]
; %bb.3283:
	s_cmp_gt_i32 s15, 9
	s_cbranch_scc0 .LBB151_3288
; %bb.3284:
	global_load_b64 v[16:17], v[14:15], off
	s_mov_b32 s16, 0
	s_wait_loadcnt 0x0
	v_cvt_f32_f64_e32 v16, v[16:17]
	s_branch .LBB151_3289
.LBB151_3285:
	s_mov_b32 s16, -1
                                        ; implicit-def: $vgpr16
	s_branch .LBB151_3307
.LBB151_3286:
	s_mov_b32 s16, -1
                                        ; implicit-def: $vgpr16
	s_branch .LBB151_3295
.LBB151_3287:
	s_mov_b32 s16, -1
                                        ; implicit-def: $vgpr16
	s_branch .LBB151_3292
.LBB151_3288:
	s_mov_b32 s16, -1
                                        ; implicit-def: $vgpr16
.LBB151_3289:
	s_delay_alu instid0(SALU_CYCLE_1)
	s_and_not1_b32 vcc_lo, exec_lo, s16
	s_cbranch_vccnz .LBB151_3291
; %bb.3290:
	global_load_b32 v16, v[14:15], off
.LBB151_3291:
	s_mov_b32 s16, 0
.LBB151_3292:
	s_delay_alu instid0(SALU_CYCLE_1)
	s_and_not1_b32 vcc_lo, exec_lo, s16
	s_cbranch_vccnz .LBB151_3294
; %bb.3293:
	global_load_b32 v7, v[14:15], off
	s_wait_loadcnt 0x0
	s_wait_xcnt 0x1
	v_cvt_f32_f16_e32 v16, v7
.LBB151_3294:
	s_mov_b32 s16, 0
.LBB151_3295:
	s_delay_alu instid0(SALU_CYCLE_1)
	s_and_not1_b32 vcc_lo, exec_lo, s16
	s_cbranch_vccnz .LBB151_3306
; %bb.3296:
	s_cmp_lt_i32 s15, 6
	s_cbranch_scc1 .LBB151_3299
; %bb.3297:
	s_cmp_gt_i32 s15, 6
	s_cbranch_scc0 .LBB151_3300
; %bb.3298:
	s_wait_loadcnt 0x0
	global_load_b64 v[16:17], v[14:15], off
	s_mov_b32 s16, 0
	s_wait_loadcnt 0x0
	v_cvt_f32_f64_e32 v16, v[16:17]
	s_branch .LBB151_3301
.LBB151_3299:
	s_mov_b32 s16, -1
                                        ; implicit-def: $vgpr16
	s_branch .LBB151_3304
.LBB151_3300:
	s_mov_b32 s16, -1
                                        ; implicit-def: $vgpr16
.LBB151_3301:
	s_delay_alu instid0(SALU_CYCLE_1)
	s_and_not1_b32 vcc_lo, exec_lo, s16
	s_cbranch_vccnz .LBB151_3303
; %bb.3302:
	s_wait_loadcnt 0x0
	global_load_b32 v16, v[14:15], off
.LBB151_3303:
	s_mov_b32 s16, 0
.LBB151_3304:
	s_delay_alu instid0(SALU_CYCLE_1)
	s_and_not1_b32 vcc_lo, exec_lo, s16
	s_cbranch_vccnz .LBB151_3306
; %bb.3305:
	global_load_u16 v7, v[14:15], off
	s_wait_loadcnt 0x0
	s_wait_xcnt 0x1
	v_cvt_f32_f16_e32 v16, v7
.LBB151_3306:
	s_mov_b32 s16, 0
.LBB151_3307:
	s_delay_alu instid0(SALU_CYCLE_1)
	s_and_not1_b32 vcc_lo, exec_lo, s16
	s_cbranch_vccnz .LBB151_3327
; %bb.3308:
	s_cmp_lt_i32 s15, 2
	s_cbranch_scc1 .LBB151_3312
; %bb.3309:
	s_cmp_lt_i32 s15, 3
	s_cbranch_scc1 .LBB151_3313
; %bb.3310:
	s_cmp_gt_i32 s15, 3
	s_cbranch_scc0 .LBB151_3314
; %bb.3311:
	s_wait_loadcnt 0x0
	global_load_b64 v[16:17], v[14:15], off
	s_mov_b32 s16, 0
	s_wait_loadcnt 0x0
	v_xor_b32_e32 v7, v16, v17
	v_cls_i32_e32 v9, v17
	s_delay_alu instid0(VALU_DEP_2) | instskip(NEXT) | instid1(VALU_DEP_1)
	v_ashrrev_i32_e32 v7, 31, v7
	v_add_nc_u32_e32 v7, 32, v7
	s_delay_alu instid0(VALU_DEP_1) | instskip(NEXT) | instid1(VALU_DEP_1)
	v_add_min_u32_e64 v7, v9, -1, v7
	v_lshlrev_b64_e32 v[16:17], v7, v[16:17]
	v_sub_nc_u32_e32 v7, 32, v7
	s_delay_alu instid0(VALU_DEP_2) | instskip(NEXT) | instid1(VALU_DEP_1)
	v_min_u32_e32 v9, 1, v16
	v_or_b32_e32 v9, v17, v9
	s_delay_alu instid0(VALU_DEP_1) | instskip(NEXT) | instid1(VALU_DEP_1)
	v_cvt_f32_i32_e32 v9, v9
	v_ldexp_f32 v16, v9, v7
	s_branch .LBB151_3315
.LBB151_3312:
	s_mov_b32 s16, -1
                                        ; implicit-def: $vgpr16
	s_branch .LBB151_3321
.LBB151_3313:
	s_mov_b32 s16, -1
                                        ; implicit-def: $vgpr16
	s_branch .LBB151_3318
.LBB151_3314:
	s_mov_b32 s16, -1
                                        ; implicit-def: $vgpr16
.LBB151_3315:
	s_delay_alu instid0(SALU_CYCLE_1)
	s_and_not1_b32 vcc_lo, exec_lo, s16
	s_cbranch_vccnz .LBB151_3317
; %bb.3316:
	global_load_b32 v7, v[14:15], off
	s_wait_loadcnt 0x0
	s_wait_xcnt 0x1
	v_cvt_f32_i32_e32 v16, v7
.LBB151_3317:
	s_mov_b32 s16, 0
.LBB151_3318:
	s_delay_alu instid0(SALU_CYCLE_1)
	s_and_not1_b32 vcc_lo, exec_lo, s16
	s_cbranch_vccnz .LBB151_3320
; %bb.3319:
	global_load_i16 v7, v[14:15], off
	s_wait_loadcnt 0x0
	s_wait_xcnt 0x1
	v_cvt_f32_i32_e32 v16, v7
.LBB151_3320:
	s_mov_b32 s16, 0
.LBB151_3321:
	s_delay_alu instid0(SALU_CYCLE_1)
	s_and_not1_b32 vcc_lo, exec_lo, s16
	s_cbranch_vccnz .LBB151_3327
; %bb.3322:
	s_cmp_gt_i32 s15, 0
	s_mov_b32 s16, 0
	s_cbranch_scc0 .LBB151_3324
; %bb.3323:
	global_load_i8 v7, v[14:15], off
	s_wait_loadcnt 0x0
	s_wait_xcnt 0x1
	v_cvt_f32_i32_e32 v16, v7
	s_branch .LBB151_3325
.LBB151_3324:
	s_mov_b32 s16, -1
                                        ; implicit-def: $vgpr16
.LBB151_3325:
	s_delay_alu instid0(SALU_CYCLE_1)
	s_and_not1_b32 vcc_lo, exec_lo, s16
	s_cbranch_vccnz .LBB151_3327
; %bb.3326:
	global_load_u8 v7, v[14:15], off
	s_wait_loadcnt 0x0
	s_wait_xcnt 0x1
	v_cvt_f32_ubyte0_e32 v16, v7
.LBB151_3327:
	s_mov_b32 s18, -1
.LBB151_3328:
	s_delay_alu instid0(SALU_CYCLE_1)
	s_and_not1_b32 vcc_lo, exec_lo, s18
	s_cbranch_vccnz .LBB151_4155
; %bb.3329:
	v_mov_b32_e32 v13, 0
	s_cmp_lt_i32 s13, 11
	s_delay_alu instid0(VALU_DEP_1)
	v_add_nc_u64_e32 v[12:13], s[6:7], v[12:13]
	s_cbranch_scc1 .LBB151_3336
; %bb.3330:
	s_cmp_gt_i32 s13, 25
	s_mov_b32 s7, 0
	s_cbranch_scc0 .LBB151_3337
; %bb.3331:
	s_cmp_gt_i32 s13, 28
	s_cbranch_scc0 .LBB151_3338
; %bb.3332:
	s_cmp_gt_i32 s13, 43
	;; [unrolled: 3-line block ×3, first 2 shown]
	s_cbranch_scc0 .LBB151_3341
; %bb.3334:
	s_cmp_eq_u32 s13, 46
	s_mov_b32 s17, 0
	s_cbranch_scc0 .LBB151_3342
; %bb.3335:
	global_load_b32 v7, v[12:13], off
	s_mov_b32 s6, 0
	s_mov_b32 s16, -1
	s_wait_loadcnt 0x0
	s_wait_xcnt 0x1
	v_lshlrev_b32_e32 v14, 16, v7
	s_branch .LBB151_3344
.LBB151_3336:
	s_mov_b32 s6, -1
	s_mov_b32 s16, 0
                                        ; implicit-def: $vgpr14
	s_branch .LBB151_3410
.LBB151_3337:
	s_mov_b32 s17, -1
	s_mov_b32 s16, 0
	s_mov_b32 s6, 0
                                        ; implicit-def: $vgpr14
	s_branch .LBB151_3373
.LBB151_3338:
	s_mov_b32 s17, -1
	s_mov_b32 s16, 0
	s_mov_b32 s6, 0
                                        ; implicit-def: $vgpr14
	s_branch .LBB151_3354
.LBB151_3339:
	s_mov_b32 s17, -1
	s_mov_b32 s16, 0
	s_mov_b32 s6, 0
                                        ; implicit-def: $vgpr14
	s_branch .LBB151_3349
.LBB151_3340:
	s_or_b32 s12, s12, exec_lo
	s_trap 2
	s_cbranch_execz .LBB151_3277
	s_branch .LBB151_3278
.LBB151_3341:
	s_mov_b32 s17, -1
	s_mov_b32 s16, 0
	s_mov_b32 s6, 0
	s_branch .LBB151_3343
.LBB151_3342:
	s_mov_b32 s6, -1
	s_mov_b32 s16, 0
.LBB151_3343:
                                        ; implicit-def: $vgpr14
.LBB151_3344:
	s_and_b32 vcc_lo, exec_lo, s17
	s_cbranch_vccz .LBB151_3348
; %bb.3345:
	s_cmp_eq_u32 s13, 44
	s_cbranch_scc0 .LBB151_3347
; %bb.3346:
	global_load_u8 v7, v[12:13], off
	s_mov_b32 s6, 0
	s_mov_b32 s16, -1
	s_wait_loadcnt 0x0
	v_lshlrev_b32_e32 v9, 23, v7
	v_cmp_ne_u32_e32 vcc_lo, 0xff, v7
	s_delay_alu instid0(VALU_DEP_2) | instskip(SKIP_2) | instid1(VALU_DEP_2)
	v_cndmask_b32_e32 v9, 0x7f800001, v9, vcc_lo
	v_cmp_ne_u32_e32 vcc_lo, 0, v7
	s_wait_xcnt 0x1
	v_cndmask_b32_e32 v14, 0x400000, v9, vcc_lo
	s_branch .LBB151_3348
.LBB151_3347:
	s_mov_b32 s6, -1
                                        ; implicit-def: $vgpr14
.LBB151_3348:
	s_mov_b32 s17, 0
.LBB151_3349:
	s_delay_alu instid0(SALU_CYCLE_1)
	s_and_b32 vcc_lo, exec_lo, s17
	s_cbranch_vccz .LBB151_3353
; %bb.3350:
	s_cmp_eq_u32 s13, 29
	s_cbranch_scc0 .LBB151_3352
; %bb.3351:
	global_load_b64 v[14:15], v[12:13], off
	s_mov_b32 s6, 0
	s_mov_b32 s16, -1
	s_mov_b32 s17, 0
	s_wait_loadcnt 0x0
	v_clz_i32_u32_e32 v7, v15
	s_delay_alu instid0(VALU_DEP_1) | instskip(NEXT) | instid1(VALU_DEP_1)
	v_min_u32_e32 v7, 32, v7
	v_lshlrev_b64_e32 v[14:15], v7, v[14:15]
	v_sub_nc_u32_e32 v7, 32, v7
	s_delay_alu instid0(VALU_DEP_2) | instskip(NEXT) | instid1(VALU_DEP_1)
	v_min_u32_e32 v9, 1, v14
	v_or_b32_e32 v9, v15, v9
	s_delay_alu instid0(VALU_DEP_1) | instskip(NEXT) | instid1(VALU_DEP_1)
	v_cvt_f32_u32_e32 v9, v9
	v_ldexp_f32 v14, v9, v7
	s_branch .LBB151_3354
.LBB151_3352:
	s_mov_b32 s6, -1
                                        ; implicit-def: $vgpr14
.LBB151_3353:
	s_mov_b32 s17, 0
.LBB151_3354:
	s_delay_alu instid0(SALU_CYCLE_1)
	s_and_b32 vcc_lo, exec_lo, s17
	s_cbranch_vccz .LBB151_3372
; %bb.3355:
	s_cmp_lt_i32 s13, 27
	s_cbranch_scc1 .LBB151_3358
; %bb.3356:
	s_cmp_gt_i32 s13, 27
	s_cbranch_scc0 .LBB151_3359
; %bb.3357:
	global_load_b32 v7, v[12:13], off
	s_mov_b32 s16, 0
	s_wait_loadcnt 0x0
	s_wait_xcnt 0x1
	v_cvt_f32_u32_e32 v14, v7
	s_branch .LBB151_3360
.LBB151_3358:
	s_mov_b32 s16, -1
                                        ; implicit-def: $vgpr14
	s_branch .LBB151_3363
.LBB151_3359:
	s_mov_b32 s16, -1
                                        ; implicit-def: $vgpr14
.LBB151_3360:
	s_delay_alu instid0(SALU_CYCLE_1)
	s_and_not1_b32 vcc_lo, exec_lo, s16
	s_cbranch_vccnz .LBB151_3362
; %bb.3361:
	global_load_u16 v7, v[12:13], off
	s_wait_loadcnt 0x0
	s_wait_xcnt 0x1
	v_cvt_f32_u32_e32 v14, v7
.LBB151_3362:
	s_mov_b32 s16, 0
.LBB151_3363:
	s_delay_alu instid0(SALU_CYCLE_1)
	s_and_not1_b32 vcc_lo, exec_lo, s16
	s_cbranch_vccnz .LBB151_3371
; %bb.3364:
	global_load_u8 v7, v[12:13], off
	s_mov_b32 s16, 0
	s_mov_b32 s17, exec_lo
	s_wait_loadcnt 0x0
	v_cmpx_lt_i16_e32 0x7f, v7
	s_xor_b32 s17, exec_lo, s17
	s_cbranch_execz .LBB151_3385
; %bb.3365:
	s_mov_b32 s16, -1
	s_mov_b32 s18, exec_lo
	v_cmpx_eq_u16_e32 0x80, v7
; %bb.3366:
	s_xor_b32 s16, exec_lo, -1
; %bb.3367:
	s_or_b32 exec_lo, exec_lo, s18
	s_delay_alu instid0(SALU_CYCLE_1)
	s_and_b32 s16, s16, exec_lo
	s_or_saveexec_b32 s17, s17
	v_mov_b32_e32 v14, 0x7f800001
	s_xor_b32 exec_lo, exec_lo, s17
	s_cbranch_execnz .LBB151_3386
.LBB151_3368:
	s_or_b32 exec_lo, exec_lo, s17
	s_and_saveexec_b32 s17, s16
	s_cbranch_execz .LBB151_3370
.LBB151_3369:
	v_and_b32_e32 v9, 0xffff, v7
	s_delay_alu instid0(VALU_DEP_1) | instskip(SKIP_1) | instid1(VALU_DEP_2)
	v_and_b32_e32 v11, 7, v9
	v_bfe_u32 v17, v9, 3, 4
	v_clz_i32_u32_e32 v14, v11
	s_delay_alu instid0(VALU_DEP_2) | instskip(NEXT) | instid1(VALU_DEP_2)
	v_cmp_eq_u32_e32 vcc_lo, 0, v17
	v_min_u32_e32 v14, 32, v14
	s_delay_alu instid0(VALU_DEP_1) | instskip(NEXT) | instid1(VALU_DEP_1)
	v_subrev_nc_u32_e32 v15, 28, v14
	v_dual_lshlrev_b32 v9, v15, v9 :: v_dual_sub_nc_u32 v14, 29, v14
	s_delay_alu instid0(VALU_DEP_1) | instskip(NEXT) | instid1(VALU_DEP_1)
	v_dual_lshlrev_b32 v7, 24, v7 :: v_dual_bitop2_b32 v9, 7, v9 bitop3:0x40
	v_dual_cndmask_b32 v14, v17, v14 :: v_dual_cndmask_b32 v9, v11, v9
	s_delay_alu instid0(VALU_DEP_2) | instskip(NEXT) | instid1(VALU_DEP_2)
	v_and_b32_e32 v7, 0x80000000, v7
	v_lshl_add_u32 v11, v14, 23, 0x3b800000
	s_delay_alu instid0(VALU_DEP_3) | instskip(NEXT) | instid1(VALU_DEP_1)
	v_lshlrev_b32_e32 v9, 20, v9
	v_or3_b32 v14, v7, v11, v9
.LBB151_3370:
	s_or_b32 exec_lo, exec_lo, s17
.LBB151_3371:
	s_mov_b32 s16, -1
.LBB151_3372:
	s_mov_b32 s17, 0
.LBB151_3373:
	s_delay_alu instid0(SALU_CYCLE_1)
	s_and_b32 vcc_lo, exec_lo, s17
	s_cbranch_vccz .LBB151_3406
; %bb.3374:
	s_cmp_gt_i32 s13, 22
	s_cbranch_scc0 .LBB151_3384
; %bb.3375:
	s_cmp_lt_i32 s13, 24
	s_cbranch_scc1 .LBB151_3387
; %bb.3376:
	s_cmp_gt_i32 s13, 24
	s_cbranch_scc0 .LBB151_3388
; %bb.3377:
	global_load_u8 v7, v[12:13], off
	s_mov_b32 s16, exec_lo
	s_wait_loadcnt 0x0
	v_cmpx_lt_i16_e32 0x7f, v7
	s_xor_b32 s16, exec_lo, s16
	s_cbranch_execz .LBB151_3400
; %bb.3378:
	s_mov_b32 s7, -1
	s_mov_b32 s17, exec_lo
	v_cmpx_eq_u16_e32 0x80, v7
; %bb.3379:
	s_xor_b32 s7, exec_lo, -1
; %bb.3380:
	s_or_b32 exec_lo, exec_lo, s17
	s_delay_alu instid0(SALU_CYCLE_1)
	s_and_b32 s7, s7, exec_lo
	s_or_saveexec_b32 s16, s16
	v_mov_b32_e32 v14, 0x7f800001
	s_xor_b32 exec_lo, exec_lo, s16
	s_cbranch_execnz .LBB151_3401
.LBB151_3381:
	s_or_b32 exec_lo, exec_lo, s16
	s_and_saveexec_b32 s16, s7
	s_cbranch_execz .LBB151_3383
.LBB151_3382:
	v_and_b32_e32 v9, 0xffff, v7
	s_delay_alu instid0(VALU_DEP_1) | instskip(SKIP_1) | instid1(VALU_DEP_2)
	v_and_b32_e32 v11, 3, v9
	v_bfe_u32 v17, v9, 2, 5
	v_clz_i32_u32_e32 v14, v11
	s_delay_alu instid0(VALU_DEP_2) | instskip(NEXT) | instid1(VALU_DEP_2)
	v_cmp_eq_u32_e32 vcc_lo, 0, v17
	v_min_u32_e32 v14, 32, v14
	s_delay_alu instid0(VALU_DEP_1) | instskip(NEXT) | instid1(VALU_DEP_1)
	v_subrev_nc_u32_e32 v15, 29, v14
	v_dual_lshlrev_b32 v9, v15, v9 :: v_dual_sub_nc_u32 v14, 30, v14
	s_delay_alu instid0(VALU_DEP_1) | instskip(NEXT) | instid1(VALU_DEP_1)
	v_dual_lshlrev_b32 v7, 24, v7 :: v_dual_bitop2_b32 v9, 3, v9 bitop3:0x40
	v_dual_cndmask_b32 v14, v17, v14 :: v_dual_cndmask_b32 v9, v11, v9
	s_delay_alu instid0(VALU_DEP_2) | instskip(NEXT) | instid1(VALU_DEP_2)
	v_and_b32_e32 v7, 0x80000000, v7
	v_lshl_add_u32 v11, v14, 23, 0x37800000
	s_delay_alu instid0(VALU_DEP_3) | instskip(NEXT) | instid1(VALU_DEP_1)
	v_lshlrev_b32_e32 v9, 21, v9
	v_or3_b32 v14, v7, v11, v9
.LBB151_3383:
	s_or_b32 exec_lo, exec_lo, s16
	s_mov_b32 s7, 0
	s_branch .LBB151_3389
.LBB151_3384:
	s_mov_b32 s7, -1
                                        ; implicit-def: $vgpr14
	s_branch .LBB151_3395
.LBB151_3385:
	s_or_saveexec_b32 s17, s17
	v_mov_b32_e32 v14, 0x7f800001
	s_xor_b32 exec_lo, exec_lo, s17
	s_cbranch_execz .LBB151_3368
.LBB151_3386:
	v_cmp_ne_u16_e32 vcc_lo, 0, v7
	v_mov_b32_e32 v14, 0
	s_and_not1_b32 s16, s16, exec_lo
	s_and_b32 s18, vcc_lo, exec_lo
	s_delay_alu instid0(SALU_CYCLE_1)
	s_or_b32 s16, s16, s18
	s_or_b32 exec_lo, exec_lo, s17
	s_and_saveexec_b32 s17, s16
	s_cbranch_execnz .LBB151_3369
	s_branch .LBB151_3370
.LBB151_3387:
	s_mov_b32 s7, -1
                                        ; implicit-def: $vgpr14
	s_branch .LBB151_3392
.LBB151_3388:
	s_mov_b32 s7, -1
                                        ; implicit-def: $vgpr14
.LBB151_3389:
	s_delay_alu instid0(SALU_CYCLE_1)
	s_and_b32 vcc_lo, exec_lo, s7
	s_cbranch_vccz .LBB151_3391
; %bb.3390:
	global_load_u8 v7, v[12:13], off
	s_wait_loadcnt 0x0
	v_lshlrev_b32_e32 v7, 24, v7
	s_delay_alu instid0(VALU_DEP_1) | instskip(NEXT) | instid1(VALU_DEP_1)
	v_and_b32_e32 v9, 0x7f000000, v7
	v_clz_i32_u32_e32 v11, v9
	s_wait_xcnt 0x1
	v_add_nc_u32_e32 v15, 0x1000000, v9
	v_cmp_ne_u32_e32 vcc_lo, 0, v9
	s_delay_alu instid0(VALU_DEP_3) | instskip(NEXT) | instid1(VALU_DEP_1)
	v_min_u32_e32 v11, 32, v11
	v_sub_nc_u32_e64 v11, v11, 4 clamp
	s_delay_alu instid0(VALU_DEP_1) | instskip(NEXT) | instid1(VALU_DEP_1)
	v_dual_lshlrev_b32 v14, v11, v9 :: v_dual_lshlrev_b32 v11, 23, v11
	v_lshrrev_b32_e32 v14, 4, v14
	s_delay_alu instid0(VALU_DEP_1) | instskip(SKIP_1) | instid1(VALU_DEP_2)
	v_sub_nc_u32_e32 v11, v14, v11
	v_ashrrev_i32_e32 v14, 8, v15
	v_add_nc_u32_e32 v11, 0x3c000000, v11
	s_delay_alu instid0(VALU_DEP_1) | instskip(NEXT) | instid1(VALU_DEP_1)
	v_and_or_b32 v11, 0x7f800000, v14, v11
	v_cndmask_b32_e32 v9, 0, v11, vcc_lo
	s_delay_alu instid0(VALU_DEP_1)
	v_and_or_b32 v14, 0x80000000, v7, v9
.LBB151_3391:
	s_mov_b32 s7, 0
.LBB151_3392:
	s_delay_alu instid0(SALU_CYCLE_1)
	s_and_not1_b32 vcc_lo, exec_lo, s7
	s_cbranch_vccnz .LBB151_3394
; %bb.3393:
	global_load_u8 v7, v[12:13], off
	s_wait_loadcnt 0x0
	v_lshlrev_b32_e32 v9, 25, v7
	v_lshlrev_b16 v7, 8, v7
	s_wait_xcnt 0x1
	s_delay_alu instid0(VALU_DEP_1) | instskip(SKIP_1) | instid1(VALU_DEP_2)
	v_and_or_b32 v14, 0x7f00, v7, 0.5
	v_bfe_i32 v7, v7, 0, 16
	v_dual_add_f32 v14, -0.5, v14 :: v_dual_lshrrev_b32 v11, 4, v9
	v_cmp_gt_u32_e32 vcc_lo, 0x8000000, v9
	s_delay_alu instid0(VALU_DEP_2) | instskip(NEXT) | instid1(VALU_DEP_1)
	v_or_b32_e32 v11, 0x70000000, v11
	v_mul_f32_e32 v11, 0x7800000, v11
	s_delay_alu instid0(VALU_DEP_1) | instskip(NEXT) | instid1(VALU_DEP_1)
	v_cndmask_b32_e32 v9, v11, v14, vcc_lo
	v_and_or_b32 v14, 0x80000000, v7, v9
.LBB151_3394:
	s_mov_b32 s7, 0
	s_mov_b32 s16, -1
.LBB151_3395:
	s_and_not1_b32 vcc_lo, exec_lo, s7
	s_mov_b32 s7, 0
	s_cbranch_vccnz .LBB151_3406
; %bb.3396:
	s_cmp_gt_i32 s13, 14
	s_cbranch_scc0 .LBB151_3399
; %bb.3397:
	s_cmp_eq_u32 s13, 15
	s_cbranch_scc0 .LBB151_3402
; %bb.3398:
	global_load_u16 v7, v[12:13], off
	s_mov_b32 s6, 0
	s_mov_b32 s16, -1
	s_wait_loadcnt 0x0
	s_wait_xcnt 0x1
	v_lshlrev_b32_e32 v14, 16, v7
	s_branch .LBB151_3404
.LBB151_3399:
	s_mov_b32 s7, -1
	s_branch .LBB151_3403
.LBB151_3400:
	s_or_saveexec_b32 s16, s16
	v_mov_b32_e32 v14, 0x7f800001
	s_xor_b32 exec_lo, exec_lo, s16
	s_cbranch_execz .LBB151_3381
.LBB151_3401:
	v_cmp_ne_u16_e32 vcc_lo, 0, v7
	v_mov_b32_e32 v14, 0
	s_and_not1_b32 s7, s7, exec_lo
	s_and_b32 s17, vcc_lo, exec_lo
	s_delay_alu instid0(SALU_CYCLE_1)
	s_or_b32 s7, s7, s17
	s_or_b32 exec_lo, exec_lo, s16
	s_and_saveexec_b32 s16, s7
	s_cbranch_execnz .LBB151_3382
	s_branch .LBB151_3383
.LBB151_3402:
	s_mov_b32 s6, -1
.LBB151_3403:
                                        ; implicit-def: $vgpr14
.LBB151_3404:
	s_and_b32 vcc_lo, exec_lo, s7
	s_mov_b32 s7, 0
	s_cbranch_vccz .LBB151_3406
; %bb.3405:
	s_cmp_lg_u32 s13, 11
	s_mov_b32 s7, -1
	s_cselect_b32 s6, -1, 0
.LBB151_3406:
	s_delay_alu instid0(SALU_CYCLE_1)
	s_and_b32 vcc_lo, exec_lo, s6
	s_cbranch_vccnz .LBB151_3471
; %bb.3407:
	s_and_not1_b32 vcc_lo, exec_lo, s7
	s_cbranch_vccnz .LBB151_3409
.LBB151_3408:
	global_load_u8 v7, v[12:13], off
	s_mov_b32 s16, -1
	s_wait_loadcnt 0x0
	v_cmp_ne_u16_e32 vcc_lo, 0, v7
	s_wait_xcnt 0x1
	v_cndmask_b32_e64 v14, 0, 1.0, vcc_lo
.LBB151_3409:
	s_mov_b32 s6, 0
.LBB151_3410:
	s_delay_alu instid0(SALU_CYCLE_1)
	s_and_b32 vcc_lo, exec_lo, s6
	s_cbranch_vccz .LBB151_3459
; %bb.3411:
	s_cmp_lt_i32 s13, 5
	s_cbranch_scc1 .LBB151_3416
; %bb.3412:
	s_cmp_lt_i32 s13, 8
	s_cbranch_scc1 .LBB151_3417
	;; [unrolled: 3-line block ×3, first 2 shown]
; %bb.3414:
	s_cmp_gt_i32 s13, 9
	s_cbranch_scc0 .LBB151_3419
; %bb.3415:
	global_load_b64 v[14:15], v[12:13], off
	s_mov_b32 s6, 0
	s_wait_loadcnt 0x0
	v_cvt_f32_f64_e32 v14, v[14:15]
	s_branch .LBB151_3420
.LBB151_3416:
	s_mov_b32 s6, -1
                                        ; implicit-def: $vgpr14
	s_branch .LBB151_3438
.LBB151_3417:
	s_mov_b32 s6, -1
                                        ; implicit-def: $vgpr14
	s_branch .LBB151_3426
.LBB151_3418:
	s_mov_b32 s6, -1
                                        ; implicit-def: $vgpr14
	s_branch .LBB151_3423
.LBB151_3419:
	s_mov_b32 s6, -1
                                        ; implicit-def: $vgpr14
.LBB151_3420:
	s_delay_alu instid0(SALU_CYCLE_1)
	s_and_not1_b32 vcc_lo, exec_lo, s6
	s_cbranch_vccnz .LBB151_3422
; %bb.3421:
	global_load_b32 v14, v[12:13], off
.LBB151_3422:
	s_mov_b32 s6, 0
.LBB151_3423:
	s_delay_alu instid0(SALU_CYCLE_1)
	s_and_not1_b32 vcc_lo, exec_lo, s6
	s_cbranch_vccnz .LBB151_3425
; %bb.3424:
	global_load_b32 v7, v[12:13], off
	s_wait_loadcnt 0x0
	s_wait_xcnt 0x1
	v_cvt_f32_f16_e32 v14, v7
.LBB151_3425:
	s_mov_b32 s6, 0
.LBB151_3426:
	s_delay_alu instid0(SALU_CYCLE_1)
	s_and_not1_b32 vcc_lo, exec_lo, s6
	s_cbranch_vccnz .LBB151_3437
; %bb.3427:
	s_cmp_lt_i32 s13, 6
	s_cbranch_scc1 .LBB151_3430
; %bb.3428:
	s_cmp_gt_i32 s13, 6
	s_cbranch_scc0 .LBB151_3431
; %bb.3429:
	s_wait_loadcnt 0x0
	global_load_b64 v[14:15], v[12:13], off
	s_mov_b32 s6, 0
	s_wait_loadcnt 0x0
	v_cvt_f32_f64_e32 v14, v[14:15]
	s_branch .LBB151_3432
.LBB151_3430:
	s_mov_b32 s6, -1
                                        ; implicit-def: $vgpr14
	s_branch .LBB151_3435
.LBB151_3431:
	s_mov_b32 s6, -1
                                        ; implicit-def: $vgpr14
.LBB151_3432:
	s_delay_alu instid0(SALU_CYCLE_1)
	s_and_not1_b32 vcc_lo, exec_lo, s6
	s_cbranch_vccnz .LBB151_3434
; %bb.3433:
	s_wait_loadcnt 0x0
	global_load_b32 v14, v[12:13], off
.LBB151_3434:
	s_mov_b32 s6, 0
.LBB151_3435:
	s_delay_alu instid0(SALU_CYCLE_1)
	s_and_not1_b32 vcc_lo, exec_lo, s6
	s_cbranch_vccnz .LBB151_3437
; %bb.3436:
	global_load_u16 v7, v[12:13], off
	s_wait_loadcnt 0x0
	s_wait_xcnt 0x1
	v_cvt_f32_f16_e32 v14, v7
.LBB151_3437:
	s_mov_b32 s6, 0
.LBB151_3438:
	s_delay_alu instid0(SALU_CYCLE_1)
	s_and_not1_b32 vcc_lo, exec_lo, s6
	s_cbranch_vccnz .LBB151_3458
; %bb.3439:
	s_cmp_lt_i32 s13, 2
	s_cbranch_scc1 .LBB151_3443
; %bb.3440:
	s_cmp_lt_i32 s13, 3
	s_cbranch_scc1 .LBB151_3444
; %bb.3441:
	s_cmp_gt_i32 s13, 3
	s_cbranch_scc0 .LBB151_3445
; %bb.3442:
	s_wait_loadcnt 0x0
	global_load_b64 v[14:15], v[12:13], off
	s_mov_b32 s6, 0
	s_wait_loadcnt 0x0
	v_xor_b32_e32 v7, v14, v15
	v_cls_i32_e32 v9, v15
	s_delay_alu instid0(VALU_DEP_2) | instskip(NEXT) | instid1(VALU_DEP_1)
	v_ashrrev_i32_e32 v7, 31, v7
	v_add_nc_u32_e32 v7, 32, v7
	s_delay_alu instid0(VALU_DEP_1) | instskip(NEXT) | instid1(VALU_DEP_1)
	v_add_min_u32_e64 v7, v9, -1, v7
	v_lshlrev_b64_e32 v[14:15], v7, v[14:15]
	v_sub_nc_u32_e32 v7, 32, v7
	s_delay_alu instid0(VALU_DEP_2) | instskip(NEXT) | instid1(VALU_DEP_1)
	v_min_u32_e32 v9, 1, v14
	v_or_b32_e32 v9, v15, v9
	s_delay_alu instid0(VALU_DEP_1) | instskip(NEXT) | instid1(VALU_DEP_1)
	v_cvt_f32_i32_e32 v9, v9
	v_ldexp_f32 v14, v9, v7
	s_branch .LBB151_3446
.LBB151_3443:
	s_mov_b32 s6, -1
                                        ; implicit-def: $vgpr14
	s_branch .LBB151_3452
.LBB151_3444:
	s_mov_b32 s6, -1
                                        ; implicit-def: $vgpr14
	s_branch .LBB151_3449
.LBB151_3445:
	s_mov_b32 s6, -1
                                        ; implicit-def: $vgpr14
.LBB151_3446:
	s_delay_alu instid0(SALU_CYCLE_1)
	s_and_not1_b32 vcc_lo, exec_lo, s6
	s_cbranch_vccnz .LBB151_3448
; %bb.3447:
	global_load_b32 v7, v[12:13], off
	s_wait_loadcnt 0x0
	s_wait_xcnt 0x1
	v_cvt_f32_i32_e32 v14, v7
.LBB151_3448:
	s_mov_b32 s6, 0
.LBB151_3449:
	s_delay_alu instid0(SALU_CYCLE_1)
	s_and_not1_b32 vcc_lo, exec_lo, s6
	s_cbranch_vccnz .LBB151_3451
; %bb.3450:
	global_load_i16 v7, v[12:13], off
	s_wait_loadcnt 0x0
	s_wait_xcnt 0x1
	v_cvt_f32_i32_e32 v14, v7
.LBB151_3451:
	s_mov_b32 s6, 0
.LBB151_3452:
	s_delay_alu instid0(SALU_CYCLE_1)
	s_and_not1_b32 vcc_lo, exec_lo, s6
	s_cbranch_vccnz .LBB151_3458
; %bb.3453:
	s_cmp_gt_i32 s13, 0
	s_mov_b32 s6, 0
	s_cbranch_scc0 .LBB151_3455
; %bb.3454:
	global_load_i8 v7, v[12:13], off
	s_wait_loadcnt 0x0
	s_wait_xcnt 0x1
	v_cvt_f32_i32_e32 v14, v7
	s_branch .LBB151_3456
.LBB151_3455:
	s_mov_b32 s6, -1
                                        ; implicit-def: $vgpr14
.LBB151_3456:
	s_delay_alu instid0(SALU_CYCLE_1)
	s_and_not1_b32 vcc_lo, exec_lo, s6
	s_cbranch_vccnz .LBB151_3458
; %bb.3457:
	global_load_u8 v7, v[12:13], off
	s_wait_loadcnt 0x0
	s_wait_xcnt 0x1
	v_cvt_f32_ubyte0_e32 v14, v7
.LBB151_3458:
	s_mov_b32 s16, -1
.LBB151_3459:
	s_delay_alu instid0(SALU_CYCLE_1)
	s_and_not1_b32 vcc_lo, exec_lo, s16
	s_cbranch_vccnz .LBB151_4155
; %bb.3460:
	v_mov_b32_e32 v11, 0
	s_cmp_lt_i32 s14, 11
	s_delay_alu instid0(VALU_DEP_1)
	v_add_nc_u64_e32 v[10:11], s[0:1], v[10:11]
	s_cbranch_scc1 .LBB151_3467
; %bb.3461:
	s_cmp_gt_i32 s14, 25
	s_mov_b32 s1, 0
	s_cbranch_scc0 .LBB151_3468
; %bb.3462:
	s_cmp_gt_i32 s14, 28
	s_cbranch_scc0 .LBB151_3469
; %bb.3463:
	s_cmp_gt_i32 s14, 43
	;; [unrolled: 3-line block ×3, first 2 shown]
	s_cbranch_scc0 .LBB151_3472
; %bb.3465:
	s_cmp_eq_u32 s14, 46
	s_mov_b32 s7, 0
	s_cbranch_scc0 .LBB151_3473
; %bb.3466:
	global_load_b32 v7, v[10:11], off
	s_mov_b32 s0, 0
	s_mov_b32 s6, -1
	s_wait_loadcnt 0x0
	s_wait_xcnt 0x1
	v_lshlrev_b32_e32 v12, 16, v7
	s_branch .LBB151_3475
.LBB151_3467:
	s_mov_b32 s0, -1
	s_mov_b32 s6, 0
                                        ; implicit-def: $vgpr12
	s_branch .LBB151_3541
.LBB151_3468:
	s_mov_b32 s7, -1
	s_mov_b32 s6, 0
	s_mov_b32 s0, 0
                                        ; implicit-def: $vgpr12
	s_branch .LBB151_3504
.LBB151_3469:
	s_mov_b32 s7, -1
	s_mov_b32 s6, 0
	s_mov_b32 s0, 0
                                        ; implicit-def: $vgpr12
	s_branch .LBB151_3485
.LBB151_3470:
	s_mov_b32 s7, -1
	s_mov_b32 s6, 0
	s_mov_b32 s0, 0
                                        ; implicit-def: $vgpr12
	s_branch .LBB151_3480
.LBB151_3471:
	s_or_b32 s12, s12, exec_lo
	s_trap 2
	s_cbranch_execz .LBB151_3408
	s_branch .LBB151_3409
.LBB151_3472:
	s_mov_b32 s7, -1
	s_mov_b32 s6, 0
	s_mov_b32 s0, 0
	s_branch .LBB151_3474
.LBB151_3473:
	s_mov_b32 s0, -1
	s_mov_b32 s6, 0
.LBB151_3474:
                                        ; implicit-def: $vgpr12
.LBB151_3475:
	s_and_b32 vcc_lo, exec_lo, s7
	s_cbranch_vccz .LBB151_3479
; %bb.3476:
	s_cmp_eq_u32 s14, 44
	s_cbranch_scc0 .LBB151_3478
; %bb.3477:
	global_load_u8 v7, v[10:11], off
	s_mov_b32 s0, 0
	s_mov_b32 s6, -1
	s_wait_loadcnt 0x0
	v_lshlrev_b32_e32 v9, 23, v7
	v_cmp_ne_u32_e32 vcc_lo, 0xff, v7
	s_delay_alu instid0(VALU_DEP_2) | instskip(SKIP_2) | instid1(VALU_DEP_2)
	v_cndmask_b32_e32 v9, 0x7f800001, v9, vcc_lo
	v_cmp_ne_u32_e32 vcc_lo, 0, v7
	s_wait_xcnt 0x1
	v_cndmask_b32_e32 v12, 0x400000, v9, vcc_lo
	s_branch .LBB151_3479
.LBB151_3478:
	s_mov_b32 s0, -1
                                        ; implicit-def: $vgpr12
.LBB151_3479:
	s_mov_b32 s7, 0
.LBB151_3480:
	s_delay_alu instid0(SALU_CYCLE_1)
	s_and_b32 vcc_lo, exec_lo, s7
	s_cbranch_vccz .LBB151_3484
; %bb.3481:
	s_cmp_eq_u32 s14, 29
	s_cbranch_scc0 .LBB151_3483
; %bb.3482:
	global_load_b64 v[12:13], v[10:11], off
	s_mov_b32 s0, 0
	s_mov_b32 s6, -1
	s_mov_b32 s7, 0
	s_wait_loadcnt 0x0
	v_clz_i32_u32_e32 v7, v13
	s_delay_alu instid0(VALU_DEP_1) | instskip(NEXT) | instid1(VALU_DEP_1)
	v_min_u32_e32 v7, 32, v7
	v_lshlrev_b64_e32 v[12:13], v7, v[12:13]
	v_sub_nc_u32_e32 v7, 32, v7
	s_delay_alu instid0(VALU_DEP_2) | instskip(NEXT) | instid1(VALU_DEP_1)
	v_min_u32_e32 v9, 1, v12
	v_or_b32_e32 v9, v13, v9
	s_delay_alu instid0(VALU_DEP_1) | instskip(NEXT) | instid1(VALU_DEP_1)
	v_cvt_f32_u32_e32 v9, v9
	v_ldexp_f32 v12, v9, v7
	s_branch .LBB151_3485
.LBB151_3483:
	s_mov_b32 s0, -1
                                        ; implicit-def: $vgpr12
.LBB151_3484:
	s_mov_b32 s7, 0
.LBB151_3485:
	s_delay_alu instid0(SALU_CYCLE_1)
	s_and_b32 vcc_lo, exec_lo, s7
	s_cbranch_vccz .LBB151_3503
; %bb.3486:
	s_cmp_lt_i32 s14, 27
	s_cbranch_scc1 .LBB151_3489
; %bb.3487:
	s_cmp_gt_i32 s14, 27
	s_cbranch_scc0 .LBB151_3490
; %bb.3488:
	global_load_b32 v7, v[10:11], off
	s_mov_b32 s6, 0
	s_wait_loadcnt 0x0
	s_wait_xcnt 0x1
	v_cvt_f32_u32_e32 v12, v7
	s_branch .LBB151_3491
.LBB151_3489:
	s_mov_b32 s6, -1
                                        ; implicit-def: $vgpr12
	s_branch .LBB151_3494
.LBB151_3490:
	s_mov_b32 s6, -1
                                        ; implicit-def: $vgpr12
.LBB151_3491:
	s_delay_alu instid0(SALU_CYCLE_1)
	s_and_not1_b32 vcc_lo, exec_lo, s6
	s_cbranch_vccnz .LBB151_3493
; %bb.3492:
	global_load_u16 v7, v[10:11], off
	s_wait_loadcnt 0x0
	s_wait_xcnt 0x1
	v_cvt_f32_u32_e32 v12, v7
.LBB151_3493:
	s_mov_b32 s6, 0
.LBB151_3494:
	s_delay_alu instid0(SALU_CYCLE_1)
	s_and_not1_b32 vcc_lo, exec_lo, s6
	s_cbranch_vccnz .LBB151_3502
; %bb.3495:
	global_load_u8 v7, v[10:11], off
	s_mov_b32 s6, 0
	s_mov_b32 s7, exec_lo
	s_wait_loadcnt 0x0
	v_cmpx_lt_i16_e32 0x7f, v7
	s_xor_b32 s7, exec_lo, s7
	s_cbranch_execz .LBB151_3516
; %bb.3496:
	s_mov_b32 s6, -1
	s_mov_b32 s13, exec_lo
	v_cmpx_eq_u16_e32 0x80, v7
; %bb.3497:
	s_xor_b32 s6, exec_lo, -1
; %bb.3498:
	s_or_b32 exec_lo, exec_lo, s13
	s_delay_alu instid0(SALU_CYCLE_1)
	s_and_b32 s6, s6, exec_lo
	s_or_saveexec_b32 s7, s7
	v_mov_b32_e32 v12, 0x7f800001
	s_xor_b32 exec_lo, exec_lo, s7
	s_cbranch_execnz .LBB151_3517
.LBB151_3499:
	s_or_b32 exec_lo, exec_lo, s7
	s_and_saveexec_b32 s7, s6
	s_cbranch_execz .LBB151_3501
.LBB151_3500:
	v_and_b32_e32 v9, 0xffff, v7
	s_delay_alu instid0(VALU_DEP_1) | instskip(SKIP_1) | instid1(VALU_DEP_2)
	v_dual_lshlrev_b32 v7, 24, v7 :: v_dual_bitop2_b32 v12, 7, v9 bitop3:0x40
	v_bfe_u32 v17, v9, 3, 4
	v_and_b32_e32 v7, 0x80000000, v7
	s_delay_alu instid0(VALU_DEP_3) | instskip(NEXT) | instid1(VALU_DEP_3)
	v_clz_i32_u32_e32 v13, v12
	v_cmp_eq_u32_e32 vcc_lo, 0, v17
	s_delay_alu instid0(VALU_DEP_2) | instskip(NEXT) | instid1(VALU_DEP_1)
	v_min_u32_e32 v13, 32, v13
	v_subrev_nc_u32_e32 v15, 28, v13
	v_sub_nc_u32_e32 v13, 29, v13
	s_delay_alu instid0(VALU_DEP_2) | instskip(NEXT) | instid1(VALU_DEP_2)
	v_lshlrev_b32_e32 v9, v15, v9
	v_cndmask_b32_e32 v13, v17, v13, vcc_lo
	s_delay_alu instid0(VALU_DEP_2) | instskip(NEXT) | instid1(VALU_DEP_1)
	v_and_b32_e32 v9, 7, v9
	v_cndmask_b32_e32 v9, v12, v9, vcc_lo
	s_delay_alu instid0(VALU_DEP_3) | instskip(NEXT) | instid1(VALU_DEP_2)
	v_lshl_add_u32 v12, v13, 23, 0x3b800000
	v_lshlrev_b32_e32 v9, 20, v9
	s_delay_alu instid0(VALU_DEP_1)
	v_or3_b32 v12, v7, v12, v9
.LBB151_3501:
	s_or_b32 exec_lo, exec_lo, s7
.LBB151_3502:
	s_mov_b32 s6, -1
.LBB151_3503:
	s_mov_b32 s7, 0
.LBB151_3504:
	s_delay_alu instid0(SALU_CYCLE_1)
	s_and_b32 vcc_lo, exec_lo, s7
	s_cbranch_vccz .LBB151_3537
; %bb.3505:
	s_cmp_gt_i32 s14, 22
	s_cbranch_scc0 .LBB151_3515
; %bb.3506:
	s_cmp_lt_i32 s14, 24
	s_cbranch_scc1 .LBB151_3518
; %bb.3507:
	s_cmp_gt_i32 s14, 24
	s_cbranch_scc0 .LBB151_3519
; %bb.3508:
	global_load_u8 v7, v[10:11], off
	s_mov_b32 s6, exec_lo
	s_wait_loadcnt 0x0
	v_cmpx_lt_i16_e32 0x7f, v7
	s_xor_b32 s6, exec_lo, s6
	s_cbranch_execz .LBB151_3531
; %bb.3509:
	s_mov_b32 s1, -1
	s_mov_b32 s7, exec_lo
	v_cmpx_eq_u16_e32 0x80, v7
; %bb.3510:
	s_xor_b32 s1, exec_lo, -1
; %bb.3511:
	s_or_b32 exec_lo, exec_lo, s7
	s_delay_alu instid0(SALU_CYCLE_1)
	s_and_b32 s1, s1, exec_lo
	s_or_saveexec_b32 s6, s6
	v_mov_b32_e32 v12, 0x7f800001
	s_xor_b32 exec_lo, exec_lo, s6
	s_cbranch_execnz .LBB151_3532
.LBB151_3512:
	s_or_b32 exec_lo, exec_lo, s6
	s_and_saveexec_b32 s6, s1
	s_cbranch_execz .LBB151_3514
.LBB151_3513:
	v_and_b32_e32 v9, 0xffff, v7
	s_delay_alu instid0(VALU_DEP_1) | instskip(SKIP_1) | instid1(VALU_DEP_2)
	v_dual_lshlrev_b32 v7, 24, v7 :: v_dual_bitop2_b32 v12, 3, v9 bitop3:0x40
	v_bfe_u32 v17, v9, 2, 5
	v_and_b32_e32 v7, 0x80000000, v7
	s_delay_alu instid0(VALU_DEP_3) | instskip(NEXT) | instid1(VALU_DEP_3)
	v_clz_i32_u32_e32 v13, v12
	v_cmp_eq_u32_e32 vcc_lo, 0, v17
	s_delay_alu instid0(VALU_DEP_2) | instskip(NEXT) | instid1(VALU_DEP_1)
	v_min_u32_e32 v13, 32, v13
	v_subrev_nc_u32_e32 v15, 29, v13
	v_sub_nc_u32_e32 v13, 30, v13
	s_delay_alu instid0(VALU_DEP_2) | instskip(NEXT) | instid1(VALU_DEP_2)
	v_lshlrev_b32_e32 v9, v15, v9
	v_cndmask_b32_e32 v13, v17, v13, vcc_lo
	s_delay_alu instid0(VALU_DEP_2) | instskip(NEXT) | instid1(VALU_DEP_1)
	v_and_b32_e32 v9, 3, v9
	v_cndmask_b32_e32 v9, v12, v9, vcc_lo
	s_delay_alu instid0(VALU_DEP_3) | instskip(NEXT) | instid1(VALU_DEP_2)
	v_lshl_add_u32 v12, v13, 23, 0x37800000
	v_lshlrev_b32_e32 v9, 21, v9
	s_delay_alu instid0(VALU_DEP_1)
	v_or3_b32 v12, v7, v12, v9
.LBB151_3514:
	s_or_b32 exec_lo, exec_lo, s6
	s_mov_b32 s1, 0
	s_branch .LBB151_3520
.LBB151_3515:
	s_mov_b32 s1, -1
                                        ; implicit-def: $vgpr12
	s_branch .LBB151_3526
.LBB151_3516:
	s_or_saveexec_b32 s7, s7
	v_mov_b32_e32 v12, 0x7f800001
	s_xor_b32 exec_lo, exec_lo, s7
	s_cbranch_execz .LBB151_3499
.LBB151_3517:
	v_cmp_ne_u16_e32 vcc_lo, 0, v7
	v_mov_b32_e32 v12, 0
	s_and_not1_b32 s6, s6, exec_lo
	s_and_b32 s13, vcc_lo, exec_lo
	s_delay_alu instid0(SALU_CYCLE_1)
	s_or_b32 s6, s6, s13
	s_or_b32 exec_lo, exec_lo, s7
	s_and_saveexec_b32 s7, s6
	s_cbranch_execnz .LBB151_3500
	s_branch .LBB151_3501
.LBB151_3518:
	s_mov_b32 s1, -1
                                        ; implicit-def: $vgpr12
	s_branch .LBB151_3523
.LBB151_3519:
	s_mov_b32 s1, -1
                                        ; implicit-def: $vgpr12
.LBB151_3520:
	s_delay_alu instid0(SALU_CYCLE_1)
	s_and_b32 vcc_lo, exec_lo, s1
	s_cbranch_vccz .LBB151_3522
; %bb.3521:
	global_load_u8 v7, v[10:11], off
	s_wait_loadcnt 0x0
	v_lshlrev_b32_e32 v7, 24, v7
	s_delay_alu instid0(VALU_DEP_1) | instskip(SKIP_1) | instid1(VALU_DEP_1)
	v_and_b32_e32 v9, 0x7f000000, v7
	s_wait_xcnt 0x1
	v_clz_i32_u32_e32 v12, v9
	v_add_nc_u32_e32 v15, 0x1000000, v9
	v_cmp_ne_u32_e32 vcc_lo, 0, v9
	s_delay_alu instid0(VALU_DEP_3) | instskip(NEXT) | instid1(VALU_DEP_1)
	v_min_u32_e32 v12, 32, v12
	v_sub_nc_u32_e64 v12, v12, 4 clamp
	s_delay_alu instid0(VALU_DEP_1) | instskip(NEXT) | instid1(VALU_DEP_1)
	v_dual_lshlrev_b32 v13, v12, v9 :: v_dual_lshlrev_b32 v12, 23, v12
	v_lshrrev_b32_e32 v13, 4, v13
	s_delay_alu instid0(VALU_DEP_1) | instskip(NEXT) | instid1(VALU_DEP_1)
	v_dual_sub_nc_u32 v12, v13, v12 :: v_dual_ashrrev_i32 v13, 8, v15
	v_add_nc_u32_e32 v12, 0x3c000000, v12
	s_delay_alu instid0(VALU_DEP_1) | instskip(NEXT) | instid1(VALU_DEP_1)
	v_and_or_b32 v12, 0x7f800000, v13, v12
	v_cndmask_b32_e32 v9, 0, v12, vcc_lo
	s_delay_alu instid0(VALU_DEP_1)
	v_and_or_b32 v12, 0x80000000, v7, v9
.LBB151_3522:
	s_mov_b32 s1, 0
.LBB151_3523:
	s_delay_alu instid0(SALU_CYCLE_1)
	s_and_not1_b32 vcc_lo, exec_lo, s1
	s_cbranch_vccnz .LBB151_3525
; %bb.3524:
	global_load_u8 v7, v[10:11], off
	s_wait_loadcnt 0x0
	v_lshlrev_b32_e32 v9, 25, v7
	v_lshlrev_b16 v7, 8, v7
	s_wait_xcnt 0x1
	s_delay_alu instid0(VALU_DEP_1) | instskip(SKIP_1) | instid1(VALU_DEP_2)
	v_and_or_b32 v13, 0x7f00, v7, 0.5
	v_bfe_i32 v7, v7, 0, 16
	v_add_f32_e32 v13, -0.5, v13
	v_lshrrev_b32_e32 v12, 4, v9
	v_cmp_gt_u32_e32 vcc_lo, 0x8000000, v9
	s_delay_alu instid0(VALU_DEP_2) | instskip(NEXT) | instid1(VALU_DEP_1)
	v_or_b32_e32 v12, 0x70000000, v12
	v_mul_f32_e32 v12, 0x7800000, v12
	s_delay_alu instid0(VALU_DEP_1) | instskip(NEXT) | instid1(VALU_DEP_1)
	v_cndmask_b32_e32 v9, v12, v13, vcc_lo
	v_and_or_b32 v12, 0x80000000, v7, v9
.LBB151_3525:
	s_mov_b32 s1, 0
	s_mov_b32 s6, -1
.LBB151_3526:
	s_and_not1_b32 vcc_lo, exec_lo, s1
	s_mov_b32 s1, 0
	s_cbranch_vccnz .LBB151_3537
; %bb.3527:
	s_cmp_gt_i32 s14, 14
	s_cbranch_scc0 .LBB151_3530
; %bb.3528:
	s_cmp_eq_u32 s14, 15
	s_cbranch_scc0 .LBB151_3533
; %bb.3529:
	global_load_u16 v7, v[10:11], off
	s_mov_b32 s0, 0
	s_mov_b32 s6, -1
	s_wait_loadcnt 0x0
	s_wait_xcnt 0x1
	v_lshlrev_b32_e32 v12, 16, v7
	s_branch .LBB151_3535
.LBB151_3530:
	s_mov_b32 s1, -1
	s_branch .LBB151_3534
.LBB151_3531:
	s_or_saveexec_b32 s6, s6
	v_mov_b32_e32 v12, 0x7f800001
	s_xor_b32 exec_lo, exec_lo, s6
	s_cbranch_execz .LBB151_3512
.LBB151_3532:
	v_cmp_ne_u16_e32 vcc_lo, 0, v7
	v_mov_b32_e32 v12, 0
	s_and_not1_b32 s1, s1, exec_lo
	s_and_b32 s7, vcc_lo, exec_lo
	s_delay_alu instid0(SALU_CYCLE_1)
	s_or_b32 s1, s1, s7
	s_or_b32 exec_lo, exec_lo, s6
	s_and_saveexec_b32 s6, s1
	s_cbranch_execnz .LBB151_3513
	s_branch .LBB151_3514
.LBB151_3533:
	s_mov_b32 s0, -1
.LBB151_3534:
                                        ; implicit-def: $vgpr12
.LBB151_3535:
	s_and_b32 vcc_lo, exec_lo, s1
	s_mov_b32 s1, 0
	s_cbranch_vccz .LBB151_3537
; %bb.3536:
	s_cmp_lg_u32 s14, 11
	s_mov_b32 s1, -1
	s_cselect_b32 s0, -1, 0
.LBB151_3537:
	s_delay_alu instid0(SALU_CYCLE_1)
	s_and_b32 vcc_lo, exec_lo, s0
	s_cbranch_vccnz .LBB151_3602
; %bb.3538:
	s_and_not1_b32 vcc_lo, exec_lo, s1
	s_cbranch_vccnz .LBB151_3540
.LBB151_3539:
	global_load_u8 v7, v[10:11], off
	s_mov_b32 s6, -1
	s_wait_loadcnt 0x0
	v_cmp_ne_u16_e32 vcc_lo, 0, v7
	s_wait_xcnt 0x1
	v_cndmask_b32_e64 v12, 0, 1.0, vcc_lo
.LBB151_3540:
	s_mov_b32 s0, 0
.LBB151_3541:
	s_delay_alu instid0(SALU_CYCLE_1)
	s_and_b32 vcc_lo, exec_lo, s0
	s_cbranch_vccz .LBB151_3590
; %bb.3542:
	s_cmp_lt_i32 s14, 5
	s_cbranch_scc1 .LBB151_3547
; %bb.3543:
	s_cmp_lt_i32 s14, 8
	s_cbranch_scc1 .LBB151_3548
	;; [unrolled: 3-line block ×3, first 2 shown]
; %bb.3545:
	s_cmp_gt_i32 s14, 9
	s_cbranch_scc0 .LBB151_3550
; %bb.3546:
	global_load_b64 v[12:13], v[10:11], off
	s_mov_b32 s0, 0
	s_wait_loadcnt 0x0
	v_cvt_f32_f64_e32 v12, v[12:13]
	s_branch .LBB151_3551
.LBB151_3547:
	s_mov_b32 s0, -1
                                        ; implicit-def: $vgpr12
	s_branch .LBB151_3569
.LBB151_3548:
	s_mov_b32 s0, -1
                                        ; implicit-def: $vgpr12
	s_branch .LBB151_3557
.LBB151_3549:
	s_mov_b32 s0, -1
                                        ; implicit-def: $vgpr12
	s_branch .LBB151_3554
.LBB151_3550:
	s_mov_b32 s0, -1
                                        ; implicit-def: $vgpr12
.LBB151_3551:
	s_delay_alu instid0(SALU_CYCLE_1)
	s_and_not1_b32 vcc_lo, exec_lo, s0
	s_cbranch_vccnz .LBB151_3553
; %bb.3552:
	global_load_b32 v12, v[10:11], off
.LBB151_3553:
	s_mov_b32 s0, 0
.LBB151_3554:
	s_delay_alu instid0(SALU_CYCLE_1)
	s_and_not1_b32 vcc_lo, exec_lo, s0
	s_cbranch_vccnz .LBB151_3556
; %bb.3555:
	global_load_b32 v7, v[10:11], off
	s_wait_loadcnt 0x0
	s_wait_xcnt 0x1
	v_cvt_f32_f16_e32 v12, v7
.LBB151_3556:
	s_mov_b32 s0, 0
.LBB151_3557:
	s_delay_alu instid0(SALU_CYCLE_1)
	s_and_not1_b32 vcc_lo, exec_lo, s0
	s_cbranch_vccnz .LBB151_3568
; %bb.3558:
	s_cmp_lt_i32 s14, 6
	s_cbranch_scc1 .LBB151_3561
; %bb.3559:
	s_cmp_gt_i32 s14, 6
	s_cbranch_scc0 .LBB151_3562
; %bb.3560:
	s_wait_loadcnt 0x0
	global_load_b64 v[12:13], v[10:11], off
	s_mov_b32 s0, 0
	s_wait_loadcnt 0x0
	v_cvt_f32_f64_e32 v12, v[12:13]
	s_branch .LBB151_3563
.LBB151_3561:
	s_mov_b32 s0, -1
                                        ; implicit-def: $vgpr12
	s_branch .LBB151_3566
.LBB151_3562:
	s_mov_b32 s0, -1
                                        ; implicit-def: $vgpr12
.LBB151_3563:
	s_delay_alu instid0(SALU_CYCLE_1)
	s_and_not1_b32 vcc_lo, exec_lo, s0
	s_cbranch_vccnz .LBB151_3565
; %bb.3564:
	s_wait_loadcnt 0x0
	global_load_b32 v12, v[10:11], off
.LBB151_3565:
	s_mov_b32 s0, 0
.LBB151_3566:
	s_delay_alu instid0(SALU_CYCLE_1)
	s_and_not1_b32 vcc_lo, exec_lo, s0
	s_cbranch_vccnz .LBB151_3568
; %bb.3567:
	global_load_u16 v7, v[10:11], off
	s_wait_loadcnt 0x0
	s_wait_xcnt 0x1
	v_cvt_f32_f16_e32 v12, v7
.LBB151_3568:
	s_mov_b32 s0, 0
.LBB151_3569:
	s_delay_alu instid0(SALU_CYCLE_1)
	s_and_not1_b32 vcc_lo, exec_lo, s0
	s_cbranch_vccnz .LBB151_3589
; %bb.3570:
	s_cmp_lt_i32 s14, 2
	s_cbranch_scc1 .LBB151_3574
; %bb.3571:
	s_cmp_lt_i32 s14, 3
	s_cbranch_scc1 .LBB151_3575
; %bb.3572:
	s_cmp_gt_i32 s14, 3
	s_cbranch_scc0 .LBB151_3576
; %bb.3573:
	s_wait_loadcnt 0x0
	global_load_b64 v[12:13], v[10:11], off
	s_mov_b32 s0, 0
	s_wait_loadcnt 0x0
	v_xor_b32_e32 v7, v12, v13
	v_cls_i32_e32 v9, v13
	s_delay_alu instid0(VALU_DEP_2) | instskip(NEXT) | instid1(VALU_DEP_1)
	v_ashrrev_i32_e32 v7, 31, v7
	v_add_nc_u32_e32 v7, 32, v7
	s_delay_alu instid0(VALU_DEP_1) | instskip(NEXT) | instid1(VALU_DEP_1)
	v_add_min_u32_e64 v7, v9, -1, v7
	v_lshlrev_b64_e32 v[12:13], v7, v[12:13]
	v_sub_nc_u32_e32 v7, 32, v7
	s_delay_alu instid0(VALU_DEP_2) | instskip(NEXT) | instid1(VALU_DEP_1)
	v_min_u32_e32 v9, 1, v12
	v_or_b32_e32 v9, v13, v9
	s_delay_alu instid0(VALU_DEP_1) | instskip(NEXT) | instid1(VALU_DEP_1)
	v_cvt_f32_i32_e32 v9, v9
	v_ldexp_f32 v12, v9, v7
	s_branch .LBB151_3577
.LBB151_3574:
	s_mov_b32 s0, -1
                                        ; implicit-def: $vgpr12
	s_branch .LBB151_3583
.LBB151_3575:
	s_mov_b32 s0, -1
                                        ; implicit-def: $vgpr12
	s_branch .LBB151_3580
.LBB151_3576:
	s_mov_b32 s0, -1
                                        ; implicit-def: $vgpr12
.LBB151_3577:
	s_delay_alu instid0(SALU_CYCLE_1)
	s_and_not1_b32 vcc_lo, exec_lo, s0
	s_cbranch_vccnz .LBB151_3579
; %bb.3578:
	global_load_b32 v7, v[10:11], off
	s_wait_loadcnt 0x0
	s_wait_xcnt 0x1
	v_cvt_f32_i32_e32 v12, v7
.LBB151_3579:
	s_mov_b32 s0, 0
.LBB151_3580:
	s_delay_alu instid0(SALU_CYCLE_1)
	s_and_not1_b32 vcc_lo, exec_lo, s0
	s_cbranch_vccnz .LBB151_3582
; %bb.3581:
	global_load_i16 v7, v[10:11], off
	s_wait_loadcnt 0x0
	s_wait_xcnt 0x1
	v_cvt_f32_i32_e32 v12, v7
.LBB151_3582:
	s_mov_b32 s0, 0
.LBB151_3583:
	s_delay_alu instid0(SALU_CYCLE_1)
	s_and_not1_b32 vcc_lo, exec_lo, s0
	s_cbranch_vccnz .LBB151_3589
; %bb.3584:
	s_cmp_gt_i32 s14, 0
	s_mov_b32 s0, 0
	s_cbranch_scc0 .LBB151_3586
; %bb.3585:
	global_load_i8 v7, v[10:11], off
	s_wait_loadcnt 0x0
	s_wait_xcnt 0x1
	v_cvt_f32_i32_e32 v12, v7
	s_branch .LBB151_3587
.LBB151_3586:
	s_mov_b32 s0, -1
                                        ; implicit-def: $vgpr12
.LBB151_3587:
	s_delay_alu instid0(SALU_CYCLE_1)
	s_and_not1_b32 vcc_lo, exec_lo, s0
	s_cbranch_vccnz .LBB151_3589
; %bb.3588:
	global_load_u8 v7, v[10:11], off
	s_wait_loadcnt 0x0
	s_wait_xcnt 0x1
	v_cvt_f32_ubyte0_e32 v12, v7
.LBB151_3589:
	s_mov_b32 s6, -1
.LBB151_3590:
	s_delay_alu instid0(SALU_CYCLE_1)
	s_and_not1_b32 vcc_lo, exec_lo, s6
	s_cbranch_vccnz .LBB151_4155
; %bb.3591:
	v_mov_b32_e32 v9, 0
	s_cmp_lt_i32 s15, 11
	s_delay_alu instid0(VALU_DEP_1)
	v_add_nc_u64_e32 v[8:9], s[8:9], v[8:9]
	s_cbranch_scc1 .LBB151_3598
; %bb.3592:
	s_cmp_gt_i32 s15, 25
	s_mov_b32 s1, 0
	s_cbranch_scc0 .LBB151_3599
; %bb.3593:
	s_cmp_gt_i32 s15, 28
	s_cbranch_scc0 .LBB151_3600
; %bb.3594:
	s_cmp_gt_i32 s15, 43
	;; [unrolled: 3-line block ×3, first 2 shown]
	s_cbranch_scc0 .LBB151_3603
; %bb.3596:
	s_cmp_eq_u32 s15, 46
	s_mov_b32 s7, 0
	s_cbranch_scc0 .LBB151_3604
; %bb.3597:
	global_load_b32 v7, v[8:9], off
	s_mov_b32 s0, 0
	s_mov_b32 s6, -1
	s_wait_loadcnt 0x0
	s_wait_xcnt 0x1
	v_lshlrev_b32_e32 v10, 16, v7
	s_branch .LBB151_3606
.LBB151_3598:
	s_mov_b32 s0, -1
	s_mov_b32 s6, 0
                                        ; implicit-def: $vgpr10
	s_branch .LBB151_3672
.LBB151_3599:
	s_mov_b32 s7, -1
	s_mov_b32 s6, 0
	s_mov_b32 s0, 0
                                        ; implicit-def: $vgpr10
	s_branch .LBB151_3635
.LBB151_3600:
	s_mov_b32 s7, -1
	s_mov_b32 s6, 0
	s_mov_b32 s0, 0
                                        ; implicit-def: $vgpr10
	s_branch .LBB151_3616
.LBB151_3601:
	s_mov_b32 s7, -1
	s_mov_b32 s6, 0
	s_mov_b32 s0, 0
                                        ; implicit-def: $vgpr10
	s_branch .LBB151_3611
.LBB151_3602:
	s_or_b32 s12, s12, exec_lo
	s_trap 2
	s_cbranch_execz .LBB151_3539
	s_branch .LBB151_3540
.LBB151_3603:
	s_mov_b32 s7, -1
	s_mov_b32 s6, 0
	s_mov_b32 s0, 0
	s_branch .LBB151_3605
.LBB151_3604:
	s_mov_b32 s0, -1
	s_mov_b32 s6, 0
.LBB151_3605:
                                        ; implicit-def: $vgpr10
.LBB151_3606:
	s_and_b32 vcc_lo, exec_lo, s7
	s_cbranch_vccz .LBB151_3610
; %bb.3607:
	s_cmp_eq_u32 s15, 44
	s_cbranch_scc0 .LBB151_3609
; %bb.3608:
	global_load_u8 v7, v[8:9], off
	s_mov_b32 s0, 0
	s_mov_b32 s6, -1
	s_wait_loadcnt 0x0
	s_wait_xcnt 0x1
	v_lshlrev_b32_e32 v10, 23, v7
	v_cmp_ne_u32_e32 vcc_lo, 0xff, v7
	s_delay_alu instid0(VALU_DEP_2) | instskip(SKIP_1) | instid1(VALU_DEP_2)
	v_cndmask_b32_e32 v10, 0x7f800001, v10, vcc_lo
	v_cmp_ne_u32_e32 vcc_lo, 0, v7
	v_cndmask_b32_e32 v10, 0x400000, v10, vcc_lo
	s_branch .LBB151_3610
.LBB151_3609:
	s_mov_b32 s0, -1
                                        ; implicit-def: $vgpr10
.LBB151_3610:
	s_mov_b32 s7, 0
.LBB151_3611:
	s_delay_alu instid0(SALU_CYCLE_1)
	s_and_b32 vcc_lo, exec_lo, s7
	s_cbranch_vccz .LBB151_3615
; %bb.3612:
	s_cmp_eq_u32 s15, 29
	s_cbranch_scc0 .LBB151_3614
; %bb.3613:
	global_load_b64 v[10:11], v[8:9], off
	s_mov_b32 s0, 0
	s_mov_b32 s6, -1
	s_mov_b32 s7, 0
	s_wait_loadcnt 0x0
	v_clz_i32_u32_e32 v7, v11
	s_delay_alu instid0(VALU_DEP_1) | instskip(NEXT) | instid1(VALU_DEP_1)
	v_min_u32_e32 v7, 32, v7
	v_lshlrev_b64_e32 v[10:11], v7, v[10:11]
	v_sub_nc_u32_e32 v7, 32, v7
	s_delay_alu instid0(VALU_DEP_2) | instskip(NEXT) | instid1(VALU_DEP_1)
	v_min_u32_e32 v10, 1, v10
	v_or_b32_e32 v10, v11, v10
	s_delay_alu instid0(VALU_DEP_1) | instskip(NEXT) | instid1(VALU_DEP_1)
	v_cvt_f32_u32_e32 v10, v10
	v_ldexp_f32 v10, v10, v7
	s_branch .LBB151_3616
.LBB151_3614:
	s_mov_b32 s0, -1
                                        ; implicit-def: $vgpr10
.LBB151_3615:
	s_mov_b32 s7, 0
.LBB151_3616:
	s_delay_alu instid0(SALU_CYCLE_1)
	s_and_b32 vcc_lo, exec_lo, s7
	s_cbranch_vccz .LBB151_3634
; %bb.3617:
	s_cmp_lt_i32 s15, 27
	s_cbranch_scc1 .LBB151_3620
; %bb.3618:
	s_cmp_gt_i32 s15, 27
	s_cbranch_scc0 .LBB151_3621
; %bb.3619:
	global_load_b32 v7, v[8:9], off
	s_mov_b32 s6, 0
	s_wait_loadcnt 0x0
	s_wait_xcnt 0x1
	v_cvt_f32_u32_e32 v10, v7
	s_branch .LBB151_3622
.LBB151_3620:
	s_mov_b32 s6, -1
                                        ; implicit-def: $vgpr10
	s_branch .LBB151_3625
.LBB151_3621:
	s_mov_b32 s6, -1
                                        ; implicit-def: $vgpr10
.LBB151_3622:
	s_delay_alu instid0(SALU_CYCLE_1)
	s_and_not1_b32 vcc_lo, exec_lo, s6
	s_cbranch_vccnz .LBB151_3624
; %bb.3623:
	global_load_u16 v7, v[8:9], off
	s_wait_loadcnt 0x0
	s_wait_xcnt 0x1
	v_cvt_f32_u32_e32 v10, v7
.LBB151_3624:
	s_mov_b32 s6, 0
.LBB151_3625:
	s_delay_alu instid0(SALU_CYCLE_1)
	s_and_not1_b32 vcc_lo, exec_lo, s6
	s_cbranch_vccnz .LBB151_3633
; %bb.3626:
	global_load_u8 v7, v[8:9], off
	s_mov_b32 s6, 0
	s_mov_b32 s7, exec_lo
	s_wait_loadcnt 0x0
	v_cmpx_lt_i16_e32 0x7f, v7
	s_xor_b32 s7, exec_lo, s7
	s_cbranch_execz .LBB151_3647
; %bb.3627:
	s_mov_b32 s6, -1
	s_mov_b32 s8, exec_lo
	v_cmpx_eq_u16_e32 0x80, v7
; %bb.3628:
	s_xor_b32 s6, exec_lo, -1
; %bb.3629:
	s_or_b32 exec_lo, exec_lo, s8
	s_delay_alu instid0(SALU_CYCLE_1)
	s_and_b32 s6, s6, exec_lo
	s_or_saveexec_b32 s7, s7
	v_mov_b32_e32 v10, 0x7f800001
	s_xor_b32 exec_lo, exec_lo, s7
	s_cbranch_execnz .LBB151_3648
.LBB151_3630:
	s_or_b32 exec_lo, exec_lo, s7
	s_and_saveexec_b32 s7, s6
	s_cbranch_execz .LBB151_3632
.LBB151_3631:
	v_and_b32_e32 v10, 0xffff, v7
	s_delay_alu instid0(VALU_DEP_1) | instskip(SKIP_1) | instid1(VALU_DEP_2)
	v_and_b32_e32 v11, 7, v10
	v_bfe_u32 v17, v10, 3, 4
	v_clz_i32_u32_e32 v13, v11
	s_delay_alu instid0(VALU_DEP_2) | instskip(NEXT) | instid1(VALU_DEP_2)
	v_cmp_eq_u32_e32 vcc_lo, 0, v17
	v_min_u32_e32 v13, 32, v13
	s_delay_alu instid0(VALU_DEP_1) | instskip(NEXT) | instid1(VALU_DEP_1)
	v_subrev_nc_u32_e32 v15, 28, v13
	v_dual_lshlrev_b32 v10, v15, v10 :: v_dual_sub_nc_u32 v13, 29, v13
	s_delay_alu instid0(VALU_DEP_1) | instskip(NEXT) | instid1(VALU_DEP_1)
	v_dual_lshlrev_b32 v7, 24, v7 :: v_dual_bitop2_b32 v10, 7, v10 bitop3:0x40
	v_dual_cndmask_b32 v13, v17, v13 :: v_dual_cndmask_b32 v10, v11, v10
	s_delay_alu instid0(VALU_DEP_2) | instskip(NEXT) | instid1(VALU_DEP_2)
	v_and_b32_e32 v7, 0x80000000, v7
	v_lshl_add_u32 v11, v13, 23, 0x3b800000
	s_delay_alu instid0(VALU_DEP_3) | instskip(NEXT) | instid1(VALU_DEP_1)
	v_lshlrev_b32_e32 v10, 20, v10
	v_or3_b32 v10, v7, v11, v10
.LBB151_3632:
	s_or_b32 exec_lo, exec_lo, s7
.LBB151_3633:
	s_mov_b32 s6, -1
.LBB151_3634:
	s_mov_b32 s7, 0
.LBB151_3635:
	s_delay_alu instid0(SALU_CYCLE_1)
	s_and_b32 vcc_lo, exec_lo, s7
	s_cbranch_vccz .LBB151_3668
; %bb.3636:
	s_cmp_gt_i32 s15, 22
	s_cbranch_scc0 .LBB151_3646
; %bb.3637:
	s_cmp_lt_i32 s15, 24
	s_cbranch_scc1 .LBB151_3649
; %bb.3638:
	s_cmp_gt_i32 s15, 24
	s_cbranch_scc0 .LBB151_3650
; %bb.3639:
	global_load_u8 v7, v[8:9], off
	s_mov_b32 s6, exec_lo
	s_wait_loadcnt 0x0
	v_cmpx_lt_i16_e32 0x7f, v7
	s_xor_b32 s6, exec_lo, s6
	s_cbranch_execz .LBB151_3662
; %bb.3640:
	s_mov_b32 s1, -1
	s_mov_b32 s7, exec_lo
	v_cmpx_eq_u16_e32 0x80, v7
; %bb.3641:
	s_xor_b32 s1, exec_lo, -1
; %bb.3642:
	s_or_b32 exec_lo, exec_lo, s7
	s_delay_alu instid0(SALU_CYCLE_1)
	s_and_b32 s1, s1, exec_lo
	s_or_saveexec_b32 s6, s6
	v_mov_b32_e32 v10, 0x7f800001
	s_xor_b32 exec_lo, exec_lo, s6
	s_cbranch_execnz .LBB151_3663
.LBB151_3643:
	s_or_b32 exec_lo, exec_lo, s6
	s_and_saveexec_b32 s6, s1
	s_cbranch_execz .LBB151_3645
.LBB151_3644:
	v_and_b32_e32 v10, 0xffff, v7
	s_delay_alu instid0(VALU_DEP_1) | instskip(SKIP_1) | instid1(VALU_DEP_2)
	v_and_b32_e32 v11, 3, v10
	v_bfe_u32 v17, v10, 2, 5
	v_clz_i32_u32_e32 v13, v11
	s_delay_alu instid0(VALU_DEP_2) | instskip(NEXT) | instid1(VALU_DEP_2)
	v_cmp_eq_u32_e32 vcc_lo, 0, v17
	v_min_u32_e32 v13, 32, v13
	s_delay_alu instid0(VALU_DEP_1) | instskip(NEXT) | instid1(VALU_DEP_1)
	v_subrev_nc_u32_e32 v15, 29, v13
	v_dual_lshlrev_b32 v10, v15, v10 :: v_dual_sub_nc_u32 v13, 30, v13
	s_delay_alu instid0(VALU_DEP_1) | instskip(NEXT) | instid1(VALU_DEP_1)
	v_dual_lshlrev_b32 v7, 24, v7 :: v_dual_bitop2_b32 v10, 3, v10 bitop3:0x40
	v_dual_cndmask_b32 v13, v17, v13 :: v_dual_cndmask_b32 v10, v11, v10
	s_delay_alu instid0(VALU_DEP_2) | instskip(NEXT) | instid1(VALU_DEP_2)
	v_and_b32_e32 v7, 0x80000000, v7
	v_lshl_add_u32 v11, v13, 23, 0x37800000
	s_delay_alu instid0(VALU_DEP_3) | instskip(NEXT) | instid1(VALU_DEP_1)
	v_lshlrev_b32_e32 v10, 21, v10
	v_or3_b32 v10, v7, v11, v10
.LBB151_3645:
	s_or_b32 exec_lo, exec_lo, s6
	s_mov_b32 s1, 0
	s_branch .LBB151_3651
.LBB151_3646:
	s_mov_b32 s1, -1
                                        ; implicit-def: $vgpr10
	s_branch .LBB151_3657
.LBB151_3647:
	s_or_saveexec_b32 s7, s7
	v_mov_b32_e32 v10, 0x7f800001
	s_xor_b32 exec_lo, exec_lo, s7
	s_cbranch_execz .LBB151_3630
.LBB151_3648:
	v_cmp_ne_u16_e32 vcc_lo, 0, v7
	v_mov_b32_e32 v10, 0
	s_and_not1_b32 s6, s6, exec_lo
	s_and_b32 s8, vcc_lo, exec_lo
	s_delay_alu instid0(SALU_CYCLE_1)
	s_or_b32 s6, s6, s8
	s_or_b32 exec_lo, exec_lo, s7
	s_and_saveexec_b32 s7, s6
	s_cbranch_execnz .LBB151_3631
	s_branch .LBB151_3632
.LBB151_3649:
	s_mov_b32 s1, -1
                                        ; implicit-def: $vgpr10
	s_branch .LBB151_3654
.LBB151_3650:
	s_mov_b32 s1, -1
                                        ; implicit-def: $vgpr10
.LBB151_3651:
	s_delay_alu instid0(SALU_CYCLE_1)
	s_and_b32 vcc_lo, exec_lo, s1
	s_cbranch_vccz .LBB151_3653
; %bb.3652:
	global_load_u8 v7, v[8:9], off
	s_wait_loadcnt 0x0
	v_lshlrev_b32_e32 v7, 24, v7
	s_wait_xcnt 0x1
	s_delay_alu instid0(VALU_DEP_1) | instskip(NEXT) | instid1(VALU_DEP_1)
	v_and_b32_e32 v10, 0x7f000000, v7
	v_clz_i32_u32_e32 v11, v10
	v_cmp_ne_u32_e32 vcc_lo, 0, v10
	v_add_nc_u32_e32 v15, 0x1000000, v10
	s_delay_alu instid0(VALU_DEP_3) | instskip(NEXT) | instid1(VALU_DEP_1)
	v_min_u32_e32 v11, 32, v11
	v_sub_nc_u32_e64 v11, v11, 4 clamp
	s_delay_alu instid0(VALU_DEP_1) | instskip(NEXT) | instid1(VALU_DEP_1)
	v_dual_lshlrev_b32 v13, v11, v10 :: v_dual_lshlrev_b32 v11, 23, v11
	v_lshrrev_b32_e32 v13, 4, v13
	s_delay_alu instid0(VALU_DEP_1) | instskip(SKIP_1) | instid1(VALU_DEP_2)
	v_sub_nc_u32_e32 v11, v13, v11
	v_ashrrev_i32_e32 v13, 8, v15
	v_add_nc_u32_e32 v11, 0x3c000000, v11
	s_delay_alu instid0(VALU_DEP_1) | instskip(NEXT) | instid1(VALU_DEP_1)
	v_and_or_b32 v11, 0x7f800000, v13, v11
	v_cndmask_b32_e32 v10, 0, v11, vcc_lo
	s_delay_alu instid0(VALU_DEP_1)
	v_and_or_b32 v10, 0x80000000, v7, v10
.LBB151_3653:
	s_mov_b32 s1, 0
.LBB151_3654:
	s_delay_alu instid0(SALU_CYCLE_1)
	s_and_not1_b32 vcc_lo, exec_lo, s1
	s_cbranch_vccnz .LBB151_3656
; %bb.3655:
	global_load_u8 v7, v[8:9], off
	s_wait_loadcnt 0x0
	s_wait_xcnt 0x1
	v_lshlrev_b32_e32 v10, 25, v7
	v_lshlrev_b16 v7, 8, v7
	s_delay_alu instid0(VALU_DEP_1) | instskip(SKIP_1) | instid1(VALU_DEP_2)
	v_and_or_b32 v13, 0x7f00, v7, 0.5
	v_bfe_i32 v7, v7, 0, 16
	v_dual_add_f32 v13, -0.5, v13 :: v_dual_lshrrev_b32 v11, 4, v10
	v_cmp_gt_u32_e32 vcc_lo, 0x8000000, v10
	s_delay_alu instid0(VALU_DEP_2) | instskip(NEXT) | instid1(VALU_DEP_1)
	v_or_b32_e32 v11, 0x70000000, v11
	v_mul_f32_e32 v11, 0x7800000, v11
	s_delay_alu instid0(VALU_DEP_1) | instskip(NEXT) | instid1(VALU_DEP_1)
	v_cndmask_b32_e32 v10, v11, v13, vcc_lo
	v_and_or_b32 v10, 0x80000000, v7, v10
.LBB151_3656:
	s_mov_b32 s1, 0
	s_mov_b32 s6, -1
.LBB151_3657:
	s_and_not1_b32 vcc_lo, exec_lo, s1
	s_mov_b32 s1, 0
	s_cbranch_vccnz .LBB151_3668
; %bb.3658:
	s_cmp_gt_i32 s15, 14
	s_cbranch_scc0 .LBB151_3661
; %bb.3659:
	s_cmp_eq_u32 s15, 15
	s_cbranch_scc0 .LBB151_3664
; %bb.3660:
	global_load_u16 v7, v[8:9], off
	s_mov_b32 s0, 0
	s_mov_b32 s6, -1
	s_wait_loadcnt 0x0
	s_wait_xcnt 0x1
	v_lshlrev_b32_e32 v10, 16, v7
	s_branch .LBB151_3666
.LBB151_3661:
	s_mov_b32 s1, -1
	s_branch .LBB151_3665
.LBB151_3662:
	s_or_saveexec_b32 s6, s6
	v_mov_b32_e32 v10, 0x7f800001
	s_xor_b32 exec_lo, exec_lo, s6
	s_cbranch_execz .LBB151_3643
.LBB151_3663:
	v_cmp_ne_u16_e32 vcc_lo, 0, v7
	v_mov_b32_e32 v10, 0
	s_and_not1_b32 s1, s1, exec_lo
	s_and_b32 s7, vcc_lo, exec_lo
	s_delay_alu instid0(SALU_CYCLE_1)
	s_or_b32 s1, s1, s7
	s_or_b32 exec_lo, exec_lo, s6
	s_and_saveexec_b32 s6, s1
	s_cbranch_execnz .LBB151_3644
	s_branch .LBB151_3645
.LBB151_3664:
	s_mov_b32 s0, -1
.LBB151_3665:
                                        ; implicit-def: $vgpr10
.LBB151_3666:
	s_and_b32 vcc_lo, exec_lo, s1
	s_mov_b32 s1, 0
	s_cbranch_vccz .LBB151_3668
; %bb.3667:
	s_cmp_lg_u32 s15, 11
	s_mov_b32 s1, -1
	s_cselect_b32 s0, -1, 0
.LBB151_3668:
	s_delay_alu instid0(SALU_CYCLE_1)
	s_and_b32 vcc_lo, exec_lo, s0
	s_cbranch_vccnz .LBB151_4201
; %bb.3669:
	s_and_not1_b32 vcc_lo, exec_lo, s1
	s_cbranch_vccnz .LBB151_3671
.LBB151_3670:
	global_load_u8 v7, v[8:9], off
	s_mov_b32 s6, -1
	s_wait_loadcnt 0x0
	v_cmp_ne_u16_e32 vcc_lo, 0, v7
	s_wait_xcnt 0x1
	v_cndmask_b32_e64 v10, 0, 1.0, vcc_lo
.LBB151_3671:
	s_mov_b32 s0, 0
.LBB151_3672:
	s_delay_alu instid0(SALU_CYCLE_1)
	s_and_b32 vcc_lo, exec_lo, s0
	s_cbranch_vccz .LBB151_3721
; %bb.3673:
	s_cmp_lt_i32 s15, 5
	s_cbranch_scc1 .LBB151_3678
; %bb.3674:
	s_cmp_lt_i32 s15, 8
	s_cbranch_scc1 .LBB151_3679
	;; [unrolled: 3-line block ×3, first 2 shown]
; %bb.3676:
	s_cmp_gt_i32 s15, 9
	s_cbranch_scc0 .LBB151_3681
; %bb.3677:
	global_load_b64 v[10:11], v[8:9], off
	s_mov_b32 s0, 0
	s_wait_loadcnt 0x0
	v_cvt_f32_f64_e32 v10, v[10:11]
	s_branch .LBB151_3682
.LBB151_3678:
	s_mov_b32 s0, -1
                                        ; implicit-def: $vgpr10
	s_branch .LBB151_3700
.LBB151_3679:
	s_mov_b32 s0, -1
                                        ; implicit-def: $vgpr10
	s_branch .LBB151_3688
.LBB151_3680:
	s_mov_b32 s0, -1
                                        ; implicit-def: $vgpr10
	s_branch .LBB151_3685
.LBB151_3681:
	s_mov_b32 s0, -1
                                        ; implicit-def: $vgpr10
.LBB151_3682:
	s_delay_alu instid0(SALU_CYCLE_1)
	s_and_not1_b32 vcc_lo, exec_lo, s0
	s_cbranch_vccnz .LBB151_3684
; %bb.3683:
	global_load_b32 v10, v[8:9], off
.LBB151_3684:
	s_mov_b32 s0, 0
.LBB151_3685:
	s_delay_alu instid0(SALU_CYCLE_1)
	s_and_not1_b32 vcc_lo, exec_lo, s0
	s_cbranch_vccnz .LBB151_3687
; %bb.3686:
	global_load_b32 v7, v[8:9], off
	s_wait_loadcnt 0x0
	s_wait_xcnt 0x1
	v_cvt_f32_f16_e32 v10, v7
.LBB151_3687:
	s_mov_b32 s0, 0
.LBB151_3688:
	s_delay_alu instid0(SALU_CYCLE_1)
	s_and_not1_b32 vcc_lo, exec_lo, s0
	s_cbranch_vccnz .LBB151_3699
; %bb.3689:
	s_cmp_lt_i32 s15, 6
	s_cbranch_scc1 .LBB151_3692
; %bb.3690:
	s_cmp_gt_i32 s15, 6
	s_cbranch_scc0 .LBB151_3693
; %bb.3691:
	s_wait_loadcnt 0x0
	global_load_b64 v[10:11], v[8:9], off
	s_mov_b32 s0, 0
	s_wait_loadcnt 0x0
	v_cvt_f32_f64_e32 v10, v[10:11]
	s_branch .LBB151_3694
.LBB151_3692:
	s_mov_b32 s0, -1
                                        ; implicit-def: $vgpr10
	s_branch .LBB151_3697
.LBB151_3693:
	s_mov_b32 s0, -1
                                        ; implicit-def: $vgpr10
.LBB151_3694:
	s_delay_alu instid0(SALU_CYCLE_1)
	s_and_not1_b32 vcc_lo, exec_lo, s0
	s_cbranch_vccnz .LBB151_3696
; %bb.3695:
	s_wait_loadcnt 0x0
	global_load_b32 v10, v[8:9], off
.LBB151_3696:
	s_mov_b32 s0, 0
.LBB151_3697:
	s_delay_alu instid0(SALU_CYCLE_1)
	s_and_not1_b32 vcc_lo, exec_lo, s0
	s_cbranch_vccnz .LBB151_3699
; %bb.3698:
	global_load_u16 v7, v[8:9], off
	s_wait_loadcnt 0x0
	s_wait_xcnt 0x1
	v_cvt_f32_f16_e32 v10, v7
.LBB151_3699:
	s_mov_b32 s0, 0
.LBB151_3700:
	s_delay_alu instid0(SALU_CYCLE_1)
	s_and_not1_b32 vcc_lo, exec_lo, s0
	s_cbranch_vccnz .LBB151_3720
; %bb.3701:
	s_cmp_lt_i32 s15, 2
	s_cbranch_scc1 .LBB151_3705
; %bb.3702:
	s_cmp_lt_i32 s15, 3
	s_cbranch_scc1 .LBB151_3706
; %bb.3703:
	s_cmp_gt_i32 s15, 3
	s_cbranch_scc0 .LBB151_3707
; %bb.3704:
	s_wait_loadcnt 0x0
	global_load_b64 v[10:11], v[8:9], off
	s_mov_b32 s0, 0
	s_wait_loadcnt 0x0
	v_xor_b32_e32 v7, v10, v11
	v_cls_i32_e32 v13, v11
	s_delay_alu instid0(VALU_DEP_2) | instskip(NEXT) | instid1(VALU_DEP_1)
	v_ashrrev_i32_e32 v7, 31, v7
	v_add_nc_u32_e32 v7, 32, v7
	s_delay_alu instid0(VALU_DEP_1) | instskip(NEXT) | instid1(VALU_DEP_1)
	v_add_min_u32_e64 v7, v13, -1, v7
	v_lshlrev_b64_e32 v[10:11], v7, v[10:11]
	v_sub_nc_u32_e32 v7, 32, v7
	s_delay_alu instid0(VALU_DEP_2) | instskip(NEXT) | instid1(VALU_DEP_1)
	v_min_u32_e32 v10, 1, v10
	v_or_b32_e32 v10, v11, v10
	s_delay_alu instid0(VALU_DEP_1) | instskip(NEXT) | instid1(VALU_DEP_1)
	v_cvt_f32_i32_e32 v10, v10
	v_ldexp_f32 v10, v10, v7
	s_branch .LBB151_3708
.LBB151_3705:
	s_mov_b32 s0, -1
                                        ; implicit-def: $vgpr10
	s_branch .LBB151_3714
.LBB151_3706:
	s_mov_b32 s0, -1
                                        ; implicit-def: $vgpr10
	s_branch .LBB151_3711
.LBB151_3707:
	s_mov_b32 s0, -1
                                        ; implicit-def: $vgpr10
.LBB151_3708:
	s_delay_alu instid0(SALU_CYCLE_1)
	s_and_not1_b32 vcc_lo, exec_lo, s0
	s_cbranch_vccnz .LBB151_3710
; %bb.3709:
	global_load_b32 v7, v[8:9], off
	s_wait_loadcnt 0x0
	s_wait_xcnt 0x1
	v_cvt_f32_i32_e32 v10, v7
.LBB151_3710:
	s_mov_b32 s0, 0
.LBB151_3711:
	s_delay_alu instid0(SALU_CYCLE_1)
	s_and_not1_b32 vcc_lo, exec_lo, s0
	s_cbranch_vccnz .LBB151_3713
; %bb.3712:
	global_load_i16 v7, v[8:9], off
	s_wait_loadcnt 0x0
	s_wait_xcnt 0x1
	v_cvt_f32_i32_e32 v10, v7
.LBB151_3713:
	s_mov_b32 s0, 0
.LBB151_3714:
	s_delay_alu instid0(SALU_CYCLE_1)
	s_and_not1_b32 vcc_lo, exec_lo, s0
	s_cbranch_vccnz .LBB151_3720
; %bb.3715:
	s_cmp_gt_i32 s15, 0
	s_mov_b32 s0, 0
	s_cbranch_scc0 .LBB151_3717
; %bb.3716:
	global_load_i8 v7, v[8:9], off
	s_wait_loadcnt 0x0
	s_wait_xcnt 0x1
	v_cvt_f32_i32_e32 v10, v7
	s_branch .LBB151_3718
.LBB151_3717:
	s_mov_b32 s0, -1
                                        ; implicit-def: $vgpr10
.LBB151_3718:
	s_delay_alu instid0(SALU_CYCLE_1)
	s_and_not1_b32 vcc_lo, exec_lo, s0
	s_cbranch_vccnz .LBB151_3720
; %bb.3719:
	global_load_u8 v7, v[8:9], off
	s_wait_loadcnt 0x0
	s_wait_xcnt 0x1
	v_cvt_f32_ubyte0_e32 v10, v7
.LBB151_3720:
	s_mov_b32 s6, -1
.LBB151_3721:
	s_delay_alu instid0(SALU_CYCLE_1)
	s_and_not1_b32 vcc_lo, exec_lo, s6
	s_cbranch_vccnz .LBB151_4155
; %bb.3722:
	s_wait_loadcnt 0x0
	v_dual_mov_b32 v7, 0 :: v_dual_max_num_f32 v9, v3, v3
	v_max_num_f32_e32 v13, v5, v5
	v_cmp_u_f32_e64 s0, v1, v1
	v_max_num_f32_e32 v11, v1, v1
	global_load_u8 v8, v7, s[2:3] offset:489
	v_cmp_u_f32_e32 vcc_lo, v5, v5
	s_wait_xcnt 0x0
	v_add_nc_u64_e32 v[6:7], s[4:5], v[6:7]
	v_maxmin_num_f32 v9, v11, v9, v13
	s_delay_alu instid0(VALU_DEP_1) | instskip(SKIP_1) | instid1(VALU_DEP_2)
	v_cndmask_b32_e32 v5, v9, v5, vcc_lo
	v_cmp_u_f32_e32 vcc_lo, v3, v3
	v_cndmask_b32_e32 v3, v5, v3, vcc_lo
	s_wait_loadcnt 0x0
	v_and_b32_e32 v9, 0xffff, v8
	v_readfirstlane_b32 s1, v8
	s_delay_alu instid0(VALU_DEP_3) | instskip(NEXT) | instid1(VALU_DEP_3)
	v_cndmask_b32_e64 v8, v3, v1, s0
	v_cmp_gt_i32_e32 vcc_lo, 11, v9
	s_cbranch_vccnz .LBB151_3800
; %bb.3723:
	s_and_b32 s2, 0xffff, s1
	s_mov_b32 s7, -1
	s_mov_b32 s3, 0
	s_cmp_gt_i32 s2, 25
	s_mov_b32 s6, 0
	s_mov_b32 s0, 0
	s_cbranch_scc0 .LBB151_3756
; %bb.3724:
	s_cmp_gt_i32 s2, 28
	s_cbranch_scc0 .LBB151_3739
; %bb.3725:
	s_cmp_gt_i32 s2, 43
	;; [unrolled: 3-line block ×3, first 2 shown]
	s_cbranch_scc0 .LBB151_3729
; %bb.3727:
	s_mov_b32 s0, -1
	s_mov_b32 s7, 0
	s_cmp_eq_u32 s2, 46
	s_cbranch_scc0 .LBB151_3729
; %bb.3728:
	v_bfe_u32 v1, v8, 16, 1
	v_cmp_o_f32_e32 vcc_lo, v8, v8
	s_mov_b32 s0, 0
	s_mov_b32 s6, -1
	s_delay_alu instid0(VALU_DEP_2) | instskip(NEXT) | instid1(VALU_DEP_1)
	v_add3_u32 v1, v8, v1, 0x7fff
	v_lshrrev_b32_e32 v1, 16, v1
	s_delay_alu instid0(VALU_DEP_1)
	v_cndmask_b32_e32 v1, 0x7fc0, v1, vcc_lo
	global_store_b32 v[6:7], v1, off
.LBB151_3729:
	s_and_b32 vcc_lo, exec_lo, s7
	s_cbranch_vccz .LBB151_3734
; %bb.3730:
	s_cmp_eq_u32 s2, 44
	s_mov_b32 s0, -1
	s_cbranch_scc0 .LBB151_3734
; %bb.3731:
	v_bfe_u32 v3, v8, 23, 8
	s_wait_xcnt 0x0
	v_mov_b32_e32 v1, 0xff
	s_mov_b32 s6, exec_lo
	s_delay_alu instid0(VALU_DEP_2)
	v_cmpx_ne_u32_e32 0xff, v3
	s_cbranch_execz .LBB151_3733
; %bb.3732:
	v_and_b32_e32 v1, 0x400000, v8
	v_and_or_b32 v3, 0x3fffff, v8, v3
	s_delay_alu instid0(VALU_DEP_2) | instskip(NEXT) | instid1(VALU_DEP_2)
	v_cmp_ne_u32_e32 vcc_lo, 0, v1
	v_cmp_ne_u32_e64 s0, 0, v3
	v_lshrrev_b32_e32 v1, 23, v8
	s_and_b32 s0, vcc_lo, s0
	s_delay_alu instid0(SALU_CYCLE_1) | instskip(NEXT) | instid1(VALU_DEP_1)
	v_cndmask_b32_e64 v3, 0, 1, s0
	v_add_nc_u32_e32 v1, v1, v3
.LBB151_3733:
	s_or_b32 exec_lo, exec_lo, s6
	s_mov_b32 s0, 0
	s_mov_b32 s6, -1
	global_store_b8 v[6:7], v1, off
.LBB151_3734:
	s_mov_b32 s7, 0
.LBB151_3735:
	s_delay_alu instid0(SALU_CYCLE_1)
	s_and_b32 vcc_lo, exec_lo, s7
	s_cbranch_vccz .LBB151_3738
; %bb.3736:
	s_cmp_eq_u32 s2, 29
	s_mov_b32 s0, -1
	s_cbranch_scc0 .LBB151_3738
; %bb.3737:
	s_wait_xcnt 0x0
	v_trunc_f32_e32 v1, v8
	s_mov_b32 s0, 0
	s_mov_b32 s6, -1
	s_delay_alu instid0(VALU_DEP_1) | instskip(NEXT) | instid1(VALU_DEP_1)
	v_mul_f32_e32 v3, 0x2f800000, v1
	v_floor_f32_e32 v3, v3
	s_delay_alu instid0(VALU_DEP_1) | instskip(SKIP_1) | instid1(VALU_DEP_2)
	v_fmamk_f32 v1, v3, 0xcf800000, v1
	v_cvt_u32_f32_e32 v29, v3
	v_cvt_u32_f32_e32 v28, v1
	global_store_b64 v[6:7], v[28:29], off
.LBB151_3738:
	s_mov_b32 s7, 0
.LBB151_3739:
	s_delay_alu instid0(SALU_CYCLE_1)
	s_and_b32 vcc_lo, exec_lo, s7
	s_cbranch_vccz .LBB151_3755
; %bb.3740:
	s_cmp_lt_i32 s2, 27
	s_mov_b32 s6, -1
	s_cbranch_scc1 .LBB151_3746
; %bb.3741:
	s_wait_xcnt 0x0
	v_cvt_u32_f32_e32 v1, v8
	s_cmp_gt_i32 s2, 27
	s_cbranch_scc0 .LBB151_3743
; %bb.3742:
	s_mov_b32 s6, 0
	global_store_b32 v[6:7], v1, off
.LBB151_3743:
	s_and_not1_b32 vcc_lo, exec_lo, s6
	s_cbranch_vccnz .LBB151_3745
; %bb.3744:
	global_store_b16 v[6:7], v1, off
.LBB151_3745:
	s_mov_b32 s6, 0
.LBB151_3746:
	s_delay_alu instid0(SALU_CYCLE_1)
	s_and_not1_b32 vcc_lo, exec_lo, s6
	s_cbranch_vccnz .LBB151_3754
; %bb.3747:
	s_wait_xcnt 0x0
	v_and_b32_e32 v1, 0x7fffffff, v8
	v_mov_b32_e32 v3, 0x80
	s_mov_b32 s6, exec_lo
	s_delay_alu instid0(VALU_DEP_2)
	v_cmpx_gt_u32_e32 0x43800000, v1
	s_cbranch_execz .LBB151_3753
; %bb.3748:
	v_cmp_lt_u32_e32 vcc_lo, 0x3bffffff, v1
	s_mov_b32 s7, 0
                                        ; implicit-def: $vgpr1
	s_and_saveexec_b32 s8, vcc_lo
	s_delay_alu instid0(SALU_CYCLE_1)
	s_xor_b32 s8, exec_lo, s8
	s_cbranch_execz .LBB151_4202
; %bb.3749:
	v_bfe_u32 v1, v8, 20, 1
	s_mov_b32 s7, exec_lo
	s_delay_alu instid0(VALU_DEP_1) | instskip(NEXT) | instid1(VALU_DEP_1)
	v_add3_u32 v1, v8, v1, 0x487ffff
	v_lshrrev_b32_e32 v1, 20, v1
	s_and_not1_saveexec_b32 s8, s8
	s_cbranch_execnz .LBB151_4203
.LBB151_3750:
	s_or_b32 exec_lo, exec_lo, s8
	v_mov_b32_e32 v3, 0
	s_and_saveexec_b32 s8, s7
.LBB151_3751:
	v_lshrrev_b32_e32 v3, 24, v8
	s_delay_alu instid0(VALU_DEP_1)
	v_and_or_b32 v3, 0x80, v3, v1
.LBB151_3752:
	s_or_b32 exec_lo, exec_lo, s8
.LBB151_3753:
	s_delay_alu instid0(SALU_CYCLE_1)
	s_or_b32 exec_lo, exec_lo, s6
	global_store_b8 v[6:7], v3, off
.LBB151_3754:
	s_mov_b32 s6, -1
.LBB151_3755:
	s_mov_b32 s7, 0
.LBB151_3756:
	s_delay_alu instid0(SALU_CYCLE_1)
	s_and_b32 vcc_lo, exec_lo, s7
	s_cbranch_vccz .LBB151_3796
; %bb.3757:
	s_cmp_gt_i32 s2, 22
	s_mov_b32 s3, -1
	s_cbranch_scc0 .LBB151_3789
; %bb.3758:
	s_cmp_lt_i32 s2, 24
	s_cbranch_scc1 .LBB151_3778
; %bb.3759:
	s_cmp_gt_i32 s2, 24
	s_cbranch_scc0 .LBB151_3767
; %bb.3760:
	s_wait_xcnt 0x0
	v_and_b32_e32 v1, 0x7fffffff, v8
	v_mov_b32_e32 v3, 0x80
	s_mov_b32 s3, exec_lo
	s_delay_alu instid0(VALU_DEP_2)
	v_cmpx_gt_u32_e32 0x47800000, v1
	s_cbranch_execz .LBB151_3766
; %bb.3761:
	v_cmp_lt_u32_e32 vcc_lo, 0x37ffffff, v1
	s_mov_b32 s6, 0
                                        ; implicit-def: $vgpr1
	s_and_saveexec_b32 s7, vcc_lo
	s_delay_alu instid0(SALU_CYCLE_1)
	s_xor_b32 s7, exec_lo, s7
	s_cbranch_execz .LBB151_4205
; %bb.3762:
	v_bfe_u32 v1, v8, 21, 1
	s_mov_b32 s6, exec_lo
	s_delay_alu instid0(VALU_DEP_1) | instskip(NEXT) | instid1(VALU_DEP_1)
	v_add3_u32 v1, v8, v1, 0x88fffff
	v_lshrrev_b32_e32 v1, 21, v1
	s_and_not1_saveexec_b32 s7, s7
	s_cbranch_execnz .LBB151_4206
.LBB151_3763:
	s_or_b32 exec_lo, exec_lo, s7
	v_mov_b32_e32 v3, 0
	s_and_saveexec_b32 s7, s6
.LBB151_3764:
	v_lshrrev_b32_e32 v3, 24, v8
	s_delay_alu instid0(VALU_DEP_1)
	v_and_or_b32 v3, 0x80, v3, v1
.LBB151_3765:
	s_or_b32 exec_lo, exec_lo, s7
.LBB151_3766:
	s_delay_alu instid0(SALU_CYCLE_1)
	s_or_b32 exec_lo, exec_lo, s3
	s_mov_b32 s3, 0
	global_store_b8 v[6:7], v3, off
.LBB151_3767:
	s_and_b32 vcc_lo, exec_lo, s3
	s_cbranch_vccz .LBB151_3777
; %bb.3768:
	s_wait_xcnt 0x0
	v_and_b32_e32 v3, 0x7fffffff, v8
	s_mov_b32 s3, exec_lo
                                        ; implicit-def: $vgpr1
	s_delay_alu instid0(VALU_DEP_1)
	v_cmpx_gt_u32_e32 0x43f00000, v3
	s_xor_b32 s3, exec_lo, s3
	s_cbranch_execz .LBB151_3774
; %bb.3769:
	s_mov_b32 s6, exec_lo
                                        ; implicit-def: $vgpr1
	v_cmpx_lt_u32_e32 0x3c7fffff, v3
	s_xor_b32 s6, exec_lo, s6
; %bb.3770:
	v_bfe_u32 v1, v8, 20, 1
	s_delay_alu instid0(VALU_DEP_1) | instskip(NEXT) | instid1(VALU_DEP_1)
	v_add3_u32 v1, v8, v1, 0x407ffff
	v_and_b32_e32 v3, 0xff00000, v1
	v_lshrrev_b32_e32 v1, 20, v1
	s_delay_alu instid0(VALU_DEP_2) | instskip(NEXT) | instid1(VALU_DEP_2)
	v_cmp_ne_u32_e32 vcc_lo, 0x7f00000, v3
	v_cndmask_b32_e32 v1, 0x7e, v1, vcc_lo
; %bb.3771:
	s_and_not1_saveexec_b32 s6, s6
; %bb.3772:
	v_add_f32_e64 v1, 0x46800000, |v8|
; %bb.3773:
	s_or_b32 exec_lo, exec_lo, s6
                                        ; implicit-def: $vgpr3
.LBB151_3774:
	s_and_not1_saveexec_b32 s3, s3
; %bb.3775:
	v_mov_b32_e32 v1, 0x7f
	v_cmp_lt_u32_e32 vcc_lo, 0x7f800000, v3
	s_delay_alu instid0(VALU_DEP_2)
	v_cndmask_b32_e32 v1, 0x7e, v1, vcc_lo
; %bb.3776:
	s_or_b32 exec_lo, exec_lo, s3
	v_lshrrev_b32_e32 v3, 24, v8
	s_delay_alu instid0(VALU_DEP_1)
	v_and_or_b32 v1, 0x80, v3, v1
	global_store_b8 v[6:7], v1, off
.LBB151_3777:
	s_mov_b32 s3, 0
.LBB151_3778:
	s_delay_alu instid0(SALU_CYCLE_1)
	s_and_not1_b32 vcc_lo, exec_lo, s3
	s_cbranch_vccnz .LBB151_3788
; %bb.3779:
	s_wait_xcnt 0x0
	v_and_b32_e32 v3, 0x7fffffff, v8
	s_mov_b32 s3, exec_lo
                                        ; implicit-def: $vgpr1
	s_delay_alu instid0(VALU_DEP_1)
	v_cmpx_gt_u32_e32 0x47800000, v3
	s_xor_b32 s3, exec_lo, s3
	s_cbranch_execz .LBB151_3785
; %bb.3780:
	s_mov_b32 s6, exec_lo
                                        ; implicit-def: $vgpr1
	v_cmpx_lt_u32_e32 0x387fffff, v3
	s_xor_b32 s6, exec_lo, s6
; %bb.3781:
	v_bfe_u32 v1, v8, 21, 1
	s_delay_alu instid0(VALU_DEP_1) | instskip(NEXT) | instid1(VALU_DEP_1)
	v_add3_u32 v1, v8, v1, 0x80fffff
	v_lshrrev_b32_e32 v1, 21, v1
; %bb.3782:
	s_and_not1_saveexec_b32 s6, s6
; %bb.3783:
	v_add_f32_e64 v1, 0x43000000, |v8|
; %bb.3784:
	s_or_b32 exec_lo, exec_lo, s6
                                        ; implicit-def: $vgpr3
.LBB151_3785:
	s_and_not1_saveexec_b32 s3, s3
; %bb.3786:
	v_mov_b32_e32 v1, 0x7f
	v_cmp_lt_u32_e32 vcc_lo, 0x7f800000, v3
	s_delay_alu instid0(VALU_DEP_2)
	v_cndmask_b32_e32 v1, 0x7c, v1, vcc_lo
; %bb.3787:
	s_or_b32 exec_lo, exec_lo, s3
	v_lshrrev_b32_e32 v3, 24, v8
	s_delay_alu instid0(VALU_DEP_1)
	v_and_or_b32 v1, 0x80, v3, v1
	global_store_b8 v[6:7], v1, off
.LBB151_3788:
	s_mov_b32 s3, 0
	s_mov_b32 s6, -1
.LBB151_3789:
	s_and_not1_b32 vcc_lo, exec_lo, s3
	s_mov_b32 s3, 0
	s_cbranch_vccnz .LBB151_3796
; %bb.3790:
	s_cmp_gt_i32 s2, 14
	s_mov_b32 s3, -1
	s_cbranch_scc0 .LBB151_3794
; %bb.3791:
	s_cmp_eq_u32 s2, 15
	s_mov_b32 s0, -1
	s_cbranch_scc0 .LBB151_3793
; %bb.3792:
	s_wait_xcnt 0x0
	v_bfe_u32 v1, v8, 16, 1
	v_cmp_o_f32_e32 vcc_lo, v8, v8
	s_mov_b32 s0, 0
	s_mov_b32 s6, -1
	s_delay_alu instid0(VALU_DEP_2) | instskip(NEXT) | instid1(VALU_DEP_1)
	v_add3_u32 v1, v8, v1, 0x7fff
	v_lshrrev_b32_e32 v1, 16, v1
	s_delay_alu instid0(VALU_DEP_1)
	v_cndmask_b32_e32 v1, 0x7fc0, v1, vcc_lo
	global_store_b16 v[6:7], v1, off
.LBB151_3793:
	s_mov_b32 s3, 0
.LBB151_3794:
	s_delay_alu instid0(SALU_CYCLE_1)
	s_and_b32 vcc_lo, exec_lo, s3
	s_mov_b32 s3, 0
	s_cbranch_vccz .LBB151_3796
; %bb.3795:
	s_cmp_lg_u32 s2, 11
	s_mov_b32 s3, -1
	s_cselect_b32 s0, -1, 0
.LBB151_3796:
	s_delay_alu instid0(SALU_CYCLE_1)
	s_and_b32 vcc_lo, exec_lo, s0
	s_cbranch_vccnz .LBB151_4204
; %bb.3797:
	s_and_not1_b32 vcc_lo, exec_lo, s3
	s_cbranch_vccnz .LBB151_3799
.LBB151_3798:
	v_cmp_neq_f32_e32 vcc_lo, 0, v8
	s_mov_b32 s6, -1
	s_wait_xcnt 0x0
	v_cndmask_b32_e64 v1, 0, 1, vcc_lo
	global_store_b8 v[6:7], v1, off
.LBB151_3799:
	s_mov_b32 s0, 0
	s_branch .LBB151_3801
.LBB151_3800:
	s_mov_b32 s0, -1
	s_mov_b32 s6, 0
.LBB151_3801:
	s_and_b32 vcc_lo, exec_lo, s0
	s_cbranch_vccz .LBB151_3840
; %bb.3802:
	s_and_b32 s0, 0xffff, s1
	s_mov_b32 s2, -1
	s_cmp_lt_i32 s0, 5
	s_cbranch_scc1 .LBB151_3823
; %bb.3803:
	s_cmp_lt_i32 s0, 8
	s_cbranch_scc1 .LBB151_3813
; %bb.3804:
	;; [unrolled: 3-line block ×3, first 2 shown]
	s_cmp_gt_i32 s0, 9
	s_cbranch_scc0 .LBB151_3807
; %bb.3806:
	s_wait_xcnt 0x0
	v_cvt_f64_f32_e32 v[28:29], v8
	v_mov_b32_e32 v30, 0
	s_mov_b32 s2, 0
	s_delay_alu instid0(VALU_DEP_1)
	v_mov_b32_e32 v31, v30
	global_store_b128 v[6:7], v[28:31], off
.LBB151_3807:
	s_and_not1_b32 vcc_lo, exec_lo, s2
	s_cbranch_vccnz .LBB151_3809
; %bb.3808:
	v_mov_b32_e32 v9, 0
	global_store_b64 v[6:7], v[8:9], off
.LBB151_3809:
	s_mov_b32 s2, 0
.LBB151_3810:
	s_delay_alu instid0(SALU_CYCLE_1)
	s_and_not1_b32 vcc_lo, exec_lo, s2
	s_cbranch_vccnz .LBB151_3812
; %bb.3811:
	s_wait_xcnt 0x0
	v_cvt_f16_f32_e32 v1, v8
	s_delay_alu instid0(VALU_DEP_1)
	v_and_b32_e32 v1, 0xffff, v1
	global_store_b32 v[6:7], v1, off
.LBB151_3812:
	s_mov_b32 s2, 0
.LBB151_3813:
	s_delay_alu instid0(SALU_CYCLE_1)
	s_and_not1_b32 vcc_lo, exec_lo, s2
	s_cbranch_vccnz .LBB151_3822
; %bb.3814:
	s_cmp_lt_i32 s0, 6
	s_mov_b32 s2, -1
	s_cbranch_scc1 .LBB151_3820
; %bb.3815:
	s_cmp_gt_i32 s0, 6
	s_cbranch_scc0 .LBB151_3817
; %bb.3816:
	s_wait_xcnt 0x0
	v_cvt_f64_f32_e32 v[28:29], v8
	s_mov_b32 s2, 0
	global_store_b64 v[6:7], v[28:29], off
.LBB151_3817:
	s_and_not1_b32 vcc_lo, exec_lo, s2
	s_cbranch_vccnz .LBB151_3819
; %bb.3818:
	global_store_b32 v[6:7], v8, off
.LBB151_3819:
	s_mov_b32 s2, 0
.LBB151_3820:
	s_delay_alu instid0(SALU_CYCLE_1)
	s_and_not1_b32 vcc_lo, exec_lo, s2
	s_cbranch_vccnz .LBB151_3822
; %bb.3821:
	s_wait_xcnt 0x0
	v_cvt_f16_f32_e32 v1, v8
	global_store_b16 v[6:7], v1, off
.LBB151_3822:
	s_mov_b32 s2, 0
.LBB151_3823:
	s_delay_alu instid0(SALU_CYCLE_1)
	s_and_not1_b32 vcc_lo, exec_lo, s2
	s_cbranch_vccnz .LBB151_3839
; %bb.3824:
	s_cmp_lt_i32 s0, 2
	s_mov_b32 s2, -1
	s_cbranch_scc1 .LBB151_3834
; %bb.3825:
	s_cmp_lt_i32 s0, 3
	s_cbranch_scc1 .LBB151_3831
; %bb.3826:
	s_cmp_gt_i32 s0, 3
	s_cbranch_scc0 .LBB151_3828
; %bb.3827:
	s_wait_xcnt 0x0
	v_trunc_f32_e32 v1, v8
	s_mov_b32 s2, 0
	s_delay_alu instid0(VALU_DEP_1) | instskip(SKIP_1) | instid1(VALU_DEP_2)
	v_mul_f32_e64 v3, 0x2f800000, |v1|
	v_ashrrev_i32_e32 v28, 31, v1
	v_floor_f32_e32 v3, v3
	s_delay_alu instid0(VALU_DEP_1) | instskip(SKIP_1) | instid1(VALU_DEP_4)
	v_fma_f32 v5, 0xcf800000, v3, |v1|
	v_cvt_u32_f32_e32 v1, v3
	v_mov_b32_e32 v29, v28
	s_delay_alu instid0(VALU_DEP_3) | instskip(NEXT) | instid1(VALU_DEP_3)
	v_cvt_u32_f32_e32 v3, v5
	v_xor_b32_e32 v31, v1, v28
	s_delay_alu instid0(VALU_DEP_2) | instskip(NEXT) | instid1(VALU_DEP_1)
	v_xor_b32_e32 v30, v3, v28
	v_sub_nc_u64_e32 v[28:29], v[30:31], v[28:29]
	global_store_b64 v[6:7], v[28:29], off
.LBB151_3828:
	s_and_not1_b32 vcc_lo, exec_lo, s2
	s_cbranch_vccnz .LBB151_3830
; %bb.3829:
	s_wait_xcnt 0x0
	v_cvt_i32_f32_e32 v1, v8
	global_store_b32 v[6:7], v1, off
.LBB151_3830:
	s_mov_b32 s2, 0
.LBB151_3831:
	s_delay_alu instid0(SALU_CYCLE_1)
	s_and_not1_b32 vcc_lo, exec_lo, s2
	s_cbranch_vccnz .LBB151_3833
; %bb.3832:
	s_wait_xcnt 0x0
	v_cvt_i32_f32_e32 v1, v8
	global_store_b16 v[6:7], v1, off
.LBB151_3833:
	s_mov_b32 s2, 0
.LBB151_3834:
	s_delay_alu instid0(SALU_CYCLE_1)
	s_and_not1_b32 vcc_lo, exec_lo, s2
	s_cbranch_vccnz .LBB151_3839
; %bb.3835:
	s_cmp_gt_i32 s0, 0
	s_mov_b32 s0, -1
	s_cbranch_scc0 .LBB151_3837
; %bb.3836:
	s_wait_xcnt 0x0
	v_cvt_i32_f32_e32 v1, v8
	s_mov_b32 s0, 0
	global_store_b8 v[6:7], v1, off
.LBB151_3837:
	s_and_not1_b32 vcc_lo, exec_lo, s0
	s_cbranch_vccnz .LBB151_3839
; %bb.3838:
	s_wait_xcnt 0x0
	v_trunc_f32_e32 v1, v8
	s_delay_alu instid0(VALU_DEP_1) | instskip(NEXT) | instid1(VALU_DEP_1)
	v_mul_f32_e64 v3, 0x2f800000, |v1|
	v_floor_f32_e32 v3, v3
	s_delay_alu instid0(VALU_DEP_1) | instskip(SKIP_1) | instid1(VALU_DEP_2)
	v_fma_f32 v3, 0xcf800000, v3, |v1|
	v_ashrrev_i32_e32 v1, 31, v1
	v_cvt_u32_f32_e32 v3, v3
	s_delay_alu instid0(VALU_DEP_1) | instskip(NEXT) | instid1(VALU_DEP_1)
	v_xor_b32_e32 v3, v3, v1
	v_sub_nc_u32_e32 v1, v3, v1
	global_store_b8 v[6:7], v1, off
.LBB151_3839:
	s_mov_b32 s6, -1
.LBB151_3840:
	s_delay_alu instid0(SALU_CYCLE_1)
	s_and_not1_b32 vcc_lo, exec_lo, s6
	s_cbranch_vccnz .LBB151_4155
; %bb.3841:
	s_wait_xcnt 0x0
	v_dual_max_num_f32 v1, v24, v24 :: v_dual_max_num_f32 v3, v26, v26
	v_cmp_u_f32_e32 vcc_lo, v22, v22
	v_max_num_f32_e32 v5, v22, v22
	s_and_b32 s2, 0xffff, s1
	s_delay_alu instid0(SALU_CYCLE_1) | instskip(NEXT) | instid1(VALU_DEP_1)
	s_cmp_lt_i32 s2, 11
	v_maxmin_num_f32 v1, v3, v1, v5
	s_delay_alu instid0(VALU_DEP_1) | instskip(SKIP_1) | instid1(VALU_DEP_2)
	v_cndmask_b32_e32 v1, v1, v22, vcc_lo
	v_cmp_u_f32_e32 vcc_lo, v24, v24
	v_dual_mov_b32 v5, 0 :: v_dual_cndmask_b32 v1, v1, v24, vcc_lo
	v_cmp_u_f32_e32 vcc_lo, v26, v26
	s_delay_alu instid0(VALU_DEP_2) | instskip(NEXT) | instid1(VALU_DEP_3)
	v_add_nc_u64_e32 v[4:5], s[4:5], v[4:5]
	v_cndmask_b32_e32 v6, v1, v26, vcc_lo
	s_cbranch_scc1 .LBB151_3919
; %bb.3842:
	s_mov_b32 s7, -1
	s_mov_b32 s3, 0
	s_cmp_gt_i32 s2, 25
	s_mov_b32 s6, 0
	s_mov_b32 s0, 0
	s_cbranch_scc0 .LBB151_3875
; %bb.3843:
	s_cmp_gt_i32 s2, 28
	s_cbranch_scc0 .LBB151_3858
; %bb.3844:
	s_cmp_gt_i32 s2, 43
	;; [unrolled: 3-line block ×3, first 2 shown]
	s_cbranch_scc0 .LBB151_3848
; %bb.3846:
	s_mov_b32 s0, -1
	s_mov_b32 s7, 0
	s_cmp_eq_u32 s2, 46
	s_cbranch_scc0 .LBB151_3848
; %bb.3847:
	v_bfe_u32 v1, v6, 16, 1
	v_cmp_o_f32_e32 vcc_lo, v6, v6
	s_mov_b32 s0, 0
	s_mov_b32 s6, -1
	s_delay_alu instid0(VALU_DEP_2) | instskip(NEXT) | instid1(VALU_DEP_1)
	v_add3_u32 v1, v6, v1, 0x7fff
	v_lshrrev_b32_e32 v1, 16, v1
	s_delay_alu instid0(VALU_DEP_1)
	v_cndmask_b32_e32 v1, 0x7fc0, v1, vcc_lo
	global_store_b32 v[4:5], v1, off
.LBB151_3848:
	s_and_b32 vcc_lo, exec_lo, s7
	s_cbranch_vccz .LBB151_3853
; %bb.3849:
	s_cmp_eq_u32 s2, 44
	s_mov_b32 s0, -1
	s_cbranch_scc0 .LBB151_3853
; %bb.3850:
	v_bfe_u32 v3, v6, 23, 8
	s_wait_xcnt 0x0
	v_mov_b32_e32 v1, 0xff
	s_mov_b32 s6, exec_lo
	s_delay_alu instid0(VALU_DEP_2)
	v_cmpx_ne_u32_e32 0xff, v3
	s_cbranch_execz .LBB151_3852
; %bb.3851:
	v_and_b32_e32 v1, 0x400000, v6
	v_and_or_b32 v3, 0x3fffff, v6, v3
	s_delay_alu instid0(VALU_DEP_2) | instskip(NEXT) | instid1(VALU_DEP_2)
	v_cmp_ne_u32_e32 vcc_lo, 0, v1
	v_cmp_ne_u32_e64 s0, 0, v3
	v_lshrrev_b32_e32 v1, 23, v6
	s_and_b32 s0, vcc_lo, s0
	s_delay_alu instid0(SALU_CYCLE_1) | instskip(NEXT) | instid1(VALU_DEP_1)
	v_cndmask_b32_e64 v3, 0, 1, s0
	v_add_nc_u32_e32 v1, v1, v3
.LBB151_3852:
	s_or_b32 exec_lo, exec_lo, s6
	s_mov_b32 s0, 0
	s_mov_b32 s6, -1
	global_store_b8 v[4:5], v1, off
.LBB151_3853:
	s_mov_b32 s7, 0
.LBB151_3854:
	s_delay_alu instid0(SALU_CYCLE_1)
	s_and_b32 vcc_lo, exec_lo, s7
	s_cbranch_vccz .LBB151_3857
; %bb.3855:
	s_cmp_eq_u32 s2, 29
	s_mov_b32 s0, -1
	s_cbranch_scc0 .LBB151_3857
; %bb.3856:
	s_wait_xcnt 0x0
	v_trunc_f32_e32 v1, v6
	s_mov_b32 s0, 0
	s_mov_b32 s6, -1
	s_delay_alu instid0(VALU_DEP_1) | instskip(NEXT) | instid1(VALU_DEP_1)
	v_mul_f32_e32 v3, 0x2f800000, v1
	v_floor_f32_e32 v3, v3
	s_delay_alu instid0(VALU_DEP_1) | instskip(SKIP_1) | instid1(VALU_DEP_2)
	v_fmamk_f32 v1, v3, 0xcf800000, v1
	v_cvt_u32_f32_e32 v9, v3
	v_cvt_u32_f32_e32 v8, v1
	global_store_b64 v[4:5], v[8:9], off
.LBB151_3857:
	s_mov_b32 s7, 0
.LBB151_3858:
	s_delay_alu instid0(SALU_CYCLE_1)
	s_and_b32 vcc_lo, exec_lo, s7
	s_cbranch_vccz .LBB151_3874
; %bb.3859:
	s_cmp_lt_i32 s2, 27
	s_mov_b32 s6, -1
	s_cbranch_scc1 .LBB151_3865
; %bb.3860:
	s_cmp_gt_i32 s2, 27
	s_cbranch_scc0 .LBB151_3862
; %bb.3861:
	s_wait_xcnt 0x0
	v_cvt_u32_f32_e32 v1, v6
	s_mov_b32 s6, 0
	global_store_b32 v[4:5], v1, off
.LBB151_3862:
	s_and_not1_b32 vcc_lo, exec_lo, s6
	s_cbranch_vccnz .LBB151_3864
; %bb.3863:
	s_wait_xcnt 0x0
	v_cvt_u32_f32_e32 v1, v6
	global_store_b16 v[4:5], v1, off
.LBB151_3864:
	s_mov_b32 s6, 0
.LBB151_3865:
	s_delay_alu instid0(SALU_CYCLE_1)
	s_and_not1_b32 vcc_lo, exec_lo, s6
	s_cbranch_vccnz .LBB151_3873
; %bb.3866:
	s_wait_xcnt 0x0
	v_and_b32_e32 v1, 0x7fffffff, v6
	v_mov_b32_e32 v3, 0x80
	s_mov_b32 s6, exec_lo
	s_delay_alu instid0(VALU_DEP_2)
	v_cmpx_gt_u32_e32 0x43800000, v1
	s_cbranch_execz .LBB151_3872
; %bb.3867:
	v_cmp_lt_u32_e32 vcc_lo, 0x3bffffff, v1
	s_mov_b32 s7, 0
                                        ; implicit-def: $vgpr1
	s_and_saveexec_b32 s8, vcc_lo
	s_delay_alu instid0(SALU_CYCLE_1)
	s_xor_b32 s8, exec_lo, s8
	s_cbranch_execz .LBB151_4207
; %bb.3868:
	v_bfe_u32 v1, v6, 20, 1
	s_mov_b32 s7, exec_lo
	s_delay_alu instid0(VALU_DEP_1) | instskip(NEXT) | instid1(VALU_DEP_1)
	v_add3_u32 v1, v6, v1, 0x487ffff
	v_lshrrev_b32_e32 v1, 20, v1
	s_and_not1_saveexec_b32 s8, s8
	s_cbranch_execnz .LBB151_4208
.LBB151_3869:
	s_or_b32 exec_lo, exec_lo, s8
	v_mov_b32_e32 v3, 0
	s_and_saveexec_b32 s8, s7
.LBB151_3870:
	v_lshrrev_b32_e32 v3, 24, v6
	s_delay_alu instid0(VALU_DEP_1)
	v_and_or_b32 v3, 0x80, v3, v1
.LBB151_3871:
	s_or_b32 exec_lo, exec_lo, s8
.LBB151_3872:
	s_delay_alu instid0(SALU_CYCLE_1)
	s_or_b32 exec_lo, exec_lo, s6
	global_store_b8 v[4:5], v3, off
.LBB151_3873:
	s_mov_b32 s6, -1
.LBB151_3874:
	s_mov_b32 s7, 0
.LBB151_3875:
	s_delay_alu instid0(SALU_CYCLE_1)
	s_and_b32 vcc_lo, exec_lo, s7
	s_cbranch_vccz .LBB151_3915
; %bb.3876:
	s_cmp_gt_i32 s2, 22
	s_mov_b32 s3, -1
	s_cbranch_scc0 .LBB151_3908
; %bb.3877:
	s_cmp_lt_i32 s2, 24
	s_cbranch_scc1 .LBB151_3897
; %bb.3878:
	s_cmp_gt_i32 s2, 24
	s_cbranch_scc0 .LBB151_3886
; %bb.3879:
	s_wait_xcnt 0x0
	v_and_b32_e32 v1, 0x7fffffff, v6
	v_mov_b32_e32 v3, 0x80
	s_mov_b32 s3, exec_lo
	s_delay_alu instid0(VALU_DEP_2)
	v_cmpx_gt_u32_e32 0x47800000, v1
	s_cbranch_execz .LBB151_3885
; %bb.3880:
	v_cmp_lt_u32_e32 vcc_lo, 0x37ffffff, v1
	s_mov_b32 s6, 0
                                        ; implicit-def: $vgpr1
	s_and_saveexec_b32 s7, vcc_lo
	s_delay_alu instid0(SALU_CYCLE_1)
	s_xor_b32 s7, exec_lo, s7
	s_cbranch_execz .LBB151_4210
; %bb.3881:
	v_bfe_u32 v1, v6, 21, 1
	s_mov_b32 s6, exec_lo
	s_delay_alu instid0(VALU_DEP_1) | instskip(NEXT) | instid1(VALU_DEP_1)
	v_add3_u32 v1, v6, v1, 0x88fffff
	v_lshrrev_b32_e32 v1, 21, v1
	s_and_not1_saveexec_b32 s7, s7
	s_cbranch_execnz .LBB151_4211
.LBB151_3882:
	s_or_b32 exec_lo, exec_lo, s7
	v_mov_b32_e32 v3, 0
	s_and_saveexec_b32 s7, s6
.LBB151_3883:
	v_lshrrev_b32_e32 v3, 24, v6
	s_delay_alu instid0(VALU_DEP_1)
	v_and_or_b32 v3, 0x80, v3, v1
.LBB151_3884:
	s_or_b32 exec_lo, exec_lo, s7
.LBB151_3885:
	s_delay_alu instid0(SALU_CYCLE_1)
	s_or_b32 exec_lo, exec_lo, s3
	s_mov_b32 s3, 0
	global_store_b8 v[4:5], v3, off
.LBB151_3886:
	s_and_b32 vcc_lo, exec_lo, s3
	s_cbranch_vccz .LBB151_3896
; %bb.3887:
	s_wait_xcnt 0x0
	v_and_b32_e32 v3, 0x7fffffff, v6
	s_mov_b32 s3, exec_lo
                                        ; implicit-def: $vgpr1
	s_delay_alu instid0(VALU_DEP_1)
	v_cmpx_gt_u32_e32 0x43f00000, v3
	s_xor_b32 s3, exec_lo, s3
	s_cbranch_execz .LBB151_3893
; %bb.3888:
	s_mov_b32 s6, exec_lo
                                        ; implicit-def: $vgpr1
	v_cmpx_lt_u32_e32 0x3c7fffff, v3
	s_xor_b32 s6, exec_lo, s6
; %bb.3889:
	v_bfe_u32 v1, v6, 20, 1
	s_delay_alu instid0(VALU_DEP_1) | instskip(NEXT) | instid1(VALU_DEP_1)
	v_add3_u32 v1, v6, v1, 0x407ffff
	v_and_b32_e32 v3, 0xff00000, v1
	v_lshrrev_b32_e32 v1, 20, v1
	s_delay_alu instid0(VALU_DEP_2) | instskip(NEXT) | instid1(VALU_DEP_2)
	v_cmp_ne_u32_e32 vcc_lo, 0x7f00000, v3
	v_cndmask_b32_e32 v1, 0x7e, v1, vcc_lo
; %bb.3890:
	s_and_not1_saveexec_b32 s6, s6
; %bb.3891:
	v_add_f32_e64 v1, 0x46800000, |v6|
; %bb.3892:
	s_or_b32 exec_lo, exec_lo, s6
                                        ; implicit-def: $vgpr3
.LBB151_3893:
	s_and_not1_saveexec_b32 s3, s3
; %bb.3894:
	v_mov_b32_e32 v1, 0x7f
	v_cmp_lt_u32_e32 vcc_lo, 0x7f800000, v3
	s_delay_alu instid0(VALU_DEP_2)
	v_cndmask_b32_e32 v1, 0x7e, v1, vcc_lo
; %bb.3895:
	s_or_b32 exec_lo, exec_lo, s3
	v_lshrrev_b32_e32 v3, 24, v6
	s_delay_alu instid0(VALU_DEP_1)
	v_and_or_b32 v1, 0x80, v3, v1
	global_store_b8 v[4:5], v1, off
.LBB151_3896:
	s_mov_b32 s3, 0
.LBB151_3897:
	s_delay_alu instid0(SALU_CYCLE_1)
	s_and_not1_b32 vcc_lo, exec_lo, s3
	s_cbranch_vccnz .LBB151_3907
; %bb.3898:
	s_wait_xcnt 0x0
	v_and_b32_e32 v3, 0x7fffffff, v6
	s_mov_b32 s3, exec_lo
                                        ; implicit-def: $vgpr1
	s_delay_alu instid0(VALU_DEP_1)
	v_cmpx_gt_u32_e32 0x47800000, v3
	s_xor_b32 s3, exec_lo, s3
	s_cbranch_execz .LBB151_3904
; %bb.3899:
	s_mov_b32 s6, exec_lo
                                        ; implicit-def: $vgpr1
	v_cmpx_lt_u32_e32 0x387fffff, v3
	s_xor_b32 s6, exec_lo, s6
; %bb.3900:
	v_bfe_u32 v1, v6, 21, 1
	s_delay_alu instid0(VALU_DEP_1) | instskip(NEXT) | instid1(VALU_DEP_1)
	v_add3_u32 v1, v6, v1, 0x80fffff
	v_lshrrev_b32_e32 v1, 21, v1
; %bb.3901:
	s_and_not1_saveexec_b32 s6, s6
; %bb.3902:
	v_add_f32_e64 v1, 0x43000000, |v6|
; %bb.3903:
	s_or_b32 exec_lo, exec_lo, s6
                                        ; implicit-def: $vgpr3
.LBB151_3904:
	s_and_not1_saveexec_b32 s3, s3
; %bb.3905:
	v_mov_b32_e32 v1, 0x7f
	v_cmp_lt_u32_e32 vcc_lo, 0x7f800000, v3
	s_delay_alu instid0(VALU_DEP_2)
	v_cndmask_b32_e32 v1, 0x7c, v1, vcc_lo
; %bb.3906:
	s_or_b32 exec_lo, exec_lo, s3
	v_lshrrev_b32_e32 v3, 24, v6
	s_delay_alu instid0(VALU_DEP_1)
	v_and_or_b32 v1, 0x80, v3, v1
	global_store_b8 v[4:5], v1, off
.LBB151_3907:
	s_mov_b32 s3, 0
	s_mov_b32 s6, -1
.LBB151_3908:
	s_and_not1_b32 vcc_lo, exec_lo, s3
	s_mov_b32 s3, 0
	s_cbranch_vccnz .LBB151_3915
; %bb.3909:
	s_cmp_gt_i32 s2, 14
	s_mov_b32 s3, -1
	s_cbranch_scc0 .LBB151_3913
; %bb.3910:
	s_cmp_eq_u32 s2, 15
	s_mov_b32 s0, -1
	s_cbranch_scc0 .LBB151_3912
; %bb.3911:
	s_wait_xcnt 0x0
	v_bfe_u32 v1, v6, 16, 1
	v_cmp_o_f32_e32 vcc_lo, v6, v6
	s_mov_b32 s0, 0
	s_mov_b32 s6, -1
	s_delay_alu instid0(VALU_DEP_2) | instskip(NEXT) | instid1(VALU_DEP_1)
	v_add3_u32 v1, v6, v1, 0x7fff
	v_lshrrev_b32_e32 v1, 16, v1
	s_delay_alu instid0(VALU_DEP_1)
	v_cndmask_b32_e32 v1, 0x7fc0, v1, vcc_lo
	global_store_b16 v[4:5], v1, off
.LBB151_3912:
	s_mov_b32 s3, 0
.LBB151_3913:
	s_delay_alu instid0(SALU_CYCLE_1)
	s_and_b32 vcc_lo, exec_lo, s3
	s_mov_b32 s3, 0
	s_cbranch_vccz .LBB151_3915
; %bb.3914:
	s_cmp_lg_u32 s2, 11
	s_mov_b32 s3, -1
	s_cselect_b32 s0, -1, 0
.LBB151_3915:
	s_delay_alu instid0(SALU_CYCLE_1)
	s_and_b32 vcc_lo, exec_lo, s0
	s_cbranch_vccnz .LBB151_4209
; %bb.3916:
	s_and_not1_b32 vcc_lo, exec_lo, s3
	s_cbranch_vccnz .LBB151_3918
.LBB151_3917:
	v_cmp_neq_f32_e32 vcc_lo, 0, v6
	s_mov_b32 s6, -1
	s_wait_xcnt 0x0
	v_cndmask_b32_e64 v1, 0, 1, vcc_lo
	global_store_b8 v[4:5], v1, off
.LBB151_3918:
	s_mov_b32 s0, 0
	s_branch .LBB151_3920
.LBB151_3919:
	s_mov_b32 s0, -1
	s_mov_b32 s6, 0
.LBB151_3920:
	s_and_b32 vcc_lo, exec_lo, s0
	s_cbranch_vccz .LBB151_3959
; %bb.3921:
	s_cmp_lt_i32 s2, 5
	s_mov_b32 s0, -1
	s_cbranch_scc1 .LBB151_3942
; %bb.3922:
	s_cmp_lt_i32 s2, 8
	s_cbranch_scc1 .LBB151_3932
; %bb.3923:
	s_cmp_lt_i32 s2, 9
	s_cbranch_scc1 .LBB151_3929
; %bb.3924:
	s_cmp_gt_i32 s2, 9
	s_cbranch_scc0 .LBB151_3926
; %bb.3925:
	v_cvt_f64_f32_e32 v[22:23], v6
	v_mov_b32_e32 v24, 0
	s_mov_b32 s0, 0
	s_delay_alu instid0(VALU_DEP_1)
	v_mov_b32_e32 v25, v24
	global_store_b128 v[4:5], v[22:25], off
.LBB151_3926:
	s_and_not1_b32 vcc_lo, exec_lo, s0
	s_cbranch_vccnz .LBB151_3928
; %bb.3927:
	v_mov_b32_e32 v7, 0
	global_store_b64 v[4:5], v[6:7], off
.LBB151_3928:
	s_mov_b32 s0, 0
.LBB151_3929:
	s_delay_alu instid0(SALU_CYCLE_1)
	s_and_not1_b32 vcc_lo, exec_lo, s0
	s_cbranch_vccnz .LBB151_3931
; %bb.3930:
	s_wait_xcnt 0x0
	v_cvt_f16_f32_e32 v1, v6
	s_delay_alu instid0(VALU_DEP_1)
	v_and_b32_e32 v1, 0xffff, v1
	global_store_b32 v[4:5], v1, off
.LBB151_3931:
	s_mov_b32 s0, 0
.LBB151_3932:
	s_delay_alu instid0(SALU_CYCLE_1)
	s_and_not1_b32 vcc_lo, exec_lo, s0
	s_cbranch_vccnz .LBB151_3941
; %bb.3933:
	s_cmp_lt_i32 s2, 6
	s_mov_b32 s0, -1
	s_cbranch_scc1 .LBB151_3939
; %bb.3934:
	s_cmp_gt_i32 s2, 6
	s_cbranch_scc0 .LBB151_3936
; %bb.3935:
	s_wait_xcnt 0x0
	v_cvt_f64_f32_e32 v[8:9], v6
	s_mov_b32 s0, 0
	global_store_b64 v[4:5], v[8:9], off
.LBB151_3936:
	s_and_not1_b32 vcc_lo, exec_lo, s0
	s_cbranch_vccnz .LBB151_3938
; %bb.3937:
	global_store_b32 v[4:5], v6, off
.LBB151_3938:
	s_mov_b32 s0, 0
.LBB151_3939:
	s_delay_alu instid0(SALU_CYCLE_1)
	s_and_not1_b32 vcc_lo, exec_lo, s0
	s_cbranch_vccnz .LBB151_3941
; %bb.3940:
	s_wait_xcnt 0x0
	v_cvt_f16_f32_e32 v1, v6
	global_store_b16 v[4:5], v1, off
.LBB151_3941:
	s_mov_b32 s0, 0
.LBB151_3942:
	s_delay_alu instid0(SALU_CYCLE_1)
	s_and_not1_b32 vcc_lo, exec_lo, s0
	s_cbranch_vccnz .LBB151_3958
; %bb.3943:
	s_cmp_lt_i32 s2, 2
	s_mov_b32 s0, -1
	s_cbranch_scc1 .LBB151_3953
; %bb.3944:
	s_cmp_lt_i32 s2, 3
	s_cbranch_scc1 .LBB151_3950
; %bb.3945:
	s_cmp_gt_i32 s2, 3
	s_cbranch_scc0 .LBB151_3947
; %bb.3946:
	s_wait_xcnt 0x0
	v_trunc_f32_e32 v1, v6
	s_mov_b32 s0, 0
	s_delay_alu instid0(VALU_DEP_1) | instskip(SKIP_1) | instid1(VALU_DEP_2)
	v_mul_f32_e64 v3, 0x2f800000, |v1|
	v_ashrrev_i32_e32 v8, 31, v1
	v_floor_f32_e32 v3, v3
	s_delay_alu instid0(VALU_DEP_1) | instskip(SKIP_1) | instid1(VALU_DEP_4)
	v_fma_f32 v7, 0xcf800000, v3, |v1|
	v_cvt_u32_f32_e32 v1, v3
	v_mov_b32_e32 v9, v8
	s_delay_alu instid0(VALU_DEP_3) | instskip(NEXT) | instid1(VALU_DEP_3)
	v_cvt_u32_f32_e32 v3, v7
	v_xor_b32_e32 v23, v1, v8
	s_delay_alu instid0(VALU_DEP_2) | instskip(NEXT) | instid1(VALU_DEP_1)
	v_xor_b32_e32 v22, v3, v8
	v_sub_nc_u64_e32 v[8:9], v[22:23], v[8:9]
	global_store_b64 v[4:5], v[8:9], off
.LBB151_3947:
	s_and_not1_b32 vcc_lo, exec_lo, s0
	s_cbranch_vccnz .LBB151_3949
; %bb.3948:
	s_wait_xcnt 0x0
	v_cvt_i32_f32_e32 v1, v6
	global_store_b32 v[4:5], v1, off
.LBB151_3949:
	s_mov_b32 s0, 0
.LBB151_3950:
	s_delay_alu instid0(SALU_CYCLE_1)
	s_and_not1_b32 vcc_lo, exec_lo, s0
	s_cbranch_vccnz .LBB151_3952
; %bb.3951:
	s_wait_xcnt 0x0
	v_cvt_i32_f32_e32 v1, v6
	global_store_b16 v[4:5], v1, off
.LBB151_3952:
	s_mov_b32 s0, 0
.LBB151_3953:
	s_delay_alu instid0(SALU_CYCLE_1)
	s_and_not1_b32 vcc_lo, exec_lo, s0
	s_cbranch_vccnz .LBB151_3958
; %bb.3954:
	s_cmp_gt_i32 s2, 0
	s_mov_b32 s0, -1
	s_cbranch_scc0 .LBB151_3956
; %bb.3955:
	s_wait_xcnt 0x0
	v_cvt_i32_f32_e32 v1, v6
	s_mov_b32 s0, 0
	global_store_b8 v[4:5], v1, off
.LBB151_3956:
	s_and_not1_b32 vcc_lo, exec_lo, s0
	s_cbranch_vccnz .LBB151_3958
; %bb.3957:
	s_wait_xcnt 0x0
	v_trunc_f32_e32 v1, v6
	s_delay_alu instid0(VALU_DEP_1) | instskip(NEXT) | instid1(VALU_DEP_1)
	v_mul_f32_e64 v3, 0x2f800000, |v1|
	v_floor_f32_e32 v3, v3
	s_delay_alu instid0(VALU_DEP_1) | instskip(SKIP_1) | instid1(VALU_DEP_2)
	v_fma_f32 v3, 0xcf800000, v3, |v1|
	v_ashrrev_i32_e32 v1, 31, v1
	v_cvt_u32_f32_e32 v3, v3
	s_delay_alu instid0(VALU_DEP_1) | instskip(NEXT) | instid1(VALU_DEP_1)
	v_xor_b32_e32 v3, v3, v1
	v_sub_nc_u32_e32 v1, v3, v1
	global_store_b8 v[4:5], v1, off
.LBB151_3958:
	s_mov_b32 s6, -1
.LBB151_3959:
	s_delay_alu instid0(SALU_CYCLE_1)
	s_and_not1_b32 vcc_lo, exec_lo, s6
	s_cbranch_vccnz .LBB151_4155
; %bb.3960:
	s_wait_xcnt 0x0
	v_dual_max_num_f32 v1, v18, v18 :: v_dual_max_num_f32 v3, v20, v20
	v_cmp_u_f32_e32 vcc_lo, v16, v16
	v_max_num_f32_e32 v4, v16, v16
	s_cmp_lt_i32 s2, 11
	s_delay_alu instid0(VALU_DEP_1) | instskip(NEXT) | instid1(VALU_DEP_1)
	v_maxmin_num_f32 v1, v3, v1, v4
	v_cndmask_b32_e32 v1, v1, v16, vcc_lo
	v_cmp_u_f32_e32 vcc_lo, v18, v18
	s_delay_alu instid0(VALU_DEP_2) | instskip(SKIP_1) | instid1(VALU_DEP_2)
	v_dual_mov_b32 v3, 0 :: v_dual_cndmask_b32 v1, v1, v18, vcc_lo
	v_cmp_u_f32_e32 vcc_lo, v20, v20
	v_add_nc_u64_e32 v[2:3], s[4:5], v[2:3]
	s_delay_alu instid0(VALU_DEP_3)
	v_cndmask_b32_e32 v4, v1, v20, vcc_lo
	s_cbranch_scc1 .LBB151_4038
; %bb.3961:
	s_mov_b32 s7, -1
	s_mov_b32 s3, 0
	s_cmp_gt_i32 s2, 25
	s_mov_b32 s6, 0
	s_mov_b32 s0, 0
	s_cbranch_scc0 .LBB151_3994
; %bb.3962:
	s_cmp_gt_i32 s2, 28
	s_cbranch_scc0 .LBB151_3977
; %bb.3963:
	s_cmp_gt_i32 s2, 43
	;; [unrolled: 3-line block ×3, first 2 shown]
	s_cbranch_scc0 .LBB151_3967
; %bb.3965:
	s_mov_b32 s0, -1
	s_mov_b32 s7, 0
	s_cmp_eq_u32 s2, 46
	s_cbranch_scc0 .LBB151_3967
; %bb.3966:
	v_bfe_u32 v1, v4, 16, 1
	v_cmp_o_f32_e32 vcc_lo, v4, v4
	s_mov_b32 s0, 0
	s_mov_b32 s6, -1
	s_delay_alu instid0(VALU_DEP_2) | instskip(NEXT) | instid1(VALU_DEP_1)
	v_add3_u32 v1, v4, v1, 0x7fff
	v_lshrrev_b32_e32 v1, 16, v1
	s_delay_alu instid0(VALU_DEP_1)
	v_cndmask_b32_e32 v1, 0x7fc0, v1, vcc_lo
	global_store_b32 v[2:3], v1, off
.LBB151_3967:
	s_and_b32 vcc_lo, exec_lo, s7
	s_cbranch_vccz .LBB151_3972
; %bb.3968:
	s_cmp_eq_u32 s2, 44
	s_mov_b32 s0, -1
	s_cbranch_scc0 .LBB151_3972
; %bb.3969:
	v_bfe_u32 v5, v4, 23, 8
	s_wait_xcnt 0x0
	v_mov_b32_e32 v1, 0xff
	s_mov_b32 s6, exec_lo
	s_delay_alu instid0(VALU_DEP_2)
	v_cmpx_ne_u32_e32 0xff, v5
	s_cbranch_execz .LBB151_3971
; %bb.3970:
	v_and_b32_e32 v1, 0x400000, v4
	v_and_or_b32 v5, 0x3fffff, v4, v5
	s_delay_alu instid0(VALU_DEP_2) | instskip(NEXT) | instid1(VALU_DEP_2)
	v_cmp_ne_u32_e32 vcc_lo, 0, v1
	v_cmp_ne_u32_e64 s0, 0, v5
	v_lshrrev_b32_e32 v1, 23, v4
	s_and_b32 s0, vcc_lo, s0
	s_delay_alu instid0(SALU_CYCLE_1) | instskip(NEXT) | instid1(VALU_DEP_1)
	v_cndmask_b32_e64 v5, 0, 1, s0
	v_add_nc_u32_e32 v1, v1, v5
.LBB151_3971:
	s_or_b32 exec_lo, exec_lo, s6
	s_mov_b32 s0, 0
	s_mov_b32 s6, -1
	global_store_b8 v[2:3], v1, off
.LBB151_3972:
	s_mov_b32 s7, 0
.LBB151_3973:
	s_delay_alu instid0(SALU_CYCLE_1)
	s_and_b32 vcc_lo, exec_lo, s7
	s_cbranch_vccz .LBB151_3976
; %bb.3974:
	s_cmp_eq_u32 s2, 29
	s_mov_b32 s0, -1
	s_cbranch_scc0 .LBB151_3976
; %bb.3975:
	s_wait_xcnt 0x0
	v_trunc_f32_e32 v1, v4
	s_mov_b32 s0, 0
	s_mov_b32 s6, -1
	s_delay_alu instid0(VALU_DEP_1) | instskip(NEXT) | instid1(VALU_DEP_1)
	v_mul_f32_e32 v5, 0x2f800000, v1
	v_floor_f32_e32 v5, v5
	s_delay_alu instid0(VALU_DEP_1) | instskip(SKIP_1) | instid1(VALU_DEP_2)
	v_fmamk_f32 v1, v5, 0xcf800000, v1
	v_cvt_u32_f32_e32 v7, v5
	v_cvt_u32_f32_e32 v6, v1
	global_store_b64 v[2:3], v[6:7], off
.LBB151_3976:
	s_mov_b32 s7, 0
.LBB151_3977:
	s_delay_alu instid0(SALU_CYCLE_1)
	s_and_b32 vcc_lo, exec_lo, s7
	s_cbranch_vccz .LBB151_3993
; %bb.3978:
	s_cmp_lt_i32 s2, 27
	s_mov_b32 s6, -1
	s_cbranch_scc1 .LBB151_3984
; %bb.3979:
	s_cmp_gt_i32 s2, 27
	s_cbranch_scc0 .LBB151_3981
; %bb.3980:
	s_wait_xcnt 0x0
	v_cvt_u32_f32_e32 v1, v4
	s_mov_b32 s6, 0
	global_store_b32 v[2:3], v1, off
.LBB151_3981:
	s_and_not1_b32 vcc_lo, exec_lo, s6
	s_cbranch_vccnz .LBB151_3983
; %bb.3982:
	s_wait_xcnt 0x0
	v_cvt_u32_f32_e32 v1, v4
	global_store_b16 v[2:3], v1, off
.LBB151_3983:
	s_mov_b32 s6, 0
.LBB151_3984:
	s_delay_alu instid0(SALU_CYCLE_1)
	s_and_not1_b32 vcc_lo, exec_lo, s6
	s_cbranch_vccnz .LBB151_3992
; %bb.3985:
	s_wait_xcnt 0x0
	v_and_b32_e32 v1, 0x7fffffff, v4
	v_mov_b32_e32 v5, 0x80
	s_mov_b32 s6, exec_lo
	s_delay_alu instid0(VALU_DEP_2)
	v_cmpx_gt_u32_e32 0x43800000, v1
	s_cbranch_execz .LBB151_3991
; %bb.3986:
	v_cmp_lt_u32_e32 vcc_lo, 0x3bffffff, v1
	s_mov_b32 s7, 0
                                        ; implicit-def: $vgpr1
	s_and_saveexec_b32 s8, vcc_lo
	s_delay_alu instid0(SALU_CYCLE_1)
	s_xor_b32 s8, exec_lo, s8
	s_cbranch_execz .LBB151_4212
; %bb.3987:
	v_bfe_u32 v1, v4, 20, 1
	s_mov_b32 s7, exec_lo
	s_delay_alu instid0(VALU_DEP_1) | instskip(NEXT) | instid1(VALU_DEP_1)
	v_add3_u32 v1, v4, v1, 0x487ffff
	v_lshrrev_b32_e32 v1, 20, v1
	s_and_not1_saveexec_b32 s8, s8
	s_cbranch_execnz .LBB151_4213
.LBB151_3988:
	s_or_b32 exec_lo, exec_lo, s8
	v_mov_b32_e32 v5, 0
	s_and_saveexec_b32 s8, s7
.LBB151_3989:
	v_lshrrev_b32_e32 v5, 24, v4
	s_delay_alu instid0(VALU_DEP_1)
	v_and_or_b32 v5, 0x80, v5, v1
.LBB151_3990:
	s_or_b32 exec_lo, exec_lo, s8
.LBB151_3991:
	s_delay_alu instid0(SALU_CYCLE_1)
	s_or_b32 exec_lo, exec_lo, s6
	global_store_b8 v[2:3], v5, off
.LBB151_3992:
	s_mov_b32 s6, -1
.LBB151_3993:
	s_mov_b32 s7, 0
.LBB151_3994:
	s_delay_alu instid0(SALU_CYCLE_1)
	s_and_b32 vcc_lo, exec_lo, s7
	s_cbranch_vccz .LBB151_4034
; %bb.3995:
	s_cmp_gt_i32 s2, 22
	s_mov_b32 s3, -1
	s_cbranch_scc0 .LBB151_4027
; %bb.3996:
	s_cmp_lt_i32 s2, 24
	s_cbranch_scc1 .LBB151_4016
; %bb.3997:
	s_cmp_gt_i32 s2, 24
	s_cbranch_scc0 .LBB151_4005
; %bb.3998:
	s_wait_xcnt 0x0
	v_and_b32_e32 v1, 0x7fffffff, v4
	v_mov_b32_e32 v5, 0x80
	s_mov_b32 s3, exec_lo
	s_delay_alu instid0(VALU_DEP_2)
	v_cmpx_gt_u32_e32 0x47800000, v1
	s_cbranch_execz .LBB151_4004
; %bb.3999:
	v_cmp_lt_u32_e32 vcc_lo, 0x37ffffff, v1
	s_mov_b32 s6, 0
                                        ; implicit-def: $vgpr1
	s_and_saveexec_b32 s7, vcc_lo
	s_delay_alu instid0(SALU_CYCLE_1)
	s_xor_b32 s7, exec_lo, s7
	s_cbranch_execz .LBB151_4215
; %bb.4000:
	v_bfe_u32 v1, v4, 21, 1
	s_mov_b32 s6, exec_lo
	s_delay_alu instid0(VALU_DEP_1) | instskip(NEXT) | instid1(VALU_DEP_1)
	v_add3_u32 v1, v4, v1, 0x88fffff
	v_lshrrev_b32_e32 v1, 21, v1
	s_and_not1_saveexec_b32 s7, s7
	s_cbranch_execnz .LBB151_4216
.LBB151_4001:
	s_or_b32 exec_lo, exec_lo, s7
	v_mov_b32_e32 v5, 0
	s_and_saveexec_b32 s7, s6
.LBB151_4002:
	v_lshrrev_b32_e32 v5, 24, v4
	s_delay_alu instid0(VALU_DEP_1)
	v_and_or_b32 v5, 0x80, v5, v1
.LBB151_4003:
	s_or_b32 exec_lo, exec_lo, s7
.LBB151_4004:
	s_delay_alu instid0(SALU_CYCLE_1)
	s_or_b32 exec_lo, exec_lo, s3
	s_mov_b32 s3, 0
	global_store_b8 v[2:3], v5, off
.LBB151_4005:
	s_and_b32 vcc_lo, exec_lo, s3
	s_cbranch_vccz .LBB151_4015
; %bb.4006:
	s_wait_xcnt 0x0
	v_and_b32_e32 v5, 0x7fffffff, v4
	s_mov_b32 s3, exec_lo
                                        ; implicit-def: $vgpr1
	s_delay_alu instid0(VALU_DEP_1)
	v_cmpx_gt_u32_e32 0x43f00000, v5
	s_xor_b32 s3, exec_lo, s3
	s_cbranch_execz .LBB151_4012
; %bb.4007:
	s_mov_b32 s6, exec_lo
                                        ; implicit-def: $vgpr1
	v_cmpx_lt_u32_e32 0x3c7fffff, v5
	s_xor_b32 s6, exec_lo, s6
; %bb.4008:
	v_bfe_u32 v1, v4, 20, 1
	s_delay_alu instid0(VALU_DEP_1) | instskip(NEXT) | instid1(VALU_DEP_1)
	v_add3_u32 v1, v4, v1, 0x407ffff
	v_and_b32_e32 v5, 0xff00000, v1
	v_lshrrev_b32_e32 v1, 20, v1
	s_delay_alu instid0(VALU_DEP_2) | instskip(NEXT) | instid1(VALU_DEP_2)
	v_cmp_ne_u32_e32 vcc_lo, 0x7f00000, v5
	v_cndmask_b32_e32 v1, 0x7e, v1, vcc_lo
; %bb.4009:
	s_and_not1_saveexec_b32 s6, s6
; %bb.4010:
	v_add_f32_e64 v1, 0x46800000, |v4|
; %bb.4011:
	s_or_b32 exec_lo, exec_lo, s6
                                        ; implicit-def: $vgpr5
.LBB151_4012:
	s_and_not1_saveexec_b32 s3, s3
; %bb.4013:
	v_mov_b32_e32 v1, 0x7f
	v_cmp_lt_u32_e32 vcc_lo, 0x7f800000, v5
	s_delay_alu instid0(VALU_DEP_2)
	v_cndmask_b32_e32 v1, 0x7e, v1, vcc_lo
; %bb.4014:
	s_or_b32 exec_lo, exec_lo, s3
	v_lshrrev_b32_e32 v5, 24, v4
	s_delay_alu instid0(VALU_DEP_1)
	v_and_or_b32 v1, 0x80, v5, v1
	global_store_b8 v[2:3], v1, off
.LBB151_4015:
	s_mov_b32 s3, 0
.LBB151_4016:
	s_delay_alu instid0(SALU_CYCLE_1)
	s_and_not1_b32 vcc_lo, exec_lo, s3
	s_cbranch_vccnz .LBB151_4026
; %bb.4017:
	s_wait_xcnt 0x0
	v_and_b32_e32 v5, 0x7fffffff, v4
	s_mov_b32 s3, exec_lo
                                        ; implicit-def: $vgpr1
	s_delay_alu instid0(VALU_DEP_1)
	v_cmpx_gt_u32_e32 0x47800000, v5
	s_xor_b32 s3, exec_lo, s3
	s_cbranch_execz .LBB151_4023
; %bb.4018:
	s_mov_b32 s6, exec_lo
                                        ; implicit-def: $vgpr1
	v_cmpx_lt_u32_e32 0x387fffff, v5
	s_xor_b32 s6, exec_lo, s6
; %bb.4019:
	v_bfe_u32 v1, v4, 21, 1
	s_delay_alu instid0(VALU_DEP_1) | instskip(NEXT) | instid1(VALU_DEP_1)
	v_add3_u32 v1, v4, v1, 0x80fffff
	v_lshrrev_b32_e32 v1, 21, v1
; %bb.4020:
	s_and_not1_saveexec_b32 s6, s6
; %bb.4021:
	v_add_f32_e64 v1, 0x43000000, |v4|
; %bb.4022:
	s_or_b32 exec_lo, exec_lo, s6
                                        ; implicit-def: $vgpr5
.LBB151_4023:
	s_and_not1_saveexec_b32 s3, s3
; %bb.4024:
	v_mov_b32_e32 v1, 0x7f
	v_cmp_lt_u32_e32 vcc_lo, 0x7f800000, v5
	s_delay_alu instid0(VALU_DEP_2)
	v_cndmask_b32_e32 v1, 0x7c, v1, vcc_lo
; %bb.4025:
	s_or_b32 exec_lo, exec_lo, s3
	v_lshrrev_b32_e32 v5, 24, v4
	s_delay_alu instid0(VALU_DEP_1)
	v_and_or_b32 v1, 0x80, v5, v1
	global_store_b8 v[2:3], v1, off
.LBB151_4026:
	s_mov_b32 s3, 0
	s_mov_b32 s6, -1
.LBB151_4027:
	s_and_not1_b32 vcc_lo, exec_lo, s3
	s_mov_b32 s3, 0
	s_cbranch_vccnz .LBB151_4034
; %bb.4028:
	s_cmp_gt_i32 s2, 14
	s_mov_b32 s3, -1
	s_cbranch_scc0 .LBB151_4032
; %bb.4029:
	s_cmp_eq_u32 s2, 15
	s_mov_b32 s0, -1
	s_cbranch_scc0 .LBB151_4031
; %bb.4030:
	s_wait_xcnt 0x0
	v_bfe_u32 v1, v4, 16, 1
	v_cmp_o_f32_e32 vcc_lo, v4, v4
	s_mov_b32 s0, 0
	s_mov_b32 s6, -1
	s_delay_alu instid0(VALU_DEP_2) | instskip(NEXT) | instid1(VALU_DEP_1)
	v_add3_u32 v1, v4, v1, 0x7fff
	v_lshrrev_b32_e32 v1, 16, v1
	s_delay_alu instid0(VALU_DEP_1)
	v_cndmask_b32_e32 v1, 0x7fc0, v1, vcc_lo
	global_store_b16 v[2:3], v1, off
.LBB151_4031:
	s_mov_b32 s3, 0
.LBB151_4032:
	s_delay_alu instid0(SALU_CYCLE_1)
	s_and_b32 vcc_lo, exec_lo, s3
	s_mov_b32 s3, 0
	s_cbranch_vccz .LBB151_4034
; %bb.4033:
	s_cmp_lg_u32 s2, 11
	s_mov_b32 s3, -1
	s_cselect_b32 s0, -1, 0
.LBB151_4034:
	s_delay_alu instid0(SALU_CYCLE_1)
	s_and_b32 vcc_lo, exec_lo, s0
	s_cbranch_vccnz .LBB151_4214
; %bb.4035:
	s_and_not1_b32 vcc_lo, exec_lo, s3
	s_cbranch_vccnz .LBB151_4037
.LBB151_4036:
	v_cmp_neq_f32_e32 vcc_lo, 0, v4
	s_mov_b32 s6, -1
	s_wait_xcnt 0x0
	v_cndmask_b32_e64 v1, 0, 1, vcc_lo
	global_store_b8 v[2:3], v1, off
.LBB151_4037:
	s_mov_b32 s0, 0
	s_branch .LBB151_4039
.LBB151_4038:
	s_mov_b32 s0, -1
	s_mov_b32 s6, 0
.LBB151_4039:
	s_and_b32 vcc_lo, exec_lo, s0
	s_cbranch_vccz .LBB151_4078
; %bb.4040:
	s_cmp_lt_i32 s2, 5
	s_mov_b32 s0, -1
	s_cbranch_scc1 .LBB151_4061
; %bb.4041:
	s_cmp_lt_i32 s2, 8
	s_cbranch_scc1 .LBB151_4051
; %bb.4042:
	s_cmp_lt_i32 s2, 9
	s_cbranch_scc1 .LBB151_4048
; %bb.4043:
	s_cmp_gt_i32 s2, 9
	s_cbranch_scc0 .LBB151_4045
; %bb.4044:
	s_wait_xcnt 0x0
	v_cvt_f64_f32_e32 v[6:7], v4
	v_mov_b32_e32 v8, 0
	s_mov_b32 s0, 0
	s_delay_alu instid0(VALU_DEP_1)
	v_mov_b32_e32 v9, v8
	global_store_b128 v[2:3], v[6:9], off
.LBB151_4045:
	s_and_not1_b32 vcc_lo, exec_lo, s0
	s_cbranch_vccnz .LBB151_4047
; %bb.4046:
	s_wait_xcnt 0x0
	v_mov_b32_e32 v5, 0
	global_store_b64 v[2:3], v[4:5], off
.LBB151_4047:
	s_mov_b32 s0, 0
.LBB151_4048:
	s_delay_alu instid0(SALU_CYCLE_1)
	s_and_not1_b32 vcc_lo, exec_lo, s0
	s_cbranch_vccnz .LBB151_4050
; %bb.4049:
	s_wait_xcnt 0x0
	v_cvt_f16_f32_e32 v1, v4
	s_delay_alu instid0(VALU_DEP_1)
	v_and_b32_e32 v1, 0xffff, v1
	global_store_b32 v[2:3], v1, off
.LBB151_4050:
	s_mov_b32 s0, 0
.LBB151_4051:
	s_delay_alu instid0(SALU_CYCLE_1)
	s_and_not1_b32 vcc_lo, exec_lo, s0
	s_cbranch_vccnz .LBB151_4060
; %bb.4052:
	s_cmp_lt_i32 s2, 6
	s_mov_b32 s0, -1
	s_cbranch_scc1 .LBB151_4058
; %bb.4053:
	s_cmp_gt_i32 s2, 6
	s_cbranch_scc0 .LBB151_4055
; %bb.4054:
	s_wait_xcnt 0x0
	v_cvt_f64_f32_e32 v[6:7], v4
	s_mov_b32 s0, 0
	global_store_b64 v[2:3], v[6:7], off
.LBB151_4055:
	s_and_not1_b32 vcc_lo, exec_lo, s0
	s_cbranch_vccnz .LBB151_4057
; %bb.4056:
	global_store_b32 v[2:3], v4, off
.LBB151_4057:
	s_mov_b32 s0, 0
.LBB151_4058:
	s_delay_alu instid0(SALU_CYCLE_1)
	s_and_not1_b32 vcc_lo, exec_lo, s0
	s_cbranch_vccnz .LBB151_4060
; %bb.4059:
	s_wait_xcnt 0x0
	v_cvt_f16_f32_e32 v1, v4
	global_store_b16 v[2:3], v1, off
.LBB151_4060:
	s_mov_b32 s0, 0
.LBB151_4061:
	s_delay_alu instid0(SALU_CYCLE_1)
	s_and_not1_b32 vcc_lo, exec_lo, s0
	s_cbranch_vccnz .LBB151_4077
; %bb.4062:
	s_cmp_lt_i32 s2, 2
	s_mov_b32 s0, -1
	s_cbranch_scc1 .LBB151_4072
; %bb.4063:
	s_cmp_lt_i32 s2, 3
	s_cbranch_scc1 .LBB151_4069
; %bb.4064:
	s_cmp_gt_i32 s2, 3
	s_cbranch_scc0 .LBB151_4066
; %bb.4065:
	s_wait_xcnt 0x0
	v_trunc_f32_e32 v1, v4
	s_mov_b32 s0, 0
	s_delay_alu instid0(VALU_DEP_1) | instskip(SKIP_1) | instid1(VALU_DEP_2)
	v_mul_f32_e64 v5, 0x2f800000, |v1|
	v_ashrrev_i32_e32 v6, 31, v1
	v_floor_f32_e32 v5, v5
	s_delay_alu instid0(VALU_DEP_1) | instskip(SKIP_1) | instid1(VALU_DEP_2)
	v_fma_f32 v7, 0xcf800000, v5, |v1|
	v_cvt_u32_f32_e32 v1, v5
	v_cvt_u32_f32_e32 v5, v7
	s_delay_alu instid0(VALU_DEP_2) | instskip(NEXT) | instid1(VALU_DEP_2)
	v_dual_mov_b32 v7, v6 :: v_dual_bitop2_b32 v9, v1, v6 bitop3:0x14
	v_xor_b32_e32 v8, v5, v6
	s_delay_alu instid0(VALU_DEP_1)
	v_sub_nc_u64_e32 v[6:7], v[8:9], v[6:7]
	global_store_b64 v[2:3], v[6:7], off
.LBB151_4066:
	s_and_not1_b32 vcc_lo, exec_lo, s0
	s_cbranch_vccnz .LBB151_4068
; %bb.4067:
	s_wait_xcnt 0x0
	v_cvt_i32_f32_e32 v1, v4
	global_store_b32 v[2:3], v1, off
.LBB151_4068:
	s_mov_b32 s0, 0
.LBB151_4069:
	s_delay_alu instid0(SALU_CYCLE_1)
	s_and_not1_b32 vcc_lo, exec_lo, s0
	s_cbranch_vccnz .LBB151_4071
; %bb.4070:
	s_wait_xcnt 0x0
	v_cvt_i32_f32_e32 v1, v4
	global_store_b16 v[2:3], v1, off
.LBB151_4071:
	s_mov_b32 s0, 0
.LBB151_4072:
	s_delay_alu instid0(SALU_CYCLE_1)
	s_and_not1_b32 vcc_lo, exec_lo, s0
	s_cbranch_vccnz .LBB151_4077
; %bb.4073:
	s_cmp_gt_i32 s2, 0
	s_mov_b32 s0, -1
	s_cbranch_scc0 .LBB151_4075
; %bb.4074:
	s_wait_xcnt 0x0
	v_cvt_i32_f32_e32 v1, v4
	s_mov_b32 s0, 0
	global_store_b8 v[2:3], v1, off
.LBB151_4075:
	s_and_not1_b32 vcc_lo, exec_lo, s0
	s_cbranch_vccnz .LBB151_4077
; %bb.4076:
	s_wait_xcnt 0x0
	v_trunc_f32_e32 v1, v4
	s_delay_alu instid0(VALU_DEP_1) | instskip(NEXT) | instid1(VALU_DEP_1)
	v_mul_f32_e64 v4, 0x2f800000, |v1|
	v_floor_f32_e32 v4, v4
	s_delay_alu instid0(VALU_DEP_1) | instskip(SKIP_1) | instid1(VALU_DEP_2)
	v_fma_f32 v4, 0xcf800000, v4, |v1|
	v_ashrrev_i32_e32 v1, 31, v1
	v_cvt_u32_f32_e32 v4, v4
	s_delay_alu instid0(VALU_DEP_1) | instskip(NEXT) | instid1(VALU_DEP_1)
	v_xor_b32_e32 v4, v4, v1
	v_sub_nc_u32_e32 v1, v4, v1
	global_store_b8 v[2:3], v1, off
.LBB151_4077:
	s_mov_b32 s6, -1
.LBB151_4078:
	s_delay_alu instid0(SALU_CYCLE_1)
	s_and_not1_b32 vcc_lo, exec_lo, s6
	s_cbranch_vccnz .LBB151_4155
; %bb.4079:
	s_wait_xcnt 0x0
	v_dual_max_num_f32 v1, v12, v12 :: v_dual_max_num_f32 v2, v14, v14
	v_cmp_u_f32_e32 vcc_lo, v10, v10
	v_max_num_f32_e32 v3, v10, v10
	s_cmp_lt_i32 s2, 11
	s_delay_alu instid0(VALU_DEP_1) | instskip(NEXT) | instid1(VALU_DEP_1)
	v_maxmin_num_f32 v1, v2, v1, v3
	v_cndmask_b32_e32 v2, v1, v10, vcc_lo
	v_cmp_u_f32_e32 vcc_lo, v12, v12
	s_delay_alu instid0(VALU_DEP_2) | instskip(SKIP_1) | instid1(VALU_DEP_2)
	v_dual_mov_b32 v1, 0 :: v_dual_cndmask_b32 v4, v2, v12
	v_cmp_u_f32_e32 vcc_lo, v14, v14
	v_add_nc_u64_e32 v[2:3], s[4:5], v[0:1]
	s_delay_alu instid0(VALU_DEP_3)
	v_cndmask_b32_e32 v4, v4, v14, vcc_lo
	s_cbranch_scc1 .LBB151_4200
; %bb.4080:
	s_mov_b32 s4, -1
	s_mov_b32 s3, 0
	s_cmp_gt_i32 s2, 25
	s_mov_b32 s0, 0
	s_cbranch_scc0 .LBB151_4113
; %bb.4081:
	s_cmp_gt_i32 s2, 28
	s_cbranch_scc0 .LBB151_4097
; %bb.4082:
	s_cmp_gt_i32 s2, 43
	s_cbranch_scc0 .LBB151_4093
; %bb.4083:
	s_cmp_gt_i32 s2, 45
	s_cbranch_scc0 .LBB151_4087
; %bb.4084:
	s_cmp_eq_u32 s2, 46
	s_mov_b32 s0, -1
	s_cbranch_scc0 .LBB151_4086
; %bb.4085:
	v_bfe_u32 v0, v4, 16, 1
	v_cmp_o_f32_e32 vcc_lo, v4, v4
	s_mov_b32 s0, 0
	s_delay_alu instid0(VALU_DEP_2) | instskip(NEXT) | instid1(VALU_DEP_1)
	v_add3_u32 v0, v4, v0, 0x7fff
	v_lshrrev_b32_e32 v0, 16, v0
	s_delay_alu instid0(VALU_DEP_1)
	v_cndmask_b32_e32 v0, 0x7fc0, v0, vcc_lo
	global_store_b32 v[2:3], v0, off
.LBB151_4086:
	s_mov_b32 s4, 0
.LBB151_4087:
	s_delay_alu instid0(SALU_CYCLE_1)
	s_and_b32 vcc_lo, exec_lo, s4
	s_cbranch_vccz .LBB151_4092
; %bb.4088:
	s_cmp_eq_u32 s2, 44
	s_mov_b32 s0, -1
	s_cbranch_scc0 .LBB151_4092
; %bb.4089:
	v_bfe_u32 v1, v4, 23, 8
	s_wait_xcnt 0x0
	v_mov_b32_e32 v0, 0xff
	s_mov_b32 s4, exec_lo
	s_delay_alu instid0(VALU_DEP_2)
	v_cmpx_ne_u32_e32 0xff, v1
	s_cbranch_execz .LBB151_4091
; %bb.4090:
	v_and_b32_e32 v0, 0x400000, v4
	v_and_or_b32 v1, 0x3fffff, v4, v1
	s_delay_alu instid0(VALU_DEP_2) | instskip(NEXT) | instid1(VALU_DEP_2)
	v_cmp_ne_u32_e32 vcc_lo, 0, v0
	v_cmp_ne_u32_e64 s0, 0, v1
	v_lshrrev_b32_e32 v0, 23, v4
	s_and_b32 s0, vcc_lo, s0
	s_delay_alu instid0(SALU_CYCLE_1) | instskip(NEXT) | instid1(VALU_DEP_1)
	v_cndmask_b32_e64 v1, 0, 1, s0
	v_add_nc_u32_e32 v0, v0, v1
.LBB151_4091:
	s_or_b32 exec_lo, exec_lo, s4
	s_mov_b32 s0, 0
	global_store_b8 v[2:3], v0, off
.LBB151_4092:
	s_mov_b32 s4, 0
.LBB151_4093:
	s_delay_alu instid0(SALU_CYCLE_1)
	s_and_b32 vcc_lo, exec_lo, s4
	s_cbranch_vccz .LBB151_4096
; %bb.4094:
	s_cmp_eq_u32 s2, 29
	s_mov_b32 s0, -1
	s_cbranch_scc0 .LBB151_4096
; %bb.4095:
	s_wait_xcnt 0x0
	v_trunc_f32_e32 v0, v4
	s_mov_b32 s0, 0
	s_delay_alu instid0(VALU_DEP_1) | instskip(NEXT) | instid1(VALU_DEP_1)
	v_mul_f32_e32 v1, 0x2f800000, v0
	v_floor_f32_e32 v1, v1
	s_delay_alu instid0(VALU_DEP_1) | instskip(SKIP_1) | instid1(VALU_DEP_2)
	v_fmamk_f32 v0, v1, 0xcf800000, v0
	v_cvt_u32_f32_e32 v1, v1
	v_cvt_u32_f32_e32 v0, v0
	global_store_b64 v[2:3], v[0:1], off
.LBB151_4096:
	s_mov_b32 s4, 0
.LBB151_4097:
	s_delay_alu instid0(SALU_CYCLE_1)
	s_and_b32 vcc_lo, exec_lo, s4
	s_cbranch_vccz .LBB151_4112
; %bb.4098:
	s_cmp_lt_i32 s2, 27
	s_mov_b32 s4, -1
	s_cbranch_scc1 .LBB151_4104
; %bb.4099:
	s_wait_xcnt 0x0
	v_cvt_u32_f32_e32 v0, v4
	s_cmp_gt_i32 s2, 27
	s_cbranch_scc0 .LBB151_4101
; %bb.4100:
	s_mov_b32 s4, 0
	global_store_b32 v[2:3], v0, off
.LBB151_4101:
	s_and_not1_b32 vcc_lo, exec_lo, s4
	s_cbranch_vccnz .LBB151_4103
; %bb.4102:
	global_store_b16 v[2:3], v0, off
.LBB151_4103:
	s_mov_b32 s4, 0
.LBB151_4104:
	s_delay_alu instid0(SALU_CYCLE_1)
	s_and_not1_b32 vcc_lo, exec_lo, s4
	s_cbranch_vccnz .LBB151_4112
; %bb.4105:
	s_wait_xcnt 0x0
	v_and_b32_e32 v0, 0x7fffffff, v4
	v_mov_b32_e32 v1, 0x80
	s_mov_b32 s4, exec_lo
	s_delay_alu instid0(VALU_DEP_2)
	v_cmpx_gt_u32_e32 0x43800000, v0
	s_cbranch_execz .LBB151_4111
; %bb.4106:
	v_cmp_lt_u32_e32 vcc_lo, 0x3bffffff, v0
	s_mov_b32 s5, 0
                                        ; implicit-def: $vgpr0
	s_and_saveexec_b32 s6, vcc_lo
	s_delay_alu instid0(SALU_CYCLE_1)
	s_xor_b32 s6, exec_lo, s6
	s_cbranch_execz .LBB151_4217
; %bb.4107:
	v_bfe_u32 v0, v4, 20, 1
	s_mov_b32 s5, exec_lo
	s_delay_alu instid0(VALU_DEP_1) | instskip(NEXT) | instid1(VALU_DEP_1)
	v_add3_u32 v0, v4, v0, 0x487ffff
	v_lshrrev_b32_e32 v0, 20, v0
	s_and_not1_saveexec_b32 s6, s6
	s_cbranch_execnz .LBB151_4218
.LBB151_4108:
	s_or_b32 exec_lo, exec_lo, s6
	v_mov_b32_e32 v1, 0
	s_and_saveexec_b32 s6, s5
.LBB151_4109:
	v_lshrrev_b32_e32 v1, 24, v4
	s_delay_alu instid0(VALU_DEP_1)
	v_and_or_b32 v1, 0x80, v1, v0
.LBB151_4110:
	s_or_b32 exec_lo, exec_lo, s6
.LBB151_4111:
	s_delay_alu instid0(SALU_CYCLE_1)
	s_or_b32 exec_lo, exec_lo, s4
	global_store_b8 v[2:3], v1, off
.LBB151_4112:
	s_mov_b32 s4, 0
.LBB151_4113:
	s_delay_alu instid0(SALU_CYCLE_1)
	s_and_b32 vcc_lo, exec_lo, s4
	s_cbranch_vccz .LBB151_4153
; %bb.4114:
	s_cmp_gt_i32 s2, 22
	s_mov_b32 s3, -1
	s_cbranch_scc0 .LBB151_4146
; %bb.4115:
	s_cmp_lt_i32 s2, 24
	s_cbranch_scc1 .LBB151_4135
; %bb.4116:
	s_cmp_gt_i32 s2, 24
	s_cbranch_scc0 .LBB151_4124
; %bb.4117:
	s_wait_xcnt 0x0
	v_and_b32_e32 v0, 0x7fffffff, v4
	v_mov_b32_e32 v1, 0x80
	s_mov_b32 s3, exec_lo
	s_delay_alu instid0(VALU_DEP_2)
	v_cmpx_gt_u32_e32 0x47800000, v0
	s_cbranch_execz .LBB151_4123
; %bb.4118:
	v_cmp_lt_u32_e32 vcc_lo, 0x37ffffff, v0
	s_mov_b32 s4, 0
                                        ; implicit-def: $vgpr0
	s_and_saveexec_b32 s5, vcc_lo
	s_delay_alu instid0(SALU_CYCLE_1)
	s_xor_b32 s5, exec_lo, s5
	s_cbranch_execz .LBB151_4220
; %bb.4119:
	v_bfe_u32 v0, v4, 21, 1
	s_mov_b32 s4, exec_lo
	s_delay_alu instid0(VALU_DEP_1) | instskip(NEXT) | instid1(VALU_DEP_1)
	v_add3_u32 v0, v4, v0, 0x88fffff
	v_lshrrev_b32_e32 v0, 21, v0
	s_and_not1_saveexec_b32 s5, s5
	s_cbranch_execnz .LBB151_4221
.LBB151_4120:
	s_or_b32 exec_lo, exec_lo, s5
	v_mov_b32_e32 v1, 0
	s_and_saveexec_b32 s5, s4
.LBB151_4121:
	v_lshrrev_b32_e32 v1, 24, v4
	s_delay_alu instid0(VALU_DEP_1)
	v_and_or_b32 v1, 0x80, v1, v0
.LBB151_4122:
	s_or_b32 exec_lo, exec_lo, s5
.LBB151_4123:
	s_delay_alu instid0(SALU_CYCLE_1)
	s_or_b32 exec_lo, exec_lo, s3
	s_mov_b32 s3, 0
	global_store_b8 v[2:3], v1, off
.LBB151_4124:
	s_and_b32 vcc_lo, exec_lo, s3
	s_cbranch_vccz .LBB151_4134
; %bb.4125:
	s_wait_xcnt 0x0
	v_and_b32_e32 v1, 0x7fffffff, v4
	s_mov_b32 s3, exec_lo
                                        ; implicit-def: $vgpr0
	s_delay_alu instid0(VALU_DEP_1)
	v_cmpx_gt_u32_e32 0x43f00000, v1
	s_xor_b32 s3, exec_lo, s3
	s_cbranch_execz .LBB151_4131
; %bb.4126:
	s_mov_b32 s4, exec_lo
                                        ; implicit-def: $vgpr0
	v_cmpx_lt_u32_e32 0x3c7fffff, v1
	s_xor_b32 s4, exec_lo, s4
; %bb.4127:
	v_bfe_u32 v0, v4, 20, 1
	s_delay_alu instid0(VALU_DEP_1) | instskip(NEXT) | instid1(VALU_DEP_1)
	v_add3_u32 v0, v4, v0, 0x407ffff
	v_and_b32_e32 v1, 0xff00000, v0
	v_lshrrev_b32_e32 v0, 20, v0
	s_delay_alu instid0(VALU_DEP_2) | instskip(NEXT) | instid1(VALU_DEP_2)
	v_cmp_ne_u32_e32 vcc_lo, 0x7f00000, v1
	v_cndmask_b32_e32 v0, 0x7e, v0, vcc_lo
; %bb.4128:
	s_and_not1_saveexec_b32 s4, s4
; %bb.4129:
	v_add_f32_e64 v0, 0x46800000, |v4|
; %bb.4130:
	s_or_b32 exec_lo, exec_lo, s4
                                        ; implicit-def: $vgpr1
.LBB151_4131:
	s_and_not1_saveexec_b32 s3, s3
; %bb.4132:
	v_mov_b32_e32 v0, 0x7f
	v_cmp_lt_u32_e32 vcc_lo, 0x7f800000, v1
	s_delay_alu instid0(VALU_DEP_2)
	v_cndmask_b32_e32 v0, 0x7e, v0, vcc_lo
; %bb.4133:
	s_or_b32 exec_lo, exec_lo, s3
	v_lshrrev_b32_e32 v1, 24, v4
	s_delay_alu instid0(VALU_DEP_1)
	v_and_or_b32 v0, 0x80, v1, v0
	global_store_b8 v[2:3], v0, off
.LBB151_4134:
	s_mov_b32 s3, 0
.LBB151_4135:
	s_delay_alu instid0(SALU_CYCLE_1)
	s_and_not1_b32 vcc_lo, exec_lo, s3
	s_cbranch_vccnz .LBB151_4145
; %bb.4136:
	s_wait_xcnt 0x0
	v_and_b32_e32 v1, 0x7fffffff, v4
	s_mov_b32 s3, exec_lo
                                        ; implicit-def: $vgpr0
	s_delay_alu instid0(VALU_DEP_1)
	v_cmpx_gt_u32_e32 0x47800000, v1
	s_xor_b32 s3, exec_lo, s3
	s_cbranch_execz .LBB151_4142
; %bb.4137:
	s_mov_b32 s4, exec_lo
                                        ; implicit-def: $vgpr0
	v_cmpx_lt_u32_e32 0x387fffff, v1
	s_xor_b32 s4, exec_lo, s4
; %bb.4138:
	v_bfe_u32 v0, v4, 21, 1
	s_delay_alu instid0(VALU_DEP_1) | instskip(NEXT) | instid1(VALU_DEP_1)
	v_add3_u32 v0, v4, v0, 0x80fffff
	v_lshrrev_b32_e32 v0, 21, v0
; %bb.4139:
	s_and_not1_saveexec_b32 s4, s4
; %bb.4140:
	v_add_f32_e64 v0, 0x43000000, |v4|
; %bb.4141:
	s_or_b32 exec_lo, exec_lo, s4
                                        ; implicit-def: $vgpr1
.LBB151_4142:
	s_and_not1_saveexec_b32 s3, s3
; %bb.4143:
	v_mov_b32_e32 v0, 0x7f
	v_cmp_lt_u32_e32 vcc_lo, 0x7f800000, v1
	s_delay_alu instid0(VALU_DEP_2)
	v_cndmask_b32_e32 v0, 0x7c, v0, vcc_lo
; %bb.4144:
	s_or_b32 exec_lo, exec_lo, s3
	v_lshrrev_b32_e32 v1, 24, v4
	s_delay_alu instid0(VALU_DEP_1)
	v_and_or_b32 v0, 0x80, v1, v0
	global_store_b8 v[2:3], v0, off
.LBB151_4145:
	s_mov_b32 s3, 0
.LBB151_4146:
	s_delay_alu instid0(SALU_CYCLE_1)
	s_and_not1_b32 vcc_lo, exec_lo, s3
	s_mov_b32 s3, 0
	s_cbranch_vccnz .LBB151_4153
; %bb.4147:
	s_cmp_gt_i32 s2, 14
	s_mov_b32 s3, -1
	s_cbranch_scc0 .LBB151_4151
; %bb.4148:
	s_cmp_eq_u32 s2, 15
	s_mov_b32 s0, -1
	s_cbranch_scc0 .LBB151_4150
; %bb.4149:
	s_wait_xcnt 0x0
	v_bfe_u32 v0, v4, 16, 1
	v_cmp_o_f32_e32 vcc_lo, v4, v4
	s_mov_b32 s0, 0
	s_delay_alu instid0(VALU_DEP_2) | instskip(NEXT) | instid1(VALU_DEP_1)
	v_add3_u32 v0, v4, v0, 0x7fff
	v_lshrrev_b32_e32 v0, 16, v0
	s_delay_alu instid0(VALU_DEP_1)
	v_cndmask_b32_e32 v0, 0x7fc0, v0, vcc_lo
	global_store_b16 v[2:3], v0, off
.LBB151_4150:
	s_mov_b32 s3, 0
.LBB151_4151:
	s_delay_alu instid0(SALU_CYCLE_1)
	s_and_b32 vcc_lo, exec_lo, s3
	s_mov_b32 s3, 0
	s_cbranch_vccz .LBB151_4153
; %bb.4152:
	s_cmp_lg_u32 s2, 11
	s_mov_b32 s3, -1
	s_cselect_b32 s0, -1, 0
.LBB151_4153:
	s_delay_alu instid0(SALU_CYCLE_1)
	s_and_b32 vcc_lo, exec_lo, s0
	s_cbranch_vccnz .LBB151_4219
.LBB151_4154:
	s_mov_b32 s0, 0
	s_branch .LBB151_4156
.LBB151_4155:
	s_mov_b32 s0, 0
	s_mov_b32 s3, 0
                                        ; implicit-def: $vgpr2_vgpr3
                                        ; implicit-def: $sgpr1
                                        ; implicit-def: $vgpr4
.LBB151_4156:
	s_and_not1_b32 s2, s10, exec_lo
	s_and_b32 s4, s12, exec_lo
	s_and_b32 s0, s0, exec_lo
	;; [unrolled: 1-line block ×3, first 2 shown]
	s_or_b32 s10, s2, s4
.LBB151_4157:
	s_wait_xcnt 0x0
	s_or_b32 exec_lo, exec_lo, s11
	s_and_saveexec_b32 s2, s10
	s_cbranch_execz .LBB151_4160
; %bb.4158:
	; divergent unreachable
	s_or_b32 exec_lo, exec_lo, s2
	s_and_saveexec_b32 s2, s35
	s_delay_alu instid0(SALU_CYCLE_1)
	s_xor_b32 s2, exec_lo, s2
	s_cbranch_execnz .LBB151_4161
.LBB151_4159:
	s_or_b32 exec_lo, exec_lo, s2
	s_and_saveexec_b32 s2, s0
	s_cbranch_execnz .LBB151_4162
	s_branch .LBB151_4199
.LBB151_4160:
	s_or_b32 exec_lo, exec_lo, s2
	s_and_saveexec_b32 s2, s35
	s_delay_alu instid0(SALU_CYCLE_1)
	s_xor_b32 s2, exec_lo, s2
	s_cbranch_execz .LBB151_4159
.LBB151_4161:
	v_cmp_neq_f32_e32 vcc_lo, 0, v4
	v_cndmask_b32_e64 v0, 0, 1, vcc_lo
	s_wait_loadcnt 0x0
	global_store_b8 v[2:3], v0, off
	s_wait_xcnt 0x0
	s_or_b32 exec_lo, exec_lo, s2
	s_and_saveexec_b32 s2, s0
	s_cbranch_execz .LBB151_4199
.LBB151_4162:
	s_sext_i32_i16 s2, s1
	s_mov_b32 s0, -1
	s_cmp_lt_i32 s2, 5
	s_cbranch_scc1 .LBB151_4183
; %bb.4163:
	s_cmp_lt_i32 s2, 8
	s_cbranch_scc1 .LBB151_4173
; %bb.4164:
	;; [unrolled: 3-line block ×3, first 2 shown]
	s_cmp_gt_i32 s2, 9
	s_cbranch_scc0 .LBB151_4167
; %bb.4166:
	s_wait_loadcnt 0x0
	v_cvt_f64_f32_e32 v[6:7], v4
	v_mov_b32_e32 v8, 0
	s_mov_b32 s0, 0
	s_delay_alu instid0(VALU_DEP_1)
	v_mov_b32_e32 v9, v8
	global_store_b128 v[2:3], v[6:9], off
.LBB151_4167:
	s_and_not1_b32 vcc_lo, exec_lo, s0
	s_cbranch_vccnz .LBB151_4169
; %bb.4168:
	s_wait_loadcnt 0x0
	v_mov_b32_e32 v5, 0
	global_store_b64 v[2:3], v[4:5], off
.LBB151_4169:
	s_mov_b32 s0, 0
.LBB151_4170:
	s_delay_alu instid0(SALU_CYCLE_1)
	s_and_not1_b32 vcc_lo, exec_lo, s0
	s_cbranch_vccnz .LBB151_4172
; %bb.4171:
	v_cvt_f16_f32_e32 v0, v4
	s_delay_alu instid0(VALU_DEP_1)
	v_and_b32_e32 v0, 0xffff, v0
	s_wait_loadcnt 0x0
	global_store_b32 v[2:3], v0, off
.LBB151_4172:
	s_mov_b32 s0, 0
.LBB151_4173:
	s_delay_alu instid0(SALU_CYCLE_1)
	s_and_not1_b32 vcc_lo, exec_lo, s0
	s_cbranch_vccnz .LBB151_4182
; %bb.4174:
	s_sext_i32_i16 s2, s1
	s_mov_b32 s0, -1
	s_cmp_lt_i32 s2, 6
	s_cbranch_scc1 .LBB151_4180
; %bb.4175:
	s_cmp_gt_i32 s2, 6
	s_cbranch_scc0 .LBB151_4177
; %bb.4176:
	s_wait_loadcnt 0x0
	v_cvt_f64_f32_e32 v[0:1], v4
	s_mov_b32 s0, 0
	global_store_b64 v[2:3], v[0:1], off
.LBB151_4177:
	s_and_not1_b32 vcc_lo, exec_lo, s0
	s_cbranch_vccnz .LBB151_4179
; %bb.4178:
	s_wait_loadcnt 0x0
	global_store_b32 v[2:3], v4, off
.LBB151_4179:
	s_mov_b32 s0, 0
.LBB151_4180:
	s_delay_alu instid0(SALU_CYCLE_1)
	s_and_not1_b32 vcc_lo, exec_lo, s0
	s_cbranch_vccnz .LBB151_4182
; %bb.4181:
	s_wait_xcnt 0x0
	v_cvt_f16_f32_e32 v0, v4
	s_wait_loadcnt 0x0
	global_store_b16 v[2:3], v0, off
.LBB151_4182:
	s_mov_b32 s0, 0
.LBB151_4183:
	s_delay_alu instid0(SALU_CYCLE_1)
	s_and_not1_b32 vcc_lo, exec_lo, s0
	s_cbranch_vccnz .LBB151_4199
; %bb.4184:
	s_sext_i32_i16 s2, s1
	s_mov_b32 s0, -1
	s_cmp_lt_i32 s2, 2
	s_cbranch_scc1 .LBB151_4194
; %bb.4185:
	s_cmp_lt_i32 s2, 3
	s_cbranch_scc1 .LBB151_4191
; %bb.4186:
	s_cmp_gt_i32 s2, 3
	s_cbranch_scc0 .LBB151_4188
; %bb.4187:
	s_wait_xcnt 0x0
	v_trunc_f32_e32 v0, v4
	s_mov_b32 s0, 0
	s_wait_loadcnt 0x0
	s_delay_alu instid0(VALU_DEP_1) | instskip(NEXT) | instid1(VALU_DEP_1)
	v_mul_f32_e64 v1, 0x2f800000, |v0|
	v_floor_f32_e32 v1, v1
	s_delay_alu instid0(VALU_DEP_1) | instskip(SKIP_2) | instid1(VALU_DEP_3)
	v_fma_f32 v5, 0xcf800000, v1, |v0|
	v_ashrrev_i32_e32 v0, 31, v0
	v_cvt_u32_f32_e32 v6, v1
	v_cvt_u32_f32_e32 v5, v5
	s_delay_alu instid0(VALU_DEP_2) | instskip(NEXT) | instid1(VALU_DEP_2)
	v_dual_mov_b32 v1, v0 :: v_dual_bitop2_b32 v7, v6, v0 bitop3:0x14
	v_xor_b32_e32 v6, v5, v0
	s_delay_alu instid0(VALU_DEP_1)
	v_sub_nc_u64_e32 v[0:1], v[6:7], v[0:1]
	global_store_b64 v[2:3], v[0:1], off
.LBB151_4188:
	s_and_not1_b32 vcc_lo, exec_lo, s0
	s_cbranch_vccnz .LBB151_4190
; %bb.4189:
	s_wait_xcnt 0x0
	v_cvt_i32_f32_e32 v0, v4
	s_wait_loadcnt 0x0
	global_store_b32 v[2:3], v0, off
.LBB151_4190:
	s_mov_b32 s0, 0
.LBB151_4191:
	s_delay_alu instid0(SALU_CYCLE_1)
	s_and_not1_b32 vcc_lo, exec_lo, s0
	s_cbranch_vccnz .LBB151_4193
; %bb.4192:
	s_wait_xcnt 0x0
	v_cvt_i32_f32_e32 v0, v4
	s_wait_loadcnt 0x0
	global_store_b16 v[2:3], v0, off
.LBB151_4193:
	s_mov_b32 s0, 0
.LBB151_4194:
	s_delay_alu instid0(SALU_CYCLE_1)
	s_and_not1_b32 vcc_lo, exec_lo, s0
	s_cbranch_vccnz .LBB151_4199
; %bb.4195:
	s_sext_i32_i16 s0, s1
	s_delay_alu instid0(SALU_CYCLE_1)
	s_cmp_gt_i32 s0, 0
	s_mov_b32 s0, -1
	s_cbranch_scc0 .LBB151_4197
; %bb.4196:
	s_wait_xcnt 0x0
	v_cvt_i32_f32_e32 v0, v4
	s_mov_b32 s0, 0
	s_wait_loadcnt 0x0
	global_store_b8 v[2:3], v0, off
.LBB151_4197:
	s_and_not1_b32 vcc_lo, exec_lo, s0
	s_cbranch_vccnz .LBB151_4199
; %bb.4198:
	s_wait_xcnt 0x0
	v_trunc_f32_e32 v0, v4
	s_wait_loadcnt 0x0
	s_delay_alu instid0(VALU_DEP_1) | instskip(NEXT) | instid1(VALU_DEP_1)
	v_mul_f32_e64 v1, 0x2f800000, |v0|
	v_floor_f32_e32 v1, v1
	s_delay_alu instid0(VALU_DEP_1) | instskip(SKIP_1) | instid1(VALU_DEP_2)
	v_fma_f32 v1, 0xcf800000, v1, |v0|
	v_ashrrev_i32_e32 v0, 31, v0
	v_cvt_u32_f32_e32 v1, v1
	s_delay_alu instid0(VALU_DEP_1) | instskip(NEXT) | instid1(VALU_DEP_1)
	v_xor_b32_e32 v1, v1, v0
	v_sub_nc_u32_e32 v0, v1, v0
	global_store_b8 v[2:3], v0, off
	s_endpgm
.LBB151_4199:
	s_endpgm
.LBB151_4200:
	s_mov_b32 s3, 0
	s_mov_b32 s0, -1
	s_branch .LBB151_4156
.LBB151_4201:
	s_or_b32 s12, s12, exec_lo
	s_trap 2
	s_cbranch_execz .LBB151_3670
	s_branch .LBB151_3671
.LBB151_4202:
	s_and_not1_saveexec_b32 s8, s8
	s_cbranch_execz .LBB151_3750
.LBB151_4203:
	v_add_f32_e64 v1, 0x46000000, |v8|
	s_and_not1_b32 s7, s7, exec_lo
	s_delay_alu instid0(VALU_DEP_1) | instskip(NEXT) | instid1(VALU_DEP_1)
	v_and_b32_e32 v1, 0xff, v1
	v_cmp_ne_u32_e32 vcc_lo, 0, v1
	s_and_b32 s9, vcc_lo, exec_lo
	s_delay_alu instid0(SALU_CYCLE_1)
	s_or_b32 s7, s7, s9
	s_or_b32 exec_lo, exec_lo, s8
	v_mov_b32_e32 v3, 0
	s_and_saveexec_b32 s8, s7
	s_cbranch_execnz .LBB151_3751
	s_branch .LBB151_3752
.LBB151_4204:
	s_or_b32 s12, s12, exec_lo
	s_trap 2
	s_cbranch_execz .LBB151_3798
	s_branch .LBB151_3799
.LBB151_4205:
	s_and_not1_saveexec_b32 s7, s7
	s_cbranch_execz .LBB151_3763
.LBB151_4206:
	v_add_f32_e64 v1, 0x42800000, |v8|
	s_and_not1_b32 s6, s6, exec_lo
	s_delay_alu instid0(VALU_DEP_1) | instskip(NEXT) | instid1(VALU_DEP_1)
	v_and_b32_e32 v1, 0xff, v1
	v_cmp_ne_u32_e32 vcc_lo, 0, v1
	s_and_b32 s8, vcc_lo, exec_lo
	s_delay_alu instid0(SALU_CYCLE_1)
	s_or_b32 s6, s6, s8
	s_or_b32 exec_lo, exec_lo, s7
	v_mov_b32_e32 v3, 0
	s_and_saveexec_b32 s7, s6
	s_cbranch_execnz .LBB151_3764
	s_branch .LBB151_3765
.LBB151_4207:
	s_and_not1_saveexec_b32 s8, s8
	s_cbranch_execz .LBB151_3869
.LBB151_4208:
	v_add_f32_e64 v1, 0x46000000, |v6|
	s_and_not1_b32 s7, s7, exec_lo
	s_delay_alu instid0(VALU_DEP_1) | instskip(NEXT) | instid1(VALU_DEP_1)
	v_and_b32_e32 v1, 0xff, v1
	v_cmp_ne_u32_e32 vcc_lo, 0, v1
	s_and_b32 s9, vcc_lo, exec_lo
	s_delay_alu instid0(SALU_CYCLE_1)
	s_or_b32 s7, s7, s9
	s_or_b32 exec_lo, exec_lo, s8
	v_mov_b32_e32 v3, 0
	s_and_saveexec_b32 s8, s7
	s_cbranch_execnz .LBB151_3870
	s_branch .LBB151_3871
.LBB151_4209:
	s_or_b32 s12, s12, exec_lo
	s_trap 2
	s_cbranch_execz .LBB151_3917
	s_branch .LBB151_3918
.LBB151_4210:
	s_and_not1_saveexec_b32 s7, s7
	s_cbranch_execz .LBB151_3882
.LBB151_4211:
	v_add_f32_e64 v1, 0x42800000, |v6|
	s_and_not1_b32 s6, s6, exec_lo
	s_delay_alu instid0(VALU_DEP_1) | instskip(NEXT) | instid1(VALU_DEP_1)
	v_and_b32_e32 v1, 0xff, v1
	v_cmp_ne_u32_e32 vcc_lo, 0, v1
	s_and_b32 s8, vcc_lo, exec_lo
	s_delay_alu instid0(SALU_CYCLE_1)
	s_or_b32 s6, s6, s8
	s_or_b32 exec_lo, exec_lo, s7
	v_mov_b32_e32 v3, 0
	s_and_saveexec_b32 s7, s6
	s_cbranch_execnz .LBB151_3883
	s_branch .LBB151_3884
.LBB151_4212:
	s_and_not1_saveexec_b32 s8, s8
	s_cbranch_execz .LBB151_3988
.LBB151_4213:
	v_add_f32_e64 v1, 0x46000000, |v4|
	s_and_not1_b32 s7, s7, exec_lo
	s_delay_alu instid0(VALU_DEP_1) | instskip(NEXT) | instid1(VALU_DEP_1)
	v_and_b32_e32 v1, 0xff, v1
	v_cmp_ne_u32_e32 vcc_lo, 0, v1
	s_and_b32 s9, vcc_lo, exec_lo
	s_delay_alu instid0(SALU_CYCLE_1)
	s_or_b32 s7, s7, s9
	s_or_b32 exec_lo, exec_lo, s8
	v_mov_b32_e32 v5, 0
	s_and_saveexec_b32 s8, s7
	s_cbranch_execnz .LBB151_3989
	s_branch .LBB151_3990
.LBB151_4214:
	s_or_b32 s12, s12, exec_lo
	s_trap 2
	s_cbranch_execz .LBB151_4036
	s_branch .LBB151_4037
.LBB151_4215:
	s_and_not1_saveexec_b32 s7, s7
	s_cbranch_execz .LBB151_4001
.LBB151_4216:
	v_add_f32_e64 v1, 0x42800000, |v4|
	s_and_not1_b32 s6, s6, exec_lo
	s_delay_alu instid0(VALU_DEP_1) | instskip(NEXT) | instid1(VALU_DEP_1)
	v_and_b32_e32 v1, 0xff, v1
	v_cmp_ne_u32_e32 vcc_lo, 0, v1
	s_and_b32 s8, vcc_lo, exec_lo
	s_delay_alu instid0(SALU_CYCLE_1)
	s_or_b32 s6, s6, s8
	s_or_b32 exec_lo, exec_lo, s7
	v_mov_b32_e32 v5, 0
	s_and_saveexec_b32 s7, s6
	s_cbranch_execnz .LBB151_4002
	s_branch .LBB151_4003
.LBB151_4217:
	s_and_not1_saveexec_b32 s6, s6
	s_cbranch_execz .LBB151_4108
.LBB151_4218:
	v_add_f32_e64 v0, 0x46000000, |v4|
	s_and_not1_b32 s5, s5, exec_lo
	s_delay_alu instid0(VALU_DEP_1) | instskip(NEXT) | instid1(VALU_DEP_1)
	v_and_b32_e32 v0, 0xff, v0
	v_cmp_ne_u32_e32 vcc_lo, 0, v0
	s_and_b32 s7, vcc_lo, exec_lo
	s_delay_alu instid0(SALU_CYCLE_1)
	s_or_b32 s5, s5, s7
	s_or_b32 exec_lo, exec_lo, s6
	v_mov_b32_e32 v1, 0
	s_and_saveexec_b32 s6, s5
	s_cbranch_execnz .LBB151_4109
	s_branch .LBB151_4110
.LBB151_4219:
	s_mov_b32 s3, 0
	s_or_b32 s12, s12, exec_lo
	s_trap 2
	s_branch .LBB151_4154
.LBB151_4220:
	s_and_not1_saveexec_b32 s5, s5
	s_cbranch_execz .LBB151_4120
.LBB151_4221:
	v_add_f32_e64 v0, 0x42800000, |v4|
	s_and_not1_b32 s4, s4, exec_lo
	s_delay_alu instid0(VALU_DEP_1) | instskip(NEXT) | instid1(VALU_DEP_1)
	v_and_b32_e32 v0, 0xff, v0
	v_cmp_ne_u32_e32 vcc_lo, 0, v0
	s_and_b32 s6, vcc_lo, exec_lo
	s_delay_alu instid0(SALU_CYCLE_1)
	s_or_b32 s4, s4, s6
	s_or_b32 exec_lo, exec_lo, s5
	v_mov_b32_e32 v1, 0
	s_and_saveexec_b32 s5, s4
	s_cbranch_execnz .LBB151_4121
	s_branch .LBB151_4122
	.section	.rodata,"a",@progbits
	.p2align	6, 0x0
	.amdhsa_kernel _ZN2at6native32elementwise_kernel_manual_unrollILi128ELi4EZNS0_15gpu_kernel_implIZZZNS0_12_GLOBAL__N_117clamp_kernel_implERNS_18TensorIteratorBaseEENKUlvE_clEvENKUlvE5_clEvEUlfffE_EEvS5_RKT_EUlibE0_EEviT1_
		.amdhsa_group_segment_fixed_size 0
		.amdhsa_private_segment_fixed_size 0
		.amdhsa_kernarg_size 504
		.amdhsa_user_sgpr_count 2
		.amdhsa_user_sgpr_dispatch_ptr 0
		.amdhsa_user_sgpr_queue_ptr 0
		.amdhsa_user_sgpr_kernarg_segment_ptr 1
		.amdhsa_user_sgpr_dispatch_id 0
		.amdhsa_user_sgpr_kernarg_preload_length 0
		.amdhsa_user_sgpr_kernarg_preload_offset 0
		.amdhsa_user_sgpr_private_segment_size 0
		.amdhsa_wavefront_size32 1
		.amdhsa_uses_dynamic_stack 0
		.amdhsa_enable_private_segment 0
		.amdhsa_system_sgpr_workgroup_id_x 1
		.amdhsa_system_sgpr_workgroup_id_y 0
		.amdhsa_system_sgpr_workgroup_id_z 0
		.amdhsa_system_sgpr_workgroup_info 0
		.amdhsa_system_vgpr_workitem_id 0
		.amdhsa_next_free_vgpr 34
		.amdhsa_next_free_sgpr 74
		.amdhsa_named_barrier_count 0
		.amdhsa_reserve_vcc 1
		.amdhsa_float_round_mode_32 0
		.amdhsa_float_round_mode_16_64 0
		.amdhsa_float_denorm_mode_32 3
		.amdhsa_float_denorm_mode_16_64 3
		.amdhsa_fp16_overflow 0
		.amdhsa_memory_ordered 1
		.amdhsa_forward_progress 1
		.amdhsa_inst_pref_size 255
		.amdhsa_round_robin_scheduling 0
		.amdhsa_exception_fp_ieee_invalid_op 0
		.amdhsa_exception_fp_denorm_src 0
		.amdhsa_exception_fp_ieee_div_zero 0
		.amdhsa_exception_fp_ieee_overflow 0
		.amdhsa_exception_fp_ieee_underflow 0
		.amdhsa_exception_fp_ieee_inexact 0
		.amdhsa_exception_int_div_zero 0
	.end_amdhsa_kernel
	.section	.text._ZN2at6native32elementwise_kernel_manual_unrollILi128ELi4EZNS0_15gpu_kernel_implIZZZNS0_12_GLOBAL__N_117clamp_kernel_implERNS_18TensorIteratorBaseEENKUlvE_clEvENKUlvE5_clEvEUlfffE_EEvS5_RKT_EUlibE0_EEviT1_,"axG",@progbits,_ZN2at6native32elementwise_kernel_manual_unrollILi128ELi4EZNS0_15gpu_kernel_implIZZZNS0_12_GLOBAL__N_117clamp_kernel_implERNS_18TensorIteratorBaseEENKUlvE_clEvENKUlvE5_clEvEUlfffE_EEvS5_RKT_EUlibE0_EEviT1_,comdat
.Lfunc_end151:
	.size	_ZN2at6native32elementwise_kernel_manual_unrollILi128ELi4EZNS0_15gpu_kernel_implIZZZNS0_12_GLOBAL__N_117clamp_kernel_implERNS_18TensorIteratorBaseEENKUlvE_clEvENKUlvE5_clEvEUlfffE_EEvS5_RKT_EUlibE0_EEviT1_, .Lfunc_end151-_ZN2at6native32elementwise_kernel_manual_unrollILi128ELi4EZNS0_15gpu_kernel_implIZZZNS0_12_GLOBAL__N_117clamp_kernel_implERNS_18TensorIteratorBaseEENKUlvE_clEvENKUlvE5_clEvEUlfffE_EEvS5_RKT_EUlibE0_EEviT1_
                                        ; -- End function
	.set _ZN2at6native32elementwise_kernel_manual_unrollILi128ELi4EZNS0_15gpu_kernel_implIZZZNS0_12_GLOBAL__N_117clamp_kernel_implERNS_18TensorIteratorBaseEENKUlvE_clEvENKUlvE5_clEvEUlfffE_EEvS5_RKT_EUlibE0_EEviT1_.num_vgpr, 34
	.set _ZN2at6native32elementwise_kernel_manual_unrollILi128ELi4EZNS0_15gpu_kernel_implIZZZNS0_12_GLOBAL__N_117clamp_kernel_implERNS_18TensorIteratorBaseEENKUlvE_clEvENKUlvE5_clEvEUlfffE_EEvS5_RKT_EUlibE0_EEviT1_.num_agpr, 0
	.set _ZN2at6native32elementwise_kernel_manual_unrollILi128ELi4EZNS0_15gpu_kernel_implIZZZNS0_12_GLOBAL__N_117clamp_kernel_implERNS_18TensorIteratorBaseEENKUlvE_clEvENKUlvE5_clEvEUlfffE_EEvS5_RKT_EUlibE0_EEviT1_.numbered_sgpr, 74
	.set _ZN2at6native32elementwise_kernel_manual_unrollILi128ELi4EZNS0_15gpu_kernel_implIZZZNS0_12_GLOBAL__N_117clamp_kernel_implERNS_18TensorIteratorBaseEENKUlvE_clEvENKUlvE5_clEvEUlfffE_EEvS5_RKT_EUlibE0_EEviT1_.num_named_barrier, 0
	.set _ZN2at6native32elementwise_kernel_manual_unrollILi128ELi4EZNS0_15gpu_kernel_implIZZZNS0_12_GLOBAL__N_117clamp_kernel_implERNS_18TensorIteratorBaseEENKUlvE_clEvENKUlvE5_clEvEUlfffE_EEvS5_RKT_EUlibE0_EEviT1_.private_seg_size, 0
	.set _ZN2at6native32elementwise_kernel_manual_unrollILi128ELi4EZNS0_15gpu_kernel_implIZZZNS0_12_GLOBAL__N_117clamp_kernel_implERNS_18TensorIteratorBaseEENKUlvE_clEvENKUlvE5_clEvEUlfffE_EEvS5_RKT_EUlibE0_EEviT1_.uses_vcc, 1
	.set _ZN2at6native32elementwise_kernel_manual_unrollILi128ELi4EZNS0_15gpu_kernel_implIZZZNS0_12_GLOBAL__N_117clamp_kernel_implERNS_18TensorIteratorBaseEENKUlvE_clEvENKUlvE5_clEvEUlfffE_EEvS5_RKT_EUlibE0_EEviT1_.uses_flat_scratch, 0
	.set _ZN2at6native32elementwise_kernel_manual_unrollILi128ELi4EZNS0_15gpu_kernel_implIZZZNS0_12_GLOBAL__N_117clamp_kernel_implERNS_18TensorIteratorBaseEENKUlvE_clEvENKUlvE5_clEvEUlfffE_EEvS5_RKT_EUlibE0_EEviT1_.has_dyn_sized_stack, 0
	.set _ZN2at6native32elementwise_kernel_manual_unrollILi128ELi4EZNS0_15gpu_kernel_implIZZZNS0_12_GLOBAL__N_117clamp_kernel_implERNS_18TensorIteratorBaseEENKUlvE_clEvENKUlvE5_clEvEUlfffE_EEvS5_RKT_EUlibE0_EEviT1_.has_recursion, 0
	.set _ZN2at6native32elementwise_kernel_manual_unrollILi128ELi4EZNS0_15gpu_kernel_implIZZZNS0_12_GLOBAL__N_117clamp_kernel_implERNS_18TensorIteratorBaseEENKUlvE_clEvENKUlvE5_clEvEUlfffE_EEvS5_RKT_EUlibE0_EEviT1_.has_indirect_call, 0
	.section	.AMDGPU.csdata,"",@progbits
; Kernel info:
; codeLenInByte = 79716
; TotalNumSgprs: 76
; NumVgprs: 34
; ScratchSize: 0
; MemoryBound: 1
; FloatMode: 240
; IeeeMode: 1
; LDSByteSize: 0 bytes/workgroup (compile time only)
; SGPRBlocks: 0
; VGPRBlocks: 2
; NumSGPRsForWavesPerEU: 76
; NumVGPRsForWavesPerEU: 34
; NamedBarCnt: 0
; Occupancy: 16
; WaveLimiterHint : 1
; COMPUTE_PGM_RSRC2:SCRATCH_EN: 0
; COMPUTE_PGM_RSRC2:USER_SGPR: 2
; COMPUTE_PGM_RSRC2:TRAP_HANDLER: 0
; COMPUTE_PGM_RSRC2:TGID_X_EN: 1
; COMPUTE_PGM_RSRC2:TGID_Y_EN: 0
; COMPUTE_PGM_RSRC2:TGID_Z_EN: 0
; COMPUTE_PGM_RSRC2:TIDIG_COMP_CNT: 0
	.section	.text._ZN2at6native29vectorized_elementwise_kernelILi16EZZZNS0_12_GLOBAL__N_117clamp_kernel_implERNS_18TensorIteratorBaseEENKUlvE_clEvENKUlvE6_clEvEUlN3c104HalfES8_S8_E_St5arrayIPcLm4EEEEviT0_T1_,"axG",@progbits,_ZN2at6native29vectorized_elementwise_kernelILi16EZZZNS0_12_GLOBAL__N_117clamp_kernel_implERNS_18TensorIteratorBaseEENKUlvE_clEvENKUlvE6_clEvEUlN3c104HalfES8_S8_E_St5arrayIPcLm4EEEEviT0_T1_,comdat
	.globl	_ZN2at6native29vectorized_elementwise_kernelILi16EZZZNS0_12_GLOBAL__N_117clamp_kernel_implERNS_18TensorIteratorBaseEENKUlvE_clEvENKUlvE6_clEvEUlN3c104HalfES8_S8_E_St5arrayIPcLm4EEEEviT0_T1_ ; -- Begin function _ZN2at6native29vectorized_elementwise_kernelILi16EZZZNS0_12_GLOBAL__N_117clamp_kernel_implERNS_18TensorIteratorBaseEENKUlvE_clEvENKUlvE6_clEvEUlN3c104HalfES8_S8_E_St5arrayIPcLm4EEEEviT0_T1_
	.p2align	8
	.type	_ZN2at6native29vectorized_elementwise_kernelILi16EZZZNS0_12_GLOBAL__N_117clamp_kernel_implERNS_18TensorIteratorBaseEENKUlvE_clEvENKUlvE6_clEvEUlN3c104HalfES8_S8_E_St5arrayIPcLm4EEEEviT0_T1_,@function
_ZN2at6native29vectorized_elementwise_kernelILi16EZZZNS0_12_GLOBAL__N_117clamp_kernel_implERNS_18TensorIteratorBaseEENKUlvE_clEvENKUlvE6_clEvEUlN3c104HalfES8_S8_E_St5arrayIPcLm4EEEEviT0_T1_: ; @_ZN2at6native29vectorized_elementwise_kernelILi16EZZZNS0_12_GLOBAL__N_117clamp_kernel_implERNS_18TensorIteratorBaseEENKUlvE_clEvENKUlvE6_clEvEUlN3c104HalfES8_S8_E_St5arrayIPcLm4EEEEviT0_T1_
; %bb.0:
	s_clause 0x1
	s_load_b32 s3, s[0:1], 0x0
	s_load_b256 s[4:11], s[0:1], 0x8
	s_wait_xcnt 0x0
	s_bfe_u32 s0, ttmp6, 0x4000c
	s_and_b32 s1, ttmp6, 15
	s_add_co_i32 s0, s0, 1
	s_getreg_b32 s2, hwreg(HW_REG_IB_STS2, 6, 4)
	s_mul_i32 s0, ttmp9, s0
	s_delay_alu instid0(SALU_CYCLE_1) | instskip(SKIP_2) | instid1(SALU_CYCLE_1)
	s_add_co_i32 s1, s1, s0
	s_cmp_eq_u32 s2, 0
	s_cselect_b32 s0, ttmp9, s1
	s_lshl_b32 s2, s0, 11
	s_mov_b32 s0, -1
	s_wait_kmcnt 0x0
	s_sub_co_i32 s12, s3, s2
	s_delay_alu instid0(SALU_CYCLE_1)
	s_cmp_gt_i32 s12, 0x7ff
	s_cbranch_scc0 .LBB152_2
; %bb.1:
	s_ashr_i32 s3, s2, 31
	s_delay_alu instid0(SALU_CYCLE_1) | instskip(NEXT) | instid1(SALU_CYCLE_1)
	s_lshl_b64 s[0:1], s[2:3], 1
	s_add_nc_u64 s[14:15], s[8:9], s[0:1]
	s_add_nc_u64 s[16:17], s[6:7], s[0:1]
	s_clause 0x1
	global_load_b128 v[2:5], v0, s[14:15] scale_offset
	global_load_b128 v[6:9], v0, s[16:17] scale_offset
	s_wait_xcnt 0x1
	s_add_nc_u64 s[14:15], s[10:11], s[0:1]
	global_load_b128 v[10:13], v0, s[14:15] scale_offset
	s_wait_xcnt 0x0
	s_add_nc_u64 s[14:15], s[4:5], s[0:1]
	s_mov_b32 s0, 0
	s_wait_loadcnt 0x2
	v_dual_lshrrev_b32 v1, 16, v2 :: v_dual_lshrrev_b32 v17, 16, v3
	s_wait_loadcnt 0x1
	v_cmp_gt_f16_e32 vcc_lo, v6, v2
	v_lshrrev_b32_e32 v14, 16, v6
	s_wait_loadcnt 0x0
	v_dual_lshrrev_b32 v16, 16, v10 :: v_dual_lshrrev_b32 v18, 16, v7
	v_dual_lshrrev_b32 v20, 16, v11 :: v_dual_lshrrev_b32 v22, 16, v8
	v_cndmask_b32_e32 v15, v2, v6, vcc_lo
	v_cmp_gt_f16_e32 vcc_lo, v7, v3
	v_dual_lshrrev_b32 v24, 16, v12 :: v_dual_lshrrev_b32 v26, 16, v9
	v_dual_lshrrev_b32 v21, 16, v4 :: v_dual_lshrrev_b32 v25, 16, v5
	v_cndmask_b32_e32 v19, v3, v7, vcc_lo
	v_cmp_gt_f16_e32 vcc_lo, v8, v4
	v_cndmask_b32_e32 v23, v4, v8, vcc_lo
	v_cmp_gt_f16_e32 vcc_lo, v9, v5
	;; [unrolled: 2-line block ×3, first 2 shown]
	v_dual_cndmask_b32 v29, v1, v14 :: v_dual_lshrrev_b32 v28, 16, v13
	v_cmp_lt_f16_e32 vcc_lo, v15, v10
	v_cndmask_b32_e32 v15, v10, v15, vcc_lo
	v_cmp_gt_f16_e32 vcc_lo, v18, v17
	v_cndmask_b32_e32 v30, v17, v18, vcc_lo
	v_cmp_lt_f16_e32 vcc_lo, v19, v11
	v_cndmask_b32_e32 v19, v11, v19, vcc_lo
	v_cmp_gt_f16_e32 vcc_lo, v22, v21
	v_cndmask_b32_e32 v31, v21, v22, vcc_lo
	;; [unrolled: 4-line block ×3, first 2 shown]
	v_cmp_lt_f16_e32 vcc_lo, v27, v13
	v_cndmask_b32_e32 v27, v13, v27, vcc_lo
	v_cmp_lt_f16_e32 vcc_lo, v29, v16
	v_cndmask_b32_e32 v29, v16, v29, vcc_lo
	v_cmp_u_f16_e32 vcc_lo, v10, v10
	v_cndmask_b32_e32 v10, v15, v10, vcc_lo
	v_cmp_lt_f16_e32 vcc_lo, v30, v20
	v_cndmask_b32_e32 v15, v20, v30, vcc_lo
	v_cmp_u_f16_e32 vcc_lo, v11, v11
	;; [unrolled: 4-line block ×4, first 2 shown]
	v_cndmask_b32_e32 v13, v27, v13, vcc_lo
	v_cmp_u_f16_e32 vcc_lo, v16, v16
	v_cndmask_b32_e32 v16, v29, v16, vcc_lo
	v_cmp_u_f16_e32 vcc_lo, v2, v2
	;; [unrolled: 2-line block ×18, first 2 shown]
	s_delay_alu instid0(VALU_DEP_2) | instskip(SKIP_2) | instid1(VALU_DEP_2)
	v_perm_b32 v3, v6, v3, 0x5040100
	v_cndmask_b32_e32 v8, v8, v26, vcc_lo
	v_cmp_u_f16_e32 vcc_lo, v22, v22
	v_perm_b32 v5, v8, v5, 0x5040100
	v_cndmask_b32_e32 v7, v7, v22, vcc_lo
	v_cmp_u_f16_e32 vcc_lo, v14, v14
	s_delay_alu instid0(VALU_DEP_2) | instskip(SKIP_1) | instid1(VALU_DEP_1)
	v_perm_b32 v4, v7, v4, 0x5040100
	v_cndmask_b32_e32 v1, v1, v14, vcc_lo
	v_perm_b32 v2, v1, v2, 0x5040100
	global_store_b128 v0, v[2:5], s[14:15] scale_offset
.LBB152_2:
	s_and_not1_b32 vcc_lo, exec_lo, s0
	s_cbranch_vccnz .LBB152_43
; %bb.3:
	v_cmp_gt_i32_e32 vcc_lo, s12, v0
	s_wait_xcnt 0x0
	v_dual_mov_b32 v3, 0 :: v_dual_bitop2_b32 v1, s2, v0 bitop3:0x54
	v_or_b32_e32 v2, 0x100, v0
	v_dual_mov_b32 v6, 0 :: v_dual_mov_b32 v7, 0
	v_dual_mov_b32 v8, 0 :: v_dual_mov_b32 v22, v0
	s_and_saveexec_b32 s0, vcc_lo
	s_cbranch_execz .LBB152_5
; %bb.4:
	s_clause 0x2
	global_load_u16 v6, v1, s[6:7] scale_offset
	global_load_u16 v7, v1, s[8:9] scale_offset
	;; [unrolled: 1-line block ×3, first 2 shown]
	v_or_b32_e32 v22, 0x100, v0
.LBB152_5:
	s_wait_xcnt 0x0
	s_or_b32 exec_lo, exec_lo, s0
	v_dual_mov_b32 v10, 0 :: v_dual_mov_b32 v12, 0
	s_mov_b32 s1, exec_lo
	v_cmpx_gt_i32_e64 s12, v22
	s_cbranch_execz .LBB152_7
; %bb.6:
	v_add_nc_u32_e32 v4, s2, v22
	v_add_nc_u32_e32 v22, 0x100, v22
	s_clause 0x2
	global_load_u16 v3, v4, s[6:7] scale_offset
	global_load_u16 v10, v4, s[8:9] scale_offset
	global_load_u16 v12, v4, s[10:11] scale_offset
.LBB152_7:
	s_wait_xcnt 0x0
	s_or_b32 exec_lo, exec_lo, s1
	v_dual_mov_b32 v4, 0 :: v_dual_mov_b32 v11, 0
	v_dual_mov_b32 v13, 0 :: v_dual_mov_b32 v14, 0
	s_mov_b32 s1, exec_lo
	v_cmpx_gt_i32_e64 s12, v22
	s_cbranch_execz .LBB152_9
; %bb.8:
	v_add_nc_u32_e32 v5, s2, v22
	v_add_nc_u32_e32 v22, 0x100, v22
	s_clause 0x2
	global_load_u16 v11, v5, s[6:7] scale_offset
	global_load_u16 v13, v5, s[8:9] scale_offset
	global_load_u16 v14, v5, s[10:11] scale_offset
.LBB152_9:
	s_wait_xcnt 0x0
	s_or_b32 exec_lo, exec_lo, s1
	v_dual_mov_b32 v15, 0 :: v_dual_mov_b32 v17, 0
	s_mov_b32 s1, exec_lo
	v_cmpx_gt_i32_e64 s12, v22
	s_cbranch_execz .LBB152_11
; %bb.10:
	v_add_nc_u32_e32 v5, s2, v22
	v_add_nc_u32_e32 v22, 0x100, v22
	s_clause 0x2
	global_load_u16 v4, v5, s[6:7] scale_offset
	global_load_u16 v15, v5, s[8:9] scale_offset
	global_load_u16 v17, v5, s[10:11] scale_offset
.LBB152_11:
	s_wait_xcnt 0x0
	s_or_b32 exec_lo, exec_lo, s1
	v_dual_mov_b32 v5, 0 :: v_dual_mov_b32 v16, 0
	v_dual_mov_b32 v18, 0 :: v_dual_mov_b32 v19, 0
	s_mov_b32 s1, exec_lo
	v_cmpx_gt_i32_e64 s12, v22
	s_cbranch_execz .LBB152_13
; %bb.12:
	v_add_nc_u32_e32 v9, s2, v22
	v_add_nc_u32_e32 v22, 0x100, v22
	s_clause 0x2
	global_load_u16 v16, v9, s[6:7] scale_offset
	global_load_u16 v18, v9, s[8:9] scale_offset
	global_load_u16 v19, v9, s[10:11] scale_offset
.LBB152_13:
	;; [unrolled: 29-line block ×3, first 2 shown]
	s_wait_xcnt 0x0
	s_or_b32 exec_lo, exec_lo, s1
	v_dual_mov_b32 v26, 0 :: v_dual_mov_b32 v27, 0
	s_mov_b32 s1, exec_lo
	v_cmpx_gt_i32_e64 s12, v22
	s_cbranch_execz .LBB152_19
; %bb.18:
	v_add_nc_u32_e32 v22, s2, v22
	s_clause 0x2
	global_load_u16 v9, v22, s[6:7] scale_offset
	global_load_u16 v26, v22, s[8:9] scale_offset
	;; [unrolled: 1-line block ×3, first 2 shown]
	s_wait_xcnt 0x0
	s_or_b32 exec_lo, exec_lo, s1
                                        ; implicit-def: $vgpr22
	s_and_saveexec_b32 s1, vcc_lo
	s_cbranch_execz .LBB152_21
	s_branch .LBB152_20
.LBB152_19:
	s_or_b32 exec_lo, exec_lo, s1
                                        ; implicit-def: $vgpr22
	s_and_saveexec_b32 s1, vcc_lo
	s_cbranch_execz .LBB152_21
.LBB152_20:
	s_wait_loadcnt 0x1
	v_cmp_gt_f16_e64 s0, v6, v7
	s_delay_alu instid0(VALU_DEP_1) | instskip(SKIP_1) | instid1(VALU_DEP_1)
	v_cndmask_b32_e64 v22, v7, v6, s0
	s_wait_loadcnt 0x0
	v_cmp_lt_f16_e64 s0, v22, v8
	s_delay_alu instid0(VALU_DEP_1) | instskip(SKIP_1) | instid1(VALU_DEP_1)
	v_cndmask_b32_e64 v22, v8, v22, s0
	v_cmp_u_f16_e64 s0, v8, v8
	v_cndmask_b32_e64 v8, v22, v8, s0
	v_cmp_u_f16_e64 s0, v7, v7
	s_delay_alu instid0(VALU_DEP_1) | instskip(SKIP_1) | instid1(VALU_DEP_1)
	v_cndmask_b32_e64 v7, v8, v7, s0
	v_cmp_u_f16_e64 s0, v6, v6
	v_cndmask_b32_e64 v22, v7, v6, s0
.LBB152_21:
	s_or_b32 exec_lo, exec_lo, s1
	s_delay_alu instid0(SALU_CYCLE_1)
	s_mov_b32 s1, exec_lo
                                        ; implicit-def: $vgpr6
	v_cmpx_gt_i32_e64 s12, v2
	s_cbranch_execz .LBB152_23
; %bb.22:
	s_wait_loadcnt 0x1
	v_cmp_gt_f16_e64 s0, v3, v10
	s_delay_alu instid0(VALU_DEP_1) | instskip(SKIP_1) | instid1(VALU_DEP_1)
	v_cndmask_b32_e64 v6, v10, v3, s0
	s_wait_loadcnt 0x0
	v_cmp_lt_f16_e64 s0, v6, v12
	s_delay_alu instid0(VALU_DEP_1) | instskip(SKIP_1) | instid1(VALU_DEP_1)
	v_cndmask_b32_e64 v6, v12, v6, s0
	v_cmp_u_f16_e64 s0, v12, v12
	v_cndmask_b32_e64 v6, v6, v12, s0
	v_cmp_u_f16_e64 s0, v10, v10
	s_delay_alu instid0(VALU_DEP_1) | instskip(SKIP_1) | instid1(VALU_DEP_1)
	v_cndmask_b32_e64 v6, v6, v10, s0
	v_cmp_u_f16_e64 s0, v3, v3
	v_cndmask_b32_e64 v6, v6, v3, s0
.LBB152_23:
	s_or_b32 exec_lo, exec_lo, s1
	s_wait_loadcnt 0x2
	v_or_b32_e32 v3, 0x200, v0
	s_delay_alu instid0(VALU_DEP_1)
	v_cmp_gt_i32_e64 s0, s12, v3
                                        ; implicit-def: $vgpr3
	s_and_saveexec_b32 s1, s0
	s_cbranch_execz .LBB152_25
; %bb.24:
	s_wait_loadcnt 0x1
	v_cmp_gt_f16_e64 s0, v11, v13
	s_delay_alu instid0(VALU_DEP_1) | instskip(SKIP_1) | instid1(VALU_DEP_1)
	v_cndmask_b32_e64 v3, v13, v11, s0
	s_wait_loadcnt 0x0
	v_cmp_lt_f16_e64 s0, v3, v14
	s_delay_alu instid0(VALU_DEP_1) | instskip(SKIP_1) | instid1(VALU_DEP_1)
	v_cndmask_b32_e64 v3, v14, v3, s0
	v_cmp_u_f16_e64 s0, v14, v14
	v_cndmask_b32_e64 v3, v3, v14, s0
	v_cmp_u_f16_e64 s0, v13, v13
	s_delay_alu instid0(VALU_DEP_1) | instskip(SKIP_1) | instid1(VALU_DEP_1)
	v_cndmask_b32_e64 v3, v3, v13, s0
	v_cmp_u_f16_e64 s0, v11, v11
	v_cndmask_b32_e64 v3, v3, v11, s0
.LBB152_25:
	s_or_b32 exec_lo, exec_lo, s1
	s_wait_loadcnt 0x1
	v_or_b32_e32 v7, 0x300, v0
	s_delay_alu instid0(VALU_DEP_1)
	v_cmp_gt_i32_e64 s0, s12, v7
                                        ; implicit-def: $vgpr7
	s_and_saveexec_b32 s1, s0
	s_cbranch_execz .LBB152_27
; %bb.26:
	v_cmp_gt_f16_e64 s0, v4, v15
	s_delay_alu instid0(VALU_DEP_1) | instskip(SKIP_1) | instid1(VALU_DEP_1)
	v_cndmask_b32_e64 v7, v15, v4, s0
	s_wait_loadcnt 0x0
	v_cmp_lt_f16_e64 s0, v7, v17
	s_delay_alu instid0(VALU_DEP_1) | instskip(SKIP_1) | instid1(VALU_DEP_1)
	v_cndmask_b32_e64 v7, v17, v7, s0
	v_cmp_u_f16_e64 s0, v17, v17
	v_cndmask_b32_e64 v7, v7, v17, s0
	v_cmp_u_f16_e64 s0, v15, v15
	s_delay_alu instid0(VALU_DEP_1) | instskip(SKIP_1) | instid1(VALU_DEP_1)
	v_cndmask_b32_e64 v7, v7, v15, s0
	v_cmp_u_f16_e64 s0, v4, v4
	v_cndmask_b32_e64 v7, v7, v4, s0
.LBB152_27:
	s_or_b32 exec_lo, exec_lo, s1
	v_or_b32_e32 v4, 0x400, v0
	s_delay_alu instid0(VALU_DEP_1)
	v_cmp_gt_i32_e64 s0, s12, v4
                                        ; implicit-def: $vgpr4
	s_and_saveexec_b32 s1, s0
	s_cbranch_execz .LBB152_29
; %bb.28:
	v_cmp_gt_f16_e64 s0, v16, v18
	s_delay_alu instid0(VALU_DEP_1) | instskip(SKIP_1) | instid1(VALU_DEP_1)
	v_cndmask_b32_e64 v4, v18, v16, s0
	s_wait_loadcnt 0x0
	v_cmp_lt_f16_e64 s0, v4, v19
	s_delay_alu instid0(VALU_DEP_1) | instskip(SKIP_1) | instid1(VALU_DEP_1)
	v_cndmask_b32_e64 v4, v19, v4, s0
	v_cmp_u_f16_e64 s0, v19, v19
	v_cndmask_b32_e64 v4, v4, v19, s0
	v_cmp_u_f16_e64 s0, v18, v18
	s_delay_alu instid0(VALU_DEP_1) | instskip(SKIP_1) | instid1(VALU_DEP_1)
	v_cndmask_b32_e64 v4, v4, v18, s0
	v_cmp_u_f16_e64 s0, v16, v16
	v_cndmask_b32_e64 v4, v4, v16, s0
.LBB152_29:
	s_or_b32 exec_lo, exec_lo, s1
	s_wait_loadcnt 0x0
	v_or_b32_e32 v8, 0x500, v0
	s_delay_alu instid0(VALU_DEP_1)
	v_cmp_gt_i32_e64 s0, s12, v8
                                        ; implicit-def: $vgpr8
	s_and_saveexec_b32 s1, s0
	s_cbranch_execz .LBB152_31
; %bb.30:
	v_cmp_gt_f16_e64 s0, v5, v20
	s_delay_alu instid0(VALU_DEP_1) | instskip(NEXT) | instid1(VALU_DEP_1)
	v_cndmask_b32_e64 v8, v20, v5, s0
	v_cmp_lt_f16_e64 s0, v8, v23
	s_delay_alu instid0(VALU_DEP_1) | instskip(SKIP_1) | instid1(VALU_DEP_1)
	v_cndmask_b32_e64 v8, v23, v8, s0
	v_cmp_u_f16_e64 s0, v23, v23
	v_cndmask_b32_e64 v8, v8, v23, s0
	v_cmp_u_f16_e64 s0, v20, v20
	s_delay_alu instid0(VALU_DEP_1) | instskip(SKIP_1) | instid1(VALU_DEP_1)
	v_cndmask_b32_e64 v8, v8, v20, s0
	v_cmp_u_f16_e64 s0, v5, v5
	v_cndmask_b32_e64 v8, v8, v5, s0
.LBB152_31:
	s_or_b32 exec_lo, exec_lo, s1
	v_or_b32_e32 v5, 0x600, v0
	s_delay_alu instid0(VALU_DEP_1)
	v_cmp_gt_i32_e64 s0, s12, v5
                                        ; implicit-def: $vgpr5
	s_and_saveexec_b32 s1, s0
	s_cbranch_execz .LBB152_33
; %bb.32:
	v_cmp_gt_f16_e64 s0, v21, v24
	s_delay_alu instid0(VALU_DEP_1) | instskip(NEXT) | instid1(VALU_DEP_1)
	v_cndmask_b32_e64 v5, v24, v21, s0
	v_cmp_lt_f16_e64 s0, v5, v25
	s_delay_alu instid0(VALU_DEP_1) | instskip(SKIP_1) | instid1(VALU_DEP_1)
	v_cndmask_b32_e64 v5, v25, v5, s0
	v_cmp_u_f16_e64 s0, v25, v25
	v_cndmask_b32_e64 v5, v5, v25, s0
	v_cmp_u_f16_e64 s0, v24, v24
	s_delay_alu instid0(VALU_DEP_1) | instskip(SKIP_1) | instid1(VALU_DEP_1)
	v_cndmask_b32_e64 v5, v5, v24, s0
	v_cmp_u_f16_e64 s0, v21, v21
	v_cndmask_b32_e64 v5, v5, v21, s0
.LBB152_33:
	s_or_b32 exec_lo, exec_lo, s1
	v_or_b32_e32 v10, 0x700, v0
	s_delay_alu instid0(VALU_DEP_1)
	v_cmp_gt_i32_e64 s0, s12, v10
                                        ; implicit-def: $vgpr10
	s_and_saveexec_b32 s1, s0
	s_cbranch_execz .LBB152_44
; %bb.34:
	v_cmp_gt_f16_e64 s0, v9, v26
	s_delay_alu instid0(VALU_DEP_1) | instskip(NEXT) | instid1(VALU_DEP_1)
	v_cndmask_b32_e64 v10, v26, v9, s0
	v_cmp_lt_f16_e64 s0, v10, v27
	s_delay_alu instid0(VALU_DEP_1) | instskip(SKIP_1) | instid1(VALU_DEP_1)
	v_cndmask_b32_e64 v10, v27, v10, s0
	v_cmp_u_f16_e64 s0, v27, v27
	v_cndmask_b32_e64 v10, v10, v27, s0
	v_cmp_u_f16_e64 s0, v26, v26
	s_delay_alu instid0(VALU_DEP_1) | instskip(SKIP_1) | instid1(VALU_DEP_1)
	v_cndmask_b32_e64 v10, v10, v26, s0
	v_cmp_u_f16_e64 s0, v9, v9
	v_cndmask_b32_e64 v10, v10, v9, s0
	s_or_b32 exec_lo, exec_lo, s1
	s_and_saveexec_b32 s0, vcc_lo
	s_delay_alu instid0(SALU_CYCLE_1)
	s_xor_b32 s0, exec_lo, s0
	s_cbranch_execnz .LBB152_45
.LBB152_35:
	s_or_b32 exec_lo, exec_lo, s0
	s_delay_alu instid0(SALU_CYCLE_1)
	s_mov_b32 s0, exec_lo
	v_cmpx_gt_i32_e64 s12, v0
	s_cbranch_execz .LBB152_46
.LBB152_36:
	v_add_nc_u32_e32 v1, s2, v0
	v_add_nc_u32_e32 v0, 0x100, v0
	global_store_b16 v1, v6, s[4:5] scale_offset
	s_wait_xcnt 0x0
	s_or_b32 exec_lo, exec_lo, s0
	s_delay_alu instid0(SALU_CYCLE_1)
	s_mov_b32 s0, exec_lo
	v_cmpx_gt_i32_e64 s12, v0
	s_cbranch_execnz .LBB152_47
.LBB152_37:
	s_or_b32 exec_lo, exec_lo, s0
	s_delay_alu instid0(SALU_CYCLE_1)
	s_mov_b32 s0, exec_lo
	v_cmpx_gt_i32_e64 s12, v0
	s_cbranch_execz .LBB152_48
.LBB152_38:
	v_add_nc_u32_e32 v1, s2, v0
	v_add_nc_u32_e32 v0, 0x100, v0
	global_store_b16 v1, v7, s[4:5] scale_offset
	s_wait_xcnt 0x0
	s_or_b32 exec_lo, exec_lo, s0
	s_delay_alu instid0(SALU_CYCLE_1)
	s_mov_b32 s0, exec_lo
	v_cmpx_gt_i32_e64 s12, v0
	s_cbranch_execnz .LBB152_49
.LBB152_39:
	s_or_b32 exec_lo, exec_lo, s0
	s_delay_alu instid0(SALU_CYCLE_1)
	s_mov_b32 s0, exec_lo
	v_cmpx_gt_i32_e64 s12, v0
	s_cbranch_execz .LBB152_50
.LBB152_40:
	v_add_nc_u32_e32 v1, s2, v0
	v_add_nc_u32_e32 v0, 0x100, v0
	global_store_b16 v1, v8, s[4:5] scale_offset
	s_wait_xcnt 0x0
	s_or_b32 exec_lo, exec_lo, s0
	s_delay_alu instid0(SALU_CYCLE_1)
	s_mov_b32 s0, exec_lo
	v_cmpx_gt_i32_e64 s12, v0
	s_cbranch_execnz .LBB152_51
.LBB152_41:
	s_or_b32 exec_lo, exec_lo, s0
	s_delay_alu instid0(SALU_CYCLE_1)
	s_mov_b32 s0, exec_lo
	v_cmpx_gt_i32_e64 s12, v0
	s_cbranch_execz .LBB152_43
.LBB152_42:
	v_add_nc_u32_e32 v0, s2, v0
	global_store_b16 v0, v10, s[4:5] scale_offset
.LBB152_43:
	s_endpgm
.LBB152_44:
	s_or_b32 exec_lo, exec_lo, s1
	s_and_saveexec_b32 s0, vcc_lo
	s_delay_alu instid0(SALU_CYCLE_1)
	s_xor_b32 s0, exec_lo, s0
	s_cbranch_execz .LBB152_35
.LBB152_45:
	v_mov_b32_e32 v0, v2
	global_store_b16 v1, v22, s[4:5] scale_offset
	s_wait_xcnt 0x0
	s_or_b32 exec_lo, exec_lo, s0
	s_delay_alu instid0(SALU_CYCLE_1)
	s_mov_b32 s0, exec_lo
	v_cmpx_gt_i32_e64 s12, v0
	s_cbranch_execnz .LBB152_36
.LBB152_46:
	s_or_b32 exec_lo, exec_lo, s0
	s_delay_alu instid0(SALU_CYCLE_1)
	s_mov_b32 s0, exec_lo
	v_cmpx_gt_i32_e64 s12, v0
	s_cbranch_execz .LBB152_37
.LBB152_47:
	v_add_nc_u32_e32 v1, s2, v0
	v_add_nc_u32_e32 v0, 0x100, v0
	global_store_b16 v1, v3, s[4:5] scale_offset
	s_wait_xcnt 0x0
	s_or_b32 exec_lo, exec_lo, s0
	s_delay_alu instid0(SALU_CYCLE_1)
	s_mov_b32 s0, exec_lo
	v_cmpx_gt_i32_e64 s12, v0
	s_cbranch_execnz .LBB152_38
.LBB152_48:
	s_or_b32 exec_lo, exec_lo, s0
	s_delay_alu instid0(SALU_CYCLE_1)
	s_mov_b32 s0, exec_lo
	v_cmpx_gt_i32_e64 s12, v0
	s_cbranch_execz .LBB152_39
.LBB152_49:
	v_add_nc_u32_e32 v1, s2, v0
	v_add_nc_u32_e32 v0, 0x100, v0
	global_store_b16 v1, v4, s[4:5] scale_offset
	s_wait_xcnt 0x0
	s_or_b32 exec_lo, exec_lo, s0
	s_delay_alu instid0(SALU_CYCLE_1)
	s_mov_b32 s0, exec_lo
	v_cmpx_gt_i32_e64 s12, v0
	s_cbranch_execnz .LBB152_40
.LBB152_50:
	s_or_b32 exec_lo, exec_lo, s0
	s_delay_alu instid0(SALU_CYCLE_1)
	s_mov_b32 s0, exec_lo
	v_cmpx_gt_i32_e64 s12, v0
	s_cbranch_execz .LBB152_41
.LBB152_51:
	v_add_nc_u32_e32 v1, s2, v0
	v_add_nc_u32_e32 v0, 0x100, v0
	global_store_b16 v1, v5, s[4:5] scale_offset
	s_wait_xcnt 0x0
	s_or_b32 exec_lo, exec_lo, s0
	s_delay_alu instid0(SALU_CYCLE_1)
	s_mov_b32 s0, exec_lo
	v_cmpx_gt_i32_e64 s12, v0
	s_cbranch_execnz .LBB152_42
	s_branch .LBB152_43
	.section	.rodata,"a",@progbits
	.p2align	6, 0x0
	.amdhsa_kernel _ZN2at6native29vectorized_elementwise_kernelILi16EZZZNS0_12_GLOBAL__N_117clamp_kernel_implERNS_18TensorIteratorBaseEENKUlvE_clEvENKUlvE6_clEvEUlN3c104HalfES8_S8_E_St5arrayIPcLm4EEEEviT0_T1_
		.amdhsa_group_segment_fixed_size 0
		.amdhsa_private_segment_fixed_size 0
		.amdhsa_kernarg_size 40
		.amdhsa_user_sgpr_count 2
		.amdhsa_user_sgpr_dispatch_ptr 0
		.amdhsa_user_sgpr_queue_ptr 0
		.amdhsa_user_sgpr_kernarg_segment_ptr 1
		.amdhsa_user_sgpr_dispatch_id 0
		.amdhsa_user_sgpr_kernarg_preload_length 0
		.amdhsa_user_sgpr_kernarg_preload_offset 0
		.amdhsa_user_sgpr_private_segment_size 0
		.amdhsa_wavefront_size32 1
		.amdhsa_uses_dynamic_stack 0
		.amdhsa_enable_private_segment 0
		.amdhsa_system_sgpr_workgroup_id_x 1
		.amdhsa_system_sgpr_workgroup_id_y 0
		.amdhsa_system_sgpr_workgroup_id_z 0
		.amdhsa_system_sgpr_workgroup_info 0
		.amdhsa_system_vgpr_workitem_id 0
		.amdhsa_next_free_vgpr 33
		.amdhsa_next_free_sgpr 18
		.amdhsa_named_barrier_count 0
		.amdhsa_reserve_vcc 1
		.amdhsa_float_round_mode_32 0
		.amdhsa_float_round_mode_16_64 0
		.amdhsa_float_denorm_mode_32 3
		.amdhsa_float_denorm_mode_16_64 3
		.amdhsa_fp16_overflow 0
		.amdhsa_memory_ordered 1
		.amdhsa_forward_progress 1
		.amdhsa_inst_pref_size 24
		.amdhsa_round_robin_scheduling 0
		.amdhsa_exception_fp_ieee_invalid_op 0
		.amdhsa_exception_fp_denorm_src 0
		.amdhsa_exception_fp_ieee_div_zero 0
		.amdhsa_exception_fp_ieee_overflow 0
		.amdhsa_exception_fp_ieee_underflow 0
		.amdhsa_exception_fp_ieee_inexact 0
		.amdhsa_exception_int_div_zero 0
	.end_amdhsa_kernel
	.section	.text._ZN2at6native29vectorized_elementwise_kernelILi16EZZZNS0_12_GLOBAL__N_117clamp_kernel_implERNS_18TensorIteratorBaseEENKUlvE_clEvENKUlvE6_clEvEUlN3c104HalfES8_S8_E_St5arrayIPcLm4EEEEviT0_T1_,"axG",@progbits,_ZN2at6native29vectorized_elementwise_kernelILi16EZZZNS0_12_GLOBAL__N_117clamp_kernel_implERNS_18TensorIteratorBaseEENKUlvE_clEvENKUlvE6_clEvEUlN3c104HalfES8_S8_E_St5arrayIPcLm4EEEEviT0_T1_,comdat
.Lfunc_end152:
	.size	_ZN2at6native29vectorized_elementwise_kernelILi16EZZZNS0_12_GLOBAL__N_117clamp_kernel_implERNS_18TensorIteratorBaseEENKUlvE_clEvENKUlvE6_clEvEUlN3c104HalfES8_S8_E_St5arrayIPcLm4EEEEviT0_T1_, .Lfunc_end152-_ZN2at6native29vectorized_elementwise_kernelILi16EZZZNS0_12_GLOBAL__N_117clamp_kernel_implERNS_18TensorIteratorBaseEENKUlvE_clEvENKUlvE6_clEvEUlN3c104HalfES8_S8_E_St5arrayIPcLm4EEEEviT0_T1_
                                        ; -- End function
	.set _ZN2at6native29vectorized_elementwise_kernelILi16EZZZNS0_12_GLOBAL__N_117clamp_kernel_implERNS_18TensorIteratorBaseEENKUlvE_clEvENKUlvE6_clEvEUlN3c104HalfES8_S8_E_St5arrayIPcLm4EEEEviT0_T1_.num_vgpr, 33
	.set _ZN2at6native29vectorized_elementwise_kernelILi16EZZZNS0_12_GLOBAL__N_117clamp_kernel_implERNS_18TensorIteratorBaseEENKUlvE_clEvENKUlvE6_clEvEUlN3c104HalfES8_S8_E_St5arrayIPcLm4EEEEviT0_T1_.num_agpr, 0
	.set _ZN2at6native29vectorized_elementwise_kernelILi16EZZZNS0_12_GLOBAL__N_117clamp_kernel_implERNS_18TensorIteratorBaseEENKUlvE_clEvENKUlvE6_clEvEUlN3c104HalfES8_S8_E_St5arrayIPcLm4EEEEviT0_T1_.numbered_sgpr, 18
	.set _ZN2at6native29vectorized_elementwise_kernelILi16EZZZNS0_12_GLOBAL__N_117clamp_kernel_implERNS_18TensorIteratorBaseEENKUlvE_clEvENKUlvE6_clEvEUlN3c104HalfES8_S8_E_St5arrayIPcLm4EEEEviT0_T1_.num_named_barrier, 0
	.set _ZN2at6native29vectorized_elementwise_kernelILi16EZZZNS0_12_GLOBAL__N_117clamp_kernel_implERNS_18TensorIteratorBaseEENKUlvE_clEvENKUlvE6_clEvEUlN3c104HalfES8_S8_E_St5arrayIPcLm4EEEEviT0_T1_.private_seg_size, 0
	.set _ZN2at6native29vectorized_elementwise_kernelILi16EZZZNS0_12_GLOBAL__N_117clamp_kernel_implERNS_18TensorIteratorBaseEENKUlvE_clEvENKUlvE6_clEvEUlN3c104HalfES8_S8_E_St5arrayIPcLm4EEEEviT0_T1_.uses_vcc, 1
	.set _ZN2at6native29vectorized_elementwise_kernelILi16EZZZNS0_12_GLOBAL__N_117clamp_kernel_implERNS_18TensorIteratorBaseEENKUlvE_clEvENKUlvE6_clEvEUlN3c104HalfES8_S8_E_St5arrayIPcLm4EEEEviT0_T1_.uses_flat_scratch, 0
	.set _ZN2at6native29vectorized_elementwise_kernelILi16EZZZNS0_12_GLOBAL__N_117clamp_kernel_implERNS_18TensorIteratorBaseEENKUlvE_clEvENKUlvE6_clEvEUlN3c104HalfES8_S8_E_St5arrayIPcLm4EEEEviT0_T1_.has_dyn_sized_stack, 0
	.set _ZN2at6native29vectorized_elementwise_kernelILi16EZZZNS0_12_GLOBAL__N_117clamp_kernel_implERNS_18TensorIteratorBaseEENKUlvE_clEvENKUlvE6_clEvEUlN3c104HalfES8_S8_E_St5arrayIPcLm4EEEEviT0_T1_.has_recursion, 0
	.set _ZN2at6native29vectorized_elementwise_kernelILi16EZZZNS0_12_GLOBAL__N_117clamp_kernel_implERNS_18TensorIteratorBaseEENKUlvE_clEvENKUlvE6_clEvEUlN3c104HalfES8_S8_E_St5arrayIPcLm4EEEEviT0_T1_.has_indirect_call, 0
	.section	.AMDGPU.csdata,"",@progbits
; Kernel info:
; codeLenInByte = 2988
; TotalNumSgprs: 20
; NumVgprs: 33
; ScratchSize: 0
; MemoryBound: 0
; FloatMode: 240
; IeeeMode: 1
; LDSByteSize: 0 bytes/workgroup (compile time only)
; SGPRBlocks: 0
; VGPRBlocks: 2
; NumSGPRsForWavesPerEU: 20
; NumVGPRsForWavesPerEU: 33
; NamedBarCnt: 0
; Occupancy: 16
; WaveLimiterHint : 0
; COMPUTE_PGM_RSRC2:SCRATCH_EN: 0
; COMPUTE_PGM_RSRC2:USER_SGPR: 2
; COMPUTE_PGM_RSRC2:TRAP_HANDLER: 0
; COMPUTE_PGM_RSRC2:TGID_X_EN: 1
; COMPUTE_PGM_RSRC2:TGID_Y_EN: 0
; COMPUTE_PGM_RSRC2:TGID_Z_EN: 0
; COMPUTE_PGM_RSRC2:TIDIG_COMP_CNT: 0
	.section	.text._ZN2at6native29vectorized_elementwise_kernelILi8EZZZNS0_12_GLOBAL__N_117clamp_kernel_implERNS_18TensorIteratorBaseEENKUlvE_clEvENKUlvE6_clEvEUlN3c104HalfES8_S8_E_St5arrayIPcLm4EEEEviT0_T1_,"axG",@progbits,_ZN2at6native29vectorized_elementwise_kernelILi8EZZZNS0_12_GLOBAL__N_117clamp_kernel_implERNS_18TensorIteratorBaseEENKUlvE_clEvENKUlvE6_clEvEUlN3c104HalfES8_S8_E_St5arrayIPcLm4EEEEviT0_T1_,comdat
	.globl	_ZN2at6native29vectorized_elementwise_kernelILi8EZZZNS0_12_GLOBAL__N_117clamp_kernel_implERNS_18TensorIteratorBaseEENKUlvE_clEvENKUlvE6_clEvEUlN3c104HalfES8_S8_E_St5arrayIPcLm4EEEEviT0_T1_ ; -- Begin function _ZN2at6native29vectorized_elementwise_kernelILi8EZZZNS0_12_GLOBAL__N_117clamp_kernel_implERNS_18TensorIteratorBaseEENKUlvE_clEvENKUlvE6_clEvEUlN3c104HalfES8_S8_E_St5arrayIPcLm4EEEEviT0_T1_
	.p2align	8
	.type	_ZN2at6native29vectorized_elementwise_kernelILi8EZZZNS0_12_GLOBAL__N_117clamp_kernel_implERNS_18TensorIteratorBaseEENKUlvE_clEvENKUlvE6_clEvEUlN3c104HalfES8_S8_E_St5arrayIPcLm4EEEEviT0_T1_,@function
_ZN2at6native29vectorized_elementwise_kernelILi8EZZZNS0_12_GLOBAL__N_117clamp_kernel_implERNS_18TensorIteratorBaseEENKUlvE_clEvENKUlvE6_clEvEUlN3c104HalfES8_S8_E_St5arrayIPcLm4EEEEviT0_T1_: ; @_ZN2at6native29vectorized_elementwise_kernelILi8EZZZNS0_12_GLOBAL__N_117clamp_kernel_implERNS_18TensorIteratorBaseEENKUlvE_clEvENKUlvE6_clEvEUlN3c104HalfES8_S8_E_St5arrayIPcLm4EEEEviT0_T1_
; %bb.0:
	s_clause 0x1
	s_load_b32 s3, s[0:1], 0x0
	s_load_b256 s[4:11], s[0:1], 0x8
	s_wait_xcnt 0x0
	s_bfe_u32 s0, ttmp6, 0x4000c
	s_and_b32 s1, ttmp6, 15
	s_add_co_i32 s0, s0, 1
	s_getreg_b32 s2, hwreg(HW_REG_IB_STS2, 6, 4)
	s_mul_i32 s0, ttmp9, s0
	s_delay_alu instid0(SALU_CYCLE_1) | instskip(SKIP_2) | instid1(SALU_CYCLE_1)
	s_add_co_i32 s1, s1, s0
	s_cmp_eq_u32 s2, 0
	s_cselect_b32 s0, ttmp9, s1
	s_lshl_b32 s2, s0, 11
	s_mov_b32 s0, -1
	s_wait_kmcnt 0x0
	s_sub_co_i32 s12, s3, s2
	s_delay_alu instid0(SALU_CYCLE_1)
	s_cmp_gt_i32 s12, 0x7ff
	s_cbranch_scc0 .LBB153_2
; %bb.1:
	s_ashr_i32 s3, s2, 31
	s_delay_alu instid0(SALU_CYCLE_1) | instskip(NEXT) | instid1(SALU_CYCLE_1)
	s_lshl_b64 s[0:1], s[2:3], 1
	s_add_nc_u64 s[14:15], s[8:9], s[0:1]
	s_add_nc_u64 s[16:17], s[6:7], s[0:1]
	s_clause 0x1
	global_load_b128 v[2:5], v0, s[14:15] scale_offset
	global_load_b128 v[6:9], v0, s[16:17] scale_offset
	s_wait_xcnt 0x1
	s_add_nc_u64 s[14:15], s[10:11], s[0:1]
	global_load_b128 v[10:13], v0, s[14:15] scale_offset
	s_wait_xcnt 0x0
	s_add_nc_u64 s[14:15], s[4:5], s[0:1]
	s_mov_b32 s0, 0
	s_wait_loadcnt 0x2
	v_dual_lshrrev_b32 v1, 16, v2 :: v_dual_lshrrev_b32 v17, 16, v3
	s_wait_loadcnt 0x1
	v_cmp_gt_f16_e32 vcc_lo, v6, v2
	v_lshrrev_b32_e32 v14, 16, v6
	s_wait_loadcnt 0x0
	v_dual_lshrrev_b32 v16, 16, v10 :: v_dual_lshrrev_b32 v18, 16, v7
	v_dual_lshrrev_b32 v20, 16, v11 :: v_dual_lshrrev_b32 v22, 16, v8
	v_cndmask_b32_e32 v15, v2, v6, vcc_lo
	v_cmp_gt_f16_e32 vcc_lo, v7, v3
	v_dual_lshrrev_b32 v24, 16, v12 :: v_dual_lshrrev_b32 v26, 16, v9
	v_dual_lshrrev_b32 v21, 16, v4 :: v_dual_lshrrev_b32 v25, 16, v5
	v_cndmask_b32_e32 v19, v3, v7, vcc_lo
	v_cmp_gt_f16_e32 vcc_lo, v8, v4
	v_cndmask_b32_e32 v23, v4, v8, vcc_lo
	v_cmp_gt_f16_e32 vcc_lo, v9, v5
	;; [unrolled: 2-line block ×3, first 2 shown]
	v_dual_cndmask_b32 v29, v1, v14 :: v_dual_lshrrev_b32 v28, 16, v13
	v_cmp_lt_f16_e32 vcc_lo, v15, v10
	v_cndmask_b32_e32 v15, v10, v15, vcc_lo
	v_cmp_gt_f16_e32 vcc_lo, v18, v17
	v_cndmask_b32_e32 v30, v17, v18, vcc_lo
	v_cmp_lt_f16_e32 vcc_lo, v19, v11
	v_cndmask_b32_e32 v19, v11, v19, vcc_lo
	v_cmp_gt_f16_e32 vcc_lo, v22, v21
	v_cndmask_b32_e32 v31, v21, v22, vcc_lo
	;; [unrolled: 4-line block ×3, first 2 shown]
	v_cmp_lt_f16_e32 vcc_lo, v27, v13
	v_cndmask_b32_e32 v27, v13, v27, vcc_lo
	v_cmp_lt_f16_e32 vcc_lo, v29, v16
	v_cndmask_b32_e32 v29, v16, v29, vcc_lo
	v_cmp_u_f16_e32 vcc_lo, v10, v10
	v_cndmask_b32_e32 v10, v15, v10, vcc_lo
	v_cmp_lt_f16_e32 vcc_lo, v30, v20
	v_cndmask_b32_e32 v15, v20, v30, vcc_lo
	v_cmp_u_f16_e32 vcc_lo, v11, v11
	;; [unrolled: 4-line block ×4, first 2 shown]
	v_cndmask_b32_e32 v13, v27, v13, vcc_lo
	v_cmp_u_f16_e32 vcc_lo, v16, v16
	v_cndmask_b32_e32 v16, v29, v16, vcc_lo
	v_cmp_u_f16_e32 vcc_lo, v2, v2
	v_cndmask_b32_e32 v2, v10, v2, vcc_lo
	v_cmp_u_f16_e32 vcc_lo, v20, v20
	v_cndmask_b32_e32 v10, v15, v20, vcc_lo
	v_cmp_u_f16_e32 vcc_lo, v3, v3
	v_cndmask_b32_e32 v3, v11, v3, vcc_lo
	v_cmp_u_f16_e32 vcc_lo, v24, v24
	v_cndmask_b32_e32 v11, v19, v24, vcc_lo
	v_cmp_u_f16_e32 vcc_lo, v4, v4
	v_cndmask_b32_e32 v4, v12, v4, vcc_lo
	v_cmp_u_f16_e32 vcc_lo, v28, v28
	v_cndmask_b32_e32 v12, v23, v28, vcc_lo
	v_cmp_u_f16_e32 vcc_lo, v5, v5
	v_cndmask_b32_e32 v5, v13, v5, vcc_lo
	v_cmp_u_f16_e32 vcc_lo, v1, v1
	v_cndmask_b32_e32 v1, v16, v1, vcc_lo
	v_cmp_u_f16_e32 vcc_lo, v6, v6
	v_cndmask_b32_e32 v2, v2, v6, vcc_lo
	v_cmp_u_f16_e32 vcc_lo, v17, v17
	v_cndmask_b32_e32 v6, v10, v17, vcc_lo
	v_cmp_u_f16_e32 vcc_lo, v7, v7
	v_cndmask_b32_e32 v3, v3, v7, vcc_lo
	v_cmp_u_f16_e32 vcc_lo, v21, v21
	v_cndmask_b32_e32 v7, v11, v21, vcc_lo
	v_cmp_u_f16_e32 vcc_lo, v8, v8
	v_cndmask_b32_e32 v4, v4, v8, vcc_lo
	v_cmp_u_f16_e32 vcc_lo, v25, v25
	v_cndmask_b32_e32 v8, v12, v25, vcc_lo
	v_cmp_u_f16_e32 vcc_lo, v9, v9
	v_cndmask_b32_e32 v5, v5, v9, vcc_lo
	v_cmp_u_f16_e32 vcc_lo, v18, v18
	v_cndmask_b32_e32 v6, v6, v18, vcc_lo
	v_cmp_u_f16_e32 vcc_lo, v26, v26
	s_delay_alu instid0(VALU_DEP_2) | instskip(SKIP_2) | instid1(VALU_DEP_2)
	v_perm_b32 v3, v6, v3, 0x5040100
	v_cndmask_b32_e32 v8, v8, v26, vcc_lo
	v_cmp_u_f16_e32 vcc_lo, v22, v22
	v_perm_b32 v5, v8, v5, 0x5040100
	v_cndmask_b32_e32 v7, v7, v22, vcc_lo
	v_cmp_u_f16_e32 vcc_lo, v14, v14
	s_delay_alu instid0(VALU_DEP_2) | instskip(SKIP_1) | instid1(VALU_DEP_1)
	v_perm_b32 v4, v7, v4, 0x5040100
	v_cndmask_b32_e32 v1, v1, v14, vcc_lo
	v_perm_b32 v2, v1, v2, 0x5040100
	global_store_b128 v0, v[2:5], s[14:15] scale_offset
.LBB153_2:
	s_and_not1_b32 vcc_lo, exec_lo, s0
	s_cbranch_vccnz .LBB153_43
; %bb.3:
	v_cmp_gt_i32_e32 vcc_lo, s12, v0
	s_wait_xcnt 0x0
	v_dual_mov_b32 v3, 0 :: v_dual_bitop2_b32 v1, s2, v0 bitop3:0x54
	v_or_b32_e32 v2, 0x100, v0
	v_dual_mov_b32 v6, 0 :: v_dual_mov_b32 v7, 0
	v_dual_mov_b32 v8, 0 :: v_dual_mov_b32 v22, v0
	s_and_saveexec_b32 s0, vcc_lo
	s_cbranch_execz .LBB153_5
; %bb.4:
	s_clause 0x2
	global_load_u16 v6, v1, s[6:7] scale_offset
	global_load_u16 v7, v1, s[8:9] scale_offset
	;; [unrolled: 1-line block ×3, first 2 shown]
	v_or_b32_e32 v22, 0x100, v0
.LBB153_5:
	s_wait_xcnt 0x0
	s_or_b32 exec_lo, exec_lo, s0
	v_dual_mov_b32 v10, 0 :: v_dual_mov_b32 v12, 0
	s_mov_b32 s1, exec_lo
	v_cmpx_gt_i32_e64 s12, v22
	s_cbranch_execz .LBB153_7
; %bb.6:
	v_add_nc_u32_e32 v4, s2, v22
	v_add_nc_u32_e32 v22, 0x100, v22
	s_clause 0x2
	global_load_u16 v3, v4, s[6:7] scale_offset
	global_load_u16 v10, v4, s[8:9] scale_offset
	global_load_u16 v12, v4, s[10:11] scale_offset
.LBB153_7:
	s_wait_xcnt 0x0
	s_or_b32 exec_lo, exec_lo, s1
	v_dual_mov_b32 v4, 0 :: v_dual_mov_b32 v11, 0
	v_dual_mov_b32 v13, 0 :: v_dual_mov_b32 v14, 0
	s_mov_b32 s1, exec_lo
	v_cmpx_gt_i32_e64 s12, v22
	s_cbranch_execz .LBB153_9
; %bb.8:
	v_add_nc_u32_e32 v5, s2, v22
	v_add_nc_u32_e32 v22, 0x100, v22
	s_clause 0x2
	global_load_u16 v11, v5, s[6:7] scale_offset
	global_load_u16 v13, v5, s[8:9] scale_offset
	global_load_u16 v14, v5, s[10:11] scale_offset
.LBB153_9:
	s_wait_xcnt 0x0
	s_or_b32 exec_lo, exec_lo, s1
	v_dual_mov_b32 v15, 0 :: v_dual_mov_b32 v17, 0
	s_mov_b32 s1, exec_lo
	v_cmpx_gt_i32_e64 s12, v22
	s_cbranch_execz .LBB153_11
; %bb.10:
	v_add_nc_u32_e32 v5, s2, v22
	v_add_nc_u32_e32 v22, 0x100, v22
	s_clause 0x2
	global_load_u16 v4, v5, s[6:7] scale_offset
	global_load_u16 v15, v5, s[8:9] scale_offset
	global_load_u16 v17, v5, s[10:11] scale_offset
.LBB153_11:
	s_wait_xcnt 0x0
	s_or_b32 exec_lo, exec_lo, s1
	v_dual_mov_b32 v5, 0 :: v_dual_mov_b32 v16, 0
	v_dual_mov_b32 v18, 0 :: v_dual_mov_b32 v19, 0
	s_mov_b32 s1, exec_lo
	v_cmpx_gt_i32_e64 s12, v22
	s_cbranch_execz .LBB153_13
; %bb.12:
	v_add_nc_u32_e32 v9, s2, v22
	v_add_nc_u32_e32 v22, 0x100, v22
	s_clause 0x2
	global_load_u16 v16, v9, s[6:7] scale_offset
	global_load_u16 v18, v9, s[8:9] scale_offset
	global_load_u16 v19, v9, s[10:11] scale_offset
.LBB153_13:
	s_wait_xcnt 0x0
	s_or_b32 exec_lo, exec_lo, s1
	v_dual_mov_b32 v20, 0 :: v_dual_mov_b32 v23, 0
	s_mov_b32 s1, exec_lo
	v_cmpx_gt_i32_e64 s12, v22
	s_cbranch_execz .LBB153_15
; %bb.14:
	v_add_nc_u32_e32 v9, s2, v22
	v_add_nc_u32_e32 v22, 0x100, v22
	s_clause 0x2
	global_load_u16 v5, v9, s[6:7] scale_offset
	global_load_u16 v20, v9, s[8:9] scale_offset
	global_load_u16 v23, v9, s[10:11] scale_offset
.LBB153_15:
	s_wait_xcnt 0x0
	s_or_b32 exec_lo, exec_lo, s1
	v_dual_mov_b32 v9, 0 :: v_dual_mov_b32 v21, 0
	v_dual_mov_b32 v24, 0 :: v_dual_mov_b32 v25, 0
	s_mov_b32 s1, exec_lo
	v_cmpx_gt_i32_e64 s12, v22
	s_cbranch_execz .LBB153_17
; %bb.16:
	v_add_nc_u32_e32 v26, s2, v22
	v_add_nc_u32_e32 v22, 0x100, v22
	s_clause 0x2
	global_load_u16 v21, v26, s[6:7] scale_offset
	global_load_u16 v24, v26, s[8:9] scale_offset
	global_load_u16 v25, v26, s[10:11] scale_offset
.LBB153_17:
	s_wait_xcnt 0x0
	s_or_b32 exec_lo, exec_lo, s1
	v_dual_mov_b32 v26, 0 :: v_dual_mov_b32 v27, 0
	s_mov_b32 s1, exec_lo
	v_cmpx_gt_i32_e64 s12, v22
	s_cbranch_execz .LBB153_19
; %bb.18:
	v_add_nc_u32_e32 v22, s2, v22
	s_clause 0x2
	global_load_u16 v9, v22, s[6:7] scale_offset
	global_load_u16 v26, v22, s[8:9] scale_offset
	;; [unrolled: 1-line block ×3, first 2 shown]
	s_wait_xcnt 0x0
	s_or_b32 exec_lo, exec_lo, s1
                                        ; implicit-def: $vgpr22
	s_and_saveexec_b32 s1, vcc_lo
	s_cbranch_execz .LBB153_21
	s_branch .LBB153_20
.LBB153_19:
	s_or_b32 exec_lo, exec_lo, s1
                                        ; implicit-def: $vgpr22
	s_and_saveexec_b32 s1, vcc_lo
	s_cbranch_execz .LBB153_21
.LBB153_20:
	s_wait_loadcnt 0x1
	v_cmp_gt_f16_e64 s0, v6, v7
	s_delay_alu instid0(VALU_DEP_1) | instskip(SKIP_1) | instid1(VALU_DEP_1)
	v_cndmask_b32_e64 v22, v7, v6, s0
	s_wait_loadcnt 0x0
	v_cmp_lt_f16_e64 s0, v22, v8
	s_delay_alu instid0(VALU_DEP_1) | instskip(SKIP_1) | instid1(VALU_DEP_1)
	v_cndmask_b32_e64 v22, v8, v22, s0
	v_cmp_u_f16_e64 s0, v8, v8
	v_cndmask_b32_e64 v8, v22, v8, s0
	v_cmp_u_f16_e64 s0, v7, v7
	s_delay_alu instid0(VALU_DEP_1) | instskip(SKIP_1) | instid1(VALU_DEP_1)
	v_cndmask_b32_e64 v7, v8, v7, s0
	v_cmp_u_f16_e64 s0, v6, v6
	v_cndmask_b32_e64 v22, v7, v6, s0
.LBB153_21:
	s_or_b32 exec_lo, exec_lo, s1
	s_delay_alu instid0(SALU_CYCLE_1)
	s_mov_b32 s1, exec_lo
                                        ; implicit-def: $vgpr6
	v_cmpx_gt_i32_e64 s12, v2
	s_cbranch_execz .LBB153_23
; %bb.22:
	s_wait_loadcnt 0x1
	v_cmp_gt_f16_e64 s0, v3, v10
	s_delay_alu instid0(VALU_DEP_1) | instskip(SKIP_1) | instid1(VALU_DEP_1)
	v_cndmask_b32_e64 v6, v10, v3, s0
	s_wait_loadcnt 0x0
	v_cmp_lt_f16_e64 s0, v6, v12
	s_delay_alu instid0(VALU_DEP_1) | instskip(SKIP_1) | instid1(VALU_DEP_1)
	v_cndmask_b32_e64 v6, v12, v6, s0
	v_cmp_u_f16_e64 s0, v12, v12
	v_cndmask_b32_e64 v6, v6, v12, s0
	v_cmp_u_f16_e64 s0, v10, v10
	s_delay_alu instid0(VALU_DEP_1) | instskip(SKIP_1) | instid1(VALU_DEP_1)
	v_cndmask_b32_e64 v6, v6, v10, s0
	v_cmp_u_f16_e64 s0, v3, v3
	v_cndmask_b32_e64 v6, v6, v3, s0
.LBB153_23:
	s_or_b32 exec_lo, exec_lo, s1
	s_wait_loadcnt 0x2
	v_or_b32_e32 v3, 0x200, v0
	s_delay_alu instid0(VALU_DEP_1)
	v_cmp_gt_i32_e64 s0, s12, v3
                                        ; implicit-def: $vgpr3
	s_and_saveexec_b32 s1, s0
	s_cbranch_execz .LBB153_25
; %bb.24:
	s_wait_loadcnt 0x1
	v_cmp_gt_f16_e64 s0, v11, v13
	s_delay_alu instid0(VALU_DEP_1) | instskip(SKIP_1) | instid1(VALU_DEP_1)
	v_cndmask_b32_e64 v3, v13, v11, s0
	s_wait_loadcnt 0x0
	v_cmp_lt_f16_e64 s0, v3, v14
	s_delay_alu instid0(VALU_DEP_1) | instskip(SKIP_1) | instid1(VALU_DEP_1)
	v_cndmask_b32_e64 v3, v14, v3, s0
	v_cmp_u_f16_e64 s0, v14, v14
	v_cndmask_b32_e64 v3, v3, v14, s0
	v_cmp_u_f16_e64 s0, v13, v13
	s_delay_alu instid0(VALU_DEP_1) | instskip(SKIP_1) | instid1(VALU_DEP_1)
	v_cndmask_b32_e64 v3, v3, v13, s0
	v_cmp_u_f16_e64 s0, v11, v11
	v_cndmask_b32_e64 v3, v3, v11, s0
.LBB153_25:
	s_or_b32 exec_lo, exec_lo, s1
	s_wait_loadcnt 0x1
	v_or_b32_e32 v7, 0x300, v0
	s_delay_alu instid0(VALU_DEP_1)
	v_cmp_gt_i32_e64 s0, s12, v7
                                        ; implicit-def: $vgpr7
	s_and_saveexec_b32 s1, s0
	s_cbranch_execz .LBB153_27
; %bb.26:
	v_cmp_gt_f16_e64 s0, v4, v15
	s_delay_alu instid0(VALU_DEP_1) | instskip(SKIP_1) | instid1(VALU_DEP_1)
	v_cndmask_b32_e64 v7, v15, v4, s0
	s_wait_loadcnt 0x0
	v_cmp_lt_f16_e64 s0, v7, v17
	s_delay_alu instid0(VALU_DEP_1) | instskip(SKIP_1) | instid1(VALU_DEP_1)
	v_cndmask_b32_e64 v7, v17, v7, s0
	v_cmp_u_f16_e64 s0, v17, v17
	v_cndmask_b32_e64 v7, v7, v17, s0
	v_cmp_u_f16_e64 s0, v15, v15
	s_delay_alu instid0(VALU_DEP_1) | instskip(SKIP_1) | instid1(VALU_DEP_1)
	v_cndmask_b32_e64 v7, v7, v15, s0
	v_cmp_u_f16_e64 s0, v4, v4
	v_cndmask_b32_e64 v7, v7, v4, s0
.LBB153_27:
	s_or_b32 exec_lo, exec_lo, s1
	v_or_b32_e32 v4, 0x400, v0
	s_delay_alu instid0(VALU_DEP_1)
	v_cmp_gt_i32_e64 s0, s12, v4
                                        ; implicit-def: $vgpr4
	s_and_saveexec_b32 s1, s0
	s_cbranch_execz .LBB153_29
; %bb.28:
	v_cmp_gt_f16_e64 s0, v16, v18
	s_delay_alu instid0(VALU_DEP_1) | instskip(SKIP_1) | instid1(VALU_DEP_1)
	v_cndmask_b32_e64 v4, v18, v16, s0
	s_wait_loadcnt 0x0
	v_cmp_lt_f16_e64 s0, v4, v19
	s_delay_alu instid0(VALU_DEP_1) | instskip(SKIP_1) | instid1(VALU_DEP_1)
	v_cndmask_b32_e64 v4, v19, v4, s0
	v_cmp_u_f16_e64 s0, v19, v19
	v_cndmask_b32_e64 v4, v4, v19, s0
	v_cmp_u_f16_e64 s0, v18, v18
	s_delay_alu instid0(VALU_DEP_1) | instskip(SKIP_1) | instid1(VALU_DEP_1)
	v_cndmask_b32_e64 v4, v4, v18, s0
	v_cmp_u_f16_e64 s0, v16, v16
	v_cndmask_b32_e64 v4, v4, v16, s0
.LBB153_29:
	s_or_b32 exec_lo, exec_lo, s1
	s_wait_loadcnt 0x0
	v_or_b32_e32 v8, 0x500, v0
	s_delay_alu instid0(VALU_DEP_1)
	v_cmp_gt_i32_e64 s0, s12, v8
                                        ; implicit-def: $vgpr8
	s_and_saveexec_b32 s1, s0
	s_cbranch_execz .LBB153_31
; %bb.30:
	v_cmp_gt_f16_e64 s0, v5, v20
	s_delay_alu instid0(VALU_DEP_1) | instskip(NEXT) | instid1(VALU_DEP_1)
	v_cndmask_b32_e64 v8, v20, v5, s0
	v_cmp_lt_f16_e64 s0, v8, v23
	s_delay_alu instid0(VALU_DEP_1) | instskip(SKIP_1) | instid1(VALU_DEP_1)
	v_cndmask_b32_e64 v8, v23, v8, s0
	v_cmp_u_f16_e64 s0, v23, v23
	v_cndmask_b32_e64 v8, v8, v23, s0
	v_cmp_u_f16_e64 s0, v20, v20
	s_delay_alu instid0(VALU_DEP_1) | instskip(SKIP_1) | instid1(VALU_DEP_1)
	v_cndmask_b32_e64 v8, v8, v20, s0
	v_cmp_u_f16_e64 s0, v5, v5
	v_cndmask_b32_e64 v8, v8, v5, s0
.LBB153_31:
	s_or_b32 exec_lo, exec_lo, s1
	v_or_b32_e32 v5, 0x600, v0
	s_delay_alu instid0(VALU_DEP_1)
	v_cmp_gt_i32_e64 s0, s12, v5
                                        ; implicit-def: $vgpr5
	s_and_saveexec_b32 s1, s0
	s_cbranch_execz .LBB153_33
; %bb.32:
	v_cmp_gt_f16_e64 s0, v21, v24
	s_delay_alu instid0(VALU_DEP_1) | instskip(NEXT) | instid1(VALU_DEP_1)
	v_cndmask_b32_e64 v5, v24, v21, s0
	v_cmp_lt_f16_e64 s0, v5, v25
	s_delay_alu instid0(VALU_DEP_1) | instskip(SKIP_1) | instid1(VALU_DEP_1)
	v_cndmask_b32_e64 v5, v25, v5, s0
	v_cmp_u_f16_e64 s0, v25, v25
	v_cndmask_b32_e64 v5, v5, v25, s0
	v_cmp_u_f16_e64 s0, v24, v24
	s_delay_alu instid0(VALU_DEP_1) | instskip(SKIP_1) | instid1(VALU_DEP_1)
	v_cndmask_b32_e64 v5, v5, v24, s0
	v_cmp_u_f16_e64 s0, v21, v21
	v_cndmask_b32_e64 v5, v5, v21, s0
.LBB153_33:
	s_or_b32 exec_lo, exec_lo, s1
	v_or_b32_e32 v10, 0x700, v0
	s_delay_alu instid0(VALU_DEP_1)
	v_cmp_gt_i32_e64 s0, s12, v10
                                        ; implicit-def: $vgpr10
	s_and_saveexec_b32 s1, s0
	s_cbranch_execz .LBB153_44
; %bb.34:
	v_cmp_gt_f16_e64 s0, v9, v26
	s_delay_alu instid0(VALU_DEP_1) | instskip(NEXT) | instid1(VALU_DEP_1)
	v_cndmask_b32_e64 v10, v26, v9, s0
	v_cmp_lt_f16_e64 s0, v10, v27
	s_delay_alu instid0(VALU_DEP_1) | instskip(SKIP_1) | instid1(VALU_DEP_1)
	v_cndmask_b32_e64 v10, v27, v10, s0
	v_cmp_u_f16_e64 s0, v27, v27
	v_cndmask_b32_e64 v10, v10, v27, s0
	v_cmp_u_f16_e64 s0, v26, v26
	s_delay_alu instid0(VALU_DEP_1) | instskip(SKIP_1) | instid1(VALU_DEP_1)
	v_cndmask_b32_e64 v10, v10, v26, s0
	v_cmp_u_f16_e64 s0, v9, v9
	v_cndmask_b32_e64 v10, v10, v9, s0
	s_or_b32 exec_lo, exec_lo, s1
	s_and_saveexec_b32 s0, vcc_lo
	s_delay_alu instid0(SALU_CYCLE_1)
	s_xor_b32 s0, exec_lo, s0
	s_cbranch_execnz .LBB153_45
.LBB153_35:
	s_or_b32 exec_lo, exec_lo, s0
	s_delay_alu instid0(SALU_CYCLE_1)
	s_mov_b32 s0, exec_lo
	v_cmpx_gt_i32_e64 s12, v0
	s_cbranch_execz .LBB153_46
.LBB153_36:
	v_add_nc_u32_e32 v1, s2, v0
	v_add_nc_u32_e32 v0, 0x100, v0
	global_store_b16 v1, v6, s[4:5] scale_offset
	s_wait_xcnt 0x0
	s_or_b32 exec_lo, exec_lo, s0
	s_delay_alu instid0(SALU_CYCLE_1)
	s_mov_b32 s0, exec_lo
	v_cmpx_gt_i32_e64 s12, v0
	s_cbranch_execnz .LBB153_47
.LBB153_37:
	s_or_b32 exec_lo, exec_lo, s0
	s_delay_alu instid0(SALU_CYCLE_1)
	s_mov_b32 s0, exec_lo
	v_cmpx_gt_i32_e64 s12, v0
	s_cbranch_execz .LBB153_48
.LBB153_38:
	v_add_nc_u32_e32 v1, s2, v0
	v_add_nc_u32_e32 v0, 0x100, v0
	global_store_b16 v1, v7, s[4:5] scale_offset
	s_wait_xcnt 0x0
	s_or_b32 exec_lo, exec_lo, s0
	s_delay_alu instid0(SALU_CYCLE_1)
	s_mov_b32 s0, exec_lo
	v_cmpx_gt_i32_e64 s12, v0
	s_cbranch_execnz .LBB153_49
.LBB153_39:
	s_or_b32 exec_lo, exec_lo, s0
	s_delay_alu instid0(SALU_CYCLE_1)
	s_mov_b32 s0, exec_lo
	v_cmpx_gt_i32_e64 s12, v0
	s_cbranch_execz .LBB153_50
.LBB153_40:
	v_add_nc_u32_e32 v1, s2, v0
	v_add_nc_u32_e32 v0, 0x100, v0
	global_store_b16 v1, v8, s[4:5] scale_offset
	s_wait_xcnt 0x0
	s_or_b32 exec_lo, exec_lo, s0
	s_delay_alu instid0(SALU_CYCLE_1)
	s_mov_b32 s0, exec_lo
	v_cmpx_gt_i32_e64 s12, v0
	s_cbranch_execnz .LBB153_51
.LBB153_41:
	s_or_b32 exec_lo, exec_lo, s0
	s_delay_alu instid0(SALU_CYCLE_1)
	s_mov_b32 s0, exec_lo
	v_cmpx_gt_i32_e64 s12, v0
	s_cbranch_execz .LBB153_43
.LBB153_42:
	v_add_nc_u32_e32 v0, s2, v0
	global_store_b16 v0, v10, s[4:5] scale_offset
.LBB153_43:
	s_endpgm
.LBB153_44:
	s_or_b32 exec_lo, exec_lo, s1
	s_and_saveexec_b32 s0, vcc_lo
	s_delay_alu instid0(SALU_CYCLE_1)
	s_xor_b32 s0, exec_lo, s0
	s_cbranch_execz .LBB153_35
.LBB153_45:
	v_mov_b32_e32 v0, v2
	global_store_b16 v1, v22, s[4:5] scale_offset
	s_wait_xcnt 0x0
	s_or_b32 exec_lo, exec_lo, s0
	s_delay_alu instid0(SALU_CYCLE_1)
	s_mov_b32 s0, exec_lo
	v_cmpx_gt_i32_e64 s12, v0
	s_cbranch_execnz .LBB153_36
.LBB153_46:
	s_or_b32 exec_lo, exec_lo, s0
	s_delay_alu instid0(SALU_CYCLE_1)
	s_mov_b32 s0, exec_lo
	v_cmpx_gt_i32_e64 s12, v0
	s_cbranch_execz .LBB153_37
.LBB153_47:
	v_add_nc_u32_e32 v1, s2, v0
	v_add_nc_u32_e32 v0, 0x100, v0
	global_store_b16 v1, v3, s[4:5] scale_offset
	s_wait_xcnt 0x0
	s_or_b32 exec_lo, exec_lo, s0
	s_delay_alu instid0(SALU_CYCLE_1)
	s_mov_b32 s0, exec_lo
	v_cmpx_gt_i32_e64 s12, v0
	s_cbranch_execnz .LBB153_38
.LBB153_48:
	s_or_b32 exec_lo, exec_lo, s0
	s_delay_alu instid0(SALU_CYCLE_1)
	s_mov_b32 s0, exec_lo
	v_cmpx_gt_i32_e64 s12, v0
	s_cbranch_execz .LBB153_39
.LBB153_49:
	v_add_nc_u32_e32 v1, s2, v0
	v_add_nc_u32_e32 v0, 0x100, v0
	global_store_b16 v1, v4, s[4:5] scale_offset
	s_wait_xcnt 0x0
	s_or_b32 exec_lo, exec_lo, s0
	s_delay_alu instid0(SALU_CYCLE_1)
	s_mov_b32 s0, exec_lo
	v_cmpx_gt_i32_e64 s12, v0
	s_cbranch_execnz .LBB153_40
.LBB153_50:
	s_or_b32 exec_lo, exec_lo, s0
	s_delay_alu instid0(SALU_CYCLE_1)
	s_mov_b32 s0, exec_lo
	v_cmpx_gt_i32_e64 s12, v0
	s_cbranch_execz .LBB153_41
.LBB153_51:
	v_add_nc_u32_e32 v1, s2, v0
	v_add_nc_u32_e32 v0, 0x100, v0
	global_store_b16 v1, v5, s[4:5] scale_offset
	s_wait_xcnt 0x0
	s_or_b32 exec_lo, exec_lo, s0
	s_delay_alu instid0(SALU_CYCLE_1)
	s_mov_b32 s0, exec_lo
	v_cmpx_gt_i32_e64 s12, v0
	s_cbranch_execnz .LBB153_42
	s_branch .LBB153_43
	.section	.rodata,"a",@progbits
	.p2align	6, 0x0
	.amdhsa_kernel _ZN2at6native29vectorized_elementwise_kernelILi8EZZZNS0_12_GLOBAL__N_117clamp_kernel_implERNS_18TensorIteratorBaseEENKUlvE_clEvENKUlvE6_clEvEUlN3c104HalfES8_S8_E_St5arrayIPcLm4EEEEviT0_T1_
		.amdhsa_group_segment_fixed_size 0
		.amdhsa_private_segment_fixed_size 0
		.amdhsa_kernarg_size 40
		.amdhsa_user_sgpr_count 2
		.amdhsa_user_sgpr_dispatch_ptr 0
		.amdhsa_user_sgpr_queue_ptr 0
		.amdhsa_user_sgpr_kernarg_segment_ptr 1
		.amdhsa_user_sgpr_dispatch_id 0
		.amdhsa_user_sgpr_kernarg_preload_length 0
		.amdhsa_user_sgpr_kernarg_preload_offset 0
		.amdhsa_user_sgpr_private_segment_size 0
		.amdhsa_wavefront_size32 1
		.amdhsa_uses_dynamic_stack 0
		.amdhsa_enable_private_segment 0
		.amdhsa_system_sgpr_workgroup_id_x 1
		.amdhsa_system_sgpr_workgroup_id_y 0
		.amdhsa_system_sgpr_workgroup_id_z 0
		.amdhsa_system_sgpr_workgroup_info 0
		.amdhsa_system_vgpr_workitem_id 0
		.amdhsa_next_free_vgpr 33
		.amdhsa_next_free_sgpr 18
		.amdhsa_named_barrier_count 0
		.amdhsa_reserve_vcc 1
		.amdhsa_float_round_mode_32 0
		.amdhsa_float_round_mode_16_64 0
		.amdhsa_float_denorm_mode_32 3
		.amdhsa_float_denorm_mode_16_64 3
		.amdhsa_fp16_overflow 0
		.amdhsa_memory_ordered 1
		.amdhsa_forward_progress 1
		.amdhsa_inst_pref_size 24
		.amdhsa_round_robin_scheduling 0
		.amdhsa_exception_fp_ieee_invalid_op 0
		.amdhsa_exception_fp_denorm_src 0
		.amdhsa_exception_fp_ieee_div_zero 0
		.amdhsa_exception_fp_ieee_overflow 0
		.amdhsa_exception_fp_ieee_underflow 0
		.amdhsa_exception_fp_ieee_inexact 0
		.amdhsa_exception_int_div_zero 0
	.end_amdhsa_kernel
	.section	.text._ZN2at6native29vectorized_elementwise_kernelILi8EZZZNS0_12_GLOBAL__N_117clamp_kernel_implERNS_18TensorIteratorBaseEENKUlvE_clEvENKUlvE6_clEvEUlN3c104HalfES8_S8_E_St5arrayIPcLm4EEEEviT0_T1_,"axG",@progbits,_ZN2at6native29vectorized_elementwise_kernelILi8EZZZNS0_12_GLOBAL__N_117clamp_kernel_implERNS_18TensorIteratorBaseEENKUlvE_clEvENKUlvE6_clEvEUlN3c104HalfES8_S8_E_St5arrayIPcLm4EEEEviT0_T1_,comdat
.Lfunc_end153:
	.size	_ZN2at6native29vectorized_elementwise_kernelILi8EZZZNS0_12_GLOBAL__N_117clamp_kernel_implERNS_18TensorIteratorBaseEENKUlvE_clEvENKUlvE6_clEvEUlN3c104HalfES8_S8_E_St5arrayIPcLm4EEEEviT0_T1_, .Lfunc_end153-_ZN2at6native29vectorized_elementwise_kernelILi8EZZZNS0_12_GLOBAL__N_117clamp_kernel_implERNS_18TensorIteratorBaseEENKUlvE_clEvENKUlvE6_clEvEUlN3c104HalfES8_S8_E_St5arrayIPcLm4EEEEviT0_T1_
                                        ; -- End function
	.set _ZN2at6native29vectorized_elementwise_kernelILi8EZZZNS0_12_GLOBAL__N_117clamp_kernel_implERNS_18TensorIteratorBaseEENKUlvE_clEvENKUlvE6_clEvEUlN3c104HalfES8_S8_E_St5arrayIPcLm4EEEEviT0_T1_.num_vgpr, 33
	.set _ZN2at6native29vectorized_elementwise_kernelILi8EZZZNS0_12_GLOBAL__N_117clamp_kernel_implERNS_18TensorIteratorBaseEENKUlvE_clEvENKUlvE6_clEvEUlN3c104HalfES8_S8_E_St5arrayIPcLm4EEEEviT0_T1_.num_agpr, 0
	.set _ZN2at6native29vectorized_elementwise_kernelILi8EZZZNS0_12_GLOBAL__N_117clamp_kernel_implERNS_18TensorIteratorBaseEENKUlvE_clEvENKUlvE6_clEvEUlN3c104HalfES8_S8_E_St5arrayIPcLm4EEEEviT0_T1_.numbered_sgpr, 18
	.set _ZN2at6native29vectorized_elementwise_kernelILi8EZZZNS0_12_GLOBAL__N_117clamp_kernel_implERNS_18TensorIteratorBaseEENKUlvE_clEvENKUlvE6_clEvEUlN3c104HalfES8_S8_E_St5arrayIPcLm4EEEEviT0_T1_.num_named_barrier, 0
	.set _ZN2at6native29vectorized_elementwise_kernelILi8EZZZNS0_12_GLOBAL__N_117clamp_kernel_implERNS_18TensorIteratorBaseEENKUlvE_clEvENKUlvE6_clEvEUlN3c104HalfES8_S8_E_St5arrayIPcLm4EEEEviT0_T1_.private_seg_size, 0
	.set _ZN2at6native29vectorized_elementwise_kernelILi8EZZZNS0_12_GLOBAL__N_117clamp_kernel_implERNS_18TensorIteratorBaseEENKUlvE_clEvENKUlvE6_clEvEUlN3c104HalfES8_S8_E_St5arrayIPcLm4EEEEviT0_T1_.uses_vcc, 1
	.set _ZN2at6native29vectorized_elementwise_kernelILi8EZZZNS0_12_GLOBAL__N_117clamp_kernel_implERNS_18TensorIteratorBaseEENKUlvE_clEvENKUlvE6_clEvEUlN3c104HalfES8_S8_E_St5arrayIPcLm4EEEEviT0_T1_.uses_flat_scratch, 0
	.set _ZN2at6native29vectorized_elementwise_kernelILi8EZZZNS0_12_GLOBAL__N_117clamp_kernel_implERNS_18TensorIteratorBaseEENKUlvE_clEvENKUlvE6_clEvEUlN3c104HalfES8_S8_E_St5arrayIPcLm4EEEEviT0_T1_.has_dyn_sized_stack, 0
	.set _ZN2at6native29vectorized_elementwise_kernelILi8EZZZNS0_12_GLOBAL__N_117clamp_kernel_implERNS_18TensorIteratorBaseEENKUlvE_clEvENKUlvE6_clEvEUlN3c104HalfES8_S8_E_St5arrayIPcLm4EEEEviT0_T1_.has_recursion, 0
	.set _ZN2at6native29vectorized_elementwise_kernelILi8EZZZNS0_12_GLOBAL__N_117clamp_kernel_implERNS_18TensorIteratorBaseEENKUlvE_clEvENKUlvE6_clEvEUlN3c104HalfES8_S8_E_St5arrayIPcLm4EEEEviT0_T1_.has_indirect_call, 0
	.section	.AMDGPU.csdata,"",@progbits
; Kernel info:
; codeLenInByte = 2988
; TotalNumSgprs: 20
; NumVgprs: 33
; ScratchSize: 0
; MemoryBound: 0
; FloatMode: 240
; IeeeMode: 1
; LDSByteSize: 0 bytes/workgroup (compile time only)
; SGPRBlocks: 0
; VGPRBlocks: 2
; NumSGPRsForWavesPerEU: 20
; NumVGPRsForWavesPerEU: 33
; NamedBarCnt: 0
; Occupancy: 16
; WaveLimiterHint : 0
; COMPUTE_PGM_RSRC2:SCRATCH_EN: 0
; COMPUTE_PGM_RSRC2:USER_SGPR: 2
; COMPUTE_PGM_RSRC2:TRAP_HANDLER: 0
; COMPUTE_PGM_RSRC2:TGID_X_EN: 1
; COMPUTE_PGM_RSRC2:TGID_Y_EN: 0
; COMPUTE_PGM_RSRC2:TGID_Z_EN: 0
; COMPUTE_PGM_RSRC2:TIDIG_COMP_CNT: 0
	.section	.text._ZN2at6native29vectorized_elementwise_kernelILi4EZZZNS0_12_GLOBAL__N_117clamp_kernel_implERNS_18TensorIteratorBaseEENKUlvE_clEvENKUlvE6_clEvEUlN3c104HalfES8_S8_E_St5arrayIPcLm4EEEEviT0_T1_,"axG",@progbits,_ZN2at6native29vectorized_elementwise_kernelILi4EZZZNS0_12_GLOBAL__N_117clamp_kernel_implERNS_18TensorIteratorBaseEENKUlvE_clEvENKUlvE6_clEvEUlN3c104HalfES8_S8_E_St5arrayIPcLm4EEEEviT0_T1_,comdat
	.globl	_ZN2at6native29vectorized_elementwise_kernelILi4EZZZNS0_12_GLOBAL__N_117clamp_kernel_implERNS_18TensorIteratorBaseEENKUlvE_clEvENKUlvE6_clEvEUlN3c104HalfES8_S8_E_St5arrayIPcLm4EEEEviT0_T1_ ; -- Begin function _ZN2at6native29vectorized_elementwise_kernelILi4EZZZNS0_12_GLOBAL__N_117clamp_kernel_implERNS_18TensorIteratorBaseEENKUlvE_clEvENKUlvE6_clEvEUlN3c104HalfES8_S8_E_St5arrayIPcLm4EEEEviT0_T1_
	.p2align	8
	.type	_ZN2at6native29vectorized_elementwise_kernelILi4EZZZNS0_12_GLOBAL__N_117clamp_kernel_implERNS_18TensorIteratorBaseEENKUlvE_clEvENKUlvE6_clEvEUlN3c104HalfES8_S8_E_St5arrayIPcLm4EEEEviT0_T1_,@function
_ZN2at6native29vectorized_elementwise_kernelILi4EZZZNS0_12_GLOBAL__N_117clamp_kernel_implERNS_18TensorIteratorBaseEENKUlvE_clEvENKUlvE6_clEvEUlN3c104HalfES8_S8_E_St5arrayIPcLm4EEEEviT0_T1_: ; @_ZN2at6native29vectorized_elementwise_kernelILi4EZZZNS0_12_GLOBAL__N_117clamp_kernel_implERNS_18TensorIteratorBaseEENKUlvE_clEvENKUlvE6_clEvEUlN3c104HalfES8_S8_E_St5arrayIPcLm4EEEEviT0_T1_
; %bb.0:
	s_clause 0x1
	s_load_b32 s3, s[0:1], 0x0
	s_load_b256 s[4:11], s[0:1], 0x8
	s_wait_xcnt 0x0
	s_bfe_u32 s0, ttmp6, 0x4000c
	s_and_b32 s1, ttmp6, 15
	s_add_co_i32 s0, s0, 1
	s_getreg_b32 s2, hwreg(HW_REG_IB_STS2, 6, 4)
	s_mul_i32 s0, ttmp9, s0
	s_delay_alu instid0(SALU_CYCLE_1) | instskip(SKIP_2) | instid1(SALU_CYCLE_1)
	s_add_co_i32 s1, s1, s0
	s_cmp_eq_u32 s2, 0
	s_cselect_b32 s0, ttmp9, s1
	s_lshl_b32 s2, s0, 11
	s_mov_b32 s0, -1
	s_wait_kmcnt 0x0
	s_sub_co_i32 s12, s3, s2
	s_delay_alu instid0(SALU_CYCLE_1)
	s_cmp_gt_i32 s12, 0x7ff
	s_cbranch_scc0 .LBB154_2
; %bb.1:
	s_ashr_i32 s3, s2, 31
	s_delay_alu instid0(SALU_CYCLE_1) | instskip(NEXT) | instid1(SALU_CYCLE_1)
	s_lshl_b64 s[0:1], s[2:3], 1
	s_add_nc_u64 s[14:15], s[10:11], s[0:1]
	s_add_nc_u64 s[16:17], s[6:7], s[0:1]
	global_load_b64 v[2:3], v0, s[14:15] scale_offset
	s_add_nc_u64 s[18:19], s[8:9], s[0:1]
	s_clause 0x4
	global_load_b64 v[4:5], v0, s[14:15] offset:2048 scale_offset
	global_load_b64 v[6:7], v0, s[16:17] scale_offset
	global_load_b64 v[8:9], v0, s[18:19] scale_offset
	global_load_b64 v[10:11], v0, s[16:17] offset:2048 scale_offset
	global_load_b64 v[12:13], v0, s[18:19] offset:2048 scale_offset
	s_wait_xcnt 0x4
	s_add_nc_u64 s[14:15], s[4:5], s[0:1]
	s_mov_b32 s0, 0
	s_wait_loadcnt 0x4
	v_dual_lshrrev_b32 v15, 16, v4 :: v_dual_lshrrev_b32 v16, 16, v5
	s_wait_loadcnt 0x2
	v_cmp_gt_f16_e32 vcc_lo, v6, v8
	v_dual_lshrrev_b32 v21, 16, v7 :: v_dual_lshrrev_b32 v22, 16, v9
	s_wait_loadcnt 0x1
	v_dual_lshrrev_b32 v18, 16, v6 :: v_dual_lshrrev_b32 v27, 16, v11
	s_wait_loadcnt 0x0
	v_dual_cndmask_b32 v17, v8, v6 :: v_dual_lshrrev_b32 v28, 16, v13
	v_cmp_gt_f16_e32 vcc_lo, v7, v9
	v_dual_lshrrev_b32 v19, 16, v8 :: v_dual_lshrrev_b32 v1, 16, v2
	v_dual_lshrrev_b32 v14, 16, v3 :: v_dual_lshrrev_b32 v24, 16, v10
	v_cndmask_b32_e32 v20, v9, v7, vcc_lo
	v_cmp_gt_f16_e32 vcc_lo, v10, v12
	v_cndmask_b32_e32 v23, v12, v10, vcc_lo
	v_cmp_gt_f16_e32 vcc_lo, v11, v13
	v_dual_cndmask_b32 v26, v13, v11 :: v_dual_lshrrev_b32 v25, 16, v12
	v_cmp_lt_f16_e32 vcc_lo, v17, v2
	v_cndmask_b32_e32 v17, v2, v17, vcc_lo
	v_cmp_gt_f16_e32 vcc_lo, v18, v19
	v_cndmask_b32_e32 v29, v19, v18, vcc_lo
	v_cmp_lt_f16_e32 vcc_lo, v20, v3
	v_cndmask_b32_e32 v20, v3, v20, vcc_lo
	v_cmp_gt_f16_e32 vcc_lo, v21, v22
	v_cndmask_b32_e32 v30, v22, v21, vcc_lo
	;; [unrolled: 4-line block ×4, first 2 shown]
	v_cmp_u_f16_e32 vcc_lo, v2, v2
	v_cndmask_b32_e32 v2, v17, v2, vcc_lo
	v_cmp_lt_f16_e32 vcc_lo, v29, v1
	v_cndmask_b32_e32 v17, v1, v29, vcc_lo
	v_cmp_u_f16_e32 vcc_lo, v3, v3
	v_cndmask_b32_e32 v3, v20, v3, vcc_lo
	v_cmp_lt_f16_e32 vcc_lo, v30, v14
	v_cndmask_b32_e32 v20, v14, v30, vcc_lo
	;; [unrolled: 4-line block ×4, first 2 shown]
	v_cmp_u_f16_e32 vcc_lo, v8, v8
	v_cndmask_b32_e32 v2, v2, v8, vcc_lo
	v_cmp_u_f16_e32 vcc_lo, v1, v1
	v_cndmask_b32_e32 v1, v17, v1, vcc_lo
	;; [unrolled: 2-line block ×10, first 2 shown]
	v_cmp_u_f16_e32 vcc_lo, v7, v7
	s_delay_alu instid0(VALU_DEP_4) | instskip(SKIP_4) | instid1(VALU_DEP_4)
	v_and_b32_e32 v2, 0xffff, v2
	v_cndmask_b32_e32 v3, v3, v7, vcc_lo
	v_cmp_u_f16_e32 vcc_lo, v22, v22
	v_cndmask_b32_e32 v6, v8, v22, vcc_lo
	v_cmp_u_f16_e32 vcc_lo, v10, v10
	v_and_b32_e32 v3, 0xffff, v3
	v_cndmask_b32_e32 v4, v4, v10, vcc_lo
	v_cmp_u_f16_e32 vcc_lo, v25, v25
	v_cndmask_b32_e32 v7, v9, v25, vcc_lo
	v_cmp_u_f16_e32 vcc_lo, v11, v11
	s_delay_alu instid0(VALU_DEP_4) | instskip(SKIP_4) | instid1(VALU_DEP_4)
	v_and_b32_e32 v4, 0xffff, v4
	v_cndmask_b32_e32 v5, v5, v11, vcc_lo
	v_cmp_u_f16_e32 vcc_lo, v28, v28
	v_cndmask_b32_e32 v8, v12, v28, vcc_lo
	v_cmp_u_f16_e32 vcc_lo, v18, v18
	v_and_b32_e32 v5, 0xffff, v5
	v_cndmask_b32_e32 v1, v1, v18, vcc_lo
	v_cmp_u_f16_e32 vcc_lo, v21, v21
	v_cndmask_b32_e32 v6, v6, v21, vcc_lo
	v_cmp_u_f16_e32 vcc_lo, v24, v24
	;; [unrolled: 2-line block ×3, first 2 shown]
	v_dual_cndmask_b32 v8, v8, v27 :: v_dual_lshlrev_b32 v1, 16, v1
	s_delay_alu instid0(VALU_DEP_3) | instskip(NEXT) | instid1(VALU_DEP_2)
	v_dual_lshlrev_b32 v7, 16, v7 :: v_dual_lshlrev_b32 v6, 16, v6
	v_dual_lshlrev_b32 v8, 16, v8 :: v_dual_bitop2_b32 v1, v1, v2 bitop3:0x54
	s_delay_alu instid0(VALU_DEP_2) | instskip(NEXT) | instid1(VALU_DEP_3)
	v_or_b32_e32 v4, v7, v4
	v_or3_b32 v3, 0, v3, v6
	s_delay_alu instid0(VALU_DEP_3) | instskip(NEXT) | instid1(VALU_DEP_4)
	v_or3_b32 v5, 0, v5, v8
	v_or3_b32 v2, v1, 0, 0
	s_delay_alu instid0(VALU_DEP_4)
	v_or3_b32 v4, v4, 0, 0
	s_clause 0x1
	global_store_b64 v0, v[2:3], s[14:15] scale_offset
	global_store_b64 v0, v[4:5], s[14:15] offset:2048 scale_offset
.LBB154_2:
	s_and_not1_b32 vcc_lo, exec_lo, s0
	s_cbranch_vccnz .LBB154_43
; %bb.3:
	v_cmp_gt_i32_e32 vcc_lo, s12, v0
	s_wait_xcnt 0x1
	v_dual_mov_b32 v3, 0 :: v_dual_bitop2_b32 v1, s2, v0 bitop3:0x54
	v_or_b32_e32 v2, 0x100, v0
	v_dual_mov_b32 v6, 0 :: v_dual_mov_b32 v7, 0
	v_dual_mov_b32 v8, 0 :: v_dual_mov_b32 v22, v0
	s_wait_xcnt 0x0
	s_and_saveexec_b32 s0, vcc_lo
	s_cbranch_execz .LBB154_5
; %bb.4:
	s_clause 0x2
	global_load_u16 v6, v1, s[6:7] scale_offset
	global_load_u16 v7, v1, s[8:9] scale_offset
	;; [unrolled: 1-line block ×3, first 2 shown]
	v_or_b32_e32 v22, 0x100, v0
.LBB154_5:
	s_wait_xcnt 0x0
	s_or_b32 exec_lo, exec_lo, s0
	v_dual_mov_b32 v10, 0 :: v_dual_mov_b32 v12, 0
	s_mov_b32 s1, exec_lo
	v_cmpx_gt_i32_e64 s12, v22
	s_cbranch_execz .LBB154_7
; %bb.6:
	v_add_nc_u32_e32 v4, s2, v22
	v_add_nc_u32_e32 v22, 0x100, v22
	s_clause 0x2
	global_load_u16 v3, v4, s[6:7] scale_offset
	global_load_u16 v10, v4, s[8:9] scale_offset
	global_load_u16 v12, v4, s[10:11] scale_offset
.LBB154_7:
	s_wait_xcnt 0x0
	s_or_b32 exec_lo, exec_lo, s1
	v_dual_mov_b32 v4, 0 :: v_dual_mov_b32 v11, 0
	v_dual_mov_b32 v13, 0 :: v_dual_mov_b32 v14, 0
	s_mov_b32 s1, exec_lo
	v_cmpx_gt_i32_e64 s12, v22
	s_cbranch_execz .LBB154_9
; %bb.8:
	v_add_nc_u32_e32 v5, s2, v22
	v_add_nc_u32_e32 v22, 0x100, v22
	s_clause 0x2
	global_load_u16 v11, v5, s[6:7] scale_offset
	global_load_u16 v13, v5, s[8:9] scale_offset
	global_load_u16 v14, v5, s[10:11] scale_offset
.LBB154_9:
	s_wait_xcnt 0x0
	s_or_b32 exec_lo, exec_lo, s1
	v_dual_mov_b32 v15, 0 :: v_dual_mov_b32 v17, 0
	s_mov_b32 s1, exec_lo
	v_cmpx_gt_i32_e64 s12, v22
	s_cbranch_execz .LBB154_11
; %bb.10:
	v_add_nc_u32_e32 v5, s2, v22
	v_add_nc_u32_e32 v22, 0x100, v22
	s_clause 0x2
	global_load_u16 v4, v5, s[6:7] scale_offset
	global_load_u16 v15, v5, s[8:9] scale_offset
	global_load_u16 v17, v5, s[10:11] scale_offset
.LBB154_11:
	s_wait_xcnt 0x0
	s_or_b32 exec_lo, exec_lo, s1
	v_dual_mov_b32 v5, 0 :: v_dual_mov_b32 v16, 0
	v_dual_mov_b32 v18, 0 :: v_dual_mov_b32 v19, 0
	s_mov_b32 s1, exec_lo
	v_cmpx_gt_i32_e64 s12, v22
	s_cbranch_execz .LBB154_13
; %bb.12:
	v_add_nc_u32_e32 v9, s2, v22
	v_add_nc_u32_e32 v22, 0x100, v22
	s_clause 0x2
	global_load_u16 v16, v9, s[6:7] scale_offset
	global_load_u16 v18, v9, s[8:9] scale_offset
	global_load_u16 v19, v9, s[10:11] scale_offset
.LBB154_13:
	s_wait_xcnt 0x0
	s_or_b32 exec_lo, exec_lo, s1
	v_dual_mov_b32 v20, 0 :: v_dual_mov_b32 v23, 0
	s_mov_b32 s1, exec_lo
	v_cmpx_gt_i32_e64 s12, v22
	s_cbranch_execz .LBB154_15
; %bb.14:
	v_add_nc_u32_e32 v9, s2, v22
	v_add_nc_u32_e32 v22, 0x100, v22
	s_clause 0x2
	global_load_u16 v5, v9, s[6:7] scale_offset
	global_load_u16 v20, v9, s[8:9] scale_offset
	global_load_u16 v23, v9, s[10:11] scale_offset
.LBB154_15:
	s_wait_xcnt 0x0
	s_or_b32 exec_lo, exec_lo, s1
	v_dual_mov_b32 v9, 0 :: v_dual_mov_b32 v21, 0
	v_dual_mov_b32 v24, 0 :: v_dual_mov_b32 v25, 0
	s_mov_b32 s1, exec_lo
	v_cmpx_gt_i32_e64 s12, v22
	s_cbranch_execz .LBB154_17
; %bb.16:
	v_add_nc_u32_e32 v26, s2, v22
	v_add_nc_u32_e32 v22, 0x100, v22
	s_clause 0x2
	global_load_u16 v21, v26, s[6:7] scale_offset
	global_load_u16 v24, v26, s[8:9] scale_offset
	global_load_u16 v25, v26, s[10:11] scale_offset
.LBB154_17:
	s_wait_xcnt 0x0
	s_or_b32 exec_lo, exec_lo, s1
	v_dual_mov_b32 v26, 0 :: v_dual_mov_b32 v27, 0
	s_mov_b32 s1, exec_lo
	v_cmpx_gt_i32_e64 s12, v22
	s_cbranch_execz .LBB154_19
; %bb.18:
	v_add_nc_u32_e32 v22, s2, v22
	s_clause 0x2
	global_load_u16 v9, v22, s[6:7] scale_offset
	global_load_u16 v26, v22, s[8:9] scale_offset
	;; [unrolled: 1-line block ×3, first 2 shown]
	s_wait_xcnt 0x0
	s_or_b32 exec_lo, exec_lo, s1
                                        ; implicit-def: $vgpr22
	s_and_saveexec_b32 s1, vcc_lo
	s_cbranch_execz .LBB154_21
	s_branch .LBB154_20
.LBB154_19:
	s_or_b32 exec_lo, exec_lo, s1
                                        ; implicit-def: $vgpr22
	s_and_saveexec_b32 s1, vcc_lo
	s_cbranch_execz .LBB154_21
.LBB154_20:
	s_wait_loadcnt 0x1
	v_cmp_gt_f16_e64 s0, v6, v7
	s_delay_alu instid0(VALU_DEP_1) | instskip(SKIP_1) | instid1(VALU_DEP_1)
	v_cndmask_b32_e64 v22, v7, v6, s0
	s_wait_loadcnt 0x0
	v_cmp_lt_f16_e64 s0, v22, v8
	s_delay_alu instid0(VALU_DEP_1) | instskip(SKIP_1) | instid1(VALU_DEP_1)
	v_cndmask_b32_e64 v22, v8, v22, s0
	v_cmp_u_f16_e64 s0, v8, v8
	v_cndmask_b32_e64 v8, v22, v8, s0
	v_cmp_u_f16_e64 s0, v7, v7
	s_delay_alu instid0(VALU_DEP_1) | instskip(SKIP_1) | instid1(VALU_DEP_1)
	v_cndmask_b32_e64 v7, v8, v7, s0
	v_cmp_u_f16_e64 s0, v6, v6
	v_cndmask_b32_e64 v22, v7, v6, s0
.LBB154_21:
	s_or_b32 exec_lo, exec_lo, s1
	s_delay_alu instid0(SALU_CYCLE_1)
	s_mov_b32 s1, exec_lo
                                        ; implicit-def: $vgpr6
	v_cmpx_gt_i32_e64 s12, v2
	s_cbranch_execz .LBB154_23
; %bb.22:
	s_wait_loadcnt 0x1
	v_cmp_gt_f16_e64 s0, v3, v10
	s_delay_alu instid0(VALU_DEP_1) | instskip(SKIP_1) | instid1(VALU_DEP_1)
	v_cndmask_b32_e64 v6, v10, v3, s0
	s_wait_loadcnt 0x0
	v_cmp_lt_f16_e64 s0, v6, v12
	s_delay_alu instid0(VALU_DEP_1) | instskip(SKIP_1) | instid1(VALU_DEP_1)
	v_cndmask_b32_e64 v6, v12, v6, s0
	v_cmp_u_f16_e64 s0, v12, v12
	v_cndmask_b32_e64 v6, v6, v12, s0
	v_cmp_u_f16_e64 s0, v10, v10
	s_delay_alu instid0(VALU_DEP_1) | instskip(SKIP_1) | instid1(VALU_DEP_1)
	v_cndmask_b32_e64 v6, v6, v10, s0
	v_cmp_u_f16_e64 s0, v3, v3
	v_cndmask_b32_e64 v6, v6, v3, s0
.LBB154_23:
	s_or_b32 exec_lo, exec_lo, s1
	s_wait_loadcnt 0x2
	v_or_b32_e32 v3, 0x200, v0
	s_delay_alu instid0(VALU_DEP_1)
	v_cmp_gt_i32_e64 s0, s12, v3
                                        ; implicit-def: $vgpr3
	s_and_saveexec_b32 s1, s0
	s_cbranch_execz .LBB154_25
; %bb.24:
	s_wait_loadcnt 0x1
	v_cmp_gt_f16_e64 s0, v11, v13
	s_delay_alu instid0(VALU_DEP_1) | instskip(SKIP_1) | instid1(VALU_DEP_1)
	v_cndmask_b32_e64 v3, v13, v11, s0
	s_wait_loadcnt 0x0
	v_cmp_lt_f16_e64 s0, v3, v14
	s_delay_alu instid0(VALU_DEP_1) | instskip(SKIP_1) | instid1(VALU_DEP_1)
	v_cndmask_b32_e64 v3, v14, v3, s0
	v_cmp_u_f16_e64 s0, v14, v14
	v_cndmask_b32_e64 v3, v3, v14, s0
	v_cmp_u_f16_e64 s0, v13, v13
	s_delay_alu instid0(VALU_DEP_1) | instskip(SKIP_1) | instid1(VALU_DEP_1)
	v_cndmask_b32_e64 v3, v3, v13, s0
	v_cmp_u_f16_e64 s0, v11, v11
	v_cndmask_b32_e64 v3, v3, v11, s0
.LBB154_25:
	s_or_b32 exec_lo, exec_lo, s1
	s_wait_loadcnt 0x1
	v_or_b32_e32 v7, 0x300, v0
	s_delay_alu instid0(VALU_DEP_1)
	v_cmp_gt_i32_e64 s0, s12, v7
                                        ; implicit-def: $vgpr7
	s_and_saveexec_b32 s1, s0
	s_cbranch_execz .LBB154_27
; %bb.26:
	v_cmp_gt_f16_e64 s0, v4, v15
	s_delay_alu instid0(VALU_DEP_1) | instskip(SKIP_1) | instid1(VALU_DEP_1)
	v_cndmask_b32_e64 v7, v15, v4, s0
	s_wait_loadcnt 0x0
	v_cmp_lt_f16_e64 s0, v7, v17
	s_delay_alu instid0(VALU_DEP_1) | instskip(SKIP_1) | instid1(VALU_DEP_1)
	v_cndmask_b32_e64 v7, v17, v7, s0
	v_cmp_u_f16_e64 s0, v17, v17
	v_cndmask_b32_e64 v7, v7, v17, s0
	v_cmp_u_f16_e64 s0, v15, v15
	s_delay_alu instid0(VALU_DEP_1) | instskip(SKIP_1) | instid1(VALU_DEP_1)
	v_cndmask_b32_e64 v7, v7, v15, s0
	v_cmp_u_f16_e64 s0, v4, v4
	v_cndmask_b32_e64 v7, v7, v4, s0
.LBB154_27:
	s_or_b32 exec_lo, exec_lo, s1
	v_or_b32_e32 v4, 0x400, v0
	s_delay_alu instid0(VALU_DEP_1)
	v_cmp_gt_i32_e64 s0, s12, v4
                                        ; implicit-def: $vgpr4
	s_and_saveexec_b32 s1, s0
	s_cbranch_execz .LBB154_29
; %bb.28:
	v_cmp_gt_f16_e64 s0, v16, v18
	s_delay_alu instid0(VALU_DEP_1) | instskip(SKIP_1) | instid1(VALU_DEP_1)
	v_cndmask_b32_e64 v4, v18, v16, s0
	s_wait_loadcnt 0x0
	v_cmp_lt_f16_e64 s0, v4, v19
	s_delay_alu instid0(VALU_DEP_1) | instskip(SKIP_1) | instid1(VALU_DEP_1)
	v_cndmask_b32_e64 v4, v19, v4, s0
	v_cmp_u_f16_e64 s0, v19, v19
	v_cndmask_b32_e64 v4, v4, v19, s0
	v_cmp_u_f16_e64 s0, v18, v18
	s_delay_alu instid0(VALU_DEP_1) | instskip(SKIP_1) | instid1(VALU_DEP_1)
	v_cndmask_b32_e64 v4, v4, v18, s0
	v_cmp_u_f16_e64 s0, v16, v16
	v_cndmask_b32_e64 v4, v4, v16, s0
.LBB154_29:
	s_or_b32 exec_lo, exec_lo, s1
	s_wait_loadcnt 0x0
	v_or_b32_e32 v8, 0x500, v0
	s_delay_alu instid0(VALU_DEP_1)
	v_cmp_gt_i32_e64 s0, s12, v8
                                        ; implicit-def: $vgpr8
	s_and_saveexec_b32 s1, s0
	s_cbranch_execz .LBB154_31
; %bb.30:
	v_cmp_gt_f16_e64 s0, v5, v20
	s_delay_alu instid0(VALU_DEP_1) | instskip(NEXT) | instid1(VALU_DEP_1)
	v_cndmask_b32_e64 v8, v20, v5, s0
	v_cmp_lt_f16_e64 s0, v8, v23
	s_delay_alu instid0(VALU_DEP_1) | instskip(SKIP_1) | instid1(VALU_DEP_1)
	v_cndmask_b32_e64 v8, v23, v8, s0
	v_cmp_u_f16_e64 s0, v23, v23
	v_cndmask_b32_e64 v8, v8, v23, s0
	v_cmp_u_f16_e64 s0, v20, v20
	s_delay_alu instid0(VALU_DEP_1) | instskip(SKIP_1) | instid1(VALU_DEP_1)
	v_cndmask_b32_e64 v8, v8, v20, s0
	v_cmp_u_f16_e64 s0, v5, v5
	v_cndmask_b32_e64 v8, v8, v5, s0
.LBB154_31:
	s_or_b32 exec_lo, exec_lo, s1
	v_or_b32_e32 v5, 0x600, v0
	s_delay_alu instid0(VALU_DEP_1)
	v_cmp_gt_i32_e64 s0, s12, v5
                                        ; implicit-def: $vgpr5
	s_and_saveexec_b32 s1, s0
	s_cbranch_execz .LBB154_33
; %bb.32:
	v_cmp_gt_f16_e64 s0, v21, v24
	s_delay_alu instid0(VALU_DEP_1) | instskip(NEXT) | instid1(VALU_DEP_1)
	v_cndmask_b32_e64 v5, v24, v21, s0
	v_cmp_lt_f16_e64 s0, v5, v25
	s_delay_alu instid0(VALU_DEP_1) | instskip(SKIP_1) | instid1(VALU_DEP_1)
	v_cndmask_b32_e64 v5, v25, v5, s0
	v_cmp_u_f16_e64 s0, v25, v25
	v_cndmask_b32_e64 v5, v5, v25, s0
	v_cmp_u_f16_e64 s0, v24, v24
	s_delay_alu instid0(VALU_DEP_1) | instskip(SKIP_1) | instid1(VALU_DEP_1)
	v_cndmask_b32_e64 v5, v5, v24, s0
	v_cmp_u_f16_e64 s0, v21, v21
	v_cndmask_b32_e64 v5, v5, v21, s0
.LBB154_33:
	s_or_b32 exec_lo, exec_lo, s1
	v_or_b32_e32 v10, 0x700, v0
	s_delay_alu instid0(VALU_DEP_1)
	v_cmp_gt_i32_e64 s0, s12, v10
                                        ; implicit-def: $vgpr10
	s_and_saveexec_b32 s1, s0
	s_cbranch_execz .LBB154_44
; %bb.34:
	v_cmp_gt_f16_e64 s0, v9, v26
	s_delay_alu instid0(VALU_DEP_1) | instskip(NEXT) | instid1(VALU_DEP_1)
	v_cndmask_b32_e64 v10, v26, v9, s0
	v_cmp_lt_f16_e64 s0, v10, v27
	s_delay_alu instid0(VALU_DEP_1) | instskip(SKIP_1) | instid1(VALU_DEP_1)
	v_cndmask_b32_e64 v10, v27, v10, s0
	v_cmp_u_f16_e64 s0, v27, v27
	v_cndmask_b32_e64 v10, v10, v27, s0
	v_cmp_u_f16_e64 s0, v26, v26
	s_delay_alu instid0(VALU_DEP_1) | instskip(SKIP_1) | instid1(VALU_DEP_1)
	v_cndmask_b32_e64 v10, v10, v26, s0
	v_cmp_u_f16_e64 s0, v9, v9
	v_cndmask_b32_e64 v10, v10, v9, s0
	s_or_b32 exec_lo, exec_lo, s1
	s_and_saveexec_b32 s0, vcc_lo
	s_delay_alu instid0(SALU_CYCLE_1)
	s_xor_b32 s0, exec_lo, s0
	s_cbranch_execnz .LBB154_45
.LBB154_35:
	s_or_b32 exec_lo, exec_lo, s0
	s_delay_alu instid0(SALU_CYCLE_1)
	s_mov_b32 s0, exec_lo
	v_cmpx_gt_i32_e64 s12, v0
	s_cbranch_execz .LBB154_46
.LBB154_36:
	v_add_nc_u32_e32 v1, s2, v0
	v_add_nc_u32_e32 v0, 0x100, v0
	global_store_b16 v1, v6, s[4:5] scale_offset
	s_wait_xcnt 0x0
	s_or_b32 exec_lo, exec_lo, s0
	s_delay_alu instid0(SALU_CYCLE_1)
	s_mov_b32 s0, exec_lo
	v_cmpx_gt_i32_e64 s12, v0
	s_cbranch_execnz .LBB154_47
.LBB154_37:
	s_or_b32 exec_lo, exec_lo, s0
	s_delay_alu instid0(SALU_CYCLE_1)
	s_mov_b32 s0, exec_lo
	v_cmpx_gt_i32_e64 s12, v0
	s_cbranch_execz .LBB154_48
.LBB154_38:
	v_add_nc_u32_e32 v1, s2, v0
	v_add_nc_u32_e32 v0, 0x100, v0
	global_store_b16 v1, v7, s[4:5] scale_offset
	s_wait_xcnt 0x0
	s_or_b32 exec_lo, exec_lo, s0
	s_delay_alu instid0(SALU_CYCLE_1)
	s_mov_b32 s0, exec_lo
	v_cmpx_gt_i32_e64 s12, v0
	s_cbranch_execnz .LBB154_49
.LBB154_39:
	s_or_b32 exec_lo, exec_lo, s0
	s_delay_alu instid0(SALU_CYCLE_1)
	s_mov_b32 s0, exec_lo
	v_cmpx_gt_i32_e64 s12, v0
	s_cbranch_execz .LBB154_50
.LBB154_40:
	v_add_nc_u32_e32 v1, s2, v0
	v_add_nc_u32_e32 v0, 0x100, v0
	global_store_b16 v1, v8, s[4:5] scale_offset
	s_wait_xcnt 0x0
	s_or_b32 exec_lo, exec_lo, s0
	s_delay_alu instid0(SALU_CYCLE_1)
	s_mov_b32 s0, exec_lo
	v_cmpx_gt_i32_e64 s12, v0
	s_cbranch_execnz .LBB154_51
.LBB154_41:
	s_or_b32 exec_lo, exec_lo, s0
	s_delay_alu instid0(SALU_CYCLE_1)
	s_mov_b32 s0, exec_lo
	v_cmpx_gt_i32_e64 s12, v0
	s_cbranch_execz .LBB154_43
.LBB154_42:
	v_add_nc_u32_e32 v0, s2, v0
	global_store_b16 v0, v10, s[4:5] scale_offset
.LBB154_43:
	s_endpgm
.LBB154_44:
	s_or_b32 exec_lo, exec_lo, s1
	s_and_saveexec_b32 s0, vcc_lo
	s_delay_alu instid0(SALU_CYCLE_1)
	s_xor_b32 s0, exec_lo, s0
	s_cbranch_execz .LBB154_35
.LBB154_45:
	v_mov_b32_e32 v0, v2
	global_store_b16 v1, v22, s[4:5] scale_offset
	s_wait_xcnt 0x0
	s_or_b32 exec_lo, exec_lo, s0
	s_delay_alu instid0(SALU_CYCLE_1)
	s_mov_b32 s0, exec_lo
	v_cmpx_gt_i32_e64 s12, v0
	s_cbranch_execnz .LBB154_36
.LBB154_46:
	s_or_b32 exec_lo, exec_lo, s0
	s_delay_alu instid0(SALU_CYCLE_1)
	s_mov_b32 s0, exec_lo
	v_cmpx_gt_i32_e64 s12, v0
	s_cbranch_execz .LBB154_37
.LBB154_47:
	v_add_nc_u32_e32 v1, s2, v0
	v_add_nc_u32_e32 v0, 0x100, v0
	global_store_b16 v1, v3, s[4:5] scale_offset
	s_wait_xcnt 0x0
	s_or_b32 exec_lo, exec_lo, s0
	s_delay_alu instid0(SALU_CYCLE_1)
	s_mov_b32 s0, exec_lo
	v_cmpx_gt_i32_e64 s12, v0
	s_cbranch_execnz .LBB154_38
.LBB154_48:
	s_or_b32 exec_lo, exec_lo, s0
	s_delay_alu instid0(SALU_CYCLE_1)
	s_mov_b32 s0, exec_lo
	v_cmpx_gt_i32_e64 s12, v0
	s_cbranch_execz .LBB154_39
.LBB154_49:
	v_add_nc_u32_e32 v1, s2, v0
	v_add_nc_u32_e32 v0, 0x100, v0
	global_store_b16 v1, v4, s[4:5] scale_offset
	s_wait_xcnt 0x0
	s_or_b32 exec_lo, exec_lo, s0
	s_delay_alu instid0(SALU_CYCLE_1)
	s_mov_b32 s0, exec_lo
	v_cmpx_gt_i32_e64 s12, v0
	s_cbranch_execnz .LBB154_40
.LBB154_50:
	s_or_b32 exec_lo, exec_lo, s0
	s_delay_alu instid0(SALU_CYCLE_1)
	s_mov_b32 s0, exec_lo
	v_cmpx_gt_i32_e64 s12, v0
	s_cbranch_execz .LBB154_41
.LBB154_51:
	v_add_nc_u32_e32 v1, s2, v0
	v_add_nc_u32_e32 v0, 0x100, v0
	global_store_b16 v1, v5, s[4:5] scale_offset
	s_wait_xcnt 0x0
	s_or_b32 exec_lo, exec_lo, s0
	s_delay_alu instid0(SALU_CYCLE_1)
	s_mov_b32 s0, exec_lo
	v_cmpx_gt_i32_e64 s12, v0
	s_cbranch_execnz .LBB154_42
	s_branch .LBB154_43
	.section	.rodata,"a",@progbits
	.p2align	6, 0x0
	.amdhsa_kernel _ZN2at6native29vectorized_elementwise_kernelILi4EZZZNS0_12_GLOBAL__N_117clamp_kernel_implERNS_18TensorIteratorBaseEENKUlvE_clEvENKUlvE6_clEvEUlN3c104HalfES8_S8_E_St5arrayIPcLm4EEEEviT0_T1_
		.amdhsa_group_segment_fixed_size 0
		.amdhsa_private_segment_fixed_size 0
		.amdhsa_kernarg_size 40
		.amdhsa_user_sgpr_count 2
		.amdhsa_user_sgpr_dispatch_ptr 0
		.amdhsa_user_sgpr_queue_ptr 0
		.amdhsa_user_sgpr_kernarg_segment_ptr 1
		.amdhsa_user_sgpr_dispatch_id 0
		.amdhsa_user_sgpr_kernarg_preload_length 0
		.amdhsa_user_sgpr_kernarg_preload_offset 0
		.amdhsa_user_sgpr_private_segment_size 0
		.amdhsa_wavefront_size32 1
		.amdhsa_uses_dynamic_stack 0
		.amdhsa_enable_private_segment 0
		.amdhsa_system_sgpr_workgroup_id_x 1
		.amdhsa_system_sgpr_workgroup_id_y 0
		.amdhsa_system_sgpr_workgroup_id_z 0
		.amdhsa_system_sgpr_workgroup_info 0
		.amdhsa_system_vgpr_workitem_id 0
		.amdhsa_next_free_vgpr 33
		.amdhsa_next_free_sgpr 20
		.amdhsa_named_barrier_count 0
		.amdhsa_reserve_vcc 1
		.amdhsa_float_round_mode_32 0
		.amdhsa_float_round_mode_16_64 0
		.amdhsa_float_denorm_mode_32 3
		.amdhsa_float_denorm_mode_16_64 3
		.amdhsa_fp16_overflow 0
		.amdhsa_memory_ordered 1
		.amdhsa_forward_progress 1
		.amdhsa_inst_pref_size 25
		.amdhsa_round_robin_scheduling 0
		.amdhsa_exception_fp_ieee_invalid_op 0
		.amdhsa_exception_fp_denorm_src 0
		.amdhsa_exception_fp_ieee_div_zero 0
		.amdhsa_exception_fp_ieee_overflow 0
		.amdhsa_exception_fp_ieee_underflow 0
		.amdhsa_exception_fp_ieee_inexact 0
		.amdhsa_exception_int_div_zero 0
	.end_amdhsa_kernel
	.section	.text._ZN2at6native29vectorized_elementwise_kernelILi4EZZZNS0_12_GLOBAL__N_117clamp_kernel_implERNS_18TensorIteratorBaseEENKUlvE_clEvENKUlvE6_clEvEUlN3c104HalfES8_S8_E_St5arrayIPcLm4EEEEviT0_T1_,"axG",@progbits,_ZN2at6native29vectorized_elementwise_kernelILi4EZZZNS0_12_GLOBAL__N_117clamp_kernel_implERNS_18TensorIteratorBaseEENKUlvE_clEvENKUlvE6_clEvEUlN3c104HalfES8_S8_E_St5arrayIPcLm4EEEEviT0_T1_,comdat
.Lfunc_end154:
	.size	_ZN2at6native29vectorized_elementwise_kernelILi4EZZZNS0_12_GLOBAL__N_117clamp_kernel_implERNS_18TensorIteratorBaseEENKUlvE_clEvENKUlvE6_clEvEUlN3c104HalfES8_S8_E_St5arrayIPcLm4EEEEviT0_T1_, .Lfunc_end154-_ZN2at6native29vectorized_elementwise_kernelILi4EZZZNS0_12_GLOBAL__N_117clamp_kernel_implERNS_18TensorIteratorBaseEENKUlvE_clEvENKUlvE6_clEvEUlN3c104HalfES8_S8_E_St5arrayIPcLm4EEEEviT0_T1_
                                        ; -- End function
	.set _ZN2at6native29vectorized_elementwise_kernelILi4EZZZNS0_12_GLOBAL__N_117clamp_kernel_implERNS_18TensorIteratorBaseEENKUlvE_clEvENKUlvE6_clEvEUlN3c104HalfES8_S8_E_St5arrayIPcLm4EEEEviT0_T1_.num_vgpr, 33
	.set _ZN2at6native29vectorized_elementwise_kernelILi4EZZZNS0_12_GLOBAL__N_117clamp_kernel_implERNS_18TensorIteratorBaseEENKUlvE_clEvENKUlvE6_clEvEUlN3c104HalfES8_S8_E_St5arrayIPcLm4EEEEviT0_T1_.num_agpr, 0
	.set _ZN2at6native29vectorized_elementwise_kernelILi4EZZZNS0_12_GLOBAL__N_117clamp_kernel_implERNS_18TensorIteratorBaseEENKUlvE_clEvENKUlvE6_clEvEUlN3c104HalfES8_S8_E_St5arrayIPcLm4EEEEviT0_T1_.numbered_sgpr, 20
	.set _ZN2at6native29vectorized_elementwise_kernelILi4EZZZNS0_12_GLOBAL__N_117clamp_kernel_implERNS_18TensorIteratorBaseEENKUlvE_clEvENKUlvE6_clEvEUlN3c104HalfES8_S8_E_St5arrayIPcLm4EEEEviT0_T1_.num_named_barrier, 0
	.set _ZN2at6native29vectorized_elementwise_kernelILi4EZZZNS0_12_GLOBAL__N_117clamp_kernel_implERNS_18TensorIteratorBaseEENKUlvE_clEvENKUlvE6_clEvEUlN3c104HalfES8_S8_E_St5arrayIPcLm4EEEEviT0_T1_.private_seg_size, 0
	.set _ZN2at6native29vectorized_elementwise_kernelILi4EZZZNS0_12_GLOBAL__N_117clamp_kernel_implERNS_18TensorIteratorBaseEENKUlvE_clEvENKUlvE6_clEvEUlN3c104HalfES8_S8_E_St5arrayIPcLm4EEEEviT0_T1_.uses_vcc, 1
	.set _ZN2at6native29vectorized_elementwise_kernelILi4EZZZNS0_12_GLOBAL__N_117clamp_kernel_implERNS_18TensorIteratorBaseEENKUlvE_clEvENKUlvE6_clEvEUlN3c104HalfES8_S8_E_St5arrayIPcLm4EEEEviT0_T1_.uses_flat_scratch, 0
	.set _ZN2at6native29vectorized_elementwise_kernelILi4EZZZNS0_12_GLOBAL__N_117clamp_kernel_implERNS_18TensorIteratorBaseEENKUlvE_clEvENKUlvE6_clEvEUlN3c104HalfES8_S8_E_St5arrayIPcLm4EEEEviT0_T1_.has_dyn_sized_stack, 0
	.set _ZN2at6native29vectorized_elementwise_kernelILi4EZZZNS0_12_GLOBAL__N_117clamp_kernel_implERNS_18TensorIteratorBaseEENKUlvE_clEvENKUlvE6_clEvEUlN3c104HalfES8_S8_E_St5arrayIPcLm4EEEEviT0_T1_.has_recursion, 0
	.set _ZN2at6native29vectorized_elementwise_kernelILi4EZZZNS0_12_GLOBAL__N_117clamp_kernel_implERNS_18TensorIteratorBaseEENKUlvE_clEvENKUlvE6_clEvEUlN3c104HalfES8_S8_E_St5arrayIPcLm4EEEEviT0_T1_.has_indirect_call, 0
	.section	.AMDGPU.csdata,"",@progbits
; Kernel info:
; codeLenInByte = 3108
; TotalNumSgprs: 22
; NumVgprs: 33
; ScratchSize: 0
; MemoryBound: 0
; FloatMode: 240
; IeeeMode: 1
; LDSByteSize: 0 bytes/workgroup (compile time only)
; SGPRBlocks: 0
; VGPRBlocks: 2
; NumSGPRsForWavesPerEU: 22
; NumVGPRsForWavesPerEU: 33
; NamedBarCnt: 0
; Occupancy: 16
; WaveLimiterHint : 1
; COMPUTE_PGM_RSRC2:SCRATCH_EN: 0
; COMPUTE_PGM_RSRC2:USER_SGPR: 2
; COMPUTE_PGM_RSRC2:TRAP_HANDLER: 0
; COMPUTE_PGM_RSRC2:TGID_X_EN: 1
; COMPUTE_PGM_RSRC2:TGID_Y_EN: 0
; COMPUTE_PGM_RSRC2:TGID_Z_EN: 0
; COMPUTE_PGM_RSRC2:TIDIG_COMP_CNT: 0
	.section	.text._ZN2at6native29vectorized_elementwise_kernelILi2EZZZNS0_12_GLOBAL__N_117clamp_kernel_implERNS_18TensorIteratorBaseEENKUlvE_clEvENKUlvE6_clEvEUlN3c104HalfES8_S8_E_St5arrayIPcLm4EEEEviT0_T1_,"axG",@progbits,_ZN2at6native29vectorized_elementwise_kernelILi2EZZZNS0_12_GLOBAL__N_117clamp_kernel_implERNS_18TensorIteratorBaseEENKUlvE_clEvENKUlvE6_clEvEUlN3c104HalfES8_S8_E_St5arrayIPcLm4EEEEviT0_T1_,comdat
	.globl	_ZN2at6native29vectorized_elementwise_kernelILi2EZZZNS0_12_GLOBAL__N_117clamp_kernel_implERNS_18TensorIteratorBaseEENKUlvE_clEvENKUlvE6_clEvEUlN3c104HalfES8_S8_E_St5arrayIPcLm4EEEEviT0_T1_ ; -- Begin function _ZN2at6native29vectorized_elementwise_kernelILi2EZZZNS0_12_GLOBAL__N_117clamp_kernel_implERNS_18TensorIteratorBaseEENKUlvE_clEvENKUlvE6_clEvEUlN3c104HalfES8_S8_E_St5arrayIPcLm4EEEEviT0_T1_
	.p2align	8
	.type	_ZN2at6native29vectorized_elementwise_kernelILi2EZZZNS0_12_GLOBAL__N_117clamp_kernel_implERNS_18TensorIteratorBaseEENKUlvE_clEvENKUlvE6_clEvEUlN3c104HalfES8_S8_E_St5arrayIPcLm4EEEEviT0_T1_,@function
_ZN2at6native29vectorized_elementwise_kernelILi2EZZZNS0_12_GLOBAL__N_117clamp_kernel_implERNS_18TensorIteratorBaseEENKUlvE_clEvENKUlvE6_clEvEUlN3c104HalfES8_S8_E_St5arrayIPcLm4EEEEviT0_T1_: ; @_ZN2at6native29vectorized_elementwise_kernelILi2EZZZNS0_12_GLOBAL__N_117clamp_kernel_implERNS_18TensorIteratorBaseEENKUlvE_clEvENKUlvE6_clEvEUlN3c104HalfES8_S8_E_St5arrayIPcLm4EEEEviT0_T1_
; %bb.0:
	s_clause 0x1
	s_load_b32 s3, s[0:1], 0x0
	s_load_b256 s[4:11], s[0:1], 0x8
	s_wait_xcnt 0x0
	s_bfe_u32 s0, ttmp6, 0x4000c
	s_and_b32 s1, ttmp6, 15
	s_add_co_i32 s0, s0, 1
	s_getreg_b32 s2, hwreg(HW_REG_IB_STS2, 6, 4)
	s_mul_i32 s0, ttmp9, s0
	s_delay_alu instid0(SALU_CYCLE_1) | instskip(SKIP_2) | instid1(SALU_CYCLE_1)
	s_add_co_i32 s1, s1, s0
	s_cmp_eq_u32 s2, 0
	s_cselect_b32 s0, ttmp9, s1
	s_lshl_b32 s2, s0, 11
	s_mov_b32 s0, -1
	s_wait_kmcnt 0x0
	s_sub_co_i32 s12, s3, s2
	s_delay_alu instid0(SALU_CYCLE_1)
	s_cmp_gt_i32 s12, 0x7ff
	s_cbranch_scc0 .LBB155_2
; %bb.1:
	s_ashr_i32 s3, s2, 31
	s_delay_alu instid0(SALU_CYCLE_1) | instskip(NEXT) | instid1(SALU_CYCLE_1)
	s_lshl_b64 s[0:1], s[2:3], 1
	s_add_nc_u64 s[16:17], s[10:11], s[0:1]
	s_add_nc_u64 s[14:15], s[6:7], s[0:1]
	;; [unrolled: 1-line block ×3, first 2 shown]
	s_clause 0xb
	global_load_b32 v1, v0, s[16:17] scale_offset
	global_load_b32 v2, v0, s[16:17] offset:1024 scale_offset
	global_load_b32 v3, v0, s[16:17] offset:2048 scale_offset
	;; [unrolled: 1-line block ×3, first 2 shown]
	global_load_b32 v5, v0, s[14:15] scale_offset
	global_load_b32 v6, v0, s[18:19] scale_offset
	global_load_b32 v7, v0, s[14:15] offset:1024 scale_offset
	global_load_b32 v8, v0, s[18:19] offset:1024 scale_offset
	;; [unrolled: 1-line block ×6, first 2 shown]
	s_wait_xcnt 0x1
	s_add_nc_u64 s[14:15], s[4:5], s[0:1]
	s_mov_b32 s0, 0
	s_wait_loadcnt 0xa
	v_dual_lshrrev_b32 v13, 16, v1 :: v_dual_lshrrev_b32 v14, 16, v2
	s_wait_loadcnt 0x8
	v_dual_lshrrev_b32 v15, 16, v3 :: v_dual_lshrrev_b32 v16, 16, v4
	s_wait_loadcnt 0x7
	v_lshrrev_b32_e32 v18, 16, v5
	s_wait_loadcnt 0x6
	v_cmp_gt_f16_e32 vcc_lo, v5, v6
	s_wait_loadcnt 0x4
	v_dual_lshrrev_b32 v21, 16, v7 :: v_dual_lshrrev_b32 v22, 16, v8
	s_wait_loadcnt 0x3
	v_lshrrev_b32_e32 v24, 16, v9
	v_cndmask_b32_e32 v17, v6, v5, vcc_lo
	v_cmp_gt_f16_e32 vcc_lo, v7, v8
	s_wait_loadcnt 0x1
	v_dual_lshrrev_b32 v19, 16, v6 :: v_dual_lshrrev_b32 v27, 16, v11
	s_wait_loadcnt 0x0
	v_dual_lshrrev_b32 v28, 16, v12 :: v_dual_cndmask_b32 v20, v8, v7, vcc_lo
	v_cmp_gt_f16_e32 vcc_lo, v9, v10
	v_cndmask_b32_e32 v23, v10, v9, vcc_lo
	v_cmp_gt_f16_e32 vcc_lo, v11, v12
	v_dual_cndmask_b32 v26, v12, v11 :: v_dual_lshrrev_b32 v25, 16, v10
	v_cmp_lt_f16_e32 vcc_lo, v17, v1
	v_cndmask_b32_e32 v17, v1, v17, vcc_lo
	v_cmp_gt_f16_e32 vcc_lo, v18, v19
	v_cndmask_b32_e32 v29, v19, v18, vcc_lo
	v_cmp_lt_f16_e32 vcc_lo, v20, v2
	v_cndmask_b32_e32 v20, v2, v20, vcc_lo
	v_cmp_gt_f16_e32 vcc_lo, v21, v22
	v_cndmask_b32_e32 v30, v22, v21, vcc_lo
	;; [unrolled: 4-line block ×4, first 2 shown]
	v_cmp_u_f16_e32 vcc_lo, v1, v1
	v_cndmask_b32_e32 v1, v17, v1, vcc_lo
	v_cmp_lt_f16_e32 vcc_lo, v29, v13
	v_cndmask_b32_e32 v17, v13, v29, vcc_lo
	v_cmp_u_f16_e32 vcc_lo, v2, v2
	v_cndmask_b32_e32 v2, v20, v2, vcc_lo
	v_cmp_lt_f16_e32 vcc_lo, v30, v14
	v_cndmask_b32_e32 v20, v14, v30, vcc_lo
	;; [unrolled: 4-line block ×4, first 2 shown]
	v_cmp_u_f16_e32 vcc_lo, v6, v6
	v_cndmask_b32_e32 v1, v1, v6, vcc_lo
	v_cmp_u_f16_e32 vcc_lo, v13, v13
	v_cndmask_b32_e32 v6, v17, v13, vcc_lo
	;; [unrolled: 2-line block ×10, first 2 shown]
	v_cmp_u_f16_e32 vcc_lo, v7, v7
	s_delay_alu instid0(VALU_DEP_4) | instskip(SKIP_4) | instid1(VALU_DEP_4)
	v_and_b32_e32 v1, 0xffff, v1
	v_cndmask_b32_e32 v2, v2, v7, vcc_lo
	v_cmp_u_f16_e32 vcc_lo, v22, v22
	v_cndmask_b32_e32 v6, v8, v22, vcc_lo
	v_cmp_u_f16_e32 vcc_lo, v9, v9
	v_and_b32_e32 v2, 0xffff, v2
	v_cndmask_b32_e32 v3, v3, v9, vcc_lo
	v_cmp_u_f16_e32 vcc_lo, v25, v25
	v_cndmask_b32_e32 v7, v10, v25, vcc_lo
	v_cmp_u_f16_e32 vcc_lo, v11, v11
	;; [unrolled: 2-line block ×3, first 2 shown]
	v_and_b32_e32 v3, 0xffff, v3
	s_delay_alu instid0(VALU_DEP_3)
	v_and_b32_e32 v4, 0xffff, v4
	v_cndmask_b32_e32 v8, v12, v28, vcc_lo
	v_cmp_u_f16_e32 vcc_lo, v18, v18
	v_cndmask_b32_e32 v5, v5, v18, vcc_lo
	v_cmp_u_f16_e32 vcc_lo, v21, v21
	v_cndmask_b32_e32 v6, v6, v21, vcc_lo
	v_cmp_u_f16_e32 vcc_lo, v24, v24
	s_delay_alu instid0(VALU_DEP_2) | instskip(SKIP_2) | instid1(VALU_DEP_3)
	v_dual_lshlrev_b32 v5, 16, v5 :: v_dual_lshlrev_b32 v6, 16, v6
	v_cndmask_b32_e32 v7, v7, v24, vcc_lo
	v_cmp_u_f16_e32 vcc_lo, v27, v27
	v_or_b32_e32 v1, v5, v1
	s_delay_alu instid0(VALU_DEP_4) | instskip(NEXT) | instid1(VALU_DEP_1)
	v_dual_cndmask_b32 v8, v8, v27, vcc_lo :: v_dual_bitop2_b32 v2, v6, v2 bitop3:0x54
	v_dual_lshlrev_b32 v7, 16, v7 :: v_dual_lshlrev_b32 v8, 16, v8
	s_delay_alu instid0(VALU_DEP_1) | instskip(NEXT) | instid1(VALU_DEP_2)
	v_or_b32_e32 v3, v7, v3
	v_or_b32_e32 v4, v8, v4
	s_clause 0x3
	global_store_b32 v0, v1, s[14:15] scale_offset
	global_store_b32 v0, v2, s[14:15] offset:1024 scale_offset
	global_store_b32 v0, v3, s[14:15] offset:2048 scale_offset
	;; [unrolled: 1-line block ×3, first 2 shown]
.LBB155_2:
	s_and_not1_b32 vcc_lo, exec_lo, s0
	s_cbranch_vccnz .LBB155_43
; %bb.3:
	v_cmp_gt_i32_e32 vcc_lo, s12, v0
	s_wait_xcnt 0x1
	v_dual_mov_b32 v3, 0 :: v_dual_bitop2_b32 v1, s2, v0 bitop3:0x54
	v_or_b32_e32 v2, 0x100, v0
	v_dual_mov_b32 v6, 0 :: v_dual_mov_b32 v7, 0
	v_dual_mov_b32 v8, 0 :: v_dual_mov_b32 v22, v0
	s_wait_xcnt 0x0
	s_and_saveexec_b32 s0, vcc_lo
	s_cbranch_execz .LBB155_5
; %bb.4:
	s_clause 0x2
	global_load_u16 v6, v1, s[6:7] scale_offset
	global_load_u16 v7, v1, s[8:9] scale_offset
	;; [unrolled: 1-line block ×3, first 2 shown]
	v_or_b32_e32 v22, 0x100, v0
.LBB155_5:
	s_wait_xcnt 0x0
	s_or_b32 exec_lo, exec_lo, s0
	v_dual_mov_b32 v10, 0 :: v_dual_mov_b32 v12, 0
	s_mov_b32 s1, exec_lo
	v_cmpx_gt_i32_e64 s12, v22
	s_cbranch_execz .LBB155_7
; %bb.6:
	v_add_nc_u32_e32 v4, s2, v22
	v_add_nc_u32_e32 v22, 0x100, v22
	s_clause 0x2
	global_load_u16 v3, v4, s[6:7] scale_offset
	global_load_u16 v10, v4, s[8:9] scale_offset
	global_load_u16 v12, v4, s[10:11] scale_offset
.LBB155_7:
	s_wait_xcnt 0x0
	s_or_b32 exec_lo, exec_lo, s1
	v_dual_mov_b32 v4, 0 :: v_dual_mov_b32 v11, 0
	v_dual_mov_b32 v13, 0 :: v_dual_mov_b32 v14, 0
	s_mov_b32 s1, exec_lo
	v_cmpx_gt_i32_e64 s12, v22
	s_cbranch_execz .LBB155_9
; %bb.8:
	v_add_nc_u32_e32 v5, s2, v22
	v_add_nc_u32_e32 v22, 0x100, v22
	s_clause 0x2
	global_load_u16 v11, v5, s[6:7] scale_offset
	global_load_u16 v13, v5, s[8:9] scale_offset
	global_load_u16 v14, v5, s[10:11] scale_offset
.LBB155_9:
	s_wait_xcnt 0x0
	s_or_b32 exec_lo, exec_lo, s1
	v_dual_mov_b32 v15, 0 :: v_dual_mov_b32 v17, 0
	s_mov_b32 s1, exec_lo
	v_cmpx_gt_i32_e64 s12, v22
	s_cbranch_execz .LBB155_11
; %bb.10:
	v_add_nc_u32_e32 v5, s2, v22
	v_add_nc_u32_e32 v22, 0x100, v22
	s_clause 0x2
	global_load_u16 v4, v5, s[6:7] scale_offset
	global_load_u16 v15, v5, s[8:9] scale_offset
	global_load_u16 v17, v5, s[10:11] scale_offset
.LBB155_11:
	s_wait_xcnt 0x0
	s_or_b32 exec_lo, exec_lo, s1
	v_dual_mov_b32 v5, 0 :: v_dual_mov_b32 v16, 0
	v_dual_mov_b32 v18, 0 :: v_dual_mov_b32 v19, 0
	s_mov_b32 s1, exec_lo
	v_cmpx_gt_i32_e64 s12, v22
	s_cbranch_execz .LBB155_13
; %bb.12:
	v_add_nc_u32_e32 v9, s2, v22
	v_add_nc_u32_e32 v22, 0x100, v22
	s_clause 0x2
	global_load_u16 v16, v9, s[6:7] scale_offset
	global_load_u16 v18, v9, s[8:9] scale_offset
	global_load_u16 v19, v9, s[10:11] scale_offset
.LBB155_13:
	;; [unrolled: 29-line block ×3, first 2 shown]
	s_wait_xcnt 0x0
	s_or_b32 exec_lo, exec_lo, s1
	v_dual_mov_b32 v26, 0 :: v_dual_mov_b32 v27, 0
	s_mov_b32 s1, exec_lo
	v_cmpx_gt_i32_e64 s12, v22
	s_cbranch_execz .LBB155_19
; %bb.18:
	v_add_nc_u32_e32 v22, s2, v22
	s_clause 0x2
	global_load_u16 v9, v22, s[6:7] scale_offset
	global_load_u16 v26, v22, s[8:9] scale_offset
	;; [unrolled: 1-line block ×3, first 2 shown]
	s_wait_xcnt 0x0
	s_or_b32 exec_lo, exec_lo, s1
                                        ; implicit-def: $vgpr22
	s_and_saveexec_b32 s1, vcc_lo
	s_cbranch_execz .LBB155_21
	s_branch .LBB155_20
.LBB155_19:
	s_or_b32 exec_lo, exec_lo, s1
                                        ; implicit-def: $vgpr22
	s_and_saveexec_b32 s1, vcc_lo
	s_cbranch_execz .LBB155_21
.LBB155_20:
	s_wait_loadcnt 0x1
	v_cmp_gt_f16_e64 s0, v6, v7
	s_delay_alu instid0(VALU_DEP_1) | instskip(SKIP_1) | instid1(VALU_DEP_1)
	v_cndmask_b32_e64 v22, v7, v6, s0
	s_wait_loadcnt 0x0
	v_cmp_lt_f16_e64 s0, v22, v8
	s_delay_alu instid0(VALU_DEP_1) | instskip(SKIP_1) | instid1(VALU_DEP_1)
	v_cndmask_b32_e64 v22, v8, v22, s0
	v_cmp_u_f16_e64 s0, v8, v8
	v_cndmask_b32_e64 v8, v22, v8, s0
	v_cmp_u_f16_e64 s0, v7, v7
	s_delay_alu instid0(VALU_DEP_1) | instskip(SKIP_1) | instid1(VALU_DEP_1)
	v_cndmask_b32_e64 v7, v8, v7, s0
	v_cmp_u_f16_e64 s0, v6, v6
	v_cndmask_b32_e64 v22, v7, v6, s0
.LBB155_21:
	s_or_b32 exec_lo, exec_lo, s1
	s_delay_alu instid0(SALU_CYCLE_1)
	s_mov_b32 s1, exec_lo
                                        ; implicit-def: $vgpr6
	v_cmpx_gt_i32_e64 s12, v2
	s_cbranch_execz .LBB155_23
; %bb.22:
	s_wait_loadcnt 0x1
	v_cmp_gt_f16_e64 s0, v3, v10
	s_delay_alu instid0(VALU_DEP_1) | instskip(SKIP_1) | instid1(VALU_DEP_1)
	v_cndmask_b32_e64 v6, v10, v3, s0
	s_wait_loadcnt 0x0
	v_cmp_lt_f16_e64 s0, v6, v12
	s_delay_alu instid0(VALU_DEP_1) | instskip(SKIP_1) | instid1(VALU_DEP_1)
	v_cndmask_b32_e64 v6, v12, v6, s0
	v_cmp_u_f16_e64 s0, v12, v12
	v_cndmask_b32_e64 v6, v6, v12, s0
	v_cmp_u_f16_e64 s0, v10, v10
	s_delay_alu instid0(VALU_DEP_1) | instskip(SKIP_1) | instid1(VALU_DEP_1)
	v_cndmask_b32_e64 v6, v6, v10, s0
	v_cmp_u_f16_e64 s0, v3, v3
	v_cndmask_b32_e64 v6, v6, v3, s0
.LBB155_23:
	s_or_b32 exec_lo, exec_lo, s1
	s_wait_loadcnt 0x2
	v_or_b32_e32 v3, 0x200, v0
	s_delay_alu instid0(VALU_DEP_1)
	v_cmp_gt_i32_e64 s0, s12, v3
                                        ; implicit-def: $vgpr3
	s_and_saveexec_b32 s1, s0
	s_cbranch_execz .LBB155_25
; %bb.24:
	s_wait_loadcnt 0x1
	v_cmp_gt_f16_e64 s0, v11, v13
	s_delay_alu instid0(VALU_DEP_1) | instskip(SKIP_1) | instid1(VALU_DEP_1)
	v_cndmask_b32_e64 v3, v13, v11, s0
	s_wait_loadcnt 0x0
	v_cmp_lt_f16_e64 s0, v3, v14
	s_delay_alu instid0(VALU_DEP_1) | instskip(SKIP_1) | instid1(VALU_DEP_1)
	v_cndmask_b32_e64 v3, v14, v3, s0
	v_cmp_u_f16_e64 s0, v14, v14
	v_cndmask_b32_e64 v3, v3, v14, s0
	v_cmp_u_f16_e64 s0, v13, v13
	s_delay_alu instid0(VALU_DEP_1) | instskip(SKIP_1) | instid1(VALU_DEP_1)
	v_cndmask_b32_e64 v3, v3, v13, s0
	v_cmp_u_f16_e64 s0, v11, v11
	v_cndmask_b32_e64 v3, v3, v11, s0
.LBB155_25:
	s_or_b32 exec_lo, exec_lo, s1
	s_wait_loadcnt 0x1
	v_or_b32_e32 v7, 0x300, v0
	s_delay_alu instid0(VALU_DEP_1)
	v_cmp_gt_i32_e64 s0, s12, v7
                                        ; implicit-def: $vgpr7
	s_and_saveexec_b32 s1, s0
	s_cbranch_execz .LBB155_27
; %bb.26:
	v_cmp_gt_f16_e64 s0, v4, v15
	s_delay_alu instid0(VALU_DEP_1) | instskip(SKIP_1) | instid1(VALU_DEP_1)
	v_cndmask_b32_e64 v7, v15, v4, s0
	s_wait_loadcnt 0x0
	v_cmp_lt_f16_e64 s0, v7, v17
	s_delay_alu instid0(VALU_DEP_1) | instskip(SKIP_1) | instid1(VALU_DEP_1)
	v_cndmask_b32_e64 v7, v17, v7, s0
	v_cmp_u_f16_e64 s0, v17, v17
	v_cndmask_b32_e64 v7, v7, v17, s0
	v_cmp_u_f16_e64 s0, v15, v15
	s_delay_alu instid0(VALU_DEP_1) | instskip(SKIP_1) | instid1(VALU_DEP_1)
	v_cndmask_b32_e64 v7, v7, v15, s0
	v_cmp_u_f16_e64 s0, v4, v4
	v_cndmask_b32_e64 v7, v7, v4, s0
.LBB155_27:
	s_or_b32 exec_lo, exec_lo, s1
	v_or_b32_e32 v4, 0x400, v0
	s_delay_alu instid0(VALU_DEP_1)
	v_cmp_gt_i32_e64 s0, s12, v4
                                        ; implicit-def: $vgpr4
	s_and_saveexec_b32 s1, s0
	s_cbranch_execz .LBB155_29
; %bb.28:
	v_cmp_gt_f16_e64 s0, v16, v18
	s_delay_alu instid0(VALU_DEP_1) | instskip(SKIP_1) | instid1(VALU_DEP_1)
	v_cndmask_b32_e64 v4, v18, v16, s0
	s_wait_loadcnt 0x0
	v_cmp_lt_f16_e64 s0, v4, v19
	s_delay_alu instid0(VALU_DEP_1) | instskip(SKIP_1) | instid1(VALU_DEP_1)
	v_cndmask_b32_e64 v4, v19, v4, s0
	v_cmp_u_f16_e64 s0, v19, v19
	v_cndmask_b32_e64 v4, v4, v19, s0
	v_cmp_u_f16_e64 s0, v18, v18
	s_delay_alu instid0(VALU_DEP_1) | instskip(SKIP_1) | instid1(VALU_DEP_1)
	v_cndmask_b32_e64 v4, v4, v18, s0
	v_cmp_u_f16_e64 s0, v16, v16
	v_cndmask_b32_e64 v4, v4, v16, s0
.LBB155_29:
	s_or_b32 exec_lo, exec_lo, s1
	s_wait_loadcnt 0x0
	v_or_b32_e32 v8, 0x500, v0
	s_delay_alu instid0(VALU_DEP_1)
	v_cmp_gt_i32_e64 s0, s12, v8
                                        ; implicit-def: $vgpr8
	s_and_saveexec_b32 s1, s0
	s_cbranch_execz .LBB155_31
; %bb.30:
	v_cmp_gt_f16_e64 s0, v5, v20
	s_delay_alu instid0(VALU_DEP_1) | instskip(NEXT) | instid1(VALU_DEP_1)
	v_cndmask_b32_e64 v8, v20, v5, s0
	v_cmp_lt_f16_e64 s0, v8, v23
	s_delay_alu instid0(VALU_DEP_1) | instskip(SKIP_1) | instid1(VALU_DEP_1)
	v_cndmask_b32_e64 v8, v23, v8, s0
	v_cmp_u_f16_e64 s0, v23, v23
	v_cndmask_b32_e64 v8, v8, v23, s0
	v_cmp_u_f16_e64 s0, v20, v20
	s_delay_alu instid0(VALU_DEP_1) | instskip(SKIP_1) | instid1(VALU_DEP_1)
	v_cndmask_b32_e64 v8, v8, v20, s0
	v_cmp_u_f16_e64 s0, v5, v5
	v_cndmask_b32_e64 v8, v8, v5, s0
.LBB155_31:
	s_or_b32 exec_lo, exec_lo, s1
	v_or_b32_e32 v5, 0x600, v0
	s_delay_alu instid0(VALU_DEP_1)
	v_cmp_gt_i32_e64 s0, s12, v5
                                        ; implicit-def: $vgpr5
	s_and_saveexec_b32 s1, s0
	s_cbranch_execz .LBB155_33
; %bb.32:
	v_cmp_gt_f16_e64 s0, v21, v24
	s_delay_alu instid0(VALU_DEP_1) | instskip(NEXT) | instid1(VALU_DEP_1)
	v_cndmask_b32_e64 v5, v24, v21, s0
	v_cmp_lt_f16_e64 s0, v5, v25
	s_delay_alu instid0(VALU_DEP_1) | instskip(SKIP_1) | instid1(VALU_DEP_1)
	v_cndmask_b32_e64 v5, v25, v5, s0
	v_cmp_u_f16_e64 s0, v25, v25
	v_cndmask_b32_e64 v5, v5, v25, s0
	v_cmp_u_f16_e64 s0, v24, v24
	s_delay_alu instid0(VALU_DEP_1) | instskip(SKIP_1) | instid1(VALU_DEP_1)
	v_cndmask_b32_e64 v5, v5, v24, s0
	v_cmp_u_f16_e64 s0, v21, v21
	v_cndmask_b32_e64 v5, v5, v21, s0
.LBB155_33:
	s_or_b32 exec_lo, exec_lo, s1
	v_or_b32_e32 v10, 0x700, v0
	s_delay_alu instid0(VALU_DEP_1)
	v_cmp_gt_i32_e64 s0, s12, v10
                                        ; implicit-def: $vgpr10
	s_and_saveexec_b32 s1, s0
	s_cbranch_execz .LBB155_44
; %bb.34:
	v_cmp_gt_f16_e64 s0, v9, v26
	s_delay_alu instid0(VALU_DEP_1) | instskip(NEXT) | instid1(VALU_DEP_1)
	v_cndmask_b32_e64 v10, v26, v9, s0
	v_cmp_lt_f16_e64 s0, v10, v27
	s_delay_alu instid0(VALU_DEP_1) | instskip(SKIP_1) | instid1(VALU_DEP_1)
	v_cndmask_b32_e64 v10, v27, v10, s0
	v_cmp_u_f16_e64 s0, v27, v27
	v_cndmask_b32_e64 v10, v10, v27, s0
	v_cmp_u_f16_e64 s0, v26, v26
	s_delay_alu instid0(VALU_DEP_1) | instskip(SKIP_1) | instid1(VALU_DEP_1)
	v_cndmask_b32_e64 v10, v10, v26, s0
	v_cmp_u_f16_e64 s0, v9, v9
	v_cndmask_b32_e64 v10, v10, v9, s0
	s_or_b32 exec_lo, exec_lo, s1
	s_and_saveexec_b32 s0, vcc_lo
	s_delay_alu instid0(SALU_CYCLE_1)
	s_xor_b32 s0, exec_lo, s0
	s_cbranch_execnz .LBB155_45
.LBB155_35:
	s_or_b32 exec_lo, exec_lo, s0
	s_delay_alu instid0(SALU_CYCLE_1)
	s_mov_b32 s0, exec_lo
	v_cmpx_gt_i32_e64 s12, v0
	s_cbranch_execz .LBB155_46
.LBB155_36:
	v_add_nc_u32_e32 v1, s2, v0
	v_add_nc_u32_e32 v0, 0x100, v0
	global_store_b16 v1, v6, s[4:5] scale_offset
	s_wait_xcnt 0x0
	s_or_b32 exec_lo, exec_lo, s0
	s_delay_alu instid0(SALU_CYCLE_1)
	s_mov_b32 s0, exec_lo
	v_cmpx_gt_i32_e64 s12, v0
	s_cbranch_execnz .LBB155_47
.LBB155_37:
	s_or_b32 exec_lo, exec_lo, s0
	s_delay_alu instid0(SALU_CYCLE_1)
	s_mov_b32 s0, exec_lo
	v_cmpx_gt_i32_e64 s12, v0
	s_cbranch_execz .LBB155_48
.LBB155_38:
	v_add_nc_u32_e32 v1, s2, v0
	v_add_nc_u32_e32 v0, 0x100, v0
	global_store_b16 v1, v7, s[4:5] scale_offset
	s_wait_xcnt 0x0
	s_or_b32 exec_lo, exec_lo, s0
	s_delay_alu instid0(SALU_CYCLE_1)
	s_mov_b32 s0, exec_lo
	v_cmpx_gt_i32_e64 s12, v0
	s_cbranch_execnz .LBB155_49
.LBB155_39:
	s_or_b32 exec_lo, exec_lo, s0
	s_delay_alu instid0(SALU_CYCLE_1)
	s_mov_b32 s0, exec_lo
	v_cmpx_gt_i32_e64 s12, v0
	s_cbranch_execz .LBB155_50
.LBB155_40:
	v_add_nc_u32_e32 v1, s2, v0
	v_add_nc_u32_e32 v0, 0x100, v0
	global_store_b16 v1, v8, s[4:5] scale_offset
	s_wait_xcnt 0x0
	s_or_b32 exec_lo, exec_lo, s0
	s_delay_alu instid0(SALU_CYCLE_1)
	s_mov_b32 s0, exec_lo
	v_cmpx_gt_i32_e64 s12, v0
	s_cbranch_execnz .LBB155_51
.LBB155_41:
	s_or_b32 exec_lo, exec_lo, s0
	s_delay_alu instid0(SALU_CYCLE_1)
	s_mov_b32 s0, exec_lo
	v_cmpx_gt_i32_e64 s12, v0
	s_cbranch_execz .LBB155_43
.LBB155_42:
	v_add_nc_u32_e32 v0, s2, v0
	global_store_b16 v0, v10, s[4:5] scale_offset
.LBB155_43:
	s_endpgm
.LBB155_44:
	s_or_b32 exec_lo, exec_lo, s1
	s_and_saveexec_b32 s0, vcc_lo
	s_delay_alu instid0(SALU_CYCLE_1)
	s_xor_b32 s0, exec_lo, s0
	s_cbranch_execz .LBB155_35
.LBB155_45:
	v_mov_b32_e32 v0, v2
	global_store_b16 v1, v22, s[4:5] scale_offset
	s_wait_xcnt 0x0
	s_or_b32 exec_lo, exec_lo, s0
	s_delay_alu instid0(SALU_CYCLE_1)
	s_mov_b32 s0, exec_lo
	v_cmpx_gt_i32_e64 s12, v0
	s_cbranch_execnz .LBB155_36
.LBB155_46:
	s_or_b32 exec_lo, exec_lo, s0
	s_delay_alu instid0(SALU_CYCLE_1)
	s_mov_b32 s0, exec_lo
	v_cmpx_gt_i32_e64 s12, v0
	s_cbranch_execz .LBB155_37
.LBB155_47:
	v_add_nc_u32_e32 v1, s2, v0
	v_add_nc_u32_e32 v0, 0x100, v0
	global_store_b16 v1, v3, s[4:5] scale_offset
	s_wait_xcnt 0x0
	s_or_b32 exec_lo, exec_lo, s0
	s_delay_alu instid0(SALU_CYCLE_1)
	s_mov_b32 s0, exec_lo
	v_cmpx_gt_i32_e64 s12, v0
	s_cbranch_execnz .LBB155_38
.LBB155_48:
	s_or_b32 exec_lo, exec_lo, s0
	s_delay_alu instid0(SALU_CYCLE_1)
	s_mov_b32 s0, exec_lo
	v_cmpx_gt_i32_e64 s12, v0
	s_cbranch_execz .LBB155_39
.LBB155_49:
	v_add_nc_u32_e32 v1, s2, v0
	v_add_nc_u32_e32 v0, 0x100, v0
	global_store_b16 v1, v4, s[4:5] scale_offset
	s_wait_xcnt 0x0
	s_or_b32 exec_lo, exec_lo, s0
	s_delay_alu instid0(SALU_CYCLE_1)
	s_mov_b32 s0, exec_lo
	v_cmpx_gt_i32_e64 s12, v0
	s_cbranch_execnz .LBB155_40
.LBB155_50:
	s_or_b32 exec_lo, exec_lo, s0
	s_delay_alu instid0(SALU_CYCLE_1)
	s_mov_b32 s0, exec_lo
	v_cmpx_gt_i32_e64 s12, v0
	s_cbranch_execz .LBB155_41
.LBB155_51:
	v_add_nc_u32_e32 v1, s2, v0
	v_add_nc_u32_e32 v0, 0x100, v0
	global_store_b16 v1, v5, s[4:5] scale_offset
	s_wait_xcnt 0x0
	s_or_b32 exec_lo, exec_lo, s0
	s_delay_alu instid0(SALU_CYCLE_1)
	s_mov_b32 s0, exec_lo
	v_cmpx_gt_i32_e64 s12, v0
	s_cbranch_execnz .LBB155_42
	s_branch .LBB155_43
	.section	.rodata,"a",@progbits
	.p2align	6, 0x0
	.amdhsa_kernel _ZN2at6native29vectorized_elementwise_kernelILi2EZZZNS0_12_GLOBAL__N_117clamp_kernel_implERNS_18TensorIteratorBaseEENKUlvE_clEvENKUlvE6_clEvEUlN3c104HalfES8_S8_E_St5arrayIPcLm4EEEEviT0_T1_
		.amdhsa_group_segment_fixed_size 0
		.amdhsa_private_segment_fixed_size 0
		.amdhsa_kernarg_size 40
		.amdhsa_user_sgpr_count 2
		.amdhsa_user_sgpr_dispatch_ptr 0
		.amdhsa_user_sgpr_queue_ptr 0
		.amdhsa_user_sgpr_kernarg_segment_ptr 1
		.amdhsa_user_sgpr_dispatch_id 0
		.amdhsa_user_sgpr_kernarg_preload_length 0
		.amdhsa_user_sgpr_kernarg_preload_offset 0
		.amdhsa_user_sgpr_private_segment_size 0
		.amdhsa_wavefront_size32 1
		.amdhsa_uses_dynamic_stack 0
		.amdhsa_enable_private_segment 0
		.amdhsa_system_sgpr_workgroup_id_x 1
		.amdhsa_system_sgpr_workgroup_id_y 0
		.amdhsa_system_sgpr_workgroup_id_z 0
		.amdhsa_system_sgpr_workgroup_info 0
		.amdhsa_system_vgpr_workitem_id 0
		.amdhsa_next_free_vgpr 33
		.amdhsa_next_free_sgpr 20
		.amdhsa_named_barrier_count 0
		.amdhsa_reserve_vcc 1
		.amdhsa_float_round_mode_32 0
		.amdhsa_float_round_mode_16_64 0
		.amdhsa_float_denorm_mode_32 3
		.amdhsa_float_denorm_mode_16_64 3
		.amdhsa_fp16_overflow 0
		.amdhsa_memory_ordered 1
		.amdhsa_forward_progress 1
		.amdhsa_inst_pref_size 25
		.amdhsa_round_robin_scheduling 0
		.amdhsa_exception_fp_ieee_invalid_op 0
		.amdhsa_exception_fp_denorm_src 0
		.amdhsa_exception_fp_ieee_div_zero 0
		.amdhsa_exception_fp_ieee_overflow 0
		.amdhsa_exception_fp_ieee_underflow 0
		.amdhsa_exception_fp_ieee_inexact 0
		.amdhsa_exception_int_div_zero 0
	.end_amdhsa_kernel
	.section	.text._ZN2at6native29vectorized_elementwise_kernelILi2EZZZNS0_12_GLOBAL__N_117clamp_kernel_implERNS_18TensorIteratorBaseEENKUlvE_clEvENKUlvE6_clEvEUlN3c104HalfES8_S8_E_St5arrayIPcLm4EEEEviT0_T1_,"axG",@progbits,_ZN2at6native29vectorized_elementwise_kernelILi2EZZZNS0_12_GLOBAL__N_117clamp_kernel_implERNS_18TensorIteratorBaseEENKUlvE_clEvENKUlvE6_clEvEUlN3c104HalfES8_S8_E_St5arrayIPcLm4EEEEviT0_T1_,comdat
.Lfunc_end155:
	.size	_ZN2at6native29vectorized_elementwise_kernelILi2EZZZNS0_12_GLOBAL__N_117clamp_kernel_implERNS_18TensorIteratorBaseEENKUlvE_clEvENKUlvE6_clEvEUlN3c104HalfES8_S8_E_St5arrayIPcLm4EEEEviT0_T1_, .Lfunc_end155-_ZN2at6native29vectorized_elementwise_kernelILi2EZZZNS0_12_GLOBAL__N_117clamp_kernel_implERNS_18TensorIteratorBaseEENKUlvE_clEvENKUlvE6_clEvEUlN3c104HalfES8_S8_E_St5arrayIPcLm4EEEEviT0_T1_
                                        ; -- End function
	.set _ZN2at6native29vectorized_elementwise_kernelILi2EZZZNS0_12_GLOBAL__N_117clamp_kernel_implERNS_18TensorIteratorBaseEENKUlvE_clEvENKUlvE6_clEvEUlN3c104HalfES8_S8_E_St5arrayIPcLm4EEEEviT0_T1_.num_vgpr, 33
	.set _ZN2at6native29vectorized_elementwise_kernelILi2EZZZNS0_12_GLOBAL__N_117clamp_kernel_implERNS_18TensorIteratorBaseEENKUlvE_clEvENKUlvE6_clEvEUlN3c104HalfES8_S8_E_St5arrayIPcLm4EEEEviT0_T1_.num_agpr, 0
	.set _ZN2at6native29vectorized_elementwise_kernelILi2EZZZNS0_12_GLOBAL__N_117clamp_kernel_implERNS_18TensorIteratorBaseEENKUlvE_clEvENKUlvE6_clEvEUlN3c104HalfES8_S8_E_St5arrayIPcLm4EEEEviT0_T1_.numbered_sgpr, 20
	.set _ZN2at6native29vectorized_elementwise_kernelILi2EZZZNS0_12_GLOBAL__N_117clamp_kernel_implERNS_18TensorIteratorBaseEENKUlvE_clEvENKUlvE6_clEvEUlN3c104HalfES8_S8_E_St5arrayIPcLm4EEEEviT0_T1_.num_named_barrier, 0
	.set _ZN2at6native29vectorized_elementwise_kernelILi2EZZZNS0_12_GLOBAL__N_117clamp_kernel_implERNS_18TensorIteratorBaseEENKUlvE_clEvENKUlvE6_clEvEUlN3c104HalfES8_S8_E_St5arrayIPcLm4EEEEviT0_T1_.private_seg_size, 0
	.set _ZN2at6native29vectorized_elementwise_kernelILi2EZZZNS0_12_GLOBAL__N_117clamp_kernel_implERNS_18TensorIteratorBaseEENKUlvE_clEvENKUlvE6_clEvEUlN3c104HalfES8_S8_E_St5arrayIPcLm4EEEEviT0_T1_.uses_vcc, 1
	.set _ZN2at6native29vectorized_elementwise_kernelILi2EZZZNS0_12_GLOBAL__N_117clamp_kernel_implERNS_18TensorIteratorBaseEENKUlvE_clEvENKUlvE6_clEvEUlN3c104HalfES8_S8_E_St5arrayIPcLm4EEEEviT0_T1_.uses_flat_scratch, 0
	.set _ZN2at6native29vectorized_elementwise_kernelILi2EZZZNS0_12_GLOBAL__N_117clamp_kernel_implERNS_18TensorIteratorBaseEENKUlvE_clEvENKUlvE6_clEvEUlN3c104HalfES8_S8_E_St5arrayIPcLm4EEEEviT0_T1_.has_dyn_sized_stack, 0
	.set _ZN2at6native29vectorized_elementwise_kernelILi2EZZZNS0_12_GLOBAL__N_117clamp_kernel_implERNS_18TensorIteratorBaseEENKUlvE_clEvENKUlvE6_clEvEUlN3c104HalfES8_S8_E_St5arrayIPcLm4EEEEviT0_T1_.has_recursion, 0
	.set _ZN2at6native29vectorized_elementwise_kernelILi2EZZZNS0_12_GLOBAL__N_117clamp_kernel_implERNS_18TensorIteratorBaseEENKUlvE_clEvENKUlvE6_clEvEUlN3c104HalfES8_S8_E_St5arrayIPcLm4EEEEviT0_T1_.has_indirect_call, 0
	.section	.AMDGPU.csdata,"",@progbits
; Kernel info:
; codeLenInByte = 3196
; TotalNumSgprs: 22
; NumVgprs: 33
; ScratchSize: 0
; MemoryBound: 0
; FloatMode: 240
; IeeeMode: 1
; LDSByteSize: 0 bytes/workgroup (compile time only)
; SGPRBlocks: 0
; VGPRBlocks: 2
; NumSGPRsForWavesPerEU: 22
; NumVGPRsForWavesPerEU: 33
; NamedBarCnt: 0
; Occupancy: 16
; WaveLimiterHint : 1
; COMPUTE_PGM_RSRC2:SCRATCH_EN: 0
; COMPUTE_PGM_RSRC2:USER_SGPR: 2
; COMPUTE_PGM_RSRC2:TRAP_HANDLER: 0
; COMPUTE_PGM_RSRC2:TGID_X_EN: 1
; COMPUTE_PGM_RSRC2:TGID_Y_EN: 0
; COMPUTE_PGM_RSRC2:TGID_Z_EN: 0
; COMPUTE_PGM_RSRC2:TIDIG_COMP_CNT: 0
	.section	.text._ZN2at6native27unrolled_elementwise_kernelIZZZNS0_12_GLOBAL__N_117clamp_kernel_implERNS_18TensorIteratorBaseEENKUlvE_clEvENKUlvE6_clEvEUlN3c104HalfES8_S8_E_St5arrayIPcLm4EELi4E23TrivialOffsetCalculatorILi3EjESD_ILi1EjENS0_6memory15LoadWithoutCastENSG_16StoreWithoutCastEEEviT_T0_T2_T3_T4_T5_,"axG",@progbits,_ZN2at6native27unrolled_elementwise_kernelIZZZNS0_12_GLOBAL__N_117clamp_kernel_implERNS_18TensorIteratorBaseEENKUlvE_clEvENKUlvE6_clEvEUlN3c104HalfES8_S8_E_St5arrayIPcLm4EELi4E23TrivialOffsetCalculatorILi3EjESD_ILi1EjENS0_6memory15LoadWithoutCastENSG_16StoreWithoutCastEEEviT_T0_T2_T3_T4_T5_,comdat
	.globl	_ZN2at6native27unrolled_elementwise_kernelIZZZNS0_12_GLOBAL__N_117clamp_kernel_implERNS_18TensorIteratorBaseEENKUlvE_clEvENKUlvE6_clEvEUlN3c104HalfES8_S8_E_St5arrayIPcLm4EELi4E23TrivialOffsetCalculatorILi3EjESD_ILi1EjENS0_6memory15LoadWithoutCastENSG_16StoreWithoutCastEEEviT_T0_T2_T3_T4_T5_ ; -- Begin function _ZN2at6native27unrolled_elementwise_kernelIZZZNS0_12_GLOBAL__N_117clamp_kernel_implERNS_18TensorIteratorBaseEENKUlvE_clEvENKUlvE6_clEvEUlN3c104HalfES8_S8_E_St5arrayIPcLm4EELi4E23TrivialOffsetCalculatorILi3EjESD_ILi1EjENS0_6memory15LoadWithoutCastENSG_16StoreWithoutCastEEEviT_T0_T2_T3_T4_T5_
	.p2align	8
	.type	_ZN2at6native27unrolled_elementwise_kernelIZZZNS0_12_GLOBAL__N_117clamp_kernel_implERNS_18TensorIteratorBaseEENKUlvE_clEvENKUlvE6_clEvEUlN3c104HalfES8_S8_E_St5arrayIPcLm4EELi4E23TrivialOffsetCalculatorILi3EjESD_ILi1EjENS0_6memory15LoadWithoutCastENSG_16StoreWithoutCastEEEviT_T0_T2_T3_T4_T5_,@function
_ZN2at6native27unrolled_elementwise_kernelIZZZNS0_12_GLOBAL__N_117clamp_kernel_implERNS_18TensorIteratorBaseEENKUlvE_clEvENKUlvE6_clEvEUlN3c104HalfES8_S8_E_St5arrayIPcLm4EELi4E23TrivialOffsetCalculatorILi3EjESD_ILi1EjENS0_6memory15LoadWithoutCastENSG_16StoreWithoutCastEEEviT_T0_T2_T3_T4_T5_: ; @_ZN2at6native27unrolled_elementwise_kernelIZZZNS0_12_GLOBAL__N_117clamp_kernel_implERNS_18TensorIteratorBaseEENKUlvE_clEvENKUlvE6_clEvEUlN3c104HalfES8_S8_E_St5arrayIPcLm4EELi4E23TrivialOffsetCalculatorILi3EjESD_ILi1EjENS0_6memory15LoadWithoutCastENSG_16StoreWithoutCastEEEviT_T0_T2_T3_T4_T5_
; %bb.0:
	s_load_b32 s2, s[0:1], 0x0
	s_bfe_u32 s12, ttmp6, 0x4000c
	s_load_b256 s[4:11], s[0:1], 0x8
	s_add_co_i32 s12, s12, 1
	s_and_b32 s3, ttmp6, 15
	s_wait_xcnt 0x0
	s_mul_i32 s0, ttmp9, s12
	s_getreg_b32 s13, hwreg(HW_REG_IB_STS2, 6, 4)
	s_add_co_i32 s3, s3, s0
	s_cmp_eq_u32 s13, 0
	v_dual_mov_b32 v3, 0 :: v_dual_mov_b32 v5, 0
	s_cselect_b32 s0, ttmp9, s3
	v_dual_mov_b32 v6, 0 :: v_dual_mov_b32 v7, 0
	s_lshl_b32 s1, s0, 10
	v_or_b32_e32 v1, 0x100, v0
	v_dual_mov_b32 v15, v0 :: v_dual_bitop2_b32 v2, s1, v0 bitop3:0x54
	s_wait_kmcnt 0x0
	s_sub_co_i32 s2, s2, s1
	s_delay_alu instid0(SALU_CYCLE_1)
	v_cmp_gt_i32_e32 vcc_lo, s2, v0
	s_and_saveexec_b32 s0, vcc_lo
	s_cbranch_execz .LBB156_2
; %bb.1:
	s_clause 0x2
	global_load_u16 v5, v2, s[6:7] scale_offset
	global_load_u16 v6, v2, s[8:9] scale_offset
	global_load_u16 v7, v2, s[10:11] scale_offset
	v_or_b32_e32 v15, 0x100, v0
.LBB156_2:
	s_wait_xcnt 0x0
	s_or_b32 exec_lo, exec_lo, s0
	v_dual_mov_b32 v8, 0 :: v_dual_mov_b32 v10, 0
	s_mov_b32 s3, exec_lo
	v_cmpx_gt_i32_e64 s2, v15
	s_cbranch_execz .LBB156_4
; %bb.3:
	v_add_nc_u32_e32 v4, s1, v15
	v_add_nc_u32_e32 v15, 0x100, v15
	s_clause 0x2
	global_load_u16 v3, v4, s[6:7] scale_offset
	global_load_u16 v8, v4, s[8:9] scale_offset
	;; [unrolled: 1-line block ×3, first 2 shown]
.LBB156_4:
	s_wait_xcnt 0x0
	s_or_b32 exec_lo, exec_lo, s3
	v_dual_mov_b32 v4, 0 :: v_dual_mov_b32 v9, 0
	v_dual_mov_b32 v11, 0 :: v_dual_mov_b32 v12, 0
	s_mov_b32 s3, exec_lo
	v_cmpx_gt_i32_e64 s2, v15
	s_cbranch_execz .LBB156_6
; %bb.5:
	v_add_nc_u32_e32 v13, s1, v15
	v_add_nc_u32_e32 v15, 0x100, v15
	s_clause 0x2
	global_load_u16 v9, v13, s[6:7] scale_offset
	global_load_u16 v11, v13, s[8:9] scale_offset
	;; [unrolled: 1-line block ×3, first 2 shown]
.LBB156_6:
	s_wait_xcnt 0x0
	s_or_b32 exec_lo, exec_lo, s3
	v_dual_mov_b32 v13, 0 :: v_dual_mov_b32 v14, 0
	s_mov_b32 s3, exec_lo
	v_cmpx_gt_i32_e64 s2, v15
	s_cbranch_execz .LBB156_8
; %bb.7:
	v_add_nc_u32_e32 v15, s1, v15
	s_clause 0x2
	global_load_u16 v4, v15, s[6:7] scale_offset
	global_load_u16 v13, v15, s[8:9] scale_offset
	;; [unrolled: 1-line block ×3, first 2 shown]
	s_wait_xcnt 0x0
	s_or_b32 exec_lo, exec_lo, s3
                                        ; implicit-def: $vgpr15
	s_and_saveexec_b32 s3, vcc_lo
	s_cbranch_execz .LBB156_10
	s_branch .LBB156_9
.LBB156_8:
	s_or_b32 exec_lo, exec_lo, s3
                                        ; implicit-def: $vgpr15
	s_and_saveexec_b32 s3, vcc_lo
	s_cbranch_execz .LBB156_10
.LBB156_9:
	s_wait_loadcnt 0x1
	v_cmp_gt_f16_e64 s0, v5, v6
	s_delay_alu instid0(VALU_DEP_1) | instskip(SKIP_1) | instid1(VALU_DEP_1)
	v_cndmask_b32_e64 v15, v6, v5, s0
	s_wait_loadcnt 0x0
	v_cmp_lt_f16_e64 s0, v15, v7
	s_delay_alu instid0(VALU_DEP_1) | instskip(SKIP_1) | instid1(VALU_DEP_1)
	v_cndmask_b32_e64 v15, v7, v15, s0
	v_cmp_u_f16_e64 s0, v7, v7
	v_cndmask_b32_e64 v7, v15, v7, s0
	v_cmp_u_f16_e64 s0, v6, v6
	s_delay_alu instid0(VALU_DEP_1) | instskip(SKIP_1) | instid1(VALU_DEP_1)
	v_cndmask_b32_e64 v6, v7, v6, s0
	v_cmp_u_f16_e64 s0, v5, v5
	v_cndmask_b32_e64 v15, v6, v5, s0
.LBB156_10:
	s_or_b32 exec_lo, exec_lo, s3
	s_delay_alu instid0(SALU_CYCLE_1)
	s_mov_b32 s3, exec_lo
                                        ; implicit-def: $vgpr5
	v_cmpx_gt_i32_e64 s2, v1
	s_cbranch_execz .LBB156_12
; %bb.11:
	s_wait_loadcnt 0x1
	v_cmp_gt_f16_e64 s0, v3, v8
	s_delay_alu instid0(VALU_DEP_1) | instskip(SKIP_1) | instid1(VALU_DEP_1)
	v_cndmask_b32_e64 v5, v8, v3, s0
	s_wait_loadcnt 0x0
	v_cmp_lt_f16_e64 s0, v5, v10
	s_delay_alu instid0(VALU_DEP_1) | instskip(SKIP_1) | instid1(VALU_DEP_1)
	v_cndmask_b32_e64 v5, v10, v5, s0
	v_cmp_u_f16_e64 s0, v10, v10
	v_cndmask_b32_e64 v5, v5, v10, s0
	v_cmp_u_f16_e64 s0, v8, v8
	s_delay_alu instid0(VALU_DEP_1) | instskip(SKIP_1) | instid1(VALU_DEP_1)
	v_cndmask_b32_e64 v5, v5, v8, s0
	v_cmp_u_f16_e64 s0, v3, v3
	v_cndmask_b32_e64 v5, v5, v3, s0
.LBB156_12:
	s_or_b32 exec_lo, exec_lo, s3
	s_wait_loadcnt 0x2
	v_or_b32_e32 v3, 0x200, v0
	s_delay_alu instid0(VALU_DEP_1)
	v_cmp_gt_i32_e64 s0, s2, v3
                                        ; implicit-def: $vgpr3
	s_and_saveexec_b32 s3, s0
	s_cbranch_execz .LBB156_14
; %bb.13:
	s_wait_loadcnt 0x1
	v_cmp_gt_f16_e64 s0, v9, v11
	s_delay_alu instid0(VALU_DEP_1) | instskip(SKIP_1) | instid1(VALU_DEP_1)
	v_cndmask_b32_e64 v3, v11, v9, s0
	s_wait_loadcnt 0x0
	v_cmp_lt_f16_e64 s0, v3, v12
	s_delay_alu instid0(VALU_DEP_1) | instskip(SKIP_1) | instid1(VALU_DEP_1)
	v_cndmask_b32_e64 v3, v12, v3, s0
	v_cmp_u_f16_e64 s0, v12, v12
	v_cndmask_b32_e64 v3, v3, v12, s0
	v_cmp_u_f16_e64 s0, v11, v11
	s_delay_alu instid0(VALU_DEP_1) | instskip(SKIP_1) | instid1(VALU_DEP_1)
	v_cndmask_b32_e64 v3, v3, v11, s0
	v_cmp_u_f16_e64 s0, v9, v9
	v_cndmask_b32_e64 v3, v3, v9, s0
.LBB156_14:
	s_or_b32 exec_lo, exec_lo, s3
	s_wait_loadcnt 0x1
	v_or_b32_e32 v6, 0x300, v0
	s_delay_alu instid0(VALU_DEP_1)
	v_cmp_gt_i32_e64 s0, s2, v6
                                        ; implicit-def: $vgpr6
	s_and_saveexec_b32 s3, s0
	s_cbranch_execz .LBB156_20
; %bb.15:
	v_cmp_gt_f16_e64 s0, v4, v13
	s_delay_alu instid0(VALU_DEP_1) | instskip(SKIP_1) | instid1(VALU_DEP_1)
	v_cndmask_b32_e64 v6, v13, v4, s0
	s_wait_loadcnt 0x0
	v_cmp_lt_f16_e64 s0, v6, v14
	s_delay_alu instid0(VALU_DEP_1) | instskip(SKIP_1) | instid1(VALU_DEP_1)
	v_cndmask_b32_e64 v6, v14, v6, s0
	v_cmp_u_f16_e64 s0, v14, v14
	v_cndmask_b32_e64 v6, v6, v14, s0
	v_cmp_u_f16_e64 s0, v13, v13
	s_delay_alu instid0(VALU_DEP_1) | instskip(SKIP_1) | instid1(VALU_DEP_1)
	v_cndmask_b32_e64 v6, v6, v13, s0
	v_cmp_u_f16_e64 s0, v4, v4
	v_cndmask_b32_e64 v6, v6, v4, s0
	s_or_b32 exec_lo, exec_lo, s3
	s_and_saveexec_b32 s0, vcc_lo
	s_delay_alu instid0(SALU_CYCLE_1)
	s_xor_b32 s0, exec_lo, s0
	s_cbranch_execnz .LBB156_21
.LBB156_16:
	s_or_b32 exec_lo, exec_lo, s0
	s_delay_alu instid0(SALU_CYCLE_1)
	s_mov_b32 s0, exec_lo
	v_cmpx_gt_i32_e64 s2, v0
	s_cbranch_execz .LBB156_22
.LBB156_17:
	v_add_nc_u32_e32 v1, 0x100, v0
	s_delay_alu instid0(VALU_DEP_1) | instskip(SKIP_3) | instid1(SALU_CYCLE_1)
	v_dual_add_nc_u32 v2, s1, v0 :: v_dual_mov_b32 v0, v1
	global_store_b16 v2, v5, s[4:5] scale_offset
	s_wait_xcnt 0x0
	s_or_b32 exec_lo, exec_lo, s0
	s_mov_b32 s0, exec_lo
	v_cmpx_gt_i32_e64 s2, v0
	s_cbranch_execnz .LBB156_23
.LBB156_18:
	s_or_b32 exec_lo, exec_lo, s0
	s_delay_alu instid0(SALU_CYCLE_1)
	s_mov_b32 s0, exec_lo
	v_cmpx_gt_i32_e64 s2, v0
	s_cbranch_execz .LBB156_24
.LBB156_19:
	v_add_nc_u32_e32 v0, s1, v0
	global_store_b16 v0, v6, s[4:5] scale_offset
	s_endpgm
.LBB156_20:
	s_or_b32 exec_lo, exec_lo, s3
	s_and_saveexec_b32 s0, vcc_lo
	s_delay_alu instid0(SALU_CYCLE_1)
	s_xor_b32 s0, exec_lo, s0
	s_cbranch_execz .LBB156_16
.LBB156_21:
	v_mov_b32_e32 v0, v1
	global_store_b16 v2, v15, s[4:5] scale_offset
	s_wait_xcnt 0x0
	s_or_b32 exec_lo, exec_lo, s0
	s_delay_alu instid0(SALU_CYCLE_1)
	s_mov_b32 s0, exec_lo
	v_cmpx_gt_i32_e64 s2, v0
	s_cbranch_execnz .LBB156_17
.LBB156_22:
	s_or_b32 exec_lo, exec_lo, s0
	s_delay_alu instid0(SALU_CYCLE_1)
	s_mov_b32 s0, exec_lo
	v_cmpx_gt_i32_e64 s2, v0
	s_cbranch_execz .LBB156_18
.LBB156_23:
	v_add_nc_u32_e32 v1, 0x100, v0
	s_delay_alu instid0(VALU_DEP_1) | instskip(SKIP_3) | instid1(SALU_CYCLE_1)
	v_dual_add_nc_u32 v2, s1, v0 :: v_dual_mov_b32 v0, v1
	global_store_b16 v2, v3, s[4:5] scale_offset
	s_wait_xcnt 0x0
	s_or_b32 exec_lo, exec_lo, s0
	s_mov_b32 s0, exec_lo
	v_cmpx_gt_i32_e64 s2, v0
	s_cbranch_execnz .LBB156_19
.LBB156_24:
	s_endpgm
	.section	.rodata,"a",@progbits
	.p2align	6, 0x0
	.amdhsa_kernel _ZN2at6native27unrolled_elementwise_kernelIZZZNS0_12_GLOBAL__N_117clamp_kernel_implERNS_18TensorIteratorBaseEENKUlvE_clEvENKUlvE6_clEvEUlN3c104HalfES8_S8_E_St5arrayIPcLm4EELi4E23TrivialOffsetCalculatorILi3EjESD_ILi1EjENS0_6memory15LoadWithoutCastENSG_16StoreWithoutCastEEEviT_T0_T2_T3_T4_T5_
		.amdhsa_group_segment_fixed_size 0
		.amdhsa_private_segment_fixed_size 0
		.amdhsa_kernarg_size 44
		.amdhsa_user_sgpr_count 2
		.amdhsa_user_sgpr_dispatch_ptr 0
		.amdhsa_user_sgpr_queue_ptr 0
		.amdhsa_user_sgpr_kernarg_segment_ptr 1
		.amdhsa_user_sgpr_dispatch_id 0
		.amdhsa_user_sgpr_kernarg_preload_length 0
		.amdhsa_user_sgpr_kernarg_preload_offset 0
		.amdhsa_user_sgpr_private_segment_size 0
		.amdhsa_wavefront_size32 1
		.amdhsa_uses_dynamic_stack 0
		.amdhsa_enable_private_segment 0
		.amdhsa_system_sgpr_workgroup_id_x 1
		.amdhsa_system_sgpr_workgroup_id_y 0
		.amdhsa_system_sgpr_workgroup_id_z 0
		.amdhsa_system_sgpr_workgroup_info 0
		.amdhsa_system_vgpr_workitem_id 0
		.amdhsa_next_free_vgpr 16
		.amdhsa_next_free_sgpr 14
		.amdhsa_named_barrier_count 0
		.amdhsa_reserve_vcc 1
		.amdhsa_float_round_mode_32 0
		.amdhsa_float_round_mode_16_64 0
		.amdhsa_float_denorm_mode_32 3
		.amdhsa_float_denorm_mode_16_64 3
		.amdhsa_fp16_overflow 0
		.amdhsa_memory_ordered 1
		.amdhsa_forward_progress 1
		.amdhsa_inst_pref_size 10
		.amdhsa_round_robin_scheduling 0
		.amdhsa_exception_fp_ieee_invalid_op 0
		.amdhsa_exception_fp_denorm_src 0
		.amdhsa_exception_fp_ieee_div_zero 0
		.amdhsa_exception_fp_ieee_overflow 0
		.amdhsa_exception_fp_ieee_underflow 0
		.amdhsa_exception_fp_ieee_inexact 0
		.amdhsa_exception_int_div_zero 0
	.end_amdhsa_kernel
	.section	.text._ZN2at6native27unrolled_elementwise_kernelIZZZNS0_12_GLOBAL__N_117clamp_kernel_implERNS_18TensorIteratorBaseEENKUlvE_clEvENKUlvE6_clEvEUlN3c104HalfES8_S8_E_St5arrayIPcLm4EELi4E23TrivialOffsetCalculatorILi3EjESD_ILi1EjENS0_6memory15LoadWithoutCastENSG_16StoreWithoutCastEEEviT_T0_T2_T3_T4_T5_,"axG",@progbits,_ZN2at6native27unrolled_elementwise_kernelIZZZNS0_12_GLOBAL__N_117clamp_kernel_implERNS_18TensorIteratorBaseEENKUlvE_clEvENKUlvE6_clEvEUlN3c104HalfES8_S8_E_St5arrayIPcLm4EELi4E23TrivialOffsetCalculatorILi3EjESD_ILi1EjENS0_6memory15LoadWithoutCastENSG_16StoreWithoutCastEEEviT_T0_T2_T3_T4_T5_,comdat
.Lfunc_end156:
	.size	_ZN2at6native27unrolled_elementwise_kernelIZZZNS0_12_GLOBAL__N_117clamp_kernel_implERNS_18TensorIteratorBaseEENKUlvE_clEvENKUlvE6_clEvEUlN3c104HalfES8_S8_E_St5arrayIPcLm4EELi4E23TrivialOffsetCalculatorILi3EjESD_ILi1EjENS0_6memory15LoadWithoutCastENSG_16StoreWithoutCastEEEviT_T0_T2_T3_T4_T5_, .Lfunc_end156-_ZN2at6native27unrolled_elementwise_kernelIZZZNS0_12_GLOBAL__N_117clamp_kernel_implERNS_18TensorIteratorBaseEENKUlvE_clEvENKUlvE6_clEvEUlN3c104HalfES8_S8_E_St5arrayIPcLm4EELi4E23TrivialOffsetCalculatorILi3EjESD_ILi1EjENS0_6memory15LoadWithoutCastENSG_16StoreWithoutCastEEEviT_T0_T2_T3_T4_T5_
                                        ; -- End function
	.set _ZN2at6native27unrolled_elementwise_kernelIZZZNS0_12_GLOBAL__N_117clamp_kernel_implERNS_18TensorIteratorBaseEENKUlvE_clEvENKUlvE6_clEvEUlN3c104HalfES8_S8_E_St5arrayIPcLm4EELi4E23TrivialOffsetCalculatorILi3EjESD_ILi1EjENS0_6memory15LoadWithoutCastENSG_16StoreWithoutCastEEEviT_T0_T2_T3_T4_T5_.num_vgpr, 16
	.set _ZN2at6native27unrolled_elementwise_kernelIZZZNS0_12_GLOBAL__N_117clamp_kernel_implERNS_18TensorIteratorBaseEENKUlvE_clEvENKUlvE6_clEvEUlN3c104HalfES8_S8_E_St5arrayIPcLm4EELi4E23TrivialOffsetCalculatorILi3EjESD_ILi1EjENS0_6memory15LoadWithoutCastENSG_16StoreWithoutCastEEEviT_T0_T2_T3_T4_T5_.num_agpr, 0
	.set _ZN2at6native27unrolled_elementwise_kernelIZZZNS0_12_GLOBAL__N_117clamp_kernel_implERNS_18TensorIteratorBaseEENKUlvE_clEvENKUlvE6_clEvEUlN3c104HalfES8_S8_E_St5arrayIPcLm4EELi4E23TrivialOffsetCalculatorILi3EjESD_ILi1EjENS0_6memory15LoadWithoutCastENSG_16StoreWithoutCastEEEviT_T0_T2_T3_T4_T5_.numbered_sgpr, 14
	.set _ZN2at6native27unrolled_elementwise_kernelIZZZNS0_12_GLOBAL__N_117clamp_kernel_implERNS_18TensorIteratorBaseEENKUlvE_clEvENKUlvE6_clEvEUlN3c104HalfES8_S8_E_St5arrayIPcLm4EELi4E23TrivialOffsetCalculatorILi3EjESD_ILi1EjENS0_6memory15LoadWithoutCastENSG_16StoreWithoutCastEEEviT_T0_T2_T3_T4_T5_.num_named_barrier, 0
	.set _ZN2at6native27unrolled_elementwise_kernelIZZZNS0_12_GLOBAL__N_117clamp_kernel_implERNS_18TensorIteratorBaseEENKUlvE_clEvENKUlvE6_clEvEUlN3c104HalfES8_S8_E_St5arrayIPcLm4EELi4E23TrivialOffsetCalculatorILi3EjESD_ILi1EjENS0_6memory15LoadWithoutCastENSG_16StoreWithoutCastEEEviT_T0_T2_T3_T4_T5_.private_seg_size, 0
	.set _ZN2at6native27unrolled_elementwise_kernelIZZZNS0_12_GLOBAL__N_117clamp_kernel_implERNS_18TensorIteratorBaseEENKUlvE_clEvENKUlvE6_clEvEUlN3c104HalfES8_S8_E_St5arrayIPcLm4EELi4E23TrivialOffsetCalculatorILi3EjESD_ILi1EjENS0_6memory15LoadWithoutCastENSG_16StoreWithoutCastEEEviT_T0_T2_T3_T4_T5_.uses_vcc, 1
	.set _ZN2at6native27unrolled_elementwise_kernelIZZZNS0_12_GLOBAL__N_117clamp_kernel_implERNS_18TensorIteratorBaseEENKUlvE_clEvENKUlvE6_clEvEUlN3c104HalfES8_S8_E_St5arrayIPcLm4EELi4E23TrivialOffsetCalculatorILi3EjESD_ILi1EjENS0_6memory15LoadWithoutCastENSG_16StoreWithoutCastEEEviT_T0_T2_T3_T4_T5_.uses_flat_scratch, 0
	.set _ZN2at6native27unrolled_elementwise_kernelIZZZNS0_12_GLOBAL__N_117clamp_kernel_implERNS_18TensorIteratorBaseEENKUlvE_clEvENKUlvE6_clEvEUlN3c104HalfES8_S8_E_St5arrayIPcLm4EELi4E23TrivialOffsetCalculatorILi3EjESD_ILi1EjENS0_6memory15LoadWithoutCastENSG_16StoreWithoutCastEEEviT_T0_T2_T3_T4_T5_.has_dyn_sized_stack, 0
	.set _ZN2at6native27unrolled_elementwise_kernelIZZZNS0_12_GLOBAL__N_117clamp_kernel_implERNS_18TensorIteratorBaseEENKUlvE_clEvENKUlvE6_clEvEUlN3c104HalfES8_S8_E_St5arrayIPcLm4EELi4E23TrivialOffsetCalculatorILi3EjESD_ILi1EjENS0_6memory15LoadWithoutCastENSG_16StoreWithoutCastEEEviT_T0_T2_T3_T4_T5_.has_recursion, 0
	.set _ZN2at6native27unrolled_elementwise_kernelIZZZNS0_12_GLOBAL__N_117clamp_kernel_implERNS_18TensorIteratorBaseEENKUlvE_clEvENKUlvE6_clEvEUlN3c104HalfES8_S8_E_St5arrayIPcLm4EELi4E23TrivialOffsetCalculatorILi3EjESD_ILi1EjENS0_6memory15LoadWithoutCastENSG_16StoreWithoutCastEEEviT_T0_T2_T3_T4_T5_.has_indirect_call, 0
	.section	.AMDGPU.csdata,"",@progbits
; Kernel info:
; codeLenInByte = 1252
; TotalNumSgprs: 16
; NumVgprs: 16
; ScratchSize: 0
; MemoryBound: 0
; FloatMode: 240
; IeeeMode: 1
; LDSByteSize: 0 bytes/workgroup (compile time only)
; SGPRBlocks: 0
; VGPRBlocks: 0
; NumSGPRsForWavesPerEU: 16
; NumVGPRsForWavesPerEU: 16
; NamedBarCnt: 0
; Occupancy: 16
; WaveLimiterHint : 0
; COMPUTE_PGM_RSRC2:SCRATCH_EN: 0
; COMPUTE_PGM_RSRC2:USER_SGPR: 2
; COMPUTE_PGM_RSRC2:TRAP_HANDLER: 0
; COMPUTE_PGM_RSRC2:TGID_X_EN: 1
; COMPUTE_PGM_RSRC2:TGID_Y_EN: 0
; COMPUTE_PGM_RSRC2:TGID_Z_EN: 0
; COMPUTE_PGM_RSRC2:TIDIG_COMP_CNT: 0
	.section	.text._ZN2at6native32elementwise_kernel_manual_unrollILi128ELi8EZNS0_22gpu_kernel_impl_nocastIZZZNS0_12_GLOBAL__N_117clamp_kernel_implERNS_18TensorIteratorBaseEENKUlvE_clEvENKUlvE6_clEvEUlN3c104HalfES9_S9_E_EEvS5_RKT_EUlibE_EEviT1_,"axG",@progbits,_ZN2at6native32elementwise_kernel_manual_unrollILi128ELi8EZNS0_22gpu_kernel_impl_nocastIZZZNS0_12_GLOBAL__N_117clamp_kernel_implERNS_18TensorIteratorBaseEENKUlvE_clEvENKUlvE6_clEvEUlN3c104HalfES9_S9_E_EEvS5_RKT_EUlibE_EEviT1_,comdat
	.globl	_ZN2at6native32elementwise_kernel_manual_unrollILi128ELi8EZNS0_22gpu_kernel_impl_nocastIZZZNS0_12_GLOBAL__N_117clamp_kernel_implERNS_18TensorIteratorBaseEENKUlvE_clEvENKUlvE6_clEvEUlN3c104HalfES9_S9_E_EEvS5_RKT_EUlibE_EEviT1_ ; -- Begin function _ZN2at6native32elementwise_kernel_manual_unrollILi128ELi8EZNS0_22gpu_kernel_impl_nocastIZZZNS0_12_GLOBAL__N_117clamp_kernel_implERNS_18TensorIteratorBaseEENKUlvE_clEvENKUlvE6_clEvEUlN3c104HalfES9_S9_E_EEvS5_RKT_EUlibE_EEviT1_
	.p2align	8
	.type	_ZN2at6native32elementwise_kernel_manual_unrollILi128ELi8EZNS0_22gpu_kernel_impl_nocastIZZZNS0_12_GLOBAL__N_117clamp_kernel_implERNS_18TensorIteratorBaseEENKUlvE_clEvENKUlvE6_clEvEUlN3c104HalfES9_S9_E_EEvS5_RKT_EUlibE_EEviT1_,@function
_ZN2at6native32elementwise_kernel_manual_unrollILi128ELi8EZNS0_22gpu_kernel_impl_nocastIZZZNS0_12_GLOBAL__N_117clamp_kernel_implERNS_18TensorIteratorBaseEENKUlvE_clEvENKUlvE6_clEvEUlN3c104HalfES9_S9_E_EEvS5_RKT_EUlibE_EEviT1_: ; @_ZN2at6native32elementwise_kernel_manual_unrollILi128ELi8EZNS0_22gpu_kernel_impl_nocastIZZZNS0_12_GLOBAL__N_117clamp_kernel_implERNS_18TensorIteratorBaseEENKUlvE_clEvENKUlvE6_clEvEUlN3c104HalfES9_S9_E_EEvS5_RKT_EUlibE_EEviT1_
; %bb.0:
	s_clause 0x1
	s_load_b32 s33, s[0:1], 0x8
	s_load_b32 s39, s[0:1], 0x0
	s_bfe_u32 s2, ttmp6, 0x4000c
	s_and_b32 s3, ttmp6, 15
	s_add_co_i32 s2, s2, 1
	s_getreg_b32 s4, hwreg(HW_REG_IB_STS2, 6, 4)
	s_mul_i32 s2, ttmp9, s2
	s_add_nc_u64 s[20:21], s[0:1], 8
	s_add_co_i32 s3, s3, s2
	s_cmp_eq_u32 s4, 0
	s_mov_b32 s25, 0
	s_cselect_b32 s2, ttmp9, s3
	s_wait_xcnt 0x0
	s_mov_b32 s0, exec_lo
	v_lshl_or_b32 v0, s2, 10, v0
	s_delay_alu instid0(VALU_DEP_1) | instskip(SKIP_2) | instid1(SALU_CYCLE_1)
	v_or_b32_e32 v5, 0x380, v0
	s_wait_kmcnt 0x0
	s_add_co_i32 s34, s33, -1
	s_cmp_gt_u32 s34, 1
	s_cselect_b32 s35, -1, 0
	v_cmpx_le_i32_e64 s39, v5
	s_xor_b32 s36, exec_lo, s0
	s_cbranch_execz .LBB157_106
; %bb.1:
	s_clause 0x3
	s_load_b128 s[16:19], s[20:21], 0x4
	s_load_b64 s[22:23], s[20:21], 0x14
	s_load_b256 s[8:15], s[20:21], 0xc4
	s_load_b256 s[0:7], s[20:21], 0x1c8
	s_cmp_lg_u32 s33, 0
	s_mov_b32 s27, s25
	s_cselect_b32 s40, -1, 0
	s_min_u32 s38, s34, 15
	s_cmp_gt_u32 s33, 1
	s_cselect_b32 s37, -1, 0
	s_wait_kmcnt 0x0
	s_mov_b32 s24, s17
	s_mov_b32 s26, s22
	s_mov_b32 s17, exec_lo
	v_cmpx_gt_i32_e64 s39, v0
	s_cbranch_execnz .LBB157_9
; %bb.2:
	s_or_b32 exec_lo, exec_lo, s17
	s_delay_alu instid0(SALU_CYCLE_1)
	s_mov_b32 s17, exec_lo
	v_cmpx_gt_i32_e64 s39, v0
	s_cbranch_execnz .LBB157_21
.LBB157_3:
	s_or_b32 exec_lo, exec_lo, s17
	s_delay_alu instid0(SALU_CYCLE_1)
	s_mov_b32 s17, exec_lo
	v_cmpx_gt_i32_e64 s39, v0
	s_cbranch_execnz .LBB157_33
.LBB157_4:
	s_or_b32 exec_lo, exec_lo, s17
	s_delay_alu instid0(SALU_CYCLE_1)
	s_mov_b32 s17, exec_lo
	v_cmpx_gt_i32_e64 s39, v0
	s_cbranch_execnz .LBB157_45
.LBB157_5:
	s_or_b32 exec_lo, exec_lo, s17
	s_delay_alu instid0(SALU_CYCLE_1)
	s_mov_b32 s17, exec_lo
	v_cmpx_gt_i32_e64 s39, v0
	s_cbranch_execnz .LBB157_57
.LBB157_6:
	s_or_b32 exec_lo, exec_lo, s17
	s_delay_alu instid0(SALU_CYCLE_1)
	s_mov_b32 s17, exec_lo
	v_cmpx_gt_i32_e64 s39, v0
	s_cbranch_execnz .LBB157_69
.LBB157_7:
	s_or_b32 exec_lo, exec_lo, s17
	s_delay_alu instid0(SALU_CYCLE_1)
	s_mov_b32 s17, exec_lo
	v_cmpx_gt_i32_e64 s39, v0
	s_cbranch_execnz .LBB157_81
.LBB157_8:
	s_or_b32 exec_lo, exec_lo, s17
	s_delay_alu instid0(SALU_CYCLE_1)
	s_mov_b32 s17, exec_lo
	v_cmpx_gt_i32_e64 s39, v0
	s_cbranch_execnz .LBB157_93
	s_branch .LBB157_105
.LBB157_9:
	s_and_not1_b32 vcc_lo, exec_lo, s35
	s_cbranch_vccnz .LBB157_15
; %bb.10:
	s_and_not1_b32 vcc_lo, exec_lo, s40
	s_cbranch_vccnz .LBB157_16
; %bb.11:
	v_dual_mov_b32 v5, 0 :: v_dual_mov_b32 v1, v0
	v_dual_mov_b32 v7, 0 :: v_dual_mov_b32 v4, 0
	v_mov_b32_e32 v6, 0
	s_add_co_i32 s22, s38, 1
	s_mov_b64 s[28:29], 0xffffffffffffffe0
	s_and_b32 s22, s22, 30
	s_add_nc_u64 s[28:29], s[20:21], s[28:29]
	s_mov_b64 s[30:31], s[20:21]
.LBB157_12:                             ; =>This Inner Loop Header: Depth=1
	s_clause 0x1
	s_load_b128 s[52:55], s[30:31], 0x4
	s_load_b64 s[42:43], s[30:31], 0x14
	s_load_b256 s[44:51], s[28:29], 0xe4
	s_add_co_i32 s22, s22, -2
	s_wait_xcnt 0x0
	s_add_nc_u64 s[30:31], s[30:31], 24
	s_cmp_lg_u32 s22, 0
	s_add_nc_u64 s[28:29], s[28:29], 32
	s_wait_kmcnt 0x0
	v_mul_hi_u32 v2, s53, v1
	s_delay_alu instid0(VALU_DEP_1) | instskip(NEXT) | instid1(VALU_DEP_1)
	v_add_nc_u32_e32 v2, v1, v2
	v_lshrrev_b32_e32 v2, s54, v2
	s_delay_alu instid0(VALU_DEP_1) | instskip(SKIP_1) | instid1(VALU_DEP_1)
	v_mul_hi_u32 v3, s42, v2
	v_mul_lo_u32 v8, v2, s52
	v_dual_add_nc_u32 v3, v2, v3 :: v_dual_sub_nc_u32 v8, v1, v8
	s_delay_alu instid0(VALU_DEP_1) | instskip(NEXT) | instid1(VALU_DEP_2)
	v_lshrrev_b32_e32 v1, s43, v3
	v_mad_u32 v6, v8, s45, v6
	v_mad_u32 v4, v8, s44, v4
	;; [unrolled: 1-line block ×4, first 2 shown]
	v_mul_lo_u32 v3, v1, s55
	s_delay_alu instid0(VALU_DEP_1) | instskip(NEXT) | instid1(VALU_DEP_1)
	v_sub_nc_u32_e32 v2, v2, v3
	v_mad_u32 v6, v2, s49, v6
	v_mad_u32 v4, v2, s48, v4
	;; [unrolled: 1-line block ×4, first 2 shown]
	s_cbranch_scc1 .LBB157_12
; %bb.13:
	s_bitcmp1_b32 s38, 0
	s_cselect_b32 s22, -1, 0
	s_delay_alu instid0(SALU_CYCLE_1)
	s_and_b32 vcc_lo, exec_lo, s22
	s_cbranch_vccnz .LBB157_17
; %bb.14:
	s_load_b96 s[48:50], s[30:31], 0x4
	s_load_b128 s[44:47], s[28:29], 0xe4
	s_wait_kmcnt 0x0
	v_mul_hi_u32 v2, s49, v1
	s_delay_alu instid0(VALU_DEP_1) | instskip(NEXT) | instid1(VALU_DEP_1)
	v_add_nc_u32_e32 v2, v1, v2
	v_lshrrev_b32_e32 v2, s50, v2
	s_delay_alu instid0(VALU_DEP_1) | instskip(NEXT) | instid1(VALU_DEP_1)
	v_mul_lo_u32 v2, v2, s48
	v_sub_nc_u32_e32 v1, v1, v2
	s_delay_alu instid0(VALU_DEP_1)
	v_mad_u32 v4, v1, s44, v4
	v_mad_u32 v6, v1, s45, v6
	;; [unrolled: 1-line block ×4, first 2 shown]
	s_cbranch_execz .LBB157_18
	s_branch .LBB157_20
.LBB157_15:
                                        ; implicit-def: $vgpr6
                                        ; implicit-def: $vgpr4
                                        ; implicit-def: $vgpr7
                                        ; implicit-def: $vgpr5
	s_branch .LBB157_18
.LBB157_16:
	v_dual_mov_b32 v6, 0 :: v_dual_mov_b32 v4, 0
	v_dual_mov_b32 v7, 0 :: v_dual_mov_b32 v5, 0
.LBB157_17:
	s_cbranch_execnz .LBB157_20
.LBB157_18:
	v_mov_b32_e32 v1, 0
	s_and_not1_b32 vcc_lo, exec_lo, s37
	s_delay_alu instid0(VALU_DEP_1) | instskip(NEXT) | instid1(VALU_DEP_1)
	v_mul_u64_e32 v[2:3], s[24:25], v[0:1]
	v_add_nc_u32_e32 v2, v0, v3
	s_delay_alu instid0(VALU_DEP_1) | instskip(NEXT) | instid1(VALU_DEP_1)
	v_lshrrev_b32_e32 v2, s18, v2
	v_mul_lo_u32 v3, v2, s16
	s_delay_alu instid0(VALU_DEP_1) | instskip(NEXT) | instid1(VALU_DEP_1)
	v_sub_nc_u32_e32 v3, v0, v3
	v_mul_lo_u32 v6, v3, s9
	v_mul_lo_u32 v4, v3, s8
	v_mul_lo_u32 v7, v3, s11
	v_mul_lo_u32 v5, v3, s10
	s_cbranch_vccnz .LBB157_20
; %bb.19:
	v_mov_b32_e32 v3, v1
	s_delay_alu instid0(VALU_DEP_1) | instskip(NEXT) | instid1(VALU_DEP_1)
	v_mul_u64_e32 v[8:9], s[26:27], v[2:3]
	v_add_nc_u32_e32 v1, v2, v9
	s_delay_alu instid0(VALU_DEP_1) | instskip(NEXT) | instid1(VALU_DEP_1)
	v_lshrrev_b32_e32 v1, s23, v1
	v_mul_lo_u32 v1, v1, s19
	s_delay_alu instid0(VALU_DEP_1) | instskip(NEXT) | instid1(VALU_DEP_1)
	v_sub_nc_u32_e32 v1, v2, v1
	v_mad_u32 v4, v1, s12, v4
	v_mad_u32 v6, v1, s13, v6
	;; [unrolled: 1-line block ×4, first 2 shown]
.LBB157_20:
	global_load_u16 v1, v6, s[2:3]
	global_load_u16 v2, v5, s[4:5]
	;; [unrolled: 1-line block ×3, first 2 shown]
	v_add_nc_u32_e32 v0, 0x80, v0
	s_wait_loadcnt 0x1
	v_cmp_gt_f16_e32 vcc_lo, v1, v2
	v_cndmask_b32_e32 v5, v2, v1, vcc_lo
	s_wait_loadcnt 0x0
	s_delay_alu instid0(VALU_DEP_1) | instskip(SKIP_2) | instid1(VALU_DEP_2)
	v_cmp_lt_f16_e32 vcc_lo, v5, v3
	v_cndmask_b32_e32 v5, v3, v5, vcc_lo
	v_cmp_u_f16_e32 vcc_lo, v3, v3
	v_cndmask_b32_e32 v3, v5, v3, vcc_lo
	v_cmp_u_f16_e32 vcc_lo, v2, v2
	s_delay_alu instid0(VALU_DEP_2) | instskip(SKIP_1) | instid1(VALU_DEP_2)
	v_cndmask_b32_e32 v2, v3, v2, vcc_lo
	v_cmp_u_f16_e32 vcc_lo, v1, v1
	v_cndmask_b32_e32 v1, v2, v1, vcc_lo
	global_store_b16 v4, v1, s[0:1]
	s_wait_xcnt 0x0
	s_or_b32 exec_lo, exec_lo, s17
	s_delay_alu instid0(SALU_CYCLE_1)
	s_mov_b32 s17, exec_lo
	v_cmpx_gt_i32_e64 s39, v0
	s_cbranch_execz .LBB157_3
.LBB157_21:
	s_and_not1_b32 vcc_lo, exec_lo, s35
	s_cbranch_vccnz .LBB157_27
; %bb.22:
	s_and_not1_b32 vcc_lo, exec_lo, s40
	s_cbranch_vccnz .LBB157_28
; %bb.23:
	v_dual_mov_b32 v6, 0 :: v_dual_mov_b32 v1, v0
	v_dual_mov_b32 v7, 0 :: v_dual_mov_b32 v4, 0
	v_mov_b32_e32 v5, 0
	s_add_co_i32 s22, s38, 1
	s_mov_b64 s[28:29], 0xffffffffffffffe0
	s_and_b32 s22, s22, 30
	s_add_nc_u64 s[28:29], s[20:21], s[28:29]
	s_mov_b64 s[30:31], s[20:21]
.LBB157_24:                             ; =>This Inner Loop Header: Depth=1
	s_clause 0x1
	s_load_b128 s[52:55], s[30:31], 0x4
	s_load_b64 s[42:43], s[30:31], 0x14
	s_load_b256 s[44:51], s[28:29], 0xe4
	s_add_co_i32 s22, s22, -2
	s_wait_xcnt 0x0
	s_add_nc_u64 s[30:31], s[30:31], 24
	s_cmp_eq_u32 s22, 0
	s_add_nc_u64 s[28:29], s[28:29], 32
	s_wait_kmcnt 0x0
	v_mul_hi_u32 v2, s53, v1
	s_delay_alu instid0(VALU_DEP_1) | instskip(NEXT) | instid1(VALU_DEP_1)
	v_add_nc_u32_e32 v2, v1, v2
	v_lshrrev_b32_e32 v2, s54, v2
	s_delay_alu instid0(VALU_DEP_1) | instskip(SKIP_1) | instid1(VALU_DEP_1)
	v_mul_hi_u32 v3, s42, v2
	v_mul_lo_u32 v8, v2, s52
	v_dual_add_nc_u32 v3, v2, v3 :: v_dual_sub_nc_u32 v8, v1, v8
	s_delay_alu instid0(VALU_DEP_1) | instskip(NEXT) | instid1(VALU_DEP_2)
	v_lshrrev_b32_e32 v1, s43, v3
	v_mad_u32 v5, v8, s45, v5
	v_mad_u32 v4, v8, s44, v4
	;; [unrolled: 1-line block ×4, first 2 shown]
	v_mul_lo_u32 v3, v1, s55
	s_delay_alu instid0(VALU_DEP_1) | instskip(NEXT) | instid1(VALU_DEP_1)
	v_sub_nc_u32_e32 v2, v2, v3
	v_mad_u32 v5, v2, s49, v5
	v_mad_u32 v4, v2, s48, v4
	;; [unrolled: 1-line block ×4, first 2 shown]
	s_cbranch_scc0 .LBB157_24
; %bb.25:
	s_bitcmp1_b32 s38, 0
	s_cselect_b32 s22, -1, 0
	s_delay_alu instid0(SALU_CYCLE_1)
	s_and_b32 vcc_lo, exec_lo, s22
	s_cbranch_vccnz .LBB157_29
; %bb.26:
	s_load_b96 s[48:50], s[30:31], 0x4
	s_load_b128 s[44:47], s[28:29], 0xe4
	s_wait_kmcnt 0x0
	v_mul_hi_u32 v2, s49, v1
	s_delay_alu instid0(VALU_DEP_1) | instskip(NEXT) | instid1(VALU_DEP_1)
	v_add_nc_u32_e32 v2, v1, v2
	v_lshrrev_b32_e32 v2, s50, v2
	s_delay_alu instid0(VALU_DEP_1) | instskip(NEXT) | instid1(VALU_DEP_1)
	v_mul_lo_u32 v2, v2, s48
	v_sub_nc_u32_e32 v1, v1, v2
	s_delay_alu instid0(VALU_DEP_1)
	v_mad_u32 v4, v1, s44, v4
	v_mad_u32 v5, v1, s45, v5
	;; [unrolled: 1-line block ×4, first 2 shown]
	s_branch .LBB157_29
.LBB157_27:
                                        ; implicit-def: $vgpr5
                                        ; implicit-def: $vgpr4
                                        ; implicit-def: $vgpr7
                                        ; implicit-def: $vgpr6
	s_branch .LBB157_30
.LBB157_28:
	v_dual_mov_b32 v5, 0 :: v_dual_mov_b32 v4, 0
	v_dual_mov_b32 v7, 0 :: v_dual_mov_b32 v6, 0
.LBB157_29:
	s_cbranch_execnz .LBB157_32
.LBB157_30:
	v_mov_b32_e32 v1, 0
	s_and_not1_b32 vcc_lo, exec_lo, s37
	s_delay_alu instid0(VALU_DEP_1) | instskip(NEXT) | instid1(VALU_DEP_1)
	v_mul_u64_e32 v[2:3], s[24:25], v[0:1]
	v_add_nc_u32_e32 v2, v0, v3
	s_delay_alu instid0(VALU_DEP_1) | instskip(NEXT) | instid1(VALU_DEP_1)
	v_lshrrev_b32_e32 v2, s18, v2
	v_mul_lo_u32 v3, v2, s16
	s_delay_alu instid0(VALU_DEP_1) | instskip(NEXT) | instid1(VALU_DEP_1)
	v_sub_nc_u32_e32 v3, v0, v3
	v_mul_lo_u32 v5, v3, s9
	v_mul_lo_u32 v4, v3, s8
	v_mul_lo_u32 v7, v3, s11
	v_mul_lo_u32 v6, v3, s10
	s_cbranch_vccnz .LBB157_32
; %bb.31:
	v_mov_b32_e32 v3, v1
	s_delay_alu instid0(VALU_DEP_1) | instskip(NEXT) | instid1(VALU_DEP_1)
	v_mul_u64_e32 v[8:9], s[26:27], v[2:3]
	v_add_nc_u32_e32 v1, v2, v9
	s_delay_alu instid0(VALU_DEP_1) | instskip(NEXT) | instid1(VALU_DEP_1)
	v_lshrrev_b32_e32 v1, s23, v1
	v_mul_lo_u32 v1, v1, s19
	s_delay_alu instid0(VALU_DEP_1) | instskip(NEXT) | instid1(VALU_DEP_1)
	v_sub_nc_u32_e32 v1, v2, v1
	v_mad_u32 v4, v1, s12, v4
	v_mad_u32 v5, v1, s13, v5
	;; [unrolled: 1-line block ×4, first 2 shown]
.LBB157_32:
	global_load_u16 v1, v5, s[2:3]
	global_load_u16 v2, v6, s[4:5]
	;; [unrolled: 1-line block ×3, first 2 shown]
	v_add_nc_u32_e32 v0, 0x80, v0
	s_wait_loadcnt 0x1
	v_cmp_gt_f16_e32 vcc_lo, v1, v2
	s_wait_xcnt 0x2
	v_cndmask_b32_e32 v5, v2, v1, vcc_lo
	s_wait_loadcnt 0x0
	s_delay_alu instid0(VALU_DEP_1) | instskip(SKIP_2) | instid1(VALU_DEP_2)
	v_cmp_lt_f16_e32 vcc_lo, v5, v3
	v_cndmask_b32_e32 v5, v3, v5, vcc_lo
	v_cmp_u_f16_e32 vcc_lo, v3, v3
	v_cndmask_b32_e32 v3, v5, v3, vcc_lo
	v_cmp_u_f16_e32 vcc_lo, v2, v2
	s_delay_alu instid0(VALU_DEP_2) | instskip(SKIP_1) | instid1(VALU_DEP_2)
	v_cndmask_b32_e32 v2, v3, v2, vcc_lo
	v_cmp_u_f16_e32 vcc_lo, v1, v1
	v_cndmask_b32_e32 v1, v2, v1, vcc_lo
	global_store_b16 v4, v1, s[0:1]
	s_wait_xcnt 0x0
	s_or_b32 exec_lo, exec_lo, s17
	s_delay_alu instid0(SALU_CYCLE_1)
	s_mov_b32 s17, exec_lo
	v_cmpx_gt_i32_e64 s39, v0
	s_cbranch_execz .LBB157_4
.LBB157_33:
	s_and_not1_b32 vcc_lo, exec_lo, s35
	s_cbranch_vccnz .LBB157_39
; %bb.34:
	s_and_not1_b32 vcc_lo, exec_lo, s40
	s_cbranch_vccnz .LBB157_40
; %bb.35:
	v_dual_mov_b32 v6, 0 :: v_dual_mov_b32 v1, v0
	v_dual_mov_b32 v7, 0 :: v_dual_mov_b32 v4, 0
	v_mov_b32_e32 v5, 0
	s_add_co_i32 s22, s38, 1
	s_mov_b64 s[28:29], 0xffffffffffffffe0
	s_and_b32 s22, s22, 30
	s_add_nc_u64 s[28:29], s[20:21], s[28:29]
	s_mov_b64 s[30:31], s[20:21]
.LBB157_36:                             ; =>This Inner Loop Header: Depth=1
	s_clause 0x1
	s_load_b128 s[52:55], s[30:31], 0x4
	s_load_b64 s[42:43], s[30:31], 0x14
	s_load_b256 s[44:51], s[28:29], 0xe4
	s_add_co_i32 s22, s22, -2
	s_wait_xcnt 0x0
	s_add_nc_u64 s[30:31], s[30:31], 24
	s_cmp_eq_u32 s22, 0
	s_add_nc_u64 s[28:29], s[28:29], 32
	s_wait_kmcnt 0x0
	v_mul_hi_u32 v2, s53, v1
	s_delay_alu instid0(VALU_DEP_1) | instskip(NEXT) | instid1(VALU_DEP_1)
	v_add_nc_u32_e32 v2, v1, v2
	v_lshrrev_b32_e32 v2, s54, v2
	s_delay_alu instid0(VALU_DEP_1) | instskip(SKIP_1) | instid1(VALU_DEP_1)
	v_mul_hi_u32 v3, s42, v2
	v_mul_lo_u32 v8, v2, s52
	v_dual_add_nc_u32 v3, v2, v3 :: v_dual_sub_nc_u32 v8, v1, v8
	s_delay_alu instid0(VALU_DEP_1) | instskip(NEXT) | instid1(VALU_DEP_2)
	v_lshrrev_b32_e32 v1, s43, v3
	v_mad_u32 v5, v8, s45, v5
	v_mad_u32 v4, v8, s44, v4
	;; [unrolled: 1-line block ×4, first 2 shown]
	v_mul_lo_u32 v3, v1, s55
	s_delay_alu instid0(VALU_DEP_1) | instskip(NEXT) | instid1(VALU_DEP_1)
	v_sub_nc_u32_e32 v2, v2, v3
	v_mad_u32 v5, v2, s49, v5
	v_mad_u32 v4, v2, s48, v4
	;; [unrolled: 1-line block ×4, first 2 shown]
	s_cbranch_scc0 .LBB157_36
; %bb.37:
	s_bitcmp1_b32 s38, 0
	s_cselect_b32 s22, -1, 0
	s_delay_alu instid0(SALU_CYCLE_1)
	s_and_b32 vcc_lo, exec_lo, s22
	s_cbranch_vccnz .LBB157_41
; %bb.38:
	s_load_b96 s[48:50], s[30:31], 0x4
	s_load_b128 s[44:47], s[28:29], 0xe4
	s_wait_kmcnt 0x0
	v_mul_hi_u32 v2, s49, v1
	s_delay_alu instid0(VALU_DEP_1) | instskip(NEXT) | instid1(VALU_DEP_1)
	v_add_nc_u32_e32 v2, v1, v2
	v_lshrrev_b32_e32 v2, s50, v2
	s_delay_alu instid0(VALU_DEP_1) | instskip(NEXT) | instid1(VALU_DEP_1)
	v_mul_lo_u32 v2, v2, s48
	v_sub_nc_u32_e32 v1, v1, v2
	s_delay_alu instid0(VALU_DEP_1)
	v_mad_u32 v4, v1, s44, v4
	v_mad_u32 v5, v1, s45, v5
	;; [unrolled: 1-line block ×4, first 2 shown]
	s_branch .LBB157_41
.LBB157_39:
                                        ; implicit-def: $vgpr5
                                        ; implicit-def: $vgpr4
                                        ; implicit-def: $vgpr7
                                        ; implicit-def: $vgpr6
	s_branch .LBB157_42
.LBB157_40:
	v_dual_mov_b32 v5, 0 :: v_dual_mov_b32 v4, 0
	v_dual_mov_b32 v7, 0 :: v_dual_mov_b32 v6, 0
.LBB157_41:
	s_cbranch_execnz .LBB157_44
.LBB157_42:
	v_mov_b32_e32 v1, 0
	s_and_not1_b32 vcc_lo, exec_lo, s37
	s_delay_alu instid0(VALU_DEP_1) | instskip(NEXT) | instid1(VALU_DEP_1)
	v_mul_u64_e32 v[2:3], s[24:25], v[0:1]
	v_add_nc_u32_e32 v2, v0, v3
	s_delay_alu instid0(VALU_DEP_1) | instskip(NEXT) | instid1(VALU_DEP_1)
	v_lshrrev_b32_e32 v2, s18, v2
	v_mul_lo_u32 v3, v2, s16
	s_delay_alu instid0(VALU_DEP_1) | instskip(NEXT) | instid1(VALU_DEP_1)
	v_sub_nc_u32_e32 v3, v0, v3
	v_mul_lo_u32 v5, v3, s9
	v_mul_lo_u32 v4, v3, s8
	;; [unrolled: 1-line block ×4, first 2 shown]
	s_cbranch_vccnz .LBB157_44
; %bb.43:
	v_mov_b32_e32 v3, v1
	s_delay_alu instid0(VALU_DEP_1) | instskip(NEXT) | instid1(VALU_DEP_1)
	v_mul_u64_e32 v[8:9], s[26:27], v[2:3]
	v_add_nc_u32_e32 v1, v2, v9
	s_delay_alu instid0(VALU_DEP_1) | instskip(NEXT) | instid1(VALU_DEP_1)
	v_lshrrev_b32_e32 v1, s23, v1
	v_mul_lo_u32 v1, v1, s19
	s_delay_alu instid0(VALU_DEP_1) | instskip(NEXT) | instid1(VALU_DEP_1)
	v_sub_nc_u32_e32 v1, v2, v1
	v_mad_u32 v4, v1, s12, v4
	v_mad_u32 v5, v1, s13, v5
	;; [unrolled: 1-line block ×4, first 2 shown]
.LBB157_44:
	global_load_u16 v1, v5, s[2:3]
	global_load_u16 v2, v6, s[4:5]
	;; [unrolled: 1-line block ×3, first 2 shown]
	v_add_nc_u32_e32 v0, 0x80, v0
	s_wait_loadcnt 0x1
	v_cmp_gt_f16_e32 vcc_lo, v1, v2
	s_wait_xcnt 0x2
	v_cndmask_b32_e32 v5, v2, v1, vcc_lo
	s_wait_loadcnt 0x0
	s_delay_alu instid0(VALU_DEP_1) | instskip(SKIP_2) | instid1(VALU_DEP_2)
	v_cmp_lt_f16_e32 vcc_lo, v5, v3
	v_cndmask_b32_e32 v5, v3, v5, vcc_lo
	v_cmp_u_f16_e32 vcc_lo, v3, v3
	v_cndmask_b32_e32 v3, v5, v3, vcc_lo
	v_cmp_u_f16_e32 vcc_lo, v2, v2
	s_delay_alu instid0(VALU_DEP_2) | instskip(SKIP_1) | instid1(VALU_DEP_2)
	v_cndmask_b32_e32 v2, v3, v2, vcc_lo
	v_cmp_u_f16_e32 vcc_lo, v1, v1
	v_cndmask_b32_e32 v1, v2, v1, vcc_lo
	global_store_b16 v4, v1, s[0:1]
	s_wait_xcnt 0x0
	s_or_b32 exec_lo, exec_lo, s17
	s_delay_alu instid0(SALU_CYCLE_1)
	s_mov_b32 s17, exec_lo
	v_cmpx_gt_i32_e64 s39, v0
	s_cbranch_execz .LBB157_5
.LBB157_45:
	s_and_not1_b32 vcc_lo, exec_lo, s35
	s_cbranch_vccnz .LBB157_51
; %bb.46:
	s_and_not1_b32 vcc_lo, exec_lo, s40
	s_cbranch_vccnz .LBB157_52
; %bb.47:
	v_dual_mov_b32 v5, 0 :: v_dual_mov_b32 v1, v0
	v_dual_mov_b32 v7, 0 :: v_dual_mov_b32 v4, 0
	v_mov_b32_e32 v6, 0
	s_add_co_i32 s22, s38, 1
	s_mov_b64 s[28:29], 0xffffffffffffffe0
	s_and_b32 s22, s22, 30
	s_add_nc_u64 s[28:29], s[20:21], s[28:29]
	s_mov_b64 s[30:31], s[20:21]
.LBB157_48:                             ; =>This Inner Loop Header: Depth=1
	s_clause 0x1
	s_load_b128 s[52:55], s[30:31], 0x4
	s_load_b64 s[42:43], s[30:31], 0x14
	s_load_b256 s[44:51], s[28:29], 0xe4
	s_add_co_i32 s22, s22, -2
	s_wait_xcnt 0x0
	s_add_nc_u64 s[30:31], s[30:31], 24
	s_cmp_eq_u32 s22, 0
	s_add_nc_u64 s[28:29], s[28:29], 32
	s_wait_kmcnt 0x0
	v_mul_hi_u32 v2, s53, v1
	s_delay_alu instid0(VALU_DEP_1) | instskip(NEXT) | instid1(VALU_DEP_1)
	v_add_nc_u32_e32 v2, v1, v2
	v_lshrrev_b32_e32 v2, s54, v2
	s_delay_alu instid0(VALU_DEP_1) | instskip(SKIP_1) | instid1(VALU_DEP_1)
	v_mul_hi_u32 v3, s42, v2
	v_mul_lo_u32 v8, v2, s52
	v_dual_add_nc_u32 v3, v2, v3 :: v_dual_sub_nc_u32 v8, v1, v8
	s_delay_alu instid0(VALU_DEP_1) | instskip(NEXT) | instid1(VALU_DEP_2)
	v_lshrrev_b32_e32 v1, s43, v3
	v_mad_u32 v6, v8, s45, v6
	v_mad_u32 v4, v8, s44, v4
	;; [unrolled: 1-line block ×4, first 2 shown]
	v_mul_lo_u32 v3, v1, s55
	s_delay_alu instid0(VALU_DEP_1) | instskip(NEXT) | instid1(VALU_DEP_1)
	v_sub_nc_u32_e32 v2, v2, v3
	v_mad_u32 v6, v2, s49, v6
	v_mad_u32 v4, v2, s48, v4
	;; [unrolled: 1-line block ×4, first 2 shown]
	s_cbranch_scc0 .LBB157_48
; %bb.49:
	s_bitcmp1_b32 s38, 0
	s_cselect_b32 s22, -1, 0
	s_delay_alu instid0(SALU_CYCLE_1)
	s_and_b32 vcc_lo, exec_lo, s22
	s_cbranch_vccnz .LBB157_53
; %bb.50:
	s_load_b96 s[48:50], s[30:31], 0x4
	s_load_b128 s[44:47], s[28:29], 0xe4
	s_wait_kmcnt 0x0
	v_mul_hi_u32 v2, s49, v1
	s_delay_alu instid0(VALU_DEP_1) | instskip(NEXT) | instid1(VALU_DEP_1)
	v_add_nc_u32_e32 v2, v1, v2
	v_lshrrev_b32_e32 v2, s50, v2
	s_delay_alu instid0(VALU_DEP_1) | instskip(NEXT) | instid1(VALU_DEP_1)
	v_mul_lo_u32 v2, v2, s48
	v_sub_nc_u32_e32 v1, v1, v2
	s_delay_alu instid0(VALU_DEP_1)
	v_mad_u32 v4, v1, s44, v4
	v_mad_u32 v6, v1, s45, v6
	;; [unrolled: 1-line block ×4, first 2 shown]
	s_branch .LBB157_53
.LBB157_51:
                                        ; implicit-def: $vgpr6
                                        ; implicit-def: $vgpr4
                                        ; implicit-def: $vgpr7
                                        ; implicit-def: $vgpr5
	s_branch .LBB157_54
.LBB157_52:
	v_dual_mov_b32 v6, 0 :: v_dual_mov_b32 v4, 0
	v_dual_mov_b32 v7, 0 :: v_dual_mov_b32 v5, 0
.LBB157_53:
	s_cbranch_execnz .LBB157_56
.LBB157_54:
	v_mov_b32_e32 v1, 0
	s_and_not1_b32 vcc_lo, exec_lo, s37
	s_delay_alu instid0(VALU_DEP_1) | instskip(NEXT) | instid1(VALU_DEP_1)
	v_mul_u64_e32 v[2:3], s[24:25], v[0:1]
	v_add_nc_u32_e32 v2, v0, v3
	s_delay_alu instid0(VALU_DEP_1) | instskip(NEXT) | instid1(VALU_DEP_1)
	v_lshrrev_b32_e32 v2, s18, v2
	v_mul_lo_u32 v3, v2, s16
	s_delay_alu instid0(VALU_DEP_1) | instskip(NEXT) | instid1(VALU_DEP_1)
	v_sub_nc_u32_e32 v3, v0, v3
	v_mul_lo_u32 v6, v3, s9
	v_mul_lo_u32 v4, v3, s8
	;; [unrolled: 1-line block ×4, first 2 shown]
	s_cbranch_vccnz .LBB157_56
; %bb.55:
	v_mov_b32_e32 v3, v1
	s_delay_alu instid0(VALU_DEP_1) | instskip(NEXT) | instid1(VALU_DEP_1)
	v_mul_u64_e32 v[8:9], s[26:27], v[2:3]
	v_add_nc_u32_e32 v1, v2, v9
	s_delay_alu instid0(VALU_DEP_1) | instskip(NEXT) | instid1(VALU_DEP_1)
	v_lshrrev_b32_e32 v1, s23, v1
	v_mul_lo_u32 v1, v1, s19
	s_delay_alu instid0(VALU_DEP_1) | instskip(NEXT) | instid1(VALU_DEP_1)
	v_sub_nc_u32_e32 v1, v2, v1
	v_mad_u32 v4, v1, s12, v4
	v_mad_u32 v6, v1, s13, v6
	;; [unrolled: 1-line block ×4, first 2 shown]
.LBB157_56:
	global_load_u16 v1, v6, s[2:3]
	global_load_u16 v2, v5, s[4:5]
	;; [unrolled: 1-line block ×3, first 2 shown]
	v_add_nc_u32_e32 v0, 0x80, v0
	s_wait_loadcnt 0x1
	v_cmp_gt_f16_e32 vcc_lo, v1, v2
	s_wait_xcnt 0x1
	v_cndmask_b32_e32 v5, v2, v1, vcc_lo
	s_wait_loadcnt 0x0
	s_delay_alu instid0(VALU_DEP_1) | instskip(SKIP_2) | instid1(VALU_DEP_2)
	v_cmp_lt_f16_e32 vcc_lo, v5, v3
	v_cndmask_b32_e32 v5, v3, v5, vcc_lo
	v_cmp_u_f16_e32 vcc_lo, v3, v3
	v_cndmask_b32_e32 v3, v5, v3, vcc_lo
	v_cmp_u_f16_e32 vcc_lo, v2, v2
	s_delay_alu instid0(VALU_DEP_2) | instskip(SKIP_1) | instid1(VALU_DEP_2)
	v_cndmask_b32_e32 v2, v3, v2, vcc_lo
	v_cmp_u_f16_e32 vcc_lo, v1, v1
	v_cndmask_b32_e32 v1, v2, v1, vcc_lo
	global_store_b16 v4, v1, s[0:1]
	s_wait_xcnt 0x0
	s_or_b32 exec_lo, exec_lo, s17
	s_delay_alu instid0(SALU_CYCLE_1)
	s_mov_b32 s17, exec_lo
	v_cmpx_gt_i32_e64 s39, v0
	s_cbranch_execz .LBB157_6
.LBB157_57:
	s_and_not1_b32 vcc_lo, exec_lo, s35
	s_cbranch_vccnz .LBB157_63
; %bb.58:
	s_and_not1_b32 vcc_lo, exec_lo, s40
	s_cbranch_vccnz .LBB157_64
; %bb.59:
	v_dual_mov_b32 v6, 0 :: v_dual_mov_b32 v1, v0
	v_dual_mov_b32 v7, 0 :: v_dual_mov_b32 v4, 0
	v_mov_b32_e32 v5, 0
	s_add_co_i32 s22, s38, 1
	s_mov_b64 s[28:29], 0xffffffffffffffe0
	s_and_b32 s22, s22, 30
	s_add_nc_u64 s[28:29], s[20:21], s[28:29]
	s_mov_b64 s[30:31], s[20:21]
.LBB157_60:                             ; =>This Inner Loop Header: Depth=1
	s_clause 0x1
	s_load_b128 s[52:55], s[30:31], 0x4
	s_load_b64 s[42:43], s[30:31], 0x14
	s_load_b256 s[44:51], s[28:29], 0xe4
	s_add_co_i32 s22, s22, -2
	s_wait_xcnt 0x0
	s_add_nc_u64 s[30:31], s[30:31], 24
	s_cmp_eq_u32 s22, 0
	s_add_nc_u64 s[28:29], s[28:29], 32
	s_wait_kmcnt 0x0
	v_mul_hi_u32 v2, s53, v1
	s_delay_alu instid0(VALU_DEP_1) | instskip(NEXT) | instid1(VALU_DEP_1)
	v_add_nc_u32_e32 v2, v1, v2
	v_lshrrev_b32_e32 v2, s54, v2
	s_delay_alu instid0(VALU_DEP_1) | instskip(SKIP_1) | instid1(VALU_DEP_1)
	v_mul_hi_u32 v3, s42, v2
	v_mul_lo_u32 v8, v2, s52
	v_dual_add_nc_u32 v3, v2, v3 :: v_dual_sub_nc_u32 v8, v1, v8
	s_delay_alu instid0(VALU_DEP_1) | instskip(NEXT) | instid1(VALU_DEP_2)
	v_lshrrev_b32_e32 v1, s43, v3
	v_mad_u32 v5, v8, s45, v5
	v_mad_u32 v4, v8, s44, v4
	;; [unrolled: 1-line block ×4, first 2 shown]
	v_mul_lo_u32 v3, v1, s55
	s_delay_alu instid0(VALU_DEP_1) | instskip(NEXT) | instid1(VALU_DEP_1)
	v_sub_nc_u32_e32 v2, v2, v3
	v_mad_u32 v5, v2, s49, v5
	v_mad_u32 v4, v2, s48, v4
	;; [unrolled: 1-line block ×4, first 2 shown]
	s_cbranch_scc0 .LBB157_60
; %bb.61:
	s_bitcmp1_b32 s38, 0
	s_cselect_b32 s22, -1, 0
	s_delay_alu instid0(SALU_CYCLE_1)
	s_and_b32 vcc_lo, exec_lo, s22
	s_cbranch_vccnz .LBB157_65
; %bb.62:
	s_load_b96 s[48:50], s[30:31], 0x4
	s_load_b128 s[44:47], s[28:29], 0xe4
	s_wait_kmcnt 0x0
	v_mul_hi_u32 v2, s49, v1
	s_delay_alu instid0(VALU_DEP_1) | instskip(NEXT) | instid1(VALU_DEP_1)
	v_add_nc_u32_e32 v2, v1, v2
	v_lshrrev_b32_e32 v2, s50, v2
	s_delay_alu instid0(VALU_DEP_1) | instskip(NEXT) | instid1(VALU_DEP_1)
	v_mul_lo_u32 v2, v2, s48
	v_sub_nc_u32_e32 v1, v1, v2
	s_delay_alu instid0(VALU_DEP_1)
	v_mad_u32 v4, v1, s44, v4
	v_mad_u32 v5, v1, s45, v5
	;; [unrolled: 1-line block ×4, first 2 shown]
	s_branch .LBB157_65
.LBB157_63:
                                        ; implicit-def: $vgpr5
                                        ; implicit-def: $vgpr4
                                        ; implicit-def: $vgpr7
                                        ; implicit-def: $vgpr6
	s_branch .LBB157_66
.LBB157_64:
	v_dual_mov_b32 v5, 0 :: v_dual_mov_b32 v4, 0
	v_dual_mov_b32 v7, 0 :: v_dual_mov_b32 v6, 0
.LBB157_65:
	s_cbranch_execnz .LBB157_68
.LBB157_66:
	v_mov_b32_e32 v1, 0
	s_and_not1_b32 vcc_lo, exec_lo, s37
	s_delay_alu instid0(VALU_DEP_1) | instskip(NEXT) | instid1(VALU_DEP_1)
	v_mul_u64_e32 v[2:3], s[24:25], v[0:1]
	v_add_nc_u32_e32 v2, v0, v3
	s_delay_alu instid0(VALU_DEP_1) | instskip(NEXT) | instid1(VALU_DEP_1)
	v_lshrrev_b32_e32 v2, s18, v2
	v_mul_lo_u32 v3, v2, s16
	s_delay_alu instid0(VALU_DEP_1) | instskip(NEXT) | instid1(VALU_DEP_1)
	v_sub_nc_u32_e32 v3, v0, v3
	v_mul_lo_u32 v5, v3, s9
	v_mul_lo_u32 v4, v3, s8
	;; [unrolled: 1-line block ×4, first 2 shown]
	s_cbranch_vccnz .LBB157_68
; %bb.67:
	v_mov_b32_e32 v3, v1
	s_delay_alu instid0(VALU_DEP_1) | instskip(NEXT) | instid1(VALU_DEP_1)
	v_mul_u64_e32 v[8:9], s[26:27], v[2:3]
	v_add_nc_u32_e32 v1, v2, v9
	s_delay_alu instid0(VALU_DEP_1) | instskip(NEXT) | instid1(VALU_DEP_1)
	v_lshrrev_b32_e32 v1, s23, v1
	v_mul_lo_u32 v1, v1, s19
	s_delay_alu instid0(VALU_DEP_1) | instskip(NEXT) | instid1(VALU_DEP_1)
	v_sub_nc_u32_e32 v1, v2, v1
	v_mad_u32 v4, v1, s12, v4
	v_mad_u32 v5, v1, s13, v5
	;; [unrolled: 1-line block ×4, first 2 shown]
.LBB157_68:
	global_load_u16 v1, v5, s[2:3]
	global_load_u16 v2, v6, s[4:5]
	;; [unrolled: 1-line block ×3, first 2 shown]
	v_add_nc_u32_e32 v0, 0x80, v0
	s_wait_loadcnt 0x1
	v_cmp_gt_f16_e32 vcc_lo, v1, v2
	s_wait_xcnt 0x2
	v_cndmask_b32_e32 v5, v2, v1, vcc_lo
	s_wait_loadcnt 0x0
	s_delay_alu instid0(VALU_DEP_1) | instskip(SKIP_2) | instid1(VALU_DEP_2)
	v_cmp_lt_f16_e32 vcc_lo, v5, v3
	v_cndmask_b32_e32 v5, v3, v5, vcc_lo
	v_cmp_u_f16_e32 vcc_lo, v3, v3
	v_cndmask_b32_e32 v3, v5, v3, vcc_lo
	v_cmp_u_f16_e32 vcc_lo, v2, v2
	s_delay_alu instid0(VALU_DEP_2) | instskip(SKIP_1) | instid1(VALU_DEP_2)
	v_cndmask_b32_e32 v2, v3, v2, vcc_lo
	v_cmp_u_f16_e32 vcc_lo, v1, v1
	v_cndmask_b32_e32 v1, v2, v1, vcc_lo
	global_store_b16 v4, v1, s[0:1]
	s_wait_xcnt 0x0
	s_or_b32 exec_lo, exec_lo, s17
	s_delay_alu instid0(SALU_CYCLE_1)
	s_mov_b32 s17, exec_lo
	v_cmpx_gt_i32_e64 s39, v0
	s_cbranch_execz .LBB157_7
.LBB157_69:
	s_and_not1_b32 vcc_lo, exec_lo, s35
	s_cbranch_vccnz .LBB157_75
; %bb.70:
	s_and_not1_b32 vcc_lo, exec_lo, s40
	s_cbranch_vccnz .LBB157_76
; %bb.71:
	v_dual_mov_b32 v6, 0 :: v_dual_mov_b32 v1, v0
	v_dual_mov_b32 v7, 0 :: v_dual_mov_b32 v4, 0
	v_mov_b32_e32 v5, 0
	s_add_co_i32 s22, s38, 1
	s_mov_b64 s[28:29], 0xffffffffffffffe0
	s_and_b32 s22, s22, 30
	s_add_nc_u64 s[28:29], s[20:21], s[28:29]
	s_mov_b64 s[30:31], s[20:21]
.LBB157_72:                             ; =>This Inner Loop Header: Depth=1
	s_clause 0x1
	s_load_b128 s[52:55], s[30:31], 0x4
	s_load_b64 s[42:43], s[30:31], 0x14
	s_load_b256 s[44:51], s[28:29], 0xe4
	s_add_co_i32 s22, s22, -2
	s_wait_xcnt 0x0
	s_add_nc_u64 s[30:31], s[30:31], 24
	s_cmp_eq_u32 s22, 0
	s_add_nc_u64 s[28:29], s[28:29], 32
	s_wait_kmcnt 0x0
	v_mul_hi_u32 v2, s53, v1
	s_delay_alu instid0(VALU_DEP_1) | instskip(NEXT) | instid1(VALU_DEP_1)
	v_add_nc_u32_e32 v2, v1, v2
	v_lshrrev_b32_e32 v2, s54, v2
	s_delay_alu instid0(VALU_DEP_1) | instskip(SKIP_1) | instid1(VALU_DEP_1)
	v_mul_hi_u32 v3, s42, v2
	v_mul_lo_u32 v8, v2, s52
	v_dual_add_nc_u32 v3, v2, v3 :: v_dual_sub_nc_u32 v8, v1, v8
	s_delay_alu instid0(VALU_DEP_1) | instskip(NEXT) | instid1(VALU_DEP_2)
	v_lshrrev_b32_e32 v1, s43, v3
	v_mad_u32 v5, v8, s45, v5
	v_mad_u32 v4, v8, s44, v4
	;; [unrolled: 1-line block ×4, first 2 shown]
	v_mul_lo_u32 v3, v1, s55
	s_delay_alu instid0(VALU_DEP_1) | instskip(NEXT) | instid1(VALU_DEP_1)
	v_sub_nc_u32_e32 v2, v2, v3
	v_mad_u32 v5, v2, s49, v5
	v_mad_u32 v4, v2, s48, v4
	v_mad_u32 v7, v2, s51, v7
	v_mad_u32 v6, v2, s50, v6
	s_cbranch_scc0 .LBB157_72
; %bb.73:
	s_bitcmp1_b32 s38, 0
	s_cselect_b32 s22, -1, 0
	s_delay_alu instid0(SALU_CYCLE_1)
	s_and_b32 vcc_lo, exec_lo, s22
	s_cbranch_vccnz .LBB157_77
; %bb.74:
	s_load_b96 s[48:50], s[30:31], 0x4
	s_load_b128 s[44:47], s[28:29], 0xe4
	s_wait_kmcnt 0x0
	v_mul_hi_u32 v2, s49, v1
	s_delay_alu instid0(VALU_DEP_1) | instskip(NEXT) | instid1(VALU_DEP_1)
	v_add_nc_u32_e32 v2, v1, v2
	v_lshrrev_b32_e32 v2, s50, v2
	s_delay_alu instid0(VALU_DEP_1) | instskip(NEXT) | instid1(VALU_DEP_1)
	v_mul_lo_u32 v2, v2, s48
	v_sub_nc_u32_e32 v1, v1, v2
	s_delay_alu instid0(VALU_DEP_1)
	v_mad_u32 v4, v1, s44, v4
	v_mad_u32 v5, v1, s45, v5
	;; [unrolled: 1-line block ×4, first 2 shown]
	s_branch .LBB157_77
.LBB157_75:
                                        ; implicit-def: $vgpr5
                                        ; implicit-def: $vgpr4
                                        ; implicit-def: $vgpr7
                                        ; implicit-def: $vgpr6
	s_branch .LBB157_78
.LBB157_76:
	v_dual_mov_b32 v5, 0 :: v_dual_mov_b32 v4, 0
	v_dual_mov_b32 v7, 0 :: v_dual_mov_b32 v6, 0
.LBB157_77:
	s_cbranch_execnz .LBB157_80
.LBB157_78:
	v_mov_b32_e32 v1, 0
	s_and_not1_b32 vcc_lo, exec_lo, s37
	s_delay_alu instid0(VALU_DEP_1) | instskip(NEXT) | instid1(VALU_DEP_1)
	v_mul_u64_e32 v[2:3], s[24:25], v[0:1]
	v_add_nc_u32_e32 v2, v0, v3
	s_delay_alu instid0(VALU_DEP_1) | instskip(NEXT) | instid1(VALU_DEP_1)
	v_lshrrev_b32_e32 v2, s18, v2
	v_mul_lo_u32 v3, v2, s16
	s_delay_alu instid0(VALU_DEP_1) | instskip(NEXT) | instid1(VALU_DEP_1)
	v_sub_nc_u32_e32 v3, v0, v3
	v_mul_lo_u32 v5, v3, s9
	v_mul_lo_u32 v4, v3, s8
	;; [unrolled: 1-line block ×4, first 2 shown]
	s_cbranch_vccnz .LBB157_80
; %bb.79:
	v_mov_b32_e32 v3, v1
	s_delay_alu instid0(VALU_DEP_1) | instskip(NEXT) | instid1(VALU_DEP_1)
	v_mul_u64_e32 v[8:9], s[26:27], v[2:3]
	v_add_nc_u32_e32 v1, v2, v9
	s_delay_alu instid0(VALU_DEP_1) | instskip(NEXT) | instid1(VALU_DEP_1)
	v_lshrrev_b32_e32 v1, s23, v1
	v_mul_lo_u32 v1, v1, s19
	s_delay_alu instid0(VALU_DEP_1) | instskip(NEXT) | instid1(VALU_DEP_1)
	v_sub_nc_u32_e32 v1, v2, v1
	v_mad_u32 v4, v1, s12, v4
	v_mad_u32 v5, v1, s13, v5
	;; [unrolled: 1-line block ×4, first 2 shown]
.LBB157_80:
	global_load_u16 v1, v5, s[2:3]
	global_load_u16 v2, v6, s[4:5]
	;; [unrolled: 1-line block ×3, first 2 shown]
	v_add_nc_u32_e32 v0, 0x80, v0
	s_wait_loadcnt 0x1
	v_cmp_gt_f16_e32 vcc_lo, v1, v2
	s_wait_xcnt 0x2
	v_cndmask_b32_e32 v5, v2, v1, vcc_lo
	s_wait_loadcnt 0x0
	s_delay_alu instid0(VALU_DEP_1) | instskip(SKIP_2) | instid1(VALU_DEP_2)
	v_cmp_lt_f16_e32 vcc_lo, v5, v3
	v_cndmask_b32_e32 v5, v3, v5, vcc_lo
	v_cmp_u_f16_e32 vcc_lo, v3, v3
	v_cndmask_b32_e32 v3, v5, v3, vcc_lo
	v_cmp_u_f16_e32 vcc_lo, v2, v2
	s_delay_alu instid0(VALU_DEP_2) | instskip(SKIP_1) | instid1(VALU_DEP_2)
	v_cndmask_b32_e32 v2, v3, v2, vcc_lo
	v_cmp_u_f16_e32 vcc_lo, v1, v1
	v_cndmask_b32_e32 v1, v2, v1, vcc_lo
	global_store_b16 v4, v1, s[0:1]
	s_wait_xcnt 0x0
	s_or_b32 exec_lo, exec_lo, s17
	s_delay_alu instid0(SALU_CYCLE_1)
	s_mov_b32 s17, exec_lo
	v_cmpx_gt_i32_e64 s39, v0
	s_cbranch_execz .LBB157_8
.LBB157_81:
	s_and_not1_b32 vcc_lo, exec_lo, s35
	s_cbranch_vccnz .LBB157_87
; %bb.82:
	s_and_not1_b32 vcc_lo, exec_lo, s40
	s_cbranch_vccnz .LBB157_88
; %bb.83:
	v_dual_mov_b32 v5, 0 :: v_dual_mov_b32 v1, v0
	v_dual_mov_b32 v7, 0 :: v_dual_mov_b32 v4, 0
	v_mov_b32_e32 v6, 0
	s_add_co_i32 s22, s38, 1
	s_mov_b64 s[28:29], 0xffffffffffffffe0
	s_and_b32 s22, s22, 30
	s_add_nc_u64 s[28:29], s[20:21], s[28:29]
	s_mov_b64 s[30:31], s[20:21]
.LBB157_84:                             ; =>This Inner Loop Header: Depth=1
	s_clause 0x1
	s_load_b128 s[52:55], s[30:31], 0x4
	s_load_b64 s[42:43], s[30:31], 0x14
	s_load_b256 s[44:51], s[28:29], 0xe4
	s_add_co_i32 s22, s22, -2
	s_wait_xcnt 0x0
	s_add_nc_u64 s[30:31], s[30:31], 24
	s_cmp_eq_u32 s22, 0
	s_add_nc_u64 s[28:29], s[28:29], 32
	s_wait_kmcnt 0x0
	v_mul_hi_u32 v2, s53, v1
	s_delay_alu instid0(VALU_DEP_1) | instskip(NEXT) | instid1(VALU_DEP_1)
	v_add_nc_u32_e32 v2, v1, v2
	v_lshrrev_b32_e32 v2, s54, v2
	s_delay_alu instid0(VALU_DEP_1) | instskip(SKIP_1) | instid1(VALU_DEP_1)
	v_mul_hi_u32 v3, s42, v2
	v_mul_lo_u32 v8, v2, s52
	v_dual_add_nc_u32 v3, v2, v3 :: v_dual_sub_nc_u32 v8, v1, v8
	s_delay_alu instid0(VALU_DEP_1) | instskip(NEXT) | instid1(VALU_DEP_2)
	v_lshrrev_b32_e32 v1, s43, v3
	v_mad_u32 v6, v8, s45, v6
	v_mad_u32 v4, v8, s44, v4
	;; [unrolled: 1-line block ×4, first 2 shown]
	v_mul_lo_u32 v3, v1, s55
	s_delay_alu instid0(VALU_DEP_1) | instskip(NEXT) | instid1(VALU_DEP_1)
	v_sub_nc_u32_e32 v2, v2, v3
	v_mad_u32 v6, v2, s49, v6
	v_mad_u32 v4, v2, s48, v4
	;; [unrolled: 1-line block ×4, first 2 shown]
	s_cbranch_scc0 .LBB157_84
; %bb.85:
	s_bitcmp1_b32 s38, 0
	s_cselect_b32 s22, -1, 0
	s_delay_alu instid0(SALU_CYCLE_1)
	s_and_b32 vcc_lo, exec_lo, s22
	s_cbranch_vccnz .LBB157_89
; %bb.86:
	s_load_b96 s[48:50], s[30:31], 0x4
	s_load_b128 s[44:47], s[28:29], 0xe4
	s_wait_kmcnt 0x0
	v_mul_hi_u32 v2, s49, v1
	s_delay_alu instid0(VALU_DEP_1) | instskip(NEXT) | instid1(VALU_DEP_1)
	v_add_nc_u32_e32 v2, v1, v2
	v_lshrrev_b32_e32 v2, s50, v2
	s_delay_alu instid0(VALU_DEP_1) | instskip(NEXT) | instid1(VALU_DEP_1)
	v_mul_lo_u32 v2, v2, s48
	v_sub_nc_u32_e32 v1, v1, v2
	s_delay_alu instid0(VALU_DEP_1)
	v_mad_u32 v4, v1, s44, v4
	v_mad_u32 v6, v1, s45, v6
	;; [unrolled: 1-line block ×4, first 2 shown]
	s_branch .LBB157_89
.LBB157_87:
                                        ; implicit-def: $vgpr6
                                        ; implicit-def: $vgpr4
                                        ; implicit-def: $vgpr7
                                        ; implicit-def: $vgpr5
	s_branch .LBB157_90
.LBB157_88:
	v_dual_mov_b32 v6, 0 :: v_dual_mov_b32 v4, 0
	v_dual_mov_b32 v7, 0 :: v_dual_mov_b32 v5, 0
.LBB157_89:
	s_cbranch_execnz .LBB157_92
.LBB157_90:
	v_mov_b32_e32 v1, 0
	s_and_not1_b32 vcc_lo, exec_lo, s37
	s_delay_alu instid0(VALU_DEP_1) | instskip(NEXT) | instid1(VALU_DEP_1)
	v_mul_u64_e32 v[2:3], s[24:25], v[0:1]
	v_add_nc_u32_e32 v2, v0, v3
	s_delay_alu instid0(VALU_DEP_1) | instskip(NEXT) | instid1(VALU_DEP_1)
	v_lshrrev_b32_e32 v2, s18, v2
	v_mul_lo_u32 v3, v2, s16
	s_delay_alu instid0(VALU_DEP_1) | instskip(NEXT) | instid1(VALU_DEP_1)
	v_sub_nc_u32_e32 v3, v0, v3
	v_mul_lo_u32 v6, v3, s9
	v_mul_lo_u32 v4, v3, s8
	;; [unrolled: 1-line block ×4, first 2 shown]
	s_cbranch_vccnz .LBB157_92
; %bb.91:
	v_mov_b32_e32 v3, v1
	s_delay_alu instid0(VALU_DEP_1) | instskip(NEXT) | instid1(VALU_DEP_1)
	v_mul_u64_e32 v[8:9], s[26:27], v[2:3]
	v_add_nc_u32_e32 v1, v2, v9
	s_delay_alu instid0(VALU_DEP_1) | instskip(NEXT) | instid1(VALU_DEP_1)
	v_lshrrev_b32_e32 v1, s23, v1
	v_mul_lo_u32 v1, v1, s19
	s_delay_alu instid0(VALU_DEP_1) | instskip(NEXT) | instid1(VALU_DEP_1)
	v_sub_nc_u32_e32 v1, v2, v1
	v_mad_u32 v4, v1, s12, v4
	v_mad_u32 v6, v1, s13, v6
	;; [unrolled: 1-line block ×4, first 2 shown]
.LBB157_92:
	global_load_u16 v1, v6, s[2:3]
	global_load_u16 v2, v5, s[4:5]
	;; [unrolled: 1-line block ×3, first 2 shown]
	v_add_nc_u32_e32 v0, 0x80, v0
	s_wait_loadcnt 0x1
	v_cmp_gt_f16_e32 vcc_lo, v1, v2
	s_wait_xcnt 0x1
	v_cndmask_b32_e32 v5, v2, v1, vcc_lo
	s_wait_loadcnt 0x0
	s_delay_alu instid0(VALU_DEP_1) | instskip(SKIP_2) | instid1(VALU_DEP_2)
	v_cmp_lt_f16_e32 vcc_lo, v5, v3
	v_cndmask_b32_e32 v5, v3, v5, vcc_lo
	v_cmp_u_f16_e32 vcc_lo, v3, v3
	v_cndmask_b32_e32 v3, v5, v3, vcc_lo
	v_cmp_u_f16_e32 vcc_lo, v2, v2
	s_delay_alu instid0(VALU_DEP_2) | instskip(SKIP_1) | instid1(VALU_DEP_2)
	v_cndmask_b32_e32 v2, v3, v2, vcc_lo
	v_cmp_u_f16_e32 vcc_lo, v1, v1
	v_cndmask_b32_e32 v1, v2, v1, vcc_lo
	global_store_b16 v4, v1, s[0:1]
	s_wait_xcnt 0x0
	s_or_b32 exec_lo, exec_lo, s17
	s_delay_alu instid0(SALU_CYCLE_1)
	s_mov_b32 s17, exec_lo
	v_cmpx_gt_i32_e64 s39, v0
	s_cbranch_execz .LBB157_105
.LBB157_93:
	s_and_not1_b32 vcc_lo, exec_lo, s35
	s_cbranch_vccnz .LBB157_99
; %bb.94:
	s_and_not1_b32 vcc_lo, exec_lo, s40
	s_cbranch_vccnz .LBB157_100
; %bb.95:
	v_dual_mov_b32 v5, 0 :: v_dual_mov_b32 v1, v0
	v_dual_mov_b32 v7, 0 :: v_dual_mov_b32 v4, 0
	v_mov_b32_e32 v6, 0
	s_add_co_i32 s22, s38, 1
	s_mov_b64 s[28:29], 0xffffffffffffffe0
	s_and_b32 s22, s22, 30
	s_add_nc_u64 s[28:29], s[20:21], s[28:29]
	s_mov_b64 s[30:31], s[20:21]
.LBB157_96:                             ; =>This Inner Loop Header: Depth=1
	s_clause 0x1
	s_load_b128 s[48:51], s[30:31], 0x4
	s_load_b64 s[52:53], s[30:31], 0x14
	s_load_b256 s[40:47], s[28:29], 0xe4
	s_add_co_i32 s22, s22, -2
	s_wait_xcnt 0x0
	s_add_nc_u64 s[30:31], s[30:31], 24
	s_cmp_eq_u32 s22, 0
	s_add_nc_u64 s[28:29], s[28:29], 32
	s_wait_kmcnt 0x0
	v_mul_hi_u32 v2, s49, v1
	s_delay_alu instid0(VALU_DEP_1) | instskip(NEXT) | instid1(VALU_DEP_1)
	v_add_nc_u32_e32 v2, v1, v2
	v_lshrrev_b32_e32 v2, s50, v2
	s_delay_alu instid0(VALU_DEP_1) | instskip(SKIP_1) | instid1(VALU_DEP_1)
	v_mul_hi_u32 v3, s52, v2
	v_mul_lo_u32 v8, v2, s48
	v_dual_add_nc_u32 v3, v2, v3 :: v_dual_sub_nc_u32 v8, v1, v8
	s_delay_alu instid0(VALU_DEP_1) | instskip(NEXT) | instid1(VALU_DEP_2)
	v_lshrrev_b32_e32 v1, s53, v3
	v_mad_u32 v6, v8, s41, v6
	v_mad_u32 v4, v8, s40, v4
	;; [unrolled: 1-line block ×4, first 2 shown]
	v_mul_lo_u32 v3, v1, s51
	s_delay_alu instid0(VALU_DEP_1) | instskip(NEXT) | instid1(VALU_DEP_1)
	v_sub_nc_u32_e32 v2, v2, v3
	v_mad_u32 v6, v2, s45, v6
	v_mad_u32 v4, v2, s44, v4
	;; [unrolled: 1-line block ×4, first 2 shown]
	s_cbranch_scc0 .LBB157_96
; %bb.97:
	s_bitcmp1_b32 s38, 0
	s_cselect_b32 s22, -1, 0
	s_delay_alu instid0(SALU_CYCLE_1)
	s_and_b32 vcc_lo, exec_lo, s22
	s_cbranch_vccnz .LBB157_101
; %bb.98:
	s_load_b96 s[44:46], s[30:31], 0x4
	s_load_b128 s[40:43], s[28:29], 0xe4
	s_wait_kmcnt 0x0
	v_mul_hi_u32 v2, s45, v1
	s_delay_alu instid0(VALU_DEP_1) | instskip(NEXT) | instid1(VALU_DEP_1)
	v_add_nc_u32_e32 v2, v1, v2
	v_lshrrev_b32_e32 v2, s46, v2
	s_delay_alu instid0(VALU_DEP_1) | instskip(NEXT) | instid1(VALU_DEP_1)
	v_mul_lo_u32 v2, v2, s44
	v_sub_nc_u32_e32 v1, v1, v2
	s_delay_alu instid0(VALU_DEP_1)
	v_mad_u32 v4, v1, s40, v4
	v_mad_u32 v6, v1, s41, v6
	v_mad_u32 v5, v1, s42, v5
	v_mad_u32 v7, v1, s43, v7
	s_branch .LBB157_101
.LBB157_99:
                                        ; implicit-def: $vgpr6
                                        ; implicit-def: $vgpr4
                                        ; implicit-def: $vgpr7
                                        ; implicit-def: $vgpr5
	s_branch .LBB157_102
.LBB157_100:
	v_dual_mov_b32 v6, 0 :: v_dual_mov_b32 v4, 0
	v_dual_mov_b32 v7, 0 :: v_dual_mov_b32 v5, 0
.LBB157_101:
	s_cbranch_execnz .LBB157_104
.LBB157_102:
	v_mov_b32_e32 v1, 0
	s_and_not1_b32 vcc_lo, exec_lo, s37
	s_delay_alu instid0(VALU_DEP_1) | instskip(NEXT) | instid1(VALU_DEP_1)
	v_mul_u64_e32 v[2:3], s[24:25], v[0:1]
	v_add_nc_u32_e32 v2, v0, v3
	s_delay_alu instid0(VALU_DEP_1) | instskip(NEXT) | instid1(VALU_DEP_1)
	v_lshrrev_b32_e32 v2, s18, v2
	v_mul_lo_u32 v3, v2, s16
	s_delay_alu instid0(VALU_DEP_1) | instskip(NEXT) | instid1(VALU_DEP_1)
	v_sub_nc_u32_e32 v0, v0, v3
	v_mul_lo_u32 v6, v0, s9
	v_mul_lo_u32 v4, v0, s8
	;; [unrolled: 1-line block ×4, first 2 shown]
	s_cbranch_vccnz .LBB157_104
; %bb.103:
	v_mov_b32_e32 v3, v1
	s_delay_alu instid0(VALU_DEP_1) | instskip(NEXT) | instid1(VALU_DEP_1)
	v_mul_u64_e32 v[0:1], s[26:27], v[2:3]
	v_add_nc_u32_e32 v0, v2, v1
	s_delay_alu instid0(VALU_DEP_1) | instskip(NEXT) | instid1(VALU_DEP_1)
	v_lshrrev_b32_e32 v0, s23, v0
	v_mul_lo_u32 v0, v0, s19
	s_delay_alu instid0(VALU_DEP_1) | instskip(NEXT) | instid1(VALU_DEP_1)
	v_sub_nc_u32_e32 v0, v2, v0
	v_mad_u32 v4, v0, s12, v4
	v_mad_u32 v6, v0, s13, v6
	;; [unrolled: 1-line block ×4, first 2 shown]
.LBB157_104:
	global_load_u16 v0, v6, s[2:3]
	global_load_u16 v1, v5, s[4:5]
	;; [unrolled: 1-line block ×3, first 2 shown]
	s_wait_loadcnt 0x1
	v_cmp_gt_f16_e32 vcc_lo, v0, v1
	v_cndmask_b32_e32 v3, v1, v0, vcc_lo
	s_wait_loadcnt 0x0
	s_delay_alu instid0(VALU_DEP_1) | instskip(SKIP_2) | instid1(VALU_DEP_2)
	v_cmp_lt_f16_e32 vcc_lo, v3, v2
	v_cndmask_b32_e32 v3, v2, v3, vcc_lo
	v_cmp_u_f16_e32 vcc_lo, v2, v2
	v_cndmask_b32_e32 v2, v3, v2, vcc_lo
	v_cmp_u_f16_e32 vcc_lo, v1, v1
	s_delay_alu instid0(VALU_DEP_2) | instskip(SKIP_1) | instid1(VALU_DEP_2)
	v_cndmask_b32_e32 v1, v2, v1, vcc_lo
	v_cmp_u_f16_e32 vcc_lo, v0, v0
	v_cndmask_b32_e32 v0, v1, v0, vcc_lo
	global_store_b16 v4, v0, s[0:1]
.LBB157_105:
	s_wait_xcnt 0x0
	s_or_b32 exec_lo, exec_lo, s17
                                        ; implicit-def: $vgpr5
                                        ; implicit-def: $vgpr0
.LBB157_106:
	s_and_not1_saveexec_b32 s0, s36
	s_cbranch_execz .LBB157_113
; %bb.107:
	v_cndmask_b32_e64 v10, 0, 1, s35
	s_and_not1_b32 vcc_lo, exec_lo, s35
	s_cbranch_vccnz .LBB157_114
; %bb.108:
	s_cmp_lg_u32 s33, 0
	s_mov_b32 s4, 0
	s_cbranch_scc0 .LBB157_118
; %bb.109:
	s_min_u32 s5, s34, 15
	v_dual_mov_b32 v4, 0 :: v_dual_mov_b32 v6, v0
	v_dual_mov_b32 v2, 0 :: v_dual_mov_b32 v1, 0
	v_mov_b32_e32 v3, 0
	s_add_co_i32 s2, s5, 1
	s_mov_b64 s[0:1], 0xffffffffffffffe0
	s_and_b32 s6, s2, 30
	s_add_nc_u64 s[0:1], s[20:21], s[0:1]
	s_mov_b64 s[2:3], s[20:21]
.LBB157_110:                            ; =>This Inner Loop Header: Depth=1
	s_clause 0x1
	s_load_b128 s[16:19], s[2:3], 0x4
	s_load_b64 s[22:23], s[2:3], 0x14
	s_load_b256 s[8:15], s[0:1], 0xe4
	s_add_co_i32 s6, s6, -2
	s_wait_xcnt 0x0
	s_add_nc_u64 s[2:3], s[2:3], 24
	s_cmp_lg_u32 s6, 0
	s_add_nc_u64 s[0:1], s[0:1], 32
	s_wait_kmcnt 0x0
	v_mul_hi_u32 v7, s17, v6
	s_delay_alu instid0(VALU_DEP_1) | instskip(NEXT) | instid1(VALU_DEP_1)
	v_add_nc_u32_e32 v7, v6, v7
	v_lshrrev_b32_e32 v7, s18, v7
	s_delay_alu instid0(VALU_DEP_1) | instskip(SKIP_1) | instid1(VALU_DEP_1)
	v_mul_hi_u32 v8, s22, v7
	v_mul_lo_u32 v9, v7, s16
	v_dual_add_nc_u32 v8, v7, v8 :: v_dual_sub_nc_u32 v9, v6, v9
	s_delay_alu instid0(VALU_DEP_1) | instskip(NEXT) | instid1(VALU_DEP_2)
	v_lshrrev_b32_e32 v6, s23, v8
	v_mad_u32 v3, v9, s9, v3
	v_mad_u32 v1, v9, s8, v1
	;; [unrolled: 1-line block ×4, first 2 shown]
	v_mul_lo_u32 v8, v6, s19
	s_delay_alu instid0(VALU_DEP_1) | instskip(NEXT) | instid1(VALU_DEP_1)
	v_sub_nc_u32_e32 v7, v7, v8
	v_mad_u32 v3, v7, s13, v3
	v_mad_u32 v1, v7, s12, v1
	;; [unrolled: 1-line block ×4, first 2 shown]
	s_cbranch_scc1 .LBB157_110
; %bb.111:
	s_bitcmp1_b32 s5, 0
	s_cselect_b32 s5, -1, 0
	s_delay_alu instid0(SALU_CYCLE_1)
	s_and_b32 vcc_lo, exec_lo, s5
	s_cbranch_vccnz .LBB157_115
; %bb.112:
	s_load_b96 s[12:14], s[2:3], 0x4
	s_load_b128 s[8:11], s[0:1], 0xe4
	s_wait_kmcnt 0x0
	v_mul_hi_u32 v7, s13, v6
	s_delay_alu instid0(VALU_DEP_1) | instskip(NEXT) | instid1(VALU_DEP_1)
	v_add_nc_u32_e32 v7, v6, v7
	v_lshrrev_b32_e32 v7, s14, v7
	s_delay_alu instid0(VALU_DEP_1) | instskip(NEXT) | instid1(VALU_DEP_1)
	v_mul_lo_u32 v7, v7, s12
	v_sub_nc_u32_e32 v6, v6, v7
	s_delay_alu instid0(VALU_DEP_1)
	v_mad_u32 v1, v6, s8, v1
	v_mad_u32 v3, v6, s9, v3
	v_mad_u32 v4, v6, s10, v4
	v_mad_u32 v2, v6, s11, v2
	s_and_not1_b32 vcc_lo, exec_lo, s4
	s_cbranch_vccz .LBB157_116
	s_branch .LBB157_119
.LBB157_113:
	s_endpgm
.LBB157_114:
	s_mov_b32 s4, -1
                                        ; implicit-def: $vgpr3
                                        ; implicit-def: $vgpr1
                                        ; implicit-def: $vgpr2
                                        ; implicit-def: $vgpr4
.LBB157_115:
	s_delay_alu instid0(SALU_CYCLE_1)
	s_and_not1_b32 vcc_lo, exec_lo, s4
	s_cbranch_vccnz .LBB157_119
.LBB157_116:
	s_clause 0x1
	s_load_b96 s[4:6], s[20:21], 0x4
	s_load_b128 s[0:3], s[20:21], 0xc4
	s_cmp_lt_u32 s33, 2
	s_wait_kmcnt 0x0
	v_mul_hi_u32 v1, s5, v0
	s_delay_alu instid0(VALU_DEP_1) | instskip(NEXT) | instid1(VALU_DEP_1)
	v_add_nc_u32_e32 v1, v0, v1
	v_lshrrev_b32_e32 v6, s6, v1
	s_delay_alu instid0(VALU_DEP_1) | instskip(NEXT) | instid1(VALU_DEP_1)
	v_mul_lo_u32 v1, v6, s4
	v_sub_nc_u32_e32 v4, v0, v1
	s_delay_alu instid0(VALU_DEP_1)
	v_mul_lo_u32 v3, v4, s1
	v_mul_lo_u32 v1, v4, s0
	;; [unrolled: 1-line block ×4, first 2 shown]
	s_cbranch_scc1 .LBB157_119
; %bb.117:
	s_clause 0x1
	s_load_b96 s[4:6], s[20:21], 0x10
	s_load_b128 s[0:3], s[20:21], 0xd4
	s_wait_kmcnt 0x0
	v_mul_hi_u32 v7, s5, v6
	s_delay_alu instid0(VALU_DEP_1) | instskip(NEXT) | instid1(VALU_DEP_1)
	v_add_nc_u32_e32 v7, v6, v7
	v_lshrrev_b32_e32 v7, s6, v7
	s_delay_alu instid0(VALU_DEP_1) | instskip(NEXT) | instid1(VALU_DEP_1)
	v_mul_lo_u32 v7, v7, s4
	v_sub_nc_u32_e32 v6, v6, v7
	s_delay_alu instid0(VALU_DEP_1)
	v_mad_u32 v1, v6, s0, v1
	v_mad_u32 v3, v6, s1, v3
	;; [unrolled: 1-line block ×4, first 2 shown]
	s_branch .LBB157_119
.LBB157_118:
	v_dual_mov_b32 v3, 0 :: v_dual_mov_b32 v1, 0
	v_dual_mov_b32 v2, 0 :: v_dual_mov_b32 v4, 0
	s_and_not1_b32 vcc_lo, exec_lo, s4
	s_cbranch_vccz .LBB157_116
.LBB157_119:
	v_cmp_ne_u32_e32 vcc_lo, 1, v10
	v_add_nc_u32_e32 v11, 0x80, v0
	s_cbranch_vccnz .LBB157_125
; %bb.120:
	s_cmp_lg_u32 s33, 0
	s_mov_b32 s4, 0
	s_cbranch_scc0 .LBB157_129
; %bb.121:
	s_min_u32 s5, s34, 15
	v_dual_mov_b32 v8, 0 :: v_dual_mov_b32 v12, v11
	v_dual_mov_b32 v7, 0 :: v_dual_mov_b32 v6, 0
	v_mov_b32_e32 v9, 0
	s_add_co_i32 s2, s5, 1
	s_mov_b64 s[0:1], 0xffffffffffffffe0
	s_and_b32 s6, s2, 30
	s_add_nc_u64 s[0:1], s[20:21], s[0:1]
	s_mov_b64 s[2:3], s[20:21]
.LBB157_122:                            ; =>This Inner Loop Header: Depth=1
	s_clause 0x1
	s_load_b128 s[16:19], s[2:3], 0x4
	s_load_b64 s[22:23], s[2:3], 0x14
	s_load_b256 s[8:15], s[0:1], 0xe4
	s_add_co_i32 s6, s6, -2
	s_wait_xcnt 0x0
	s_add_nc_u64 s[2:3], s[2:3], 24
	s_cmp_lg_u32 s6, 0
	s_add_nc_u64 s[0:1], s[0:1], 32
	s_wait_kmcnt 0x0
	v_mul_hi_u32 v13, s17, v12
	s_delay_alu instid0(VALU_DEP_1) | instskip(NEXT) | instid1(VALU_DEP_1)
	v_add_nc_u32_e32 v13, v12, v13
	v_lshrrev_b32_e32 v13, s18, v13
	s_delay_alu instid0(VALU_DEP_1) | instskip(SKIP_1) | instid1(VALU_DEP_1)
	v_mul_hi_u32 v14, s22, v13
	v_mul_lo_u32 v15, v13, s16
	v_dual_add_nc_u32 v14, v13, v14 :: v_dual_sub_nc_u32 v15, v12, v15
	s_delay_alu instid0(VALU_DEP_1) | instskip(NEXT) | instid1(VALU_DEP_2)
	v_lshrrev_b32_e32 v12, s23, v14
	v_mad_u32 v9, v15, s9, v9
	v_mad_u32 v6, v15, s8, v6
	;; [unrolled: 1-line block ×4, first 2 shown]
	v_mul_lo_u32 v14, v12, s19
	s_delay_alu instid0(VALU_DEP_1) | instskip(NEXT) | instid1(VALU_DEP_1)
	v_sub_nc_u32_e32 v13, v13, v14
	v_mad_u32 v9, v13, s13, v9
	v_mad_u32 v6, v13, s12, v6
	;; [unrolled: 1-line block ×4, first 2 shown]
	s_cbranch_scc1 .LBB157_122
; %bb.123:
	s_bitcmp1_b32 s5, 0
	s_cselect_b32 s5, -1, 0
	s_delay_alu instid0(SALU_CYCLE_1)
	s_and_b32 vcc_lo, exec_lo, s5
	s_cbranch_vccnz .LBB157_126
; %bb.124:
	s_load_b96 s[12:14], s[2:3], 0x4
	s_load_b128 s[8:11], s[0:1], 0xe4
	s_wait_kmcnt 0x0
	v_mul_hi_u32 v13, s13, v12
	s_delay_alu instid0(VALU_DEP_1) | instskip(NEXT) | instid1(VALU_DEP_1)
	v_add_nc_u32_e32 v13, v12, v13
	v_lshrrev_b32_e32 v13, s14, v13
	s_delay_alu instid0(VALU_DEP_1) | instskip(NEXT) | instid1(VALU_DEP_1)
	v_mul_lo_u32 v13, v13, s12
	v_sub_nc_u32_e32 v12, v12, v13
	s_delay_alu instid0(VALU_DEP_1)
	v_mad_u32 v6, v12, s8, v6
	v_mad_u32 v9, v12, s9, v9
	;; [unrolled: 1-line block ×4, first 2 shown]
	s_and_not1_b32 vcc_lo, exec_lo, s4
	s_cbranch_vccz .LBB157_127
	s_branch .LBB157_130
.LBB157_125:
	s_mov_b32 s4, -1
                                        ; implicit-def: $vgpr9
                                        ; implicit-def: $vgpr6
                                        ; implicit-def: $vgpr7
                                        ; implicit-def: $vgpr8
.LBB157_126:
	s_delay_alu instid0(SALU_CYCLE_1)
	s_and_not1_b32 vcc_lo, exec_lo, s4
	s_cbranch_vccnz .LBB157_130
.LBB157_127:
	s_clause 0x1
	s_load_b96 s[4:6], s[20:21], 0x4
	s_load_b128 s[0:3], s[20:21], 0xc4
	s_cmp_lt_u32 s33, 2
	s_wait_kmcnt 0x0
	v_mul_hi_u32 v6, s5, v11
	s_delay_alu instid0(VALU_DEP_1) | instskip(NEXT) | instid1(VALU_DEP_1)
	v_add_nc_u32_e32 v6, v11, v6
	v_lshrrev_b32_e32 v12, s6, v6
	s_delay_alu instid0(VALU_DEP_1) | instskip(NEXT) | instid1(VALU_DEP_1)
	v_mul_lo_u32 v6, v12, s4
	v_sub_nc_u32_e32 v8, v11, v6
	s_delay_alu instid0(VALU_DEP_1)
	v_mul_lo_u32 v9, v8, s1
	v_mul_lo_u32 v6, v8, s0
	;; [unrolled: 1-line block ×4, first 2 shown]
	s_cbranch_scc1 .LBB157_130
; %bb.128:
	s_clause 0x1
	s_load_b96 s[4:6], s[20:21], 0x10
	s_load_b128 s[0:3], s[20:21], 0xd4
	s_wait_kmcnt 0x0
	v_mul_hi_u32 v11, s5, v12
	s_delay_alu instid0(VALU_DEP_1) | instskip(NEXT) | instid1(VALU_DEP_1)
	v_add_nc_u32_e32 v11, v12, v11
	v_lshrrev_b32_e32 v11, s6, v11
	s_delay_alu instid0(VALU_DEP_1) | instskip(NEXT) | instid1(VALU_DEP_1)
	v_mul_lo_u32 v11, v11, s4
	v_sub_nc_u32_e32 v11, v12, v11
	s_delay_alu instid0(VALU_DEP_1)
	v_mad_u32 v6, v11, s0, v6
	v_mad_u32 v9, v11, s1, v9
	;; [unrolled: 1-line block ×4, first 2 shown]
	s_branch .LBB157_130
.LBB157_129:
	v_dual_mov_b32 v9, 0 :: v_dual_mov_b32 v6, 0
	v_dual_mov_b32 v7, 0 :: v_dual_mov_b32 v8, 0
	s_and_not1_b32 vcc_lo, exec_lo, s4
	s_cbranch_vccz .LBB157_127
.LBB157_130:
	v_cmp_ne_u32_e32 vcc_lo, 1, v10
	v_add_nc_u32_e32 v15, 0x100, v0
	s_cbranch_vccnz .LBB157_136
; %bb.131:
	s_cmp_lg_u32 s33, 0
	s_mov_b32 s4, 0
	s_cbranch_scc0 .LBB157_140
; %bb.132:
	s_min_u32 s5, s34, 15
	v_dual_mov_b32 v14, 0 :: v_dual_mov_b32 v16, v15
	v_dual_mov_b32 v12, 0 :: v_dual_mov_b32 v11, 0
	v_mov_b32_e32 v13, 0
	s_add_co_i32 s2, s5, 1
	s_mov_b64 s[0:1], 0xffffffffffffffe0
	s_and_b32 s6, s2, 30
	s_add_nc_u64 s[0:1], s[20:21], s[0:1]
	s_mov_b64 s[2:3], s[20:21]
.LBB157_133:                            ; =>This Inner Loop Header: Depth=1
	s_clause 0x1
	s_load_b128 s[16:19], s[2:3], 0x4
	s_load_b64 s[22:23], s[2:3], 0x14
	s_load_b256 s[8:15], s[0:1], 0xe4
	s_add_co_i32 s6, s6, -2
	s_wait_xcnt 0x0
	s_add_nc_u64 s[2:3], s[2:3], 24
	s_cmp_lg_u32 s6, 0
	s_add_nc_u64 s[0:1], s[0:1], 32
	s_wait_kmcnt 0x0
	v_mul_hi_u32 v17, s17, v16
	s_delay_alu instid0(VALU_DEP_1) | instskip(NEXT) | instid1(VALU_DEP_1)
	v_add_nc_u32_e32 v17, v16, v17
	v_lshrrev_b32_e32 v17, s18, v17
	s_delay_alu instid0(VALU_DEP_1) | instskip(SKIP_1) | instid1(VALU_DEP_1)
	v_mul_hi_u32 v18, s22, v17
	v_mul_lo_u32 v19, v17, s16
	v_dual_add_nc_u32 v18, v17, v18 :: v_dual_sub_nc_u32 v19, v16, v19
	s_delay_alu instid0(VALU_DEP_1) | instskip(NEXT) | instid1(VALU_DEP_2)
	v_lshrrev_b32_e32 v16, s23, v18
	v_mad_u32 v13, v19, s9, v13
	v_mad_u32 v11, v19, s8, v11
	v_mad_u32 v12, v19, s11, v12
	v_mad_u32 v14, v19, s10, v14
	v_mul_lo_u32 v18, v16, s19
	s_delay_alu instid0(VALU_DEP_1) | instskip(NEXT) | instid1(VALU_DEP_1)
	v_sub_nc_u32_e32 v17, v17, v18
	v_mad_u32 v13, v17, s13, v13
	v_mad_u32 v11, v17, s12, v11
	;; [unrolled: 1-line block ×4, first 2 shown]
	s_cbranch_scc1 .LBB157_133
; %bb.134:
	s_bitcmp1_b32 s5, 0
	s_cselect_b32 s5, -1, 0
	s_delay_alu instid0(SALU_CYCLE_1)
	s_and_b32 vcc_lo, exec_lo, s5
	s_cbranch_vccnz .LBB157_137
; %bb.135:
	s_load_b96 s[12:14], s[2:3], 0x4
	s_load_b128 s[8:11], s[0:1], 0xe4
	s_wait_kmcnt 0x0
	v_mul_hi_u32 v17, s13, v16
	s_delay_alu instid0(VALU_DEP_1) | instskip(NEXT) | instid1(VALU_DEP_1)
	v_add_nc_u32_e32 v17, v16, v17
	v_lshrrev_b32_e32 v17, s14, v17
	s_delay_alu instid0(VALU_DEP_1) | instskip(NEXT) | instid1(VALU_DEP_1)
	v_mul_lo_u32 v17, v17, s12
	v_sub_nc_u32_e32 v16, v16, v17
	s_delay_alu instid0(VALU_DEP_1)
	v_mad_u32 v11, v16, s8, v11
	v_mad_u32 v13, v16, s9, v13
	;; [unrolled: 1-line block ×4, first 2 shown]
	s_and_not1_b32 vcc_lo, exec_lo, s4
	s_cbranch_vccz .LBB157_138
	s_branch .LBB157_141
.LBB157_136:
	s_mov_b32 s4, -1
                                        ; implicit-def: $vgpr13
                                        ; implicit-def: $vgpr11
                                        ; implicit-def: $vgpr12
                                        ; implicit-def: $vgpr14
.LBB157_137:
	s_delay_alu instid0(SALU_CYCLE_1)
	s_and_not1_b32 vcc_lo, exec_lo, s4
	s_cbranch_vccnz .LBB157_141
.LBB157_138:
	s_clause 0x1
	s_load_b96 s[4:6], s[20:21], 0x4
	s_load_b128 s[0:3], s[20:21], 0xc4
	s_cmp_lt_u32 s33, 2
	s_wait_kmcnt 0x0
	v_mul_hi_u32 v11, s5, v15
	s_delay_alu instid0(VALU_DEP_1) | instskip(NEXT) | instid1(VALU_DEP_1)
	v_add_nc_u32_e32 v11, v15, v11
	v_lshrrev_b32_e32 v16, s6, v11
	s_delay_alu instid0(VALU_DEP_1) | instskip(NEXT) | instid1(VALU_DEP_1)
	v_mul_lo_u32 v11, v16, s4
	v_sub_nc_u32_e32 v14, v15, v11
	s_delay_alu instid0(VALU_DEP_1)
	v_mul_lo_u32 v13, v14, s1
	v_mul_lo_u32 v11, v14, s0
	;; [unrolled: 1-line block ×4, first 2 shown]
	s_cbranch_scc1 .LBB157_141
; %bb.139:
	s_clause 0x1
	s_load_b96 s[4:6], s[20:21], 0x10
	s_load_b128 s[0:3], s[20:21], 0xd4
	s_wait_kmcnt 0x0
	v_mul_hi_u32 v15, s5, v16
	s_delay_alu instid0(VALU_DEP_1) | instskip(NEXT) | instid1(VALU_DEP_1)
	v_add_nc_u32_e32 v15, v16, v15
	v_lshrrev_b32_e32 v15, s6, v15
	s_delay_alu instid0(VALU_DEP_1) | instskip(NEXT) | instid1(VALU_DEP_1)
	v_mul_lo_u32 v15, v15, s4
	v_sub_nc_u32_e32 v15, v16, v15
	s_delay_alu instid0(VALU_DEP_1)
	v_mad_u32 v11, v15, s0, v11
	v_mad_u32 v13, v15, s1, v13
	;; [unrolled: 1-line block ×4, first 2 shown]
	s_branch .LBB157_141
.LBB157_140:
	v_dual_mov_b32 v13, 0 :: v_dual_mov_b32 v11, 0
	v_dual_mov_b32 v12, 0 :: v_dual_mov_b32 v14, 0
	s_and_not1_b32 vcc_lo, exec_lo, s4
	s_cbranch_vccz .LBB157_138
.LBB157_141:
	v_cmp_ne_u32_e32 vcc_lo, 1, v10
	v_add_nc_u32_e32 v19, 0x180, v0
	s_cbranch_vccnz .LBB157_147
; %bb.142:
	s_cmp_lg_u32 s33, 0
	s_mov_b32 s4, 0
	s_cbranch_scc0 .LBB157_151
; %bb.143:
	s_min_u32 s5, s34, 15
	v_dual_mov_b32 v18, 0 :: v_dual_mov_b32 v20, v19
	v_dual_mov_b32 v16, 0 :: v_dual_mov_b32 v15, 0
	v_mov_b32_e32 v17, 0
	s_add_co_i32 s2, s5, 1
	s_mov_b64 s[0:1], 0xffffffffffffffe0
	s_and_b32 s6, s2, 30
	s_add_nc_u64 s[0:1], s[20:21], s[0:1]
	s_mov_b64 s[2:3], s[20:21]
.LBB157_144:                            ; =>This Inner Loop Header: Depth=1
	s_clause 0x1
	s_load_b128 s[16:19], s[2:3], 0x4
	s_load_b64 s[22:23], s[2:3], 0x14
	s_load_b256 s[8:15], s[0:1], 0xe4
	s_add_co_i32 s6, s6, -2
	s_wait_xcnt 0x0
	s_add_nc_u64 s[2:3], s[2:3], 24
	s_cmp_lg_u32 s6, 0
	s_add_nc_u64 s[0:1], s[0:1], 32
	s_wait_kmcnt 0x0
	v_mul_hi_u32 v21, s17, v20
	s_delay_alu instid0(VALU_DEP_1) | instskip(NEXT) | instid1(VALU_DEP_1)
	v_add_nc_u32_e32 v21, v20, v21
	v_lshrrev_b32_e32 v21, s18, v21
	s_delay_alu instid0(VALU_DEP_1) | instskip(SKIP_1) | instid1(VALU_DEP_1)
	v_mul_hi_u32 v22, s22, v21
	v_mul_lo_u32 v23, v21, s16
	v_dual_add_nc_u32 v22, v21, v22 :: v_dual_sub_nc_u32 v23, v20, v23
	s_delay_alu instid0(VALU_DEP_1) | instskip(NEXT) | instid1(VALU_DEP_2)
	v_lshrrev_b32_e32 v20, s23, v22
	v_mad_u32 v17, v23, s9, v17
	v_mad_u32 v15, v23, s8, v15
	;; [unrolled: 1-line block ×4, first 2 shown]
	v_mul_lo_u32 v22, v20, s19
	s_delay_alu instid0(VALU_DEP_1) | instskip(NEXT) | instid1(VALU_DEP_1)
	v_sub_nc_u32_e32 v21, v21, v22
	v_mad_u32 v17, v21, s13, v17
	v_mad_u32 v15, v21, s12, v15
	;; [unrolled: 1-line block ×4, first 2 shown]
	s_cbranch_scc1 .LBB157_144
; %bb.145:
	s_bitcmp1_b32 s5, 0
	s_cselect_b32 s5, -1, 0
	s_delay_alu instid0(SALU_CYCLE_1)
	s_and_b32 vcc_lo, exec_lo, s5
	s_cbranch_vccnz .LBB157_148
; %bb.146:
	s_load_b96 s[12:14], s[2:3], 0x4
	s_load_b128 s[8:11], s[0:1], 0xe4
	s_wait_kmcnt 0x0
	v_mul_hi_u32 v21, s13, v20
	s_delay_alu instid0(VALU_DEP_1) | instskip(NEXT) | instid1(VALU_DEP_1)
	v_add_nc_u32_e32 v21, v20, v21
	v_lshrrev_b32_e32 v21, s14, v21
	s_delay_alu instid0(VALU_DEP_1) | instskip(NEXT) | instid1(VALU_DEP_1)
	v_mul_lo_u32 v21, v21, s12
	v_sub_nc_u32_e32 v20, v20, v21
	s_delay_alu instid0(VALU_DEP_1)
	v_mad_u32 v15, v20, s8, v15
	v_mad_u32 v17, v20, s9, v17
	v_mad_u32 v18, v20, s10, v18
	v_mad_u32 v16, v20, s11, v16
	s_and_not1_b32 vcc_lo, exec_lo, s4
	s_cbranch_vccz .LBB157_149
	s_branch .LBB157_152
.LBB157_147:
	s_mov_b32 s4, -1
                                        ; implicit-def: $vgpr17
                                        ; implicit-def: $vgpr15
                                        ; implicit-def: $vgpr16
                                        ; implicit-def: $vgpr18
.LBB157_148:
	s_delay_alu instid0(SALU_CYCLE_1)
	s_and_not1_b32 vcc_lo, exec_lo, s4
	s_cbranch_vccnz .LBB157_152
.LBB157_149:
	s_clause 0x1
	s_load_b96 s[4:6], s[20:21], 0x4
	s_load_b128 s[0:3], s[20:21], 0xc4
	s_cmp_lt_u32 s33, 2
	s_wait_kmcnt 0x0
	v_mul_hi_u32 v15, s5, v19
	s_delay_alu instid0(VALU_DEP_1) | instskip(NEXT) | instid1(VALU_DEP_1)
	v_add_nc_u32_e32 v15, v19, v15
	v_lshrrev_b32_e32 v20, s6, v15
	s_delay_alu instid0(VALU_DEP_1) | instskip(NEXT) | instid1(VALU_DEP_1)
	v_mul_lo_u32 v15, v20, s4
	v_sub_nc_u32_e32 v18, v19, v15
	s_delay_alu instid0(VALU_DEP_1)
	v_mul_lo_u32 v17, v18, s1
	v_mul_lo_u32 v15, v18, s0
	;; [unrolled: 1-line block ×4, first 2 shown]
	s_cbranch_scc1 .LBB157_152
; %bb.150:
	s_clause 0x1
	s_load_b96 s[4:6], s[20:21], 0x10
	s_load_b128 s[0:3], s[20:21], 0xd4
	s_wait_kmcnt 0x0
	v_mul_hi_u32 v19, s5, v20
	s_delay_alu instid0(VALU_DEP_1) | instskip(NEXT) | instid1(VALU_DEP_1)
	v_add_nc_u32_e32 v19, v20, v19
	v_lshrrev_b32_e32 v19, s6, v19
	s_delay_alu instid0(VALU_DEP_1) | instskip(NEXT) | instid1(VALU_DEP_1)
	v_mul_lo_u32 v19, v19, s4
	v_sub_nc_u32_e32 v19, v20, v19
	s_delay_alu instid0(VALU_DEP_1)
	v_mad_u32 v15, v19, s0, v15
	v_mad_u32 v17, v19, s1, v17
	v_mad_u32 v18, v19, s2, v18
	v_mad_u32 v16, v19, s3, v16
	s_branch .LBB157_152
.LBB157_151:
	v_dual_mov_b32 v17, 0 :: v_dual_mov_b32 v15, 0
	v_dual_mov_b32 v16, 0 :: v_dual_mov_b32 v18, 0
	s_and_not1_b32 vcc_lo, exec_lo, s4
	s_cbranch_vccz .LBB157_149
.LBB157_152:
	v_cmp_ne_u32_e32 vcc_lo, 1, v10
	v_add_nc_u32_e32 v23, 0x200, v0
	s_cbranch_vccnz .LBB157_158
; %bb.153:
	s_cmp_lg_u32 s33, 0
	s_mov_b32 s4, 0
	s_cbranch_scc0 .LBB157_162
; %bb.154:
	s_min_u32 s5, s34, 15
	v_dual_mov_b32 v22, 0 :: v_dual_mov_b32 v24, v23
	v_dual_mov_b32 v20, 0 :: v_dual_mov_b32 v19, 0
	v_mov_b32_e32 v21, 0
	s_add_co_i32 s2, s5, 1
	s_mov_b64 s[0:1], 0xffffffffffffffe0
	s_and_b32 s6, s2, 30
	s_add_nc_u64 s[0:1], s[20:21], s[0:1]
	s_mov_b64 s[2:3], s[20:21]
.LBB157_155:                            ; =>This Inner Loop Header: Depth=1
	s_clause 0x1
	s_load_b128 s[16:19], s[2:3], 0x4
	s_load_b64 s[22:23], s[2:3], 0x14
	s_load_b256 s[8:15], s[0:1], 0xe4
	s_add_co_i32 s6, s6, -2
	s_wait_xcnt 0x0
	s_add_nc_u64 s[2:3], s[2:3], 24
	s_cmp_lg_u32 s6, 0
	s_add_nc_u64 s[0:1], s[0:1], 32
	s_wait_kmcnt 0x0
	v_mul_hi_u32 v25, s17, v24
	s_delay_alu instid0(VALU_DEP_1) | instskip(NEXT) | instid1(VALU_DEP_1)
	v_add_nc_u32_e32 v25, v24, v25
	v_lshrrev_b32_e32 v25, s18, v25
	s_delay_alu instid0(VALU_DEP_1) | instskip(SKIP_1) | instid1(VALU_DEP_1)
	v_mul_hi_u32 v26, s22, v25
	v_mul_lo_u32 v27, v25, s16
	v_dual_add_nc_u32 v26, v25, v26 :: v_dual_sub_nc_u32 v27, v24, v27
	s_delay_alu instid0(VALU_DEP_1) | instskip(NEXT) | instid1(VALU_DEP_2)
	v_lshrrev_b32_e32 v24, s23, v26
	v_mad_u32 v21, v27, s9, v21
	v_mad_u32 v19, v27, s8, v19
	;; [unrolled: 1-line block ×4, first 2 shown]
	v_mul_lo_u32 v26, v24, s19
	s_delay_alu instid0(VALU_DEP_1) | instskip(NEXT) | instid1(VALU_DEP_1)
	v_sub_nc_u32_e32 v25, v25, v26
	v_mad_u32 v21, v25, s13, v21
	v_mad_u32 v19, v25, s12, v19
	;; [unrolled: 1-line block ×4, first 2 shown]
	s_cbranch_scc1 .LBB157_155
; %bb.156:
	s_bitcmp1_b32 s5, 0
	s_cselect_b32 s5, -1, 0
	s_delay_alu instid0(SALU_CYCLE_1)
	s_and_b32 vcc_lo, exec_lo, s5
	s_cbranch_vccnz .LBB157_159
; %bb.157:
	s_load_b96 s[12:14], s[2:3], 0x4
	s_load_b128 s[8:11], s[0:1], 0xe4
	s_wait_kmcnt 0x0
	v_mul_hi_u32 v25, s13, v24
	s_delay_alu instid0(VALU_DEP_1) | instskip(NEXT) | instid1(VALU_DEP_1)
	v_add_nc_u32_e32 v25, v24, v25
	v_lshrrev_b32_e32 v25, s14, v25
	s_delay_alu instid0(VALU_DEP_1) | instskip(NEXT) | instid1(VALU_DEP_1)
	v_mul_lo_u32 v25, v25, s12
	v_sub_nc_u32_e32 v24, v24, v25
	s_delay_alu instid0(VALU_DEP_1)
	v_mad_u32 v19, v24, s8, v19
	v_mad_u32 v21, v24, s9, v21
	;; [unrolled: 1-line block ×4, first 2 shown]
	s_and_not1_b32 vcc_lo, exec_lo, s4
	s_cbranch_vccz .LBB157_160
	s_branch .LBB157_163
.LBB157_158:
	s_mov_b32 s4, -1
                                        ; implicit-def: $vgpr21
                                        ; implicit-def: $vgpr19
                                        ; implicit-def: $vgpr20
                                        ; implicit-def: $vgpr22
.LBB157_159:
	s_delay_alu instid0(SALU_CYCLE_1)
	s_and_not1_b32 vcc_lo, exec_lo, s4
	s_cbranch_vccnz .LBB157_163
.LBB157_160:
	s_clause 0x1
	s_load_b96 s[4:6], s[20:21], 0x4
	s_load_b128 s[0:3], s[20:21], 0xc4
	s_cmp_lt_u32 s33, 2
	s_wait_kmcnt 0x0
	v_mul_hi_u32 v19, s5, v23
	s_delay_alu instid0(VALU_DEP_1) | instskip(NEXT) | instid1(VALU_DEP_1)
	v_add_nc_u32_e32 v19, v23, v19
	v_lshrrev_b32_e32 v24, s6, v19
	s_delay_alu instid0(VALU_DEP_1) | instskip(NEXT) | instid1(VALU_DEP_1)
	v_mul_lo_u32 v19, v24, s4
	v_sub_nc_u32_e32 v22, v23, v19
	s_delay_alu instid0(VALU_DEP_1)
	v_mul_lo_u32 v21, v22, s1
	v_mul_lo_u32 v19, v22, s0
	v_mul_lo_u32 v20, v22, s3
	v_mul_lo_u32 v22, v22, s2
	s_cbranch_scc1 .LBB157_163
; %bb.161:
	s_clause 0x1
	s_load_b96 s[4:6], s[20:21], 0x10
	s_load_b128 s[0:3], s[20:21], 0xd4
	s_wait_kmcnt 0x0
	v_mul_hi_u32 v23, s5, v24
	s_delay_alu instid0(VALU_DEP_1) | instskip(NEXT) | instid1(VALU_DEP_1)
	v_add_nc_u32_e32 v23, v24, v23
	v_lshrrev_b32_e32 v23, s6, v23
	s_delay_alu instid0(VALU_DEP_1) | instskip(NEXT) | instid1(VALU_DEP_1)
	v_mul_lo_u32 v23, v23, s4
	v_sub_nc_u32_e32 v23, v24, v23
	s_delay_alu instid0(VALU_DEP_1)
	v_mad_u32 v19, v23, s0, v19
	v_mad_u32 v21, v23, s1, v21
	;; [unrolled: 1-line block ×4, first 2 shown]
	s_branch .LBB157_163
.LBB157_162:
	v_dual_mov_b32 v21, 0 :: v_dual_mov_b32 v19, 0
	v_dual_mov_b32 v20, 0 :: v_dual_mov_b32 v22, 0
	s_and_not1_b32 vcc_lo, exec_lo, s4
	s_cbranch_vccz .LBB157_160
.LBB157_163:
	v_cmp_ne_u32_e32 vcc_lo, 1, v10
	v_add_nc_u32_e32 v27, 0x280, v0
	s_cbranch_vccnz .LBB157_169
; %bb.164:
	s_cmp_lg_u32 s33, 0
	s_mov_b32 s4, 0
	s_cbranch_scc0 .LBB157_173
; %bb.165:
	s_min_u32 s5, s34, 15
	v_dual_mov_b32 v25, 0 :: v_dual_mov_b32 v28, v27
	v_dual_mov_b32 v24, 0 :: v_dual_mov_b32 v23, 0
	v_mov_b32_e32 v26, 0
	s_add_co_i32 s2, s5, 1
	s_mov_b64 s[0:1], 0xffffffffffffffe0
	s_and_b32 s6, s2, 30
	s_add_nc_u64 s[0:1], s[20:21], s[0:1]
	s_mov_b64 s[2:3], s[20:21]
.LBB157_166:                            ; =>This Inner Loop Header: Depth=1
	s_clause 0x1
	s_load_b128 s[16:19], s[2:3], 0x4
	s_load_b64 s[22:23], s[2:3], 0x14
	s_load_b256 s[8:15], s[0:1], 0xe4
	s_add_co_i32 s6, s6, -2
	s_wait_xcnt 0x0
	s_add_nc_u64 s[2:3], s[2:3], 24
	s_cmp_lg_u32 s6, 0
	s_add_nc_u64 s[0:1], s[0:1], 32
	s_wait_kmcnt 0x0
	v_mul_hi_u32 v29, s17, v28
	s_delay_alu instid0(VALU_DEP_1) | instskip(NEXT) | instid1(VALU_DEP_1)
	v_add_nc_u32_e32 v29, v28, v29
	v_lshrrev_b32_e32 v29, s18, v29
	s_delay_alu instid0(VALU_DEP_1) | instskip(SKIP_1) | instid1(VALU_DEP_1)
	v_mul_hi_u32 v30, s22, v29
	v_mul_lo_u32 v31, v29, s16
	v_dual_add_nc_u32 v30, v29, v30 :: v_dual_sub_nc_u32 v31, v28, v31
	s_delay_alu instid0(VALU_DEP_1) | instskip(NEXT) | instid1(VALU_DEP_2)
	v_lshrrev_b32_e32 v28, s23, v30
	v_mad_u32 v26, v31, s9, v26
	v_mad_u32 v23, v31, s8, v23
	;; [unrolled: 1-line block ×4, first 2 shown]
	v_mul_lo_u32 v30, v28, s19
	s_delay_alu instid0(VALU_DEP_1) | instskip(NEXT) | instid1(VALU_DEP_1)
	v_sub_nc_u32_e32 v29, v29, v30
	v_mad_u32 v26, v29, s13, v26
	v_mad_u32 v23, v29, s12, v23
	;; [unrolled: 1-line block ×4, first 2 shown]
	s_cbranch_scc1 .LBB157_166
; %bb.167:
	s_bitcmp1_b32 s5, 0
	s_cselect_b32 s5, -1, 0
	s_delay_alu instid0(SALU_CYCLE_1)
	s_and_b32 vcc_lo, exec_lo, s5
	s_cbranch_vccnz .LBB157_170
; %bb.168:
	s_load_b96 s[12:14], s[2:3], 0x4
	s_load_b128 s[8:11], s[0:1], 0xe4
	s_wait_kmcnt 0x0
	v_mul_hi_u32 v29, s13, v28
	s_delay_alu instid0(VALU_DEP_1) | instskip(NEXT) | instid1(VALU_DEP_1)
	v_add_nc_u32_e32 v29, v28, v29
	v_lshrrev_b32_e32 v29, s14, v29
	s_delay_alu instid0(VALU_DEP_1) | instskip(NEXT) | instid1(VALU_DEP_1)
	v_mul_lo_u32 v29, v29, s12
	v_sub_nc_u32_e32 v28, v28, v29
	s_delay_alu instid0(VALU_DEP_1)
	v_mad_u32 v23, v28, s8, v23
	v_mad_u32 v26, v28, s9, v26
	;; [unrolled: 1-line block ×4, first 2 shown]
	s_and_not1_b32 vcc_lo, exec_lo, s4
	s_cbranch_vccz .LBB157_171
	s_branch .LBB157_174
.LBB157_169:
	s_mov_b32 s4, -1
                                        ; implicit-def: $vgpr26
                                        ; implicit-def: $vgpr23
                                        ; implicit-def: $vgpr24
                                        ; implicit-def: $vgpr25
.LBB157_170:
	s_delay_alu instid0(SALU_CYCLE_1)
	s_and_not1_b32 vcc_lo, exec_lo, s4
	s_cbranch_vccnz .LBB157_174
.LBB157_171:
	s_clause 0x1
	s_load_b96 s[4:6], s[20:21], 0x4
	s_load_b128 s[0:3], s[20:21], 0xc4
	s_cmp_lt_u32 s33, 2
	s_wait_kmcnt 0x0
	v_mul_hi_u32 v23, s5, v27
	s_delay_alu instid0(VALU_DEP_1) | instskip(NEXT) | instid1(VALU_DEP_1)
	v_add_nc_u32_e32 v23, v27, v23
	v_lshrrev_b32_e32 v28, s6, v23
	s_delay_alu instid0(VALU_DEP_1) | instskip(NEXT) | instid1(VALU_DEP_1)
	v_mul_lo_u32 v23, v28, s4
	v_sub_nc_u32_e32 v25, v27, v23
	s_delay_alu instid0(VALU_DEP_1)
	v_mul_lo_u32 v26, v25, s1
	v_mul_lo_u32 v23, v25, s0
	;; [unrolled: 1-line block ×4, first 2 shown]
	s_cbranch_scc1 .LBB157_174
; %bb.172:
	s_clause 0x1
	s_load_b96 s[4:6], s[20:21], 0x10
	s_load_b128 s[0:3], s[20:21], 0xd4
	s_wait_kmcnt 0x0
	v_mul_hi_u32 v27, s5, v28
	s_delay_alu instid0(VALU_DEP_1) | instskip(NEXT) | instid1(VALU_DEP_1)
	v_add_nc_u32_e32 v27, v28, v27
	v_lshrrev_b32_e32 v27, s6, v27
	s_delay_alu instid0(VALU_DEP_1) | instskip(NEXT) | instid1(VALU_DEP_1)
	v_mul_lo_u32 v27, v27, s4
	v_sub_nc_u32_e32 v27, v28, v27
	s_delay_alu instid0(VALU_DEP_1)
	v_mad_u32 v23, v27, s0, v23
	v_mad_u32 v26, v27, s1, v26
	;; [unrolled: 1-line block ×4, first 2 shown]
	s_branch .LBB157_174
.LBB157_173:
	v_dual_mov_b32 v26, 0 :: v_dual_mov_b32 v23, 0
	v_dual_mov_b32 v24, 0 :: v_dual_mov_b32 v25, 0
	s_and_not1_b32 vcc_lo, exec_lo, s4
	s_cbranch_vccz .LBB157_171
.LBB157_174:
	v_cmp_ne_u32_e32 vcc_lo, 1, v10
	v_add_nc_u32_e32 v30, 0x300, v0
	s_cbranch_vccnz .LBB157_180
; %bb.175:
	s_cmp_lg_u32 s33, 0
	s_mov_b32 s4, 0
	s_cbranch_scc0 .LBB157_184
; %bb.176:
	s_min_u32 s5, s34, 15
	v_dual_mov_b32 v29, 0 :: v_dual_mov_b32 v31, v30
	v_dual_mov_b32 v27, 0 :: v_dual_mov_b32 v0, 0
	v_mov_b32_e32 v28, 0
	s_add_co_i32 s2, s5, 1
	s_mov_b64 s[0:1], 0xffffffffffffffe0
	s_and_b32 s6, s2, 30
	s_add_nc_u64 s[0:1], s[20:21], s[0:1]
	s_mov_b64 s[2:3], s[20:21]
.LBB157_177:                            ; =>This Inner Loop Header: Depth=1
	s_clause 0x1
	s_load_b128 s[16:19], s[2:3], 0x4
	s_load_b64 s[22:23], s[2:3], 0x14
	s_load_b256 s[8:15], s[0:1], 0xe4
	s_add_co_i32 s6, s6, -2
	s_wait_xcnt 0x0
	s_add_nc_u64 s[2:3], s[2:3], 24
	s_cmp_lg_u32 s6, 0
	s_add_nc_u64 s[0:1], s[0:1], 32
	s_wait_kmcnt 0x0
	v_mul_hi_u32 v32, s17, v31
	s_delay_alu instid0(VALU_DEP_1) | instskip(NEXT) | instid1(VALU_DEP_1)
	v_add_nc_u32_e32 v32, v31, v32
	v_lshrrev_b32_e32 v32, s18, v32
	s_delay_alu instid0(VALU_DEP_1) | instskip(SKIP_1) | instid1(VALU_DEP_1)
	v_mul_hi_u32 v33, s22, v32
	v_mul_lo_u32 v34, v32, s16
	v_dual_add_nc_u32 v33, v32, v33 :: v_dual_sub_nc_u32 v34, v31, v34
	s_delay_alu instid0(VALU_DEP_1) | instskip(NEXT) | instid1(VALU_DEP_2)
	v_lshrrev_b32_e32 v31, s23, v33
	v_mad_u32 v28, v34, s9, v28
	v_mad_u32 v0, v34, s8, v0
	;; [unrolled: 1-line block ×4, first 2 shown]
	v_mul_lo_u32 v33, v31, s19
	s_delay_alu instid0(VALU_DEP_1) | instskip(NEXT) | instid1(VALU_DEP_1)
	v_sub_nc_u32_e32 v32, v32, v33
	v_mad_u32 v28, v32, s13, v28
	v_mad_u32 v0, v32, s12, v0
	;; [unrolled: 1-line block ×4, first 2 shown]
	s_cbranch_scc1 .LBB157_177
; %bb.178:
	s_bitcmp1_b32 s5, 0
	s_cselect_b32 s5, -1, 0
	s_delay_alu instid0(SALU_CYCLE_1)
	s_and_b32 vcc_lo, exec_lo, s5
	s_cbranch_vccnz .LBB157_181
; %bb.179:
	s_load_b96 s[12:14], s[2:3], 0x4
	s_load_b128 s[8:11], s[0:1], 0xe4
	s_wait_kmcnt 0x0
	v_mul_hi_u32 v32, s13, v31
	s_delay_alu instid0(VALU_DEP_1) | instskip(NEXT) | instid1(VALU_DEP_1)
	v_add_nc_u32_e32 v32, v31, v32
	v_lshrrev_b32_e32 v32, s14, v32
	s_delay_alu instid0(VALU_DEP_1) | instskip(NEXT) | instid1(VALU_DEP_1)
	v_mul_lo_u32 v32, v32, s12
	v_sub_nc_u32_e32 v31, v31, v32
	s_delay_alu instid0(VALU_DEP_1)
	v_mad_u32 v0, v31, s8, v0
	v_mad_u32 v28, v31, s9, v28
	;; [unrolled: 1-line block ×4, first 2 shown]
	s_and_not1_b32 vcc_lo, exec_lo, s4
	s_cbranch_vccz .LBB157_182
	s_branch .LBB157_185
.LBB157_180:
	s_mov_b32 s4, -1
                                        ; implicit-def: $vgpr28
                                        ; implicit-def: $vgpr0
                                        ; implicit-def: $vgpr27
                                        ; implicit-def: $vgpr29
.LBB157_181:
	s_delay_alu instid0(SALU_CYCLE_1)
	s_and_not1_b32 vcc_lo, exec_lo, s4
	s_cbranch_vccnz .LBB157_185
.LBB157_182:
	s_clause 0x1
	s_load_b96 s[4:6], s[20:21], 0x4
	s_load_b128 s[0:3], s[20:21], 0xc4
	s_cmp_lt_u32 s33, 2
	s_wait_kmcnt 0x0
	v_mul_hi_u32 v0, s5, v30
	s_delay_alu instid0(VALU_DEP_1) | instskip(NEXT) | instid1(VALU_DEP_1)
	v_add_nc_u32_e32 v0, v30, v0
	v_lshrrev_b32_e32 v31, s6, v0
	s_delay_alu instid0(VALU_DEP_1) | instskip(NEXT) | instid1(VALU_DEP_1)
	v_mul_lo_u32 v0, v31, s4
	v_sub_nc_u32_e32 v29, v30, v0
	s_delay_alu instid0(VALU_DEP_1)
	v_mul_lo_u32 v28, v29, s1
	v_mul_lo_u32 v0, v29, s0
	;; [unrolled: 1-line block ×4, first 2 shown]
	s_cbranch_scc1 .LBB157_185
; %bb.183:
	s_clause 0x1
	s_load_b96 s[4:6], s[20:21], 0x10
	s_load_b128 s[0:3], s[20:21], 0xd4
	s_wait_kmcnt 0x0
	v_mul_hi_u32 v30, s5, v31
	s_delay_alu instid0(VALU_DEP_1) | instskip(NEXT) | instid1(VALU_DEP_1)
	v_add_nc_u32_e32 v30, v31, v30
	v_lshrrev_b32_e32 v30, s6, v30
	s_delay_alu instid0(VALU_DEP_1) | instskip(NEXT) | instid1(VALU_DEP_1)
	v_mul_lo_u32 v30, v30, s4
	v_sub_nc_u32_e32 v30, v31, v30
	s_delay_alu instid0(VALU_DEP_1)
	v_mad_u32 v0, v30, s0, v0
	v_mad_u32 v28, v30, s1, v28
	;; [unrolled: 1-line block ×4, first 2 shown]
	s_branch .LBB157_185
.LBB157_184:
	v_dual_mov_b32 v28, 0 :: v_dual_mov_b32 v0, 0
	v_dual_mov_b32 v27, 0 :: v_dual_mov_b32 v29, 0
	s_and_not1_b32 vcc_lo, exec_lo, s4
	s_cbranch_vccz .LBB157_182
.LBB157_185:
	v_cmp_ne_u32_e32 vcc_lo, 1, v10
	s_cbranch_vccnz .LBB157_191
; %bb.186:
	s_cmp_lg_u32 s33, 0
	s_mov_b32 s4, 0
	s_cbranch_scc0 .LBB157_195
; %bb.187:
	s_min_u32 s5, s34, 15
	v_dual_mov_b32 v31, 0 :: v_dual_mov_b32 v33, v5
	v_dual_mov_b32 v30, 0 :: v_dual_mov_b32 v10, 0
	v_mov_b32_e32 v32, 0
	s_add_co_i32 s2, s5, 1
	s_mov_b64 s[0:1], 0xffffffffffffffe0
	s_and_b32 s6, s2, 30
	s_add_nc_u64 s[0:1], s[20:21], s[0:1]
	s_mov_b64 s[2:3], s[20:21]
.LBB157_188:                            ; =>This Inner Loop Header: Depth=1
	s_clause 0x1
	s_load_b128 s[16:19], s[2:3], 0x4
	s_load_b64 s[22:23], s[2:3], 0x14
	s_load_b256 s[8:15], s[0:1], 0xe4
	s_add_co_i32 s6, s6, -2
	s_wait_xcnt 0x0
	s_add_nc_u64 s[2:3], s[2:3], 24
	s_cmp_lg_u32 s6, 0
	s_add_nc_u64 s[0:1], s[0:1], 32
	s_wait_kmcnt 0x0
	v_mul_hi_u32 v34, s17, v33
	s_delay_alu instid0(VALU_DEP_1) | instskip(NEXT) | instid1(VALU_DEP_1)
	v_add_nc_u32_e32 v34, v33, v34
	v_lshrrev_b32_e32 v34, s18, v34
	s_delay_alu instid0(VALU_DEP_1) | instskip(SKIP_1) | instid1(VALU_DEP_1)
	v_mul_hi_u32 v35, s22, v34
	v_mul_lo_u32 v36, v34, s16
	v_dual_add_nc_u32 v35, v34, v35 :: v_dual_sub_nc_u32 v36, v33, v36
	s_delay_alu instid0(VALU_DEP_1) | instskip(NEXT) | instid1(VALU_DEP_2)
	v_lshrrev_b32_e32 v33, s23, v35
	v_mad_u32 v32, v36, s9, v32
	v_mad_u32 v10, v36, s8, v10
	;; [unrolled: 1-line block ×4, first 2 shown]
	v_mul_lo_u32 v35, v33, s19
	s_delay_alu instid0(VALU_DEP_1) | instskip(NEXT) | instid1(VALU_DEP_1)
	v_sub_nc_u32_e32 v34, v34, v35
	v_mad_u32 v32, v34, s13, v32
	v_mad_u32 v10, v34, s12, v10
	;; [unrolled: 1-line block ×4, first 2 shown]
	s_cbranch_scc1 .LBB157_188
; %bb.189:
	s_bitcmp1_b32 s5, 0
	s_cselect_b32 s5, -1, 0
	s_delay_alu instid0(SALU_CYCLE_1)
	s_and_b32 vcc_lo, exec_lo, s5
	s_cbranch_vccnz .LBB157_192
; %bb.190:
	s_load_b96 s[12:14], s[2:3], 0x4
	s_load_b128 s[8:11], s[0:1], 0xe4
	s_wait_kmcnt 0x0
	v_mul_hi_u32 v34, s13, v33
	s_delay_alu instid0(VALU_DEP_1) | instskip(NEXT) | instid1(VALU_DEP_1)
	v_add_nc_u32_e32 v34, v33, v34
	v_lshrrev_b32_e32 v34, s14, v34
	s_delay_alu instid0(VALU_DEP_1) | instskip(NEXT) | instid1(VALU_DEP_1)
	v_mul_lo_u32 v34, v34, s12
	v_sub_nc_u32_e32 v33, v33, v34
	s_delay_alu instid0(VALU_DEP_1)
	v_mad_u32 v10, v33, s8, v10
	v_mad_u32 v32, v33, s9, v32
	;; [unrolled: 1-line block ×4, first 2 shown]
	s_and_not1_b32 vcc_lo, exec_lo, s4
	s_cbranch_vccz .LBB157_193
	s_branch .LBB157_196
.LBB157_191:
	s_mov_b32 s4, -1
                                        ; implicit-def: $vgpr32
                                        ; implicit-def: $vgpr10
                                        ; implicit-def: $vgpr30
                                        ; implicit-def: $vgpr31
.LBB157_192:
	s_delay_alu instid0(SALU_CYCLE_1)
	s_and_not1_b32 vcc_lo, exec_lo, s4
	s_cbranch_vccnz .LBB157_196
.LBB157_193:
	s_clause 0x1
	s_load_b96 s[4:6], s[20:21], 0x4
	s_load_b128 s[0:3], s[20:21], 0xc4
	s_cmp_lt_u32 s33, 2
	s_wait_kmcnt 0x0
	v_mul_hi_u32 v10, s5, v5
	s_delay_alu instid0(VALU_DEP_1) | instskip(NEXT) | instid1(VALU_DEP_1)
	v_add_nc_u32_e32 v10, v5, v10
	v_lshrrev_b32_e32 v33, s6, v10
	s_delay_alu instid0(VALU_DEP_1) | instskip(NEXT) | instid1(VALU_DEP_1)
	v_mul_lo_u32 v10, v33, s4
	v_sub_nc_u32_e32 v5, v5, v10
	s_delay_alu instid0(VALU_DEP_1)
	v_mul_lo_u32 v32, v5, s1
	v_mul_lo_u32 v10, v5, s0
	;; [unrolled: 1-line block ×4, first 2 shown]
	s_cbranch_scc1 .LBB157_196
; %bb.194:
	s_clause 0x1
	s_load_b96 s[4:6], s[20:21], 0x10
	s_load_b128 s[0:3], s[20:21], 0xd4
	s_wait_kmcnt 0x0
	v_mul_hi_u32 v5, s5, v33
	s_delay_alu instid0(VALU_DEP_1) | instskip(NEXT) | instid1(VALU_DEP_1)
	v_add_nc_u32_e32 v5, v33, v5
	v_lshrrev_b32_e32 v5, s6, v5
	s_delay_alu instid0(VALU_DEP_1) | instskip(NEXT) | instid1(VALU_DEP_1)
	v_mul_lo_u32 v5, v5, s4
	v_sub_nc_u32_e32 v5, v33, v5
	s_delay_alu instid0(VALU_DEP_1)
	v_mad_u32 v10, v5, s0, v10
	v_mad_u32 v32, v5, s1, v32
	;; [unrolled: 1-line block ×4, first 2 shown]
	s_branch .LBB157_196
.LBB157_195:
	v_dual_mov_b32 v32, 0 :: v_dual_mov_b32 v10, 0
	v_dual_mov_b32 v30, 0 :: v_dual_mov_b32 v31, 0
	s_and_not1_b32 vcc_lo, exec_lo, s4
	s_cbranch_vccz .LBB157_193
.LBB157_196:
	s_load_b256 s[0:7], s[20:21], 0x1c8
	s_wait_kmcnt 0x0
	global_load_u16 v5, v3, s[2:3]
	global_load_u16 v33, v4, s[4:5]
	;; [unrolled: 1-line block ×15, first 2 shown]
                                        ; kill: killed $vgpr29
                                        ; kill: killed $vgpr26
                                        ; kill: killed $vgpr14
                                        ; kill: killed $vgpr9
                                        ; kill: killed $vgpr28
                                        ; kill: killed $vgpr18
                                        ; kill: killed $vgpr13
                                        ; kill: killed $sgpr2_sgpr3
                                        ; kill: killed $vgpr32
                                        ; kill: killed $vgpr22
                                        ; kill: killed $vgpr17
                                        ; kill: killed $vgpr4
                                        ; kill: killed $vgpr25
                                        ; kill: killed $vgpr21
                                        ; kill: killed $vgpr8
                                        ; kill: killed $vgpr3
	global_load_u16 v3, v31, s[4:5]
	s_clause 0x7
	global_load_u16 v4, v2, s[6:7]
	global_load_u16 v8, v7, s[6:7]
	;; [unrolled: 1-line block ×8, first 2 shown]
	s_wait_loadcnt 0x16
	v_cmp_gt_f16_e32 vcc_lo, v5, v33
	s_wait_xcnt 0x7
	v_cndmask_b32_e32 v2, v33, v5, vcc_lo
	s_wait_loadcnt 0x14
	v_cmp_gt_f16_e32 vcc_lo, v34, v35
	s_wait_xcnt 0x6
	v_cndmask_b32_e32 v7, v35, v34, vcc_lo
	s_wait_loadcnt 0x12
	v_cmp_gt_f16_e32 vcc_lo, v36, v37
	s_wait_xcnt 0x5
	v_cndmask_b32_e32 v12, v37, v36, vcc_lo
	s_wait_loadcnt 0x10
	v_cmp_gt_f16_e32 vcc_lo, v38, v39
	s_wait_xcnt 0x4
	v_cndmask_b32_e32 v16, v39, v38, vcc_lo
	s_wait_loadcnt 0xe
	v_cmp_gt_f16_e32 vcc_lo, v40, v41
	s_wait_xcnt 0x3
	v_cndmask_b32_e32 v20, v41, v40, vcc_lo
	s_wait_loadcnt 0xc
	v_cmp_gt_f16_e32 vcc_lo, v42, v43
	v_cndmask_b32_e32 v22, v43, v42, vcc_lo
	s_wait_loadcnt 0xa
	v_cmp_gt_f16_e32 vcc_lo, v44, v45
	s_wait_xcnt 0x2
	v_cndmask_b32_e32 v24, v45, v44, vcc_lo
	s_wait_loadcnt 0x8
	v_cmp_gt_f16_e32 vcc_lo, v46, v3
	v_cndmask_b32_e32 v25, v3, v46, vcc_lo
	s_wait_loadcnt 0x7
	v_cmp_lt_f16_e32 vcc_lo, v2, v4
	v_cndmask_b32_e32 v2, v4, v2, vcc_lo
	s_wait_loadcnt 0x6
	v_cmp_lt_f16_e32 vcc_lo, v7, v8
	;; [unrolled: 3-line block ×8, first 2 shown]
	v_cndmask_b32_e32 v25, v21, v25, vcc_lo
	v_cmp_u_f16_e32 vcc_lo, v4, v4
	v_cndmask_b32_e32 v2, v2, v4, vcc_lo
	v_cmp_u_f16_e32 vcc_lo, v8, v8
	;; [unrolled: 2-line block ×24, first 2 shown]
	v_cndmask_b32_e32 v3, v3, v46, vcc_lo
	s_clause 0x7
	global_store_b16 v1, v2, s[0:1]
	global_store_b16 v6, v4, s[0:1]
	;; [unrolled: 1-line block ×8, first 2 shown]
	s_endpgm
	.section	.rodata,"a",@progbits
	.p2align	6, 0x0
	.amdhsa_kernel _ZN2at6native32elementwise_kernel_manual_unrollILi128ELi8EZNS0_22gpu_kernel_impl_nocastIZZZNS0_12_GLOBAL__N_117clamp_kernel_implERNS_18TensorIteratorBaseEENKUlvE_clEvENKUlvE6_clEvEUlN3c104HalfES9_S9_E_EEvS5_RKT_EUlibE_EEviT1_
		.amdhsa_group_segment_fixed_size 0
		.amdhsa_private_segment_fixed_size 0
		.amdhsa_kernarg_size 504
		.amdhsa_user_sgpr_count 2
		.amdhsa_user_sgpr_dispatch_ptr 0
		.amdhsa_user_sgpr_queue_ptr 0
		.amdhsa_user_sgpr_kernarg_segment_ptr 1
		.amdhsa_user_sgpr_dispatch_id 0
		.amdhsa_user_sgpr_kernarg_preload_length 0
		.amdhsa_user_sgpr_kernarg_preload_offset 0
		.amdhsa_user_sgpr_private_segment_size 0
		.amdhsa_wavefront_size32 1
		.amdhsa_uses_dynamic_stack 0
		.amdhsa_enable_private_segment 0
		.amdhsa_system_sgpr_workgroup_id_x 1
		.amdhsa_system_sgpr_workgroup_id_y 0
		.amdhsa_system_sgpr_workgroup_id_z 0
		.amdhsa_system_sgpr_workgroup_info 0
		.amdhsa_system_vgpr_workitem_id 0
		.amdhsa_next_free_vgpr 47
		.amdhsa_next_free_sgpr 56
		.amdhsa_named_barrier_count 0
		.amdhsa_reserve_vcc 1
		.amdhsa_float_round_mode_32 0
		.amdhsa_float_round_mode_16_64 0
		.amdhsa_float_denorm_mode_32 3
		.amdhsa_float_denorm_mode_16_64 3
		.amdhsa_fp16_overflow 0
		.amdhsa_memory_ordered 1
		.amdhsa_forward_progress 1
		.amdhsa_inst_pref_size 94
		.amdhsa_round_robin_scheduling 0
		.amdhsa_exception_fp_ieee_invalid_op 0
		.amdhsa_exception_fp_denorm_src 0
		.amdhsa_exception_fp_ieee_div_zero 0
		.amdhsa_exception_fp_ieee_overflow 0
		.amdhsa_exception_fp_ieee_underflow 0
		.amdhsa_exception_fp_ieee_inexact 0
		.amdhsa_exception_int_div_zero 0
	.end_amdhsa_kernel
	.section	.text._ZN2at6native32elementwise_kernel_manual_unrollILi128ELi8EZNS0_22gpu_kernel_impl_nocastIZZZNS0_12_GLOBAL__N_117clamp_kernel_implERNS_18TensorIteratorBaseEENKUlvE_clEvENKUlvE6_clEvEUlN3c104HalfES9_S9_E_EEvS5_RKT_EUlibE_EEviT1_,"axG",@progbits,_ZN2at6native32elementwise_kernel_manual_unrollILi128ELi8EZNS0_22gpu_kernel_impl_nocastIZZZNS0_12_GLOBAL__N_117clamp_kernel_implERNS_18TensorIteratorBaseEENKUlvE_clEvENKUlvE6_clEvEUlN3c104HalfES9_S9_E_EEvS5_RKT_EUlibE_EEviT1_,comdat
.Lfunc_end157:
	.size	_ZN2at6native32elementwise_kernel_manual_unrollILi128ELi8EZNS0_22gpu_kernel_impl_nocastIZZZNS0_12_GLOBAL__N_117clamp_kernel_implERNS_18TensorIteratorBaseEENKUlvE_clEvENKUlvE6_clEvEUlN3c104HalfES9_S9_E_EEvS5_RKT_EUlibE_EEviT1_, .Lfunc_end157-_ZN2at6native32elementwise_kernel_manual_unrollILi128ELi8EZNS0_22gpu_kernel_impl_nocastIZZZNS0_12_GLOBAL__N_117clamp_kernel_implERNS_18TensorIteratorBaseEENKUlvE_clEvENKUlvE6_clEvEUlN3c104HalfES9_S9_E_EEvS5_RKT_EUlibE_EEviT1_
                                        ; -- End function
	.set _ZN2at6native32elementwise_kernel_manual_unrollILi128ELi8EZNS0_22gpu_kernel_impl_nocastIZZZNS0_12_GLOBAL__N_117clamp_kernel_implERNS_18TensorIteratorBaseEENKUlvE_clEvENKUlvE6_clEvEUlN3c104HalfES9_S9_E_EEvS5_RKT_EUlibE_EEviT1_.num_vgpr, 47
	.set _ZN2at6native32elementwise_kernel_manual_unrollILi128ELi8EZNS0_22gpu_kernel_impl_nocastIZZZNS0_12_GLOBAL__N_117clamp_kernel_implERNS_18TensorIteratorBaseEENKUlvE_clEvENKUlvE6_clEvEUlN3c104HalfES9_S9_E_EEvS5_RKT_EUlibE_EEviT1_.num_agpr, 0
	.set _ZN2at6native32elementwise_kernel_manual_unrollILi128ELi8EZNS0_22gpu_kernel_impl_nocastIZZZNS0_12_GLOBAL__N_117clamp_kernel_implERNS_18TensorIteratorBaseEENKUlvE_clEvENKUlvE6_clEvEUlN3c104HalfES9_S9_E_EEvS5_RKT_EUlibE_EEviT1_.numbered_sgpr, 56
	.set _ZN2at6native32elementwise_kernel_manual_unrollILi128ELi8EZNS0_22gpu_kernel_impl_nocastIZZZNS0_12_GLOBAL__N_117clamp_kernel_implERNS_18TensorIteratorBaseEENKUlvE_clEvENKUlvE6_clEvEUlN3c104HalfES9_S9_E_EEvS5_RKT_EUlibE_EEviT1_.num_named_barrier, 0
	.set _ZN2at6native32elementwise_kernel_manual_unrollILi128ELi8EZNS0_22gpu_kernel_impl_nocastIZZZNS0_12_GLOBAL__N_117clamp_kernel_implERNS_18TensorIteratorBaseEENKUlvE_clEvENKUlvE6_clEvEUlN3c104HalfES9_S9_E_EEvS5_RKT_EUlibE_EEviT1_.private_seg_size, 0
	.set _ZN2at6native32elementwise_kernel_manual_unrollILi128ELi8EZNS0_22gpu_kernel_impl_nocastIZZZNS0_12_GLOBAL__N_117clamp_kernel_implERNS_18TensorIteratorBaseEENKUlvE_clEvENKUlvE6_clEvEUlN3c104HalfES9_S9_E_EEvS5_RKT_EUlibE_EEviT1_.uses_vcc, 1
	.set _ZN2at6native32elementwise_kernel_manual_unrollILi128ELi8EZNS0_22gpu_kernel_impl_nocastIZZZNS0_12_GLOBAL__N_117clamp_kernel_implERNS_18TensorIteratorBaseEENKUlvE_clEvENKUlvE6_clEvEUlN3c104HalfES9_S9_E_EEvS5_RKT_EUlibE_EEviT1_.uses_flat_scratch, 0
	.set _ZN2at6native32elementwise_kernel_manual_unrollILi128ELi8EZNS0_22gpu_kernel_impl_nocastIZZZNS0_12_GLOBAL__N_117clamp_kernel_implERNS_18TensorIteratorBaseEENKUlvE_clEvENKUlvE6_clEvEUlN3c104HalfES9_S9_E_EEvS5_RKT_EUlibE_EEviT1_.has_dyn_sized_stack, 0
	.set _ZN2at6native32elementwise_kernel_manual_unrollILi128ELi8EZNS0_22gpu_kernel_impl_nocastIZZZNS0_12_GLOBAL__N_117clamp_kernel_implERNS_18TensorIteratorBaseEENKUlvE_clEvENKUlvE6_clEvEUlN3c104HalfES9_S9_E_EEvS5_RKT_EUlibE_EEviT1_.has_recursion, 0
	.set _ZN2at6native32elementwise_kernel_manual_unrollILi128ELi8EZNS0_22gpu_kernel_impl_nocastIZZZNS0_12_GLOBAL__N_117clamp_kernel_implERNS_18TensorIteratorBaseEENKUlvE_clEvENKUlvE6_clEvEUlN3c104HalfES9_S9_E_EEvS5_RKT_EUlibE_EEviT1_.has_indirect_call, 0
	.section	.AMDGPU.csdata,"",@progbits
; Kernel info:
; codeLenInByte = 11952
; TotalNumSgprs: 58
; NumVgprs: 47
; ScratchSize: 0
; MemoryBound: 0
; FloatMode: 240
; IeeeMode: 1
; LDSByteSize: 0 bytes/workgroup (compile time only)
; SGPRBlocks: 0
; VGPRBlocks: 2
; NumSGPRsForWavesPerEU: 58
; NumVGPRsForWavesPerEU: 47
; NamedBarCnt: 0
; Occupancy: 16
; WaveLimiterHint : 1
; COMPUTE_PGM_RSRC2:SCRATCH_EN: 0
; COMPUTE_PGM_RSRC2:USER_SGPR: 2
; COMPUTE_PGM_RSRC2:TRAP_HANDLER: 0
; COMPUTE_PGM_RSRC2:TGID_X_EN: 1
; COMPUTE_PGM_RSRC2:TGID_Y_EN: 0
; COMPUTE_PGM_RSRC2:TGID_Z_EN: 0
; COMPUTE_PGM_RSRC2:TIDIG_COMP_CNT: 0
	.section	.text._ZN2at6native32elementwise_kernel_manual_unrollILi128ELi4EZNS0_15gpu_kernel_implIZZZNS0_12_GLOBAL__N_117clamp_kernel_implERNS_18TensorIteratorBaseEENKUlvE_clEvENKUlvE6_clEvEUlN3c104HalfES9_S9_E_EEvS5_RKT_EUlibE_EEviT1_,"axG",@progbits,_ZN2at6native32elementwise_kernel_manual_unrollILi128ELi4EZNS0_15gpu_kernel_implIZZZNS0_12_GLOBAL__N_117clamp_kernel_implERNS_18TensorIteratorBaseEENKUlvE_clEvENKUlvE6_clEvEUlN3c104HalfES9_S9_E_EEvS5_RKT_EUlibE_EEviT1_,comdat
	.globl	_ZN2at6native32elementwise_kernel_manual_unrollILi128ELi4EZNS0_15gpu_kernel_implIZZZNS0_12_GLOBAL__N_117clamp_kernel_implERNS_18TensorIteratorBaseEENKUlvE_clEvENKUlvE6_clEvEUlN3c104HalfES9_S9_E_EEvS5_RKT_EUlibE_EEviT1_ ; -- Begin function _ZN2at6native32elementwise_kernel_manual_unrollILi128ELi4EZNS0_15gpu_kernel_implIZZZNS0_12_GLOBAL__N_117clamp_kernel_implERNS_18TensorIteratorBaseEENKUlvE_clEvENKUlvE6_clEvEUlN3c104HalfES9_S9_E_EEvS5_RKT_EUlibE_EEviT1_
	.p2align	8
	.type	_ZN2at6native32elementwise_kernel_manual_unrollILi128ELi4EZNS0_15gpu_kernel_implIZZZNS0_12_GLOBAL__N_117clamp_kernel_implERNS_18TensorIteratorBaseEENKUlvE_clEvENKUlvE6_clEvEUlN3c104HalfES9_S9_E_EEvS5_RKT_EUlibE_EEviT1_,@function
_ZN2at6native32elementwise_kernel_manual_unrollILi128ELi4EZNS0_15gpu_kernel_implIZZZNS0_12_GLOBAL__N_117clamp_kernel_implERNS_18TensorIteratorBaseEENKUlvE_clEvENKUlvE6_clEvEUlN3c104HalfES9_S9_E_EEvS5_RKT_EUlibE_EEviT1_: ; @_ZN2at6native32elementwise_kernel_manual_unrollILi128ELi4EZNS0_15gpu_kernel_implIZZZNS0_12_GLOBAL__N_117clamp_kernel_implERNS_18TensorIteratorBaseEENKUlvE_clEvENKUlvE6_clEvEUlN3c104HalfES9_S9_E_EEvS5_RKT_EUlibE_EEviT1_
; %bb.0:
	v_mov_b32_e32 v1, 0
	s_bfe_u32 s3, ttmp6, 0x4000c
	s_clause 0x1
	s_load_b128 s[12:15], s[0:1], 0x28
	s_load_b256 s[4:11], s[0:1], 0x8
	s_add_co_i32 s3, s3, 1
	global_load_b32 v1, v1, s[0:1] offset:57
	s_load_b32 s20, s[0:1], 0x0
	s_and_b32 s16, ttmp6, 15
	s_wait_xcnt 0x0
	s_mul_i32 s0, ttmp9, s3
	s_getreg_b32 s18, hwreg(HW_REG_IB_STS2, 6, 4)
	s_add_co_i32 s16, s16, s0
	s_mov_b32 s19, 0
	s_wait_loadcnt 0x0
	v_readfirstlane_b32 s2, v1
	s_lshr_b32 s3, s2, 16
	s_lshr_b32 s17, s2, 8
	;; [unrolled: 1-line block ×3, first 2 shown]
	s_cmp_eq_u32 s18, 0
	s_cselect_b32 s0, ttmp9, s16
	s_mov_b32 s16, 0
	v_lshl_or_b32 v8, s0, 9, v0
	s_mov_b32 s0, exec_lo
	s_delay_alu instid0(VALU_DEP_1) | instskip(SKIP_1) | instid1(VALU_DEP_1)
	v_or_b32_e32 v0, 0x180, v8
	s_wait_kmcnt 0x0
	v_cmpx_le_i32_e64 s20, v0
	s_xor_b32 s18, exec_lo, s0
	s_cbranch_execz .LBB158_2063
; %bb.1:
	s_mov_b32 s28, -1
	s_mov_b32 s25, 0
	s_mov_b32 s23, 0
	;; [unrolled: 1-line block ×4, first 2 shown]
	s_mov_b32 s24, exec_lo
	v_cmpx_gt_i32_e64 s20, v8
	s_cbranch_execz .LBB158_512
; %bb.2:
	v_mul_lo_u32 v0, v8, s13
	s_and_b32 s0, s17, 0xff
	s_delay_alu instid0(SALU_CYCLE_1) | instskip(NEXT) | instid1(VALU_DEP_1)
	s_cmp_lt_i32 s0, 11
	v_ashrrev_i32_e32 v1, 31, v0
	s_delay_alu instid0(VALU_DEP_1)
	v_add_nc_u64_e32 v[0:1], s[6:7], v[0:1]
	s_cbranch_scc1 .LBB158_9
; %bb.3:
	s_and_b32 s19, 0xffff, s0
	s_delay_alu instid0(SALU_CYCLE_1)
	s_cmp_gt_i32 s19, 25
	s_cbranch_scc0 .LBB158_18
; %bb.4:
	s_cmp_gt_i32 s19, 28
	s_cbranch_scc0 .LBB158_28
; %bb.5:
	s_cmp_gt_i32 s19, 43
	s_cbranch_scc0 .LBB158_31
; %bb.6:
	s_cmp_gt_i32 s19, 45
	s_cbranch_scc0 .LBB158_34
; %bb.7:
	s_cmp_eq_u32 s19, 46
	s_cbranch_scc0 .LBB158_37
; %bb.8:
	global_load_b32 v2, v[0:1], off
	s_mov_b32 s21, -1
	s_wait_loadcnt 0x0
	v_lshlrev_b32_e32 v2, 16, v2
	s_delay_alu instid0(VALU_DEP_1)
	v_cvt_f16_f32_e32 v2, v2
	s_branch .LBB158_39
.LBB158_9:
                                        ; implicit-def: $vgpr2
	s_cbranch_execnz .LBB158_105
.LBB158_10:
	s_and_not1_b32 vcc_lo, exec_lo, s21
	s_cbranch_vccnz .LBB158_152
.LBB158_11:
	s_wait_xcnt 0x0
	v_mul_lo_u32 v0, v8, s14
	s_and_b32 s0, s3, 0xff
	s_delay_alu instid0(SALU_CYCLE_1) | instskip(NEXT) | instid1(VALU_DEP_1)
	s_cmp_lt_i32 s0, 11
	v_ashrrev_i32_e32 v1, 31, v0
	s_delay_alu instid0(VALU_DEP_1)
	v_add_nc_u64_e32 v[0:1], s[8:9], v[0:1]
	s_cbranch_scc1 .LBB158_19
; %bb.12:
	s_and_b32 s19, 0xffff, s0
	s_delay_alu instid0(SALU_CYCLE_1)
	s_cmp_gt_i32 s19, 25
	s_cbranch_scc0 .LBB158_29
; %bb.13:
	s_cmp_gt_i32 s19, 28
	s_cbranch_scc0 .LBB158_32
; %bb.14:
	;; [unrolled: 3-line block ×4, first 2 shown]
	s_cmp_eq_u32 s19, 46
	s_mov_b32 s26, 0
	s_cbranch_scc0 .LBB158_153
; %bb.17:
	global_load_b32 v3, v[0:1], off
	s_mov_b32 s21, -1
	s_mov_b32 s22, 0
	s_wait_loadcnt 0x0
	v_lshlrev_b32_e32 v3, 16, v3
	s_delay_alu instid0(VALU_DEP_1)
	v_cvt_f16_f32_e32 v3, v3
	s_branch .LBB158_155
.LBB158_18:
                                        ; implicit-def: $vgpr2
	s_cbranch_execnz .LBB158_70
	s_branch .LBB158_104
.LBB158_19:
	s_mov_b32 s22, 0
	s_mov_b32 s21, 0
                                        ; implicit-def: $vgpr3
	s_cbranch_execnz .LBB158_221
.LBB158_20:
	s_and_not1_b32 vcc_lo, exec_lo, s21
	s_cbranch_vccnz .LBB158_269
.LBB158_21:
	s_wait_xcnt 0x0
	v_mul_lo_u32 v0, v8, s15
	s_and_b32 s0, 0xffff, s1
	s_delay_alu instid0(SALU_CYCLE_1) | instskip(NEXT) | instid1(VALU_DEP_1)
	s_cmp_lt_i32 s0, 11
	v_ashrrev_i32_e32 v1, 31, v0
	s_delay_alu instid0(VALU_DEP_1)
	v_add_nc_u64_e32 v[0:1], s[10:11], v[0:1]
	s_cbranch_scc1 .LBB158_30
; %bb.22:
	s_cmp_gt_i32 s0, 25
	s_cbranch_scc0 .LBB158_33
; %bb.23:
	s_cmp_gt_i32 s0, 28
	s_cbranch_scc0 .LBB158_36
	;; [unrolled: 3-line block ×4, first 2 shown]
; %bb.26:
	s_cmp_eq_u32 s0, 46
	s_mov_b32 s26, 0
	s_cbranch_scc0 .LBB158_270
; %bb.27:
	global_load_b32 v4, v[0:1], off
	s_mov_b32 s19, -1
	s_mov_b32 s21, 0
	s_wait_loadcnt 0x0
	v_lshlrev_b32_e32 v4, 16, v4
	s_delay_alu instid0(VALU_DEP_1)
	v_cvt_f16_f32_e32 v4, v4
	s_branch .LBB158_272
.LBB158_28:
	s_mov_b32 s22, -1
                                        ; implicit-def: $vgpr2
	s_branch .LBB158_51
.LBB158_29:
	s_mov_b32 s26, -1
	s_mov_b32 s22, 0
	s_mov_b32 s21, 0
                                        ; implicit-def: $vgpr3
	s_branch .LBB158_185
.LBB158_30:
	s_mov_b32 s26, -1
	s_mov_b32 s21, 0
	s_mov_b32 s19, 0
                                        ; implicit-def: $vgpr4
	s_branch .LBB158_337
.LBB158_31:
	s_mov_b32 s22, -1
                                        ; implicit-def: $vgpr2
	s_branch .LBB158_46
.LBB158_32:
	s_mov_b32 s26, -1
	s_mov_b32 s22, 0
	s_mov_b32 s21, 0
                                        ; implicit-def: $vgpr3
	s_branch .LBB158_166
.LBB158_33:
	s_mov_b32 s26, -1
	s_mov_b32 s21, 0
	s_mov_b32 s19, 0
                                        ; implicit-def: $vgpr4
	s_branch .LBB158_301
.LBB158_34:
	s_mov_b32 s22, -1
	s_branch .LBB158_38
.LBB158_35:
	s_mov_b32 s26, -1
	s_mov_b32 s22, 0
	s_mov_b32 s21, 0
                                        ; implicit-def: $vgpr3
	s_branch .LBB158_161
.LBB158_36:
	s_mov_b32 s26, -1
	s_mov_b32 s21, 0
	s_mov_b32 s19, 0
                                        ; implicit-def: $vgpr4
	s_branch .LBB158_282
.LBB158_37:
	s_mov_b32 s23, -1
.LBB158_38:
                                        ; implicit-def: $vgpr2
.LBB158_39:
	s_and_b32 vcc_lo, exec_lo, s22
	s_cbranch_vccz .LBB158_45
; %bb.40:
	s_cmp_eq_u32 s19, 44
	s_cbranch_scc0 .LBB158_44
; %bb.41:
	global_load_u8 v2, v[0:1], off
	s_mov_b32 s23, 0
	s_mov_b32 s21, -1
	s_wait_loadcnt 0x0
	v_lshlrev_b32_e32 v3, 23, v2
	v_cmp_ne_u32_e32 vcc_lo, 0xff, v2
	s_delay_alu instid0(VALU_DEP_2) | instskip(NEXT) | instid1(VALU_DEP_1)
	v_cvt_f16_f32_e32 v3, v3
	v_cndmask_b32_e32 v3, 0x7e00, v3, vcc_lo
	v_cmp_ne_u32_e32 vcc_lo, 0, v2
	s_delay_alu instid0(VALU_DEP_2)
	v_cndmask_b32_e32 v2, 0, v3, vcc_lo
	s_branch .LBB158_45
.LBB158_42:
	s_mov_b32 s26, -1
	s_mov_b32 s22, 0
	s_branch .LBB158_154
.LBB158_43:
	s_mov_b32 s26, -1
	s_mov_b32 s21, 0
	s_mov_b32 s19, 0
                                        ; implicit-def: $vgpr4
	s_branch .LBB158_277
.LBB158_44:
	s_mov_b32 s23, -1
                                        ; implicit-def: $vgpr2
.LBB158_45:
	s_mov_b32 s22, 0
.LBB158_46:
	s_delay_alu instid0(SALU_CYCLE_1)
	s_and_b32 vcc_lo, exec_lo, s22
	s_cbranch_vccz .LBB158_50
; %bb.47:
	s_cmp_eq_u32 s19, 29
	s_cbranch_scc0 .LBB158_49
; %bb.48:
	global_load_b64 v[2:3], v[0:1], off
	s_mov_b32 s21, -1
	s_mov_b32 s23, 0
	s_mov_b32 s22, 0
	s_wait_loadcnt 0x0
	v_clz_i32_u32_e32 v4, v3
	s_delay_alu instid0(VALU_DEP_1) | instskip(NEXT) | instid1(VALU_DEP_1)
	v_min_u32_e32 v4, 32, v4
	v_lshlrev_b64_e32 v[2:3], v4, v[2:3]
	s_delay_alu instid0(VALU_DEP_1) | instskip(NEXT) | instid1(VALU_DEP_1)
	v_min_u32_e32 v2, 1, v2
	v_dual_sub_nc_u32 v3, 32, v4 :: v_dual_bitop2_b32 v2, v3, v2 bitop3:0x54
	s_delay_alu instid0(VALU_DEP_1) | instskip(NEXT) | instid1(VALU_DEP_1)
	v_cvt_f32_u32_e32 v2, v2
	v_ldexp_f32 v2, v2, v3
	s_delay_alu instid0(VALU_DEP_1)
	v_cvt_f16_f32_e32 v2, v2
	s_branch .LBB158_51
.LBB158_49:
	s_mov_b32 s23, -1
                                        ; implicit-def: $vgpr2
.LBB158_50:
	s_mov_b32 s22, 0
.LBB158_51:
	s_delay_alu instid0(SALU_CYCLE_1)
	s_and_b32 vcc_lo, exec_lo, s22
	s_cbranch_vccz .LBB158_69
; %bb.52:
	s_cmp_lt_i32 s19, 27
	s_cbranch_scc1 .LBB158_55
; %bb.53:
	s_cmp_gt_i32 s19, 27
	s_cbranch_scc0 .LBB158_56
; %bb.54:
	global_load_b32 v2, v[0:1], off
	s_mov_b32 s21, 0
	s_wait_loadcnt 0x0
	v_cvt_f32_u32_e32 v2, v2
	s_delay_alu instid0(VALU_DEP_1)
	v_cvt_f16_f32_e32 v2, v2
	s_branch .LBB158_57
.LBB158_55:
	s_mov_b32 s21, -1
                                        ; implicit-def: $vgpr2
	s_branch .LBB158_60
.LBB158_56:
	s_mov_b32 s21, -1
                                        ; implicit-def: $vgpr2
.LBB158_57:
	s_delay_alu instid0(SALU_CYCLE_1)
	s_and_not1_b32 vcc_lo, exec_lo, s21
	s_cbranch_vccnz .LBB158_59
; %bb.58:
	global_load_u16 v2, v[0:1], off
	s_wait_loadcnt 0x0
	v_cvt_f16_u16_e32 v2, v2
.LBB158_59:
	s_mov_b32 s21, 0
.LBB158_60:
	s_delay_alu instid0(SALU_CYCLE_1)
	s_and_not1_b32 vcc_lo, exec_lo, s21
	s_cbranch_vccnz .LBB158_68
; %bb.61:
	global_load_u8 v3, v[0:1], off
	s_mov_b32 s21, 0
	s_mov_b32 s22, exec_lo
	s_wait_loadcnt 0x0
	v_cmpx_lt_i16_e32 0x7f, v3
	s_xor_b32 s22, exec_lo, s22
	s_cbranch_execz .LBB158_81
; %bb.62:
	s_mov_b32 s21, -1
	s_mov_b32 s26, exec_lo
	v_cmpx_eq_u16_e32 0x80, v3
; %bb.63:
	s_xor_b32 s21, exec_lo, -1
; %bb.64:
	s_or_b32 exec_lo, exec_lo, s26
	s_delay_alu instid0(SALU_CYCLE_1)
	s_and_b32 s21, s21, exec_lo
	s_or_saveexec_b32 s22, s22
	v_mov_b32_e32 v2, 0x7e00
	s_xor_b32 exec_lo, exec_lo, s22
	s_cbranch_execnz .LBB158_82
.LBB158_65:
	s_or_b32 exec_lo, exec_lo, s22
	s_and_saveexec_b32 s22, s21
	s_cbranch_execz .LBB158_67
.LBB158_66:
	v_and_b32_e32 v2, 0xffff, v3
	s_delay_alu instid0(VALU_DEP_1) | instskip(SKIP_1) | instid1(VALU_DEP_2)
	v_and_b32_e32 v4, 7, v2
	v_bfe_u32 v7, v2, 3, 4
	v_clz_i32_u32_e32 v5, v4
	s_delay_alu instid0(VALU_DEP_2) | instskip(NEXT) | instid1(VALU_DEP_2)
	v_cmp_eq_u32_e32 vcc_lo, 0, v7
	v_min_u32_e32 v5, 32, v5
	s_delay_alu instid0(VALU_DEP_1) | instskip(NEXT) | instid1(VALU_DEP_1)
	v_subrev_nc_u32_e32 v6, 28, v5
	v_dual_lshlrev_b32 v2, v6, v2 :: v_dual_sub_nc_u32 v5, 29, v5
	s_delay_alu instid0(VALU_DEP_1) | instskip(NEXT) | instid1(VALU_DEP_1)
	v_dual_lshlrev_b32 v3, 24, v3 :: v_dual_bitop2_b32 v2, 7, v2 bitop3:0x40
	v_dual_cndmask_b32 v5, v7, v5 :: v_dual_cndmask_b32 v2, v4, v2
	s_delay_alu instid0(VALU_DEP_2) | instskip(NEXT) | instid1(VALU_DEP_2)
	v_and_b32_e32 v3, 0x80000000, v3
	v_lshl_add_u32 v4, v5, 23, 0x3b800000
	s_delay_alu instid0(VALU_DEP_3) | instskip(NEXT) | instid1(VALU_DEP_1)
	v_lshlrev_b32_e32 v2, 20, v2
	v_or3_b32 v2, v3, v4, v2
	s_delay_alu instid0(VALU_DEP_1)
	v_cvt_f16_f32_e32 v2, v2
.LBB158_67:
	s_or_b32 exec_lo, exec_lo, s22
.LBB158_68:
	s_mov_b32 s21, -1
.LBB158_69:
	s_branch .LBB158_104
.LBB158_70:
	s_cmp_gt_i32 s19, 22
	s_cbranch_scc0 .LBB158_80
; %bb.71:
	s_cmp_lt_i32 s19, 24
	s_cbranch_scc1 .LBB158_83
; %bb.72:
	s_cmp_gt_i32 s19, 24
	s_cbranch_scc0 .LBB158_84
; %bb.73:
	global_load_u8 v3, v[0:1], off
	s_mov_b32 s21, 0
	s_mov_b32 s22, exec_lo
	s_wait_loadcnt 0x0
	v_cmpx_lt_i16_e32 0x7f, v3
	s_xor_b32 s22, exec_lo, s22
	s_cbranch_execz .LBB158_96
; %bb.74:
	s_mov_b32 s21, -1
	s_mov_b32 s26, exec_lo
	v_cmpx_eq_u16_e32 0x80, v3
; %bb.75:
	s_xor_b32 s21, exec_lo, -1
; %bb.76:
	s_or_b32 exec_lo, exec_lo, s26
	s_delay_alu instid0(SALU_CYCLE_1)
	s_and_b32 s21, s21, exec_lo
	s_or_saveexec_b32 s22, s22
	v_mov_b32_e32 v2, 0x7e00
	s_xor_b32 exec_lo, exec_lo, s22
	s_cbranch_execnz .LBB158_97
.LBB158_77:
	s_or_b32 exec_lo, exec_lo, s22
	s_and_saveexec_b32 s22, s21
	s_cbranch_execz .LBB158_79
.LBB158_78:
	v_and_b32_e32 v2, 0xffff, v3
	s_delay_alu instid0(VALU_DEP_1) | instskip(SKIP_1) | instid1(VALU_DEP_2)
	v_and_b32_e32 v4, 3, v2
	v_bfe_u32 v7, v2, 2, 5
	v_clz_i32_u32_e32 v5, v4
	s_delay_alu instid0(VALU_DEP_2) | instskip(NEXT) | instid1(VALU_DEP_2)
	v_cmp_eq_u32_e32 vcc_lo, 0, v7
	v_min_u32_e32 v5, 32, v5
	s_delay_alu instid0(VALU_DEP_1) | instskip(NEXT) | instid1(VALU_DEP_1)
	v_subrev_nc_u32_e32 v6, 29, v5
	v_dual_lshlrev_b32 v2, v6, v2 :: v_dual_sub_nc_u32 v5, 30, v5
	s_delay_alu instid0(VALU_DEP_1) | instskip(NEXT) | instid1(VALU_DEP_1)
	v_dual_lshlrev_b32 v3, 24, v3 :: v_dual_bitop2_b32 v2, 3, v2 bitop3:0x40
	v_dual_cndmask_b32 v5, v7, v5 :: v_dual_cndmask_b32 v2, v4, v2
	s_delay_alu instid0(VALU_DEP_2) | instskip(NEXT) | instid1(VALU_DEP_2)
	v_and_b32_e32 v3, 0x80000000, v3
	v_lshl_add_u32 v4, v5, 23, 0x37800000
	s_delay_alu instid0(VALU_DEP_3) | instskip(NEXT) | instid1(VALU_DEP_1)
	v_lshlrev_b32_e32 v2, 21, v2
	v_or3_b32 v2, v3, v4, v2
	s_delay_alu instid0(VALU_DEP_1)
	v_cvt_f16_f32_e32 v2, v2
.LBB158_79:
	s_or_b32 exec_lo, exec_lo, s22
	s_mov_b32 s21, 0
	s_branch .LBB158_85
.LBB158_80:
	s_mov_b32 s22, -1
                                        ; implicit-def: $vgpr2
	s_branch .LBB158_91
.LBB158_81:
	s_or_saveexec_b32 s22, s22
	v_mov_b32_e32 v2, 0x7e00
	s_xor_b32 exec_lo, exec_lo, s22
	s_cbranch_execz .LBB158_65
.LBB158_82:
	v_cmp_ne_u16_e32 vcc_lo, 0, v3
	v_mov_b32_e32 v2, v3
	s_and_not1_b32 s21, s21, exec_lo
	s_and_b32 s26, vcc_lo, exec_lo
	s_delay_alu instid0(SALU_CYCLE_1)
	s_or_b32 s21, s21, s26
	s_or_b32 exec_lo, exec_lo, s22
	s_and_saveexec_b32 s22, s21
	s_cbranch_execnz .LBB158_66
	s_branch .LBB158_67
.LBB158_83:
	s_mov_b32 s21, -1
                                        ; implicit-def: $vgpr2
	s_branch .LBB158_88
.LBB158_84:
	s_mov_b32 s21, -1
                                        ; implicit-def: $vgpr2
.LBB158_85:
	s_delay_alu instid0(SALU_CYCLE_1)
	s_and_b32 vcc_lo, exec_lo, s21
	s_cbranch_vccz .LBB158_87
; %bb.86:
	global_load_u8 v2, v[0:1], off
	s_wait_loadcnt 0x0
	v_lshlrev_b32_e32 v2, 24, v2
	s_delay_alu instid0(VALU_DEP_1) | instskip(NEXT) | instid1(VALU_DEP_1)
	v_and_b32_e32 v3, 0x7f000000, v2
	v_clz_i32_u32_e32 v4, v3
	v_cmp_ne_u32_e32 vcc_lo, 0, v3
	v_add_nc_u32_e32 v6, 0x1000000, v3
	s_delay_alu instid0(VALU_DEP_3) | instskip(NEXT) | instid1(VALU_DEP_1)
	v_min_u32_e32 v4, 32, v4
	v_sub_nc_u32_e64 v4, v4, 4 clamp
	s_delay_alu instid0(VALU_DEP_1) | instskip(NEXT) | instid1(VALU_DEP_1)
	v_dual_lshlrev_b32 v5, v4, v3 :: v_dual_lshlrev_b32 v4, 23, v4
	v_lshrrev_b32_e32 v5, 4, v5
	s_delay_alu instid0(VALU_DEP_1) | instskip(NEXT) | instid1(VALU_DEP_1)
	v_dual_sub_nc_u32 v4, v5, v4 :: v_dual_ashrrev_i32 v5, 8, v6
	v_add_nc_u32_e32 v4, 0x3c000000, v4
	s_delay_alu instid0(VALU_DEP_1) | instskip(NEXT) | instid1(VALU_DEP_1)
	v_and_or_b32 v4, 0x7f800000, v5, v4
	v_cndmask_b32_e32 v3, 0, v4, vcc_lo
	s_delay_alu instid0(VALU_DEP_1) | instskip(NEXT) | instid1(VALU_DEP_1)
	v_and_or_b32 v2, 0x80000000, v2, v3
	v_cvt_f16_f32_e32 v2, v2
.LBB158_87:
	s_mov_b32 s21, 0
.LBB158_88:
	s_delay_alu instid0(SALU_CYCLE_1)
	s_and_not1_b32 vcc_lo, exec_lo, s21
	s_cbranch_vccnz .LBB158_90
; %bb.89:
	global_load_u8 v2, v[0:1], off
	s_wait_loadcnt 0x0
	v_lshlrev_b32_e32 v3, 25, v2
	v_lshlrev_b16 v2, 8, v2
	s_delay_alu instid0(VALU_DEP_1) | instskip(SKIP_1) | instid1(VALU_DEP_2)
	v_and_or_b32 v5, 0x7f00, v2, 0.5
	v_bfe_i32 v2, v2, 0, 16
	v_dual_add_f32 v5, -0.5, v5 :: v_dual_lshrrev_b32 v4, 4, v3
	v_cmp_gt_u32_e32 vcc_lo, 0x8000000, v3
	s_delay_alu instid0(VALU_DEP_2) | instskip(NEXT) | instid1(VALU_DEP_1)
	v_or_b32_e32 v4, 0x70000000, v4
	v_mul_f32_e32 v4, 0x7800000, v4
	s_delay_alu instid0(VALU_DEP_1) | instskip(NEXT) | instid1(VALU_DEP_1)
	v_cndmask_b32_e32 v3, v4, v5, vcc_lo
	v_and_or_b32 v2, 0x80000000, v2, v3
	s_delay_alu instid0(VALU_DEP_1)
	v_cvt_f16_f32_e32 v2, v2
.LBB158_90:
	s_mov_b32 s22, 0
	s_mov_b32 s21, -1
.LBB158_91:
	s_and_not1_b32 vcc_lo, exec_lo, s22
	s_cbranch_vccnz .LBB158_104
; %bb.92:
	s_cmp_gt_i32 s19, 14
	s_cbranch_scc0 .LBB158_95
; %bb.93:
	s_cmp_eq_u32 s19, 15
	s_cbranch_scc0 .LBB158_98
; %bb.94:
	global_load_u16 v2, v[0:1], off
	s_mov_b32 s21, -1
	s_mov_b32 s23, 0
	s_wait_loadcnt 0x0
	v_lshlrev_b32_e32 v2, 16, v2
	s_delay_alu instid0(VALU_DEP_1)
	v_cvt_f16_f32_e32 v2, v2
	s_branch .LBB158_99
.LBB158_95:
	s_mov_b32 s22, -1
                                        ; implicit-def: $vgpr2
	s_branch .LBB158_100
.LBB158_96:
	s_or_saveexec_b32 s22, s22
	v_mov_b32_e32 v2, 0x7e00
	s_xor_b32 exec_lo, exec_lo, s22
	s_cbranch_execz .LBB158_77
.LBB158_97:
	v_cmp_ne_u16_e32 vcc_lo, 0, v3
	v_mov_b32_e32 v2, v3
	s_and_not1_b32 s21, s21, exec_lo
	s_and_b32 s26, vcc_lo, exec_lo
	s_delay_alu instid0(SALU_CYCLE_1)
	s_or_b32 s21, s21, s26
	s_or_b32 exec_lo, exec_lo, s22
	s_and_saveexec_b32 s22, s21
	s_cbranch_execnz .LBB158_78
	s_branch .LBB158_79
.LBB158_98:
	s_mov_b32 s23, -1
                                        ; implicit-def: $vgpr2
.LBB158_99:
	s_mov_b32 s22, 0
.LBB158_100:
	s_delay_alu instid0(SALU_CYCLE_1)
	s_and_b32 vcc_lo, exec_lo, s22
	s_cbranch_vccz .LBB158_104
; %bb.101:
	s_cmp_eq_u32 s19, 11
	s_cbranch_scc0 .LBB158_103
; %bb.102:
	global_load_u8 v2, v[0:1], off
	s_mov_b32 s23, 0
	s_mov_b32 s21, -1
	s_wait_loadcnt 0x0
	v_cmp_ne_u16_e32 vcc_lo, 0, v2
	v_cndmask_b32_e64 v2, 0, 0x3c00, vcc_lo
	s_branch .LBB158_104
.LBB158_103:
	s_mov_b32 s23, -1
                                        ; implicit-def: $vgpr2
.LBB158_104:
	s_branch .LBB158_10
.LBB158_105:
	s_and_b32 s0, 0xffff, s0
	s_delay_alu instid0(SALU_CYCLE_1)
	s_cmp_lt_i32 s0, 5
	s_cbranch_scc1 .LBB158_110
; %bb.106:
	s_cmp_lt_i32 s0, 8
	s_cbranch_scc1 .LBB158_111
; %bb.107:
	;; [unrolled: 3-line block ×3, first 2 shown]
	s_cmp_gt_i32 s0, 9
	s_cbranch_scc0 .LBB158_113
; %bb.109:
	global_load_b64 v[2:3], v[0:1], off
	s_mov_b32 s19, 0
	s_wait_loadcnt 0x0
	v_and_or_b32 v2, 0x1ff, v3, v2
	v_lshrrev_b32_e32 v4, 8, v3
	v_bfe_u32 v5, v3, 20, 11
	v_lshrrev_b32_e32 v3, 16, v3
	s_delay_alu instid0(VALU_DEP_4) | instskip(NEXT) | instid1(VALU_DEP_3)
	v_cmp_ne_u32_e32 vcc_lo, 0, v2
	v_sub_nc_u32_e32 v6, 0x3f1, v5
	v_add_nc_u32_e32 v5, 0xfffffc10, v5
	v_cndmask_b32_e64 v2, 0, 1, vcc_lo
	s_delay_alu instid0(VALU_DEP_1) | instskip(NEXT) | instid1(VALU_DEP_4)
	v_and_or_b32 v2, 0xffe, v4, v2
	v_med3_i32 v4, v6, 0, 13
	s_delay_alu instid0(VALU_DEP_2) | instskip(NEXT) | instid1(VALU_DEP_1)
	v_or_b32_e32 v6, 0x1000, v2
	v_lshrrev_b32_e32 v7, v4, v6
	s_delay_alu instid0(VALU_DEP_1) | instskip(NEXT) | instid1(VALU_DEP_1)
	v_lshlrev_b32_e32 v4, v4, v7
	v_cmp_ne_u32_e32 vcc_lo, v4, v6
	v_lshl_or_b32 v6, v5, 12, v2
	v_cndmask_b32_e64 v4, 0, 1, vcc_lo
	v_cmp_gt_i32_e32 vcc_lo, 1, v5
	s_delay_alu instid0(VALU_DEP_2) | instskip(NEXT) | instid1(VALU_DEP_1)
	v_or_b32_e32 v4, v7, v4
	v_cndmask_b32_e32 v4, v6, v4, vcc_lo
	s_delay_alu instid0(VALU_DEP_1) | instskip(NEXT) | instid1(VALU_DEP_1)
	v_dual_lshrrev_b32 v4, 2, v4 :: v_dual_bitop2_b32 v6, 7, v4 bitop3:0x40
	v_cmp_lt_i32_e32 vcc_lo, 5, v6
	v_cndmask_b32_e64 v7, 0, 1, vcc_lo
	v_cmp_eq_u32_e32 vcc_lo, 3, v6
	v_cndmask_b32_e64 v6, 0, 1, vcc_lo
	v_cmp_ne_u32_e32 vcc_lo, 0, v2
	s_delay_alu instid0(VALU_DEP_2) | instskip(NEXT) | instid1(VALU_DEP_1)
	v_or_b32_e32 v6, v6, v7
	v_dual_mov_b32 v7, 0x7e00 :: v_dual_add_nc_u32 v4, v4, v6
	s_delay_alu instid0(VALU_DEP_1) | instskip(SKIP_1) | instid1(VALU_DEP_3)
	v_cndmask_b32_e32 v2, 0x7c00, v7, vcc_lo
	v_cmp_gt_i32_e32 vcc_lo, 31, v5
	v_cndmask_b32_e32 v4, 0x7c00, v4, vcc_lo
	v_cmp_eq_u32_e32 vcc_lo, 0x40f, v5
	s_delay_alu instid0(VALU_DEP_2) | instskip(NEXT) | instid1(VALU_DEP_1)
	v_cndmask_b32_e32 v2, v4, v2, vcc_lo
	v_and_or_b32 v2, 0x8000, v3, v2
	s_branch .LBB158_114
.LBB158_110:
                                        ; implicit-def: $vgpr2
	s_branch .LBB158_132
.LBB158_111:
	s_mov_b32 s19, -1
                                        ; implicit-def: $vgpr2
	s_branch .LBB158_120
.LBB158_112:
	s_mov_b32 s19, -1
                                        ; implicit-def: $vgpr2
	s_branch .LBB158_117
.LBB158_113:
	s_mov_b32 s19, -1
                                        ; implicit-def: $vgpr2
.LBB158_114:
	s_delay_alu instid0(SALU_CYCLE_1)
	s_and_not1_b32 vcc_lo, exec_lo, s19
	s_cbranch_vccnz .LBB158_116
; %bb.115:
	global_load_b32 v2, v[0:1], off
	s_wait_loadcnt 0x0
	v_cvt_f16_f32_e32 v2, v2
.LBB158_116:
	s_mov_b32 s19, 0
.LBB158_117:
	s_delay_alu instid0(SALU_CYCLE_1)
	s_and_not1_b32 vcc_lo, exec_lo, s19
	s_cbranch_vccnz .LBB158_119
; %bb.118:
	global_load_b32 v2, v[0:1], off
.LBB158_119:
	s_mov_b32 s19, 0
.LBB158_120:
	s_delay_alu instid0(SALU_CYCLE_1)
	s_and_not1_b32 vcc_lo, exec_lo, s19
	s_cbranch_vccnz .LBB158_131
; %bb.121:
	s_cmp_lt_i32 s0, 6
	s_cbranch_scc1 .LBB158_124
; %bb.122:
	s_cmp_gt_i32 s0, 6
	s_cbranch_scc0 .LBB158_125
; %bb.123:
	s_wait_loadcnt 0x0
	global_load_b64 v[2:3], v[0:1], off
	s_mov_b32 s19, 0
	s_wait_loadcnt 0x0
	v_and_or_b32 v2, 0x1ff, v3, v2
	v_lshrrev_b32_e32 v4, 8, v3
	v_bfe_u32 v5, v3, 20, 11
	v_lshrrev_b32_e32 v3, 16, v3
	s_delay_alu instid0(VALU_DEP_4) | instskip(NEXT) | instid1(VALU_DEP_3)
	v_cmp_ne_u32_e32 vcc_lo, 0, v2
	v_sub_nc_u32_e32 v6, 0x3f1, v5
	v_add_nc_u32_e32 v5, 0xfffffc10, v5
	v_cndmask_b32_e64 v2, 0, 1, vcc_lo
	s_delay_alu instid0(VALU_DEP_1) | instskip(NEXT) | instid1(VALU_DEP_4)
	v_and_or_b32 v2, 0xffe, v4, v2
	v_med3_i32 v4, v6, 0, 13
	s_delay_alu instid0(VALU_DEP_2) | instskip(NEXT) | instid1(VALU_DEP_1)
	v_or_b32_e32 v6, 0x1000, v2
	v_lshrrev_b32_e32 v7, v4, v6
	s_delay_alu instid0(VALU_DEP_1) | instskip(NEXT) | instid1(VALU_DEP_1)
	v_lshlrev_b32_e32 v4, v4, v7
	v_cmp_ne_u32_e32 vcc_lo, v4, v6
	v_lshl_or_b32 v6, v5, 12, v2
	v_cndmask_b32_e64 v4, 0, 1, vcc_lo
	v_cmp_gt_i32_e32 vcc_lo, 1, v5
	s_delay_alu instid0(VALU_DEP_2) | instskip(NEXT) | instid1(VALU_DEP_1)
	v_or_b32_e32 v4, v7, v4
	v_cndmask_b32_e32 v4, v6, v4, vcc_lo
	s_delay_alu instid0(VALU_DEP_1) | instskip(NEXT) | instid1(VALU_DEP_1)
	v_dual_lshrrev_b32 v4, 2, v4 :: v_dual_bitop2_b32 v6, 7, v4 bitop3:0x40
	v_cmp_lt_i32_e32 vcc_lo, 5, v6
	v_cndmask_b32_e64 v7, 0, 1, vcc_lo
	v_cmp_eq_u32_e32 vcc_lo, 3, v6
	v_cndmask_b32_e64 v6, 0, 1, vcc_lo
	v_cmp_ne_u32_e32 vcc_lo, 0, v2
	s_delay_alu instid0(VALU_DEP_2) | instskip(NEXT) | instid1(VALU_DEP_1)
	v_or_b32_e32 v6, v6, v7
	v_dual_mov_b32 v7, 0x7e00 :: v_dual_add_nc_u32 v4, v4, v6
	s_delay_alu instid0(VALU_DEP_1) | instskip(SKIP_1) | instid1(VALU_DEP_3)
	v_cndmask_b32_e32 v2, 0x7c00, v7, vcc_lo
	v_cmp_gt_i32_e32 vcc_lo, 31, v5
	v_cndmask_b32_e32 v4, 0x7c00, v4, vcc_lo
	v_cmp_eq_u32_e32 vcc_lo, 0x40f, v5
	s_delay_alu instid0(VALU_DEP_2) | instskip(NEXT) | instid1(VALU_DEP_1)
	v_cndmask_b32_e32 v2, v4, v2, vcc_lo
	v_and_or_b32 v2, 0x8000, v3, v2
	s_branch .LBB158_126
.LBB158_124:
	s_mov_b32 s19, -1
                                        ; implicit-def: $vgpr2
	s_branch .LBB158_129
.LBB158_125:
	s_mov_b32 s19, -1
                                        ; implicit-def: $vgpr2
.LBB158_126:
	s_delay_alu instid0(SALU_CYCLE_1)
	s_and_not1_b32 vcc_lo, exec_lo, s19
	s_cbranch_vccnz .LBB158_128
; %bb.127:
	s_wait_loadcnt 0x0
	global_load_b32 v2, v[0:1], off
	s_wait_loadcnt 0x0
	v_cvt_f16_f32_e32 v2, v2
.LBB158_128:
	s_mov_b32 s19, 0
.LBB158_129:
	s_delay_alu instid0(SALU_CYCLE_1)
	s_and_not1_b32 vcc_lo, exec_lo, s19
	s_cbranch_vccnz .LBB158_131
; %bb.130:
	s_wait_loadcnt 0x0
	global_load_u16 v2, v[0:1], off
.LBB158_131:
	s_cbranch_execnz .LBB158_151
.LBB158_132:
	s_cmp_lt_i32 s0, 2
	s_cbranch_scc1 .LBB158_136
; %bb.133:
	s_cmp_lt_i32 s0, 3
	s_cbranch_scc1 .LBB158_137
; %bb.134:
	s_cmp_gt_i32 s0, 3
	s_cbranch_scc0 .LBB158_138
; %bb.135:
	s_wait_loadcnt 0x0
	global_load_b64 v[2:3], v[0:1], off
	s_mov_b32 s19, 0
	s_wait_loadcnt 0x0
	v_xor_b32_e32 v4, v2, v3
	v_cls_i32_e32 v5, v3
	s_delay_alu instid0(VALU_DEP_2) | instskip(NEXT) | instid1(VALU_DEP_1)
	v_ashrrev_i32_e32 v4, 31, v4
	v_add_nc_u32_e32 v4, 32, v4
	s_delay_alu instid0(VALU_DEP_1) | instskip(NEXT) | instid1(VALU_DEP_1)
	v_add_min_u32_e64 v4, v5, -1, v4
	v_lshlrev_b64_e32 v[2:3], v4, v[2:3]
	s_delay_alu instid0(VALU_DEP_1) | instskip(NEXT) | instid1(VALU_DEP_1)
	v_min_u32_e32 v2, 1, v2
	v_dual_sub_nc_u32 v3, 32, v4 :: v_dual_bitop2_b32 v2, v3, v2 bitop3:0x54
	s_delay_alu instid0(VALU_DEP_1) | instskip(NEXT) | instid1(VALU_DEP_1)
	v_cvt_f32_i32_e32 v2, v2
	v_ldexp_f32 v2, v2, v3
	s_delay_alu instid0(VALU_DEP_1)
	v_cvt_f16_f32_e32 v2, v2
	s_branch .LBB158_139
.LBB158_136:
	s_mov_b32 s19, -1
                                        ; implicit-def: $vgpr2
	s_branch .LBB158_145
.LBB158_137:
	s_mov_b32 s19, -1
                                        ; implicit-def: $vgpr2
	s_branch .LBB158_142
.LBB158_138:
	s_mov_b32 s19, -1
                                        ; implicit-def: $vgpr2
.LBB158_139:
	s_delay_alu instid0(SALU_CYCLE_1)
	s_and_not1_b32 vcc_lo, exec_lo, s19
	s_cbranch_vccnz .LBB158_141
; %bb.140:
	s_wait_loadcnt 0x0
	global_load_b32 v2, v[0:1], off
	s_wait_loadcnt 0x0
	v_cvt_f32_i32_e32 v2, v2
	s_delay_alu instid0(VALU_DEP_1)
	v_cvt_f16_f32_e32 v2, v2
.LBB158_141:
	s_mov_b32 s19, 0
.LBB158_142:
	s_delay_alu instid0(SALU_CYCLE_1)
	s_and_not1_b32 vcc_lo, exec_lo, s19
	s_cbranch_vccnz .LBB158_144
; %bb.143:
	s_wait_loadcnt 0x0
	global_load_u16 v2, v[0:1], off
	s_wait_loadcnt 0x0
	v_cvt_f16_i16_e32 v2, v2
.LBB158_144:
	s_mov_b32 s19, 0
.LBB158_145:
	s_delay_alu instid0(SALU_CYCLE_1)
	s_and_not1_b32 vcc_lo, exec_lo, s19
	s_cbranch_vccnz .LBB158_151
; %bb.146:
	s_cmp_gt_i32 s0, 0
	s_mov_b32 s0, 0
	s_cbranch_scc0 .LBB158_148
; %bb.147:
	s_wait_loadcnt 0x0
	global_load_i8 v2, v[0:1], off
	s_wait_loadcnt 0x0
	v_cvt_f16_i16_e32 v2, v2
	s_branch .LBB158_149
.LBB158_148:
	s_mov_b32 s0, -1
                                        ; implicit-def: $vgpr2
.LBB158_149:
	s_delay_alu instid0(SALU_CYCLE_1)
	s_and_not1_b32 vcc_lo, exec_lo, s0
	s_cbranch_vccnz .LBB158_151
; %bb.150:
	global_load_u8 v0, v[0:1], off
	s_wait_loadcnt 0x0
	v_cvt_f16_u16_e32 v2, v0
.LBB158_151:
	s_branch .LBB158_11
.LBB158_152:
	s_mov_b32 s0, 0
	s_mov_b32 s21, 0
	;; [unrolled: 1-line block ×3, first 2 shown]
	s_branch .LBB158_510
.LBB158_153:
	s_mov_b32 s22, -1
.LBB158_154:
	s_mov_b32 s21, 0
                                        ; implicit-def: $vgpr3
.LBB158_155:
	s_and_b32 vcc_lo, exec_lo, s26
	s_cbranch_vccz .LBB158_160
; %bb.156:
	s_cmp_eq_u32 s19, 44
	s_cbranch_scc0 .LBB158_159
; %bb.157:
	global_load_u8 v3, v[0:1], off
	s_mov_b32 s22, 0
	s_mov_b32 s21, -1
	s_wait_loadcnt 0x0
	v_lshlrev_b32_e32 v4, 23, v3
	v_cmp_ne_u32_e32 vcc_lo, 0xff, v3
	s_delay_alu instid0(VALU_DEP_2) | instskip(NEXT) | instid1(VALU_DEP_1)
	v_cvt_f16_f32_e32 v4, v4
	v_cndmask_b32_e32 v4, 0x7e00, v4, vcc_lo
	v_cmp_ne_u32_e32 vcc_lo, 0, v3
	s_delay_alu instid0(VALU_DEP_2)
	v_cndmask_b32_e32 v3, 0, v4, vcc_lo
	s_branch .LBB158_160
.LBB158_158:
	s_mov_b32 s26, -1
	s_mov_b32 s21, 0
	s_branch .LBB158_271
.LBB158_159:
	s_mov_b32 s22, -1
                                        ; implicit-def: $vgpr3
.LBB158_160:
	s_mov_b32 s26, 0
.LBB158_161:
	s_delay_alu instid0(SALU_CYCLE_1)
	s_and_b32 vcc_lo, exec_lo, s26
	s_cbranch_vccz .LBB158_165
; %bb.162:
	s_cmp_eq_u32 s19, 29
	s_cbranch_scc0 .LBB158_164
; %bb.163:
	global_load_b64 v[4:5], v[0:1], off
	s_mov_b32 s21, -1
	s_mov_b32 s22, 0
	s_mov_b32 s26, 0
	s_wait_loadcnt 0x0
	v_clz_i32_u32_e32 v3, v5
	s_delay_alu instid0(VALU_DEP_1) | instskip(NEXT) | instid1(VALU_DEP_1)
	v_min_u32_e32 v3, 32, v3
	v_lshlrev_b64_e32 v[4:5], v3, v[4:5]
	v_sub_nc_u32_e32 v3, 32, v3
	s_delay_alu instid0(VALU_DEP_2) | instskip(NEXT) | instid1(VALU_DEP_1)
	v_min_u32_e32 v4, 1, v4
	v_or_b32_e32 v4, v5, v4
	s_delay_alu instid0(VALU_DEP_1) | instskip(NEXT) | instid1(VALU_DEP_1)
	v_cvt_f32_u32_e32 v4, v4
	v_ldexp_f32 v3, v4, v3
	s_delay_alu instid0(VALU_DEP_1)
	v_cvt_f16_f32_e32 v3, v3
	s_branch .LBB158_166
.LBB158_164:
	s_mov_b32 s22, -1
                                        ; implicit-def: $vgpr3
.LBB158_165:
	s_mov_b32 s26, 0
.LBB158_166:
	s_delay_alu instid0(SALU_CYCLE_1)
	s_and_b32 vcc_lo, exec_lo, s26
	s_cbranch_vccz .LBB158_184
; %bb.167:
	s_cmp_lt_i32 s19, 27
	s_cbranch_scc1 .LBB158_170
; %bb.168:
	s_cmp_gt_i32 s19, 27
	s_cbranch_scc0 .LBB158_171
; %bb.169:
	global_load_b32 v3, v[0:1], off
	s_mov_b32 s21, 0
	s_wait_loadcnt 0x0
	v_cvt_f32_u32_e32 v3, v3
	s_delay_alu instid0(VALU_DEP_1)
	v_cvt_f16_f32_e32 v3, v3
	s_branch .LBB158_172
.LBB158_170:
	s_mov_b32 s21, -1
                                        ; implicit-def: $vgpr3
	s_branch .LBB158_175
.LBB158_171:
	s_mov_b32 s21, -1
                                        ; implicit-def: $vgpr3
.LBB158_172:
	s_delay_alu instid0(SALU_CYCLE_1)
	s_and_not1_b32 vcc_lo, exec_lo, s21
	s_cbranch_vccnz .LBB158_174
; %bb.173:
	global_load_u16 v3, v[0:1], off
	s_wait_loadcnt 0x0
	v_cvt_f16_u16_e32 v3, v3
.LBB158_174:
	s_mov_b32 s21, 0
.LBB158_175:
	s_delay_alu instid0(SALU_CYCLE_1)
	s_and_not1_b32 vcc_lo, exec_lo, s21
	s_cbranch_vccnz .LBB158_183
; %bb.176:
	global_load_u8 v4, v[0:1], off
	s_mov_b32 s21, 0
	s_mov_b32 s26, exec_lo
	s_wait_loadcnt 0x0
	v_cmpx_lt_i16_e32 0x7f, v4
	s_xor_b32 s26, exec_lo, s26
	s_cbranch_execz .LBB158_197
; %bb.177:
	s_mov_b32 s21, -1
	s_mov_b32 s27, exec_lo
	v_cmpx_eq_u16_e32 0x80, v4
; %bb.178:
	s_xor_b32 s21, exec_lo, -1
; %bb.179:
	s_or_b32 exec_lo, exec_lo, s27
	s_delay_alu instid0(SALU_CYCLE_1)
	s_and_b32 s21, s21, exec_lo
	s_or_saveexec_b32 s26, s26
	v_mov_b32_e32 v3, 0x7e00
	s_xor_b32 exec_lo, exec_lo, s26
	s_cbranch_execnz .LBB158_198
.LBB158_180:
	s_or_b32 exec_lo, exec_lo, s26
	s_and_saveexec_b32 s26, s21
	s_cbranch_execz .LBB158_182
.LBB158_181:
	v_and_b32_e32 v3, 0xffff, v4
	s_delay_alu instid0(VALU_DEP_1) | instskip(SKIP_1) | instid1(VALU_DEP_2)
	v_and_b32_e32 v5, 7, v3
	v_bfe_u32 v9, v3, 3, 4
	v_clz_i32_u32_e32 v6, v5
	s_delay_alu instid0(VALU_DEP_2) | instskip(NEXT) | instid1(VALU_DEP_2)
	v_cmp_eq_u32_e32 vcc_lo, 0, v9
	v_min_u32_e32 v6, 32, v6
	s_delay_alu instid0(VALU_DEP_1) | instskip(NEXT) | instid1(VALU_DEP_1)
	v_subrev_nc_u32_e32 v7, 28, v6
	v_dual_lshlrev_b32 v3, v7, v3 :: v_dual_sub_nc_u32 v6, 29, v6
	s_delay_alu instid0(VALU_DEP_1) | instskip(NEXT) | instid1(VALU_DEP_2)
	v_dual_lshlrev_b32 v4, 24, v4 :: v_dual_bitop2_b32 v3, 7, v3 bitop3:0x40
	v_cndmask_b32_e32 v6, v9, v6, vcc_lo
	s_delay_alu instid0(VALU_DEP_2) | instskip(NEXT) | instid1(VALU_DEP_3)
	v_cndmask_b32_e32 v3, v5, v3, vcc_lo
	v_and_b32_e32 v4, 0x80000000, v4
	s_delay_alu instid0(VALU_DEP_3) | instskip(NEXT) | instid1(VALU_DEP_3)
	v_lshl_add_u32 v5, v6, 23, 0x3b800000
	v_lshlrev_b32_e32 v3, 20, v3
	s_delay_alu instid0(VALU_DEP_1) | instskip(NEXT) | instid1(VALU_DEP_1)
	v_or3_b32 v3, v4, v5, v3
	v_cvt_f16_f32_e32 v3, v3
.LBB158_182:
	s_or_b32 exec_lo, exec_lo, s26
.LBB158_183:
	s_mov_b32 s21, -1
.LBB158_184:
	s_mov_b32 s26, 0
.LBB158_185:
	s_delay_alu instid0(SALU_CYCLE_1)
	s_and_b32 vcc_lo, exec_lo, s26
	s_cbranch_vccz .LBB158_220
; %bb.186:
	s_cmp_gt_i32 s19, 22
	s_cbranch_scc0 .LBB158_196
; %bb.187:
	s_cmp_lt_i32 s19, 24
	s_cbranch_scc1 .LBB158_199
; %bb.188:
	s_cmp_gt_i32 s19, 24
	s_cbranch_scc0 .LBB158_200
; %bb.189:
	global_load_u8 v4, v[0:1], off
	s_mov_b32 s21, 0
	s_mov_b32 s26, exec_lo
	s_wait_loadcnt 0x0
	v_cmpx_lt_i16_e32 0x7f, v4
	s_xor_b32 s26, exec_lo, s26
	s_cbranch_execz .LBB158_212
; %bb.190:
	s_mov_b32 s21, -1
	s_mov_b32 s27, exec_lo
	v_cmpx_eq_u16_e32 0x80, v4
; %bb.191:
	s_xor_b32 s21, exec_lo, -1
; %bb.192:
	s_or_b32 exec_lo, exec_lo, s27
	s_delay_alu instid0(SALU_CYCLE_1)
	s_and_b32 s21, s21, exec_lo
	s_or_saveexec_b32 s26, s26
	v_mov_b32_e32 v3, 0x7e00
	s_xor_b32 exec_lo, exec_lo, s26
	s_cbranch_execnz .LBB158_213
.LBB158_193:
	s_or_b32 exec_lo, exec_lo, s26
	s_and_saveexec_b32 s26, s21
	s_cbranch_execz .LBB158_195
.LBB158_194:
	v_and_b32_e32 v3, 0xffff, v4
	s_delay_alu instid0(VALU_DEP_1) | instskip(SKIP_1) | instid1(VALU_DEP_2)
	v_and_b32_e32 v5, 3, v3
	v_bfe_u32 v9, v3, 2, 5
	v_clz_i32_u32_e32 v6, v5
	s_delay_alu instid0(VALU_DEP_2) | instskip(NEXT) | instid1(VALU_DEP_2)
	v_cmp_eq_u32_e32 vcc_lo, 0, v9
	v_min_u32_e32 v6, 32, v6
	s_delay_alu instid0(VALU_DEP_1) | instskip(NEXT) | instid1(VALU_DEP_1)
	v_subrev_nc_u32_e32 v7, 29, v6
	v_dual_lshlrev_b32 v3, v7, v3 :: v_dual_sub_nc_u32 v6, 30, v6
	s_delay_alu instid0(VALU_DEP_1) | instskip(NEXT) | instid1(VALU_DEP_2)
	v_dual_lshlrev_b32 v4, 24, v4 :: v_dual_bitop2_b32 v3, 3, v3 bitop3:0x40
	v_cndmask_b32_e32 v6, v9, v6, vcc_lo
	s_delay_alu instid0(VALU_DEP_2) | instskip(NEXT) | instid1(VALU_DEP_3)
	v_cndmask_b32_e32 v3, v5, v3, vcc_lo
	v_and_b32_e32 v4, 0x80000000, v4
	s_delay_alu instid0(VALU_DEP_3) | instskip(NEXT) | instid1(VALU_DEP_3)
	v_lshl_add_u32 v5, v6, 23, 0x37800000
	v_lshlrev_b32_e32 v3, 21, v3
	s_delay_alu instid0(VALU_DEP_1) | instskip(NEXT) | instid1(VALU_DEP_1)
	v_or3_b32 v3, v4, v5, v3
	v_cvt_f16_f32_e32 v3, v3
.LBB158_195:
	s_or_b32 exec_lo, exec_lo, s26
	s_mov_b32 s21, 0
	s_branch .LBB158_201
.LBB158_196:
	s_mov_b32 s26, -1
                                        ; implicit-def: $vgpr3
	s_branch .LBB158_207
.LBB158_197:
	s_or_saveexec_b32 s26, s26
	v_mov_b32_e32 v3, 0x7e00
	s_xor_b32 exec_lo, exec_lo, s26
	s_cbranch_execz .LBB158_180
.LBB158_198:
	v_cmp_ne_u16_e32 vcc_lo, 0, v4
	v_mov_b32_e32 v3, v4
	s_and_not1_b32 s21, s21, exec_lo
	s_and_b32 s27, vcc_lo, exec_lo
	s_delay_alu instid0(SALU_CYCLE_1)
	s_or_b32 s21, s21, s27
	s_or_b32 exec_lo, exec_lo, s26
	s_and_saveexec_b32 s26, s21
	s_cbranch_execnz .LBB158_181
	s_branch .LBB158_182
.LBB158_199:
	s_mov_b32 s21, -1
                                        ; implicit-def: $vgpr3
	s_branch .LBB158_204
.LBB158_200:
	s_mov_b32 s21, -1
                                        ; implicit-def: $vgpr3
.LBB158_201:
	s_delay_alu instid0(SALU_CYCLE_1)
	s_and_b32 vcc_lo, exec_lo, s21
	s_cbranch_vccz .LBB158_203
; %bb.202:
	global_load_u8 v3, v[0:1], off
	s_wait_loadcnt 0x0
	v_lshlrev_b32_e32 v3, 24, v3
	s_delay_alu instid0(VALU_DEP_1) | instskip(NEXT) | instid1(VALU_DEP_1)
	v_and_b32_e32 v4, 0x7f000000, v3
	v_clz_i32_u32_e32 v5, v4
	v_cmp_ne_u32_e32 vcc_lo, 0, v4
	v_add_nc_u32_e32 v7, 0x1000000, v4
	s_delay_alu instid0(VALU_DEP_3) | instskip(NEXT) | instid1(VALU_DEP_1)
	v_min_u32_e32 v5, 32, v5
	v_sub_nc_u32_e64 v5, v5, 4 clamp
	s_delay_alu instid0(VALU_DEP_1) | instskip(NEXT) | instid1(VALU_DEP_1)
	v_dual_lshlrev_b32 v6, v5, v4 :: v_dual_lshlrev_b32 v5, 23, v5
	v_lshrrev_b32_e32 v6, 4, v6
	s_delay_alu instid0(VALU_DEP_1) | instskip(NEXT) | instid1(VALU_DEP_1)
	v_dual_sub_nc_u32 v5, v6, v5 :: v_dual_ashrrev_i32 v6, 8, v7
	v_add_nc_u32_e32 v5, 0x3c000000, v5
	s_delay_alu instid0(VALU_DEP_1) | instskip(NEXT) | instid1(VALU_DEP_1)
	v_and_or_b32 v5, 0x7f800000, v6, v5
	v_cndmask_b32_e32 v4, 0, v5, vcc_lo
	s_delay_alu instid0(VALU_DEP_1) | instskip(NEXT) | instid1(VALU_DEP_1)
	v_and_or_b32 v3, 0x80000000, v3, v4
	v_cvt_f16_f32_e32 v3, v3
.LBB158_203:
	s_mov_b32 s21, 0
.LBB158_204:
	s_delay_alu instid0(SALU_CYCLE_1)
	s_and_not1_b32 vcc_lo, exec_lo, s21
	s_cbranch_vccnz .LBB158_206
; %bb.205:
	global_load_u8 v3, v[0:1], off
	s_wait_loadcnt 0x0
	v_lshlrev_b32_e32 v4, 25, v3
	v_lshlrev_b16 v3, 8, v3
	s_delay_alu instid0(VALU_DEP_1) | instskip(SKIP_1) | instid1(VALU_DEP_2)
	v_and_or_b32 v6, 0x7f00, v3, 0.5
	v_bfe_i32 v3, v3, 0, 16
	v_dual_add_f32 v6, -0.5, v6 :: v_dual_lshrrev_b32 v5, 4, v4
	v_cmp_gt_u32_e32 vcc_lo, 0x8000000, v4
	s_delay_alu instid0(VALU_DEP_2) | instskip(NEXT) | instid1(VALU_DEP_1)
	v_or_b32_e32 v5, 0x70000000, v5
	v_mul_f32_e32 v5, 0x7800000, v5
	s_delay_alu instid0(VALU_DEP_1) | instskip(NEXT) | instid1(VALU_DEP_1)
	v_cndmask_b32_e32 v4, v5, v6, vcc_lo
	v_and_or_b32 v3, 0x80000000, v3, v4
	s_delay_alu instid0(VALU_DEP_1)
	v_cvt_f16_f32_e32 v3, v3
.LBB158_206:
	s_mov_b32 s26, 0
	s_mov_b32 s21, -1
.LBB158_207:
	s_and_not1_b32 vcc_lo, exec_lo, s26
	s_cbranch_vccnz .LBB158_220
; %bb.208:
	s_cmp_gt_i32 s19, 14
	s_cbranch_scc0 .LBB158_211
; %bb.209:
	s_cmp_eq_u32 s19, 15
	s_cbranch_scc0 .LBB158_214
; %bb.210:
	global_load_u16 v3, v[0:1], off
	s_mov_b32 s21, -1
	s_mov_b32 s22, 0
	s_wait_loadcnt 0x0
	v_lshlrev_b32_e32 v3, 16, v3
	s_delay_alu instid0(VALU_DEP_1)
	v_cvt_f16_f32_e32 v3, v3
	s_branch .LBB158_215
.LBB158_211:
	s_mov_b32 s26, -1
                                        ; implicit-def: $vgpr3
	s_branch .LBB158_216
.LBB158_212:
	s_or_saveexec_b32 s26, s26
	v_mov_b32_e32 v3, 0x7e00
	s_xor_b32 exec_lo, exec_lo, s26
	s_cbranch_execz .LBB158_193
.LBB158_213:
	v_cmp_ne_u16_e32 vcc_lo, 0, v4
	v_mov_b32_e32 v3, v4
	s_and_not1_b32 s21, s21, exec_lo
	s_and_b32 s27, vcc_lo, exec_lo
	s_delay_alu instid0(SALU_CYCLE_1)
	s_or_b32 s21, s21, s27
	s_or_b32 exec_lo, exec_lo, s26
	s_and_saveexec_b32 s26, s21
	s_cbranch_execnz .LBB158_194
	s_branch .LBB158_195
.LBB158_214:
	s_mov_b32 s22, -1
                                        ; implicit-def: $vgpr3
.LBB158_215:
	s_mov_b32 s26, 0
.LBB158_216:
	s_delay_alu instid0(SALU_CYCLE_1)
	s_and_b32 vcc_lo, exec_lo, s26
	s_cbranch_vccz .LBB158_220
; %bb.217:
	s_cmp_eq_u32 s19, 11
	s_cbranch_scc0 .LBB158_219
; %bb.218:
	global_load_u8 v3, v[0:1], off
	s_mov_b32 s22, 0
	s_mov_b32 s21, -1
	s_wait_loadcnt 0x0
	v_cmp_ne_u16_e32 vcc_lo, 0, v3
	v_cndmask_b32_e64 v3, 0, 0x3c00, vcc_lo
	s_branch .LBB158_220
.LBB158_219:
	s_mov_b32 s22, -1
                                        ; implicit-def: $vgpr3
.LBB158_220:
	s_branch .LBB158_20
.LBB158_221:
	s_and_b32 s0, 0xffff, s0
	s_delay_alu instid0(SALU_CYCLE_1)
	s_cmp_lt_i32 s0, 5
	s_cbranch_scc1 .LBB158_226
; %bb.222:
	s_cmp_lt_i32 s0, 8
	s_cbranch_scc1 .LBB158_227
; %bb.223:
	;; [unrolled: 3-line block ×3, first 2 shown]
	s_cmp_gt_i32 s0, 9
	s_cbranch_scc0 .LBB158_229
; %bb.225:
	global_load_b64 v[4:5], v[0:1], off
	s_mov_b32 s19, 0
	s_wait_loadcnt 0x0
	v_and_or_b32 v3, 0x1ff, v5, v4
	v_lshrrev_b32_e32 v4, 8, v5
	v_bfe_u32 v6, v5, 20, 11
	s_delay_alu instid0(VALU_DEP_3) | instskip(NEXT) | instid1(VALU_DEP_2)
	v_cmp_ne_u32_e32 vcc_lo, 0, v3
	v_sub_nc_u32_e32 v7, 0x3f1, v6
	v_add_nc_u32_e32 v6, 0xfffffc10, v6
	v_cndmask_b32_e64 v3, 0, 1, vcc_lo
	s_delay_alu instid0(VALU_DEP_1) | instskip(NEXT) | instid1(VALU_DEP_4)
	v_and_or_b32 v3, 0xffe, v4, v3
	v_med3_i32 v4, v7, 0, 13
	s_delay_alu instid0(VALU_DEP_2) | instskip(NEXT) | instid1(VALU_DEP_1)
	v_or_b32_e32 v7, 0x1000, v3
	v_lshrrev_b32_e32 v9, v4, v7
	s_delay_alu instid0(VALU_DEP_1) | instskip(NEXT) | instid1(VALU_DEP_1)
	v_lshlrev_b32_e32 v4, v4, v9
	v_cmp_ne_u32_e32 vcc_lo, v4, v7
	v_lshl_or_b32 v7, v6, 12, v3
	v_cndmask_b32_e64 v4, 0, 1, vcc_lo
	v_cmp_gt_i32_e32 vcc_lo, 1, v6
	s_delay_alu instid0(VALU_DEP_2) | instskip(NEXT) | instid1(VALU_DEP_1)
	v_or_b32_e32 v4, v9, v4
	v_cndmask_b32_e32 v4, v7, v4, vcc_lo
	s_delay_alu instid0(VALU_DEP_1) | instskip(NEXT) | instid1(VALU_DEP_1)
	v_dual_lshrrev_b32 v4, 2, v4 :: v_dual_bitop2_b32 v7, 7, v4 bitop3:0x40
	v_cmp_lt_i32_e32 vcc_lo, 5, v7
	v_cndmask_b32_e64 v9, 0, 1, vcc_lo
	v_cmp_eq_u32_e32 vcc_lo, 3, v7
	v_cndmask_b32_e64 v7, 0, 1, vcc_lo
	v_cmp_ne_u32_e32 vcc_lo, 0, v3
	s_delay_alu instid0(VALU_DEP_2) | instskip(NEXT) | instid1(VALU_DEP_1)
	v_or_b32_e32 v7, v7, v9
	v_dual_mov_b32 v9, 0x7e00 :: v_dual_add_nc_u32 v4, v4, v7
	s_delay_alu instid0(VALU_DEP_1) | instskip(SKIP_1) | instid1(VALU_DEP_3)
	v_cndmask_b32_e32 v3, 0x7c00, v9, vcc_lo
	v_cmp_gt_i32_e32 vcc_lo, 31, v6
	v_cndmask_b32_e32 v4, 0x7c00, v4, vcc_lo
	v_cmp_eq_u32_e32 vcc_lo, 0x40f, v6
	s_delay_alu instid0(VALU_DEP_2) | instskip(NEXT) | instid1(VALU_DEP_1)
	v_dual_cndmask_b32 v3, v4, v3 :: v_dual_lshrrev_b32 v4, 16, v5
	v_and_or_b32 v3, 0x8000, v4, v3
	s_branch .LBB158_230
.LBB158_226:
	s_mov_b32 s19, -1
                                        ; implicit-def: $vgpr3
	s_branch .LBB158_248
.LBB158_227:
	s_mov_b32 s19, -1
                                        ; implicit-def: $vgpr3
	s_branch .LBB158_236
.LBB158_228:
	s_mov_b32 s19, -1
                                        ; implicit-def: $vgpr3
	s_branch .LBB158_233
.LBB158_229:
	s_mov_b32 s19, -1
                                        ; implicit-def: $vgpr3
.LBB158_230:
	s_delay_alu instid0(SALU_CYCLE_1)
	s_and_not1_b32 vcc_lo, exec_lo, s19
	s_cbranch_vccnz .LBB158_232
; %bb.231:
	global_load_b32 v3, v[0:1], off
	s_wait_loadcnt 0x0
	v_cvt_f16_f32_e32 v3, v3
.LBB158_232:
	s_mov_b32 s19, 0
.LBB158_233:
	s_delay_alu instid0(SALU_CYCLE_1)
	s_and_not1_b32 vcc_lo, exec_lo, s19
	s_cbranch_vccnz .LBB158_235
; %bb.234:
	global_load_b32 v3, v[0:1], off
.LBB158_235:
	s_mov_b32 s19, 0
.LBB158_236:
	s_delay_alu instid0(SALU_CYCLE_1)
	s_and_not1_b32 vcc_lo, exec_lo, s19
	s_cbranch_vccnz .LBB158_247
; %bb.237:
	s_cmp_lt_i32 s0, 6
	s_cbranch_scc1 .LBB158_240
; %bb.238:
	s_cmp_gt_i32 s0, 6
	s_cbranch_scc0 .LBB158_241
; %bb.239:
	global_load_b64 v[4:5], v[0:1], off
	s_mov_b32 s19, 0
	s_wait_loadcnt 0x0
	v_and_or_b32 v3, 0x1ff, v5, v4
	v_lshrrev_b32_e32 v4, 8, v5
	v_bfe_u32 v6, v5, 20, 11
	s_delay_alu instid0(VALU_DEP_3) | instskip(NEXT) | instid1(VALU_DEP_2)
	v_cmp_ne_u32_e32 vcc_lo, 0, v3
	v_sub_nc_u32_e32 v7, 0x3f1, v6
	v_add_nc_u32_e32 v6, 0xfffffc10, v6
	v_cndmask_b32_e64 v3, 0, 1, vcc_lo
	s_delay_alu instid0(VALU_DEP_1) | instskip(NEXT) | instid1(VALU_DEP_4)
	v_and_or_b32 v3, 0xffe, v4, v3
	v_med3_i32 v4, v7, 0, 13
	s_delay_alu instid0(VALU_DEP_2) | instskip(NEXT) | instid1(VALU_DEP_1)
	v_or_b32_e32 v7, 0x1000, v3
	v_lshrrev_b32_e32 v9, v4, v7
	s_delay_alu instid0(VALU_DEP_1) | instskip(NEXT) | instid1(VALU_DEP_1)
	v_lshlrev_b32_e32 v4, v4, v9
	v_cmp_ne_u32_e32 vcc_lo, v4, v7
	v_lshl_or_b32 v7, v6, 12, v3
	v_cndmask_b32_e64 v4, 0, 1, vcc_lo
	v_cmp_gt_i32_e32 vcc_lo, 1, v6
	s_delay_alu instid0(VALU_DEP_2) | instskip(NEXT) | instid1(VALU_DEP_1)
	v_or_b32_e32 v4, v9, v4
	v_cndmask_b32_e32 v4, v7, v4, vcc_lo
	s_delay_alu instid0(VALU_DEP_1) | instskip(NEXT) | instid1(VALU_DEP_1)
	v_dual_lshrrev_b32 v4, 2, v4 :: v_dual_bitop2_b32 v7, 7, v4 bitop3:0x40
	v_cmp_lt_i32_e32 vcc_lo, 5, v7
	v_cndmask_b32_e64 v9, 0, 1, vcc_lo
	v_cmp_eq_u32_e32 vcc_lo, 3, v7
	v_cndmask_b32_e64 v7, 0, 1, vcc_lo
	v_cmp_ne_u32_e32 vcc_lo, 0, v3
	s_delay_alu instid0(VALU_DEP_2) | instskip(NEXT) | instid1(VALU_DEP_1)
	v_or_b32_e32 v7, v7, v9
	v_dual_mov_b32 v9, 0x7e00 :: v_dual_add_nc_u32 v4, v4, v7
	s_delay_alu instid0(VALU_DEP_1) | instskip(SKIP_1) | instid1(VALU_DEP_3)
	v_cndmask_b32_e32 v3, 0x7c00, v9, vcc_lo
	v_cmp_gt_i32_e32 vcc_lo, 31, v6
	v_cndmask_b32_e32 v4, 0x7c00, v4, vcc_lo
	v_cmp_eq_u32_e32 vcc_lo, 0x40f, v6
	s_delay_alu instid0(VALU_DEP_2) | instskip(NEXT) | instid1(VALU_DEP_1)
	v_dual_cndmask_b32 v3, v4, v3 :: v_dual_lshrrev_b32 v4, 16, v5
	v_and_or_b32 v3, 0x8000, v4, v3
	s_branch .LBB158_242
.LBB158_240:
	s_mov_b32 s19, -1
                                        ; implicit-def: $vgpr3
	s_branch .LBB158_245
.LBB158_241:
	s_mov_b32 s19, -1
                                        ; implicit-def: $vgpr3
.LBB158_242:
	s_delay_alu instid0(SALU_CYCLE_1)
	s_and_not1_b32 vcc_lo, exec_lo, s19
	s_cbranch_vccnz .LBB158_244
; %bb.243:
	s_wait_loadcnt 0x0
	global_load_b32 v3, v[0:1], off
	s_wait_loadcnt 0x0
	v_cvt_f16_f32_e32 v3, v3
.LBB158_244:
	s_mov_b32 s19, 0
.LBB158_245:
	s_delay_alu instid0(SALU_CYCLE_1)
	s_and_not1_b32 vcc_lo, exec_lo, s19
	s_cbranch_vccnz .LBB158_247
; %bb.246:
	s_wait_loadcnt 0x0
	global_load_u16 v3, v[0:1], off
.LBB158_247:
	s_mov_b32 s19, 0
.LBB158_248:
	s_delay_alu instid0(SALU_CYCLE_1)
	s_and_not1_b32 vcc_lo, exec_lo, s19
	s_cbranch_vccnz .LBB158_268
; %bb.249:
	s_cmp_lt_i32 s0, 2
	s_cbranch_scc1 .LBB158_253
; %bb.250:
	s_cmp_lt_i32 s0, 3
	s_cbranch_scc1 .LBB158_254
; %bb.251:
	s_cmp_gt_i32 s0, 3
	s_cbranch_scc0 .LBB158_255
; %bb.252:
	global_load_b64 v[4:5], v[0:1], off
	s_mov_b32 s19, 0
	s_wait_loadcnt 0x0
	v_xor_b32_e32 v3, v4, v5
	v_cls_i32_e32 v6, v5
	s_delay_alu instid0(VALU_DEP_2) | instskip(NEXT) | instid1(VALU_DEP_1)
	v_ashrrev_i32_e32 v3, 31, v3
	v_add_nc_u32_e32 v3, 32, v3
	s_delay_alu instid0(VALU_DEP_1) | instskip(NEXT) | instid1(VALU_DEP_1)
	v_add_min_u32_e64 v3, v6, -1, v3
	v_lshlrev_b64_e32 v[4:5], v3, v[4:5]
	v_sub_nc_u32_e32 v3, 32, v3
	s_delay_alu instid0(VALU_DEP_2) | instskip(NEXT) | instid1(VALU_DEP_1)
	v_min_u32_e32 v4, 1, v4
	v_or_b32_e32 v4, v5, v4
	s_delay_alu instid0(VALU_DEP_1) | instskip(NEXT) | instid1(VALU_DEP_1)
	v_cvt_f32_i32_e32 v4, v4
	v_ldexp_f32 v3, v4, v3
	s_delay_alu instid0(VALU_DEP_1)
	v_cvt_f16_f32_e32 v3, v3
	s_branch .LBB158_256
.LBB158_253:
	s_mov_b32 s19, -1
                                        ; implicit-def: $vgpr3
	s_branch .LBB158_262
.LBB158_254:
	s_mov_b32 s19, -1
                                        ; implicit-def: $vgpr3
	s_branch .LBB158_259
.LBB158_255:
	s_mov_b32 s19, -1
                                        ; implicit-def: $vgpr3
.LBB158_256:
	s_delay_alu instid0(SALU_CYCLE_1)
	s_and_not1_b32 vcc_lo, exec_lo, s19
	s_cbranch_vccnz .LBB158_258
; %bb.257:
	s_wait_loadcnt 0x0
	global_load_b32 v3, v[0:1], off
	s_wait_loadcnt 0x0
	v_cvt_f32_i32_e32 v3, v3
	s_delay_alu instid0(VALU_DEP_1)
	v_cvt_f16_f32_e32 v3, v3
.LBB158_258:
	s_mov_b32 s19, 0
.LBB158_259:
	s_delay_alu instid0(SALU_CYCLE_1)
	s_and_not1_b32 vcc_lo, exec_lo, s19
	s_cbranch_vccnz .LBB158_261
; %bb.260:
	s_wait_loadcnt 0x0
	global_load_u16 v3, v[0:1], off
	s_wait_loadcnt 0x0
	v_cvt_f16_i16_e32 v3, v3
.LBB158_261:
	s_mov_b32 s19, 0
.LBB158_262:
	s_delay_alu instid0(SALU_CYCLE_1)
	s_and_not1_b32 vcc_lo, exec_lo, s19
	s_cbranch_vccnz .LBB158_268
; %bb.263:
	s_cmp_gt_i32 s0, 0
	s_mov_b32 s0, 0
	s_cbranch_scc0 .LBB158_265
; %bb.264:
	s_wait_loadcnt 0x0
	global_load_i8 v3, v[0:1], off
	s_wait_loadcnt 0x0
	v_cvt_f16_i16_e32 v3, v3
	s_branch .LBB158_266
.LBB158_265:
	s_mov_b32 s0, -1
                                        ; implicit-def: $vgpr3
.LBB158_266:
	s_delay_alu instid0(SALU_CYCLE_1)
	s_and_not1_b32 vcc_lo, exec_lo, s0
	s_cbranch_vccnz .LBB158_268
; %bb.267:
	global_load_u8 v0, v[0:1], off
	s_wait_loadcnt 0x0
	v_cvt_f16_u16_e32 v3, v0
.LBB158_268:
	s_branch .LBB158_21
.LBB158_269:
	s_mov_b32 s0, 0
	s_mov_b32 s21, 0
	s_branch .LBB158_510
.LBB158_270:
	s_mov_b32 s21, -1
.LBB158_271:
	s_mov_b32 s19, 0
                                        ; implicit-def: $vgpr4
.LBB158_272:
	s_and_b32 vcc_lo, exec_lo, s26
	s_cbranch_vccz .LBB158_276
; %bb.273:
	s_cmp_eq_u32 s0, 44
	s_cbranch_scc0 .LBB158_275
; %bb.274:
	global_load_u8 v4, v[0:1], off
	s_mov_b32 s21, 0
	s_mov_b32 s19, -1
	s_wait_loadcnt 0x0
	v_lshlrev_b32_e32 v5, 23, v4
	v_cmp_ne_u32_e32 vcc_lo, 0xff, v4
	s_delay_alu instid0(VALU_DEP_2) | instskip(NEXT) | instid1(VALU_DEP_1)
	v_cvt_f16_f32_e32 v5, v5
	v_cndmask_b32_e32 v5, 0x7e00, v5, vcc_lo
	v_cmp_ne_u32_e32 vcc_lo, 0, v4
	s_delay_alu instid0(VALU_DEP_2)
	v_cndmask_b32_e32 v4, 0, v5, vcc_lo
	s_branch .LBB158_276
.LBB158_275:
	s_mov_b32 s21, -1
                                        ; implicit-def: $vgpr4
.LBB158_276:
	s_mov_b32 s26, 0
.LBB158_277:
	s_delay_alu instid0(SALU_CYCLE_1)
	s_and_b32 vcc_lo, exec_lo, s26
	s_cbranch_vccz .LBB158_281
; %bb.278:
	s_cmp_eq_u32 s0, 29
	s_cbranch_scc0 .LBB158_280
; %bb.279:
	global_load_b64 v[4:5], v[0:1], off
	s_mov_b32 s19, -1
	s_mov_b32 s21, 0
	s_mov_b32 s26, 0
	s_wait_loadcnt 0x0
	v_clz_i32_u32_e32 v6, v5
	s_delay_alu instid0(VALU_DEP_1) | instskip(NEXT) | instid1(VALU_DEP_1)
	v_min_u32_e32 v6, 32, v6
	v_lshlrev_b64_e32 v[4:5], v6, v[4:5]
	s_delay_alu instid0(VALU_DEP_1) | instskip(NEXT) | instid1(VALU_DEP_1)
	v_min_u32_e32 v4, 1, v4
	v_dual_sub_nc_u32 v5, 32, v6 :: v_dual_bitop2_b32 v4, v5, v4 bitop3:0x54
	s_delay_alu instid0(VALU_DEP_1) | instskip(NEXT) | instid1(VALU_DEP_1)
	v_cvt_f32_u32_e32 v4, v4
	v_ldexp_f32 v4, v4, v5
	s_delay_alu instid0(VALU_DEP_1)
	v_cvt_f16_f32_e32 v4, v4
	s_branch .LBB158_282
.LBB158_280:
	s_mov_b32 s21, -1
                                        ; implicit-def: $vgpr4
.LBB158_281:
	s_mov_b32 s26, 0
.LBB158_282:
	s_delay_alu instid0(SALU_CYCLE_1)
	s_and_b32 vcc_lo, exec_lo, s26
	s_cbranch_vccz .LBB158_300
; %bb.283:
	s_cmp_lt_i32 s0, 27
	s_cbranch_scc1 .LBB158_286
; %bb.284:
	s_cmp_gt_i32 s0, 27
	s_cbranch_scc0 .LBB158_287
; %bb.285:
	global_load_b32 v4, v[0:1], off
	s_mov_b32 s19, 0
	s_wait_loadcnt 0x0
	v_cvt_f32_u32_e32 v4, v4
	s_delay_alu instid0(VALU_DEP_1)
	v_cvt_f16_f32_e32 v4, v4
	s_branch .LBB158_288
.LBB158_286:
	s_mov_b32 s19, -1
                                        ; implicit-def: $vgpr4
	s_branch .LBB158_291
.LBB158_287:
	s_mov_b32 s19, -1
                                        ; implicit-def: $vgpr4
.LBB158_288:
	s_delay_alu instid0(SALU_CYCLE_1)
	s_and_not1_b32 vcc_lo, exec_lo, s19
	s_cbranch_vccnz .LBB158_290
; %bb.289:
	global_load_u16 v4, v[0:1], off
	s_wait_loadcnt 0x0
	v_cvt_f16_u16_e32 v4, v4
.LBB158_290:
	s_mov_b32 s19, 0
.LBB158_291:
	s_delay_alu instid0(SALU_CYCLE_1)
	s_and_not1_b32 vcc_lo, exec_lo, s19
	s_cbranch_vccnz .LBB158_299
; %bb.292:
	global_load_u8 v5, v[0:1], off
	s_mov_b32 s19, 0
	s_mov_b32 s26, exec_lo
	s_wait_loadcnt 0x0
	v_cmpx_lt_i16_e32 0x7f, v5
	s_xor_b32 s26, exec_lo, s26
	s_cbranch_execz .LBB158_313
; %bb.293:
	s_mov_b32 s19, -1
	s_mov_b32 s27, exec_lo
	v_cmpx_eq_u16_e32 0x80, v5
; %bb.294:
	s_xor_b32 s19, exec_lo, -1
; %bb.295:
	s_or_b32 exec_lo, exec_lo, s27
	s_delay_alu instid0(SALU_CYCLE_1)
	s_and_b32 s19, s19, exec_lo
	s_or_saveexec_b32 s26, s26
	v_mov_b32_e32 v4, 0x7e00
	s_xor_b32 exec_lo, exec_lo, s26
	s_cbranch_execnz .LBB158_314
.LBB158_296:
	s_or_b32 exec_lo, exec_lo, s26
	s_and_saveexec_b32 s26, s19
	s_cbranch_execz .LBB158_298
.LBB158_297:
	v_and_b32_e32 v4, 0xffff, v5
	s_delay_alu instid0(VALU_DEP_1) | instskip(SKIP_1) | instid1(VALU_DEP_2)
	v_and_b32_e32 v6, 7, v4
	v_bfe_u32 v10, v4, 3, 4
	v_clz_i32_u32_e32 v7, v6
	s_delay_alu instid0(VALU_DEP_2) | instskip(NEXT) | instid1(VALU_DEP_2)
	v_cmp_eq_u32_e32 vcc_lo, 0, v10
	v_min_u32_e32 v7, 32, v7
	s_delay_alu instid0(VALU_DEP_1) | instskip(NEXT) | instid1(VALU_DEP_1)
	v_subrev_nc_u32_e32 v9, 28, v7
	v_dual_lshlrev_b32 v4, v9, v4 :: v_dual_sub_nc_u32 v7, 29, v7
	s_delay_alu instid0(VALU_DEP_1) | instskip(NEXT) | instid1(VALU_DEP_2)
	v_dual_lshlrev_b32 v5, 24, v5 :: v_dual_bitop2_b32 v4, 7, v4 bitop3:0x40
	v_cndmask_b32_e32 v7, v10, v7, vcc_lo
	s_delay_alu instid0(VALU_DEP_2) | instskip(NEXT) | instid1(VALU_DEP_3)
	v_cndmask_b32_e32 v4, v6, v4, vcc_lo
	v_and_b32_e32 v5, 0x80000000, v5
	s_delay_alu instid0(VALU_DEP_3) | instskip(NEXT) | instid1(VALU_DEP_3)
	v_lshl_add_u32 v6, v7, 23, 0x3b800000
	v_lshlrev_b32_e32 v4, 20, v4
	s_delay_alu instid0(VALU_DEP_1) | instskip(NEXT) | instid1(VALU_DEP_1)
	v_or3_b32 v4, v5, v6, v4
	v_cvt_f16_f32_e32 v4, v4
.LBB158_298:
	s_or_b32 exec_lo, exec_lo, s26
.LBB158_299:
	s_mov_b32 s19, -1
.LBB158_300:
	s_mov_b32 s26, 0
.LBB158_301:
	s_delay_alu instid0(SALU_CYCLE_1)
	s_and_b32 vcc_lo, exec_lo, s26
	s_cbranch_vccz .LBB158_336
; %bb.302:
	s_cmp_gt_i32 s0, 22
	s_cbranch_scc0 .LBB158_312
; %bb.303:
	s_cmp_lt_i32 s0, 24
	s_cbranch_scc1 .LBB158_315
; %bb.304:
	s_cmp_gt_i32 s0, 24
	s_cbranch_scc0 .LBB158_316
; %bb.305:
	global_load_u8 v5, v[0:1], off
	s_mov_b32 s19, 0
	s_mov_b32 s26, exec_lo
	s_wait_loadcnt 0x0
	v_cmpx_lt_i16_e32 0x7f, v5
	s_xor_b32 s26, exec_lo, s26
	s_cbranch_execz .LBB158_328
; %bb.306:
	s_mov_b32 s19, -1
	s_mov_b32 s27, exec_lo
	v_cmpx_eq_u16_e32 0x80, v5
; %bb.307:
	s_xor_b32 s19, exec_lo, -1
; %bb.308:
	s_or_b32 exec_lo, exec_lo, s27
	s_delay_alu instid0(SALU_CYCLE_1)
	s_and_b32 s19, s19, exec_lo
	s_or_saveexec_b32 s26, s26
	v_mov_b32_e32 v4, 0x7e00
	s_xor_b32 exec_lo, exec_lo, s26
	s_cbranch_execnz .LBB158_329
.LBB158_309:
	s_or_b32 exec_lo, exec_lo, s26
	s_and_saveexec_b32 s26, s19
	s_cbranch_execz .LBB158_311
.LBB158_310:
	v_and_b32_e32 v4, 0xffff, v5
	s_delay_alu instid0(VALU_DEP_1) | instskip(SKIP_1) | instid1(VALU_DEP_2)
	v_and_b32_e32 v6, 3, v4
	v_bfe_u32 v10, v4, 2, 5
	v_clz_i32_u32_e32 v7, v6
	s_delay_alu instid0(VALU_DEP_2) | instskip(NEXT) | instid1(VALU_DEP_2)
	v_cmp_eq_u32_e32 vcc_lo, 0, v10
	v_min_u32_e32 v7, 32, v7
	s_delay_alu instid0(VALU_DEP_1) | instskip(NEXT) | instid1(VALU_DEP_1)
	v_subrev_nc_u32_e32 v9, 29, v7
	v_dual_lshlrev_b32 v4, v9, v4 :: v_dual_sub_nc_u32 v7, 30, v7
	s_delay_alu instid0(VALU_DEP_1) | instskip(NEXT) | instid1(VALU_DEP_2)
	v_dual_lshlrev_b32 v5, 24, v5 :: v_dual_bitop2_b32 v4, 3, v4 bitop3:0x40
	v_cndmask_b32_e32 v7, v10, v7, vcc_lo
	s_delay_alu instid0(VALU_DEP_2) | instskip(NEXT) | instid1(VALU_DEP_3)
	v_cndmask_b32_e32 v4, v6, v4, vcc_lo
	v_and_b32_e32 v5, 0x80000000, v5
	s_delay_alu instid0(VALU_DEP_3) | instskip(NEXT) | instid1(VALU_DEP_3)
	v_lshl_add_u32 v6, v7, 23, 0x37800000
	v_lshlrev_b32_e32 v4, 21, v4
	s_delay_alu instid0(VALU_DEP_1) | instskip(NEXT) | instid1(VALU_DEP_1)
	v_or3_b32 v4, v5, v6, v4
	v_cvt_f16_f32_e32 v4, v4
.LBB158_311:
	s_or_b32 exec_lo, exec_lo, s26
	s_mov_b32 s19, 0
	s_branch .LBB158_317
.LBB158_312:
	s_mov_b32 s26, -1
                                        ; implicit-def: $vgpr4
	s_branch .LBB158_323
.LBB158_313:
	s_or_saveexec_b32 s26, s26
	v_mov_b32_e32 v4, 0x7e00
	s_xor_b32 exec_lo, exec_lo, s26
	s_cbranch_execz .LBB158_296
.LBB158_314:
	v_cmp_ne_u16_e32 vcc_lo, 0, v5
	v_mov_b32_e32 v4, v5
	s_and_not1_b32 s19, s19, exec_lo
	s_and_b32 s27, vcc_lo, exec_lo
	s_delay_alu instid0(SALU_CYCLE_1)
	s_or_b32 s19, s19, s27
	s_or_b32 exec_lo, exec_lo, s26
	s_and_saveexec_b32 s26, s19
	s_cbranch_execnz .LBB158_297
	s_branch .LBB158_298
.LBB158_315:
	s_mov_b32 s19, -1
                                        ; implicit-def: $vgpr4
	s_branch .LBB158_320
.LBB158_316:
	s_mov_b32 s19, -1
                                        ; implicit-def: $vgpr4
.LBB158_317:
	s_delay_alu instid0(SALU_CYCLE_1)
	s_and_b32 vcc_lo, exec_lo, s19
	s_cbranch_vccz .LBB158_319
; %bb.318:
	global_load_u8 v4, v[0:1], off
	s_wait_loadcnt 0x0
	v_lshlrev_b32_e32 v4, 24, v4
	s_delay_alu instid0(VALU_DEP_1) | instskip(NEXT) | instid1(VALU_DEP_1)
	v_and_b32_e32 v5, 0x7f000000, v4
	v_clz_i32_u32_e32 v6, v5
	v_add_nc_u32_e32 v9, 0x1000000, v5
	v_cmp_ne_u32_e32 vcc_lo, 0, v5
	s_delay_alu instid0(VALU_DEP_3) | instskip(NEXT) | instid1(VALU_DEP_1)
	v_min_u32_e32 v6, 32, v6
	v_sub_nc_u32_e64 v6, v6, 4 clamp
	s_delay_alu instid0(VALU_DEP_1) | instskip(NEXT) | instid1(VALU_DEP_1)
	v_dual_lshlrev_b32 v7, v6, v5 :: v_dual_lshlrev_b32 v6, 23, v6
	v_lshrrev_b32_e32 v7, 4, v7
	s_delay_alu instid0(VALU_DEP_1) | instskip(NEXT) | instid1(VALU_DEP_1)
	v_dual_sub_nc_u32 v6, v7, v6 :: v_dual_ashrrev_i32 v7, 8, v9
	v_add_nc_u32_e32 v6, 0x3c000000, v6
	s_delay_alu instid0(VALU_DEP_1) | instskip(NEXT) | instid1(VALU_DEP_1)
	v_and_or_b32 v6, 0x7f800000, v7, v6
	v_cndmask_b32_e32 v5, 0, v6, vcc_lo
	s_delay_alu instid0(VALU_DEP_1) | instskip(NEXT) | instid1(VALU_DEP_1)
	v_and_or_b32 v4, 0x80000000, v4, v5
	v_cvt_f16_f32_e32 v4, v4
.LBB158_319:
	s_mov_b32 s19, 0
.LBB158_320:
	s_delay_alu instid0(SALU_CYCLE_1)
	s_and_not1_b32 vcc_lo, exec_lo, s19
	s_cbranch_vccnz .LBB158_322
; %bb.321:
	global_load_u8 v4, v[0:1], off
	s_wait_loadcnt 0x0
	v_lshlrev_b32_e32 v5, 25, v4
	v_lshlrev_b16 v4, 8, v4
	s_delay_alu instid0(VALU_DEP_1) | instskip(SKIP_1) | instid1(VALU_DEP_2)
	v_and_or_b32 v7, 0x7f00, v4, 0.5
	v_bfe_i32 v4, v4, 0, 16
	v_dual_add_f32 v7, -0.5, v7 :: v_dual_lshrrev_b32 v6, 4, v5
	v_cmp_gt_u32_e32 vcc_lo, 0x8000000, v5
	s_delay_alu instid0(VALU_DEP_2) | instskip(NEXT) | instid1(VALU_DEP_1)
	v_or_b32_e32 v6, 0x70000000, v6
	v_mul_f32_e32 v6, 0x7800000, v6
	s_delay_alu instid0(VALU_DEP_1) | instskip(NEXT) | instid1(VALU_DEP_1)
	v_cndmask_b32_e32 v5, v6, v7, vcc_lo
	v_and_or_b32 v4, 0x80000000, v4, v5
	s_delay_alu instid0(VALU_DEP_1)
	v_cvt_f16_f32_e32 v4, v4
.LBB158_322:
	s_mov_b32 s26, 0
	s_mov_b32 s19, -1
.LBB158_323:
	s_and_not1_b32 vcc_lo, exec_lo, s26
	s_cbranch_vccnz .LBB158_336
; %bb.324:
	s_cmp_gt_i32 s0, 14
	s_cbranch_scc0 .LBB158_327
; %bb.325:
	s_cmp_eq_u32 s0, 15
	s_cbranch_scc0 .LBB158_330
; %bb.326:
	global_load_u16 v4, v[0:1], off
	s_mov_b32 s19, -1
	s_mov_b32 s21, 0
	s_wait_loadcnt 0x0
	v_lshlrev_b32_e32 v4, 16, v4
	s_delay_alu instid0(VALU_DEP_1)
	v_cvt_f16_f32_e32 v4, v4
	s_branch .LBB158_331
.LBB158_327:
	s_mov_b32 s26, -1
                                        ; implicit-def: $vgpr4
	s_branch .LBB158_332
.LBB158_328:
	s_or_saveexec_b32 s26, s26
	v_mov_b32_e32 v4, 0x7e00
	s_xor_b32 exec_lo, exec_lo, s26
	s_cbranch_execz .LBB158_309
.LBB158_329:
	v_cmp_ne_u16_e32 vcc_lo, 0, v5
	v_mov_b32_e32 v4, v5
	s_and_not1_b32 s19, s19, exec_lo
	s_and_b32 s27, vcc_lo, exec_lo
	s_delay_alu instid0(SALU_CYCLE_1)
	s_or_b32 s19, s19, s27
	s_or_b32 exec_lo, exec_lo, s26
	s_and_saveexec_b32 s26, s19
	s_cbranch_execnz .LBB158_310
	s_branch .LBB158_311
.LBB158_330:
	s_mov_b32 s21, -1
                                        ; implicit-def: $vgpr4
.LBB158_331:
	s_mov_b32 s26, 0
.LBB158_332:
	s_delay_alu instid0(SALU_CYCLE_1)
	s_and_b32 vcc_lo, exec_lo, s26
	s_cbranch_vccz .LBB158_336
; %bb.333:
	s_cmp_eq_u32 s0, 11
	s_cbranch_scc0 .LBB158_335
; %bb.334:
	global_load_u8 v4, v[0:1], off
	s_mov_b32 s21, 0
	s_mov_b32 s19, -1
	s_wait_loadcnt 0x0
	v_cmp_ne_u16_e32 vcc_lo, 0, v4
	v_cndmask_b32_e64 v4, 0, 0x3c00, vcc_lo
	s_branch .LBB158_336
.LBB158_335:
	s_mov_b32 s21, -1
                                        ; implicit-def: $vgpr4
.LBB158_336:
	s_mov_b32 s26, 0
.LBB158_337:
	s_delay_alu instid0(SALU_CYCLE_1)
	s_and_b32 vcc_lo, exec_lo, s26
	s_cbranch_vccz .LBB158_386
; %bb.338:
	s_cmp_lt_i32 s0, 5
	s_cbranch_scc1 .LBB158_343
; %bb.339:
	s_cmp_lt_i32 s0, 8
	s_cbranch_scc1 .LBB158_344
	;; [unrolled: 3-line block ×3, first 2 shown]
; %bb.341:
	s_cmp_gt_i32 s0, 9
	s_cbranch_scc0 .LBB158_346
; %bb.342:
	global_load_b64 v[4:5], v[0:1], off
	s_mov_b32 s19, 0
	s_wait_loadcnt 0x0
	v_and_or_b32 v4, 0x1ff, v5, v4
	v_lshrrev_b32_e32 v6, 8, v5
	v_bfe_u32 v7, v5, 20, 11
	v_lshrrev_b32_e32 v5, 16, v5
	s_delay_alu instid0(VALU_DEP_4) | instskip(NEXT) | instid1(VALU_DEP_3)
	v_cmp_ne_u32_e32 vcc_lo, 0, v4
	v_sub_nc_u32_e32 v9, 0x3f1, v7
	v_add_nc_u32_e32 v7, 0xfffffc10, v7
	v_cndmask_b32_e64 v4, 0, 1, vcc_lo
	s_delay_alu instid0(VALU_DEP_1) | instskip(NEXT) | instid1(VALU_DEP_4)
	v_and_or_b32 v4, 0xffe, v6, v4
	v_med3_i32 v6, v9, 0, 13
	s_delay_alu instid0(VALU_DEP_2) | instskip(NEXT) | instid1(VALU_DEP_1)
	v_or_b32_e32 v9, 0x1000, v4
	v_lshrrev_b32_e32 v10, v6, v9
	s_delay_alu instid0(VALU_DEP_1) | instskip(NEXT) | instid1(VALU_DEP_1)
	v_lshlrev_b32_e32 v6, v6, v10
	v_cmp_ne_u32_e32 vcc_lo, v6, v9
	v_lshl_or_b32 v9, v7, 12, v4
	v_cndmask_b32_e64 v6, 0, 1, vcc_lo
	v_cmp_gt_i32_e32 vcc_lo, 1, v7
	s_delay_alu instid0(VALU_DEP_2) | instskip(NEXT) | instid1(VALU_DEP_1)
	v_or_b32_e32 v6, v10, v6
	v_cndmask_b32_e32 v6, v9, v6, vcc_lo
	s_delay_alu instid0(VALU_DEP_1) | instskip(NEXT) | instid1(VALU_DEP_1)
	v_dual_lshrrev_b32 v6, 2, v6 :: v_dual_bitop2_b32 v9, 7, v6 bitop3:0x40
	v_cmp_lt_i32_e32 vcc_lo, 5, v9
	v_cndmask_b32_e64 v10, 0, 1, vcc_lo
	v_cmp_eq_u32_e32 vcc_lo, 3, v9
	v_cndmask_b32_e64 v9, 0, 1, vcc_lo
	v_cmp_ne_u32_e32 vcc_lo, 0, v4
	s_delay_alu instid0(VALU_DEP_2) | instskip(SKIP_1) | instid1(VALU_DEP_2)
	v_or_b32_e32 v9, v9, v10
	v_mov_b32_e32 v10, 0x7e00
	v_add_nc_u32_e32 v6, v6, v9
	s_delay_alu instid0(VALU_DEP_2) | instskip(SKIP_1) | instid1(VALU_DEP_3)
	v_cndmask_b32_e32 v4, 0x7c00, v10, vcc_lo
	v_cmp_gt_i32_e32 vcc_lo, 31, v7
	v_cndmask_b32_e32 v6, 0x7c00, v6, vcc_lo
	v_cmp_eq_u32_e32 vcc_lo, 0x40f, v7
	s_delay_alu instid0(VALU_DEP_2) | instskip(NEXT) | instid1(VALU_DEP_1)
	v_cndmask_b32_e32 v4, v6, v4, vcc_lo
	v_and_or_b32 v4, 0x8000, v5, v4
	s_branch .LBB158_347
.LBB158_343:
	s_mov_b32 s19, -1
                                        ; implicit-def: $vgpr4
	s_branch .LBB158_365
.LBB158_344:
	s_mov_b32 s19, -1
                                        ; implicit-def: $vgpr4
	s_branch .LBB158_353
.LBB158_345:
	s_mov_b32 s19, -1
                                        ; implicit-def: $vgpr4
	s_branch .LBB158_350
.LBB158_346:
	s_mov_b32 s19, -1
                                        ; implicit-def: $vgpr4
.LBB158_347:
	s_delay_alu instid0(SALU_CYCLE_1)
	s_and_not1_b32 vcc_lo, exec_lo, s19
	s_cbranch_vccnz .LBB158_349
; %bb.348:
	global_load_b32 v4, v[0:1], off
	s_wait_loadcnt 0x0
	v_cvt_f16_f32_e32 v4, v4
.LBB158_349:
	s_mov_b32 s19, 0
.LBB158_350:
	s_delay_alu instid0(SALU_CYCLE_1)
	s_and_not1_b32 vcc_lo, exec_lo, s19
	s_cbranch_vccnz .LBB158_352
; %bb.351:
	global_load_b32 v4, v[0:1], off
.LBB158_352:
	s_mov_b32 s19, 0
.LBB158_353:
	s_delay_alu instid0(SALU_CYCLE_1)
	s_and_not1_b32 vcc_lo, exec_lo, s19
	s_cbranch_vccnz .LBB158_364
; %bb.354:
	s_cmp_lt_i32 s0, 6
	s_cbranch_scc1 .LBB158_357
; %bb.355:
	s_cmp_gt_i32 s0, 6
	s_cbranch_scc0 .LBB158_358
; %bb.356:
	s_wait_loadcnt 0x0
	global_load_b64 v[4:5], v[0:1], off
	s_mov_b32 s19, 0
	s_wait_loadcnt 0x0
	v_and_or_b32 v4, 0x1ff, v5, v4
	v_lshrrev_b32_e32 v6, 8, v5
	v_bfe_u32 v7, v5, 20, 11
	v_lshrrev_b32_e32 v5, 16, v5
	s_delay_alu instid0(VALU_DEP_4) | instskip(NEXT) | instid1(VALU_DEP_3)
	v_cmp_ne_u32_e32 vcc_lo, 0, v4
	v_sub_nc_u32_e32 v9, 0x3f1, v7
	v_add_nc_u32_e32 v7, 0xfffffc10, v7
	v_cndmask_b32_e64 v4, 0, 1, vcc_lo
	s_delay_alu instid0(VALU_DEP_1) | instskip(NEXT) | instid1(VALU_DEP_4)
	v_and_or_b32 v4, 0xffe, v6, v4
	v_med3_i32 v6, v9, 0, 13
	s_delay_alu instid0(VALU_DEP_2) | instskip(NEXT) | instid1(VALU_DEP_1)
	v_or_b32_e32 v9, 0x1000, v4
	v_lshrrev_b32_e32 v10, v6, v9
	s_delay_alu instid0(VALU_DEP_1) | instskip(NEXT) | instid1(VALU_DEP_1)
	v_lshlrev_b32_e32 v6, v6, v10
	v_cmp_ne_u32_e32 vcc_lo, v6, v9
	v_lshl_or_b32 v9, v7, 12, v4
	v_cndmask_b32_e64 v6, 0, 1, vcc_lo
	v_cmp_gt_i32_e32 vcc_lo, 1, v7
	s_delay_alu instid0(VALU_DEP_2) | instskip(NEXT) | instid1(VALU_DEP_1)
	v_or_b32_e32 v6, v10, v6
	v_cndmask_b32_e32 v6, v9, v6, vcc_lo
	s_delay_alu instid0(VALU_DEP_1) | instskip(NEXT) | instid1(VALU_DEP_1)
	v_dual_lshrrev_b32 v6, 2, v6 :: v_dual_bitop2_b32 v9, 7, v6 bitop3:0x40
	v_cmp_lt_i32_e32 vcc_lo, 5, v9
	v_cndmask_b32_e64 v10, 0, 1, vcc_lo
	v_cmp_eq_u32_e32 vcc_lo, 3, v9
	v_cndmask_b32_e64 v9, 0, 1, vcc_lo
	v_cmp_ne_u32_e32 vcc_lo, 0, v4
	s_delay_alu instid0(VALU_DEP_2) | instskip(SKIP_1) | instid1(VALU_DEP_2)
	v_or_b32_e32 v9, v9, v10
	v_mov_b32_e32 v10, 0x7e00
	v_add_nc_u32_e32 v6, v6, v9
	s_delay_alu instid0(VALU_DEP_2) | instskip(SKIP_1) | instid1(VALU_DEP_3)
	v_cndmask_b32_e32 v4, 0x7c00, v10, vcc_lo
	v_cmp_gt_i32_e32 vcc_lo, 31, v7
	v_cndmask_b32_e32 v6, 0x7c00, v6, vcc_lo
	v_cmp_eq_u32_e32 vcc_lo, 0x40f, v7
	s_delay_alu instid0(VALU_DEP_2) | instskip(NEXT) | instid1(VALU_DEP_1)
	v_cndmask_b32_e32 v4, v6, v4, vcc_lo
	v_and_or_b32 v4, 0x8000, v5, v4
	s_branch .LBB158_359
.LBB158_357:
	s_mov_b32 s19, -1
                                        ; implicit-def: $vgpr4
	s_branch .LBB158_362
.LBB158_358:
	s_mov_b32 s19, -1
                                        ; implicit-def: $vgpr4
.LBB158_359:
	s_delay_alu instid0(SALU_CYCLE_1)
	s_and_not1_b32 vcc_lo, exec_lo, s19
	s_cbranch_vccnz .LBB158_361
; %bb.360:
	s_wait_loadcnt 0x0
	global_load_b32 v4, v[0:1], off
	s_wait_loadcnt 0x0
	v_cvt_f16_f32_e32 v4, v4
.LBB158_361:
	s_mov_b32 s19, 0
.LBB158_362:
	s_delay_alu instid0(SALU_CYCLE_1)
	s_and_not1_b32 vcc_lo, exec_lo, s19
	s_cbranch_vccnz .LBB158_364
; %bb.363:
	s_wait_loadcnt 0x0
	global_load_u16 v4, v[0:1], off
.LBB158_364:
	s_mov_b32 s19, 0
.LBB158_365:
	s_delay_alu instid0(SALU_CYCLE_1)
	s_and_not1_b32 vcc_lo, exec_lo, s19
	s_cbranch_vccnz .LBB158_385
; %bb.366:
	s_cmp_lt_i32 s0, 2
	s_cbranch_scc1 .LBB158_370
; %bb.367:
	s_cmp_lt_i32 s0, 3
	s_cbranch_scc1 .LBB158_371
; %bb.368:
	s_cmp_gt_i32 s0, 3
	s_cbranch_scc0 .LBB158_372
; %bb.369:
	s_wait_loadcnt 0x0
	global_load_b64 v[4:5], v[0:1], off
	s_mov_b32 s19, 0
	s_wait_loadcnt 0x0
	v_xor_b32_e32 v6, v4, v5
	v_cls_i32_e32 v7, v5
	s_delay_alu instid0(VALU_DEP_2) | instskip(NEXT) | instid1(VALU_DEP_1)
	v_ashrrev_i32_e32 v6, 31, v6
	v_add_nc_u32_e32 v6, 32, v6
	s_delay_alu instid0(VALU_DEP_1) | instskip(NEXT) | instid1(VALU_DEP_1)
	v_add_min_u32_e64 v6, v7, -1, v6
	v_lshlrev_b64_e32 v[4:5], v6, v[4:5]
	s_delay_alu instid0(VALU_DEP_1) | instskip(NEXT) | instid1(VALU_DEP_1)
	v_min_u32_e32 v4, 1, v4
	v_dual_sub_nc_u32 v5, 32, v6 :: v_dual_bitop2_b32 v4, v5, v4 bitop3:0x54
	s_delay_alu instid0(VALU_DEP_1) | instskip(NEXT) | instid1(VALU_DEP_1)
	v_cvt_f32_i32_e32 v4, v4
	v_ldexp_f32 v4, v4, v5
	s_delay_alu instid0(VALU_DEP_1)
	v_cvt_f16_f32_e32 v4, v4
	s_branch .LBB158_373
.LBB158_370:
	s_mov_b32 s19, -1
                                        ; implicit-def: $vgpr4
	s_branch .LBB158_379
.LBB158_371:
	s_mov_b32 s19, -1
                                        ; implicit-def: $vgpr4
	s_branch .LBB158_376
.LBB158_372:
	s_mov_b32 s19, -1
                                        ; implicit-def: $vgpr4
.LBB158_373:
	s_delay_alu instid0(SALU_CYCLE_1)
	s_and_not1_b32 vcc_lo, exec_lo, s19
	s_cbranch_vccnz .LBB158_375
; %bb.374:
	s_wait_loadcnt 0x0
	global_load_b32 v4, v[0:1], off
	s_wait_loadcnt 0x0
	v_cvt_f32_i32_e32 v4, v4
	s_delay_alu instid0(VALU_DEP_1)
	v_cvt_f16_f32_e32 v4, v4
.LBB158_375:
	s_mov_b32 s19, 0
.LBB158_376:
	s_delay_alu instid0(SALU_CYCLE_1)
	s_and_not1_b32 vcc_lo, exec_lo, s19
	s_cbranch_vccnz .LBB158_378
; %bb.377:
	s_wait_loadcnt 0x0
	global_load_u16 v4, v[0:1], off
	s_wait_loadcnt 0x0
	v_cvt_f16_i16_e32 v4, v4
.LBB158_378:
	s_mov_b32 s19, 0
.LBB158_379:
	s_delay_alu instid0(SALU_CYCLE_1)
	s_and_not1_b32 vcc_lo, exec_lo, s19
	s_cbranch_vccnz .LBB158_385
; %bb.380:
	s_cmp_gt_i32 s0, 0
	s_mov_b32 s0, 0
	s_cbranch_scc0 .LBB158_382
; %bb.381:
	s_wait_loadcnt 0x0
	global_load_i8 v4, v[0:1], off
	s_wait_loadcnt 0x0
	v_cvt_f16_i16_e32 v4, v4
	s_branch .LBB158_383
.LBB158_382:
	s_mov_b32 s0, -1
                                        ; implicit-def: $vgpr4
.LBB158_383:
	s_delay_alu instid0(SALU_CYCLE_1)
	s_and_not1_b32 vcc_lo, exec_lo, s0
	s_cbranch_vccnz .LBB158_385
; %bb.384:
	global_load_u8 v0, v[0:1], off
	s_wait_loadcnt 0x0
	v_cvt_f16_u16_e32 v4, v0
.LBB158_385:
	s_mov_b32 s19, -1
.LBB158_386:
	s_delay_alu instid0(SALU_CYCLE_1)
	s_and_not1_b32 vcc_lo, exec_lo, s19
	s_cbranch_vccnz .LBB158_394
; %bb.387:
	s_wait_loadcnt 0x0
	v_cmp_gt_f16_e32 vcc_lo, v2, v3
	v_mul_lo_u32 v0, v8, s12
	s_and_b32 s19, s2, 0xff
	s_delay_alu instid0(SALU_CYCLE_1) | instskip(SKIP_1) | instid1(VALU_DEP_1)
	s_cmp_lt_i32 s19, 11
	v_cndmask_b32_e32 v1, v3, v2, vcc_lo
	v_cmp_lt_f16_e32 vcc_lo, v1, v4
	v_cndmask_b32_e32 v1, v4, v1, vcc_lo
	v_cmp_u_f16_e32 vcc_lo, v4, v4
	s_delay_alu instid0(VALU_DEP_2) | instskip(SKIP_1) | instid1(VALU_DEP_2)
	v_cndmask_b32_e32 v4, v1, v4, vcc_lo
	v_cmp_u_f16_e32 vcc_lo, v3, v3
	v_dual_ashrrev_i32 v1, 31, v0 :: v_dual_cndmask_b32 v3, v4, v3, vcc_lo
	v_cmp_u_f16_e32 vcc_lo, v2, v2
	s_delay_alu instid0(VALU_DEP_2) | instskip(NEXT) | instid1(VALU_DEP_3)
	v_add_nc_u64_e32 v[0:1], s[4:5], v[0:1]
	v_cndmask_b32_e32 v2, v3, v2, vcc_lo
	s_cbranch_scc1 .LBB158_395
; %bb.388:
	s_and_b32 s26, 0xffff, s19
	s_delay_alu instid0(SALU_CYCLE_1)
	s_cmp_gt_i32 s26, 25
	s_cbranch_scc0 .LBB158_396
; %bb.389:
	s_cmp_gt_i32 s26, 28
	s_cbranch_scc0 .LBB158_397
; %bb.390:
	;; [unrolled: 3-line block ×4, first 2 shown]
	s_mov_b32 s28, 0
	s_mov_b32 s0, -1
	s_cmp_eq_u32 s26, 46
	s_mov_b32 s27, 0
	s_cbranch_scc0 .LBB158_400
; %bb.393:
	v_cvt_f32_f16_e32 v3, v2
	v_cmp_o_f16_e32 vcc_lo, v2, v2
	s_mov_b32 s27, -1
	s_mov_b32 s0, 0
	s_delay_alu instid0(VALU_DEP_2) | instskip(NEXT) | instid1(VALU_DEP_1)
	v_bfe_u32 v4, v3, 16, 1
	v_add3_u32 v3, v3, v4, 0x7fff
	s_delay_alu instid0(VALU_DEP_1) | instskip(NEXT) | instid1(VALU_DEP_1)
	v_lshrrev_b32_e32 v3, 16, v3
	v_cndmask_b32_e32 v3, 0x7fc0, v3, vcc_lo
	global_store_b32 v[0:1], v3, off
	s_branch .LBB158_400
.LBB158_394:
	s_mov_b32 s0, 0
	s_branch .LBB158_510
.LBB158_395:
	s_mov_b32 s26, -1
	s_mov_b32 s0, 0
	s_mov_b32 s27, 0
	s_branch .LBB158_469
.LBB158_396:
	s_mov_b32 s0, 0
	s_mov_b32 s27, 0
	s_branch .LBB158_427
.LBB158_397:
	s_mov_b32 s0, 0
	s_mov_b32 s27, 0
	s_branch .LBB158_410
.LBB158_398:
	s_mov_b32 s0, 0
	s_mov_b32 s27, 0
	s_branch .LBB158_406
.LBB158_399:
	s_mov_b32 s0, 0
	s_mov_b32 s27, 0
.LBB158_400:
	s_and_b32 vcc_lo, exec_lo, s28
	s_cbranch_vccz .LBB158_405
; %bb.401:
	s_cmp_eq_u32 s26, 44
	s_mov_b32 s0, -1
	s_cbranch_scc0 .LBB158_405
; %bb.402:
	s_wait_xcnt 0x0
	v_cvt_f32_f16_e32 v3, v2
	v_mov_b32_e32 v4, 0xff
	s_mov_b32 s27, exec_lo
	s_delay_alu instid0(VALU_DEP_2) | instskip(NEXT) | instid1(VALU_DEP_1)
	v_bfe_u32 v5, v3, 23, 8
	v_cmpx_ne_u32_e32 0xff, v5
	s_cbranch_execz .LBB158_404
; %bb.403:
	v_and_b32_e32 v4, 0x400000, v3
	v_and_or_b32 v5, 0x3fffff, v3, v5
	v_lshrrev_b32_e32 v3, 23, v3
	s_delay_alu instid0(VALU_DEP_3) | instskip(NEXT) | instid1(VALU_DEP_3)
	v_cmp_ne_u32_e32 vcc_lo, 0, v4
	v_cmp_ne_u32_e64 s0, 0, v5
	s_and_b32 s0, vcc_lo, s0
	s_delay_alu instid0(SALU_CYCLE_1) | instskip(NEXT) | instid1(VALU_DEP_1)
	v_cndmask_b32_e64 v4, 0, 1, s0
	v_add_nc_u32_e32 v4, v3, v4
.LBB158_404:
	s_or_b32 exec_lo, exec_lo, s27
	s_mov_b32 s27, -1
	s_mov_b32 s0, 0
	global_store_b8 v[0:1], v4, off
.LBB158_405:
	s_mov_b32 s28, 0
.LBB158_406:
	s_delay_alu instid0(SALU_CYCLE_1)
	s_and_b32 vcc_lo, exec_lo, s28
	s_cbranch_vccz .LBB158_409
; %bb.407:
	s_cmp_eq_u32 s26, 29
	s_mov_b32 s0, -1
	s_cbranch_scc0 .LBB158_409
; %bb.408:
	s_wait_xcnt 0x0
	v_cvt_f32_f16_e32 v3, v2
	v_mov_b32_e32 v5, 0
	s_mov_b32 s27, -1
	s_mov_b32 s0, 0
	s_mov_b32 s28, 0
	v_cvt_u32_f32_e32 v4, v3
	global_store_b64 v[0:1], v[4:5], off
	s_branch .LBB158_410
.LBB158_409:
	s_mov_b32 s28, 0
.LBB158_410:
	s_delay_alu instid0(SALU_CYCLE_1)
	s_and_b32 vcc_lo, exec_lo, s28
	s_cbranch_vccz .LBB158_426
; %bb.411:
	s_cmp_lt_i32 s26, 27
	s_mov_b32 s27, -1
	s_cbranch_scc1 .LBB158_417
; %bb.412:
	s_cmp_gt_i32 s26, 27
	s_cbranch_scc0 .LBB158_414
; %bb.413:
	s_wait_xcnt 0x0
	v_cvt_f32_f16_e32 v3, v2
	s_mov_b32 s27, 0
	s_delay_alu instid0(VALU_DEP_1)
	v_cvt_u32_f32_e32 v3, v3
	global_store_b32 v[0:1], v3, off
.LBB158_414:
	s_and_not1_b32 vcc_lo, exec_lo, s27
	s_cbranch_vccnz .LBB158_416
; %bb.415:
	s_wait_xcnt 0x0
	v_cvt_u16_f16_e32 v3, v2
	global_store_b16 v[0:1], v3, off
.LBB158_416:
	s_mov_b32 s27, 0
.LBB158_417:
	s_delay_alu instid0(SALU_CYCLE_1)
	s_and_not1_b32 vcc_lo, exec_lo, s27
	s_cbranch_vccnz .LBB158_425
; %bb.418:
	s_wait_xcnt 0x0
	v_cvt_f32_f16_e32 v3, v2
	v_mov_b32_e32 v5, 0x80
	s_mov_b32 s27, exec_lo
	s_delay_alu instid0(VALU_DEP_2) | instskip(NEXT) | instid1(VALU_DEP_1)
	v_and_b32_e32 v4, 0x7fffffff, v3
	v_cmpx_gt_u32_e32 0x43800000, v4
	s_cbranch_execz .LBB158_424
; %bb.419:
	v_cmp_lt_u32_e32 vcc_lo, 0x3bffffff, v4
	s_mov_b32 s28, 0
                                        ; implicit-def: $vgpr4
	s_and_saveexec_b32 s29, vcc_lo
	s_delay_alu instid0(SALU_CYCLE_1)
	s_xor_b32 s29, exec_lo, s29
	s_cbranch_execz .LBB158_658
; %bb.420:
	v_bfe_u32 v4, v3, 20, 1
	s_mov_b32 s28, exec_lo
	s_delay_alu instid0(VALU_DEP_1) | instskip(NEXT) | instid1(VALU_DEP_1)
	v_add3_u32 v4, v3, v4, 0x487ffff
	v_lshrrev_b32_e32 v4, 20, v4
	s_and_not1_saveexec_b32 s29, s29
	s_cbranch_execnz .LBB158_659
.LBB158_421:
	s_or_b32 exec_lo, exec_lo, s29
	v_mov_b32_e32 v5, 0
	s_and_saveexec_b32 s29, s28
.LBB158_422:
	v_lshrrev_b32_e32 v3, 24, v3
	s_delay_alu instid0(VALU_DEP_1)
	v_and_or_b32 v5, 0x80, v3, v4
.LBB158_423:
	s_or_b32 exec_lo, exec_lo, s29
.LBB158_424:
	s_delay_alu instid0(SALU_CYCLE_1)
	s_or_b32 exec_lo, exec_lo, s27
	global_store_b8 v[0:1], v5, off
.LBB158_425:
	s_mov_b32 s27, -1
.LBB158_426:
	s_mov_b32 s28, 0
.LBB158_427:
	s_delay_alu instid0(SALU_CYCLE_1)
	s_and_b32 vcc_lo, exec_lo, s28
	s_cbranch_vccz .LBB158_468
; %bb.428:
	s_cmp_gt_i32 s26, 22
	s_mov_b32 s28, -1
	s_cbranch_scc0 .LBB158_460
; %bb.429:
	s_cmp_lt_i32 s26, 24
	s_mov_b32 s27, -1
	s_cbranch_scc1 .LBB158_449
; %bb.430:
	s_cmp_gt_i32 s26, 24
	s_cbranch_scc0 .LBB158_438
; %bb.431:
	s_wait_xcnt 0x0
	v_cvt_f32_f16_e32 v3, v2
	v_mov_b32_e32 v5, 0x80
	s_mov_b32 s27, exec_lo
	s_delay_alu instid0(VALU_DEP_2) | instskip(NEXT) | instid1(VALU_DEP_1)
	v_and_b32_e32 v4, 0x7fffffff, v3
	v_cmpx_gt_u32_e32 0x47800000, v4
	s_cbranch_execz .LBB158_437
; %bb.432:
	v_cmp_lt_u32_e32 vcc_lo, 0x37ffffff, v4
	s_mov_b32 s28, 0
                                        ; implicit-def: $vgpr4
	s_and_saveexec_b32 s29, vcc_lo
	s_delay_alu instid0(SALU_CYCLE_1)
	s_xor_b32 s29, exec_lo, s29
	s_cbranch_execz .LBB158_790
; %bb.433:
	v_bfe_u32 v4, v3, 21, 1
	s_mov_b32 s28, exec_lo
	s_delay_alu instid0(VALU_DEP_1) | instskip(NEXT) | instid1(VALU_DEP_1)
	v_add3_u32 v4, v3, v4, 0x88fffff
	v_lshrrev_b32_e32 v4, 21, v4
	s_and_not1_saveexec_b32 s29, s29
	s_cbranch_execnz .LBB158_791
.LBB158_434:
	s_or_b32 exec_lo, exec_lo, s29
	v_mov_b32_e32 v5, 0
	s_and_saveexec_b32 s29, s28
.LBB158_435:
	v_lshrrev_b32_e32 v3, 24, v3
	s_delay_alu instid0(VALU_DEP_1)
	v_and_or_b32 v5, 0x80, v3, v4
.LBB158_436:
	s_or_b32 exec_lo, exec_lo, s29
.LBB158_437:
	s_delay_alu instid0(SALU_CYCLE_1)
	s_or_b32 exec_lo, exec_lo, s27
	s_mov_b32 s27, 0
	global_store_b8 v[0:1], v5, off
.LBB158_438:
	s_and_b32 vcc_lo, exec_lo, s27
	s_cbranch_vccz .LBB158_448
; %bb.439:
	s_wait_xcnt 0x0
	v_cvt_f32_f16_e32 v3, v2
	s_mov_b32 s27, exec_lo
                                        ; implicit-def: $vgpr4
	s_delay_alu instid0(VALU_DEP_1) | instskip(NEXT) | instid1(VALU_DEP_1)
	v_and_b32_e32 v5, 0x7fffffff, v3
	v_cmpx_gt_u32_e32 0x43f00000, v5
	s_xor_b32 s27, exec_lo, s27
	s_cbranch_execz .LBB158_445
; %bb.440:
	s_mov_b32 s28, exec_lo
                                        ; implicit-def: $vgpr4
	v_cmpx_lt_u32_e32 0x3c7fffff, v5
	s_xor_b32 s28, exec_lo, s28
; %bb.441:
	v_bfe_u32 v4, v3, 20, 1
	s_delay_alu instid0(VALU_DEP_1) | instskip(NEXT) | instid1(VALU_DEP_1)
	v_add3_u32 v4, v3, v4, 0x407ffff
	v_and_b32_e32 v5, 0xff00000, v4
	v_lshrrev_b32_e32 v4, 20, v4
	s_delay_alu instid0(VALU_DEP_2) | instskip(NEXT) | instid1(VALU_DEP_2)
	v_cmp_ne_u32_e32 vcc_lo, 0x7f00000, v5
	v_cndmask_b32_e32 v4, 0x7e, v4, vcc_lo
; %bb.442:
	s_and_not1_saveexec_b32 s28, s28
; %bb.443:
	v_add_f32_e64 v4, 0x46800000, |v3|
; %bb.444:
	s_or_b32 exec_lo, exec_lo, s28
                                        ; implicit-def: $vgpr5
.LBB158_445:
	s_and_not1_saveexec_b32 s27, s27
; %bb.446:
	v_mov_b32_e32 v4, 0x7f
	v_cmp_lt_u32_e32 vcc_lo, 0x7f800000, v5
	s_delay_alu instid0(VALU_DEP_2)
	v_cndmask_b32_e32 v4, 0x7e, v4, vcc_lo
; %bb.447:
	s_or_b32 exec_lo, exec_lo, s27
	v_lshrrev_b32_e32 v3, 24, v3
	s_delay_alu instid0(VALU_DEP_1)
	v_and_or_b32 v3, 0x80, v3, v4
	global_store_b8 v[0:1], v3, off
.LBB158_448:
	s_mov_b32 s27, 0
.LBB158_449:
	s_delay_alu instid0(SALU_CYCLE_1)
	s_and_not1_b32 vcc_lo, exec_lo, s27
	s_cbranch_vccnz .LBB158_459
; %bb.450:
	s_wait_xcnt 0x0
	v_cvt_f32_f16_e32 v3, v2
	s_mov_b32 s27, exec_lo
                                        ; implicit-def: $vgpr4
	s_delay_alu instid0(VALU_DEP_1) | instskip(NEXT) | instid1(VALU_DEP_1)
	v_and_b32_e32 v5, 0x7fffffff, v3
	v_cmpx_gt_u32_e32 0x47800000, v5
	s_xor_b32 s27, exec_lo, s27
	s_cbranch_execz .LBB158_456
; %bb.451:
	s_mov_b32 s28, exec_lo
                                        ; implicit-def: $vgpr4
	v_cmpx_lt_u32_e32 0x387fffff, v5
	s_xor_b32 s28, exec_lo, s28
; %bb.452:
	v_bfe_u32 v4, v3, 21, 1
	s_delay_alu instid0(VALU_DEP_1) | instskip(NEXT) | instid1(VALU_DEP_1)
	v_add3_u32 v4, v3, v4, 0x80fffff
	v_lshrrev_b32_e32 v4, 21, v4
; %bb.453:
	s_and_not1_saveexec_b32 s28, s28
; %bb.454:
	v_add_f32_e64 v4, 0x43000000, |v3|
; %bb.455:
	s_or_b32 exec_lo, exec_lo, s28
                                        ; implicit-def: $vgpr5
.LBB158_456:
	s_and_not1_saveexec_b32 s27, s27
; %bb.457:
	v_mov_b32_e32 v4, 0x7f
	v_cmp_lt_u32_e32 vcc_lo, 0x7f800000, v5
	s_delay_alu instid0(VALU_DEP_2)
	v_cndmask_b32_e32 v4, 0x7c, v4, vcc_lo
; %bb.458:
	s_or_b32 exec_lo, exec_lo, s27
	v_lshrrev_b32_e32 v3, 24, v3
	s_delay_alu instid0(VALU_DEP_1)
	v_and_or_b32 v3, 0x80, v3, v4
	global_store_b8 v[0:1], v3, off
.LBB158_459:
	s_mov_b32 s28, 0
	s_mov_b32 s27, -1
.LBB158_460:
	s_and_not1_b32 vcc_lo, exec_lo, s28
	s_cbranch_vccnz .LBB158_468
; %bb.461:
	s_cmp_gt_i32 s26, 14
	s_mov_b32 s28, -1
	s_cbranch_scc0 .LBB158_465
; %bb.462:
	s_cmp_eq_u32 s26, 15
	s_mov_b32 s0, -1
	s_cbranch_scc0 .LBB158_464
; %bb.463:
	s_wait_xcnt 0x0
	v_cvt_f32_f16_e32 v3, v2
	v_cmp_o_f16_e32 vcc_lo, v2, v2
	s_mov_b32 s27, -1
	s_mov_b32 s0, 0
	s_delay_alu instid0(VALU_DEP_2) | instskip(NEXT) | instid1(VALU_DEP_1)
	v_bfe_u32 v4, v3, 16, 1
	v_add3_u32 v3, v3, v4, 0x7fff
	s_delay_alu instid0(VALU_DEP_1) | instskip(NEXT) | instid1(VALU_DEP_1)
	v_lshrrev_b32_e32 v3, 16, v3
	v_cndmask_b32_e32 v3, 0x7fc0, v3, vcc_lo
	global_store_b16 v[0:1], v3, off
.LBB158_464:
	s_mov_b32 s28, 0
.LBB158_465:
	s_delay_alu instid0(SALU_CYCLE_1)
	s_and_b32 vcc_lo, exec_lo, s28
	s_cbranch_vccz .LBB158_468
; %bb.466:
	s_cmp_eq_u32 s26, 11
	s_mov_b32 s0, -1
	s_cbranch_scc0 .LBB158_468
; %bb.467:
	s_wait_xcnt 0x0
	v_and_b32_e32 v3, 0x7fff, v2
	s_mov_b32 s0, 0
	s_mov_b32 s27, -1
	s_delay_alu instid0(VALU_DEP_1)
	v_cmp_ne_u16_e32 vcc_lo, 0, v3
	v_cndmask_b32_e64 v3, 0, 1, vcc_lo
	global_store_b8 v[0:1], v3, off
.LBB158_468:
	s_mov_b32 s26, 0
.LBB158_469:
	s_delay_alu instid0(SALU_CYCLE_1)
	s_and_b32 vcc_lo, exec_lo, s26
	s_cbranch_vccz .LBB158_508
; %bb.470:
	s_and_b32 s19, 0xffff, s19
	s_mov_b32 s26, -1
	s_cmp_lt_i32 s19, 5
	s_cbranch_scc1 .LBB158_491
; %bb.471:
	s_cmp_lt_i32 s19, 8
	s_cbranch_scc1 .LBB158_481
; %bb.472:
	;; [unrolled: 3-line block ×3, first 2 shown]
	s_cmp_gt_i32 s19, 9
	s_cbranch_scc0 .LBB158_475
; %bb.474:
	s_wait_xcnt 0x0
	v_cvt_f32_f16_e32 v3, v2
	v_mov_b32_e32 v6, 0
	s_mov_b32 s26, 0
	s_delay_alu instid0(VALU_DEP_2) | instskip(NEXT) | instid1(VALU_DEP_2)
	v_cvt_f64_f32_e32 v[4:5], v3
	v_mov_b32_e32 v7, v6
	global_store_b128 v[0:1], v[4:7], off
.LBB158_475:
	s_and_not1_b32 vcc_lo, exec_lo, s26
	s_cbranch_vccnz .LBB158_477
; %bb.476:
	s_wait_xcnt 0x0
	v_cvt_f32_f16_e32 v4, v2
	v_mov_b32_e32 v5, 0
	global_store_b64 v[0:1], v[4:5], off
.LBB158_477:
	s_mov_b32 s26, 0
.LBB158_478:
	s_delay_alu instid0(SALU_CYCLE_1)
	s_and_not1_b32 vcc_lo, exec_lo, s26
	s_cbranch_vccnz .LBB158_480
; %bb.479:
	s_wait_xcnt 0x0
	v_and_b32_e32 v3, 0xffff, v2
	global_store_b32 v[0:1], v3, off
.LBB158_480:
	s_mov_b32 s26, 0
.LBB158_481:
	s_delay_alu instid0(SALU_CYCLE_1)
	s_and_not1_b32 vcc_lo, exec_lo, s26
	s_cbranch_vccnz .LBB158_490
; %bb.482:
	s_cmp_lt_i32 s19, 6
	s_mov_b32 s26, -1
	s_cbranch_scc1 .LBB158_488
; %bb.483:
	s_cmp_gt_i32 s19, 6
	s_cbranch_scc0 .LBB158_485
; %bb.484:
	s_wait_xcnt 0x0
	v_cvt_f32_f16_e32 v3, v2
	s_mov_b32 s26, 0
	s_delay_alu instid0(VALU_DEP_1)
	v_cvt_f64_f32_e32 v[4:5], v3
	global_store_b64 v[0:1], v[4:5], off
.LBB158_485:
	s_and_not1_b32 vcc_lo, exec_lo, s26
	s_cbranch_vccnz .LBB158_487
; %bb.486:
	s_wait_xcnt 0x0
	v_cvt_f32_f16_e32 v3, v2
	global_store_b32 v[0:1], v3, off
.LBB158_487:
	s_mov_b32 s26, 0
.LBB158_488:
	s_delay_alu instid0(SALU_CYCLE_1)
	s_and_not1_b32 vcc_lo, exec_lo, s26
	s_cbranch_vccnz .LBB158_490
; %bb.489:
	global_store_b16 v[0:1], v2, off
.LBB158_490:
	s_mov_b32 s26, 0
.LBB158_491:
	s_delay_alu instid0(SALU_CYCLE_1)
	s_and_not1_b32 vcc_lo, exec_lo, s26
	s_cbranch_vccnz .LBB158_507
; %bb.492:
	s_cmp_lt_i32 s19, 2
	s_mov_b32 s26, -1
	s_cbranch_scc1 .LBB158_502
; %bb.493:
	s_cmp_lt_i32 s19, 3
	s_cbranch_scc1 .LBB158_499
; %bb.494:
	s_cmp_gt_i32 s19, 3
	s_cbranch_scc0 .LBB158_496
; %bb.495:
	s_wait_xcnt 0x0
	v_cvt_f32_f16_e32 v3, v2
	s_mov_b32 s26, 0
	s_delay_alu instid0(VALU_DEP_1) | instskip(NEXT) | instid1(VALU_DEP_1)
	v_cvt_i32_f32_e32 v4, v3
	v_ashrrev_i32_e32 v5, 31, v4
	global_store_b64 v[0:1], v[4:5], off
.LBB158_496:
	s_and_not1_b32 vcc_lo, exec_lo, s26
	s_cbranch_vccnz .LBB158_498
; %bb.497:
	s_wait_xcnt 0x0
	v_cvt_f32_f16_e32 v3, v2
	s_delay_alu instid0(VALU_DEP_1)
	v_cvt_i32_f32_e32 v3, v3
	global_store_b32 v[0:1], v3, off
.LBB158_498:
	s_mov_b32 s26, 0
.LBB158_499:
	s_delay_alu instid0(SALU_CYCLE_1)
	s_and_not1_b32 vcc_lo, exec_lo, s26
	s_cbranch_vccnz .LBB158_501
; %bb.500:
	s_wait_xcnt 0x0
	v_cvt_i16_f16_e32 v3, v2
	global_store_b16 v[0:1], v3, off
.LBB158_501:
	s_mov_b32 s26, 0
.LBB158_502:
	s_delay_alu instid0(SALU_CYCLE_1)
	s_and_not1_b32 vcc_lo, exec_lo, s26
	s_cbranch_vccnz .LBB158_507
; %bb.503:
	s_cmp_gt_i32 s19, 0
	s_mov_b32 s19, -1
	s_cbranch_scc0 .LBB158_505
; %bb.504:
	s_wait_xcnt 0x0
	v_cvt_i16_f16_e32 v3, v2
	s_mov_b32 s19, 0
	global_store_b8 v[0:1], v3, off
.LBB158_505:
	s_and_not1_b32 vcc_lo, exec_lo, s19
	s_cbranch_vccnz .LBB158_507
; %bb.506:
	s_wait_xcnt 0x0
	v_cvt_f32_f16_e32 v2, v2
	s_delay_alu instid0(VALU_DEP_1)
	v_cvt_i32_f32_e32 v2, v2
	global_store_b8 v[0:1], v2, off
.LBB158_507:
	s_mov_b32 s27, -1
.LBB158_508:
	s_delay_alu instid0(SALU_CYCLE_1)
	s_and_not1_b32 vcc_lo, exec_lo, s27
	s_cbranch_vccnz .LBB158_510
; %bb.509:
	v_add_nc_u32_e32 v8, 0x80, v8
	s_mov_b32 s26, -1
	s_branch .LBB158_511
.LBB158_510:
	s_mov_b32 s26, 0
                                        ; implicit-def: $vgpr8
.LBB158_511:
	s_and_b32 s19, s0, exec_lo
	s_and_b32 s21, s21, exec_lo
	;; [unrolled: 1-line block ×4, first 2 shown]
	s_or_not1_b32 s28, s26, exec_lo
.LBB158_512:
	s_wait_xcnt 0x0
	s_or_b32 exec_lo, exec_lo, s24
	s_mov_b32 s27, 0
	s_mov_b32 s26, 0
                                        ; implicit-def: $sgpr0
                                        ; implicit-def: $vgpr0_vgpr1
                                        ; implicit-def: $vgpr2
	s_and_saveexec_b32 s24, s28
	s_cbranch_execz .LBB158_521
; %bb.513:
	s_mov_b32 s31, -1
	s_mov_b32 s25, s23
	s_mov_b32 s28, s22
	s_mov_b32 s27, s21
	s_mov_b32 s26, s19
	s_mov_b32 s29, exec_lo
	v_cmpx_gt_i32_e64 s20, v8
	s_cbranch_execz .LBB158_1035
; %bb.514:
	v_mul_lo_u32 v0, v8, s13
	s_and_b32 s0, s17, 0xff
	s_delay_alu instid0(SALU_CYCLE_1) | instskip(NEXT) | instid1(VALU_DEP_1)
	s_cmp_lt_i32 s0, 11
	v_ashrrev_i32_e32 v1, 31, v0
	s_delay_alu instid0(VALU_DEP_1)
	v_add_nc_u64_e32 v[0:1], s[6:7], v[0:1]
	s_cbranch_scc1 .LBB158_524
; %bb.515:
	s_and_b32 s26, 0xffff, s0
	s_delay_alu instid0(SALU_CYCLE_1)
	s_cmp_gt_i32 s26, 25
	s_cbranch_scc0 .LBB158_533
; %bb.516:
	s_cmp_gt_i32 s26, 28
	s_cbranch_scc0 .LBB158_535
; %bb.517:
	s_cmp_gt_i32 s26, 43
	s_cbranch_scc0 .LBB158_537
; %bb.518:
	s_cmp_gt_i32 s26, 45
	s_cbranch_scc0 .LBB158_539
; %bb.519:
	s_cmp_eq_u32 s26, 46
	s_mov_b32 s28, 0
	s_cbranch_scc0 .LBB158_541
; %bb.520:
	s_wait_loadcnt 0x0
	global_load_b32 v2, v[0:1], off
	s_mov_b32 s27, -1
	s_mov_b32 s25, 0
	s_wait_loadcnt 0x0
	v_lshlrev_b32_e32 v2, 16, v2
	s_delay_alu instid0(VALU_DEP_1)
	v_cvt_f16_f32_e32 v2, v2
	s_branch .LBB158_543
.LBB158_521:
	s_or_b32 exec_lo, exec_lo, s24
	s_mov_b32 s20, 0
	s_and_saveexec_b32 s24, s23
	s_cbranch_execnz .LBB158_1639
.LBB158_522:
	s_or_b32 exec_lo, exec_lo, s24
	s_and_saveexec_b32 s23, s25
	s_delay_alu instid0(SALU_CYCLE_1)
	s_xor_b32 s23, exec_lo, s23
	s_cbranch_execz .LBB158_1640
.LBB158_523:
	s_wait_loadcnt 0x0
	global_load_u8 v2, v[0:1], off
	s_or_b32 s26, s26, exec_lo
	s_wait_loadcnt 0x0
	v_cmp_ne_u16_e32 vcc_lo, 0, v2
	v_cndmask_b32_e64 v2, 0, 0x3c00, vcc_lo
	s_wait_xcnt 0x0
	s_or_b32 exec_lo, exec_lo, s23
	s_and_saveexec_b32 s23, s27
	s_cbranch_execz .LBB158_1686
	s_branch .LBB158_1641
.LBB158_524:
	s_mov_b32 s27, 0
	s_mov_b32 s25, s23
                                        ; implicit-def: $vgpr2
	s_cbranch_execnz .LBB158_609
.LBB158_525:
	s_and_not1_b32 vcc_lo, exec_lo, s27
	s_cbranch_vccnz .LBB158_657
.LBB158_526:
	s_wait_xcnt 0x0
	v_mul_lo_u32 v0, v8, s14
	s_and_b32 s0, s3, 0xff
	s_delay_alu instid0(SALU_CYCLE_1) | instskip(NEXT) | instid1(VALU_DEP_1)
	s_cmp_lt_i32 s0, 11
	v_ashrrev_i32_e32 v1, 31, v0
	s_delay_alu instid0(VALU_DEP_1)
	v_add_nc_u64_e32 v[0:1], s[8:9], v[0:1]
	s_cbranch_scc1 .LBB158_534
; %bb.527:
	s_and_b32 s26, 0xffff, s0
	s_delay_alu instid0(SALU_CYCLE_1)
	s_cmp_gt_i32 s26, 25
	s_cbranch_scc0 .LBB158_536
; %bb.528:
	s_cmp_gt_i32 s26, 28
	s_cbranch_scc0 .LBB158_538
; %bb.529:
	;; [unrolled: 3-line block ×4, first 2 shown]
	s_cmp_eq_u32 s26, 46
	s_mov_b32 s30, 0
	s_cbranch_scc0 .LBB158_660
; %bb.532:
	s_wait_loadcnt 0x0
	global_load_b32 v3, v[0:1], off
	s_mov_b32 s27, -1
	s_mov_b32 s28, 0
	s_wait_loadcnt 0x0
	v_lshlrev_b32_e32 v3, 16, v3
	s_delay_alu instid0(VALU_DEP_1)
	v_cvt_f16_f32_e32 v3, v3
	s_branch .LBB158_662
.LBB158_533:
	s_mov_b32 s28, -1
	s_mov_b32 s27, 0
	s_mov_b32 s25, s23
                                        ; implicit-def: $vgpr2
	s_branch .LBB158_573
.LBB158_534:
	s_mov_b32 s26, -1
	s_mov_b32 s27, 0
	s_mov_b32 s28, s22
                                        ; implicit-def: $vgpr3
	s_branch .LBB158_727
.LBB158_535:
	s_mov_b32 s28, -1
	s_mov_b32 s27, 0
	s_mov_b32 s25, s23
                                        ; implicit-def: $vgpr2
	s_branch .LBB158_554
.LBB158_536:
	s_mov_b32 s30, -1
	s_mov_b32 s27, 0
	s_mov_b32 s28, s22
                                        ; implicit-def: $vgpr3
	s_branch .LBB158_691
.LBB158_537:
	s_mov_b32 s28, -1
	s_mov_b32 s27, 0
	s_mov_b32 s25, s23
                                        ; implicit-def: $vgpr2
	s_branch .LBB158_549
.LBB158_538:
	s_mov_b32 s30, -1
	s_mov_b32 s27, 0
	s_mov_b32 s28, s22
                                        ; implicit-def: $vgpr3
	s_branch .LBB158_672
.LBB158_539:
	s_mov_b32 s28, -1
	s_mov_b32 s27, 0
	s_mov_b32 s25, s23
	s_branch .LBB158_542
.LBB158_540:
	s_mov_b32 s30, -1
	s_mov_b32 s27, 0
	s_mov_b32 s28, s22
                                        ; implicit-def: $vgpr3
	s_branch .LBB158_667
.LBB158_541:
	s_mov_b32 s25, -1
	s_mov_b32 s27, 0
.LBB158_542:
                                        ; implicit-def: $vgpr2
.LBB158_543:
	s_and_b32 vcc_lo, exec_lo, s28
	s_cbranch_vccz .LBB158_548
; %bb.544:
	s_cmp_eq_u32 s26, 44
	s_cbranch_scc0 .LBB158_547
; %bb.545:
	s_wait_loadcnt 0x0
	global_load_u8 v2, v[0:1], off
	s_mov_b32 s25, 0
	s_mov_b32 s27, -1
	s_wait_loadcnt 0x0
	v_lshlrev_b32_e32 v3, 23, v2
	v_cmp_ne_u32_e32 vcc_lo, 0xff, v2
	s_delay_alu instid0(VALU_DEP_2) | instskip(NEXT) | instid1(VALU_DEP_1)
	v_cvt_f16_f32_e32 v3, v3
	v_cndmask_b32_e32 v3, 0x7e00, v3, vcc_lo
	v_cmp_ne_u32_e32 vcc_lo, 0, v2
	s_delay_alu instid0(VALU_DEP_2)
	v_cndmask_b32_e32 v2, 0, v3, vcc_lo
	s_branch .LBB158_548
.LBB158_546:
	s_mov_b32 s30, -1
	s_mov_b32 s27, 0
	s_mov_b32 s28, s22
	s_branch .LBB158_661
.LBB158_547:
	s_mov_b32 s25, -1
                                        ; implicit-def: $vgpr2
.LBB158_548:
	s_mov_b32 s28, 0
.LBB158_549:
	s_delay_alu instid0(SALU_CYCLE_1)
	s_and_b32 vcc_lo, exec_lo, s28
	s_cbranch_vccz .LBB158_553
; %bb.550:
	s_cmp_eq_u32 s26, 29
	s_cbranch_scc0 .LBB158_552
; %bb.551:
	s_wait_loadcnt 0x0
	global_load_b64 v[2:3], v[0:1], off
	s_mov_b32 s27, -1
	s_mov_b32 s25, 0
	s_mov_b32 s28, 0
	s_wait_loadcnt 0x0
	v_clz_i32_u32_e32 v4, v3
	s_delay_alu instid0(VALU_DEP_1) | instskip(NEXT) | instid1(VALU_DEP_1)
	v_min_u32_e32 v4, 32, v4
	v_lshlrev_b64_e32 v[2:3], v4, v[2:3]
	s_delay_alu instid0(VALU_DEP_1) | instskip(NEXT) | instid1(VALU_DEP_1)
	v_min_u32_e32 v2, 1, v2
	v_dual_sub_nc_u32 v3, 32, v4 :: v_dual_bitop2_b32 v2, v3, v2 bitop3:0x54
	s_delay_alu instid0(VALU_DEP_1) | instskip(NEXT) | instid1(VALU_DEP_1)
	v_cvt_f32_u32_e32 v2, v2
	v_ldexp_f32 v2, v2, v3
	s_delay_alu instid0(VALU_DEP_1)
	v_cvt_f16_f32_e32 v2, v2
	s_branch .LBB158_554
.LBB158_552:
	s_mov_b32 s25, -1
                                        ; implicit-def: $vgpr2
.LBB158_553:
	s_mov_b32 s28, 0
.LBB158_554:
	s_delay_alu instid0(SALU_CYCLE_1)
	s_and_b32 vcc_lo, exec_lo, s28
	s_cbranch_vccz .LBB158_572
; %bb.555:
	s_cmp_lt_i32 s26, 27
	s_cbranch_scc1 .LBB158_558
; %bb.556:
	s_cmp_gt_i32 s26, 27
	s_cbranch_scc0 .LBB158_559
; %bb.557:
	s_wait_loadcnt 0x0
	global_load_b32 v2, v[0:1], off
	s_mov_b32 s27, 0
	s_wait_loadcnt 0x0
	v_cvt_f32_u32_e32 v2, v2
	s_delay_alu instid0(VALU_DEP_1)
	v_cvt_f16_f32_e32 v2, v2
	s_branch .LBB158_560
.LBB158_558:
	s_mov_b32 s27, -1
                                        ; implicit-def: $vgpr2
	s_branch .LBB158_563
.LBB158_559:
	s_mov_b32 s27, -1
                                        ; implicit-def: $vgpr2
.LBB158_560:
	s_delay_alu instid0(SALU_CYCLE_1)
	s_and_not1_b32 vcc_lo, exec_lo, s27
	s_cbranch_vccnz .LBB158_562
; %bb.561:
	s_wait_loadcnt 0x0
	global_load_u16 v2, v[0:1], off
	s_wait_loadcnt 0x0
	v_cvt_f16_u16_e32 v2, v2
.LBB158_562:
	s_mov_b32 s27, 0
.LBB158_563:
	s_delay_alu instid0(SALU_CYCLE_1)
	s_and_not1_b32 vcc_lo, exec_lo, s27
	s_cbranch_vccnz .LBB158_571
; %bb.564:
	s_wait_loadcnt 0x0
	global_load_u8 v3, v[0:1], off
	s_mov_b32 s27, 0
	s_mov_b32 s28, exec_lo
	s_wait_loadcnt 0x0
	v_cmpx_lt_i16_e32 0x7f, v3
	s_xor_b32 s28, exec_lo, s28
	s_cbranch_execz .LBB158_585
; %bb.565:
	s_mov_b32 s27, -1
	s_mov_b32 s30, exec_lo
	v_cmpx_eq_u16_e32 0x80, v3
; %bb.566:
	s_xor_b32 s27, exec_lo, -1
; %bb.567:
	s_or_b32 exec_lo, exec_lo, s30
	s_delay_alu instid0(SALU_CYCLE_1)
	s_and_b32 s27, s27, exec_lo
	s_or_saveexec_b32 s28, s28
	v_mov_b32_e32 v2, 0x7e00
	s_xor_b32 exec_lo, exec_lo, s28
	s_cbranch_execnz .LBB158_586
.LBB158_568:
	s_or_b32 exec_lo, exec_lo, s28
	s_and_saveexec_b32 s28, s27
	s_cbranch_execz .LBB158_570
.LBB158_569:
	v_and_b32_e32 v2, 0xffff, v3
	s_delay_alu instid0(VALU_DEP_1) | instskip(SKIP_1) | instid1(VALU_DEP_2)
	v_and_b32_e32 v4, 7, v2
	v_bfe_u32 v7, v2, 3, 4
	v_clz_i32_u32_e32 v5, v4
	s_delay_alu instid0(VALU_DEP_2) | instskip(NEXT) | instid1(VALU_DEP_2)
	v_cmp_eq_u32_e32 vcc_lo, 0, v7
	v_min_u32_e32 v5, 32, v5
	s_delay_alu instid0(VALU_DEP_1) | instskip(NEXT) | instid1(VALU_DEP_1)
	v_subrev_nc_u32_e32 v6, 28, v5
	v_dual_lshlrev_b32 v2, v6, v2 :: v_dual_sub_nc_u32 v5, 29, v5
	s_delay_alu instid0(VALU_DEP_1) | instskip(NEXT) | instid1(VALU_DEP_1)
	v_dual_lshlrev_b32 v3, 24, v3 :: v_dual_bitop2_b32 v2, 7, v2 bitop3:0x40
	v_dual_cndmask_b32 v5, v7, v5 :: v_dual_cndmask_b32 v2, v4, v2
	s_delay_alu instid0(VALU_DEP_2) | instskip(NEXT) | instid1(VALU_DEP_2)
	v_and_b32_e32 v3, 0x80000000, v3
	v_lshl_add_u32 v4, v5, 23, 0x3b800000
	s_delay_alu instid0(VALU_DEP_3) | instskip(NEXT) | instid1(VALU_DEP_1)
	v_lshlrev_b32_e32 v2, 20, v2
	v_or3_b32 v2, v3, v4, v2
	s_delay_alu instid0(VALU_DEP_1)
	v_cvt_f16_f32_e32 v2, v2
.LBB158_570:
	s_or_b32 exec_lo, exec_lo, s28
.LBB158_571:
	s_mov_b32 s27, -1
.LBB158_572:
	s_mov_b32 s28, 0
.LBB158_573:
	s_delay_alu instid0(SALU_CYCLE_1)
	s_and_b32 vcc_lo, exec_lo, s28
	s_cbranch_vccz .LBB158_608
; %bb.574:
	s_cmp_gt_i32 s26, 22
	s_cbranch_scc0 .LBB158_584
; %bb.575:
	s_cmp_lt_i32 s26, 24
	s_cbranch_scc1 .LBB158_587
; %bb.576:
	s_cmp_gt_i32 s26, 24
	s_cbranch_scc0 .LBB158_588
; %bb.577:
	s_wait_loadcnt 0x0
	global_load_u8 v3, v[0:1], off
	s_mov_b32 s27, 0
	s_mov_b32 s28, exec_lo
	s_wait_loadcnt 0x0
	v_cmpx_lt_i16_e32 0x7f, v3
	s_xor_b32 s28, exec_lo, s28
	s_cbranch_execz .LBB158_600
; %bb.578:
	s_mov_b32 s27, -1
	s_mov_b32 s30, exec_lo
	v_cmpx_eq_u16_e32 0x80, v3
; %bb.579:
	s_xor_b32 s27, exec_lo, -1
; %bb.580:
	s_or_b32 exec_lo, exec_lo, s30
	s_delay_alu instid0(SALU_CYCLE_1)
	s_and_b32 s27, s27, exec_lo
	s_or_saveexec_b32 s28, s28
	v_mov_b32_e32 v2, 0x7e00
	s_xor_b32 exec_lo, exec_lo, s28
	s_cbranch_execnz .LBB158_601
.LBB158_581:
	s_or_b32 exec_lo, exec_lo, s28
	s_and_saveexec_b32 s28, s27
	s_cbranch_execz .LBB158_583
.LBB158_582:
	v_and_b32_e32 v2, 0xffff, v3
	s_delay_alu instid0(VALU_DEP_1) | instskip(SKIP_1) | instid1(VALU_DEP_2)
	v_and_b32_e32 v4, 3, v2
	v_bfe_u32 v7, v2, 2, 5
	v_clz_i32_u32_e32 v5, v4
	s_delay_alu instid0(VALU_DEP_2) | instskip(NEXT) | instid1(VALU_DEP_2)
	v_cmp_eq_u32_e32 vcc_lo, 0, v7
	v_min_u32_e32 v5, 32, v5
	s_delay_alu instid0(VALU_DEP_1) | instskip(NEXT) | instid1(VALU_DEP_1)
	v_subrev_nc_u32_e32 v6, 29, v5
	v_dual_lshlrev_b32 v2, v6, v2 :: v_dual_sub_nc_u32 v5, 30, v5
	s_delay_alu instid0(VALU_DEP_1) | instskip(NEXT) | instid1(VALU_DEP_1)
	v_dual_lshlrev_b32 v3, 24, v3 :: v_dual_bitop2_b32 v2, 3, v2 bitop3:0x40
	v_dual_cndmask_b32 v5, v7, v5 :: v_dual_cndmask_b32 v2, v4, v2
	s_delay_alu instid0(VALU_DEP_2) | instskip(NEXT) | instid1(VALU_DEP_2)
	v_and_b32_e32 v3, 0x80000000, v3
	v_lshl_add_u32 v4, v5, 23, 0x37800000
	s_delay_alu instid0(VALU_DEP_3) | instskip(NEXT) | instid1(VALU_DEP_1)
	v_lshlrev_b32_e32 v2, 21, v2
	v_or3_b32 v2, v3, v4, v2
	s_delay_alu instid0(VALU_DEP_1)
	v_cvt_f16_f32_e32 v2, v2
.LBB158_583:
	s_or_b32 exec_lo, exec_lo, s28
	s_mov_b32 s27, 0
	s_branch .LBB158_589
.LBB158_584:
	s_mov_b32 s28, -1
                                        ; implicit-def: $vgpr2
	s_branch .LBB158_595
.LBB158_585:
	s_or_saveexec_b32 s28, s28
	v_mov_b32_e32 v2, 0x7e00
	s_xor_b32 exec_lo, exec_lo, s28
	s_cbranch_execz .LBB158_568
.LBB158_586:
	v_cmp_ne_u16_e32 vcc_lo, 0, v3
	v_mov_b32_e32 v2, v3
	s_and_not1_b32 s27, s27, exec_lo
	s_and_b32 s30, vcc_lo, exec_lo
	s_delay_alu instid0(SALU_CYCLE_1)
	s_or_b32 s27, s27, s30
	s_or_b32 exec_lo, exec_lo, s28
	s_and_saveexec_b32 s28, s27
	s_cbranch_execnz .LBB158_569
	s_branch .LBB158_570
.LBB158_587:
	s_mov_b32 s27, -1
                                        ; implicit-def: $vgpr2
	s_branch .LBB158_592
.LBB158_588:
	s_mov_b32 s27, -1
                                        ; implicit-def: $vgpr2
.LBB158_589:
	s_delay_alu instid0(SALU_CYCLE_1)
	s_and_b32 vcc_lo, exec_lo, s27
	s_cbranch_vccz .LBB158_591
; %bb.590:
	s_wait_loadcnt 0x0
	global_load_u8 v2, v[0:1], off
	s_wait_loadcnt 0x0
	v_lshlrev_b32_e32 v2, 24, v2
	s_delay_alu instid0(VALU_DEP_1) | instskip(NEXT) | instid1(VALU_DEP_1)
	v_and_b32_e32 v3, 0x7f000000, v2
	v_clz_i32_u32_e32 v4, v3
	v_cmp_ne_u32_e32 vcc_lo, 0, v3
	v_add_nc_u32_e32 v6, 0x1000000, v3
	s_delay_alu instid0(VALU_DEP_3) | instskip(NEXT) | instid1(VALU_DEP_1)
	v_min_u32_e32 v4, 32, v4
	v_sub_nc_u32_e64 v4, v4, 4 clamp
	s_delay_alu instid0(VALU_DEP_1) | instskip(NEXT) | instid1(VALU_DEP_1)
	v_dual_lshlrev_b32 v5, v4, v3 :: v_dual_lshlrev_b32 v4, 23, v4
	v_lshrrev_b32_e32 v5, 4, v5
	s_delay_alu instid0(VALU_DEP_1) | instskip(NEXT) | instid1(VALU_DEP_1)
	v_dual_sub_nc_u32 v4, v5, v4 :: v_dual_ashrrev_i32 v5, 8, v6
	v_add_nc_u32_e32 v4, 0x3c000000, v4
	s_delay_alu instid0(VALU_DEP_1) | instskip(NEXT) | instid1(VALU_DEP_1)
	v_and_or_b32 v4, 0x7f800000, v5, v4
	v_cndmask_b32_e32 v3, 0, v4, vcc_lo
	s_delay_alu instid0(VALU_DEP_1) | instskip(NEXT) | instid1(VALU_DEP_1)
	v_and_or_b32 v2, 0x80000000, v2, v3
	v_cvt_f16_f32_e32 v2, v2
.LBB158_591:
	s_mov_b32 s27, 0
.LBB158_592:
	s_delay_alu instid0(SALU_CYCLE_1)
	s_and_not1_b32 vcc_lo, exec_lo, s27
	s_cbranch_vccnz .LBB158_594
; %bb.593:
	s_wait_loadcnt 0x0
	global_load_u8 v2, v[0:1], off
	s_wait_loadcnt 0x0
	v_lshlrev_b32_e32 v3, 25, v2
	v_lshlrev_b16 v2, 8, v2
	s_delay_alu instid0(VALU_DEP_1) | instskip(SKIP_1) | instid1(VALU_DEP_2)
	v_and_or_b32 v5, 0x7f00, v2, 0.5
	v_bfe_i32 v2, v2, 0, 16
	v_dual_add_f32 v5, -0.5, v5 :: v_dual_lshrrev_b32 v4, 4, v3
	v_cmp_gt_u32_e32 vcc_lo, 0x8000000, v3
	s_delay_alu instid0(VALU_DEP_2) | instskip(NEXT) | instid1(VALU_DEP_1)
	v_or_b32_e32 v4, 0x70000000, v4
	v_mul_f32_e32 v4, 0x7800000, v4
	s_delay_alu instid0(VALU_DEP_1) | instskip(NEXT) | instid1(VALU_DEP_1)
	v_cndmask_b32_e32 v3, v4, v5, vcc_lo
	v_and_or_b32 v2, 0x80000000, v2, v3
	s_delay_alu instid0(VALU_DEP_1)
	v_cvt_f16_f32_e32 v2, v2
.LBB158_594:
	s_mov_b32 s28, 0
	s_mov_b32 s27, -1
.LBB158_595:
	s_and_not1_b32 vcc_lo, exec_lo, s28
	s_cbranch_vccnz .LBB158_608
; %bb.596:
	s_cmp_gt_i32 s26, 14
	s_cbranch_scc0 .LBB158_599
; %bb.597:
	s_cmp_eq_u32 s26, 15
	s_cbranch_scc0 .LBB158_602
; %bb.598:
	s_wait_loadcnt 0x0
	global_load_u16 v2, v[0:1], off
	s_mov_b32 s27, -1
	s_mov_b32 s25, 0
	s_wait_loadcnt 0x0
	v_lshlrev_b32_e32 v2, 16, v2
	s_delay_alu instid0(VALU_DEP_1)
	v_cvt_f16_f32_e32 v2, v2
	s_branch .LBB158_603
.LBB158_599:
	s_mov_b32 s28, -1
                                        ; implicit-def: $vgpr2
	s_branch .LBB158_604
.LBB158_600:
	s_or_saveexec_b32 s28, s28
	v_mov_b32_e32 v2, 0x7e00
	s_xor_b32 exec_lo, exec_lo, s28
	s_cbranch_execz .LBB158_581
.LBB158_601:
	v_cmp_ne_u16_e32 vcc_lo, 0, v3
	v_mov_b32_e32 v2, v3
	s_and_not1_b32 s27, s27, exec_lo
	s_and_b32 s30, vcc_lo, exec_lo
	s_delay_alu instid0(SALU_CYCLE_1)
	s_or_b32 s27, s27, s30
	s_or_b32 exec_lo, exec_lo, s28
	s_and_saveexec_b32 s28, s27
	s_cbranch_execnz .LBB158_582
	s_branch .LBB158_583
.LBB158_602:
	s_mov_b32 s25, -1
                                        ; implicit-def: $vgpr2
.LBB158_603:
	s_mov_b32 s28, 0
.LBB158_604:
	s_delay_alu instid0(SALU_CYCLE_1)
	s_and_b32 vcc_lo, exec_lo, s28
	s_cbranch_vccz .LBB158_608
; %bb.605:
	s_cmp_eq_u32 s26, 11
	s_cbranch_scc0 .LBB158_607
; %bb.606:
	s_wait_loadcnt 0x0
	global_load_u8 v2, v[0:1], off
	s_mov_b32 s25, 0
	s_mov_b32 s27, -1
	s_wait_loadcnt 0x0
	v_cmp_ne_u16_e32 vcc_lo, 0, v2
	v_cndmask_b32_e64 v2, 0, 0x3c00, vcc_lo
	s_branch .LBB158_608
.LBB158_607:
	s_mov_b32 s25, -1
                                        ; implicit-def: $vgpr2
.LBB158_608:
	s_branch .LBB158_525
.LBB158_609:
	s_and_b32 s0, 0xffff, s0
	s_delay_alu instid0(SALU_CYCLE_1)
	s_cmp_lt_i32 s0, 5
	s_cbranch_scc1 .LBB158_614
; %bb.610:
	s_cmp_lt_i32 s0, 8
	s_cbranch_scc1 .LBB158_615
; %bb.611:
	;; [unrolled: 3-line block ×3, first 2 shown]
	s_cmp_gt_i32 s0, 9
	s_cbranch_scc0 .LBB158_617
; %bb.613:
	s_wait_loadcnt 0x0
	global_load_b64 v[2:3], v[0:1], off
	s_mov_b32 s26, 0
	s_wait_loadcnt 0x0
	v_and_or_b32 v2, 0x1ff, v3, v2
	v_lshrrev_b32_e32 v4, 8, v3
	v_bfe_u32 v5, v3, 20, 11
	v_lshrrev_b32_e32 v3, 16, v3
	s_delay_alu instid0(VALU_DEP_4) | instskip(NEXT) | instid1(VALU_DEP_3)
	v_cmp_ne_u32_e32 vcc_lo, 0, v2
	v_sub_nc_u32_e32 v6, 0x3f1, v5
	v_add_nc_u32_e32 v5, 0xfffffc10, v5
	v_cndmask_b32_e64 v2, 0, 1, vcc_lo
	s_delay_alu instid0(VALU_DEP_1) | instskip(NEXT) | instid1(VALU_DEP_4)
	v_and_or_b32 v2, 0xffe, v4, v2
	v_med3_i32 v4, v6, 0, 13
	s_delay_alu instid0(VALU_DEP_2) | instskip(NEXT) | instid1(VALU_DEP_1)
	v_or_b32_e32 v6, 0x1000, v2
	v_lshrrev_b32_e32 v7, v4, v6
	s_delay_alu instid0(VALU_DEP_1) | instskip(NEXT) | instid1(VALU_DEP_1)
	v_lshlrev_b32_e32 v4, v4, v7
	v_cmp_ne_u32_e32 vcc_lo, v4, v6
	v_lshl_or_b32 v6, v5, 12, v2
	v_cndmask_b32_e64 v4, 0, 1, vcc_lo
	v_cmp_gt_i32_e32 vcc_lo, 1, v5
	s_delay_alu instid0(VALU_DEP_2) | instskip(NEXT) | instid1(VALU_DEP_1)
	v_or_b32_e32 v4, v7, v4
	v_cndmask_b32_e32 v4, v6, v4, vcc_lo
	s_delay_alu instid0(VALU_DEP_1) | instskip(NEXT) | instid1(VALU_DEP_1)
	v_dual_lshrrev_b32 v4, 2, v4 :: v_dual_bitop2_b32 v6, 7, v4 bitop3:0x40
	v_cmp_lt_i32_e32 vcc_lo, 5, v6
	v_cndmask_b32_e64 v7, 0, 1, vcc_lo
	v_cmp_eq_u32_e32 vcc_lo, 3, v6
	v_cndmask_b32_e64 v6, 0, 1, vcc_lo
	v_cmp_ne_u32_e32 vcc_lo, 0, v2
	s_delay_alu instid0(VALU_DEP_2) | instskip(NEXT) | instid1(VALU_DEP_1)
	v_or_b32_e32 v6, v6, v7
	v_dual_mov_b32 v7, 0x7e00 :: v_dual_add_nc_u32 v4, v4, v6
	s_delay_alu instid0(VALU_DEP_1) | instskip(SKIP_1) | instid1(VALU_DEP_3)
	v_cndmask_b32_e32 v2, 0x7c00, v7, vcc_lo
	v_cmp_gt_i32_e32 vcc_lo, 31, v5
	v_cndmask_b32_e32 v4, 0x7c00, v4, vcc_lo
	v_cmp_eq_u32_e32 vcc_lo, 0x40f, v5
	s_delay_alu instid0(VALU_DEP_2) | instskip(NEXT) | instid1(VALU_DEP_1)
	v_cndmask_b32_e32 v2, v4, v2, vcc_lo
	v_and_or_b32 v2, 0x8000, v3, v2
	s_branch .LBB158_618
.LBB158_614:
	s_mov_b32 s26, -1
                                        ; implicit-def: $vgpr2
	s_branch .LBB158_636
.LBB158_615:
	s_mov_b32 s26, -1
                                        ; implicit-def: $vgpr2
	s_branch .LBB158_624
.LBB158_616:
	s_mov_b32 s26, -1
                                        ; implicit-def: $vgpr2
	s_branch .LBB158_621
.LBB158_617:
	s_mov_b32 s26, -1
                                        ; implicit-def: $vgpr2
.LBB158_618:
	s_delay_alu instid0(SALU_CYCLE_1)
	s_and_not1_b32 vcc_lo, exec_lo, s26
	s_cbranch_vccnz .LBB158_620
; %bb.619:
	s_wait_loadcnt 0x0
	global_load_b32 v2, v[0:1], off
	s_wait_loadcnt 0x0
	v_cvt_f16_f32_e32 v2, v2
.LBB158_620:
	s_mov_b32 s26, 0
.LBB158_621:
	s_delay_alu instid0(SALU_CYCLE_1)
	s_and_not1_b32 vcc_lo, exec_lo, s26
	s_cbranch_vccnz .LBB158_623
; %bb.622:
	s_wait_loadcnt 0x0
	global_load_b32 v2, v[0:1], off
.LBB158_623:
	s_mov_b32 s26, 0
.LBB158_624:
	s_delay_alu instid0(SALU_CYCLE_1)
	s_and_not1_b32 vcc_lo, exec_lo, s26
	s_cbranch_vccnz .LBB158_635
; %bb.625:
	s_cmp_lt_i32 s0, 6
	s_cbranch_scc1 .LBB158_628
; %bb.626:
	s_cmp_gt_i32 s0, 6
	s_cbranch_scc0 .LBB158_629
; %bb.627:
	s_wait_loadcnt 0x0
	global_load_b64 v[2:3], v[0:1], off
	s_mov_b32 s26, 0
	s_wait_loadcnt 0x0
	v_and_or_b32 v2, 0x1ff, v3, v2
	v_lshrrev_b32_e32 v4, 8, v3
	v_bfe_u32 v5, v3, 20, 11
	v_lshrrev_b32_e32 v3, 16, v3
	s_delay_alu instid0(VALU_DEP_4) | instskip(NEXT) | instid1(VALU_DEP_3)
	v_cmp_ne_u32_e32 vcc_lo, 0, v2
	v_sub_nc_u32_e32 v6, 0x3f1, v5
	v_add_nc_u32_e32 v5, 0xfffffc10, v5
	v_cndmask_b32_e64 v2, 0, 1, vcc_lo
	s_delay_alu instid0(VALU_DEP_1) | instskip(NEXT) | instid1(VALU_DEP_4)
	v_and_or_b32 v2, 0xffe, v4, v2
	v_med3_i32 v4, v6, 0, 13
	s_delay_alu instid0(VALU_DEP_2) | instskip(NEXT) | instid1(VALU_DEP_1)
	v_or_b32_e32 v6, 0x1000, v2
	v_lshrrev_b32_e32 v7, v4, v6
	s_delay_alu instid0(VALU_DEP_1) | instskip(NEXT) | instid1(VALU_DEP_1)
	v_lshlrev_b32_e32 v4, v4, v7
	v_cmp_ne_u32_e32 vcc_lo, v4, v6
	v_lshl_or_b32 v6, v5, 12, v2
	v_cndmask_b32_e64 v4, 0, 1, vcc_lo
	v_cmp_gt_i32_e32 vcc_lo, 1, v5
	s_delay_alu instid0(VALU_DEP_2) | instskip(NEXT) | instid1(VALU_DEP_1)
	v_or_b32_e32 v4, v7, v4
	v_cndmask_b32_e32 v4, v6, v4, vcc_lo
	s_delay_alu instid0(VALU_DEP_1) | instskip(NEXT) | instid1(VALU_DEP_1)
	v_dual_lshrrev_b32 v4, 2, v4 :: v_dual_bitop2_b32 v6, 7, v4 bitop3:0x40
	v_cmp_lt_i32_e32 vcc_lo, 5, v6
	v_cndmask_b32_e64 v7, 0, 1, vcc_lo
	v_cmp_eq_u32_e32 vcc_lo, 3, v6
	v_cndmask_b32_e64 v6, 0, 1, vcc_lo
	v_cmp_ne_u32_e32 vcc_lo, 0, v2
	s_delay_alu instid0(VALU_DEP_2) | instskip(NEXT) | instid1(VALU_DEP_1)
	v_or_b32_e32 v6, v6, v7
	v_dual_mov_b32 v7, 0x7e00 :: v_dual_add_nc_u32 v4, v4, v6
	s_delay_alu instid0(VALU_DEP_1) | instskip(SKIP_1) | instid1(VALU_DEP_3)
	v_cndmask_b32_e32 v2, 0x7c00, v7, vcc_lo
	v_cmp_gt_i32_e32 vcc_lo, 31, v5
	v_cndmask_b32_e32 v4, 0x7c00, v4, vcc_lo
	v_cmp_eq_u32_e32 vcc_lo, 0x40f, v5
	s_delay_alu instid0(VALU_DEP_2) | instskip(NEXT) | instid1(VALU_DEP_1)
	v_cndmask_b32_e32 v2, v4, v2, vcc_lo
	v_and_or_b32 v2, 0x8000, v3, v2
	s_branch .LBB158_630
.LBB158_628:
	s_mov_b32 s26, -1
                                        ; implicit-def: $vgpr2
	s_branch .LBB158_633
.LBB158_629:
	s_mov_b32 s26, -1
                                        ; implicit-def: $vgpr2
.LBB158_630:
	s_delay_alu instid0(SALU_CYCLE_1)
	s_and_not1_b32 vcc_lo, exec_lo, s26
	s_cbranch_vccnz .LBB158_632
; %bb.631:
	s_wait_loadcnt 0x0
	global_load_b32 v2, v[0:1], off
	s_wait_loadcnt 0x0
	v_cvt_f16_f32_e32 v2, v2
.LBB158_632:
	s_mov_b32 s26, 0
.LBB158_633:
	s_delay_alu instid0(SALU_CYCLE_1)
	s_and_not1_b32 vcc_lo, exec_lo, s26
	s_cbranch_vccnz .LBB158_635
; %bb.634:
	s_wait_loadcnt 0x0
	global_load_u16 v2, v[0:1], off
.LBB158_635:
	s_mov_b32 s26, 0
.LBB158_636:
	s_delay_alu instid0(SALU_CYCLE_1)
	s_and_not1_b32 vcc_lo, exec_lo, s26
	s_cbranch_vccnz .LBB158_656
; %bb.637:
	s_cmp_lt_i32 s0, 2
	s_cbranch_scc1 .LBB158_641
; %bb.638:
	s_cmp_lt_i32 s0, 3
	s_cbranch_scc1 .LBB158_642
; %bb.639:
	s_cmp_gt_i32 s0, 3
	s_cbranch_scc0 .LBB158_643
; %bb.640:
	s_wait_loadcnt 0x0
	global_load_b64 v[2:3], v[0:1], off
	s_mov_b32 s26, 0
	s_wait_loadcnt 0x0
	v_xor_b32_e32 v4, v2, v3
	v_cls_i32_e32 v5, v3
	s_delay_alu instid0(VALU_DEP_2) | instskip(NEXT) | instid1(VALU_DEP_1)
	v_ashrrev_i32_e32 v4, 31, v4
	v_add_nc_u32_e32 v4, 32, v4
	s_delay_alu instid0(VALU_DEP_1) | instskip(NEXT) | instid1(VALU_DEP_1)
	v_add_min_u32_e64 v4, v5, -1, v4
	v_lshlrev_b64_e32 v[2:3], v4, v[2:3]
	s_delay_alu instid0(VALU_DEP_1) | instskip(NEXT) | instid1(VALU_DEP_1)
	v_min_u32_e32 v2, 1, v2
	v_dual_sub_nc_u32 v3, 32, v4 :: v_dual_bitop2_b32 v2, v3, v2 bitop3:0x54
	s_delay_alu instid0(VALU_DEP_1) | instskip(NEXT) | instid1(VALU_DEP_1)
	v_cvt_f32_i32_e32 v2, v2
	v_ldexp_f32 v2, v2, v3
	s_delay_alu instid0(VALU_DEP_1)
	v_cvt_f16_f32_e32 v2, v2
	s_branch .LBB158_644
.LBB158_641:
	s_mov_b32 s26, -1
                                        ; implicit-def: $vgpr2
	s_branch .LBB158_650
.LBB158_642:
	s_mov_b32 s26, -1
                                        ; implicit-def: $vgpr2
	s_branch .LBB158_647
.LBB158_643:
	s_mov_b32 s26, -1
                                        ; implicit-def: $vgpr2
.LBB158_644:
	s_delay_alu instid0(SALU_CYCLE_1)
	s_and_not1_b32 vcc_lo, exec_lo, s26
	s_cbranch_vccnz .LBB158_646
; %bb.645:
	s_wait_loadcnt 0x0
	global_load_b32 v2, v[0:1], off
	s_wait_loadcnt 0x0
	v_cvt_f32_i32_e32 v2, v2
	s_delay_alu instid0(VALU_DEP_1)
	v_cvt_f16_f32_e32 v2, v2
.LBB158_646:
	s_mov_b32 s26, 0
.LBB158_647:
	s_delay_alu instid0(SALU_CYCLE_1)
	s_and_not1_b32 vcc_lo, exec_lo, s26
	s_cbranch_vccnz .LBB158_649
; %bb.648:
	s_wait_loadcnt 0x0
	global_load_u16 v2, v[0:1], off
	s_wait_loadcnt 0x0
	v_cvt_f16_i16_e32 v2, v2
.LBB158_649:
	s_mov_b32 s26, 0
.LBB158_650:
	s_delay_alu instid0(SALU_CYCLE_1)
	s_and_not1_b32 vcc_lo, exec_lo, s26
	s_cbranch_vccnz .LBB158_656
; %bb.651:
	s_cmp_gt_i32 s0, 0
	s_mov_b32 s0, 0
	s_cbranch_scc0 .LBB158_653
; %bb.652:
	s_wait_loadcnt 0x0
	global_load_i8 v2, v[0:1], off
	s_wait_loadcnt 0x0
	v_cvt_f16_i16_e32 v2, v2
	s_branch .LBB158_654
.LBB158_653:
	s_mov_b32 s0, -1
                                        ; implicit-def: $vgpr2
.LBB158_654:
	s_delay_alu instid0(SALU_CYCLE_1)
	s_and_not1_b32 vcc_lo, exec_lo, s0
	s_cbranch_vccnz .LBB158_656
; %bb.655:
	global_load_u8 v0, v[0:1], off
	s_wait_loadcnt 0x0
	v_cvt_f16_u16_e32 v2, v0
.LBB158_656:
	s_branch .LBB158_526
.LBB158_657:
	s_mov_b32 s30, 0
	s_mov_b32 s0, s19
	;; [unrolled: 1-line block ×4, first 2 shown]
	s_branch .LBB158_1033
.LBB158_658:
	s_and_not1_saveexec_b32 s29, s29
	s_cbranch_execz .LBB158_421
.LBB158_659:
	v_add_f32_e64 v4, 0x46000000, |v3|
	s_and_not1_b32 s28, s28, exec_lo
	s_delay_alu instid0(VALU_DEP_1) | instskip(NEXT) | instid1(VALU_DEP_1)
	v_and_b32_e32 v4, 0xff, v4
	v_cmp_ne_u32_e32 vcc_lo, 0, v4
	s_and_b32 s30, vcc_lo, exec_lo
	s_delay_alu instid0(SALU_CYCLE_1)
	s_or_b32 s28, s28, s30
	s_or_b32 exec_lo, exec_lo, s29
	v_mov_b32_e32 v5, 0
	s_and_saveexec_b32 s29, s28
	s_cbranch_execnz .LBB158_422
	s_branch .LBB158_423
.LBB158_660:
	s_mov_b32 s28, -1
	s_mov_b32 s27, 0
.LBB158_661:
                                        ; implicit-def: $vgpr3
.LBB158_662:
	s_and_b32 vcc_lo, exec_lo, s30
	s_cbranch_vccz .LBB158_666
; %bb.663:
	s_cmp_eq_u32 s26, 44
	s_cbranch_scc0 .LBB158_665
; %bb.664:
	s_wait_loadcnt 0x0
	global_load_u8 v3, v[0:1], off
	s_mov_b32 s28, 0
	s_mov_b32 s27, -1
	s_wait_loadcnt 0x0
	v_lshlrev_b32_e32 v4, 23, v3
	v_cmp_ne_u32_e32 vcc_lo, 0xff, v3
	s_delay_alu instid0(VALU_DEP_2) | instskip(NEXT) | instid1(VALU_DEP_1)
	v_cvt_f16_f32_e32 v4, v4
	v_cndmask_b32_e32 v4, 0x7e00, v4, vcc_lo
	v_cmp_ne_u32_e32 vcc_lo, 0, v3
	s_delay_alu instid0(VALU_DEP_2)
	v_cndmask_b32_e32 v3, 0, v4, vcc_lo
	s_branch .LBB158_666
.LBB158_665:
	s_mov_b32 s28, -1
                                        ; implicit-def: $vgpr3
.LBB158_666:
	s_mov_b32 s30, 0
.LBB158_667:
	s_delay_alu instid0(SALU_CYCLE_1)
	s_and_b32 vcc_lo, exec_lo, s30
	s_cbranch_vccz .LBB158_671
; %bb.668:
	s_cmp_eq_u32 s26, 29
	s_cbranch_scc0 .LBB158_670
; %bb.669:
	s_wait_loadcnt 0x0
	global_load_b64 v[4:5], v[0:1], off
	s_mov_b32 s27, -1
	s_mov_b32 s28, 0
	s_mov_b32 s30, 0
	s_wait_loadcnt 0x0
	v_clz_i32_u32_e32 v3, v5
	s_delay_alu instid0(VALU_DEP_1) | instskip(NEXT) | instid1(VALU_DEP_1)
	v_min_u32_e32 v3, 32, v3
	v_lshlrev_b64_e32 v[4:5], v3, v[4:5]
	v_sub_nc_u32_e32 v3, 32, v3
	s_delay_alu instid0(VALU_DEP_2) | instskip(NEXT) | instid1(VALU_DEP_1)
	v_min_u32_e32 v4, 1, v4
	v_or_b32_e32 v4, v5, v4
	s_delay_alu instid0(VALU_DEP_1) | instskip(NEXT) | instid1(VALU_DEP_1)
	v_cvt_f32_u32_e32 v4, v4
	v_ldexp_f32 v3, v4, v3
	s_delay_alu instid0(VALU_DEP_1)
	v_cvt_f16_f32_e32 v3, v3
	s_branch .LBB158_672
.LBB158_670:
	s_mov_b32 s28, -1
                                        ; implicit-def: $vgpr3
.LBB158_671:
	s_mov_b32 s30, 0
.LBB158_672:
	s_delay_alu instid0(SALU_CYCLE_1)
	s_and_b32 vcc_lo, exec_lo, s30
	s_cbranch_vccz .LBB158_690
; %bb.673:
	s_cmp_lt_i32 s26, 27
	s_cbranch_scc1 .LBB158_676
; %bb.674:
	s_cmp_gt_i32 s26, 27
	s_cbranch_scc0 .LBB158_677
; %bb.675:
	s_wait_loadcnt 0x0
	global_load_b32 v3, v[0:1], off
	s_mov_b32 s27, 0
	s_wait_loadcnt 0x0
	v_cvt_f32_u32_e32 v3, v3
	s_delay_alu instid0(VALU_DEP_1)
	v_cvt_f16_f32_e32 v3, v3
	s_branch .LBB158_678
.LBB158_676:
	s_mov_b32 s27, -1
                                        ; implicit-def: $vgpr3
	s_branch .LBB158_681
.LBB158_677:
	s_mov_b32 s27, -1
                                        ; implicit-def: $vgpr3
.LBB158_678:
	s_delay_alu instid0(SALU_CYCLE_1)
	s_and_not1_b32 vcc_lo, exec_lo, s27
	s_cbranch_vccnz .LBB158_680
; %bb.679:
	s_wait_loadcnt 0x0
	global_load_u16 v3, v[0:1], off
	s_wait_loadcnt 0x0
	v_cvt_f16_u16_e32 v3, v3
.LBB158_680:
	s_mov_b32 s27, 0
.LBB158_681:
	s_delay_alu instid0(SALU_CYCLE_1)
	s_and_not1_b32 vcc_lo, exec_lo, s27
	s_cbranch_vccnz .LBB158_689
; %bb.682:
	s_wait_loadcnt 0x0
	global_load_u8 v4, v[0:1], off
	s_mov_b32 s27, 0
	s_mov_b32 s30, exec_lo
	s_wait_loadcnt 0x0
	v_cmpx_lt_i16_e32 0x7f, v4
	s_xor_b32 s30, exec_lo, s30
	s_cbranch_execz .LBB158_703
; %bb.683:
	s_mov_b32 s27, -1
	s_mov_b32 s31, exec_lo
	v_cmpx_eq_u16_e32 0x80, v4
; %bb.684:
	s_xor_b32 s27, exec_lo, -1
; %bb.685:
	s_or_b32 exec_lo, exec_lo, s31
	s_delay_alu instid0(SALU_CYCLE_1)
	s_and_b32 s27, s27, exec_lo
	s_or_saveexec_b32 s30, s30
	v_mov_b32_e32 v3, 0x7e00
	s_xor_b32 exec_lo, exec_lo, s30
	s_cbranch_execnz .LBB158_704
.LBB158_686:
	s_or_b32 exec_lo, exec_lo, s30
	s_and_saveexec_b32 s30, s27
	s_cbranch_execz .LBB158_688
.LBB158_687:
	v_and_b32_e32 v3, 0xffff, v4
	s_delay_alu instid0(VALU_DEP_1) | instskip(SKIP_1) | instid1(VALU_DEP_2)
	v_and_b32_e32 v5, 7, v3
	v_bfe_u32 v9, v3, 3, 4
	v_clz_i32_u32_e32 v6, v5
	s_delay_alu instid0(VALU_DEP_2) | instskip(NEXT) | instid1(VALU_DEP_2)
	v_cmp_eq_u32_e32 vcc_lo, 0, v9
	v_min_u32_e32 v6, 32, v6
	s_delay_alu instid0(VALU_DEP_1) | instskip(NEXT) | instid1(VALU_DEP_1)
	v_subrev_nc_u32_e32 v7, 28, v6
	v_dual_lshlrev_b32 v3, v7, v3 :: v_dual_sub_nc_u32 v6, 29, v6
	s_delay_alu instid0(VALU_DEP_1) | instskip(NEXT) | instid1(VALU_DEP_2)
	v_dual_lshlrev_b32 v4, 24, v4 :: v_dual_bitop2_b32 v3, 7, v3 bitop3:0x40
	v_cndmask_b32_e32 v6, v9, v6, vcc_lo
	s_delay_alu instid0(VALU_DEP_2) | instskip(NEXT) | instid1(VALU_DEP_3)
	v_cndmask_b32_e32 v3, v5, v3, vcc_lo
	v_and_b32_e32 v4, 0x80000000, v4
	s_delay_alu instid0(VALU_DEP_3) | instskip(NEXT) | instid1(VALU_DEP_3)
	v_lshl_add_u32 v5, v6, 23, 0x3b800000
	v_lshlrev_b32_e32 v3, 20, v3
	s_delay_alu instid0(VALU_DEP_1) | instskip(NEXT) | instid1(VALU_DEP_1)
	v_or3_b32 v3, v4, v5, v3
	v_cvt_f16_f32_e32 v3, v3
.LBB158_688:
	s_or_b32 exec_lo, exec_lo, s30
.LBB158_689:
	s_mov_b32 s27, -1
.LBB158_690:
	s_mov_b32 s30, 0
.LBB158_691:
	s_delay_alu instid0(SALU_CYCLE_1)
	s_and_b32 vcc_lo, exec_lo, s30
	s_cbranch_vccz .LBB158_726
; %bb.692:
	s_cmp_gt_i32 s26, 22
	s_cbranch_scc0 .LBB158_702
; %bb.693:
	s_cmp_lt_i32 s26, 24
	s_cbranch_scc1 .LBB158_705
; %bb.694:
	s_cmp_gt_i32 s26, 24
	s_cbranch_scc0 .LBB158_706
; %bb.695:
	s_wait_loadcnt 0x0
	global_load_u8 v4, v[0:1], off
	s_mov_b32 s27, 0
	s_mov_b32 s30, exec_lo
	s_wait_loadcnt 0x0
	v_cmpx_lt_i16_e32 0x7f, v4
	s_xor_b32 s30, exec_lo, s30
	s_cbranch_execz .LBB158_718
; %bb.696:
	s_mov_b32 s27, -1
	s_mov_b32 s31, exec_lo
	v_cmpx_eq_u16_e32 0x80, v4
; %bb.697:
	s_xor_b32 s27, exec_lo, -1
; %bb.698:
	s_or_b32 exec_lo, exec_lo, s31
	s_delay_alu instid0(SALU_CYCLE_1)
	s_and_b32 s27, s27, exec_lo
	s_or_saveexec_b32 s30, s30
	v_mov_b32_e32 v3, 0x7e00
	s_xor_b32 exec_lo, exec_lo, s30
	s_cbranch_execnz .LBB158_719
.LBB158_699:
	s_or_b32 exec_lo, exec_lo, s30
	s_and_saveexec_b32 s30, s27
	s_cbranch_execz .LBB158_701
.LBB158_700:
	v_and_b32_e32 v3, 0xffff, v4
	s_delay_alu instid0(VALU_DEP_1) | instskip(SKIP_1) | instid1(VALU_DEP_2)
	v_and_b32_e32 v5, 3, v3
	v_bfe_u32 v9, v3, 2, 5
	v_clz_i32_u32_e32 v6, v5
	s_delay_alu instid0(VALU_DEP_2) | instskip(NEXT) | instid1(VALU_DEP_2)
	v_cmp_eq_u32_e32 vcc_lo, 0, v9
	v_min_u32_e32 v6, 32, v6
	s_delay_alu instid0(VALU_DEP_1) | instskip(NEXT) | instid1(VALU_DEP_1)
	v_subrev_nc_u32_e32 v7, 29, v6
	v_dual_lshlrev_b32 v3, v7, v3 :: v_dual_sub_nc_u32 v6, 30, v6
	s_delay_alu instid0(VALU_DEP_1) | instskip(NEXT) | instid1(VALU_DEP_2)
	v_dual_lshlrev_b32 v4, 24, v4 :: v_dual_bitop2_b32 v3, 3, v3 bitop3:0x40
	v_cndmask_b32_e32 v6, v9, v6, vcc_lo
	s_delay_alu instid0(VALU_DEP_2) | instskip(NEXT) | instid1(VALU_DEP_3)
	v_cndmask_b32_e32 v3, v5, v3, vcc_lo
	v_and_b32_e32 v4, 0x80000000, v4
	s_delay_alu instid0(VALU_DEP_3) | instskip(NEXT) | instid1(VALU_DEP_3)
	v_lshl_add_u32 v5, v6, 23, 0x37800000
	v_lshlrev_b32_e32 v3, 21, v3
	s_delay_alu instid0(VALU_DEP_1) | instskip(NEXT) | instid1(VALU_DEP_1)
	v_or3_b32 v3, v4, v5, v3
	v_cvt_f16_f32_e32 v3, v3
.LBB158_701:
	s_or_b32 exec_lo, exec_lo, s30
	s_mov_b32 s27, 0
	s_branch .LBB158_707
.LBB158_702:
	s_mov_b32 s30, -1
                                        ; implicit-def: $vgpr3
	s_branch .LBB158_713
.LBB158_703:
	s_or_saveexec_b32 s30, s30
	v_mov_b32_e32 v3, 0x7e00
	s_xor_b32 exec_lo, exec_lo, s30
	s_cbranch_execz .LBB158_686
.LBB158_704:
	v_cmp_ne_u16_e32 vcc_lo, 0, v4
	v_mov_b32_e32 v3, v4
	s_and_not1_b32 s27, s27, exec_lo
	s_and_b32 s31, vcc_lo, exec_lo
	s_delay_alu instid0(SALU_CYCLE_1)
	s_or_b32 s27, s27, s31
	s_or_b32 exec_lo, exec_lo, s30
	s_and_saveexec_b32 s30, s27
	s_cbranch_execnz .LBB158_687
	s_branch .LBB158_688
.LBB158_705:
	s_mov_b32 s27, -1
                                        ; implicit-def: $vgpr3
	s_branch .LBB158_710
.LBB158_706:
	s_mov_b32 s27, -1
                                        ; implicit-def: $vgpr3
.LBB158_707:
	s_delay_alu instid0(SALU_CYCLE_1)
	s_and_b32 vcc_lo, exec_lo, s27
	s_cbranch_vccz .LBB158_709
; %bb.708:
	s_wait_loadcnt 0x0
	global_load_u8 v3, v[0:1], off
	s_wait_loadcnt 0x0
	v_lshlrev_b32_e32 v3, 24, v3
	s_delay_alu instid0(VALU_DEP_1) | instskip(NEXT) | instid1(VALU_DEP_1)
	v_and_b32_e32 v4, 0x7f000000, v3
	v_clz_i32_u32_e32 v5, v4
	v_cmp_ne_u32_e32 vcc_lo, 0, v4
	v_add_nc_u32_e32 v7, 0x1000000, v4
	s_delay_alu instid0(VALU_DEP_3) | instskip(NEXT) | instid1(VALU_DEP_1)
	v_min_u32_e32 v5, 32, v5
	v_sub_nc_u32_e64 v5, v5, 4 clamp
	s_delay_alu instid0(VALU_DEP_1) | instskip(NEXT) | instid1(VALU_DEP_1)
	v_dual_lshlrev_b32 v6, v5, v4 :: v_dual_lshlrev_b32 v5, 23, v5
	v_lshrrev_b32_e32 v6, 4, v6
	s_delay_alu instid0(VALU_DEP_1) | instskip(NEXT) | instid1(VALU_DEP_1)
	v_dual_sub_nc_u32 v5, v6, v5 :: v_dual_ashrrev_i32 v6, 8, v7
	v_add_nc_u32_e32 v5, 0x3c000000, v5
	s_delay_alu instid0(VALU_DEP_1) | instskip(NEXT) | instid1(VALU_DEP_1)
	v_and_or_b32 v5, 0x7f800000, v6, v5
	v_cndmask_b32_e32 v4, 0, v5, vcc_lo
	s_delay_alu instid0(VALU_DEP_1) | instskip(NEXT) | instid1(VALU_DEP_1)
	v_and_or_b32 v3, 0x80000000, v3, v4
	v_cvt_f16_f32_e32 v3, v3
.LBB158_709:
	s_mov_b32 s27, 0
.LBB158_710:
	s_delay_alu instid0(SALU_CYCLE_1)
	s_and_not1_b32 vcc_lo, exec_lo, s27
	s_cbranch_vccnz .LBB158_712
; %bb.711:
	s_wait_loadcnt 0x0
	global_load_u8 v3, v[0:1], off
	s_wait_loadcnt 0x0
	v_lshlrev_b32_e32 v4, 25, v3
	v_lshlrev_b16 v3, 8, v3
	s_delay_alu instid0(VALU_DEP_1) | instskip(SKIP_1) | instid1(VALU_DEP_2)
	v_and_or_b32 v6, 0x7f00, v3, 0.5
	v_bfe_i32 v3, v3, 0, 16
	v_dual_add_f32 v6, -0.5, v6 :: v_dual_lshrrev_b32 v5, 4, v4
	v_cmp_gt_u32_e32 vcc_lo, 0x8000000, v4
	s_delay_alu instid0(VALU_DEP_2) | instskip(NEXT) | instid1(VALU_DEP_1)
	v_or_b32_e32 v5, 0x70000000, v5
	v_mul_f32_e32 v5, 0x7800000, v5
	s_delay_alu instid0(VALU_DEP_1) | instskip(NEXT) | instid1(VALU_DEP_1)
	v_cndmask_b32_e32 v4, v5, v6, vcc_lo
	v_and_or_b32 v3, 0x80000000, v3, v4
	s_delay_alu instid0(VALU_DEP_1)
	v_cvt_f16_f32_e32 v3, v3
.LBB158_712:
	s_mov_b32 s30, 0
	s_mov_b32 s27, -1
.LBB158_713:
	s_and_not1_b32 vcc_lo, exec_lo, s30
	s_cbranch_vccnz .LBB158_726
; %bb.714:
	s_cmp_gt_i32 s26, 14
	s_cbranch_scc0 .LBB158_717
; %bb.715:
	s_cmp_eq_u32 s26, 15
	s_cbranch_scc0 .LBB158_720
; %bb.716:
	s_wait_loadcnt 0x0
	global_load_u16 v3, v[0:1], off
	s_mov_b32 s27, -1
	s_mov_b32 s28, 0
	s_wait_loadcnt 0x0
	v_lshlrev_b32_e32 v3, 16, v3
	s_delay_alu instid0(VALU_DEP_1)
	v_cvt_f16_f32_e32 v3, v3
	s_branch .LBB158_721
.LBB158_717:
	s_mov_b32 s30, -1
                                        ; implicit-def: $vgpr3
	s_branch .LBB158_722
.LBB158_718:
	s_or_saveexec_b32 s30, s30
	v_mov_b32_e32 v3, 0x7e00
	s_xor_b32 exec_lo, exec_lo, s30
	s_cbranch_execz .LBB158_699
.LBB158_719:
	v_cmp_ne_u16_e32 vcc_lo, 0, v4
	v_mov_b32_e32 v3, v4
	s_and_not1_b32 s27, s27, exec_lo
	s_and_b32 s31, vcc_lo, exec_lo
	s_delay_alu instid0(SALU_CYCLE_1)
	s_or_b32 s27, s27, s31
	s_or_b32 exec_lo, exec_lo, s30
	s_and_saveexec_b32 s30, s27
	s_cbranch_execnz .LBB158_700
	s_branch .LBB158_701
.LBB158_720:
	s_mov_b32 s28, -1
                                        ; implicit-def: $vgpr3
.LBB158_721:
	s_mov_b32 s30, 0
.LBB158_722:
	s_delay_alu instid0(SALU_CYCLE_1)
	s_and_b32 vcc_lo, exec_lo, s30
	s_cbranch_vccz .LBB158_726
; %bb.723:
	s_cmp_eq_u32 s26, 11
	s_cbranch_scc0 .LBB158_725
; %bb.724:
	s_wait_loadcnt 0x0
	global_load_u8 v3, v[0:1], off
	s_mov_b32 s28, 0
	s_mov_b32 s27, -1
	s_wait_loadcnt 0x0
	v_cmp_ne_u16_e32 vcc_lo, 0, v3
	v_cndmask_b32_e64 v3, 0, 0x3c00, vcc_lo
	s_branch .LBB158_726
.LBB158_725:
	s_mov_b32 s28, -1
                                        ; implicit-def: $vgpr3
.LBB158_726:
	s_mov_b32 s26, 0
.LBB158_727:
	s_delay_alu instid0(SALU_CYCLE_1)
	s_and_b32 vcc_lo, exec_lo, s26
	s_cbranch_vccz .LBB158_776
; %bb.728:
	s_and_b32 s0, 0xffff, s0
	s_delay_alu instid0(SALU_CYCLE_1)
	s_cmp_lt_i32 s0, 5
	s_cbranch_scc1 .LBB158_733
; %bb.729:
	s_cmp_lt_i32 s0, 8
	s_cbranch_scc1 .LBB158_734
; %bb.730:
	;; [unrolled: 3-line block ×3, first 2 shown]
	s_cmp_gt_i32 s0, 9
	s_cbranch_scc0 .LBB158_736
; %bb.732:
	s_wait_loadcnt 0x0
	global_load_b64 v[4:5], v[0:1], off
	s_mov_b32 s26, 0
	s_wait_loadcnt 0x0
	v_and_or_b32 v3, 0x1ff, v5, v4
	v_lshrrev_b32_e32 v4, 8, v5
	v_bfe_u32 v6, v5, 20, 11
	s_delay_alu instid0(VALU_DEP_3) | instskip(NEXT) | instid1(VALU_DEP_2)
	v_cmp_ne_u32_e32 vcc_lo, 0, v3
	v_sub_nc_u32_e32 v7, 0x3f1, v6
	v_add_nc_u32_e32 v6, 0xfffffc10, v6
	v_cndmask_b32_e64 v3, 0, 1, vcc_lo
	s_delay_alu instid0(VALU_DEP_1) | instskip(NEXT) | instid1(VALU_DEP_4)
	v_and_or_b32 v3, 0xffe, v4, v3
	v_med3_i32 v4, v7, 0, 13
	s_delay_alu instid0(VALU_DEP_2) | instskip(NEXT) | instid1(VALU_DEP_1)
	v_or_b32_e32 v7, 0x1000, v3
	v_lshrrev_b32_e32 v9, v4, v7
	s_delay_alu instid0(VALU_DEP_1) | instskip(NEXT) | instid1(VALU_DEP_1)
	v_lshlrev_b32_e32 v4, v4, v9
	v_cmp_ne_u32_e32 vcc_lo, v4, v7
	v_lshl_or_b32 v7, v6, 12, v3
	v_cndmask_b32_e64 v4, 0, 1, vcc_lo
	v_cmp_gt_i32_e32 vcc_lo, 1, v6
	s_delay_alu instid0(VALU_DEP_2) | instskip(NEXT) | instid1(VALU_DEP_1)
	v_or_b32_e32 v4, v9, v4
	v_cndmask_b32_e32 v4, v7, v4, vcc_lo
	s_delay_alu instid0(VALU_DEP_1) | instskip(NEXT) | instid1(VALU_DEP_1)
	v_dual_lshrrev_b32 v4, 2, v4 :: v_dual_bitop2_b32 v7, 7, v4 bitop3:0x40
	v_cmp_lt_i32_e32 vcc_lo, 5, v7
	v_cndmask_b32_e64 v9, 0, 1, vcc_lo
	v_cmp_eq_u32_e32 vcc_lo, 3, v7
	v_cndmask_b32_e64 v7, 0, 1, vcc_lo
	v_cmp_ne_u32_e32 vcc_lo, 0, v3
	s_delay_alu instid0(VALU_DEP_2) | instskip(NEXT) | instid1(VALU_DEP_1)
	v_or_b32_e32 v7, v7, v9
	v_dual_mov_b32 v9, 0x7e00 :: v_dual_add_nc_u32 v4, v4, v7
	s_delay_alu instid0(VALU_DEP_1) | instskip(SKIP_1) | instid1(VALU_DEP_3)
	v_cndmask_b32_e32 v3, 0x7c00, v9, vcc_lo
	v_cmp_gt_i32_e32 vcc_lo, 31, v6
	v_cndmask_b32_e32 v4, 0x7c00, v4, vcc_lo
	v_cmp_eq_u32_e32 vcc_lo, 0x40f, v6
	s_delay_alu instid0(VALU_DEP_2) | instskip(NEXT) | instid1(VALU_DEP_1)
	v_dual_cndmask_b32 v3, v4, v3 :: v_dual_lshrrev_b32 v4, 16, v5
	v_and_or_b32 v3, 0x8000, v4, v3
	s_branch .LBB158_737
.LBB158_733:
	s_mov_b32 s26, -1
                                        ; implicit-def: $vgpr3
	s_branch .LBB158_755
.LBB158_734:
	s_mov_b32 s26, -1
                                        ; implicit-def: $vgpr3
	s_branch .LBB158_743
.LBB158_735:
	s_mov_b32 s26, -1
                                        ; implicit-def: $vgpr3
	s_branch .LBB158_740
.LBB158_736:
	s_mov_b32 s26, -1
                                        ; implicit-def: $vgpr3
.LBB158_737:
	s_delay_alu instid0(SALU_CYCLE_1)
	s_and_not1_b32 vcc_lo, exec_lo, s26
	s_cbranch_vccnz .LBB158_739
; %bb.738:
	s_wait_loadcnt 0x0
	global_load_b32 v3, v[0:1], off
	s_wait_loadcnt 0x0
	v_cvt_f16_f32_e32 v3, v3
.LBB158_739:
	s_mov_b32 s26, 0
.LBB158_740:
	s_delay_alu instid0(SALU_CYCLE_1)
	s_and_not1_b32 vcc_lo, exec_lo, s26
	s_cbranch_vccnz .LBB158_742
; %bb.741:
	s_wait_loadcnt 0x0
	global_load_b32 v3, v[0:1], off
.LBB158_742:
	s_mov_b32 s26, 0
.LBB158_743:
	s_delay_alu instid0(SALU_CYCLE_1)
	s_and_not1_b32 vcc_lo, exec_lo, s26
	s_cbranch_vccnz .LBB158_754
; %bb.744:
	s_cmp_lt_i32 s0, 6
	s_cbranch_scc1 .LBB158_747
; %bb.745:
	s_cmp_gt_i32 s0, 6
	s_cbranch_scc0 .LBB158_748
; %bb.746:
	s_wait_loadcnt 0x0
	global_load_b64 v[4:5], v[0:1], off
	s_mov_b32 s26, 0
	s_wait_loadcnt 0x0
	v_and_or_b32 v3, 0x1ff, v5, v4
	v_lshrrev_b32_e32 v4, 8, v5
	v_bfe_u32 v6, v5, 20, 11
	s_delay_alu instid0(VALU_DEP_3) | instskip(NEXT) | instid1(VALU_DEP_2)
	v_cmp_ne_u32_e32 vcc_lo, 0, v3
	v_sub_nc_u32_e32 v7, 0x3f1, v6
	v_add_nc_u32_e32 v6, 0xfffffc10, v6
	v_cndmask_b32_e64 v3, 0, 1, vcc_lo
	s_delay_alu instid0(VALU_DEP_1) | instskip(NEXT) | instid1(VALU_DEP_4)
	v_and_or_b32 v3, 0xffe, v4, v3
	v_med3_i32 v4, v7, 0, 13
	s_delay_alu instid0(VALU_DEP_2) | instskip(NEXT) | instid1(VALU_DEP_1)
	v_or_b32_e32 v7, 0x1000, v3
	v_lshrrev_b32_e32 v9, v4, v7
	s_delay_alu instid0(VALU_DEP_1) | instskip(NEXT) | instid1(VALU_DEP_1)
	v_lshlrev_b32_e32 v4, v4, v9
	v_cmp_ne_u32_e32 vcc_lo, v4, v7
	v_lshl_or_b32 v7, v6, 12, v3
	v_cndmask_b32_e64 v4, 0, 1, vcc_lo
	v_cmp_gt_i32_e32 vcc_lo, 1, v6
	s_delay_alu instid0(VALU_DEP_2) | instskip(NEXT) | instid1(VALU_DEP_1)
	v_or_b32_e32 v4, v9, v4
	v_cndmask_b32_e32 v4, v7, v4, vcc_lo
	s_delay_alu instid0(VALU_DEP_1) | instskip(NEXT) | instid1(VALU_DEP_1)
	v_dual_lshrrev_b32 v4, 2, v4 :: v_dual_bitop2_b32 v7, 7, v4 bitop3:0x40
	v_cmp_lt_i32_e32 vcc_lo, 5, v7
	v_cndmask_b32_e64 v9, 0, 1, vcc_lo
	v_cmp_eq_u32_e32 vcc_lo, 3, v7
	v_cndmask_b32_e64 v7, 0, 1, vcc_lo
	v_cmp_ne_u32_e32 vcc_lo, 0, v3
	s_delay_alu instid0(VALU_DEP_2) | instskip(NEXT) | instid1(VALU_DEP_1)
	v_or_b32_e32 v7, v7, v9
	v_dual_mov_b32 v9, 0x7e00 :: v_dual_add_nc_u32 v4, v4, v7
	s_delay_alu instid0(VALU_DEP_1) | instskip(SKIP_1) | instid1(VALU_DEP_3)
	v_cndmask_b32_e32 v3, 0x7c00, v9, vcc_lo
	v_cmp_gt_i32_e32 vcc_lo, 31, v6
	v_cndmask_b32_e32 v4, 0x7c00, v4, vcc_lo
	v_cmp_eq_u32_e32 vcc_lo, 0x40f, v6
	s_delay_alu instid0(VALU_DEP_2) | instskip(NEXT) | instid1(VALU_DEP_1)
	v_dual_cndmask_b32 v3, v4, v3 :: v_dual_lshrrev_b32 v4, 16, v5
	v_and_or_b32 v3, 0x8000, v4, v3
	s_branch .LBB158_749
.LBB158_747:
	s_mov_b32 s26, -1
                                        ; implicit-def: $vgpr3
	s_branch .LBB158_752
.LBB158_748:
	s_mov_b32 s26, -1
                                        ; implicit-def: $vgpr3
.LBB158_749:
	s_delay_alu instid0(SALU_CYCLE_1)
	s_and_not1_b32 vcc_lo, exec_lo, s26
	s_cbranch_vccnz .LBB158_751
; %bb.750:
	s_wait_loadcnt 0x0
	global_load_b32 v3, v[0:1], off
	s_wait_loadcnt 0x0
	v_cvt_f16_f32_e32 v3, v3
.LBB158_751:
	s_mov_b32 s26, 0
.LBB158_752:
	s_delay_alu instid0(SALU_CYCLE_1)
	s_and_not1_b32 vcc_lo, exec_lo, s26
	s_cbranch_vccnz .LBB158_754
; %bb.753:
	s_wait_loadcnt 0x0
	global_load_u16 v3, v[0:1], off
.LBB158_754:
	s_mov_b32 s26, 0
.LBB158_755:
	s_delay_alu instid0(SALU_CYCLE_1)
	s_and_not1_b32 vcc_lo, exec_lo, s26
	s_cbranch_vccnz .LBB158_775
; %bb.756:
	s_cmp_lt_i32 s0, 2
	s_cbranch_scc1 .LBB158_760
; %bb.757:
	s_cmp_lt_i32 s0, 3
	s_cbranch_scc1 .LBB158_761
; %bb.758:
	s_cmp_gt_i32 s0, 3
	s_cbranch_scc0 .LBB158_762
; %bb.759:
	s_wait_loadcnt 0x0
	global_load_b64 v[4:5], v[0:1], off
	s_mov_b32 s26, 0
	s_wait_loadcnt 0x0
	v_xor_b32_e32 v3, v4, v5
	v_cls_i32_e32 v6, v5
	s_delay_alu instid0(VALU_DEP_2) | instskip(NEXT) | instid1(VALU_DEP_1)
	v_ashrrev_i32_e32 v3, 31, v3
	v_add_nc_u32_e32 v3, 32, v3
	s_delay_alu instid0(VALU_DEP_1) | instskip(NEXT) | instid1(VALU_DEP_1)
	v_add_min_u32_e64 v3, v6, -1, v3
	v_lshlrev_b64_e32 v[4:5], v3, v[4:5]
	v_sub_nc_u32_e32 v3, 32, v3
	s_delay_alu instid0(VALU_DEP_2) | instskip(NEXT) | instid1(VALU_DEP_1)
	v_min_u32_e32 v4, 1, v4
	v_or_b32_e32 v4, v5, v4
	s_delay_alu instid0(VALU_DEP_1) | instskip(NEXT) | instid1(VALU_DEP_1)
	v_cvt_f32_i32_e32 v4, v4
	v_ldexp_f32 v3, v4, v3
	s_delay_alu instid0(VALU_DEP_1)
	v_cvt_f16_f32_e32 v3, v3
	s_branch .LBB158_763
.LBB158_760:
	s_mov_b32 s26, -1
                                        ; implicit-def: $vgpr3
	s_branch .LBB158_769
.LBB158_761:
	s_mov_b32 s26, -1
                                        ; implicit-def: $vgpr3
	s_branch .LBB158_766
.LBB158_762:
	s_mov_b32 s26, -1
                                        ; implicit-def: $vgpr3
.LBB158_763:
	s_delay_alu instid0(SALU_CYCLE_1)
	s_and_not1_b32 vcc_lo, exec_lo, s26
	s_cbranch_vccnz .LBB158_765
; %bb.764:
	s_wait_loadcnt 0x0
	global_load_b32 v3, v[0:1], off
	s_wait_loadcnt 0x0
	v_cvt_f32_i32_e32 v3, v3
	s_delay_alu instid0(VALU_DEP_1)
	v_cvt_f16_f32_e32 v3, v3
.LBB158_765:
	s_mov_b32 s26, 0
.LBB158_766:
	s_delay_alu instid0(SALU_CYCLE_1)
	s_and_not1_b32 vcc_lo, exec_lo, s26
	s_cbranch_vccnz .LBB158_768
; %bb.767:
	s_wait_loadcnt 0x0
	global_load_u16 v3, v[0:1], off
	s_wait_loadcnt 0x0
	v_cvt_f16_i16_e32 v3, v3
.LBB158_768:
	s_mov_b32 s26, 0
.LBB158_769:
	s_delay_alu instid0(SALU_CYCLE_1)
	s_and_not1_b32 vcc_lo, exec_lo, s26
	s_cbranch_vccnz .LBB158_775
; %bb.770:
	s_cmp_gt_i32 s0, 0
	s_mov_b32 s0, 0
	s_cbranch_scc0 .LBB158_772
; %bb.771:
	s_wait_loadcnt 0x0
	global_load_i8 v3, v[0:1], off
	s_wait_loadcnt 0x0
	v_cvt_f16_i16_e32 v3, v3
	s_branch .LBB158_773
.LBB158_772:
	s_mov_b32 s0, -1
                                        ; implicit-def: $vgpr3
.LBB158_773:
	s_delay_alu instid0(SALU_CYCLE_1)
	s_and_not1_b32 vcc_lo, exec_lo, s0
	s_cbranch_vccnz .LBB158_775
; %bb.774:
	global_load_u8 v0, v[0:1], off
	s_wait_loadcnt 0x0
	v_cvt_f16_u16_e32 v3, v0
.LBB158_775:
	s_mov_b32 s27, -1
.LBB158_776:
	s_delay_alu instid0(SALU_CYCLE_1)
	s_and_not1_b32 vcc_lo, exec_lo, s27
	s_cbranch_vccnz .LBB158_784
; %bb.777:
	s_wait_xcnt 0x0
	v_mul_lo_u32 v0, v8, s15
	s_and_b32 s0, 0xffff, s1
	s_delay_alu instid0(SALU_CYCLE_1) | instskip(NEXT) | instid1(VALU_DEP_1)
	s_cmp_lt_i32 s0, 11
	v_ashrrev_i32_e32 v1, 31, v0
	s_delay_alu instid0(VALU_DEP_1)
	v_add_nc_u64_e32 v[0:1], s[10:11], v[0:1]
	s_cbranch_scc1 .LBB158_785
; %bb.778:
	s_cmp_gt_i32 s0, 25
	s_cbranch_scc0 .LBB158_786
; %bb.779:
	s_cmp_gt_i32 s0, 28
	s_cbranch_scc0 .LBB158_787
	;; [unrolled: 3-line block ×4, first 2 shown]
; %bb.782:
	s_cmp_eq_u32 s0, 46
	s_mov_b32 s30, 0
	s_cbranch_scc0 .LBB158_792
; %bb.783:
	s_wait_loadcnt 0x0
	global_load_b32 v4, v[0:1], off
	s_mov_b32 s27, -1
	s_mov_b32 s26, 0
	s_wait_loadcnt 0x0
	v_lshlrev_b32_e32 v4, 16, v4
	s_delay_alu instid0(VALU_DEP_1)
	v_cvt_f16_f32_e32 v4, v4
	s_branch .LBB158_794
.LBB158_784:
	s_mov_b32 s30, 0
	s_mov_b32 s0, s19
	;; [unrolled: 1-line block ×3, first 2 shown]
	s_branch .LBB158_1033
.LBB158_785:
	s_mov_b32 s30, -1
	s_mov_b32 s27, 0
	s_mov_b32 s26, s21
                                        ; implicit-def: $vgpr4
	s_branch .LBB158_859
.LBB158_786:
	s_mov_b32 s30, -1
	s_mov_b32 s27, 0
	s_mov_b32 s26, s21
                                        ; implicit-def: $vgpr4
	s_branch .LBB158_823
.LBB158_787:
	s_mov_b32 s30, -1
	s_mov_b32 s27, 0
	s_mov_b32 s26, s21
                                        ; implicit-def: $vgpr4
	s_branch .LBB158_804
.LBB158_788:
	s_mov_b32 s30, -1
	s_mov_b32 s27, 0
	s_mov_b32 s26, s21
                                        ; implicit-def: $vgpr4
	s_branch .LBB158_799
.LBB158_789:
	s_mov_b32 s30, -1
	s_mov_b32 s27, 0
	s_mov_b32 s26, s21
	s_branch .LBB158_793
.LBB158_790:
	s_and_not1_saveexec_b32 s29, s29
	s_cbranch_execz .LBB158_434
.LBB158_791:
	v_add_f32_e64 v4, 0x42800000, |v3|
	s_and_not1_b32 s28, s28, exec_lo
	s_delay_alu instid0(VALU_DEP_1) | instskip(NEXT) | instid1(VALU_DEP_1)
	v_and_b32_e32 v4, 0xff, v4
	v_cmp_ne_u32_e32 vcc_lo, 0, v4
	s_and_b32 s30, vcc_lo, exec_lo
	s_delay_alu instid0(SALU_CYCLE_1)
	s_or_b32 s28, s28, s30
	s_or_b32 exec_lo, exec_lo, s29
	v_mov_b32_e32 v5, 0
	s_and_saveexec_b32 s29, s28
	s_cbranch_execnz .LBB158_435
	s_branch .LBB158_436
.LBB158_792:
	s_mov_b32 s26, -1
	s_mov_b32 s27, 0
.LBB158_793:
                                        ; implicit-def: $vgpr4
.LBB158_794:
	s_and_b32 vcc_lo, exec_lo, s30
	s_cbranch_vccz .LBB158_798
; %bb.795:
	s_cmp_eq_u32 s0, 44
	s_cbranch_scc0 .LBB158_797
; %bb.796:
	s_wait_loadcnt 0x0
	global_load_u8 v4, v[0:1], off
	s_mov_b32 s26, 0
	s_mov_b32 s27, -1
	s_wait_loadcnt 0x0
	v_lshlrev_b32_e32 v5, 23, v4
	v_cmp_ne_u32_e32 vcc_lo, 0xff, v4
	s_delay_alu instid0(VALU_DEP_2) | instskip(NEXT) | instid1(VALU_DEP_1)
	v_cvt_f16_f32_e32 v5, v5
	v_cndmask_b32_e32 v5, 0x7e00, v5, vcc_lo
	v_cmp_ne_u32_e32 vcc_lo, 0, v4
	s_delay_alu instid0(VALU_DEP_2)
	v_cndmask_b32_e32 v4, 0, v5, vcc_lo
	s_branch .LBB158_798
.LBB158_797:
	s_mov_b32 s26, -1
                                        ; implicit-def: $vgpr4
.LBB158_798:
	s_mov_b32 s30, 0
.LBB158_799:
	s_delay_alu instid0(SALU_CYCLE_1)
	s_and_b32 vcc_lo, exec_lo, s30
	s_cbranch_vccz .LBB158_803
; %bb.800:
	s_cmp_eq_u32 s0, 29
	s_cbranch_scc0 .LBB158_802
; %bb.801:
	s_wait_loadcnt 0x0
	global_load_b64 v[4:5], v[0:1], off
	s_mov_b32 s27, -1
	s_mov_b32 s26, 0
	s_mov_b32 s30, 0
	s_wait_loadcnt 0x0
	v_clz_i32_u32_e32 v6, v5
	s_delay_alu instid0(VALU_DEP_1) | instskip(NEXT) | instid1(VALU_DEP_1)
	v_min_u32_e32 v6, 32, v6
	v_lshlrev_b64_e32 v[4:5], v6, v[4:5]
	s_delay_alu instid0(VALU_DEP_1) | instskip(NEXT) | instid1(VALU_DEP_1)
	v_min_u32_e32 v4, 1, v4
	v_dual_sub_nc_u32 v5, 32, v6 :: v_dual_bitop2_b32 v4, v5, v4 bitop3:0x54
	s_delay_alu instid0(VALU_DEP_1) | instskip(NEXT) | instid1(VALU_DEP_1)
	v_cvt_f32_u32_e32 v4, v4
	v_ldexp_f32 v4, v4, v5
	s_delay_alu instid0(VALU_DEP_1)
	v_cvt_f16_f32_e32 v4, v4
	s_branch .LBB158_804
.LBB158_802:
	s_mov_b32 s26, -1
                                        ; implicit-def: $vgpr4
.LBB158_803:
	s_mov_b32 s30, 0
.LBB158_804:
	s_delay_alu instid0(SALU_CYCLE_1)
	s_and_b32 vcc_lo, exec_lo, s30
	s_cbranch_vccz .LBB158_822
; %bb.805:
	s_cmp_lt_i32 s0, 27
	s_cbranch_scc1 .LBB158_808
; %bb.806:
	s_cmp_gt_i32 s0, 27
	s_cbranch_scc0 .LBB158_809
; %bb.807:
	s_wait_loadcnt 0x0
	global_load_b32 v4, v[0:1], off
	s_mov_b32 s27, 0
	s_wait_loadcnt 0x0
	v_cvt_f32_u32_e32 v4, v4
	s_delay_alu instid0(VALU_DEP_1)
	v_cvt_f16_f32_e32 v4, v4
	s_branch .LBB158_810
.LBB158_808:
	s_mov_b32 s27, -1
                                        ; implicit-def: $vgpr4
	s_branch .LBB158_813
.LBB158_809:
	s_mov_b32 s27, -1
                                        ; implicit-def: $vgpr4
.LBB158_810:
	s_delay_alu instid0(SALU_CYCLE_1)
	s_and_not1_b32 vcc_lo, exec_lo, s27
	s_cbranch_vccnz .LBB158_812
; %bb.811:
	s_wait_loadcnt 0x0
	global_load_u16 v4, v[0:1], off
	s_wait_loadcnt 0x0
	v_cvt_f16_u16_e32 v4, v4
.LBB158_812:
	s_mov_b32 s27, 0
.LBB158_813:
	s_delay_alu instid0(SALU_CYCLE_1)
	s_and_not1_b32 vcc_lo, exec_lo, s27
	s_cbranch_vccnz .LBB158_821
; %bb.814:
	global_load_u8 v5, v[0:1], off
	s_mov_b32 s27, 0
	s_mov_b32 s30, exec_lo
	s_wait_loadcnt 0x0
	v_cmpx_lt_i16_e32 0x7f, v5
	s_xor_b32 s30, exec_lo, s30
	s_cbranch_execz .LBB158_835
; %bb.815:
	s_mov_b32 s27, -1
	s_mov_b32 s31, exec_lo
	v_cmpx_eq_u16_e32 0x80, v5
; %bb.816:
	s_xor_b32 s27, exec_lo, -1
; %bb.817:
	s_or_b32 exec_lo, exec_lo, s31
	s_delay_alu instid0(SALU_CYCLE_1)
	s_and_b32 s27, s27, exec_lo
	s_or_saveexec_b32 s30, s30
	v_mov_b32_e32 v4, 0x7e00
	s_xor_b32 exec_lo, exec_lo, s30
	s_cbranch_execnz .LBB158_836
.LBB158_818:
	s_or_b32 exec_lo, exec_lo, s30
	s_and_saveexec_b32 s30, s27
	s_cbranch_execz .LBB158_820
.LBB158_819:
	v_and_b32_e32 v4, 0xffff, v5
	s_delay_alu instid0(VALU_DEP_1) | instskip(SKIP_1) | instid1(VALU_DEP_2)
	v_and_b32_e32 v6, 7, v4
	v_bfe_u32 v10, v4, 3, 4
	v_clz_i32_u32_e32 v7, v6
	s_delay_alu instid0(VALU_DEP_2) | instskip(NEXT) | instid1(VALU_DEP_2)
	v_cmp_eq_u32_e32 vcc_lo, 0, v10
	v_min_u32_e32 v7, 32, v7
	s_delay_alu instid0(VALU_DEP_1) | instskip(NEXT) | instid1(VALU_DEP_1)
	v_subrev_nc_u32_e32 v9, 28, v7
	v_dual_lshlrev_b32 v4, v9, v4 :: v_dual_sub_nc_u32 v7, 29, v7
	s_delay_alu instid0(VALU_DEP_1) | instskip(NEXT) | instid1(VALU_DEP_2)
	v_dual_lshlrev_b32 v5, 24, v5 :: v_dual_bitop2_b32 v4, 7, v4 bitop3:0x40
	v_cndmask_b32_e32 v7, v10, v7, vcc_lo
	s_delay_alu instid0(VALU_DEP_2) | instskip(NEXT) | instid1(VALU_DEP_3)
	v_cndmask_b32_e32 v4, v6, v4, vcc_lo
	v_and_b32_e32 v5, 0x80000000, v5
	s_delay_alu instid0(VALU_DEP_3) | instskip(NEXT) | instid1(VALU_DEP_3)
	v_lshl_add_u32 v6, v7, 23, 0x3b800000
	v_lshlrev_b32_e32 v4, 20, v4
	s_delay_alu instid0(VALU_DEP_1) | instskip(NEXT) | instid1(VALU_DEP_1)
	v_or3_b32 v4, v5, v6, v4
	v_cvt_f16_f32_e32 v4, v4
.LBB158_820:
	s_or_b32 exec_lo, exec_lo, s30
.LBB158_821:
	s_mov_b32 s27, -1
.LBB158_822:
	s_mov_b32 s30, 0
.LBB158_823:
	s_delay_alu instid0(SALU_CYCLE_1)
	s_and_b32 vcc_lo, exec_lo, s30
	s_cbranch_vccz .LBB158_858
; %bb.824:
	s_cmp_gt_i32 s0, 22
	s_cbranch_scc0 .LBB158_834
; %bb.825:
	s_cmp_lt_i32 s0, 24
	s_cbranch_scc1 .LBB158_837
; %bb.826:
	s_cmp_gt_i32 s0, 24
	s_cbranch_scc0 .LBB158_838
; %bb.827:
	global_load_u8 v5, v[0:1], off
	s_mov_b32 s27, 0
	s_mov_b32 s30, exec_lo
	s_wait_loadcnt 0x0
	v_cmpx_lt_i16_e32 0x7f, v5
	s_xor_b32 s30, exec_lo, s30
	s_cbranch_execz .LBB158_850
; %bb.828:
	s_mov_b32 s27, -1
	s_mov_b32 s31, exec_lo
	v_cmpx_eq_u16_e32 0x80, v5
; %bb.829:
	s_xor_b32 s27, exec_lo, -1
; %bb.830:
	s_or_b32 exec_lo, exec_lo, s31
	s_delay_alu instid0(SALU_CYCLE_1)
	s_and_b32 s27, s27, exec_lo
	s_or_saveexec_b32 s30, s30
	v_mov_b32_e32 v4, 0x7e00
	s_xor_b32 exec_lo, exec_lo, s30
	s_cbranch_execnz .LBB158_851
.LBB158_831:
	s_or_b32 exec_lo, exec_lo, s30
	s_and_saveexec_b32 s30, s27
	s_cbranch_execz .LBB158_833
.LBB158_832:
	v_and_b32_e32 v4, 0xffff, v5
	s_delay_alu instid0(VALU_DEP_1) | instskip(SKIP_1) | instid1(VALU_DEP_2)
	v_and_b32_e32 v6, 3, v4
	v_bfe_u32 v10, v4, 2, 5
	v_clz_i32_u32_e32 v7, v6
	s_delay_alu instid0(VALU_DEP_2) | instskip(NEXT) | instid1(VALU_DEP_2)
	v_cmp_eq_u32_e32 vcc_lo, 0, v10
	v_min_u32_e32 v7, 32, v7
	s_delay_alu instid0(VALU_DEP_1) | instskip(NEXT) | instid1(VALU_DEP_1)
	v_subrev_nc_u32_e32 v9, 29, v7
	v_dual_lshlrev_b32 v4, v9, v4 :: v_dual_sub_nc_u32 v7, 30, v7
	s_delay_alu instid0(VALU_DEP_1) | instskip(NEXT) | instid1(VALU_DEP_2)
	v_dual_lshlrev_b32 v5, 24, v5 :: v_dual_bitop2_b32 v4, 3, v4 bitop3:0x40
	v_cndmask_b32_e32 v7, v10, v7, vcc_lo
	s_delay_alu instid0(VALU_DEP_2) | instskip(NEXT) | instid1(VALU_DEP_3)
	v_cndmask_b32_e32 v4, v6, v4, vcc_lo
	v_and_b32_e32 v5, 0x80000000, v5
	s_delay_alu instid0(VALU_DEP_3) | instskip(NEXT) | instid1(VALU_DEP_3)
	v_lshl_add_u32 v6, v7, 23, 0x37800000
	v_lshlrev_b32_e32 v4, 21, v4
	s_delay_alu instid0(VALU_DEP_1) | instskip(NEXT) | instid1(VALU_DEP_1)
	v_or3_b32 v4, v5, v6, v4
	v_cvt_f16_f32_e32 v4, v4
.LBB158_833:
	s_or_b32 exec_lo, exec_lo, s30
	s_mov_b32 s27, 0
	s_branch .LBB158_839
.LBB158_834:
	s_mov_b32 s30, -1
                                        ; implicit-def: $vgpr4
	s_branch .LBB158_845
.LBB158_835:
	s_or_saveexec_b32 s30, s30
	v_mov_b32_e32 v4, 0x7e00
	s_xor_b32 exec_lo, exec_lo, s30
	s_cbranch_execz .LBB158_818
.LBB158_836:
	v_cmp_ne_u16_e32 vcc_lo, 0, v5
	v_mov_b32_e32 v4, v5
	s_and_not1_b32 s27, s27, exec_lo
	s_and_b32 s31, vcc_lo, exec_lo
	s_delay_alu instid0(SALU_CYCLE_1)
	s_or_b32 s27, s27, s31
	s_or_b32 exec_lo, exec_lo, s30
	s_and_saveexec_b32 s30, s27
	s_cbranch_execnz .LBB158_819
	s_branch .LBB158_820
.LBB158_837:
	s_mov_b32 s27, -1
                                        ; implicit-def: $vgpr4
	s_branch .LBB158_842
.LBB158_838:
	s_mov_b32 s27, -1
                                        ; implicit-def: $vgpr4
.LBB158_839:
	s_delay_alu instid0(SALU_CYCLE_1)
	s_and_b32 vcc_lo, exec_lo, s27
	s_cbranch_vccz .LBB158_841
; %bb.840:
	s_wait_loadcnt 0x0
	global_load_u8 v4, v[0:1], off
	s_wait_loadcnt 0x0
	v_lshlrev_b32_e32 v4, 24, v4
	s_delay_alu instid0(VALU_DEP_1) | instskip(NEXT) | instid1(VALU_DEP_1)
	v_and_b32_e32 v5, 0x7f000000, v4
	v_clz_i32_u32_e32 v6, v5
	v_add_nc_u32_e32 v9, 0x1000000, v5
	v_cmp_ne_u32_e32 vcc_lo, 0, v5
	s_delay_alu instid0(VALU_DEP_3) | instskip(NEXT) | instid1(VALU_DEP_1)
	v_min_u32_e32 v6, 32, v6
	v_sub_nc_u32_e64 v6, v6, 4 clamp
	s_delay_alu instid0(VALU_DEP_1) | instskip(NEXT) | instid1(VALU_DEP_1)
	v_dual_lshlrev_b32 v7, v6, v5 :: v_dual_lshlrev_b32 v6, 23, v6
	v_lshrrev_b32_e32 v7, 4, v7
	s_delay_alu instid0(VALU_DEP_1) | instskip(NEXT) | instid1(VALU_DEP_1)
	v_dual_sub_nc_u32 v6, v7, v6 :: v_dual_ashrrev_i32 v7, 8, v9
	v_add_nc_u32_e32 v6, 0x3c000000, v6
	s_delay_alu instid0(VALU_DEP_1) | instskip(NEXT) | instid1(VALU_DEP_1)
	v_and_or_b32 v6, 0x7f800000, v7, v6
	v_cndmask_b32_e32 v5, 0, v6, vcc_lo
	s_delay_alu instid0(VALU_DEP_1) | instskip(NEXT) | instid1(VALU_DEP_1)
	v_and_or_b32 v4, 0x80000000, v4, v5
	v_cvt_f16_f32_e32 v4, v4
.LBB158_841:
	s_mov_b32 s27, 0
.LBB158_842:
	s_delay_alu instid0(SALU_CYCLE_1)
	s_and_not1_b32 vcc_lo, exec_lo, s27
	s_cbranch_vccnz .LBB158_844
; %bb.843:
	s_wait_loadcnt 0x0
	global_load_u8 v4, v[0:1], off
	s_wait_loadcnt 0x0
	v_lshlrev_b32_e32 v5, 25, v4
	v_lshlrev_b16 v4, 8, v4
	s_delay_alu instid0(VALU_DEP_1) | instskip(SKIP_1) | instid1(VALU_DEP_2)
	v_and_or_b32 v7, 0x7f00, v4, 0.5
	v_bfe_i32 v4, v4, 0, 16
	v_dual_add_f32 v7, -0.5, v7 :: v_dual_lshrrev_b32 v6, 4, v5
	v_cmp_gt_u32_e32 vcc_lo, 0x8000000, v5
	s_delay_alu instid0(VALU_DEP_2) | instskip(NEXT) | instid1(VALU_DEP_1)
	v_or_b32_e32 v6, 0x70000000, v6
	v_mul_f32_e32 v6, 0x7800000, v6
	s_delay_alu instid0(VALU_DEP_1) | instskip(NEXT) | instid1(VALU_DEP_1)
	v_cndmask_b32_e32 v5, v6, v7, vcc_lo
	v_and_or_b32 v4, 0x80000000, v4, v5
	s_delay_alu instid0(VALU_DEP_1)
	v_cvt_f16_f32_e32 v4, v4
.LBB158_844:
	s_mov_b32 s30, 0
	s_mov_b32 s27, -1
.LBB158_845:
	s_and_not1_b32 vcc_lo, exec_lo, s30
	s_cbranch_vccnz .LBB158_858
; %bb.846:
	s_cmp_gt_i32 s0, 14
	s_cbranch_scc0 .LBB158_849
; %bb.847:
	s_cmp_eq_u32 s0, 15
	s_cbranch_scc0 .LBB158_852
; %bb.848:
	s_wait_loadcnt 0x0
	global_load_u16 v4, v[0:1], off
	s_mov_b32 s27, -1
	s_mov_b32 s26, 0
	s_wait_loadcnt 0x0
	v_lshlrev_b32_e32 v4, 16, v4
	s_delay_alu instid0(VALU_DEP_1)
	v_cvt_f16_f32_e32 v4, v4
	s_branch .LBB158_853
.LBB158_849:
	s_mov_b32 s30, -1
                                        ; implicit-def: $vgpr4
	s_branch .LBB158_854
.LBB158_850:
	s_or_saveexec_b32 s30, s30
	v_mov_b32_e32 v4, 0x7e00
	s_xor_b32 exec_lo, exec_lo, s30
	s_cbranch_execz .LBB158_831
.LBB158_851:
	v_cmp_ne_u16_e32 vcc_lo, 0, v5
	v_mov_b32_e32 v4, v5
	s_and_not1_b32 s27, s27, exec_lo
	s_and_b32 s31, vcc_lo, exec_lo
	s_delay_alu instid0(SALU_CYCLE_1)
	s_or_b32 s27, s27, s31
	s_or_b32 exec_lo, exec_lo, s30
	s_and_saveexec_b32 s30, s27
	s_cbranch_execnz .LBB158_832
	s_branch .LBB158_833
.LBB158_852:
	s_mov_b32 s26, -1
                                        ; implicit-def: $vgpr4
.LBB158_853:
	s_mov_b32 s30, 0
.LBB158_854:
	s_delay_alu instid0(SALU_CYCLE_1)
	s_and_b32 vcc_lo, exec_lo, s30
	s_cbranch_vccz .LBB158_858
; %bb.855:
	s_cmp_eq_u32 s0, 11
	s_cbranch_scc0 .LBB158_857
; %bb.856:
	s_wait_loadcnt 0x0
	global_load_u8 v4, v[0:1], off
	s_mov_b32 s26, 0
	s_mov_b32 s27, -1
	s_wait_loadcnt 0x0
	v_cmp_ne_u16_e32 vcc_lo, 0, v4
	v_cndmask_b32_e64 v4, 0, 0x3c00, vcc_lo
	s_branch .LBB158_858
.LBB158_857:
	s_mov_b32 s26, -1
                                        ; implicit-def: $vgpr4
.LBB158_858:
	s_mov_b32 s30, 0
.LBB158_859:
	s_delay_alu instid0(SALU_CYCLE_1)
	s_and_b32 vcc_lo, exec_lo, s30
	s_cbranch_vccz .LBB158_908
; %bb.860:
	s_cmp_lt_i32 s0, 5
	s_cbranch_scc1 .LBB158_865
; %bb.861:
	s_cmp_lt_i32 s0, 8
	s_cbranch_scc1 .LBB158_866
	;; [unrolled: 3-line block ×3, first 2 shown]
; %bb.863:
	s_cmp_gt_i32 s0, 9
	s_cbranch_scc0 .LBB158_868
; %bb.864:
	s_wait_loadcnt 0x0
	global_load_b64 v[4:5], v[0:1], off
	s_mov_b32 s27, 0
	s_wait_loadcnt 0x0
	v_and_or_b32 v4, 0x1ff, v5, v4
	v_lshrrev_b32_e32 v6, 8, v5
	v_bfe_u32 v7, v5, 20, 11
	v_lshrrev_b32_e32 v5, 16, v5
	s_delay_alu instid0(VALU_DEP_4) | instskip(NEXT) | instid1(VALU_DEP_3)
	v_cmp_ne_u32_e32 vcc_lo, 0, v4
	v_sub_nc_u32_e32 v9, 0x3f1, v7
	v_add_nc_u32_e32 v7, 0xfffffc10, v7
	v_cndmask_b32_e64 v4, 0, 1, vcc_lo
	s_delay_alu instid0(VALU_DEP_1) | instskip(NEXT) | instid1(VALU_DEP_4)
	v_and_or_b32 v4, 0xffe, v6, v4
	v_med3_i32 v6, v9, 0, 13
	s_delay_alu instid0(VALU_DEP_2) | instskip(NEXT) | instid1(VALU_DEP_1)
	v_or_b32_e32 v9, 0x1000, v4
	v_lshrrev_b32_e32 v10, v6, v9
	s_delay_alu instid0(VALU_DEP_1) | instskip(NEXT) | instid1(VALU_DEP_1)
	v_lshlrev_b32_e32 v6, v6, v10
	v_cmp_ne_u32_e32 vcc_lo, v6, v9
	v_lshl_or_b32 v9, v7, 12, v4
	v_cndmask_b32_e64 v6, 0, 1, vcc_lo
	v_cmp_gt_i32_e32 vcc_lo, 1, v7
	s_delay_alu instid0(VALU_DEP_2) | instskip(NEXT) | instid1(VALU_DEP_1)
	v_or_b32_e32 v6, v10, v6
	v_cndmask_b32_e32 v6, v9, v6, vcc_lo
	s_delay_alu instid0(VALU_DEP_1) | instskip(NEXT) | instid1(VALU_DEP_1)
	v_dual_lshrrev_b32 v6, 2, v6 :: v_dual_bitop2_b32 v9, 7, v6 bitop3:0x40
	v_cmp_lt_i32_e32 vcc_lo, 5, v9
	v_cndmask_b32_e64 v10, 0, 1, vcc_lo
	v_cmp_eq_u32_e32 vcc_lo, 3, v9
	v_cndmask_b32_e64 v9, 0, 1, vcc_lo
	v_cmp_ne_u32_e32 vcc_lo, 0, v4
	s_delay_alu instid0(VALU_DEP_2) | instskip(SKIP_1) | instid1(VALU_DEP_2)
	v_or_b32_e32 v9, v9, v10
	v_mov_b32_e32 v10, 0x7e00
	v_add_nc_u32_e32 v6, v6, v9
	s_delay_alu instid0(VALU_DEP_2) | instskip(SKIP_1) | instid1(VALU_DEP_3)
	v_cndmask_b32_e32 v4, 0x7c00, v10, vcc_lo
	v_cmp_gt_i32_e32 vcc_lo, 31, v7
	v_cndmask_b32_e32 v6, 0x7c00, v6, vcc_lo
	v_cmp_eq_u32_e32 vcc_lo, 0x40f, v7
	s_delay_alu instid0(VALU_DEP_2) | instskip(NEXT) | instid1(VALU_DEP_1)
	v_cndmask_b32_e32 v4, v6, v4, vcc_lo
	v_and_or_b32 v4, 0x8000, v5, v4
	s_branch .LBB158_869
.LBB158_865:
	s_mov_b32 s27, -1
                                        ; implicit-def: $vgpr4
	s_branch .LBB158_887
.LBB158_866:
	s_mov_b32 s27, -1
                                        ; implicit-def: $vgpr4
	s_branch .LBB158_875
.LBB158_867:
	s_mov_b32 s27, -1
                                        ; implicit-def: $vgpr4
	s_branch .LBB158_872
.LBB158_868:
	s_mov_b32 s27, -1
                                        ; implicit-def: $vgpr4
.LBB158_869:
	s_delay_alu instid0(SALU_CYCLE_1)
	s_and_not1_b32 vcc_lo, exec_lo, s27
	s_cbranch_vccnz .LBB158_871
; %bb.870:
	s_wait_loadcnt 0x0
	global_load_b32 v4, v[0:1], off
	s_wait_loadcnt 0x0
	v_cvt_f16_f32_e32 v4, v4
.LBB158_871:
	s_mov_b32 s27, 0
.LBB158_872:
	s_delay_alu instid0(SALU_CYCLE_1)
	s_and_not1_b32 vcc_lo, exec_lo, s27
	s_cbranch_vccnz .LBB158_874
; %bb.873:
	s_wait_loadcnt 0x0
	global_load_b32 v4, v[0:1], off
.LBB158_874:
	s_mov_b32 s27, 0
.LBB158_875:
	s_delay_alu instid0(SALU_CYCLE_1)
	s_and_not1_b32 vcc_lo, exec_lo, s27
	s_cbranch_vccnz .LBB158_886
; %bb.876:
	s_cmp_lt_i32 s0, 6
	s_cbranch_scc1 .LBB158_879
; %bb.877:
	s_cmp_gt_i32 s0, 6
	s_cbranch_scc0 .LBB158_880
; %bb.878:
	s_wait_loadcnt 0x0
	global_load_b64 v[4:5], v[0:1], off
	s_mov_b32 s27, 0
	s_wait_loadcnt 0x0
	v_and_or_b32 v4, 0x1ff, v5, v4
	v_lshrrev_b32_e32 v6, 8, v5
	v_bfe_u32 v7, v5, 20, 11
	v_lshrrev_b32_e32 v5, 16, v5
	s_delay_alu instid0(VALU_DEP_4) | instskip(NEXT) | instid1(VALU_DEP_3)
	v_cmp_ne_u32_e32 vcc_lo, 0, v4
	v_sub_nc_u32_e32 v9, 0x3f1, v7
	v_add_nc_u32_e32 v7, 0xfffffc10, v7
	v_cndmask_b32_e64 v4, 0, 1, vcc_lo
	s_delay_alu instid0(VALU_DEP_1) | instskip(NEXT) | instid1(VALU_DEP_4)
	v_and_or_b32 v4, 0xffe, v6, v4
	v_med3_i32 v6, v9, 0, 13
	s_delay_alu instid0(VALU_DEP_2) | instskip(NEXT) | instid1(VALU_DEP_1)
	v_or_b32_e32 v9, 0x1000, v4
	v_lshrrev_b32_e32 v10, v6, v9
	s_delay_alu instid0(VALU_DEP_1) | instskip(NEXT) | instid1(VALU_DEP_1)
	v_lshlrev_b32_e32 v6, v6, v10
	v_cmp_ne_u32_e32 vcc_lo, v6, v9
	v_lshl_or_b32 v9, v7, 12, v4
	v_cndmask_b32_e64 v6, 0, 1, vcc_lo
	v_cmp_gt_i32_e32 vcc_lo, 1, v7
	s_delay_alu instid0(VALU_DEP_2) | instskip(NEXT) | instid1(VALU_DEP_1)
	v_or_b32_e32 v6, v10, v6
	v_cndmask_b32_e32 v6, v9, v6, vcc_lo
	s_delay_alu instid0(VALU_DEP_1) | instskip(NEXT) | instid1(VALU_DEP_1)
	v_dual_lshrrev_b32 v6, 2, v6 :: v_dual_bitop2_b32 v9, 7, v6 bitop3:0x40
	v_cmp_lt_i32_e32 vcc_lo, 5, v9
	v_cndmask_b32_e64 v10, 0, 1, vcc_lo
	v_cmp_eq_u32_e32 vcc_lo, 3, v9
	v_cndmask_b32_e64 v9, 0, 1, vcc_lo
	v_cmp_ne_u32_e32 vcc_lo, 0, v4
	s_delay_alu instid0(VALU_DEP_2) | instskip(SKIP_1) | instid1(VALU_DEP_2)
	v_or_b32_e32 v9, v9, v10
	v_mov_b32_e32 v10, 0x7e00
	v_add_nc_u32_e32 v6, v6, v9
	s_delay_alu instid0(VALU_DEP_2) | instskip(SKIP_1) | instid1(VALU_DEP_3)
	v_cndmask_b32_e32 v4, 0x7c00, v10, vcc_lo
	v_cmp_gt_i32_e32 vcc_lo, 31, v7
	v_cndmask_b32_e32 v6, 0x7c00, v6, vcc_lo
	v_cmp_eq_u32_e32 vcc_lo, 0x40f, v7
	s_delay_alu instid0(VALU_DEP_2) | instskip(NEXT) | instid1(VALU_DEP_1)
	v_cndmask_b32_e32 v4, v6, v4, vcc_lo
	v_and_or_b32 v4, 0x8000, v5, v4
	s_branch .LBB158_881
.LBB158_879:
	s_mov_b32 s27, -1
                                        ; implicit-def: $vgpr4
	s_branch .LBB158_884
.LBB158_880:
	s_mov_b32 s27, -1
                                        ; implicit-def: $vgpr4
.LBB158_881:
	s_delay_alu instid0(SALU_CYCLE_1)
	s_and_not1_b32 vcc_lo, exec_lo, s27
	s_cbranch_vccnz .LBB158_883
; %bb.882:
	s_wait_loadcnt 0x0
	global_load_b32 v4, v[0:1], off
	s_wait_loadcnt 0x0
	v_cvt_f16_f32_e32 v4, v4
.LBB158_883:
	s_mov_b32 s27, 0
.LBB158_884:
	s_delay_alu instid0(SALU_CYCLE_1)
	s_and_not1_b32 vcc_lo, exec_lo, s27
	s_cbranch_vccnz .LBB158_886
; %bb.885:
	s_wait_loadcnt 0x0
	global_load_u16 v4, v[0:1], off
.LBB158_886:
	s_mov_b32 s27, 0
.LBB158_887:
	s_delay_alu instid0(SALU_CYCLE_1)
	s_and_not1_b32 vcc_lo, exec_lo, s27
	s_cbranch_vccnz .LBB158_907
; %bb.888:
	s_cmp_lt_i32 s0, 2
	s_cbranch_scc1 .LBB158_892
; %bb.889:
	s_cmp_lt_i32 s0, 3
	s_cbranch_scc1 .LBB158_893
; %bb.890:
	s_cmp_gt_i32 s0, 3
	s_cbranch_scc0 .LBB158_894
; %bb.891:
	s_wait_loadcnt 0x0
	global_load_b64 v[4:5], v[0:1], off
	s_mov_b32 s27, 0
	s_wait_loadcnt 0x0
	v_xor_b32_e32 v6, v4, v5
	v_cls_i32_e32 v7, v5
	s_delay_alu instid0(VALU_DEP_2) | instskip(NEXT) | instid1(VALU_DEP_1)
	v_ashrrev_i32_e32 v6, 31, v6
	v_add_nc_u32_e32 v6, 32, v6
	s_delay_alu instid0(VALU_DEP_1) | instskip(NEXT) | instid1(VALU_DEP_1)
	v_add_min_u32_e64 v6, v7, -1, v6
	v_lshlrev_b64_e32 v[4:5], v6, v[4:5]
	s_delay_alu instid0(VALU_DEP_1) | instskip(NEXT) | instid1(VALU_DEP_1)
	v_min_u32_e32 v4, 1, v4
	v_dual_sub_nc_u32 v5, 32, v6 :: v_dual_bitop2_b32 v4, v5, v4 bitop3:0x54
	s_delay_alu instid0(VALU_DEP_1) | instskip(NEXT) | instid1(VALU_DEP_1)
	v_cvt_f32_i32_e32 v4, v4
	v_ldexp_f32 v4, v4, v5
	s_delay_alu instid0(VALU_DEP_1)
	v_cvt_f16_f32_e32 v4, v4
	s_branch .LBB158_895
.LBB158_892:
	s_mov_b32 s27, -1
                                        ; implicit-def: $vgpr4
	s_branch .LBB158_901
.LBB158_893:
	s_mov_b32 s27, -1
                                        ; implicit-def: $vgpr4
	s_branch .LBB158_898
.LBB158_894:
	s_mov_b32 s27, -1
                                        ; implicit-def: $vgpr4
.LBB158_895:
	s_delay_alu instid0(SALU_CYCLE_1)
	s_and_not1_b32 vcc_lo, exec_lo, s27
	s_cbranch_vccnz .LBB158_897
; %bb.896:
	s_wait_loadcnt 0x0
	global_load_b32 v4, v[0:1], off
	s_wait_loadcnt 0x0
	v_cvt_f32_i32_e32 v4, v4
	s_delay_alu instid0(VALU_DEP_1)
	v_cvt_f16_f32_e32 v4, v4
.LBB158_897:
	s_mov_b32 s27, 0
.LBB158_898:
	s_delay_alu instid0(SALU_CYCLE_1)
	s_and_not1_b32 vcc_lo, exec_lo, s27
	s_cbranch_vccnz .LBB158_900
; %bb.899:
	s_wait_loadcnt 0x0
	global_load_u16 v4, v[0:1], off
	s_wait_loadcnt 0x0
	v_cvt_f16_i16_e32 v4, v4
.LBB158_900:
	s_mov_b32 s27, 0
.LBB158_901:
	s_delay_alu instid0(SALU_CYCLE_1)
	s_and_not1_b32 vcc_lo, exec_lo, s27
	s_cbranch_vccnz .LBB158_907
; %bb.902:
	s_cmp_gt_i32 s0, 0
	s_mov_b32 s0, 0
	s_cbranch_scc0 .LBB158_904
; %bb.903:
	s_wait_loadcnt 0x0
	global_load_i8 v4, v[0:1], off
	s_wait_loadcnt 0x0
	v_cvt_f16_i16_e32 v4, v4
	s_branch .LBB158_905
.LBB158_904:
	s_mov_b32 s0, -1
                                        ; implicit-def: $vgpr4
.LBB158_905:
	s_delay_alu instid0(SALU_CYCLE_1)
	s_and_not1_b32 vcc_lo, exec_lo, s0
	s_cbranch_vccnz .LBB158_907
; %bb.906:
	global_load_u8 v0, v[0:1], off
	s_wait_loadcnt 0x0
	v_cvt_f16_u16_e32 v4, v0
.LBB158_907:
	s_mov_b32 s27, -1
.LBB158_908:
	s_delay_alu instid0(SALU_CYCLE_1)
	s_and_not1_b32 vcc_lo, exec_lo, s27
	s_cbranch_vccnz .LBB158_916
; %bb.909:
	s_wait_loadcnt 0x0
	v_cmp_gt_f16_e32 vcc_lo, v2, v3
	s_wait_xcnt 0x0
	v_mul_lo_u32 v0, v8, s12
	s_and_b32 s27, s2, 0xff
	s_delay_alu instid0(SALU_CYCLE_1) | instskip(SKIP_1) | instid1(VALU_DEP_1)
	s_cmp_lt_i32 s27, 11
	v_cndmask_b32_e32 v1, v3, v2, vcc_lo
	v_cmp_lt_f16_e32 vcc_lo, v1, v4
	v_cndmask_b32_e32 v1, v4, v1, vcc_lo
	v_cmp_u_f16_e32 vcc_lo, v4, v4
	s_delay_alu instid0(VALU_DEP_2) | instskip(SKIP_1) | instid1(VALU_DEP_2)
	v_cndmask_b32_e32 v4, v1, v4, vcc_lo
	v_cmp_u_f16_e32 vcc_lo, v3, v3
	v_dual_ashrrev_i32 v1, 31, v0 :: v_dual_cndmask_b32 v3, v4, v3, vcc_lo
	v_cmp_u_f16_e32 vcc_lo, v2, v2
	s_delay_alu instid0(VALU_DEP_2) | instskip(NEXT) | instid1(VALU_DEP_3)
	v_add_nc_u64_e32 v[0:1], s[4:5], v[0:1]
	v_cndmask_b32_e32 v2, v3, v2, vcc_lo
	s_cbranch_scc1 .LBB158_917
; %bb.910:
	s_and_b32 s30, 0xffff, s27
	s_delay_alu instid0(SALU_CYCLE_1)
	s_cmp_gt_i32 s30, 25
	s_cbranch_scc0 .LBB158_918
; %bb.911:
	s_cmp_gt_i32 s30, 28
	s_cbranch_scc0 .LBB158_919
; %bb.912:
	;; [unrolled: 3-line block ×4, first 2 shown]
	s_mov_b32 s33, 0
	s_mov_b32 s0, -1
	s_cmp_eq_u32 s30, 46
	s_mov_b32 s31, 0
	s_cbranch_scc0 .LBB158_922
; %bb.915:
	v_cvt_f32_f16_e32 v3, v2
	v_cmp_o_f16_e32 vcc_lo, v2, v2
	s_mov_b32 s31, -1
	s_mov_b32 s0, 0
	s_delay_alu instid0(VALU_DEP_2) | instskip(NEXT) | instid1(VALU_DEP_1)
	v_bfe_u32 v4, v3, 16, 1
	v_add3_u32 v3, v3, v4, 0x7fff
	s_delay_alu instid0(VALU_DEP_1) | instskip(NEXT) | instid1(VALU_DEP_1)
	v_lshrrev_b32_e32 v3, 16, v3
	v_cndmask_b32_e32 v3, 0x7fc0, v3, vcc_lo
	global_store_b32 v[0:1], v3, off
	s_branch .LBB158_922
.LBB158_916:
	s_mov_b32 s30, 0
	s_mov_b32 s0, s19
	s_branch .LBB158_1033
.LBB158_917:
	s_mov_b32 s30, -1
	s_mov_b32 s31, 0
	s_mov_b32 s0, s19
	s_branch .LBB158_991
.LBB158_918:
	s_mov_b32 s33, -1
	s_mov_b32 s31, 0
	s_mov_b32 s0, s19
	s_branch .LBB158_949
.LBB158_919:
	s_mov_b32 s33, -1
	s_mov_b32 s31, 0
	s_mov_b32 s0, s19
	s_branch .LBB158_932
.LBB158_920:
	s_mov_b32 s33, -1
	s_mov_b32 s31, 0
	s_mov_b32 s0, s19
	s_branch .LBB158_928
.LBB158_921:
	s_mov_b32 s33, -1
	s_mov_b32 s31, 0
	s_mov_b32 s0, s19
.LBB158_922:
	s_and_b32 vcc_lo, exec_lo, s33
	s_cbranch_vccz .LBB158_927
; %bb.923:
	s_cmp_eq_u32 s30, 44
	s_mov_b32 s0, -1
	s_cbranch_scc0 .LBB158_927
; %bb.924:
	s_wait_xcnt 0x0
	v_cvt_f32_f16_e32 v3, v2
	v_mov_b32_e32 v4, 0xff
	s_mov_b32 s31, exec_lo
	s_delay_alu instid0(VALU_DEP_2) | instskip(NEXT) | instid1(VALU_DEP_1)
	v_bfe_u32 v5, v3, 23, 8
	v_cmpx_ne_u32_e32 0xff, v5
	s_cbranch_execz .LBB158_926
; %bb.925:
	v_and_b32_e32 v4, 0x400000, v3
	v_and_or_b32 v5, 0x3fffff, v3, v5
	v_lshrrev_b32_e32 v3, 23, v3
	s_delay_alu instid0(VALU_DEP_3) | instskip(NEXT) | instid1(VALU_DEP_3)
	v_cmp_ne_u32_e32 vcc_lo, 0, v4
	v_cmp_ne_u32_e64 s0, 0, v5
	s_and_b32 s0, vcc_lo, s0
	s_delay_alu instid0(SALU_CYCLE_1) | instskip(NEXT) | instid1(VALU_DEP_1)
	v_cndmask_b32_e64 v4, 0, 1, s0
	v_add_nc_u32_e32 v4, v3, v4
.LBB158_926:
	s_or_b32 exec_lo, exec_lo, s31
	s_mov_b32 s31, -1
	s_mov_b32 s0, 0
	global_store_b8 v[0:1], v4, off
.LBB158_927:
	s_mov_b32 s33, 0
.LBB158_928:
	s_delay_alu instid0(SALU_CYCLE_1)
	s_and_b32 vcc_lo, exec_lo, s33
	s_cbranch_vccz .LBB158_931
; %bb.929:
	s_cmp_eq_u32 s30, 29
	s_mov_b32 s0, -1
	s_cbranch_scc0 .LBB158_931
; %bb.930:
	s_wait_xcnt 0x0
	v_cvt_f32_f16_e32 v3, v2
	v_mov_b32_e32 v5, 0
	s_mov_b32 s31, -1
	s_mov_b32 s0, 0
	s_mov_b32 s33, 0
	v_cvt_u32_f32_e32 v4, v3
	global_store_b64 v[0:1], v[4:5], off
	s_branch .LBB158_932
.LBB158_931:
	s_mov_b32 s33, 0
.LBB158_932:
	s_delay_alu instid0(SALU_CYCLE_1)
	s_and_b32 vcc_lo, exec_lo, s33
	s_cbranch_vccz .LBB158_948
; %bb.933:
	s_cmp_lt_i32 s30, 27
	s_mov_b32 s31, -1
	s_cbranch_scc1 .LBB158_939
; %bb.934:
	s_cmp_gt_i32 s30, 27
	s_cbranch_scc0 .LBB158_936
; %bb.935:
	s_wait_xcnt 0x0
	v_cvt_f32_f16_e32 v3, v2
	s_mov_b32 s31, 0
	s_delay_alu instid0(VALU_DEP_1)
	v_cvt_u32_f32_e32 v3, v3
	global_store_b32 v[0:1], v3, off
.LBB158_936:
	s_and_not1_b32 vcc_lo, exec_lo, s31
	s_cbranch_vccnz .LBB158_938
; %bb.937:
	s_wait_xcnt 0x0
	v_cvt_u16_f16_e32 v3, v2
	global_store_b16 v[0:1], v3, off
.LBB158_938:
	s_mov_b32 s31, 0
.LBB158_939:
	s_delay_alu instid0(SALU_CYCLE_1)
	s_and_not1_b32 vcc_lo, exec_lo, s31
	s_cbranch_vccnz .LBB158_947
; %bb.940:
	s_wait_xcnt 0x0
	v_cvt_f32_f16_e32 v3, v2
	v_mov_b32_e32 v5, 0x80
	s_mov_b32 s31, exec_lo
	s_delay_alu instid0(VALU_DEP_2) | instskip(NEXT) | instid1(VALU_DEP_1)
	v_and_b32_e32 v4, 0x7fffffff, v3
	v_cmpx_gt_u32_e32 0x43800000, v4
	s_cbranch_execz .LBB158_946
; %bb.941:
	v_cmp_lt_u32_e32 vcc_lo, 0x3bffffff, v4
	s_mov_b32 s33, 0
                                        ; implicit-def: $vgpr4
	s_and_saveexec_b32 s34, vcc_lo
	s_delay_alu instid0(SALU_CYCLE_1)
	s_xor_b32 s34, exec_lo, s34
	s_cbranch_execz .LBB158_1179
; %bb.942:
	v_bfe_u32 v4, v3, 20, 1
	s_mov_b32 s33, exec_lo
	s_delay_alu instid0(VALU_DEP_1) | instskip(NEXT) | instid1(VALU_DEP_1)
	v_add3_u32 v4, v3, v4, 0x487ffff
	v_lshrrev_b32_e32 v4, 20, v4
	s_and_not1_saveexec_b32 s34, s34
	s_cbranch_execnz .LBB158_1180
.LBB158_943:
	s_or_b32 exec_lo, exec_lo, s34
	v_mov_b32_e32 v5, 0
	s_and_saveexec_b32 s34, s33
.LBB158_944:
	v_lshrrev_b32_e32 v3, 24, v3
	s_delay_alu instid0(VALU_DEP_1)
	v_and_or_b32 v5, 0x80, v3, v4
.LBB158_945:
	s_or_b32 exec_lo, exec_lo, s34
.LBB158_946:
	s_delay_alu instid0(SALU_CYCLE_1)
	s_or_b32 exec_lo, exec_lo, s31
	global_store_b8 v[0:1], v5, off
.LBB158_947:
	s_mov_b32 s31, -1
.LBB158_948:
	s_mov_b32 s33, 0
.LBB158_949:
	s_delay_alu instid0(SALU_CYCLE_1)
	s_and_b32 vcc_lo, exec_lo, s33
	s_cbranch_vccz .LBB158_990
; %bb.950:
	s_cmp_gt_i32 s30, 22
	s_mov_b32 s33, -1
	s_cbranch_scc0 .LBB158_982
; %bb.951:
	s_cmp_lt_i32 s30, 24
	s_mov_b32 s31, -1
	s_cbranch_scc1 .LBB158_971
; %bb.952:
	s_cmp_gt_i32 s30, 24
	s_cbranch_scc0 .LBB158_960
; %bb.953:
	s_wait_xcnt 0x0
	v_cvt_f32_f16_e32 v3, v2
	v_mov_b32_e32 v5, 0x80
	s_mov_b32 s31, exec_lo
	s_delay_alu instid0(VALU_DEP_2) | instskip(NEXT) | instid1(VALU_DEP_1)
	v_and_b32_e32 v4, 0x7fffffff, v3
	v_cmpx_gt_u32_e32 0x47800000, v4
	s_cbranch_execz .LBB158_959
; %bb.954:
	v_cmp_lt_u32_e32 vcc_lo, 0x37ffffff, v4
	s_mov_b32 s33, 0
                                        ; implicit-def: $vgpr4
	s_and_saveexec_b32 s34, vcc_lo
	s_delay_alu instid0(SALU_CYCLE_1)
	s_xor_b32 s34, exec_lo, s34
	s_cbranch_execz .LBB158_1311
; %bb.955:
	v_bfe_u32 v4, v3, 21, 1
	s_mov_b32 s33, exec_lo
	s_delay_alu instid0(VALU_DEP_1) | instskip(NEXT) | instid1(VALU_DEP_1)
	v_add3_u32 v4, v3, v4, 0x88fffff
	v_lshrrev_b32_e32 v4, 21, v4
	s_and_not1_saveexec_b32 s34, s34
	s_cbranch_execnz .LBB158_1312
.LBB158_956:
	s_or_b32 exec_lo, exec_lo, s34
	v_mov_b32_e32 v5, 0
	s_and_saveexec_b32 s34, s33
.LBB158_957:
	v_lshrrev_b32_e32 v3, 24, v3
	s_delay_alu instid0(VALU_DEP_1)
	v_and_or_b32 v5, 0x80, v3, v4
.LBB158_958:
	s_or_b32 exec_lo, exec_lo, s34
.LBB158_959:
	s_delay_alu instid0(SALU_CYCLE_1)
	s_or_b32 exec_lo, exec_lo, s31
	s_mov_b32 s31, 0
	global_store_b8 v[0:1], v5, off
.LBB158_960:
	s_and_b32 vcc_lo, exec_lo, s31
	s_cbranch_vccz .LBB158_970
; %bb.961:
	s_wait_xcnt 0x0
	v_cvt_f32_f16_e32 v3, v2
	s_mov_b32 s31, exec_lo
                                        ; implicit-def: $vgpr4
	s_delay_alu instid0(VALU_DEP_1) | instskip(NEXT) | instid1(VALU_DEP_1)
	v_and_b32_e32 v5, 0x7fffffff, v3
	v_cmpx_gt_u32_e32 0x43f00000, v5
	s_xor_b32 s31, exec_lo, s31
	s_cbranch_execz .LBB158_967
; %bb.962:
	s_mov_b32 s33, exec_lo
                                        ; implicit-def: $vgpr4
	v_cmpx_lt_u32_e32 0x3c7fffff, v5
	s_xor_b32 s33, exec_lo, s33
; %bb.963:
	v_bfe_u32 v4, v3, 20, 1
	s_delay_alu instid0(VALU_DEP_1) | instskip(NEXT) | instid1(VALU_DEP_1)
	v_add3_u32 v4, v3, v4, 0x407ffff
	v_and_b32_e32 v5, 0xff00000, v4
	v_lshrrev_b32_e32 v4, 20, v4
	s_delay_alu instid0(VALU_DEP_2) | instskip(NEXT) | instid1(VALU_DEP_2)
	v_cmp_ne_u32_e32 vcc_lo, 0x7f00000, v5
	v_cndmask_b32_e32 v4, 0x7e, v4, vcc_lo
; %bb.964:
	s_and_not1_saveexec_b32 s33, s33
; %bb.965:
	v_add_f32_e64 v4, 0x46800000, |v3|
; %bb.966:
	s_or_b32 exec_lo, exec_lo, s33
                                        ; implicit-def: $vgpr5
.LBB158_967:
	s_and_not1_saveexec_b32 s31, s31
; %bb.968:
	v_mov_b32_e32 v4, 0x7f
	v_cmp_lt_u32_e32 vcc_lo, 0x7f800000, v5
	s_delay_alu instid0(VALU_DEP_2)
	v_cndmask_b32_e32 v4, 0x7e, v4, vcc_lo
; %bb.969:
	s_or_b32 exec_lo, exec_lo, s31
	v_lshrrev_b32_e32 v3, 24, v3
	s_delay_alu instid0(VALU_DEP_1)
	v_and_or_b32 v3, 0x80, v3, v4
	global_store_b8 v[0:1], v3, off
.LBB158_970:
	s_mov_b32 s31, 0
.LBB158_971:
	s_delay_alu instid0(SALU_CYCLE_1)
	s_and_not1_b32 vcc_lo, exec_lo, s31
	s_cbranch_vccnz .LBB158_981
; %bb.972:
	s_wait_xcnt 0x0
	v_cvt_f32_f16_e32 v3, v2
	s_mov_b32 s31, exec_lo
                                        ; implicit-def: $vgpr4
	s_delay_alu instid0(VALU_DEP_1) | instskip(NEXT) | instid1(VALU_DEP_1)
	v_and_b32_e32 v5, 0x7fffffff, v3
	v_cmpx_gt_u32_e32 0x47800000, v5
	s_xor_b32 s31, exec_lo, s31
	s_cbranch_execz .LBB158_978
; %bb.973:
	s_mov_b32 s33, exec_lo
                                        ; implicit-def: $vgpr4
	v_cmpx_lt_u32_e32 0x387fffff, v5
	s_xor_b32 s33, exec_lo, s33
; %bb.974:
	v_bfe_u32 v4, v3, 21, 1
	s_delay_alu instid0(VALU_DEP_1) | instskip(NEXT) | instid1(VALU_DEP_1)
	v_add3_u32 v4, v3, v4, 0x80fffff
	v_lshrrev_b32_e32 v4, 21, v4
; %bb.975:
	s_and_not1_saveexec_b32 s33, s33
; %bb.976:
	v_add_f32_e64 v4, 0x43000000, |v3|
; %bb.977:
	s_or_b32 exec_lo, exec_lo, s33
                                        ; implicit-def: $vgpr5
.LBB158_978:
	s_and_not1_saveexec_b32 s31, s31
; %bb.979:
	v_mov_b32_e32 v4, 0x7f
	v_cmp_lt_u32_e32 vcc_lo, 0x7f800000, v5
	s_delay_alu instid0(VALU_DEP_2)
	v_cndmask_b32_e32 v4, 0x7c, v4, vcc_lo
; %bb.980:
	s_or_b32 exec_lo, exec_lo, s31
	v_lshrrev_b32_e32 v3, 24, v3
	s_delay_alu instid0(VALU_DEP_1)
	v_and_or_b32 v3, 0x80, v3, v4
	global_store_b8 v[0:1], v3, off
.LBB158_981:
	s_mov_b32 s33, 0
	s_mov_b32 s31, -1
.LBB158_982:
	s_and_not1_b32 vcc_lo, exec_lo, s33
	s_cbranch_vccnz .LBB158_990
; %bb.983:
	s_cmp_gt_i32 s30, 14
	s_mov_b32 s33, -1
	s_cbranch_scc0 .LBB158_987
; %bb.984:
	s_cmp_eq_u32 s30, 15
	s_mov_b32 s0, -1
	s_cbranch_scc0 .LBB158_986
; %bb.985:
	s_wait_xcnt 0x0
	v_cvt_f32_f16_e32 v3, v2
	v_cmp_o_f16_e32 vcc_lo, v2, v2
	s_mov_b32 s31, -1
	s_mov_b32 s0, 0
	s_delay_alu instid0(VALU_DEP_2) | instskip(NEXT) | instid1(VALU_DEP_1)
	v_bfe_u32 v4, v3, 16, 1
	v_add3_u32 v3, v3, v4, 0x7fff
	s_delay_alu instid0(VALU_DEP_1) | instskip(NEXT) | instid1(VALU_DEP_1)
	v_lshrrev_b32_e32 v3, 16, v3
	v_cndmask_b32_e32 v3, 0x7fc0, v3, vcc_lo
	global_store_b16 v[0:1], v3, off
.LBB158_986:
	s_mov_b32 s33, 0
.LBB158_987:
	s_delay_alu instid0(SALU_CYCLE_1)
	s_and_b32 vcc_lo, exec_lo, s33
	s_cbranch_vccz .LBB158_990
; %bb.988:
	s_cmp_eq_u32 s30, 11
	s_mov_b32 s0, -1
	s_cbranch_scc0 .LBB158_990
; %bb.989:
	s_wait_xcnt 0x0
	v_and_b32_e32 v3, 0x7fff, v2
	s_mov_b32 s0, 0
	s_mov_b32 s31, -1
	s_delay_alu instid0(VALU_DEP_1)
	v_cmp_ne_u16_e32 vcc_lo, 0, v3
	v_cndmask_b32_e64 v3, 0, 1, vcc_lo
	global_store_b8 v[0:1], v3, off
.LBB158_990:
	s_mov_b32 s30, 0
.LBB158_991:
	s_delay_alu instid0(SALU_CYCLE_1)
	s_and_b32 vcc_lo, exec_lo, s30
	s_cbranch_vccz .LBB158_1030
; %bb.992:
	s_and_b32 s27, 0xffff, s27
	s_mov_b32 s30, -1
	s_cmp_lt_i32 s27, 5
	s_cbranch_scc1 .LBB158_1013
; %bb.993:
	s_cmp_lt_i32 s27, 8
	s_cbranch_scc1 .LBB158_1003
; %bb.994:
	;; [unrolled: 3-line block ×3, first 2 shown]
	s_cmp_gt_i32 s27, 9
	s_cbranch_scc0 .LBB158_997
; %bb.996:
	s_wait_xcnt 0x0
	v_cvt_f32_f16_e32 v3, v2
	v_mov_b32_e32 v6, 0
	s_mov_b32 s30, 0
	s_delay_alu instid0(VALU_DEP_2) | instskip(NEXT) | instid1(VALU_DEP_2)
	v_cvt_f64_f32_e32 v[4:5], v3
	v_mov_b32_e32 v7, v6
	global_store_b128 v[0:1], v[4:7], off
.LBB158_997:
	s_and_not1_b32 vcc_lo, exec_lo, s30
	s_cbranch_vccnz .LBB158_999
; %bb.998:
	s_wait_xcnt 0x0
	v_cvt_f32_f16_e32 v4, v2
	v_mov_b32_e32 v5, 0
	global_store_b64 v[0:1], v[4:5], off
.LBB158_999:
	s_mov_b32 s30, 0
.LBB158_1000:
	s_delay_alu instid0(SALU_CYCLE_1)
	s_and_not1_b32 vcc_lo, exec_lo, s30
	s_cbranch_vccnz .LBB158_1002
; %bb.1001:
	s_wait_xcnt 0x0
	v_and_b32_e32 v3, 0xffff, v2
	global_store_b32 v[0:1], v3, off
.LBB158_1002:
	s_mov_b32 s30, 0
.LBB158_1003:
	s_delay_alu instid0(SALU_CYCLE_1)
	s_and_not1_b32 vcc_lo, exec_lo, s30
	s_cbranch_vccnz .LBB158_1012
; %bb.1004:
	s_cmp_lt_i32 s27, 6
	s_mov_b32 s30, -1
	s_cbranch_scc1 .LBB158_1010
; %bb.1005:
	s_cmp_gt_i32 s27, 6
	s_cbranch_scc0 .LBB158_1007
; %bb.1006:
	s_wait_xcnt 0x0
	v_cvt_f32_f16_e32 v3, v2
	s_mov_b32 s30, 0
	s_delay_alu instid0(VALU_DEP_1)
	v_cvt_f64_f32_e32 v[4:5], v3
	global_store_b64 v[0:1], v[4:5], off
.LBB158_1007:
	s_and_not1_b32 vcc_lo, exec_lo, s30
	s_cbranch_vccnz .LBB158_1009
; %bb.1008:
	s_wait_xcnt 0x0
	v_cvt_f32_f16_e32 v3, v2
	global_store_b32 v[0:1], v3, off
.LBB158_1009:
	s_mov_b32 s30, 0
.LBB158_1010:
	s_delay_alu instid0(SALU_CYCLE_1)
	s_and_not1_b32 vcc_lo, exec_lo, s30
	s_cbranch_vccnz .LBB158_1012
; %bb.1011:
	global_store_b16 v[0:1], v2, off
.LBB158_1012:
	s_mov_b32 s30, 0
.LBB158_1013:
	s_delay_alu instid0(SALU_CYCLE_1)
	s_and_not1_b32 vcc_lo, exec_lo, s30
	s_cbranch_vccnz .LBB158_1029
; %bb.1014:
	s_cmp_lt_i32 s27, 2
	s_mov_b32 s30, -1
	s_cbranch_scc1 .LBB158_1024
; %bb.1015:
	s_cmp_lt_i32 s27, 3
	s_cbranch_scc1 .LBB158_1021
; %bb.1016:
	s_cmp_gt_i32 s27, 3
	s_cbranch_scc0 .LBB158_1018
; %bb.1017:
	s_wait_xcnt 0x0
	v_cvt_f32_f16_e32 v3, v2
	s_mov_b32 s30, 0
	s_delay_alu instid0(VALU_DEP_1) | instskip(NEXT) | instid1(VALU_DEP_1)
	v_cvt_i32_f32_e32 v4, v3
	v_ashrrev_i32_e32 v5, 31, v4
	global_store_b64 v[0:1], v[4:5], off
.LBB158_1018:
	s_and_not1_b32 vcc_lo, exec_lo, s30
	s_cbranch_vccnz .LBB158_1020
; %bb.1019:
	s_wait_xcnt 0x0
	v_cvt_f32_f16_e32 v3, v2
	s_delay_alu instid0(VALU_DEP_1)
	v_cvt_i32_f32_e32 v3, v3
	global_store_b32 v[0:1], v3, off
.LBB158_1020:
	s_mov_b32 s30, 0
.LBB158_1021:
	s_delay_alu instid0(SALU_CYCLE_1)
	s_and_not1_b32 vcc_lo, exec_lo, s30
	s_cbranch_vccnz .LBB158_1023
; %bb.1022:
	s_wait_xcnt 0x0
	v_cvt_i16_f16_e32 v3, v2
	global_store_b16 v[0:1], v3, off
.LBB158_1023:
	s_mov_b32 s30, 0
.LBB158_1024:
	s_delay_alu instid0(SALU_CYCLE_1)
	s_and_not1_b32 vcc_lo, exec_lo, s30
	s_cbranch_vccnz .LBB158_1029
; %bb.1025:
	s_cmp_gt_i32 s27, 0
	s_mov_b32 s27, -1
	s_cbranch_scc0 .LBB158_1027
; %bb.1026:
	s_wait_xcnt 0x0
	v_cvt_i16_f16_e32 v3, v2
	s_mov_b32 s27, 0
	global_store_b8 v[0:1], v3, off
.LBB158_1027:
	s_and_not1_b32 vcc_lo, exec_lo, s27
	s_cbranch_vccnz .LBB158_1029
; %bb.1028:
	s_wait_xcnt 0x0
	v_cvt_f32_f16_e32 v2, v2
	s_delay_alu instid0(VALU_DEP_1)
	v_cvt_i32_f32_e32 v2, v2
	global_store_b8 v[0:1], v2, off
.LBB158_1029:
	s_mov_b32 s31, -1
.LBB158_1030:
	s_delay_alu instid0(SALU_CYCLE_1)
	s_and_not1_b32 vcc_lo, exec_lo, s31
	s_cbranch_vccnz .LBB158_1032
; %bb.1031:
	v_add_nc_u32_e32 v8, 0x80, v8
	s_mov_b32 s30, -1
	s_branch .LBB158_1034
.LBB158_1032:
	s_mov_b32 s30, 0
.LBB158_1033:
                                        ; implicit-def: $vgpr8
.LBB158_1034:
	s_and_not1_b32 s27, s19, exec_lo
	s_and_b32 s0, s0, exec_lo
	s_and_not1_b32 s31, s21, exec_lo
	s_and_b32 s33, s26, exec_lo
	s_or_b32 s26, s27, s0
	s_or_b32 s27, s31, s33
	s_and_not1_b32 s0, s22, exec_lo
	s_and_b32 s28, s28, exec_lo
	s_and_not1_b32 s31, s23, exec_lo
	s_and_b32 s25, s25, exec_lo
	s_or_b32 s28, s0, s28
	s_or_b32 s25, s31, s25
	s_or_not1_b32 s31, s30, exec_lo
.LBB158_1035:
	s_wait_xcnt 0x0
	s_or_b32 exec_lo, exec_lo, s29
	s_mov_b32 s30, 0
	s_mov_b32 s33, 0
	;; [unrolled: 1-line block ×3, first 2 shown]
                                        ; implicit-def: $sgpr0
                                        ; implicit-def: $vgpr0_vgpr1
                                        ; implicit-def: $vgpr2
	s_and_saveexec_b32 s29, s31
	s_cbranch_execz .LBB158_1638
; %bb.1036:
	s_mov_b32 s39, -1
	s_mov_b32 s31, s25
	s_mov_b32 s33, s28
	;; [unrolled: 1-line block ×4, first 2 shown]
	s_mov_b32 s30, exec_lo
	v_cmpx_gt_i32_e64 s20, v8
	s_cbranch_execz .LBB158_1556
; %bb.1037:
	v_mul_lo_u32 v0, v8, s13
	s_and_b32 s0, s17, 0xff
	s_delay_alu instid0(SALU_CYCLE_1) | instskip(NEXT) | instid1(VALU_DEP_1)
	s_cmp_lt_i32 s0, 11
	v_ashrrev_i32_e32 v1, 31, v0
	s_delay_alu instid0(VALU_DEP_1)
	v_add_nc_u64_e32 v[0:1], s[6:7], v[0:1]
	s_cbranch_scc1 .LBB158_1044
; %bb.1038:
	s_and_b32 s33, 0xffff, s0
	s_delay_alu instid0(SALU_CYCLE_1)
	s_cmp_gt_i32 s33, 25
	s_cbranch_scc0 .LBB158_1045
; %bb.1039:
	s_cmp_gt_i32 s33, 28
	s_cbranch_scc0 .LBB158_1046
; %bb.1040:
	;; [unrolled: 3-line block ×4, first 2 shown]
	s_cmp_eq_u32 s33, 46
	s_mov_b32 s35, 0
	s_cbranch_scc0 .LBB158_1049
; %bb.1043:
	s_wait_loadcnt 0x0
	global_load_b32 v2, v[0:1], off
	s_mov_b32 s34, -1
	s_mov_b32 s31, 0
	s_wait_loadcnt 0x0
	v_lshlrev_b32_e32 v2, 16, v2
	s_delay_alu instid0(VALU_DEP_1)
	v_cvt_f16_f32_e32 v2, v2
	s_branch .LBB158_1051
.LBB158_1044:
	s_mov_b32 s33, -1
	s_mov_b32 s34, 0
	s_mov_b32 s31, s25
                                        ; implicit-def: $vgpr2
	s_branch .LBB158_1116
.LBB158_1045:
	s_mov_b32 s35, -1
	s_mov_b32 s34, 0
	s_mov_b32 s31, s25
                                        ; implicit-def: $vgpr2
	s_branch .LBB158_1080
.LBB158_1046:
	s_mov_b32 s35, -1
	s_mov_b32 s34, 0
	s_mov_b32 s31, s25
                                        ; implicit-def: $vgpr2
	s_branch .LBB158_1061
.LBB158_1047:
	s_mov_b32 s35, -1
	s_mov_b32 s34, 0
	s_mov_b32 s31, s25
                                        ; implicit-def: $vgpr2
	s_branch .LBB158_1056
.LBB158_1048:
	s_mov_b32 s35, -1
	s_mov_b32 s34, 0
	s_mov_b32 s31, s25
	s_branch .LBB158_1050
.LBB158_1049:
	s_mov_b32 s31, -1
	s_mov_b32 s34, 0
.LBB158_1050:
                                        ; implicit-def: $vgpr2
.LBB158_1051:
	s_and_b32 vcc_lo, exec_lo, s35
	s_cbranch_vccz .LBB158_1055
; %bb.1052:
	s_cmp_eq_u32 s33, 44
	s_cbranch_scc0 .LBB158_1054
; %bb.1053:
	s_wait_loadcnt 0x0
	global_load_u8 v2, v[0:1], off
	s_mov_b32 s31, 0
	s_mov_b32 s34, -1
	s_wait_loadcnt 0x0
	v_lshlrev_b32_e32 v3, 23, v2
	v_cmp_ne_u32_e32 vcc_lo, 0xff, v2
	s_delay_alu instid0(VALU_DEP_2) | instskip(NEXT) | instid1(VALU_DEP_1)
	v_cvt_f16_f32_e32 v3, v3
	v_cndmask_b32_e32 v3, 0x7e00, v3, vcc_lo
	v_cmp_ne_u32_e32 vcc_lo, 0, v2
	s_delay_alu instid0(VALU_DEP_2)
	v_cndmask_b32_e32 v2, 0, v3, vcc_lo
	s_branch .LBB158_1055
.LBB158_1054:
	s_mov_b32 s31, -1
                                        ; implicit-def: $vgpr2
.LBB158_1055:
	s_mov_b32 s35, 0
.LBB158_1056:
	s_delay_alu instid0(SALU_CYCLE_1)
	s_and_b32 vcc_lo, exec_lo, s35
	s_cbranch_vccz .LBB158_1060
; %bb.1057:
	s_cmp_eq_u32 s33, 29
	s_cbranch_scc0 .LBB158_1059
; %bb.1058:
	s_wait_loadcnt 0x0
	global_load_b64 v[2:3], v[0:1], off
	s_mov_b32 s34, -1
	s_mov_b32 s31, 0
	s_mov_b32 s35, 0
	s_wait_loadcnt 0x0
	v_clz_i32_u32_e32 v4, v3
	s_delay_alu instid0(VALU_DEP_1) | instskip(NEXT) | instid1(VALU_DEP_1)
	v_min_u32_e32 v4, 32, v4
	v_lshlrev_b64_e32 v[2:3], v4, v[2:3]
	s_delay_alu instid0(VALU_DEP_1) | instskip(NEXT) | instid1(VALU_DEP_1)
	v_min_u32_e32 v2, 1, v2
	v_dual_sub_nc_u32 v3, 32, v4 :: v_dual_bitop2_b32 v2, v3, v2 bitop3:0x54
	s_delay_alu instid0(VALU_DEP_1) | instskip(NEXT) | instid1(VALU_DEP_1)
	v_cvt_f32_u32_e32 v2, v2
	v_ldexp_f32 v2, v2, v3
	s_delay_alu instid0(VALU_DEP_1)
	v_cvt_f16_f32_e32 v2, v2
	s_branch .LBB158_1061
.LBB158_1059:
	s_mov_b32 s31, -1
                                        ; implicit-def: $vgpr2
.LBB158_1060:
	s_mov_b32 s35, 0
.LBB158_1061:
	s_delay_alu instid0(SALU_CYCLE_1)
	s_and_b32 vcc_lo, exec_lo, s35
	s_cbranch_vccz .LBB158_1079
; %bb.1062:
	s_cmp_lt_i32 s33, 27
	s_cbranch_scc1 .LBB158_1065
; %bb.1063:
	s_cmp_gt_i32 s33, 27
	s_cbranch_scc0 .LBB158_1066
; %bb.1064:
	s_wait_loadcnt 0x0
	global_load_b32 v2, v[0:1], off
	s_mov_b32 s34, 0
	s_wait_loadcnt 0x0
	v_cvt_f32_u32_e32 v2, v2
	s_delay_alu instid0(VALU_DEP_1)
	v_cvt_f16_f32_e32 v2, v2
	s_branch .LBB158_1067
.LBB158_1065:
	s_mov_b32 s34, -1
                                        ; implicit-def: $vgpr2
	s_branch .LBB158_1070
.LBB158_1066:
	s_mov_b32 s34, -1
                                        ; implicit-def: $vgpr2
.LBB158_1067:
	s_delay_alu instid0(SALU_CYCLE_1)
	s_and_not1_b32 vcc_lo, exec_lo, s34
	s_cbranch_vccnz .LBB158_1069
; %bb.1068:
	s_wait_loadcnt 0x0
	global_load_u16 v2, v[0:1], off
	s_wait_loadcnt 0x0
	v_cvt_f16_u16_e32 v2, v2
.LBB158_1069:
	s_mov_b32 s34, 0
.LBB158_1070:
	s_delay_alu instid0(SALU_CYCLE_1)
	s_and_not1_b32 vcc_lo, exec_lo, s34
	s_cbranch_vccnz .LBB158_1078
; %bb.1071:
	s_wait_loadcnt 0x0
	global_load_u8 v3, v[0:1], off
	s_mov_b32 s34, 0
	s_mov_b32 s35, exec_lo
	s_wait_loadcnt 0x0
	v_cmpx_lt_i16_e32 0x7f, v3
	s_xor_b32 s35, exec_lo, s35
	s_cbranch_execz .LBB158_1092
; %bb.1072:
	s_mov_b32 s34, -1
	s_mov_b32 s36, exec_lo
	v_cmpx_eq_u16_e32 0x80, v3
; %bb.1073:
	s_xor_b32 s34, exec_lo, -1
; %bb.1074:
	s_or_b32 exec_lo, exec_lo, s36
	s_delay_alu instid0(SALU_CYCLE_1)
	s_and_b32 s34, s34, exec_lo
	s_or_saveexec_b32 s35, s35
	v_mov_b32_e32 v2, 0x7e00
	s_xor_b32 exec_lo, exec_lo, s35
	s_cbranch_execnz .LBB158_1093
.LBB158_1075:
	s_or_b32 exec_lo, exec_lo, s35
	s_and_saveexec_b32 s35, s34
	s_cbranch_execz .LBB158_1077
.LBB158_1076:
	v_and_b32_e32 v2, 0xffff, v3
	s_delay_alu instid0(VALU_DEP_1) | instskip(SKIP_1) | instid1(VALU_DEP_2)
	v_and_b32_e32 v4, 7, v2
	v_bfe_u32 v7, v2, 3, 4
	v_clz_i32_u32_e32 v5, v4
	s_delay_alu instid0(VALU_DEP_2) | instskip(NEXT) | instid1(VALU_DEP_2)
	v_cmp_eq_u32_e32 vcc_lo, 0, v7
	v_min_u32_e32 v5, 32, v5
	s_delay_alu instid0(VALU_DEP_1) | instskip(NEXT) | instid1(VALU_DEP_1)
	v_subrev_nc_u32_e32 v6, 28, v5
	v_dual_lshlrev_b32 v2, v6, v2 :: v_dual_sub_nc_u32 v5, 29, v5
	s_delay_alu instid0(VALU_DEP_1) | instskip(NEXT) | instid1(VALU_DEP_1)
	v_dual_lshlrev_b32 v3, 24, v3 :: v_dual_bitop2_b32 v2, 7, v2 bitop3:0x40
	v_dual_cndmask_b32 v5, v7, v5 :: v_dual_cndmask_b32 v2, v4, v2
	s_delay_alu instid0(VALU_DEP_2) | instskip(NEXT) | instid1(VALU_DEP_2)
	v_and_b32_e32 v3, 0x80000000, v3
	v_lshl_add_u32 v4, v5, 23, 0x3b800000
	s_delay_alu instid0(VALU_DEP_3) | instskip(NEXT) | instid1(VALU_DEP_1)
	v_lshlrev_b32_e32 v2, 20, v2
	v_or3_b32 v2, v3, v4, v2
	s_delay_alu instid0(VALU_DEP_1)
	v_cvt_f16_f32_e32 v2, v2
.LBB158_1077:
	s_or_b32 exec_lo, exec_lo, s35
.LBB158_1078:
	s_mov_b32 s34, -1
.LBB158_1079:
	s_mov_b32 s35, 0
.LBB158_1080:
	s_delay_alu instid0(SALU_CYCLE_1)
	s_and_b32 vcc_lo, exec_lo, s35
	s_cbranch_vccz .LBB158_1115
; %bb.1081:
	s_cmp_gt_i32 s33, 22
	s_cbranch_scc0 .LBB158_1091
; %bb.1082:
	s_cmp_lt_i32 s33, 24
	s_cbranch_scc1 .LBB158_1094
; %bb.1083:
	s_cmp_gt_i32 s33, 24
	s_cbranch_scc0 .LBB158_1095
; %bb.1084:
	s_wait_loadcnt 0x0
	global_load_u8 v3, v[0:1], off
	s_mov_b32 s34, 0
	s_mov_b32 s35, exec_lo
	s_wait_loadcnt 0x0
	v_cmpx_lt_i16_e32 0x7f, v3
	s_xor_b32 s35, exec_lo, s35
	s_cbranch_execz .LBB158_1107
; %bb.1085:
	s_mov_b32 s34, -1
	s_mov_b32 s36, exec_lo
	v_cmpx_eq_u16_e32 0x80, v3
; %bb.1086:
	s_xor_b32 s34, exec_lo, -1
; %bb.1087:
	s_or_b32 exec_lo, exec_lo, s36
	s_delay_alu instid0(SALU_CYCLE_1)
	s_and_b32 s34, s34, exec_lo
	s_or_saveexec_b32 s35, s35
	v_mov_b32_e32 v2, 0x7e00
	s_xor_b32 exec_lo, exec_lo, s35
	s_cbranch_execnz .LBB158_1108
.LBB158_1088:
	s_or_b32 exec_lo, exec_lo, s35
	s_and_saveexec_b32 s35, s34
	s_cbranch_execz .LBB158_1090
.LBB158_1089:
	v_and_b32_e32 v2, 0xffff, v3
	s_delay_alu instid0(VALU_DEP_1) | instskip(SKIP_1) | instid1(VALU_DEP_2)
	v_and_b32_e32 v4, 3, v2
	v_bfe_u32 v7, v2, 2, 5
	v_clz_i32_u32_e32 v5, v4
	s_delay_alu instid0(VALU_DEP_2) | instskip(NEXT) | instid1(VALU_DEP_2)
	v_cmp_eq_u32_e32 vcc_lo, 0, v7
	v_min_u32_e32 v5, 32, v5
	s_delay_alu instid0(VALU_DEP_1) | instskip(NEXT) | instid1(VALU_DEP_1)
	v_subrev_nc_u32_e32 v6, 29, v5
	v_dual_lshlrev_b32 v2, v6, v2 :: v_dual_sub_nc_u32 v5, 30, v5
	s_delay_alu instid0(VALU_DEP_1) | instskip(NEXT) | instid1(VALU_DEP_1)
	v_dual_lshlrev_b32 v3, 24, v3 :: v_dual_bitop2_b32 v2, 3, v2 bitop3:0x40
	v_dual_cndmask_b32 v5, v7, v5 :: v_dual_cndmask_b32 v2, v4, v2
	s_delay_alu instid0(VALU_DEP_2) | instskip(NEXT) | instid1(VALU_DEP_2)
	v_and_b32_e32 v3, 0x80000000, v3
	v_lshl_add_u32 v4, v5, 23, 0x37800000
	s_delay_alu instid0(VALU_DEP_3) | instskip(NEXT) | instid1(VALU_DEP_1)
	v_lshlrev_b32_e32 v2, 21, v2
	v_or3_b32 v2, v3, v4, v2
	s_delay_alu instid0(VALU_DEP_1)
	v_cvt_f16_f32_e32 v2, v2
.LBB158_1090:
	s_or_b32 exec_lo, exec_lo, s35
	s_mov_b32 s34, 0
	s_branch .LBB158_1096
.LBB158_1091:
	s_mov_b32 s35, -1
                                        ; implicit-def: $vgpr2
	s_branch .LBB158_1102
.LBB158_1092:
	s_or_saveexec_b32 s35, s35
	v_mov_b32_e32 v2, 0x7e00
	s_xor_b32 exec_lo, exec_lo, s35
	s_cbranch_execz .LBB158_1075
.LBB158_1093:
	v_cmp_ne_u16_e32 vcc_lo, 0, v3
	v_mov_b32_e32 v2, v3
	s_and_not1_b32 s34, s34, exec_lo
	s_and_b32 s36, vcc_lo, exec_lo
	s_delay_alu instid0(SALU_CYCLE_1)
	s_or_b32 s34, s34, s36
	s_or_b32 exec_lo, exec_lo, s35
	s_and_saveexec_b32 s35, s34
	s_cbranch_execnz .LBB158_1076
	s_branch .LBB158_1077
.LBB158_1094:
	s_mov_b32 s34, -1
                                        ; implicit-def: $vgpr2
	s_branch .LBB158_1099
.LBB158_1095:
	s_mov_b32 s34, -1
                                        ; implicit-def: $vgpr2
.LBB158_1096:
	s_delay_alu instid0(SALU_CYCLE_1)
	s_and_b32 vcc_lo, exec_lo, s34
	s_cbranch_vccz .LBB158_1098
; %bb.1097:
	s_wait_loadcnt 0x0
	global_load_u8 v2, v[0:1], off
	s_wait_loadcnt 0x0
	v_lshlrev_b32_e32 v2, 24, v2
	s_delay_alu instid0(VALU_DEP_1) | instskip(NEXT) | instid1(VALU_DEP_1)
	v_and_b32_e32 v3, 0x7f000000, v2
	v_clz_i32_u32_e32 v4, v3
	v_cmp_ne_u32_e32 vcc_lo, 0, v3
	v_add_nc_u32_e32 v6, 0x1000000, v3
	s_delay_alu instid0(VALU_DEP_3) | instskip(NEXT) | instid1(VALU_DEP_1)
	v_min_u32_e32 v4, 32, v4
	v_sub_nc_u32_e64 v4, v4, 4 clamp
	s_delay_alu instid0(VALU_DEP_1) | instskip(NEXT) | instid1(VALU_DEP_1)
	v_dual_lshlrev_b32 v5, v4, v3 :: v_dual_lshlrev_b32 v4, 23, v4
	v_lshrrev_b32_e32 v5, 4, v5
	s_delay_alu instid0(VALU_DEP_1) | instskip(NEXT) | instid1(VALU_DEP_1)
	v_dual_sub_nc_u32 v4, v5, v4 :: v_dual_ashrrev_i32 v5, 8, v6
	v_add_nc_u32_e32 v4, 0x3c000000, v4
	s_delay_alu instid0(VALU_DEP_1) | instskip(NEXT) | instid1(VALU_DEP_1)
	v_and_or_b32 v4, 0x7f800000, v5, v4
	v_cndmask_b32_e32 v3, 0, v4, vcc_lo
	s_delay_alu instid0(VALU_DEP_1) | instskip(NEXT) | instid1(VALU_DEP_1)
	v_and_or_b32 v2, 0x80000000, v2, v3
	v_cvt_f16_f32_e32 v2, v2
.LBB158_1098:
	s_mov_b32 s34, 0
.LBB158_1099:
	s_delay_alu instid0(SALU_CYCLE_1)
	s_and_not1_b32 vcc_lo, exec_lo, s34
	s_cbranch_vccnz .LBB158_1101
; %bb.1100:
	s_wait_loadcnt 0x0
	global_load_u8 v2, v[0:1], off
	s_wait_loadcnt 0x0
	v_lshlrev_b32_e32 v3, 25, v2
	v_lshlrev_b16 v2, 8, v2
	s_delay_alu instid0(VALU_DEP_1) | instskip(SKIP_1) | instid1(VALU_DEP_2)
	v_and_or_b32 v5, 0x7f00, v2, 0.5
	v_bfe_i32 v2, v2, 0, 16
	v_dual_add_f32 v5, -0.5, v5 :: v_dual_lshrrev_b32 v4, 4, v3
	v_cmp_gt_u32_e32 vcc_lo, 0x8000000, v3
	s_delay_alu instid0(VALU_DEP_2) | instskip(NEXT) | instid1(VALU_DEP_1)
	v_or_b32_e32 v4, 0x70000000, v4
	v_mul_f32_e32 v4, 0x7800000, v4
	s_delay_alu instid0(VALU_DEP_1) | instskip(NEXT) | instid1(VALU_DEP_1)
	v_cndmask_b32_e32 v3, v4, v5, vcc_lo
	v_and_or_b32 v2, 0x80000000, v2, v3
	s_delay_alu instid0(VALU_DEP_1)
	v_cvt_f16_f32_e32 v2, v2
.LBB158_1101:
	s_mov_b32 s35, 0
	s_mov_b32 s34, -1
.LBB158_1102:
	s_and_not1_b32 vcc_lo, exec_lo, s35
	s_cbranch_vccnz .LBB158_1115
; %bb.1103:
	s_cmp_gt_i32 s33, 14
	s_cbranch_scc0 .LBB158_1106
; %bb.1104:
	s_cmp_eq_u32 s33, 15
	s_cbranch_scc0 .LBB158_1109
; %bb.1105:
	s_wait_loadcnt 0x0
	global_load_u16 v2, v[0:1], off
	s_mov_b32 s34, -1
	s_mov_b32 s31, 0
	s_wait_loadcnt 0x0
	v_lshlrev_b32_e32 v2, 16, v2
	s_delay_alu instid0(VALU_DEP_1)
	v_cvt_f16_f32_e32 v2, v2
	s_branch .LBB158_1110
.LBB158_1106:
	s_mov_b32 s35, -1
                                        ; implicit-def: $vgpr2
	s_branch .LBB158_1111
.LBB158_1107:
	s_or_saveexec_b32 s35, s35
	v_mov_b32_e32 v2, 0x7e00
	s_xor_b32 exec_lo, exec_lo, s35
	s_cbranch_execz .LBB158_1088
.LBB158_1108:
	v_cmp_ne_u16_e32 vcc_lo, 0, v3
	v_mov_b32_e32 v2, v3
	s_and_not1_b32 s34, s34, exec_lo
	s_and_b32 s36, vcc_lo, exec_lo
	s_delay_alu instid0(SALU_CYCLE_1)
	s_or_b32 s34, s34, s36
	s_or_b32 exec_lo, exec_lo, s35
	s_and_saveexec_b32 s35, s34
	s_cbranch_execnz .LBB158_1089
	s_branch .LBB158_1090
.LBB158_1109:
	s_mov_b32 s31, -1
                                        ; implicit-def: $vgpr2
.LBB158_1110:
	s_mov_b32 s35, 0
.LBB158_1111:
	s_delay_alu instid0(SALU_CYCLE_1)
	s_and_b32 vcc_lo, exec_lo, s35
	s_cbranch_vccz .LBB158_1115
; %bb.1112:
	s_cmp_eq_u32 s33, 11
	s_cbranch_scc0 .LBB158_1114
; %bb.1113:
	s_wait_loadcnt 0x0
	global_load_u8 v2, v[0:1], off
	s_mov_b32 s31, 0
	s_mov_b32 s34, -1
	s_wait_loadcnt 0x0
	v_cmp_ne_u16_e32 vcc_lo, 0, v2
	v_cndmask_b32_e64 v2, 0, 0x3c00, vcc_lo
	s_branch .LBB158_1115
.LBB158_1114:
	s_mov_b32 s31, -1
                                        ; implicit-def: $vgpr2
.LBB158_1115:
	s_mov_b32 s33, 0
.LBB158_1116:
	s_delay_alu instid0(SALU_CYCLE_1)
	s_and_b32 vcc_lo, exec_lo, s33
	s_cbranch_vccz .LBB158_1165
; %bb.1117:
	s_and_b32 s0, 0xffff, s0
	s_delay_alu instid0(SALU_CYCLE_1)
	s_cmp_lt_i32 s0, 5
	s_cbranch_scc1 .LBB158_1122
; %bb.1118:
	s_cmp_lt_i32 s0, 8
	s_cbranch_scc1 .LBB158_1123
; %bb.1119:
	;; [unrolled: 3-line block ×3, first 2 shown]
	s_cmp_gt_i32 s0, 9
	s_cbranch_scc0 .LBB158_1125
; %bb.1121:
	s_wait_loadcnt 0x0
	global_load_b64 v[2:3], v[0:1], off
	s_mov_b32 s33, 0
	s_wait_loadcnt 0x0
	v_and_or_b32 v2, 0x1ff, v3, v2
	v_lshrrev_b32_e32 v4, 8, v3
	v_bfe_u32 v5, v3, 20, 11
	v_lshrrev_b32_e32 v3, 16, v3
	s_delay_alu instid0(VALU_DEP_4) | instskip(NEXT) | instid1(VALU_DEP_3)
	v_cmp_ne_u32_e32 vcc_lo, 0, v2
	v_sub_nc_u32_e32 v6, 0x3f1, v5
	v_add_nc_u32_e32 v5, 0xfffffc10, v5
	v_cndmask_b32_e64 v2, 0, 1, vcc_lo
	s_delay_alu instid0(VALU_DEP_1) | instskip(NEXT) | instid1(VALU_DEP_4)
	v_and_or_b32 v2, 0xffe, v4, v2
	v_med3_i32 v4, v6, 0, 13
	s_delay_alu instid0(VALU_DEP_2) | instskip(NEXT) | instid1(VALU_DEP_1)
	v_or_b32_e32 v6, 0x1000, v2
	v_lshrrev_b32_e32 v7, v4, v6
	s_delay_alu instid0(VALU_DEP_1) | instskip(NEXT) | instid1(VALU_DEP_1)
	v_lshlrev_b32_e32 v4, v4, v7
	v_cmp_ne_u32_e32 vcc_lo, v4, v6
	v_lshl_or_b32 v6, v5, 12, v2
	v_cndmask_b32_e64 v4, 0, 1, vcc_lo
	v_cmp_gt_i32_e32 vcc_lo, 1, v5
	s_delay_alu instid0(VALU_DEP_2) | instskip(NEXT) | instid1(VALU_DEP_1)
	v_or_b32_e32 v4, v7, v4
	v_cndmask_b32_e32 v4, v6, v4, vcc_lo
	s_delay_alu instid0(VALU_DEP_1) | instskip(NEXT) | instid1(VALU_DEP_1)
	v_dual_lshrrev_b32 v4, 2, v4 :: v_dual_bitop2_b32 v6, 7, v4 bitop3:0x40
	v_cmp_lt_i32_e32 vcc_lo, 5, v6
	v_cndmask_b32_e64 v7, 0, 1, vcc_lo
	v_cmp_eq_u32_e32 vcc_lo, 3, v6
	v_cndmask_b32_e64 v6, 0, 1, vcc_lo
	v_cmp_ne_u32_e32 vcc_lo, 0, v2
	s_delay_alu instid0(VALU_DEP_2) | instskip(NEXT) | instid1(VALU_DEP_1)
	v_or_b32_e32 v6, v6, v7
	v_dual_mov_b32 v7, 0x7e00 :: v_dual_add_nc_u32 v4, v4, v6
	s_delay_alu instid0(VALU_DEP_1) | instskip(SKIP_1) | instid1(VALU_DEP_3)
	v_cndmask_b32_e32 v2, 0x7c00, v7, vcc_lo
	v_cmp_gt_i32_e32 vcc_lo, 31, v5
	v_cndmask_b32_e32 v4, 0x7c00, v4, vcc_lo
	v_cmp_eq_u32_e32 vcc_lo, 0x40f, v5
	s_delay_alu instid0(VALU_DEP_2) | instskip(NEXT) | instid1(VALU_DEP_1)
	v_cndmask_b32_e32 v2, v4, v2, vcc_lo
	v_and_or_b32 v2, 0x8000, v3, v2
	s_branch .LBB158_1126
.LBB158_1122:
	s_mov_b32 s33, -1
                                        ; implicit-def: $vgpr2
	s_branch .LBB158_1144
.LBB158_1123:
	s_mov_b32 s33, -1
                                        ; implicit-def: $vgpr2
	s_branch .LBB158_1132
.LBB158_1124:
	s_mov_b32 s33, -1
                                        ; implicit-def: $vgpr2
	s_branch .LBB158_1129
.LBB158_1125:
	s_mov_b32 s33, -1
                                        ; implicit-def: $vgpr2
.LBB158_1126:
	s_delay_alu instid0(SALU_CYCLE_1)
	s_and_not1_b32 vcc_lo, exec_lo, s33
	s_cbranch_vccnz .LBB158_1128
; %bb.1127:
	s_wait_loadcnt 0x0
	global_load_b32 v2, v[0:1], off
	s_wait_loadcnt 0x0
	v_cvt_f16_f32_e32 v2, v2
.LBB158_1128:
	s_mov_b32 s33, 0
.LBB158_1129:
	s_delay_alu instid0(SALU_CYCLE_1)
	s_and_not1_b32 vcc_lo, exec_lo, s33
	s_cbranch_vccnz .LBB158_1131
; %bb.1130:
	s_wait_loadcnt 0x0
	global_load_b32 v2, v[0:1], off
.LBB158_1131:
	s_mov_b32 s33, 0
.LBB158_1132:
	s_delay_alu instid0(SALU_CYCLE_1)
	s_and_not1_b32 vcc_lo, exec_lo, s33
	s_cbranch_vccnz .LBB158_1143
; %bb.1133:
	s_cmp_lt_i32 s0, 6
	s_cbranch_scc1 .LBB158_1136
; %bb.1134:
	s_cmp_gt_i32 s0, 6
	s_cbranch_scc0 .LBB158_1137
; %bb.1135:
	s_wait_loadcnt 0x0
	global_load_b64 v[2:3], v[0:1], off
	s_mov_b32 s33, 0
	s_wait_loadcnt 0x0
	v_and_or_b32 v2, 0x1ff, v3, v2
	v_lshrrev_b32_e32 v4, 8, v3
	v_bfe_u32 v5, v3, 20, 11
	v_lshrrev_b32_e32 v3, 16, v3
	s_delay_alu instid0(VALU_DEP_4) | instskip(NEXT) | instid1(VALU_DEP_3)
	v_cmp_ne_u32_e32 vcc_lo, 0, v2
	v_sub_nc_u32_e32 v6, 0x3f1, v5
	v_add_nc_u32_e32 v5, 0xfffffc10, v5
	v_cndmask_b32_e64 v2, 0, 1, vcc_lo
	s_delay_alu instid0(VALU_DEP_1) | instskip(NEXT) | instid1(VALU_DEP_4)
	v_and_or_b32 v2, 0xffe, v4, v2
	v_med3_i32 v4, v6, 0, 13
	s_delay_alu instid0(VALU_DEP_2) | instskip(NEXT) | instid1(VALU_DEP_1)
	v_or_b32_e32 v6, 0x1000, v2
	v_lshrrev_b32_e32 v7, v4, v6
	s_delay_alu instid0(VALU_DEP_1) | instskip(NEXT) | instid1(VALU_DEP_1)
	v_lshlrev_b32_e32 v4, v4, v7
	v_cmp_ne_u32_e32 vcc_lo, v4, v6
	v_lshl_or_b32 v6, v5, 12, v2
	v_cndmask_b32_e64 v4, 0, 1, vcc_lo
	v_cmp_gt_i32_e32 vcc_lo, 1, v5
	s_delay_alu instid0(VALU_DEP_2) | instskip(NEXT) | instid1(VALU_DEP_1)
	v_or_b32_e32 v4, v7, v4
	v_cndmask_b32_e32 v4, v6, v4, vcc_lo
	s_delay_alu instid0(VALU_DEP_1) | instskip(NEXT) | instid1(VALU_DEP_1)
	v_dual_lshrrev_b32 v4, 2, v4 :: v_dual_bitop2_b32 v6, 7, v4 bitop3:0x40
	v_cmp_lt_i32_e32 vcc_lo, 5, v6
	v_cndmask_b32_e64 v7, 0, 1, vcc_lo
	v_cmp_eq_u32_e32 vcc_lo, 3, v6
	v_cndmask_b32_e64 v6, 0, 1, vcc_lo
	v_cmp_ne_u32_e32 vcc_lo, 0, v2
	s_delay_alu instid0(VALU_DEP_2) | instskip(NEXT) | instid1(VALU_DEP_1)
	v_or_b32_e32 v6, v6, v7
	v_dual_mov_b32 v7, 0x7e00 :: v_dual_add_nc_u32 v4, v4, v6
	s_delay_alu instid0(VALU_DEP_1) | instskip(SKIP_1) | instid1(VALU_DEP_3)
	v_cndmask_b32_e32 v2, 0x7c00, v7, vcc_lo
	v_cmp_gt_i32_e32 vcc_lo, 31, v5
	v_cndmask_b32_e32 v4, 0x7c00, v4, vcc_lo
	v_cmp_eq_u32_e32 vcc_lo, 0x40f, v5
	s_delay_alu instid0(VALU_DEP_2) | instskip(NEXT) | instid1(VALU_DEP_1)
	v_cndmask_b32_e32 v2, v4, v2, vcc_lo
	v_and_or_b32 v2, 0x8000, v3, v2
	s_branch .LBB158_1138
.LBB158_1136:
	s_mov_b32 s33, -1
                                        ; implicit-def: $vgpr2
	s_branch .LBB158_1141
.LBB158_1137:
	s_mov_b32 s33, -1
                                        ; implicit-def: $vgpr2
.LBB158_1138:
	s_delay_alu instid0(SALU_CYCLE_1)
	s_and_not1_b32 vcc_lo, exec_lo, s33
	s_cbranch_vccnz .LBB158_1140
; %bb.1139:
	s_wait_loadcnt 0x0
	global_load_b32 v2, v[0:1], off
	s_wait_loadcnt 0x0
	v_cvt_f16_f32_e32 v2, v2
.LBB158_1140:
	s_mov_b32 s33, 0
.LBB158_1141:
	s_delay_alu instid0(SALU_CYCLE_1)
	s_and_not1_b32 vcc_lo, exec_lo, s33
	s_cbranch_vccnz .LBB158_1143
; %bb.1142:
	s_wait_loadcnt 0x0
	global_load_u16 v2, v[0:1], off
.LBB158_1143:
	s_mov_b32 s33, 0
.LBB158_1144:
	s_delay_alu instid0(SALU_CYCLE_1)
	s_and_not1_b32 vcc_lo, exec_lo, s33
	s_cbranch_vccnz .LBB158_1164
; %bb.1145:
	s_cmp_lt_i32 s0, 2
	s_cbranch_scc1 .LBB158_1149
; %bb.1146:
	s_cmp_lt_i32 s0, 3
	s_cbranch_scc1 .LBB158_1150
; %bb.1147:
	s_cmp_gt_i32 s0, 3
	s_cbranch_scc0 .LBB158_1151
; %bb.1148:
	s_wait_loadcnt 0x0
	global_load_b64 v[2:3], v[0:1], off
	s_mov_b32 s33, 0
	s_wait_loadcnt 0x0
	v_xor_b32_e32 v4, v2, v3
	v_cls_i32_e32 v5, v3
	s_delay_alu instid0(VALU_DEP_2) | instskip(NEXT) | instid1(VALU_DEP_1)
	v_ashrrev_i32_e32 v4, 31, v4
	v_add_nc_u32_e32 v4, 32, v4
	s_delay_alu instid0(VALU_DEP_1) | instskip(NEXT) | instid1(VALU_DEP_1)
	v_add_min_u32_e64 v4, v5, -1, v4
	v_lshlrev_b64_e32 v[2:3], v4, v[2:3]
	s_delay_alu instid0(VALU_DEP_1) | instskip(NEXT) | instid1(VALU_DEP_1)
	v_min_u32_e32 v2, 1, v2
	v_dual_sub_nc_u32 v3, 32, v4 :: v_dual_bitop2_b32 v2, v3, v2 bitop3:0x54
	s_delay_alu instid0(VALU_DEP_1) | instskip(NEXT) | instid1(VALU_DEP_1)
	v_cvt_f32_i32_e32 v2, v2
	v_ldexp_f32 v2, v2, v3
	s_delay_alu instid0(VALU_DEP_1)
	v_cvt_f16_f32_e32 v2, v2
	s_branch .LBB158_1152
.LBB158_1149:
	s_mov_b32 s33, -1
                                        ; implicit-def: $vgpr2
	s_branch .LBB158_1158
.LBB158_1150:
	s_mov_b32 s33, -1
                                        ; implicit-def: $vgpr2
	s_branch .LBB158_1155
.LBB158_1151:
	s_mov_b32 s33, -1
                                        ; implicit-def: $vgpr2
.LBB158_1152:
	s_delay_alu instid0(SALU_CYCLE_1)
	s_and_not1_b32 vcc_lo, exec_lo, s33
	s_cbranch_vccnz .LBB158_1154
; %bb.1153:
	s_wait_loadcnt 0x0
	global_load_b32 v2, v[0:1], off
	s_wait_loadcnt 0x0
	v_cvt_f32_i32_e32 v2, v2
	s_delay_alu instid0(VALU_DEP_1)
	v_cvt_f16_f32_e32 v2, v2
.LBB158_1154:
	s_mov_b32 s33, 0
.LBB158_1155:
	s_delay_alu instid0(SALU_CYCLE_1)
	s_and_not1_b32 vcc_lo, exec_lo, s33
	s_cbranch_vccnz .LBB158_1157
; %bb.1156:
	s_wait_loadcnt 0x0
	global_load_u16 v2, v[0:1], off
	s_wait_loadcnt 0x0
	v_cvt_f16_i16_e32 v2, v2
.LBB158_1157:
	s_mov_b32 s33, 0
.LBB158_1158:
	s_delay_alu instid0(SALU_CYCLE_1)
	s_and_not1_b32 vcc_lo, exec_lo, s33
	s_cbranch_vccnz .LBB158_1164
; %bb.1159:
	s_cmp_gt_i32 s0, 0
	s_mov_b32 s0, 0
	s_cbranch_scc0 .LBB158_1161
; %bb.1160:
	s_wait_loadcnt 0x0
	global_load_i8 v2, v[0:1], off
	s_wait_loadcnt 0x0
	v_cvt_f16_i16_e32 v2, v2
	s_branch .LBB158_1162
.LBB158_1161:
	s_mov_b32 s0, -1
                                        ; implicit-def: $vgpr2
.LBB158_1162:
	s_delay_alu instid0(SALU_CYCLE_1)
	s_and_not1_b32 vcc_lo, exec_lo, s0
	s_cbranch_vccnz .LBB158_1164
; %bb.1163:
	global_load_u8 v0, v[0:1], off
	s_wait_loadcnt 0x0
	v_cvt_f16_u16_e32 v2, v0
.LBB158_1164:
	s_mov_b32 s34, -1
.LBB158_1165:
	s_delay_alu instid0(SALU_CYCLE_1)
	s_and_not1_b32 vcc_lo, exec_lo, s34
	s_cbranch_vccnz .LBB158_1173
; %bb.1166:
	s_wait_xcnt 0x0
	v_mul_lo_u32 v0, v8, s14
	s_and_b32 s0, s3, 0xff
	s_delay_alu instid0(SALU_CYCLE_1) | instskip(NEXT) | instid1(VALU_DEP_1)
	s_cmp_lt_i32 s0, 11
	v_ashrrev_i32_e32 v1, 31, v0
	s_delay_alu instid0(VALU_DEP_1)
	v_add_nc_u64_e32 v[0:1], s[8:9], v[0:1]
	s_cbranch_scc1 .LBB158_1174
; %bb.1167:
	s_and_b32 s34, 0xffff, s0
	s_delay_alu instid0(SALU_CYCLE_1)
	s_cmp_gt_i32 s34, 25
	s_cbranch_scc0 .LBB158_1175
; %bb.1168:
	s_cmp_gt_i32 s34, 28
	s_cbranch_scc0 .LBB158_1176
; %bb.1169:
	;; [unrolled: 3-line block ×4, first 2 shown]
	s_cmp_eq_u32 s34, 46
	s_mov_b32 s36, 0
	s_cbranch_scc0 .LBB158_1181
; %bb.1172:
	s_wait_loadcnt 0x0
	global_load_b32 v3, v[0:1], off
	s_mov_b32 s35, -1
	s_mov_b32 s33, 0
	s_wait_loadcnt 0x0
	v_lshlrev_b32_e32 v3, 16, v3
	s_delay_alu instid0(VALU_DEP_1)
	v_cvt_f16_f32_e32 v3, v3
	s_branch .LBB158_1183
.LBB158_1173:
	s_mov_b32 s36, 0
	s_mov_b32 s0, s26
	;; [unrolled: 1-line block ×4, first 2 shown]
	s_branch .LBB158_1554
.LBB158_1174:
	s_mov_b32 s34, -1
	s_mov_b32 s35, 0
	s_mov_b32 s33, s28
                                        ; implicit-def: $vgpr3
	s_branch .LBB158_1248
.LBB158_1175:
	s_mov_b32 s36, -1
	s_mov_b32 s35, 0
	s_mov_b32 s33, s28
                                        ; implicit-def: $vgpr3
	s_branch .LBB158_1212
.LBB158_1176:
	s_mov_b32 s36, -1
	s_mov_b32 s35, 0
	s_mov_b32 s33, s28
                                        ; implicit-def: $vgpr3
	s_branch .LBB158_1193
.LBB158_1177:
	s_mov_b32 s36, -1
	s_mov_b32 s35, 0
	s_mov_b32 s33, s28
                                        ; implicit-def: $vgpr3
	s_branch .LBB158_1188
.LBB158_1178:
	s_mov_b32 s36, -1
	s_mov_b32 s35, 0
	s_mov_b32 s33, s28
	s_branch .LBB158_1182
.LBB158_1179:
	s_and_not1_saveexec_b32 s34, s34
	s_cbranch_execz .LBB158_943
.LBB158_1180:
	v_add_f32_e64 v4, 0x46000000, |v3|
	s_and_not1_b32 s33, s33, exec_lo
	s_delay_alu instid0(VALU_DEP_1) | instskip(NEXT) | instid1(VALU_DEP_1)
	v_and_b32_e32 v4, 0xff, v4
	v_cmp_ne_u32_e32 vcc_lo, 0, v4
	s_and_b32 s35, vcc_lo, exec_lo
	s_delay_alu instid0(SALU_CYCLE_1)
	s_or_b32 s33, s33, s35
	s_or_b32 exec_lo, exec_lo, s34
	v_mov_b32_e32 v5, 0
	s_and_saveexec_b32 s34, s33
	s_cbranch_execnz .LBB158_944
	s_branch .LBB158_945
.LBB158_1181:
	s_mov_b32 s33, -1
	s_mov_b32 s35, 0
.LBB158_1182:
                                        ; implicit-def: $vgpr3
.LBB158_1183:
	s_and_b32 vcc_lo, exec_lo, s36
	s_cbranch_vccz .LBB158_1187
; %bb.1184:
	s_cmp_eq_u32 s34, 44
	s_cbranch_scc0 .LBB158_1186
; %bb.1185:
	s_wait_loadcnt 0x0
	global_load_u8 v3, v[0:1], off
	s_mov_b32 s33, 0
	s_mov_b32 s35, -1
	s_wait_loadcnt 0x0
	v_lshlrev_b32_e32 v4, 23, v3
	v_cmp_ne_u32_e32 vcc_lo, 0xff, v3
	s_delay_alu instid0(VALU_DEP_2) | instskip(NEXT) | instid1(VALU_DEP_1)
	v_cvt_f16_f32_e32 v4, v4
	v_cndmask_b32_e32 v4, 0x7e00, v4, vcc_lo
	v_cmp_ne_u32_e32 vcc_lo, 0, v3
	s_delay_alu instid0(VALU_DEP_2)
	v_cndmask_b32_e32 v3, 0, v4, vcc_lo
	s_branch .LBB158_1187
.LBB158_1186:
	s_mov_b32 s33, -1
                                        ; implicit-def: $vgpr3
.LBB158_1187:
	s_mov_b32 s36, 0
.LBB158_1188:
	s_delay_alu instid0(SALU_CYCLE_1)
	s_and_b32 vcc_lo, exec_lo, s36
	s_cbranch_vccz .LBB158_1192
; %bb.1189:
	s_cmp_eq_u32 s34, 29
	s_cbranch_scc0 .LBB158_1191
; %bb.1190:
	s_wait_loadcnt 0x0
	global_load_b64 v[4:5], v[0:1], off
	s_mov_b32 s35, -1
	s_mov_b32 s33, 0
	s_mov_b32 s36, 0
	s_wait_loadcnt 0x0
	v_clz_i32_u32_e32 v3, v5
	s_delay_alu instid0(VALU_DEP_1) | instskip(NEXT) | instid1(VALU_DEP_1)
	v_min_u32_e32 v3, 32, v3
	v_lshlrev_b64_e32 v[4:5], v3, v[4:5]
	v_sub_nc_u32_e32 v3, 32, v3
	s_delay_alu instid0(VALU_DEP_2) | instskip(NEXT) | instid1(VALU_DEP_1)
	v_min_u32_e32 v4, 1, v4
	v_or_b32_e32 v4, v5, v4
	s_delay_alu instid0(VALU_DEP_1) | instskip(NEXT) | instid1(VALU_DEP_1)
	v_cvt_f32_u32_e32 v4, v4
	v_ldexp_f32 v3, v4, v3
	s_delay_alu instid0(VALU_DEP_1)
	v_cvt_f16_f32_e32 v3, v3
	s_branch .LBB158_1193
.LBB158_1191:
	s_mov_b32 s33, -1
                                        ; implicit-def: $vgpr3
.LBB158_1192:
	s_mov_b32 s36, 0
.LBB158_1193:
	s_delay_alu instid0(SALU_CYCLE_1)
	s_and_b32 vcc_lo, exec_lo, s36
	s_cbranch_vccz .LBB158_1211
; %bb.1194:
	s_cmp_lt_i32 s34, 27
	s_cbranch_scc1 .LBB158_1197
; %bb.1195:
	s_cmp_gt_i32 s34, 27
	s_cbranch_scc0 .LBB158_1198
; %bb.1196:
	s_wait_loadcnt 0x0
	global_load_b32 v3, v[0:1], off
	s_mov_b32 s35, 0
	s_wait_loadcnt 0x0
	v_cvt_f32_u32_e32 v3, v3
	s_delay_alu instid0(VALU_DEP_1)
	v_cvt_f16_f32_e32 v3, v3
	s_branch .LBB158_1199
.LBB158_1197:
	s_mov_b32 s35, -1
                                        ; implicit-def: $vgpr3
	s_branch .LBB158_1202
.LBB158_1198:
	s_mov_b32 s35, -1
                                        ; implicit-def: $vgpr3
.LBB158_1199:
	s_delay_alu instid0(SALU_CYCLE_1)
	s_and_not1_b32 vcc_lo, exec_lo, s35
	s_cbranch_vccnz .LBB158_1201
; %bb.1200:
	s_wait_loadcnt 0x0
	global_load_u16 v3, v[0:1], off
	s_wait_loadcnt 0x0
	v_cvt_f16_u16_e32 v3, v3
.LBB158_1201:
	s_mov_b32 s35, 0
.LBB158_1202:
	s_delay_alu instid0(SALU_CYCLE_1)
	s_and_not1_b32 vcc_lo, exec_lo, s35
	s_cbranch_vccnz .LBB158_1210
; %bb.1203:
	s_wait_loadcnt 0x0
	global_load_u8 v4, v[0:1], off
	s_mov_b32 s35, 0
	s_mov_b32 s36, exec_lo
	s_wait_loadcnt 0x0
	v_cmpx_lt_i16_e32 0x7f, v4
	s_xor_b32 s36, exec_lo, s36
	s_cbranch_execz .LBB158_1224
; %bb.1204:
	s_mov_b32 s35, -1
	s_mov_b32 s37, exec_lo
	v_cmpx_eq_u16_e32 0x80, v4
; %bb.1205:
	s_xor_b32 s35, exec_lo, -1
; %bb.1206:
	s_or_b32 exec_lo, exec_lo, s37
	s_delay_alu instid0(SALU_CYCLE_1)
	s_and_b32 s35, s35, exec_lo
	s_or_saveexec_b32 s36, s36
	v_mov_b32_e32 v3, 0x7e00
	s_xor_b32 exec_lo, exec_lo, s36
	s_cbranch_execnz .LBB158_1225
.LBB158_1207:
	s_or_b32 exec_lo, exec_lo, s36
	s_and_saveexec_b32 s36, s35
	s_cbranch_execz .LBB158_1209
.LBB158_1208:
	v_and_b32_e32 v3, 0xffff, v4
	s_delay_alu instid0(VALU_DEP_1) | instskip(SKIP_1) | instid1(VALU_DEP_2)
	v_and_b32_e32 v5, 7, v3
	v_bfe_u32 v9, v3, 3, 4
	v_clz_i32_u32_e32 v6, v5
	s_delay_alu instid0(VALU_DEP_2) | instskip(NEXT) | instid1(VALU_DEP_2)
	v_cmp_eq_u32_e32 vcc_lo, 0, v9
	v_min_u32_e32 v6, 32, v6
	s_delay_alu instid0(VALU_DEP_1) | instskip(NEXT) | instid1(VALU_DEP_1)
	v_subrev_nc_u32_e32 v7, 28, v6
	v_dual_lshlrev_b32 v3, v7, v3 :: v_dual_sub_nc_u32 v6, 29, v6
	s_delay_alu instid0(VALU_DEP_1) | instskip(NEXT) | instid1(VALU_DEP_2)
	v_dual_lshlrev_b32 v4, 24, v4 :: v_dual_bitop2_b32 v3, 7, v3 bitop3:0x40
	v_cndmask_b32_e32 v6, v9, v6, vcc_lo
	s_delay_alu instid0(VALU_DEP_2) | instskip(NEXT) | instid1(VALU_DEP_3)
	v_cndmask_b32_e32 v3, v5, v3, vcc_lo
	v_and_b32_e32 v4, 0x80000000, v4
	s_delay_alu instid0(VALU_DEP_3) | instskip(NEXT) | instid1(VALU_DEP_3)
	v_lshl_add_u32 v5, v6, 23, 0x3b800000
	v_lshlrev_b32_e32 v3, 20, v3
	s_delay_alu instid0(VALU_DEP_1) | instskip(NEXT) | instid1(VALU_DEP_1)
	v_or3_b32 v3, v4, v5, v3
	v_cvt_f16_f32_e32 v3, v3
.LBB158_1209:
	s_or_b32 exec_lo, exec_lo, s36
.LBB158_1210:
	s_mov_b32 s35, -1
.LBB158_1211:
	s_mov_b32 s36, 0
.LBB158_1212:
	s_delay_alu instid0(SALU_CYCLE_1)
	s_and_b32 vcc_lo, exec_lo, s36
	s_cbranch_vccz .LBB158_1247
; %bb.1213:
	s_cmp_gt_i32 s34, 22
	s_cbranch_scc0 .LBB158_1223
; %bb.1214:
	s_cmp_lt_i32 s34, 24
	s_cbranch_scc1 .LBB158_1226
; %bb.1215:
	s_cmp_gt_i32 s34, 24
	s_cbranch_scc0 .LBB158_1227
; %bb.1216:
	s_wait_loadcnt 0x0
	global_load_u8 v4, v[0:1], off
	s_mov_b32 s35, 0
	s_mov_b32 s36, exec_lo
	s_wait_loadcnt 0x0
	v_cmpx_lt_i16_e32 0x7f, v4
	s_xor_b32 s36, exec_lo, s36
	s_cbranch_execz .LBB158_1239
; %bb.1217:
	s_mov_b32 s35, -1
	s_mov_b32 s37, exec_lo
	v_cmpx_eq_u16_e32 0x80, v4
; %bb.1218:
	s_xor_b32 s35, exec_lo, -1
; %bb.1219:
	s_or_b32 exec_lo, exec_lo, s37
	s_delay_alu instid0(SALU_CYCLE_1)
	s_and_b32 s35, s35, exec_lo
	s_or_saveexec_b32 s36, s36
	v_mov_b32_e32 v3, 0x7e00
	s_xor_b32 exec_lo, exec_lo, s36
	s_cbranch_execnz .LBB158_1240
.LBB158_1220:
	s_or_b32 exec_lo, exec_lo, s36
	s_and_saveexec_b32 s36, s35
	s_cbranch_execz .LBB158_1222
.LBB158_1221:
	v_and_b32_e32 v3, 0xffff, v4
	s_delay_alu instid0(VALU_DEP_1) | instskip(SKIP_1) | instid1(VALU_DEP_2)
	v_and_b32_e32 v5, 3, v3
	v_bfe_u32 v9, v3, 2, 5
	v_clz_i32_u32_e32 v6, v5
	s_delay_alu instid0(VALU_DEP_2) | instskip(NEXT) | instid1(VALU_DEP_2)
	v_cmp_eq_u32_e32 vcc_lo, 0, v9
	v_min_u32_e32 v6, 32, v6
	s_delay_alu instid0(VALU_DEP_1) | instskip(NEXT) | instid1(VALU_DEP_1)
	v_subrev_nc_u32_e32 v7, 29, v6
	v_dual_lshlrev_b32 v3, v7, v3 :: v_dual_sub_nc_u32 v6, 30, v6
	s_delay_alu instid0(VALU_DEP_1) | instskip(NEXT) | instid1(VALU_DEP_2)
	v_dual_lshlrev_b32 v4, 24, v4 :: v_dual_bitop2_b32 v3, 3, v3 bitop3:0x40
	v_cndmask_b32_e32 v6, v9, v6, vcc_lo
	s_delay_alu instid0(VALU_DEP_2) | instskip(NEXT) | instid1(VALU_DEP_3)
	v_cndmask_b32_e32 v3, v5, v3, vcc_lo
	v_and_b32_e32 v4, 0x80000000, v4
	s_delay_alu instid0(VALU_DEP_3) | instskip(NEXT) | instid1(VALU_DEP_3)
	v_lshl_add_u32 v5, v6, 23, 0x37800000
	v_lshlrev_b32_e32 v3, 21, v3
	s_delay_alu instid0(VALU_DEP_1) | instskip(NEXT) | instid1(VALU_DEP_1)
	v_or3_b32 v3, v4, v5, v3
	v_cvt_f16_f32_e32 v3, v3
.LBB158_1222:
	s_or_b32 exec_lo, exec_lo, s36
	s_mov_b32 s35, 0
	s_branch .LBB158_1228
.LBB158_1223:
	s_mov_b32 s36, -1
                                        ; implicit-def: $vgpr3
	s_branch .LBB158_1234
.LBB158_1224:
	s_or_saveexec_b32 s36, s36
	v_mov_b32_e32 v3, 0x7e00
	s_xor_b32 exec_lo, exec_lo, s36
	s_cbranch_execz .LBB158_1207
.LBB158_1225:
	v_cmp_ne_u16_e32 vcc_lo, 0, v4
	v_mov_b32_e32 v3, v4
	s_and_not1_b32 s35, s35, exec_lo
	s_and_b32 s37, vcc_lo, exec_lo
	s_delay_alu instid0(SALU_CYCLE_1)
	s_or_b32 s35, s35, s37
	s_or_b32 exec_lo, exec_lo, s36
	s_and_saveexec_b32 s36, s35
	s_cbranch_execnz .LBB158_1208
	s_branch .LBB158_1209
.LBB158_1226:
	s_mov_b32 s35, -1
                                        ; implicit-def: $vgpr3
	s_branch .LBB158_1231
.LBB158_1227:
	s_mov_b32 s35, -1
                                        ; implicit-def: $vgpr3
.LBB158_1228:
	s_delay_alu instid0(SALU_CYCLE_1)
	s_and_b32 vcc_lo, exec_lo, s35
	s_cbranch_vccz .LBB158_1230
; %bb.1229:
	s_wait_loadcnt 0x0
	global_load_u8 v3, v[0:1], off
	s_wait_loadcnt 0x0
	v_lshlrev_b32_e32 v3, 24, v3
	s_delay_alu instid0(VALU_DEP_1) | instskip(NEXT) | instid1(VALU_DEP_1)
	v_and_b32_e32 v4, 0x7f000000, v3
	v_clz_i32_u32_e32 v5, v4
	v_cmp_ne_u32_e32 vcc_lo, 0, v4
	v_add_nc_u32_e32 v7, 0x1000000, v4
	s_delay_alu instid0(VALU_DEP_3) | instskip(NEXT) | instid1(VALU_DEP_1)
	v_min_u32_e32 v5, 32, v5
	v_sub_nc_u32_e64 v5, v5, 4 clamp
	s_delay_alu instid0(VALU_DEP_1) | instskip(NEXT) | instid1(VALU_DEP_1)
	v_dual_lshlrev_b32 v6, v5, v4 :: v_dual_lshlrev_b32 v5, 23, v5
	v_lshrrev_b32_e32 v6, 4, v6
	s_delay_alu instid0(VALU_DEP_1) | instskip(NEXT) | instid1(VALU_DEP_1)
	v_dual_sub_nc_u32 v5, v6, v5 :: v_dual_ashrrev_i32 v6, 8, v7
	v_add_nc_u32_e32 v5, 0x3c000000, v5
	s_delay_alu instid0(VALU_DEP_1) | instskip(NEXT) | instid1(VALU_DEP_1)
	v_and_or_b32 v5, 0x7f800000, v6, v5
	v_cndmask_b32_e32 v4, 0, v5, vcc_lo
	s_delay_alu instid0(VALU_DEP_1) | instskip(NEXT) | instid1(VALU_DEP_1)
	v_and_or_b32 v3, 0x80000000, v3, v4
	v_cvt_f16_f32_e32 v3, v3
.LBB158_1230:
	s_mov_b32 s35, 0
.LBB158_1231:
	s_delay_alu instid0(SALU_CYCLE_1)
	s_and_not1_b32 vcc_lo, exec_lo, s35
	s_cbranch_vccnz .LBB158_1233
; %bb.1232:
	s_wait_loadcnt 0x0
	global_load_u8 v3, v[0:1], off
	s_wait_loadcnt 0x0
	v_lshlrev_b32_e32 v4, 25, v3
	v_lshlrev_b16 v3, 8, v3
	s_delay_alu instid0(VALU_DEP_1) | instskip(SKIP_1) | instid1(VALU_DEP_2)
	v_and_or_b32 v6, 0x7f00, v3, 0.5
	v_bfe_i32 v3, v3, 0, 16
	v_dual_add_f32 v6, -0.5, v6 :: v_dual_lshrrev_b32 v5, 4, v4
	v_cmp_gt_u32_e32 vcc_lo, 0x8000000, v4
	s_delay_alu instid0(VALU_DEP_2) | instskip(NEXT) | instid1(VALU_DEP_1)
	v_or_b32_e32 v5, 0x70000000, v5
	v_mul_f32_e32 v5, 0x7800000, v5
	s_delay_alu instid0(VALU_DEP_1) | instskip(NEXT) | instid1(VALU_DEP_1)
	v_cndmask_b32_e32 v4, v5, v6, vcc_lo
	v_and_or_b32 v3, 0x80000000, v3, v4
	s_delay_alu instid0(VALU_DEP_1)
	v_cvt_f16_f32_e32 v3, v3
.LBB158_1233:
	s_mov_b32 s36, 0
	s_mov_b32 s35, -1
.LBB158_1234:
	s_and_not1_b32 vcc_lo, exec_lo, s36
	s_cbranch_vccnz .LBB158_1247
; %bb.1235:
	s_cmp_gt_i32 s34, 14
	s_cbranch_scc0 .LBB158_1238
; %bb.1236:
	s_cmp_eq_u32 s34, 15
	s_cbranch_scc0 .LBB158_1241
; %bb.1237:
	s_wait_loadcnt 0x0
	global_load_u16 v3, v[0:1], off
	s_mov_b32 s35, -1
	s_mov_b32 s33, 0
	s_wait_loadcnt 0x0
	v_lshlrev_b32_e32 v3, 16, v3
	s_delay_alu instid0(VALU_DEP_1)
	v_cvt_f16_f32_e32 v3, v3
	s_branch .LBB158_1242
.LBB158_1238:
	s_mov_b32 s36, -1
                                        ; implicit-def: $vgpr3
	s_branch .LBB158_1243
.LBB158_1239:
	s_or_saveexec_b32 s36, s36
	v_mov_b32_e32 v3, 0x7e00
	s_xor_b32 exec_lo, exec_lo, s36
	s_cbranch_execz .LBB158_1220
.LBB158_1240:
	v_cmp_ne_u16_e32 vcc_lo, 0, v4
	v_mov_b32_e32 v3, v4
	s_and_not1_b32 s35, s35, exec_lo
	s_and_b32 s37, vcc_lo, exec_lo
	s_delay_alu instid0(SALU_CYCLE_1)
	s_or_b32 s35, s35, s37
	s_or_b32 exec_lo, exec_lo, s36
	s_and_saveexec_b32 s36, s35
	s_cbranch_execnz .LBB158_1221
	s_branch .LBB158_1222
.LBB158_1241:
	s_mov_b32 s33, -1
                                        ; implicit-def: $vgpr3
.LBB158_1242:
	s_mov_b32 s36, 0
.LBB158_1243:
	s_delay_alu instid0(SALU_CYCLE_1)
	s_and_b32 vcc_lo, exec_lo, s36
	s_cbranch_vccz .LBB158_1247
; %bb.1244:
	s_cmp_eq_u32 s34, 11
	s_cbranch_scc0 .LBB158_1246
; %bb.1245:
	s_wait_loadcnt 0x0
	global_load_u8 v3, v[0:1], off
	s_mov_b32 s33, 0
	s_mov_b32 s35, -1
	s_wait_loadcnt 0x0
	v_cmp_ne_u16_e32 vcc_lo, 0, v3
	v_cndmask_b32_e64 v3, 0, 0x3c00, vcc_lo
	s_branch .LBB158_1247
.LBB158_1246:
	s_mov_b32 s33, -1
                                        ; implicit-def: $vgpr3
.LBB158_1247:
	s_mov_b32 s34, 0
.LBB158_1248:
	s_delay_alu instid0(SALU_CYCLE_1)
	s_and_b32 vcc_lo, exec_lo, s34
	s_cbranch_vccz .LBB158_1297
; %bb.1249:
	s_and_b32 s0, 0xffff, s0
	s_delay_alu instid0(SALU_CYCLE_1)
	s_cmp_lt_i32 s0, 5
	s_cbranch_scc1 .LBB158_1254
; %bb.1250:
	s_cmp_lt_i32 s0, 8
	s_cbranch_scc1 .LBB158_1255
; %bb.1251:
	;; [unrolled: 3-line block ×3, first 2 shown]
	s_cmp_gt_i32 s0, 9
	s_cbranch_scc0 .LBB158_1257
; %bb.1253:
	s_wait_loadcnt 0x0
	global_load_b64 v[4:5], v[0:1], off
	s_mov_b32 s34, 0
	s_wait_loadcnt 0x0
	v_and_or_b32 v3, 0x1ff, v5, v4
	v_lshrrev_b32_e32 v4, 8, v5
	v_bfe_u32 v6, v5, 20, 11
	s_delay_alu instid0(VALU_DEP_3) | instskip(NEXT) | instid1(VALU_DEP_2)
	v_cmp_ne_u32_e32 vcc_lo, 0, v3
	v_sub_nc_u32_e32 v7, 0x3f1, v6
	v_add_nc_u32_e32 v6, 0xfffffc10, v6
	v_cndmask_b32_e64 v3, 0, 1, vcc_lo
	s_delay_alu instid0(VALU_DEP_1) | instskip(NEXT) | instid1(VALU_DEP_4)
	v_and_or_b32 v3, 0xffe, v4, v3
	v_med3_i32 v4, v7, 0, 13
	s_delay_alu instid0(VALU_DEP_2) | instskip(NEXT) | instid1(VALU_DEP_1)
	v_or_b32_e32 v7, 0x1000, v3
	v_lshrrev_b32_e32 v9, v4, v7
	s_delay_alu instid0(VALU_DEP_1) | instskip(NEXT) | instid1(VALU_DEP_1)
	v_lshlrev_b32_e32 v4, v4, v9
	v_cmp_ne_u32_e32 vcc_lo, v4, v7
	v_lshl_or_b32 v7, v6, 12, v3
	v_cndmask_b32_e64 v4, 0, 1, vcc_lo
	v_cmp_gt_i32_e32 vcc_lo, 1, v6
	s_delay_alu instid0(VALU_DEP_2) | instskip(NEXT) | instid1(VALU_DEP_1)
	v_or_b32_e32 v4, v9, v4
	v_cndmask_b32_e32 v4, v7, v4, vcc_lo
	s_delay_alu instid0(VALU_DEP_1) | instskip(NEXT) | instid1(VALU_DEP_1)
	v_dual_lshrrev_b32 v4, 2, v4 :: v_dual_bitop2_b32 v7, 7, v4 bitop3:0x40
	v_cmp_lt_i32_e32 vcc_lo, 5, v7
	v_cndmask_b32_e64 v9, 0, 1, vcc_lo
	v_cmp_eq_u32_e32 vcc_lo, 3, v7
	v_cndmask_b32_e64 v7, 0, 1, vcc_lo
	v_cmp_ne_u32_e32 vcc_lo, 0, v3
	s_delay_alu instid0(VALU_DEP_2) | instskip(NEXT) | instid1(VALU_DEP_1)
	v_or_b32_e32 v7, v7, v9
	v_dual_mov_b32 v9, 0x7e00 :: v_dual_add_nc_u32 v4, v4, v7
	s_delay_alu instid0(VALU_DEP_1) | instskip(SKIP_1) | instid1(VALU_DEP_3)
	v_cndmask_b32_e32 v3, 0x7c00, v9, vcc_lo
	v_cmp_gt_i32_e32 vcc_lo, 31, v6
	v_cndmask_b32_e32 v4, 0x7c00, v4, vcc_lo
	v_cmp_eq_u32_e32 vcc_lo, 0x40f, v6
	s_delay_alu instid0(VALU_DEP_2) | instskip(NEXT) | instid1(VALU_DEP_1)
	v_dual_cndmask_b32 v3, v4, v3 :: v_dual_lshrrev_b32 v4, 16, v5
	v_and_or_b32 v3, 0x8000, v4, v3
	s_branch .LBB158_1258
.LBB158_1254:
	s_mov_b32 s34, -1
                                        ; implicit-def: $vgpr3
	s_branch .LBB158_1276
.LBB158_1255:
	s_mov_b32 s34, -1
                                        ; implicit-def: $vgpr3
	s_branch .LBB158_1264
.LBB158_1256:
	s_mov_b32 s34, -1
                                        ; implicit-def: $vgpr3
	s_branch .LBB158_1261
.LBB158_1257:
	s_mov_b32 s34, -1
                                        ; implicit-def: $vgpr3
.LBB158_1258:
	s_delay_alu instid0(SALU_CYCLE_1)
	s_and_not1_b32 vcc_lo, exec_lo, s34
	s_cbranch_vccnz .LBB158_1260
; %bb.1259:
	s_wait_loadcnt 0x0
	global_load_b32 v3, v[0:1], off
	s_wait_loadcnt 0x0
	v_cvt_f16_f32_e32 v3, v3
.LBB158_1260:
	s_mov_b32 s34, 0
.LBB158_1261:
	s_delay_alu instid0(SALU_CYCLE_1)
	s_and_not1_b32 vcc_lo, exec_lo, s34
	s_cbranch_vccnz .LBB158_1263
; %bb.1262:
	s_wait_loadcnt 0x0
	global_load_b32 v3, v[0:1], off
.LBB158_1263:
	s_mov_b32 s34, 0
.LBB158_1264:
	s_delay_alu instid0(SALU_CYCLE_1)
	s_and_not1_b32 vcc_lo, exec_lo, s34
	s_cbranch_vccnz .LBB158_1275
; %bb.1265:
	s_cmp_lt_i32 s0, 6
	s_cbranch_scc1 .LBB158_1268
; %bb.1266:
	s_cmp_gt_i32 s0, 6
	s_cbranch_scc0 .LBB158_1269
; %bb.1267:
	s_wait_loadcnt 0x0
	global_load_b64 v[4:5], v[0:1], off
	s_mov_b32 s34, 0
	s_wait_loadcnt 0x0
	v_and_or_b32 v3, 0x1ff, v5, v4
	v_lshrrev_b32_e32 v4, 8, v5
	v_bfe_u32 v6, v5, 20, 11
	s_delay_alu instid0(VALU_DEP_3) | instskip(NEXT) | instid1(VALU_DEP_2)
	v_cmp_ne_u32_e32 vcc_lo, 0, v3
	v_sub_nc_u32_e32 v7, 0x3f1, v6
	v_add_nc_u32_e32 v6, 0xfffffc10, v6
	v_cndmask_b32_e64 v3, 0, 1, vcc_lo
	s_delay_alu instid0(VALU_DEP_1) | instskip(NEXT) | instid1(VALU_DEP_4)
	v_and_or_b32 v3, 0xffe, v4, v3
	v_med3_i32 v4, v7, 0, 13
	s_delay_alu instid0(VALU_DEP_2) | instskip(NEXT) | instid1(VALU_DEP_1)
	v_or_b32_e32 v7, 0x1000, v3
	v_lshrrev_b32_e32 v9, v4, v7
	s_delay_alu instid0(VALU_DEP_1) | instskip(NEXT) | instid1(VALU_DEP_1)
	v_lshlrev_b32_e32 v4, v4, v9
	v_cmp_ne_u32_e32 vcc_lo, v4, v7
	v_lshl_or_b32 v7, v6, 12, v3
	v_cndmask_b32_e64 v4, 0, 1, vcc_lo
	v_cmp_gt_i32_e32 vcc_lo, 1, v6
	s_delay_alu instid0(VALU_DEP_2) | instskip(NEXT) | instid1(VALU_DEP_1)
	v_or_b32_e32 v4, v9, v4
	v_cndmask_b32_e32 v4, v7, v4, vcc_lo
	s_delay_alu instid0(VALU_DEP_1) | instskip(NEXT) | instid1(VALU_DEP_1)
	v_dual_lshrrev_b32 v4, 2, v4 :: v_dual_bitop2_b32 v7, 7, v4 bitop3:0x40
	v_cmp_lt_i32_e32 vcc_lo, 5, v7
	v_cndmask_b32_e64 v9, 0, 1, vcc_lo
	v_cmp_eq_u32_e32 vcc_lo, 3, v7
	v_cndmask_b32_e64 v7, 0, 1, vcc_lo
	v_cmp_ne_u32_e32 vcc_lo, 0, v3
	s_delay_alu instid0(VALU_DEP_2) | instskip(NEXT) | instid1(VALU_DEP_1)
	v_or_b32_e32 v7, v7, v9
	v_dual_mov_b32 v9, 0x7e00 :: v_dual_add_nc_u32 v4, v4, v7
	s_delay_alu instid0(VALU_DEP_1) | instskip(SKIP_1) | instid1(VALU_DEP_3)
	v_cndmask_b32_e32 v3, 0x7c00, v9, vcc_lo
	v_cmp_gt_i32_e32 vcc_lo, 31, v6
	v_cndmask_b32_e32 v4, 0x7c00, v4, vcc_lo
	v_cmp_eq_u32_e32 vcc_lo, 0x40f, v6
	s_delay_alu instid0(VALU_DEP_2) | instskip(NEXT) | instid1(VALU_DEP_1)
	v_dual_cndmask_b32 v3, v4, v3 :: v_dual_lshrrev_b32 v4, 16, v5
	v_and_or_b32 v3, 0x8000, v4, v3
	s_branch .LBB158_1270
.LBB158_1268:
	s_mov_b32 s34, -1
                                        ; implicit-def: $vgpr3
	s_branch .LBB158_1273
.LBB158_1269:
	s_mov_b32 s34, -1
                                        ; implicit-def: $vgpr3
.LBB158_1270:
	s_delay_alu instid0(SALU_CYCLE_1)
	s_and_not1_b32 vcc_lo, exec_lo, s34
	s_cbranch_vccnz .LBB158_1272
; %bb.1271:
	s_wait_loadcnt 0x0
	global_load_b32 v3, v[0:1], off
	s_wait_loadcnt 0x0
	v_cvt_f16_f32_e32 v3, v3
.LBB158_1272:
	s_mov_b32 s34, 0
.LBB158_1273:
	s_delay_alu instid0(SALU_CYCLE_1)
	s_and_not1_b32 vcc_lo, exec_lo, s34
	s_cbranch_vccnz .LBB158_1275
; %bb.1274:
	s_wait_loadcnt 0x0
	global_load_u16 v3, v[0:1], off
.LBB158_1275:
	s_mov_b32 s34, 0
.LBB158_1276:
	s_delay_alu instid0(SALU_CYCLE_1)
	s_and_not1_b32 vcc_lo, exec_lo, s34
	s_cbranch_vccnz .LBB158_1296
; %bb.1277:
	s_cmp_lt_i32 s0, 2
	s_cbranch_scc1 .LBB158_1281
; %bb.1278:
	s_cmp_lt_i32 s0, 3
	s_cbranch_scc1 .LBB158_1282
; %bb.1279:
	s_cmp_gt_i32 s0, 3
	s_cbranch_scc0 .LBB158_1283
; %bb.1280:
	s_wait_loadcnt 0x0
	global_load_b64 v[4:5], v[0:1], off
	s_mov_b32 s34, 0
	s_wait_loadcnt 0x0
	v_xor_b32_e32 v3, v4, v5
	v_cls_i32_e32 v6, v5
	s_delay_alu instid0(VALU_DEP_2) | instskip(NEXT) | instid1(VALU_DEP_1)
	v_ashrrev_i32_e32 v3, 31, v3
	v_add_nc_u32_e32 v3, 32, v3
	s_delay_alu instid0(VALU_DEP_1) | instskip(NEXT) | instid1(VALU_DEP_1)
	v_add_min_u32_e64 v3, v6, -1, v3
	v_lshlrev_b64_e32 v[4:5], v3, v[4:5]
	v_sub_nc_u32_e32 v3, 32, v3
	s_delay_alu instid0(VALU_DEP_2) | instskip(NEXT) | instid1(VALU_DEP_1)
	v_min_u32_e32 v4, 1, v4
	v_or_b32_e32 v4, v5, v4
	s_delay_alu instid0(VALU_DEP_1) | instskip(NEXT) | instid1(VALU_DEP_1)
	v_cvt_f32_i32_e32 v4, v4
	v_ldexp_f32 v3, v4, v3
	s_delay_alu instid0(VALU_DEP_1)
	v_cvt_f16_f32_e32 v3, v3
	s_branch .LBB158_1284
.LBB158_1281:
	s_mov_b32 s34, -1
                                        ; implicit-def: $vgpr3
	s_branch .LBB158_1290
.LBB158_1282:
	s_mov_b32 s34, -1
                                        ; implicit-def: $vgpr3
	s_branch .LBB158_1287
.LBB158_1283:
	s_mov_b32 s34, -1
                                        ; implicit-def: $vgpr3
.LBB158_1284:
	s_delay_alu instid0(SALU_CYCLE_1)
	s_and_not1_b32 vcc_lo, exec_lo, s34
	s_cbranch_vccnz .LBB158_1286
; %bb.1285:
	s_wait_loadcnt 0x0
	global_load_b32 v3, v[0:1], off
	s_wait_loadcnt 0x0
	v_cvt_f32_i32_e32 v3, v3
	s_delay_alu instid0(VALU_DEP_1)
	v_cvt_f16_f32_e32 v3, v3
.LBB158_1286:
	s_mov_b32 s34, 0
.LBB158_1287:
	s_delay_alu instid0(SALU_CYCLE_1)
	s_and_not1_b32 vcc_lo, exec_lo, s34
	s_cbranch_vccnz .LBB158_1289
; %bb.1288:
	s_wait_loadcnt 0x0
	global_load_u16 v3, v[0:1], off
	s_wait_loadcnt 0x0
	v_cvt_f16_i16_e32 v3, v3
.LBB158_1289:
	s_mov_b32 s34, 0
.LBB158_1290:
	s_delay_alu instid0(SALU_CYCLE_1)
	s_and_not1_b32 vcc_lo, exec_lo, s34
	s_cbranch_vccnz .LBB158_1296
; %bb.1291:
	s_cmp_gt_i32 s0, 0
	s_mov_b32 s0, 0
	s_cbranch_scc0 .LBB158_1293
; %bb.1292:
	s_wait_loadcnt 0x0
	global_load_i8 v3, v[0:1], off
	s_wait_loadcnt 0x0
	v_cvt_f16_i16_e32 v3, v3
	s_branch .LBB158_1294
.LBB158_1293:
	s_mov_b32 s0, -1
                                        ; implicit-def: $vgpr3
.LBB158_1294:
	s_delay_alu instid0(SALU_CYCLE_1)
	s_and_not1_b32 vcc_lo, exec_lo, s0
	s_cbranch_vccnz .LBB158_1296
; %bb.1295:
	global_load_u8 v0, v[0:1], off
	s_wait_loadcnt 0x0
	v_cvt_f16_u16_e32 v3, v0
.LBB158_1296:
	s_mov_b32 s35, -1
.LBB158_1297:
	s_delay_alu instid0(SALU_CYCLE_1)
	s_and_not1_b32 vcc_lo, exec_lo, s35
	s_cbranch_vccnz .LBB158_1305
; %bb.1298:
	s_wait_xcnt 0x0
	v_mul_lo_u32 v0, v8, s15
	s_and_b32 s0, 0xffff, s1
	s_delay_alu instid0(SALU_CYCLE_1) | instskip(NEXT) | instid1(VALU_DEP_1)
	s_cmp_lt_i32 s0, 11
	v_ashrrev_i32_e32 v1, 31, v0
	s_delay_alu instid0(VALU_DEP_1)
	v_add_nc_u64_e32 v[0:1], s[10:11], v[0:1]
	s_cbranch_scc1 .LBB158_1306
; %bb.1299:
	s_cmp_gt_i32 s0, 25
	s_cbranch_scc0 .LBB158_1307
; %bb.1300:
	s_cmp_gt_i32 s0, 28
	s_cbranch_scc0 .LBB158_1308
	;; [unrolled: 3-line block ×4, first 2 shown]
; %bb.1303:
	s_cmp_eq_u32 s0, 46
	s_mov_b32 s36, 0
	s_cbranch_scc0 .LBB158_1313
; %bb.1304:
	s_wait_loadcnt 0x0
	global_load_b32 v4, v[0:1], off
	s_mov_b32 s35, -1
	s_mov_b32 s34, 0
	s_wait_loadcnt 0x0
	v_lshlrev_b32_e32 v4, 16, v4
	s_delay_alu instid0(VALU_DEP_1)
	v_cvt_f16_f32_e32 v4, v4
	s_branch .LBB158_1315
.LBB158_1305:
	s_mov_b32 s36, 0
	s_mov_b32 s0, s26
	;; [unrolled: 1-line block ×3, first 2 shown]
	s_branch .LBB158_1554
.LBB158_1306:
	s_mov_b32 s36, -1
	s_mov_b32 s35, 0
	s_mov_b32 s34, s27
                                        ; implicit-def: $vgpr4
	s_branch .LBB158_1380
.LBB158_1307:
	s_mov_b32 s36, -1
	s_mov_b32 s35, 0
	s_mov_b32 s34, s27
                                        ; implicit-def: $vgpr4
	s_branch .LBB158_1344
.LBB158_1308:
	s_mov_b32 s36, -1
	s_mov_b32 s35, 0
	s_mov_b32 s34, s27
                                        ; implicit-def: $vgpr4
	s_branch .LBB158_1325
.LBB158_1309:
	s_mov_b32 s36, -1
	s_mov_b32 s35, 0
	s_mov_b32 s34, s27
                                        ; implicit-def: $vgpr4
	s_branch .LBB158_1320
.LBB158_1310:
	s_mov_b32 s36, -1
	s_mov_b32 s35, 0
	s_mov_b32 s34, s27
	s_branch .LBB158_1314
.LBB158_1311:
	s_and_not1_saveexec_b32 s34, s34
	s_cbranch_execz .LBB158_956
.LBB158_1312:
	v_add_f32_e64 v4, 0x42800000, |v3|
	s_and_not1_b32 s33, s33, exec_lo
	s_delay_alu instid0(VALU_DEP_1) | instskip(NEXT) | instid1(VALU_DEP_1)
	v_and_b32_e32 v4, 0xff, v4
	v_cmp_ne_u32_e32 vcc_lo, 0, v4
	s_and_b32 s35, vcc_lo, exec_lo
	s_delay_alu instid0(SALU_CYCLE_1)
	s_or_b32 s33, s33, s35
	s_or_b32 exec_lo, exec_lo, s34
	v_mov_b32_e32 v5, 0
	s_and_saveexec_b32 s34, s33
	s_cbranch_execnz .LBB158_957
	s_branch .LBB158_958
.LBB158_1313:
	s_mov_b32 s34, -1
	s_mov_b32 s35, 0
.LBB158_1314:
                                        ; implicit-def: $vgpr4
.LBB158_1315:
	s_and_b32 vcc_lo, exec_lo, s36
	s_cbranch_vccz .LBB158_1319
; %bb.1316:
	s_cmp_eq_u32 s0, 44
	s_cbranch_scc0 .LBB158_1318
; %bb.1317:
	s_wait_loadcnt 0x0
	global_load_u8 v4, v[0:1], off
	s_mov_b32 s34, 0
	s_mov_b32 s35, -1
	s_wait_loadcnt 0x0
	v_lshlrev_b32_e32 v5, 23, v4
	v_cmp_ne_u32_e32 vcc_lo, 0xff, v4
	s_delay_alu instid0(VALU_DEP_2) | instskip(NEXT) | instid1(VALU_DEP_1)
	v_cvt_f16_f32_e32 v5, v5
	v_cndmask_b32_e32 v5, 0x7e00, v5, vcc_lo
	v_cmp_ne_u32_e32 vcc_lo, 0, v4
	s_delay_alu instid0(VALU_DEP_2)
	v_cndmask_b32_e32 v4, 0, v5, vcc_lo
	s_branch .LBB158_1319
.LBB158_1318:
	s_mov_b32 s34, -1
                                        ; implicit-def: $vgpr4
.LBB158_1319:
	s_mov_b32 s36, 0
.LBB158_1320:
	s_delay_alu instid0(SALU_CYCLE_1)
	s_and_b32 vcc_lo, exec_lo, s36
	s_cbranch_vccz .LBB158_1324
; %bb.1321:
	s_cmp_eq_u32 s0, 29
	s_cbranch_scc0 .LBB158_1323
; %bb.1322:
	s_wait_loadcnt 0x0
	global_load_b64 v[4:5], v[0:1], off
	s_mov_b32 s35, -1
	s_mov_b32 s34, 0
	s_mov_b32 s36, 0
	s_wait_loadcnt 0x0
	v_clz_i32_u32_e32 v6, v5
	s_delay_alu instid0(VALU_DEP_1) | instskip(NEXT) | instid1(VALU_DEP_1)
	v_min_u32_e32 v6, 32, v6
	v_lshlrev_b64_e32 v[4:5], v6, v[4:5]
	s_delay_alu instid0(VALU_DEP_1) | instskip(NEXT) | instid1(VALU_DEP_1)
	v_min_u32_e32 v4, 1, v4
	v_dual_sub_nc_u32 v5, 32, v6 :: v_dual_bitop2_b32 v4, v5, v4 bitop3:0x54
	s_delay_alu instid0(VALU_DEP_1) | instskip(NEXT) | instid1(VALU_DEP_1)
	v_cvt_f32_u32_e32 v4, v4
	v_ldexp_f32 v4, v4, v5
	s_delay_alu instid0(VALU_DEP_1)
	v_cvt_f16_f32_e32 v4, v4
	s_branch .LBB158_1325
.LBB158_1323:
	s_mov_b32 s34, -1
                                        ; implicit-def: $vgpr4
.LBB158_1324:
	s_mov_b32 s36, 0
.LBB158_1325:
	s_delay_alu instid0(SALU_CYCLE_1)
	s_and_b32 vcc_lo, exec_lo, s36
	s_cbranch_vccz .LBB158_1343
; %bb.1326:
	s_cmp_lt_i32 s0, 27
	s_cbranch_scc1 .LBB158_1329
; %bb.1327:
	s_cmp_gt_i32 s0, 27
	s_cbranch_scc0 .LBB158_1330
; %bb.1328:
	s_wait_loadcnt 0x0
	global_load_b32 v4, v[0:1], off
	s_mov_b32 s35, 0
	s_wait_loadcnt 0x0
	v_cvt_f32_u32_e32 v4, v4
	s_delay_alu instid0(VALU_DEP_1)
	v_cvt_f16_f32_e32 v4, v4
	s_branch .LBB158_1331
.LBB158_1329:
	s_mov_b32 s35, -1
                                        ; implicit-def: $vgpr4
	s_branch .LBB158_1334
.LBB158_1330:
	s_mov_b32 s35, -1
                                        ; implicit-def: $vgpr4
.LBB158_1331:
	s_delay_alu instid0(SALU_CYCLE_1)
	s_and_not1_b32 vcc_lo, exec_lo, s35
	s_cbranch_vccnz .LBB158_1333
; %bb.1332:
	s_wait_loadcnt 0x0
	global_load_u16 v4, v[0:1], off
	s_wait_loadcnt 0x0
	v_cvt_f16_u16_e32 v4, v4
.LBB158_1333:
	s_mov_b32 s35, 0
.LBB158_1334:
	s_delay_alu instid0(SALU_CYCLE_1)
	s_and_not1_b32 vcc_lo, exec_lo, s35
	s_cbranch_vccnz .LBB158_1342
; %bb.1335:
	global_load_u8 v5, v[0:1], off
	s_mov_b32 s35, 0
	s_mov_b32 s36, exec_lo
	s_wait_loadcnt 0x0
	v_cmpx_lt_i16_e32 0x7f, v5
	s_xor_b32 s36, exec_lo, s36
	s_cbranch_execz .LBB158_1356
; %bb.1336:
	s_mov_b32 s35, -1
	s_mov_b32 s37, exec_lo
	v_cmpx_eq_u16_e32 0x80, v5
; %bb.1337:
	s_xor_b32 s35, exec_lo, -1
; %bb.1338:
	s_or_b32 exec_lo, exec_lo, s37
	s_delay_alu instid0(SALU_CYCLE_1)
	s_and_b32 s35, s35, exec_lo
	s_or_saveexec_b32 s36, s36
	v_mov_b32_e32 v4, 0x7e00
	s_xor_b32 exec_lo, exec_lo, s36
	s_cbranch_execnz .LBB158_1357
.LBB158_1339:
	s_or_b32 exec_lo, exec_lo, s36
	s_and_saveexec_b32 s36, s35
	s_cbranch_execz .LBB158_1341
.LBB158_1340:
	v_and_b32_e32 v4, 0xffff, v5
	s_delay_alu instid0(VALU_DEP_1) | instskip(SKIP_1) | instid1(VALU_DEP_2)
	v_and_b32_e32 v6, 7, v4
	v_bfe_u32 v10, v4, 3, 4
	v_clz_i32_u32_e32 v7, v6
	s_delay_alu instid0(VALU_DEP_2) | instskip(NEXT) | instid1(VALU_DEP_2)
	v_cmp_eq_u32_e32 vcc_lo, 0, v10
	v_min_u32_e32 v7, 32, v7
	s_delay_alu instid0(VALU_DEP_1) | instskip(NEXT) | instid1(VALU_DEP_1)
	v_subrev_nc_u32_e32 v9, 28, v7
	v_dual_lshlrev_b32 v4, v9, v4 :: v_dual_sub_nc_u32 v7, 29, v7
	s_delay_alu instid0(VALU_DEP_1) | instskip(NEXT) | instid1(VALU_DEP_2)
	v_dual_lshlrev_b32 v5, 24, v5 :: v_dual_bitop2_b32 v4, 7, v4 bitop3:0x40
	v_cndmask_b32_e32 v7, v10, v7, vcc_lo
	s_delay_alu instid0(VALU_DEP_2) | instskip(NEXT) | instid1(VALU_DEP_3)
	v_cndmask_b32_e32 v4, v6, v4, vcc_lo
	v_and_b32_e32 v5, 0x80000000, v5
	s_delay_alu instid0(VALU_DEP_3) | instskip(NEXT) | instid1(VALU_DEP_3)
	v_lshl_add_u32 v6, v7, 23, 0x3b800000
	v_lshlrev_b32_e32 v4, 20, v4
	s_delay_alu instid0(VALU_DEP_1) | instskip(NEXT) | instid1(VALU_DEP_1)
	v_or3_b32 v4, v5, v6, v4
	v_cvt_f16_f32_e32 v4, v4
.LBB158_1341:
	s_or_b32 exec_lo, exec_lo, s36
.LBB158_1342:
	s_mov_b32 s35, -1
.LBB158_1343:
	s_mov_b32 s36, 0
.LBB158_1344:
	s_delay_alu instid0(SALU_CYCLE_1)
	s_and_b32 vcc_lo, exec_lo, s36
	s_cbranch_vccz .LBB158_1379
; %bb.1345:
	s_cmp_gt_i32 s0, 22
	s_cbranch_scc0 .LBB158_1355
; %bb.1346:
	s_cmp_lt_i32 s0, 24
	s_cbranch_scc1 .LBB158_1358
; %bb.1347:
	s_cmp_gt_i32 s0, 24
	s_cbranch_scc0 .LBB158_1359
; %bb.1348:
	global_load_u8 v5, v[0:1], off
	s_mov_b32 s35, 0
	s_mov_b32 s36, exec_lo
	s_wait_loadcnt 0x0
	v_cmpx_lt_i16_e32 0x7f, v5
	s_xor_b32 s36, exec_lo, s36
	s_cbranch_execz .LBB158_1371
; %bb.1349:
	s_mov_b32 s35, -1
	s_mov_b32 s37, exec_lo
	v_cmpx_eq_u16_e32 0x80, v5
; %bb.1350:
	s_xor_b32 s35, exec_lo, -1
; %bb.1351:
	s_or_b32 exec_lo, exec_lo, s37
	s_delay_alu instid0(SALU_CYCLE_1)
	s_and_b32 s35, s35, exec_lo
	s_or_saveexec_b32 s36, s36
	v_mov_b32_e32 v4, 0x7e00
	s_xor_b32 exec_lo, exec_lo, s36
	s_cbranch_execnz .LBB158_1372
.LBB158_1352:
	s_or_b32 exec_lo, exec_lo, s36
	s_and_saveexec_b32 s36, s35
	s_cbranch_execz .LBB158_1354
.LBB158_1353:
	v_and_b32_e32 v4, 0xffff, v5
	s_delay_alu instid0(VALU_DEP_1) | instskip(SKIP_1) | instid1(VALU_DEP_2)
	v_and_b32_e32 v6, 3, v4
	v_bfe_u32 v10, v4, 2, 5
	v_clz_i32_u32_e32 v7, v6
	s_delay_alu instid0(VALU_DEP_2) | instskip(NEXT) | instid1(VALU_DEP_2)
	v_cmp_eq_u32_e32 vcc_lo, 0, v10
	v_min_u32_e32 v7, 32, v7
	s_delay_alu instid0(VALU_DEP_1) | instskip(NEXT) | instid1(VALU_DEP_1)
	v_subrev_nc_u32_e32 v9, 29, v7
	v_dual_lshlrev_b32 v4, v9, v4 :: v_dual_sub_nc_u32 v7, 30, v7
	s_delay_alu instid0(VALU_DEP_1) | instskip(NEXT) | instid1(VALU_DEP_2)
	v_dual_lshlrev_b32 v5, 24, v5 :: v_dual_bitop2_b32 v4, 3, v4 bitop3:0x40
	v_cndmask_b32_e32 v7, v10, v7, vcc_lo
	s_delay_alu instid0(VALU_DEP_2) | instskip(NEXT) | instid1(VALU_DEP_3)
	v_cndmask_b32_e32 v4, v6, v4, vcc_lo
	v_and_b32_e32 v5, 0x80000000, v5
	s_delay_alu instid0(VALU_DEP_3) | instskip(NEXT) | instid1(VALU_DEP_3)
	v_lshl_add_u32 v6, v7, 23, 0x37800000
	v_lshlrev_b32_e32 v4, 21, v4
	s_delay_alu instid0(VALU_DEP_1) | instskip(NEXT) | instid1(VALU_DEP_1)
	v_or3_b32 v4, v5, v6, v4
	v_cvt_f16_f32_e32 v4, v4
.LBB158_1354:
	s_or_b32 exec_lo, exec_lo, s36
	s_mov_b32 s35, 0
	s_branch .LBB158_1360
.LBB158_1355:
	s_mov_b32 s36, -1
                                        ; implicit-def: $vgpr4
	s_branch .LBB158_1366
.LBB158_1356:
	s_or_saveexec_b32 s36, s36
	v_mov_b32_e32 v4, 0x7e00
	s_xor_b32 exec_lo, exec_lo, s36
	s_cbranch_execz .LBB158_1339
.LBB158_1357:
	v_cmp_ne_u16_e32 vcc_lo, 0, v5
	v_mov_b32_e32 v4, v5
	s_and_not1_b32 s35, s35, exec_lo
	s_and_b32 s37, vcc_lo, exec_lo
	s_delay_alu instid0(SALU_CYCLE_1)
	s_or_b32 s35, s35, s37
	s_or_b32 exec_lo, exec_lo, s36
	s_and_saveexec_b32 s36, s35
	s_cbranch_execnz .LBB158_1340
	s_branch .LBB158_1341
.LBB158_1358:
	s_mov_b32 s35, -1
                                        ; implicit-def: $vgpr4
	s_branch .LBB158_1363
.LBB158_1359:
	s_mov_b32 s35, -1
                                        ; implicit-def: $vgpr4
.LBB158_1360:
	s_delay_alu instid0(SALU_CYCLE_1)
	s_and_b32 vcc_lo, exec_lo, s35
	s_cbranch_vccz .LBB158_1362
; %bb.1361:
	s_wait_loadcnt 0x0
	global_load_u8 v4, v[0:1], off
	s_wait_loadcnt 0x0
	v_lshlrev_b32_e32 v4, 24, v4
	s_delay_alu instid0(VALU_DEP_1) | instskip(NEXT) | instid1(VALU_DEP_1)
	v_and_b32_e32 v5, 0x7f000000, v4
	v_clz_i32_u32_e32 v6, v5
	v_add_nc_u32_e32 v9, 0x1000000, v5
	v_cmp_ne_u32_e32 vcc_lo, 0, v5
	s_delay_alu instid0(VALU_DEP_3) | instskip(NEXT) | instid1(VALU_DEP_1)
	v_min_u32_e32 v6, 32, v6
	v_sub_nc_u32_e64 v6, v6, 4 clamp
	s_delay_alu instid0(VALU_DEP_1) | instskip(NEXT) | instid1(VALU_DEP_1)
	v_dual_lshlrev_b32 v7, v6, v5 :: v_dual_lshlrev_b32 v6, 23, v6
	v_lshrrev_b32_e32 v7, 4, v7
	s_delay_alu instid0(VALU_DEP_1) | instskip(NEXT) | instid1(VALU_DEP_1)
	v_dual_sub_nc_u32 v6, v7, v6 :: v_dual_ashrrev_i32 v7, 8, v9
	v_add_nc_u32_e32 v6, 0x3c000000, v6
	s_delay_alu instid0(VALU_DEP_1) | instskip(NEXT) | instid1(VALU_DEP_1)
	v_and_or_b32 v6, 0x7f800000, v7, v6
	v_cndmask_b32_e32 v5, 0, v6, vcc_lo
	s_delay_alu instid0(VALU_DEP_1) | instskip(NEXT) | instid1(VALU_DEP_1)
	v_and_or_b32 v4, 0x80000000, v4, v5
	v_cvt_f16_f32_e32 v4, v4
.LBB158_1362:
	s_mov_b32 s35, 0
.LBB158_1363:
	s_delay_alu instid0(SALU_CYCLE_1)
	s_and_not1_b32 vcc_lo, exec_lo, s35
	s_cbranch_vccnz .LBB158_1365
; %bb.1364:
	s_wait_loadcnt 0x0
	global_load_u8 v4, v[0:1], off
	s_wait_loadcnt 0x0
	v_lshlrev_b32_e32 v5, 25, v4
	v_lshlrev_b16 v4, 8, v4
	s_delay_alu instid0(VALU_DEP_1) | instskip(SKIP_1) | instid1(VALU_DEP_2)
	v_and_or_b32 v7, 0x7f00, v4, 0.5
	v_bfe_i32 v4, v4, 0, 16
	v_dual_add_f32 v7, -0.5, v7 :: v_dual_lshrrev_b32 v6, 4, v5
	v_cmp_gt_u32_e32 vcc_lo, 0x8000000, v5
	s_delay_alu instid0(VALU_DEP_2) | instskip(NEXT) | instid1(VALU_DEP_1)
	v_or_b32_e32 v6, 0x70000000, v6
	v_mul_f32_e32 v6, 0x7800000, v6
	s_delay_alu instid0(VALU_DEP_1) | instskip(NEXT) | instid1(VALU_DEP_1)
	v_cndmask_b32_e32 v5, v6, v7, vcc_lo
	v_and_or_b32 v4, 0x80000000, v4, v5
	s_delay_alu instid0(VALU_DEP_1)
	v_cvt_f16_f32_e32 v4, v4
.LBB158_1365:
	s_mov_b32 s36, 0
	s_mov_b32 s35, -1
.LBB158_1366:
	s_and_not1_b32 vcc_lo, exec_lo, s36
	s_cbranch_vccnz .LBB158_1379
; %bb.1367:
	s_cmp_gt_i32 s0, 14
	s_cbranch_scc0 .LBB158_1370
; %bb.1368:
	s_cmp_eq_u32 s0, 15
	s_cbranch_scc0 .LBB158_1373
; %bb.1369:
	s_wait_loadcnt 0x0
	global_load_u16 v4, v[0:1], off
	s_mov_b32 s35, -1
	s_mov_b32 s34, 0
	s_wait_loadcnt 0x0
	v_lshlrev_b32_e32 v4, 16, v4
	s_delay_alu instid0(VALU_DEP_1)
	v_cvt_f16_f32_e32 v4, v4
	s_branch .LBB158_1374
.LBB158_1370:
	s_mov_b32 s36, -1
                                        ; implicit-def: $vgpr4
	s_branch .LBB158_1375
.LBB158_1371:
	s_or_saveexec_b32 s36, s36
	v_mov_b32_e32 v4, 0x7e00
	s_xor_b32 exec_lo, exec_lo, s36
	s_cbranch_execz .LBB158_1352
.LBB158_1372:
	v_cmp_ne_u16_e32 vcc_lo, 0, v5
	v_mov_b32_e32 v4, v5
	s_and_not1_b32 s35, s35, exec_lo
	s_and_b32 s37, vcc_lo, exec_lo
	s_delay_alu instid0(SALU_CYCLE_1)
	s_or_b32 s35, s35, s37
	s_or_b32 exec_lo, exec_lo, s36
	s_and_saveexec_b32 s36, s35
	s_cbranch_execnz .LBB158_1353
	s_branch .LBB158_1354
.LBB158_1373:
	s_mov_b32 s34, -1
                                        ; implicit-def: $vgpr4
.LBB158_1374:
	s_mov_b32 s36, 0
.LBB158_1375:
	s_delay_alu instid0(SALU_CYCLE_1)
	s_and_b32 vcc_lo, exec_lo, s36
	s_cbranch_vccz .LBB158_1379
; %bb.1376:
	s_cmp_eq_u32 s0, 11
	s_cbranch_scc0 .LBB158_1378
; %bb.1377:
	s_wait_loadcnt 0x0
	global_load_u8 v4, v[0:1], off
	s_mov_b32 s34, 0
	s_mov_b32 s35, -1
	s_wait_loadcnt 0x0
	v_cmp_ne_u16_e32 vcc_lo, 0, v4
	v_cndmask_b32_e64 v4, 0, 0x3c00, vcc_lo
	s_branch .LBB158_1379
.LBB158_1378:
	s_mov_b32 s34, -1
                                        ; implicit-def: $vgpr4
.LBB158_1379:
	s_mov_b32 s36, 0
.LBB158_1380:
	s_delay_alu instid0(SALU_CYCLE_1)
	s_and_b32 vcc_lo, exec_lo, s36
	s_cbranch_vccz .LBB158_1429
; %bb.1381:
	s_cmp_lt_i32 s0, 5
	s_cbranch_scc1 .LBB158_1386
; %bb.1382:
	s_cmp_lt_i32 s0, 8
	s_cbranch_scc1 .LBB158_1387
	;; [unrolled: 3-line block ×3, first 2 shown]
; %bb.1384:
	s_cmp_gt_i32 s0, 9
	s_cbranch_scc0 .LBB158_1389
; %bb.1385:
	s_wait_loadcnt 0x0
	global_load_b64 v[4:5], v[0:1], off
	s_mov_b32 s35, 0
	s_wait_loadcnt 0x0
	v_and_or_b32 v4, 0x1ff, v5, v4
	v_lshrrev_b32_e32 v6, 8, v5
	v_bfe_u32 v7, v5, 20, 11
	v_lshrrev_b32_e32 v5, 16, v5
	s_delay_alu instid0(VALU_DEP_4) | instskip(NEXT) | instid1(VALU_DEP_3)
	v_cmp_ne_u32_e32 vcc_lo, 0, v4
	v_sub_nc_u32_e32 v9, 0x3f1, v7
	v_add_nc_u32_e32 v7, 0xfffffc10, v7
	v_cndmask_b32_e64 v4, 0, 1, vcc_lo
	s_delay_alu instid0(VALU_DEP_1) | instskip(NEXT) | instid1(VALU_DEP_4)
	v_and_or_b32 v4, 0xffe, v6, v4
	v_med3_i32 v6, v9, 0, 13
	s_delay_alu instid0(VALU_DEP_2) | instskip(NEXT) | instid1(VALU_DEP_1)
	v_or_b32_e32 v9, 0x1000, v4
	v_lshrrev_b32_e32 v10, v6, v9
	s_delay_alu instid0(VALU_DEP_1) | instskip(NEXT) | instid1(VALU_DEP_1)
	v_lshlrev_b32_e32 v6, v6, v10
	v_cmp_ne_u32_e32 vcc_lo, v6, v9
	v_lshl_or_b32 v9, v7, 12, v4
	v_cndmask_b32_e64 v6, 0, 1, vcc_lo
	v_cmp_gt_i32_e32 vcc_lo, 1, v7
	s_delay_alu instid0(VALU_DEP_2) | instskip(NEXT) | instid1(VALU_DEP_1)
	v_or_b32_e32 v6, v10, v6
	v_cndmask_b32_e32 v6, v9, v6, vcc_lo
	s_delay_alu instid0(VALU_DEP_1) | instskip(NEXT) | instid1(VALU_DEP_1)
	v_dual_lshrrev_b32 v6, 2, v6 :: v_dual_bitop2_b32 v9, 7, v6 bitop3:0x40
	v_cmp_lt_i32_e32 vcc_lo, 5, v9
	v_cndmask_b32_e64 v10, 0, 1, vcc_lo
	v_cmp_eq_u32_e32 vcc_lo, 3, v9
	v_cndmask_b32_e64 v9, 0, 1, vcc_lo
	v_cmp_ne_u32_e32 vcc_lo, 0, v4
	s_delay_alu instid0(VALU_DEP_2) | instskip(SKIP_1) | instid1(VALU_DEP_2)
	v_or_b32_e32 v9, v9, v10
	v_mov_b32_e32 v10, 0x7e00
	v_add_nc_u32_e32 v6, v6, v9
	s_delay_alu instid0(VALU_DEP_2) | instskip(SKIP_1) | instid1(VALU_DEP_3)
	v_cndmask_b32_e32 v4, 0x7c00, v10, vcc_lo
	v_cmp_gt_i32_e32 vcc_lo, 31, v7
	v_cndmask_b32_e32 v6, 0x7c00, v6, vcc_lo
	v_cmp_eq_u32_e32 vcc_lo, 0x40f, v7
	s_delay_alu instid0(VALU_DEP_2) | instskip(NEXT) | instid1(VALU_DEP_1)
	v_cndmask_b32_e32 v4, v6, v4, vcc_lo
	v_and_or_b32 v4, 0x8000, v5, v4
	s_branch .LBB158_1390
.LBB158_1386:
	s_mov_b32 s35, -1
                                        ; implicit-def: $vgpr4
	s_branch .LBB158_1408
.LBB158_1387:
	s_mov_b32 s35, -1
                                        ; implicit-def: $vgpr4
	s_branch .LBB158_1396
.LBB158_1388:
	s_mov_b32 s35, -1
                                        ; implicit-def: $vgpr4
	s_branch .LBB158_1393
.LBB158_1389:
	s_mov_b32 s35, -1
                                        ; implicit-def: $vgpr4
.LBB158_1390:
	s_delay_alu instid0(SALU_CYCLE_1)
	s_and_not1_b32 vcc_lo, exec_lo, s35
	s_cbranch_vccnz .LBB158_1392
; %bb.1391:
	s_wait_loadcnt 0x0
	global_load_b32 v4, v[0:1], off
	s_wait_loadcnt 0x0
	v_cvt_f16_f32_e32 v4, v4
.LBB158_1392:
	s_mov_b32 s35, 0
.LBB158_1393:
	s_delay_alu instid0(SALU_CYCLE_1)
	s_and_not1_b32 vcc_lo, exec_lo, s35
	s_cbranch_vccnz .LBB158_1395
; %bb.1394:
	s_wait_loadcnt 0x0
	global_load_b32 v4, v[0:1], off
.LBB158_1395:
	s_mov_b32 s35, 0
.LBB158_1396:
	s_delay_alu instid0(SALU_CYCLE_1)
	s_and_not1_b32 vcc_lo, exec_lo, s35
	s_cbranch_vccnz .LBB158_1407
; %bb.1397:
	s_cmp_lt_i32 s0, 6
	s_cbranch_scc1 .LBB158_1400
; %bb.1398:
	s_cmp_gt_i32 s0, 6
	s_cbranch_scc0 .LBB158_1401
; %bb.1399:
	s_wait_loadcnt 0x0
	global_load_b64 v[4:5], v[0:1], off
	s_mov_b32 s35, 0
	s_wait_loadcnt 0x0
	v_and_or_b32 v4, 0x1ff, v5, v4
	v_lshrrev_b32_e32 v6, 8, v5
	v_bfe_u32 v7, v5, 20, 11
	v_lshrrev_b32_e32 v5, 16, v5
	s_delay_alu instid0(VALU_DEP_4) | instskip(NEXT) | instid1(VALU_DEP_3)
	v_cmp_ne_u32_e32 vcc_lo, 0, v4
	v_sub_nc_u32_e32 v9, 0x3f1, v7
	v_add_nc_u32_e32 v7, 0xfffffc10, v7
	v_cndmask_b32_e64 v4, 0, 1, vcc_lo
	s_delay_alu instid0(VALU_DEP_1) | instskip(NEXT) | instid1(VALU_DEP_4)
	v_and_or_b32 v4, 0xffe, v6, v4
	v_med3_i32 v6, v9, 0, 13
	s_delay_alu instid0(VALU_DEP_2) | instskip(NEXT) | instid1(VALU_DEP_1)
	v_or_b32_e32 v9, 0x1000, v4
	v_lshrrev_b32_e32 v10, v6, v9
	s_delay_alu instid0(VALU_DEP_1) | instskip(NEXT) | instid1(VALU_DEP_1)
	v_lshlrev_b32_e32 v6, v6, v10
	v_cmp_ne_u32_e32 vcc_lo, v6, v9
	v_lshl_or_b32 v9, v7, 12, v4
	v_cndmask_b32_e64 v6, 0, 1, vcc_lo
	v_cmp_gt_i32_e32 vcc_lo, 1, v7
	s_delay_alu instid0(VALU_DEP_2) | instskip(NEXT) | instid1(VALU_DEP_1)
	v_or_b32_e32 v6, v10, v6
	v_cndmask_b32_e32 v6, v9, v6, vcc_lo
	s_delay_alu instid0(VALU_DEP_1) | instskip(NEXT) | instid1(VALU_DEP_1)
	v_dual_lshrrev_b32 v6, 2, v6 :: v_dual_bitop2_b32 v9, 7, v6 bitop3:0x40
	v_cmp_lt_i32_e32 vcc_lo, 5, v9
	v_cndmask_b32_e64 v10, 0, 1, vcc_lo
	v_cmp_eq_u32_e32 vcc_lo, 3, v9
	v_cndmask_b32_e64 v9, 0, 1, vcc_lo
	v_cmp_ne_u32_e32 vcc_lo, 0, v4
	s_delay_alu instid0(VALU_DEP_2) | instskip(SKIP_1) | instid1(VALU_DEP_2)
	v_or_b32_e32 v9, v9, v10
	v_mov_b32_e32 v10, 0x7e00
	v_add_nc_u32_e32 v6, v6, v9
	s_delay_alu instid0(VALU_DEP_2) | instskip(SKIP_1) | instid1(VALU_DEP_3)
	v_cndmask_b32_e32 v4, 0x7c00, v10, vcc_lo
	v_cmp_gt_i32_e32 vcc_lo, 31, v7
	v_cndmask_b32_e32 v6, 0x7c00, v6, vcc_lo
	v_cmp_eq_u32_e32 vcc_lo, 0x40f, v7
	s_delay_alu instid0(VALU_DEP_2) | instskip(NEXT) | instid1(VALU_DEP_1)
	v_cndmask_b32_e32 v4, v6, v4, vcc_lo
	v_and_or_b32 v4, 0x8000, v5, v4
	s_branch .LBB158_1402
.LBB158_1400:
	s_mov_b32 s35, -1
                                        ; implicit-def: $vgpr4
	s_branch .LBB158_1405
.LBB158_1401:
	s_mov_b32 s35, -1
                                        ; implicit-def: $vgpr4
.LBB158_1402:
	s_delay_alu instid0(SALU_CYCLE_1)
	s_and_not1_b32 vcc_lo, exec_lo, s35
	s_cbranch_vccnz .LBB158_1404
; %bb.1403:
	s_wait_loadcnt 0x0
	global_load_b32 v4, v[0:1], off
	s_wait_loadcnt 0x0
	v_cvt_f16_f32_e32 v4, v4
.LBB158_1404:
	s_mov_b32 s35, 0
.LBB158_1405:
	s_delay_alu instid0(SALU_CYCLE_1)
	s_and_not1_b32 vcc_lo, exec_lo, s35
	s_cbranch_vccnz .LBB158_1407
; %bb.1406:
	s_wait_loadcnt 0x0
	global_load_u16 v4, v[0:1], off
.LBB158_1407:
	s_mov_b32 s35, 0
.LBB158_1408:
	s_delay_alu instid0(SALU_CYCLE_1)
	s_and_not1_b32 vcc_lo, exec_lo, s35
	s_cbranch_vccnz .LBB158_1428
; %bb.1409:
	s_cmp_lt_i32 s0, 2
	s_cbranch_scc1 .LBB158_1413
; %bb.1410:
	s_cmp_lt_i32 s0, 3
	s_cbranch_scc1 .LBB158_1414
; %bb.1411:
	s_cmp_gt_i32 s0, 3
	s_cbranch_scc0 .LBB158_1415
; %bb.1412:
	s_wait_loadcnt 0x0
	global_load_b64 v[4:5], v[0:1], off
	s_mov_b32 s35, 0
	s_wait_loadcnt 0x0
	v_xor_b32_e32 v6, v4, v5
	v_cls_i32_e32 v7, v5
	s_delay_alu instid0(VALU_DEP_2) | instskip(NEXT) | instid1(VALU_DEP_1)
	v_ashrrev_i32_e32 v6, 31, v6
	v_add_nc_u32_e32 v6, 32, v6
	s_delay_alu instid0(VALU_DEP_1) | instskip(NEXT) | instid1(VALU_DEP_1)
	v_add_min_u32_e64 v6, v7, -1, v6
	v_lshlrev_b64_e32 v[4:5], v6, v[4:5]
	s_delay_alu instid0(VALU_DEP_1) | instskip(NEXT) | instid1(VALU_DEP_1)
	v_min_u32_e32 v4, 1, v4
	v_dual_sub_nc_u32 v5, 32, v6 :: v_dual_bitop2_b32 v4, v5, v4 bitop3:0x54
	s_delay_alu instid0(VALU_DEP_1) | instskip(NEXT) | instid1(VALU_DEP_1)
	v_cvt_f32_i32_e32 v4, v4
	v_ldexp_f32 v4, v4, v5
	s_delay_alu instid0(VALU_DEP_1)
	v_cvt_f16_f32_e32 v4, v4
	s_branch .LBB158_1416
.LBB158_1413:
	s_mov_b32 s35, -1
                                        ; implicit-def: $vgpr4
	s_branch .LBB158_1422
.LBB158_1414:
	s_mov_b32 s35, -1
                                        ; implicit-def: $vgpr4
	s_branch .LBB158_1419
.LBB158_1415:
	s_mov_b32 s35, -1
                                        ; implicit-def: $vgpr4
.LBB158_1416:
	s_delay_alu instid0(SALU_CYCLE_1)
	s_and_not1_b32 vcc_lo, exec_lo, s35
	s_cbranch_vccnz .LBB158_1418
; %bb.1417:
	s_wait_loadcnt 0x0
	global_load_b32 v4, v[0:1], off
	s_wait_loadcnt 0x0
	v_cvt_f32_i32_e32 v4, v4
	s_delay_alu instid0(VALU_DEP_1)
	v_cvt_f16_f32_e32 v4, v4
.LBB158_1418:
	s_mov_b32 s35, 0
.LBB158_1419:
	s_delay_alu instid0(SALU_CYCLE_1)
	s_and_not1_b32 vcc_lo, exec_lo, s35
	s_cbranch_vccnz .LBB158_1421
; %bb.1420:
	s_wait_loadcnt 0x0
	global_load_u16 v4, v[0:1], off
	s_wait_loadcnt 0x0
	v_cvt_f16_i16_e32 v4, v4
.LBB158_1421:
	s_mov_b32 s35, 0
.LBB158_1422:
	s_delay_alu instid0(SALU_CYCLE_1)
	s_and_not1_b32 vcc_lo, exec_lo, s35
	s_cbranch_vccnz .LBB158_1428
; %bb.1423:
	s_cmp_gt_i32 s0, 0
	s_mov_b32 s0, 0
	s_cbranch_scc0 .LBB158_1425
; %bb.1424:
	s_wait_loadcnt 0x0
	global_load_i8 v4, v[0:1], off
	s_wait_loadcnt 0x0
	v_cvt_f16_i16_e32 v4, v4
	s_branch .LBB158_1426
.LBB158_1425:
	s_mov_b32 s0, -1
                                        ; implicit-def: $vgpr4
.LBB158_1426:
	s_delay_alu instid0(SALU_CYCLE_1)
	s_and_not1_b32 vcc_lo, exec_lo, s0
	s_cbranch_vccnz .LBB158_1428
; %bb.1427:
	global_load_u8 v0, v[0:1], off
	s_wait_loadcnt 0x0
	v_cvt_f16_u16_e32 v4, v0
.LBB158_1428:
	s_mov_b32 s35, -1
.LBB158_1429:
	s_delay_alu instid0(SALU_CYCLE_1)
	s_and_not1_b32 vcc_lo, exec_lo, s35
	s_cbranch_vccnz .LBB158_1437
; %bb.1430:
	s_wait_loadcnt 0x0
	v_cmp_gt_f16_e32 vcc_lo, v2, v3
	s_wait_xcnt 0x0
	v_mul_lo_u32 v0, v8, s12
	s_and_b32 s35, s2, 0xff
	s_delay_alu instid0(SALU_CYCLE_1) | instskip(SKIP_1) | instid1(VALU_DEP_1)
	s_cmp_lt_i32 s35, 11
	v_cndmask_b32_e32 v1, v3, v2, vcc_lo
	v_cmp_lt_f16_e32 vcc_lo, v1, v4
	v_cndmask_b32_e32 v1, v4, v1, vcc_lo
	v_cmp_u_f16_e32 vcc_lo, v4, v4
	s_delay_alu instid0(VALU_DEP_2) | instskip(SKIP_1) | instid1(VALU_DEP_2)
	v_cndmask_b32_e32 v4, v1, v4, vcc_lo
	v_cmp_u_f16_e32 vcc_lo, v3, v3
	v_dual_ashrrev_i32 v1, 31, v0 :: v_dual_cndmask_b32 v3, v4, v3, vcc_lo
	v_cmp_u_f16_e32 vcc_lo, v2, v2
	s_delay_alu instid0(VALU_DEP_2) | instskip(NEXT) | instid1(VALU_DEP_3)
	v_add_nc_u64_e32 v[0:1], s[4:5], v[0:1]
	v_cndmask_b32_e32 v2, v3, v2, vcc_lo
	s_cbranch_scc1 .LBB158_1438
; %bb.1431:
	s_and_b32 s36, 0xffff, s35
	s_delay_alu instid0(SALU_CYCLE_1)
	s_cmp_gt_i32 s36, 25
	s_cbranch_scc0 .LBB158_1439
; %bb.1432:
	s_cmp_gt_i32 s36, 28
	s_cbranch_scc0 .LBB158_1440
; %bb.1433:
	;; [unrolled: 3-line block ×4, first 2 shown]
	s_mov_b32 s38, 0
	s_mov_b32 s0, -1
	s_cmp_eq_u32 s36, 46
	s_mov_b32 s37, 0
	s_cbranch_scc0 .LBB158_1443
; %bb.1436:
	v_cvt_f32_f16_e32 v3, v2
	v_cmp_o_f16_e32 vcc_lo, v2, v2
	s_mov_b32 s37, -1
	s_mov_b32 s0, 0
	s_delay_alu instid0(VALU_DEP_2) | instskip(NEXT) | instid1(VALU_DEP_1)
	v_bfe_u32 v4, v3, 16, 1
	v_add3_u32 v3, v3, v4, 0x7fff
	s_delay_alu instid0(VALU_DEP_1) | instskip(NEXT) | instid1(VALU_DEP_1)
	v_lshrrev_b32_e32 v3, 16, v3
	v_cndmask_b32_e32 v3, 0x7fc0, v3, vcc_lo
	global_store_b32 v[0:1], v3, off
	s_branch .LBB158_1443
.LBB158_1437:
	s_mov_b32 s36, 0
	s_mov_b32 s0, s26
	s_branch .LBB158_1554
.LBB158_1438:
	s_mov_b32 s36, -1
	s_mov_b32 s37, 0
	s_mov_b32 s0, s26
	s_branch .LBB158_1512
.LBB158_1439:
	s_mov_b32 s38, -1
	s_mov_b32 s37, 0
	s_mov_b32 s0, s26
	s_branch .LBB158_1470
.LBB158_1440:
	s_mov_b32 s38, -1
	s_mov_b32 s37, 0
	s_mov_b32 s0, s26
	s_branch .LBB158_1453
.LBB158_1441:
	s_mov_b32 s38, -1
	s_mov_b32 s37, 0
	s_mov_b32 s0, s26
	s_branch .LBB158_1449
.LBB158_1442:
	s_mov_b32 s38, -1
	s_mov_b32 s37, 0
	s_mov_b32 s0, s26
.LBB158_1443:
	s_and_b32 vcc_lo, exec_lo, s38
	s_cbranch_vccz .LBB158_1448
; %bb.1444:
	s_cmp_eq_u32 s36, 44
	s_mov_b32 s0, -1
	s_cbranch_scc0 .LBB158_1448
; %bb.1445:
	s_wait_xcnt 0x0
	v_cvt_f32_f16_e32 v3, v2
	v_mov_b32_e32 v4, 0xff
	s_mov_b32 s37, exec_lo
	s_delay_alu instid0(VALU_DEP_2) | instskip(NEXT) | instid1(VALU_DEP_1)
	v_bfe_u32 v5, v3, 23, 8
	v_cmpx_ne_u32_e32 0xff, v5
	s_cbranch_execz .LBB158_1447
; %bb.1446:
	v_and_b32_e32 v4, 0x400000, v3
	v_and_or_b32 v5, 0x3fffff, v3, v5
	v_lshrrev_b32_e32 v3, 23, v3
	s_delay_alu instid0(VALU_DEP_3) | instskip(NEXT) | instid1(VALU_DEP_3)
	v_cmp_ne_u32_e32 vcc_lo, 0, v4
	v_cmp_ne_u32_e64 s0, 0, v5
	s_and_b32 s0, vcc_lo, s0
	s_delay_alu instid0(SALU_CYCLE_1) | instskip(NEXT) | instid1(VALU_DEP_1)
	v_cndmask_b32_e64 v4, 0, 1, s0
	v_add_nc_u32_e32 v4, v3, v4
.LBB158_1447:
	s_or_b32 exec_lo, exec_lo, s37
	s_mov_b32 s37, -1
	s_mov_b32 s0, 0
	global_store_b8 v[0:1], v4, off
.LBB158_1448:
	s_mov_b32 s38, 0
.LBB158_1449:
	s_delay_alu instid0(SALU_CYCLE_1)
	s_and_b32 vcc_lo, exec_lo, s38
	s_cbranch_vccz .LBB158_1452
; %bb.1450:
	s_cmp_eq_u32 s36, 29
	s_mov_b32 s0, -1
	s_cbranch_scc0 .LBB158_1452
; %bb.1451:
	s_wait_xcnt 0x0
	v_cvt_f32_f16_e32 v3, v2
	v_mov_b32_e32 v5, 0
	s_mov_b32 s37, -1
	s_mov_b32 s0, 0
	s_mov_b32 s38, 0
	v_cvt_u32_f32_e32 v4, v3
	global_store_b64 v[0:1], v[4:5], off
	s_branch .LBB158_1453
.LBB158_1452:
	s_mov_b32 s38, 0
.LBB158_1453:
	s_delay_alu instid0(SALU_CYCLE_1)
	s_and_b32 vcc_lo, exec_lo, s38
	s_cbranch_vccz .LBB158_1469
; %bb.1454:
	s_cmp_lt_i32 s36, 27
	s_mov_b32 s37, -1
	s_cbranch_scc1 .LBB158_1460
; %bb.1455:
	s_cmp_gt_i32 s36, 27
	s_cbranch_scc0 .LBB158_1457
; %bb.1456:
	s_wait_xcnt 0x0
	v_cvt_f32_f16_e32 v3, v2
	s_mov_b32 s37, 0
	s_delay_alu instid0(VALU_DEP_1)
	v_cvt_u32_f32_e32 v3, v3
	global_store_b32 v[0:1], v3, off
.LBB158_1457:
	s_and_not1_b32 vcc_lo, exec_lo, s37
	s_cbranch_vccnz .LBB158_1459
; %bb.1458:
	s_wait_xcnt 0x0
	v_cvt_u16_f16_e32 v3, v2
	global_store_b16 v[0:1], v3, off
.LBB158_1459:
	s_mov_b32 s37, 0
.LBB158_1460:
	s_delay_alu instid0(SALU_CYCLE_1)
	s_and_not1_b32 vcc_lo, exec_lo, s37
	s_cbranch_vccnz .LBB158_1468
; %bb.1461:
	s_wait_xcnt 0x0
	v_cvt_f32_f16_e32 v3, v2
	v_mov_b32_e32 v5, 0x80
	s_mov_b32 s37, exec_lo
	s_delay_alu instid0(VALU_DEP_2) | instskip(NEXT) | instid1(VALU_DEP_1)
	v_and_b32_e32 v4, 0x7fffffff, v3
	v_cmpx_gt_u32_e32 0x43800000, v4
	s_cbranch_execz .LBB158_1467
; %bb.1462:
	v_cmp_lt_u32_e32 vcc_lo, 0x3bffffff, v4
	s_mov_b32 s38, 0
                                        ; implicit-def: $vgpr4
	s_and_saveexec_b32 s39, vcc_lo
	s_delay_alu instid0(SALU_CYCLE_1)
	s_xor_b32 s39, exec_lo, s39
	s_cbranch_execz .LBB158_2724
; %bb.1463:
	v_bfe_u32 v4, v3, 20, 1
	s_mov_b32 s38, exec_lo
	s_delay_alu instid0(VALU_DEP_1) | instskip(NEXT) | instid1(VALU_DEP_1)
	v_add3_u32 v4, v3, v4, 0x487ffff
	v_lshrrev_b32_e32 v4, 20, v4
	s_and_not1_saveexec_b32 s39, s39
	s_cbranch_execnz .LBB158_2725
.LBB158_1464:
	s_or_b32 exec_lo, exec_lo, s39
	v_mov_b32_e32 v5, 0
	s_and_saveexec_b32 s39, s38
.LBB158_1465:
	v_lshrrev_b32_e32 v3, 24, v3
	s_delay_alu instid0(VALU_DEP_1)
	v_and_or_b32 v5, 0x80, v3, v4
.LBB158_1466:
	s_or_b32 exec_lo, exec_lo, s39
.LBB158_1467:
	s_delay_alu instid0(SALU_CYCLE_1)
	s_or_b32 exec_lo, exec_lo, s37
	global_store_b8 v[0:1], v5, off
.LBB158_1468:
	s_mov_b32 s37, -1
.LBB158_1469:
	s_mov_b32 s38, 0
.LBB158_1470:
	s_delay_alu instid0(SALU_CYCLE_1)
	s_and_b32 vcc_lo, exec_lo, s38
	s_cbranch_vccz .LBB158_1511
; %bb.1471:
	s_cmp_gt_i32 s36, 22
	s_mov_b32 s38, -1
	s_cbranch_scc0 .LBB158_1503
; %bb.1472:
	s_cmp_lt_i32 s36, 24
	s_mov_b32 s37, -1
	s_cbranch_scc1 .LBB158_1492
; %bb.1473:
	s_cmp_gt_i32 s36, 24
	s_cbranch_scc0 .LBB158_1481
; %bb.1474:
	s_wait_xcnt 0x0
	v_cvt_f32_f16_e32 v3, v2
	v_mov_b32_e32 v5, 0x80
	s_mov_b32 s37, exec_lo
	s_delay_alu instid0(VALU_DEP_2) | instskip(NEXT) | instid1(VALU_DEP_1)
	v_and_b32_e32 v4, 0x7fffffff, v3
	v_cmpx_gt_u32_e32 0x47800000, v4
	s_cbranch_execz .LBB158_1480
; %bb.1475:
	v_cmp_lt_u32_e32 vcc_lo, 0x37ffffff, v4
	s_mov_b32 s38, 0
                                        ; implicit-def: $vgpr4
	s_and_saveexec_b32 s39, vcc_lo
	s_delay_alu instid0(SALU_CYCLE_1)
	s_xor_b32 s39, exec_lo, s39
	s_cbranch_execz .LBB158_2857
; %bb.1476:
	v_bfe_u32 v4, v3, 21, 1
	s_mov_b32 s38, exec_lo
	s_delay_alu instid0(VALU_DEP_1) | instskip(NEXT) | instid1(VALU_DEP_1)
	v_add3_u32 v4, v3, v4, 0x88fffff
	v_lshrrev_b32_e32 v4, 21, v4
	s_and_not1_saveexec_b32 s39, s39
	s_cbranch_execnz .LBB158_2858
.LBB158_1477:
	s_or_b32 exec_lo, exec_lo, s39
	v_mov_b32_e32 v5, 0
	s_and_saveexec_b32 s39, s38
.LBB158_1478:
	v_lshrrev_b32_e32 v3, 24, v3
	s_delay_alu instid0(VALU_DEP_1)
	v_and_or_b32 v5, 0x80, v3, v4
.LBB158_1479:
	s_or_b32 exec_lo, exec_lo, s39
.LBB158_1480:
	s_delay_alu instid0(SALU_CYCLE_1)
	s_or_b32 exec_lo, exec_lo, s37
	s_mov_b32 s37, 0
	global_store_b8 v[0:1], v5, off
.LBB158_1481:
	s_and_b32 vcc_lo, exec_lo, s37
	s_cbranch_vccz .LBB158_1491
; %bb.1482:
	s_wait_xcnt 0x0
	v_cvt_f32_f16_e32 v3, v2
	s_mov_b32 s37, exec_lo
                                        ; implicit-def: $vgpr4
	s_delay_alu instid0(VALU_DEP_1) | instskip(NEXT) | instid1(VALU_DEP_1)
	v_and_b32_e32 v5, 0x7fffffff, v3
	v_cmpx_gt_u32_e32 0x43f00000, v5
	s_xor_b32 s37, exec_lo, s37
	s_cbranch_execz .LBB158_1488
; %bb.1483:
	s_mov_b32 s38, exec_lo
                                        ; implicit-def: $vgpr4
	v_cmpx_lt_u32_e32 0x3c7fffff, v5
	s_xor_b32 s38, exec_lo, s38
; %bb.1484:
	v_bfe_u32 v4, v3, 20, 1
	s_delay_alu instid0(VALU_DEP_1) | instskip(NEXT) | instid1(VALU_DEP_1)
	v_add3_u32 v4, v3, v4, 0x407ffff
	v_and_b32_e32 v5, 0xff00000, v4
	v_lshrrev_b32_e32 v4, 20, v4
	s_delay_alu instid0(VALU_DEP_2) | instskip(NEXT) | instid1(VALU_DEP_2)
	v_cmp_ne_u32_e32 vcc_lo, 0x7f00000, v5
	v_cndmask_b32_e32 v4, 0x7e, v4, vcc_lo
; %bb.1485:
	s_and_not1_saveexec_b32 s38, s38
; %bb.1486:
	v_add_f32_e64 v4, 0x46800000, |v3|
; %bb.1487:
	s_or_b32 exec_lo, exec_lo, s38
                                        ; implicit-def: $vgpr5
.LBB158_1488:
	s_and_not1_saveexec_b32 s37, s37
; %bb.1489:
	v_mov_b32_e32 v4, 0x7f
	v_cmp_lt_u32_e32 vcc_lo, 0x7f800000, v5
	s_delay_alu instid0(VALU_DEP_2)
	v_cndmask_b32_e32 v4, 0x7e, v4, vcc_lo
; %bb.1490:
	s_or_b32 exec_lo, exec_lo, s37
	v_lshrrev_b32_e32 v3, 24, v3
	s_delay_alu instid0(VALU_DEP_1)
	v_and_or_b32 v3, 0x80, v3, v4
	global_store_b8 v[0:1], v3, off
.LBB158_1491:
	s_mov_b32 s37, 0
.LBB158_1492:
	s_delay_alu instid0(SALU_CYCLE_1)
	s_and_not1_b32 vcc_lo, exec_lo, s37
	s_cbranch_vccnz .LBB158_1502
; %bb.1493:
	s_wait_xcnt 0x0
	v_cvt_f32_f16_e32 v3, v2
	s_mov_b32 s37, exec_lo
                                        ; implicit-def: $vgpr4
	s_delay_alu instid0(VALU_DEP_1) | instskip(NEXT) | instid1(VALU_DEP_1)
	v_and_b32_e32 v5, 0x7fffffff, v3
	v_cmpx_gt_u32_e32 0x47800000, v5
	s_xor_b32 s37, exec_lo, s37
	s_cbranch_execz .LBB158_1499
; %bb.1494:
	s_mov_b32 s38, exec_lo
                                        ; implicit-def: $vgpr4
	v_cmpx_lt_u32_e32 0x387fffff, v5
	s_xor_b32 s38, exec_lo, s38
; %bb.1495:
	v_bfe_u32 v4, v3, 21, 1
	s_delay_alu instid0(VALU_DEP_1) | instskip(NEXT) | instid1(VALU_DEP_1)
	v_add3_u32 v4, v3, v4, 0x80fffff
	v_lshrrev_b32_e32 v4, 21, v4
; %bb.1496:
	s_and_not1_saveexec_b32 s38, s38
; %bb.1497:
	v_add_f32_e64 v4, 0x43000000, |v3|
; %bb.1498:
	s_or_b32 exec_lo, exec_lo, s38
                                        ; implicit-def: $vgpr5
.LBB158_1499:
	s_and_not1_saveexec_b32 s37, s37
; %bb.1500:
	v_mov_b32_e32 v4, 0x7f
	v_cmp_lt_u32_e32 vcc_lo, 0x7f800000, v5
	s_delay_alu instid0(VALU_DEP_2)
	v_cndmask_b32_e32 v4, 0x7c, v4, vcc_lo
; %bb.1501:
	s_or_b32 exec_lo, exec_lo, s37
	v_lshrrev_b32_e32 v3, 24, v3
	s_delay_alu instid0(VALU_DEP_1)
	v_and_or_b32 v3, 0x80, v3, v4
	global_store_b8 v[0:1], v3, off
.LBB158_1502:
	s_mov_b32 s38, 0
	s_mov_b32 s37, -1
.LBB158_1503:
	s_and_not1_b32 vcc_lo, exec_lo, s38
	s_cbranch_vccnz .LBB158_1511
; %bb.1504:
	s_cmp_gt_i32 s36, 14
	s_mov_b32 s38, -1
	s_cbranch_scc0 .LBB158_1508
; %bb.1505:
	s_cmp_eq_u32 s36, 15
	s_mov_b32 s0, -1
	s_cbranch_scc0 .LBB158_1507
; %bb.1506:
	s_wait_xcnt 0x0
	v_cvt_f32_f16_e32 v3, v2
	v_cmp_o_f16_e32 vcc_lo, v2, v2
	s_mov_b32 s37, -1
	s_mov_b32 s0, 0
	s_delay_alu instid0(VALU_DEP_2) | instskip(NEXT) | instid1(VALU_DEP_1)
	v_bfe_u32 v4, v3, 16, 1
	v_add3_u32 v3, v3, v4, 0x7fff
	s_delay_alu instid0(VALU_DEP_1) | instskip(NEXT) | instid1(VALU_DEP_1)
	v_lshrrev_b32_e32 v3, 16, v3
	v_cndmask_b32_e32 v3, 0x7fc0, v3, vcc_lo
	global_store_b16 v[0:1], v3, off
.LBB158_1507:
	s_mov_b32 s38, 0
.LBB158_1508:
	s_delay_alu instid0(SALU_CYCLE_1)
	s_and_b32 vcc_lo, exec_lo, s38
	s_cbranch_vccz .LBB158_1511
; %bb.1509:
	s_cmp_eq_u32 s36, 11
	s_mov_b32 s0, -1
	s_cbranch_scc0 .LBB158_1511
; %bb.1510:
	s_wait_xcnt 0x0
	v_and_b32_e32 v3, 0x7fff, v2
	s_mov_b32 s0, 0
	s_mov_b32 s37, -1
	s_delay_alu instid0(VALU_DEP_1)
	v_cmp_ne_u16_e32 vcc_lo, 0, v3
	v_cndmask_b32_e64 v3, 0, 1, vcc_lo
	global_store_b8 v[0:1], v3, off
.LBB158_1511:
	s_mov_b32 s36, 0
.LBB158_1512:
	s_delay_alu instid0(SALU_CYCLE_1)
	s_and_b32 vcc_lo, exec_lo, s36
	s_cbranch_vccz .LBB158_1551
; %bb.1513:
	s_and_b32 s35, 0xffff, s35
	s_mov_b32 s36, -1
	s_cmp_lt_i32 s35, 5
	s_cbranch_scc1 .LBB158_1534
; %bb.1514:
	s_cmp_lt_i32 s35, 8
	s_cbranch_scc1 .LBB158_1524
; %bb.1515:
	;; [unrolled: 3-line block ×3, first 2 shown]
	s_cmp_gt_i32 s35, 9
	s_cbranch_scc0 .LBB158_1518
; %bb.1517:
	s_wait_xcnt 0x0
	v_cvt_f32_f16_e32 v3, v2
	v_mov_b32_e32 v6, 0
	s_mov_b32 s36, 0
	s_delay_alu instid0(VALU_DEP_2) | instskip(NEXT) | instid1(VALU_DEP_2)
	v_cvt_f64_f32_e32 v[4:5], v3
	v_mov_b32_e32 v7, v6
	global_store_b128 v[0:1], v[4:7], off
.LBB158_1518:
	s_and_not1_b32 vcc_lo, exec_lo, s36
	s_cbranch_vccnz .LBB158_1520
; %bb.1519:
	s_wait_xcnt 0x0
	v_cvt_f32_f16_e32 v4, v2
	v_mov_b32_e32 v5, 0
	global_store_b64 v[0:1], v[4:5], off
.LBB158_1520:
	s_mov_b32 s36, 0
.LBB158_1521:
	s_delay_alu instid0(SALU_CYCLE_1)
	s_and_not1_b32 vcc_lo, exec_lo, s36
	s_cbranch_vccnz .LBB158_1523
; %bb.1522:
	s_wait_xcnt 0x0
	v_and_b32_e32 v3, 0xffff, v2
	global_store_b32 v[0:1], v3, off
.LBB158_1523:
	s_mov_b32 s36, 0
.LBB158_1524:
	s_delay_alu instid0(SALU_CYCLE_1)
	s_and_not1_b32 vcc_lo, exec_lo, s36
	s_cbranch_vccnz .LBB158_1533
; %bb.1525:
	s_cmp_lt_i32 s35, 6
	s_mov_b32 s36, -1
	s_cbranch_scc1 .LBB158_1531
; %bb.1526:
	s_cmp_gt_i32 s35, 6
	s_cbranch_scc0 .LBB158_1528
; %bb.1527:
	s_wait_xcnt 0x0
	v_cvt_f32_f16_e32 v3, v2
	s_mov_b32 s36, 0
	s_delay_alu instid0(VALU_DEP_1)
	v_cvt_f64_f32_e32 v[4:5], v3
	global_store_b64 v[0:1], v[4:5], off
.LBB158_1528:
	s_and_not1_b32 vcc_lo, exec_lo, s36
	s_cbranch_vccnz .LBB158_1530
; %bb.1529:
	s_wait_xcnt 0x0
	v_cvt_f32_f16_e32 v3, v2
	global_store_b32 v[0:1], v3, off
.LBB158_1530:
	s_mov_b32 s36, 0
.LBB158_1531:
	s_delay_alu instid0(SALU_CYCLE_1)
	s_and_not1_b32 vcc_lo, exec_lo, s36
	s_cbranch_vccnz .LBB158_1533
; %bb.1532:
	global_store_b16 v[0:1], v2, off
.LBB158_1533:
	s_mov_b32 s36, 0
.LBB158_1534:
	s_delay_alu instid0(SALU_CYCLE_1)
	s_and_not1_b32 vcc_lo, exec_lo, s36
	s_cbranch_vccnz .LBB158_1550
; %bb.1535:
	s_cmp_lt_i32 s35, 2
	s_mov_b32 s36, -1
	s_cbranch_scc1 .LBB158_1545
; %bb.1536:
	s_cmp_lt_i32 s35, 3
	s_cbranch_scc1 .LBB158_1542
; %bb.1537:
	s_cmp_gt_i32 s35, 3
	s_cbranch_scc0 .LBB158_1539
; %bb.1538:
	s_wait_xcnt 0x0
	v_cvt_f32_f16_e32 v3, v2
	s_mov_b32 s36, 0
	s_delay_alu instid0(VALU_DEP_1) | instskip(NEXT) | instid1(VALU_DEP_1)
	v_cvt_i32_f32_e32 v4, v3
	v_ashrrev_i32_e32 v5, 31, v4
	global_store_b64 v[0:1], v[4:5], off
.LBB158_1539:
	s_and_not1_b32 vcc_lo, exec_lo, s36
	s_cbranch_vccnz .LBB158_1541
; %bb.1540:
	s_wait_xcnt 0x0
	v_cvt_f32_f16_e32 v3, v2
	s_delay_alu instid0(VALU_DEP_1)
	v_cvt_i32_f32_e32 v3, v3
	global_store_b32 v[0:1], v3, off
.LBB158_1541:
	s_mov_b32 s36, 0
.LBB158_1542:
	s_delay_alu instid0(SALU_CYCLE_1)
	s_and_not1_b32 vcc_lo, exec_lo, s36
	s_cbranch_vccnz .LBB158_1544
; %bb.1543:
	s_wait_xcnt 0x0
	v_cvt_i16_f16_e32 v3, v2
	global_store_b16 v[0:1], v3, off
.LBB158_1544:
	s_mov_b32 s36, 0
.LBB158_1545:
	s_delay_alu instid0(SALU_CYCLE_1)
	s_and_not1_b32 vcc_lo, exec_lo, s36
	s_cbranch_vccnz .LBB158_1550
; %bb.1546:
	s_cmp_gt_i32 s35, 0
	s_mov_b32 s35, -1
	s_cbranch_scc0 .LBB158_1548
; %bb.1547:
	s_wait_xcnt 0x0
	v_cvt_i16_f16_e32 v3, v2
	s_mov_b32 s35, 0
	global_store_b8 v[0:1], v3, off
.LBB158_1548:
	s_and_not1_b32 vcc_lo, exec_lo, s35
	s_cbranch_vccnz .LBB158_1550
; %bb.1549:
	s_wait_xcnt 0x0
	v_cvt_f32_f16_e32 v2, v2
	s_delay_alu instid0(VALU_DEP_1)
	v_cvt_i32_f32_e32 v2, v2
	global_store_b8 v[0:1], v2, off
.LBB158_1550:
	s_mov_b32 s37, -1
.LBB158_1551:
	s_delay_alu instid0(SALU_CYCLE_1)
	s_and_not1_b32 vcc_lo, exec_lo, s37
	s_cbranch_vccnz .LBB158_1553
; %bb.1552:
	v_add_nc_u32_e32 v8, 0x80, v8
	s_mov_b32 s36, -1
	s_branch .LBB158_1555
.LBB158_1553:
	s_mov_b32 s36, 0
.LBB158_1554:
                                        ; implicit-def: $vgpr8
.LBB158_1555:
	s_and_not1_b32 s35, s26, exec_lo
	s_and_b32 s0, s0, exec_lo
	s_and_not1_b32 s37, s27, exec_lo
	s_and_b32 s34, s34, exec_lo
	s_or_b32 s35, s35, s0
	s_or_b32 s34, s37, s34
	s_and_not1_b32 s0, s28, exec_lo
	s_and_b32 s33, s33, exec_lo
	s_and_not1_b32 s37, s25, exec_lo
	s_and_b32 s31, s31, exec_lo
	s_or_b32 s33, s0, s33
	s_or_b32 s31, s37, s31
	s_or_not1_b32 s39, s36, exec_lo
.LBB158_1556:
	s_wait_xcnt 0x0
	s_or_b32 exec_lo, exec_lo, s30
	s_mov_b32 s36, 0
	s_mov_b32 s37, 0
	;; [unrolled: 1-line block ×3, first 2 shown]
                                        ; implicit-def: $sgpr0
                                        ; implicit-def: $vgpr0_vgpr1
                                        ; implicit-def: $vgpr2
	s_and_saveexec_b32 s30, s39
	s_cbranch_execz .LBB158_1637
; %bb.1557:
	v_cmp_gt_i32_e32 vcc_lo, s20, v8
	s_mov_b32 s40, s31
	s_mov_b32 s39, 0
	;; [unrolled: 1-line block ×3, first 2 shown]
                                        ; implicit-def: $sgpr0
                                        ; implicit-def: $vgpr0_vgpr1
                                        ; implicit-def: $vgpr2
	s_and_saveexec_b32 s20, vcc_lo
	s_cbranch_execz .LBB158_1636
; %bb.1558:
	v_mul_lo_u32 v0, v8, s13
	s_and_b32 s0, s17, 0xff
	s_delay_alu instid0(SALU_CYCLE_1) | instskip(NEXT) | instid1(VALU_DEP_1)
	s_cmp_lt_i32 s0, 11
	v_ashrrev_i32_e32 v1, 31, v0
	s_delay_alu instid0(VALU_DEP_1)
	v_add_nc_u64_e32 v[0:1], s[6:7], v[0:1]
	s_cbranch_scc1 .LBB158_1565
; %bb.1559:
	s_and_b32 s36, 0xffff, s0
	s_delay_alu instid0(SALU_CYCLE_1)
	s_cmp_gt_i32 s36, 25
	s_cbranch_scc0 .LBB158_1566
; %bb.1560:
	s_cmp_gt_i32 s36, 28
	s_cbranch_scc0 .LBB158_1567
; %bb.1561:
	s_cmp_gt_i32 s36, 43
	s_cbranch_scc0 .LBB158_1568
; %bb.1562:
	s_cmp_gt_i32 s36, 45
	s_cbranch_scc0 .LBB158_1569
; %bb.1563:
	s_cmp_eq_u32 s36, 46
	s_mov_b32 s40, 0
	s_cbranch_scc0 .LBB158_1570
; %bb.1564:
	s_wait_loadcnt 0x0
	global_load_b32 v2, v[0:1], off
	s_mov_b32 s39, -1
	s_wait_loadcnt 0x0
	v_lshlrev_b32_e32 v2, 16, v2
	s_delay_alu instid0(VALU_DEP_1)
	v_cvt_f16_f32_e32 v2, v2
	s_branch .LBB158_1572
.LBB158_1565:
	s_mov_b32 s36, -1
	s_mov_b32 s37, s31
                                        ; implicit-def: $vgpr2
	s_branch .LBB158_1635
.LBB158_1566:
	s_mov_b32 s40, -1
	s_mov_b32 s37, s31
                                        ; implicit-def: $vgpr2
	s_branch .LBB158_1601
.LBB158_1567:
	s_mov_b32 s40, -1
	s_mov_b32 s37, s31
                                        ; implicit-def: $vgpr2
	s_branch .LBB158_1582
.LBB158_1568:
	s_mov_b32 s40, -1
	s_mov_b32 s37, s31
                                        ; implicit-def: $vgpr2
	s_branch .LBB158_1577
.LBB158_1569:
	s_mov_b32 s40, -1
	s_mov_b32 s37, s31
	s_branch .LBB158_1571
.LBB158_1570:
	s_mov_b32 s37, -1
.LBB158_1571:
                                        ; implicit-def: $vgpr2
.LBB158_1572:
	s_and_b32 vcc_lo, exec_lo, s40
	s_cbranch_vccz .LBB158_1576
; %bb.1573:
	s_cmp_eq_u32 s36, 44
	s_cbranch_scc0 .LBB158_1575
; %bb.1574:
	s_wait_loadcnt 0x0
	global_load_u8 v2, v[0:1], off
	s_mov_b32 s37, 0
	s_mov_b32 s39, -1
	s_wait_loadcnt 0x0
	v_lshlrev_b32_e32 v3, 23, v2
	v_cmp_ne_u32_e32 vcc_lo, 0xff, v2
	s_delay_alu instid0(VALU_DEP_2) | instskip(NEXT) | instid1(VALU_DEP_1)
	v_cvt_f16_f32_e32 v3, v3
	v_cndmask_b32_e32 v3, 0x7e00, v3, vcc_lo
	v_cmp_ne_u32_e32 vcc_lo, 0, v2
	s_delay_alu instid0(VALU_DEP_2)
	v_cndmask_b32_e32 v2, 0, v3, vcc_lo
	s_branch .LBB158_1576
.LBB158_1575:
	s_mov_b32 s37, -1
                                        ; implicit-def: $vgpr2
.LBB158_1576:
	s_mov_b32 s40, 0
.LBB158_1577:
	s_delay_alu instid0(SALU_CYCLE_1)
	s_and_b32 vcc_lo, exec_lo, s40
	s_cbranch_vccz .LBB158_1581
; %bb.1578:
	s_cmp_eq_u32 s36, 29
	s_cbranch_scc0 .LBB158_1580
; %bb.1579:
	s_wait_loadcnt 0x0
	global_load_b64 v[2:3], v[0:1], off
	s_mov_b32 s37, 0
	s_mov_b32 s39, -1
	s_mov_b32 s40, 0
	s_wait_loadcnt 0x0
	v_clz_i32_u32_e32 v4, v3
	s_delay_alu instid0(VALU_DEP_1) | instskip(NEXT) | instid1(VALU_DEP_1)
	v_min_u32_e32 v4, 32, v4
	v_lshlrev_b64_e32 v[2:3], v4, v[2:3]
	s_delay_alu instid0(VALU_DEP_1) | instskip(NEXT) | instid1(VALU_DEP_1)
	v_min_u32_e32 v2, 1, v2
	v_dual_sub_nc_u32 v3, 32, v4 :: v_dual_bitop2_b32 v2, v3, v2 bitop3:0x54
	s_delay_alu instid0(VALU_DEP_1) | instskip(NEXT) | instid1(VALU_DEP_1)
	v_cvt_f32_u32_e32 v2, v2
	v_ldexp_f32 v2, v2, v3
	s_delay_alu instid0(VALU_DEP_1)
	v_cvt_f16_f32_e32 v2, v2
	s_branch .LBB158_1582
.LBB158_1580:
	s_mov_b32 s37, -1
                                        ; implicit-def: $vgpr2
.LBB158_1581:
	s_mov_b32 s40, 0
.LBB158_1582:
	s_delay_alu instid0(SALU_CYCLE_1)
	s_and_b32 vcc_lo, exec_lo, s40
	s_cbranch_vccz .LBB158_1600
; %bb.1583:
	s_cmp_lt_i32 s36, 27
	s_cbranch_scc1 .LBB158_1586
; %bb.1584:
	s_cmp_gt_i32 s36, 27
	s_cbranch_scc0 .LBB158_1587
; %bb.1585:
	s_wait_loadcnt 0x0
	global_load_b32 v2, v[0:1], off
	s_mov_b32 s39, 0
	s_wait_loadcnt 0x0
	v_cvt_f32_u32_e32 v2, v2
	s_delay_alu instid0(VALU_DEP_1)
	v_cvt_f16_f32_e32 v2, v2
	s_branch .LBB158_1588
.LBB158_1586:
	s_mov_b32 s39, -1
                                        ; implicit-def: $vgpr2
	s_branch .LBB158_1591
.LBB158_1587:
	s_mov_b32 s39, -1
                                        ; implicit-def: $vgpr2
.LBB158_1588:
	s_delay_alu instid0(SALU_CYCLE_1)
	s_and_not1_b32 vcc_lo, exec_lo, s39
	s_cbranch_vccnz .LBB158_1590
; %bb.1589:
	s_wait_loadcnt 0x0
	global_load_u16 v2, v[0:1], off
	s_wait_loadcnt 0x0
	v_cvt_f16_u16_e32 v2, v2
.LBB158_1590:
	s_mov_b32 s39, 0
.LBB158_1591:
	s_delay_alu instid0(SALU_CYCLE_1)
	s_and_not1_b32 vcc_lo, exec_lo, s39
	s_cbranch_vccnz .LBB158_1599
; %bb.1592:
	s_wait_loadcnt 0x0
	global_load_u8 v3, v[0:1], off
	s_mov_b32 s39, 0
	s_mov_b32 s40, exec_lo
	s_wait_loadcnt 0x0
	v_cmpx_lt_i16_e32 0x7f, v3
	s_xor_b32 s40, exec_lo, s40
	s_cbranch_execz .LBB158_1613
; %bb.1593:
	s_mov_b32 s39, -1
	s_mov_b32 s41, exec_lo
	v_cmpx_eq_u16_e32 0x80, v3
; %bb.1594:
	s_xor_b32 s39, exec_lo, -1
; %bb.1595:
	s_or_b32 exec_lo, exec_lo, s41
	s_delay_alu instid0(SALU_CYCLE_1)
	s_and_b32 s39, s39, exec_lo
	s_or_saveexec_b32 s40, s40
	v_mov_b32_e32 v2, 0x7e00
	s_xor_b32 exec_lo, exec_lo, s40
	s_cbranch_execnz .LBB158_1614
.LBB158_1596:
	s_or_b32 exec_lo, exec_lo, s40
	s_and_saveexec_b32 s40, s39
	s_cbranch_execz .LBB158_1598
.LBB158_1597:
	v_and_b32_e32 v2, 0xffff, v3
	s_delay_alu instid0(VALU_DEP_1) | instskip(SKIP_1) | instid1(VALU_DEP_2)
	v_and_b32_e32 v4, 7, v2
	v_bfe_u32 v7, v2, 3, 4
	v_clz_i32_u32_e32 v5, v4
	s_delay_alu instid0(VALU_DEP_2) | instskip(NEXT) | instid1(VALU_DEP_2)
	v_cmp_eq_u32_e32 vcc_lo, 0, v7
	v_min_u32_e32 v5, 32, v5
	s_delay_alu instid0(VALU_DEP_1) | instskip(NEXT) | instid1(VALU_DEP_1)
	v_subrev_nc_u32_e32 v6, 28, v5
	v_dual_lshlrev_b32 v2, v6, v2 :: v_dual_sub_nc_u32 v5, 29, v5
	s_delay_alu instid0(VALU_DEP_1) | instskip(NEXT) | instid1(VALU_DEP_1)
	v_dual_lshlrev_b32 v3, 24, v3 :: v_dual_bitop2_b32 v2, 7, v2 bitop3:0x40
	v_dual_cndmask_b32 v5, v7, v5 :: v_dual_cndmask_b32 v2, v4, v2
	s_delay_alu instid0(VALU_DEP_2) | instskip(NEXT) | instid1(VALU_DEP_2)
	v_and_b32_e32 v3, 0x80000000, v3
	v_lshl_add_u32 v4, v5, 23, 0x3b800000
	s_delay_alu instid0(VALU_DEP_3) | instskip(NEXT) | instid1(VALU_DEP_1)
	v_lshlrev_b32_e32 v2, 20, v2
	v_or3_b32 v2, v3, v4, v2
	s_delay_alu instid0(VALU_DEP_1)
	v_cvt_f16_f32_e32 v2, v2
.LBB158_1598:
	s_or_b32 exec_lo, exec_lo, s40
.LBB158_1599:
	s_mov_b32 s39, -1
.LBB158_1600:
	s_mov_b32 s40, 0
.LBB158_1601:
	s_delay_alu instid0(SALU_CYCLE_1)
	s_and_b32 vcc_lo, exec_lo, s40
	s_cbranch_vccz .LBB158_1634
; %bb.1602:
	s_cmp_gt_i32 s36, 22
	s_cbranch_scc0 .LBB158_1612
; %bb.1603:
	s_cmp_lt_i32 s36, 24
	s_cbranch_scc1 .LBB158_1615
; %bb.1604:
	s_cmp_gt_i32 s36, 24
	s_cbranch_scc0 .LBB158_1616
; %bb.1605:
	s_wait_loadcnt 0x0
	global_load_u8 v3, v[0:1], off
	s_mov_b32 s39, exec_lo
	s_wait_loadcnt 0x0
	v_cmpx_lt_i16_e32 0x7f, v3
	s_xor_b32 s39, exec_lo, s39
	s_cbranch_execz .LBB158_1628
; %bb.1606:
	s_mov_b32 s38, -1
	s_mov_b32 s40, exec_lo
	v_cmpx_eq_u16_e32 0x80, v3
; %bb.1607:
	s_xor_b32 s38, exec_lo, -1
; %bb.1608:
	s_or_b32 exec_lo, exec_lo, s40
	s_delay_alu instid0(SALU_CYCLE_1)
	s_and_b32 s38, s38, exec_lo
	s_or_saveexec_b32 s39, s39
	v_mov_b32_e32 v2, 0x7e00
	s_xor_b32 exec_lo, exec_lo, s39
	s_cbranch_execnz .LBB158_1629
.LBB158_1609:
	s_or_b32 exec_lo, exec_lo, s39
	s_and_saveexec_b32 s39, s38
	s_cbranch_execz .LBB158_1611
.LBB158_1610:
	v_and_b32_e32 v2, 0xffff, v3
	s_delay_alu instid0(VALU_DEP_1) | instskip(SKIP_1) | instid1(VALU_DEP_2)
	v_and_b32_e32 v4, 3, v2
	v_bfe_u32 v7, v2, 2, 5
	v_clz_i32_u32_e32 v5, v4
	s_delay_alu instid0(VALU_DEP_2) | instskip(NEXT) | instid1(VALU_DEP_2)
	v_cmp_eq_u32_e32 vcc_lo, 0, v7
	v_min_u32_e32 v5, 32, v5
	s_delay_alu instid0(VALU_DEP_1) | instskip(NEXT) | instid1(VALU_DEP_1)
	v_subrev_nc_u32_e32 v6, 29, v5
	v_dual_lshlrev_b32 v2, v6, v2 :: v_dual_sub_nc_u32 v5, 30, v5
	s_delay_alu instid0(VALU_DEP_1) | instskip(NEXT) | instid1(VALU_DEP_1)
	v_dual_lshlrev_b32 v3, 24, v3 :: v_dual_bitop2_b32 v2, 3, v2 bitop3:0x40
	v_dual_cndmask_b32 v5, v7, v5 :: v_dual_cndmask_b32 v2, v4, v2
	s_delay_alu instid0(VALU_DEP_2) | instskip(NEXT) | instid1(VALU_DEP_2)
	v_and_b32_e32 v3, 0x80000000, v3
	v_lshl_add_u32 v4, v5, 23, 0x37800000
	s_delay_alu instid0(VALU_DEP_3) | instskip(NEXT) | instid1(VALU_DEP_1)
	v_lshlrev_b32_e32 v2, 21, v2
	v_or3_b32 v2, v3, v4, v2
	s_delay_alu instid0(VALU_DEP_1)
	v_cvt_f16_f32_e32 v2, v2
.LBB158_1611:
	s_or_b32 exec_lo, exec_lo, s39
	s_mov_b32 s38, 0
	s_branch .LBB158_1617
.LBB158_1612:
	s_mov_b32 s38, -1
                                        ; implicit-def: $vgpr2
	s_branch .LBB158_1623
.LBB158_1613:
	s_or_saveexec_b32 s40, s40
	v_mov_b32_e32 v2, 0x7e00
	s_xor_b32 exec_lo, exec_lo, s40
	s_cbranch_execz .LBB158_1596
.LBB158_1614:
	v_cmp_ne_u16_e32 vcc_lo, 0, v3
	v_mov_b32_e32 v2, v3
	s_and_not1_b32 s39, s39, exec_lo
	s_and_b32 s41, vcc_lo, exec_lo
	s_delay_alu instid0(SALU_CYCLE_1)
	s_or_b32 s39, s39, s41
	s_or_b32 exec_lo, exec_lo, s40
	s_and_saveexec_b32 s40, s39
	s_cbranch_execnz .LBB158_1597
	s_branch .LBB158_1598
.LBB158_1615:
	s_mov_b32 s38, -1
                                        ; implicit-def: $vgpr2
	s_branch .LBB158_1620
.LBB158_1616:
	s_mov_b32 s38, -1
                                        ; implicit-def: $vgpr2
.LBB158_1617:
	s_delay_alu instid0(SALU_CYCLE_1)
	s_and_b32 vcc_lo, exec_lo, s38
	s_cbranch_vccz .LBB158_1619
; %bb.1618:
	s_wait_loadcnt 0x0
	global_load_u8 v2, v[0:1], off
	s_wait_loadcnt 0x0
	v_lshlrev_b32_e32 v2, 24, v2
	s_delay_alu instid0(VALU_DEP_1) | instskip(NEXT) | instid1(VALU_DEP_1)
	v_and_b32_e32 v3, 0x7f000000, v2
	v_clz_i32_u32_e32 v4, v3
	v_cmp_ne_u32_e32 vcc_lo, 0, v3
	v_add_nc_u32_e32 v6, 0x1000000, v3
	s_delay_alu instid0(VALU_DEP_3) | instskip(NEXT) | instid1(VALU_DEP_1)
	v_min_u32_e32 v4, 32, v4
	v_sub_nc_u32_e64 v4, v4, 4 clamp
	s_delay_alu instid0(VALU_DEP_1) | instskip(NEXT) | instid1(VALU_DEP_1)
	v_dual_lshlrev_b32 v5, v4, v3 :: v_dual_lshlrev_b32 v4, 23, v4
	v_lshrrev_b32_e32 v5, 4, v5
	s_delay_alu instid0(VALU_DEP_1) | instskip(NEXT) | instid1(VALU_DEP_1)
	v_dual_sub_nc_u32 v4, v5, v4 :: v_dual_ashrrev_i32 v5, 8, v6
	v_add_nc_u32_e32 v4, 0x3c000000, v4
	s_delay_alu instid0(VALU_DEP_1) | instskip(NEXT) | instid1(VALU_DEP_1)
	v_and_or_b32 v4, 0x7f800000, v5, v4
	v_cndmask_b32_e32 v3, 0, v4, vcc_lo
	s_delay_alu instid0(VALU_DEP_1) | instskip(NEXT) | instid1(VALU_DEP_1)
	v_and_or_b32 v2, 0x80000000, v2, v3
	v_cvt_f16_f32_e32 v2, v2
.LBB158_1619:
	s_mov_b32 s38, 0
.LBB158_1620:
	s_delay_alu instid0(SALU_CYCLE_1)
	s_and_not1_b32 vcc_lo, exec_lo, s38
	s_cbranch_vccnz .LBB158_1622
; %bb.1621:
	s_wait_loadcnt 0x0
	global_load_u8 v2, v[0:1], off
	s_wait_loadcnt 0x0
	v_lshlrev_b32_e32 v3, 25, v2
	v_lshlrev_b16 v2, 8, v2
	s_delay_alu instid0(VALU_DEP_1) | instskip(SKIP_1) | instid1(VALU_DEP_2)
	v_and_or_b32 v5, 0x7f00, v2, 0.5
	v_bfe_i32 v2, v2, 0, 16
	v_dual_add_f32 v5, -0.5, v5 :: v_dual_lshrrev_b32 v4, 4, v3
	v_cmp_gt_u32_e32 vcc_lo, 0x8000000, v3
	s_delay_alu instid0(VALU_DEP_2) | instskip(NEXT) | instid1(VALU_DEP_1)
	v_or_b32_e32 v4, 0x70000000, v4
	v_mul_f32_e32 v4, 0x7800000, v4
	s_delay_alu instid0(VALU_DEP_1) | instskip(NEXT) | instid1(VALU_DEP_1)
	v_cndmask_b32_e32 v3, v4, v5, vcc_lo
	v_and_or_b32 v2, 0x80000000, v2, v3
	s_delay_alu instid0(VALU_DEP_1)
	v_cvt_f16_f32_e32 v2, v2
.LBB158_1622:
	s_mov_b32 s38, 0
	s_mov_b32 s39, -1
.LBB158_1623:
	s_and_not1_b32 vcc_lo, exec_lo, s38
	s_mov_b32 s38, 0
	s_cbranch_vccnz .LBB158_1634
; %bb.1624:
	s_cmp_gt_i32 s36, 14
	s_cbranch_scc0 .LBB158_1627
; %bb.1625:
	s_cmp_eq_u32 s36, 15
	s_cbranch_scc0 .LBB158_1630
; %bb.1626:
	s_wait_loadcnt 0x0
	global_load_u16 v2, v[0:1], off
	s_mov_b32 s37, 0
	s_mov_b32 s39, -1
	s_wait_loadcnt 0x0
	v_lshlrev_b32_e32 v2, 16, v2
	s_delay_alu instid0(VALU_DEP_1)
	v_cvt_f16_f32_e32 v2, v2
	s_branch .LBB158_1632
.LBB158_1627:
	s_mov_b32 s38, -1
	s_branch .LBB158_1631
.LBB158_1628:
	s_or_saveexec_b32 s39, s39
	v_mov_b32_e32 v2, 0x7e00
	s_xor_b32 exec_lo, exec_lo, s39
	s_cbranch_execz .LBB158_1609
.LBB158_1629:
	v_cmp_ne_u16_e32 vcc_lo, 0, v3
	v_mov_b32_e32 v2, v3
	s_and_not1_b32 s38, s38, exec_lo
	s_and_b32 s40, vcc_lo, exec_lo
	s_delay_alu instid0(SALU_CYCLE_1)
	s_or_b32 s38, s38, s40
	s_or_b32 exec_lo, exec_lo, s39
	s_and_saveexec_b32 s39, s38
	s_cbranch_execnz .LBB158_1610
	s_branch .LBB158_1611
.LBB158_1630:
	s_mov_b32 s37, -1
.LBB158_1631:
                                        ; implicit-def: $vgpr2
.LBB158_1632:
	s_and_b32 vcc_lo, exec_lo, s38
	s_mov_b32 s38, 0
	s_cbranch_vccz .LBB158_1634
; %bb.1633:
	s_cmp_lg_u32 s36, 11
	s_mov_b32 s38, -1
	s_cselect_b32 s36, -1, 0
	s_and_not1_b32 s37, s37, exec_lo
	s_and_b32 s36, s36, exec_lo
	s_delay_alu instid0(SALU_CYCLE_1)
	s_or_b32 s37, s37, s36
.LBB158_1634:
	s_mov_b32 s36, 0
.LBB158_1635:
	s_and_not1_b32 s40, s31, exec_lo
	s_and_b32 s37, s37, exec_lo
	s_and_b32 s41, s39, exec_lo
	;; [unrolled: 1-line block ×4, first 2 shown]
	s_or_b32 s40, s40, s37
.LBB158_1636:
	s_wait_xcnt 0x0
	s_or_b32 exec_lo, exec_lo, s20
	s_delay_alu instid0(SALU_CYCLE_1)
	s_and_not1_b32 s20, s31, exec_lo
	s_and_b32 s31, s40, exec_lo
	s_and_b32 s38, s41, exec_lo
	;; [unrolled: 1-line block ×4, first 2 shown]
	s_or_b32 s31, s20, s31
.LBB158_1637:
	s_or_b32 exec_lo, exec_lo, s30
	s_delay_alu instid0(SALU_CYCLE_1)
	s_and_not1_b32 s20, s26, exec_lo
	s_and_b32 s26, s35, exec_lo
	s_and_not1_b32 s28, s28, exec_lo
	s_or_b32 s26, s20, s26
	s_and_not1_b32 s20, s27, exec_lo
	s_and_b32 s27, s34, exec_lo
	s_and_b32 s30, s33, exec_lo
	s_or_b32 s27, s20, s27
	s_and_not1_b32 s20, s25, exec_lo
	s_and_b32 s25, s31, exec_lo
	s_or_b32 s28, s28, s30
	s_and_b32 s34, s38, exec_lo
	s_and_b32 s33, s37, exec_lo
	;; [unrolled: 1-line block ×3, first 2 shown]
	s_or_b32 s25, s20, s25
.LBB158_1638:
	s_or_b32 exec_lo, exec_lo, s29
	s_delay_alu instid0(SALU_CYCLE_1)
	s_and_not1_b32 s19, s19, exec_lo
	s_and_b32 s20, s26, exec_lo
	s_and_not1_b32 s22, s22, exec_lo
	s_or_b32 s19, s19, s20
	s_and_not1_b32 s20, s21, exec_lo
	s_and_b32 s21, s27, exec_lo
	s_and_b32 s26, s28, exec_lo
	s_or_b32 s21, s20, s21
	s_and_not1_b32 s20, s23, exec_lo
	s_and_b32 s23, s25, exec_lo
	s_or_b32 s22, s22, s26
	s_and_b32 s26, s34, exec_lo
	s_and_b32 s27, s33, exec_lo
	;; [unrolled: 1-line block ×3, first 2 shown]
	s_or_b32 s23, s20, s23
	s_or_b32 exec_lo, exec_lo, s24
	s_mov_b32 s20, 0
	s_and_saveexec_b32 s24, s23
	s_cbranch_execz .LBB158_522
.LBB158_1639:
	s_mov_b32 s20, exec_lo
	s_and_not1_b32 s25, s25, exec_lo
	s_trap 2
	s_or_b32 exec_lo, exec_lo, s24
	s_and_saveexec_b32 s23, s25
	s_delay_alu instid0(SALU_CYCLE_1)
	s_xor_b32 s23, exec_lo, s23
	s_cbranch_execnz .LBB158_523
.LBB158_1640:
	s_or_b32 exec_lo, exec_lo, s23
	s_and_saveexec_b32 s23, s27
	s_cbranch_execz .LBB158_1686
.LBB158_1641:
	s_sext_i32_i16 s24, s0
	s_delay_alu instid0(SALU_CYCLE_1)
	s_cmp_lt_i32 s24, 5
	s_cbranch_scc1 .LBB158_1646
; %bb.1642:
	s_cmp_lt_i32 s24, 8
	s_cbranch_scc1 .LBB158_1647
; %bb.1643:
	;; [unrolled: 3-line block ×3, first 2 shown]
	s_cmp_gt_i32 s24, 9
	s_cbranch_scc0 .LBB158_1649
; %bb.1645:
	s_wait_loadcnt 0x0
	global_load_b64 v[2:3], v[0:1], off
	s_mov_b32 s24, 0
	s_wait_loadcnt 0x0
	v_and_or_b32 v2, 0x1ff, v3, v2
	v_lshrrev_b32_e32 v4, 8, v3
	v_bfe_u32 v5, v3, 20, 11
	v_lshrrev_b32_e32 v3, 16, v3
	s_delay_alu instid0(VALU_DEP_4) | instskip(NEXT) | instid1(VALU_DEP_3)
	v_cmp_ne_u32_e32 vcc_lo, 0, v2
	v_sub_nc_u32_e32 v6, 0x3f1, v5
	v_add_nc_u32_e32 v5, 0xfffffc10, v5
	v_cndmask_b32_e64 v2, 0, 1, vcc_lo
	s_delay_alu instid0(VALU_DEP_1) | instskip(NEXT) | instid1(VALU_DEP_4)
	v_and_or_b32 v2, 0xffe, v4, v2
	v_med3_i32 v4, v6, 0, 13
	s_delay_alu instid0(VALU_DEP_2) | instskip(NEXT) | instid1(VALU_DEP_1)
	v_or_b32_e32 v6, 0x1000, v2
	v_lshrrev_b32_e32 v7, v4, v6
	s_delay_alu instid0(VALU_DEP_1) | instskip(NEXT) | instid1(VALU_DEP_1)
	v_lshlrev_b32_e32 v4, v4, v7
	v_cmp_ne_u32_e32 vcc_lo, v4, v6
	v_lshl_or_b32 v6, v5, 12, v2
	v_cndmask_b32_e64 v4, 0, 1, vcc_lo
	v_cmp_gt_i32_e32 vcc_lo, 1, v5
	s_delay_alu instid0(VALU_DEP_2) | instskip(NEXT) | instid1(VALU_DEP_1)
	v_or_b32_e32 v4, v7, v4
	v_cndmask_b32_e32 v4, v6, v4, vcc_lo
	s_delay_alu instid0(VALU_DEP_1) | instskip(NEXT) | instid1(VALU_DEP_1)
	v_dual_lshrrev_b32 v4, 2, v4 :: v_dual_bitop2_b32 v6, 7, v4 bitop3:0x40
	v_cmp_lt_i32_e32 vcc_lo, 5, v6
	v_cndmask_b32_e64 v7, 0, 1, vcc_lo
	v_cmp_eq_u32_e32 vcc_lo, 3, v6
	v_cndmask_b32_e64 v6, 0, 1, vcc_lo
	v_cmp_ne_u32_e32 vcc_lo, 0, v2
	s_delay_alu instid0(VALU_DEP_2) | instskip(NEXT) | instid1(VALU_DEP_1)
	v_or_b32_e32 v6, v6, v7
	v_dual_mov_b32 v7, 0x7e00 :: v_dual_add_nc_u32 v4, v4, v6
	s_delay_alu instid0(VALU_DEP_1) | instskip(SKIP_1) | instid1(VALU_DEP_3)
	v_cndmask_b32_e32 v2, 0x7c00, v7, vcc_lo
	v_cmp_gt_i32_e32 vcc_lo, 31, v5
	v_cndmask_b32_e32 v4, 0x7c00, v4, vcc_lo
	v_cmp_eq_u32_e32 vcc_lo, 0x40f, v5
	s_delay_alu instid0(VALU_DEP_2) | instskip(NEXT) | instid1(VALU_DEP_1)
	v_cndmask_b32_e32 v2, v4, v2, vcc_lo
	v_and_or_b32 v2, 0x8000, v3, v2
	s_branch .LBB158_1650
.LBB158_1646:
                                        ; implicit-def: $vgpr2
	s_branch .LBB158_1667
.LBB158_1647:
                                        ; implicit-def: $vgpr2
	s_branch .LBB158_1656
.LBB158_1648:
	s_mov_b32 s24, -1
                                        ; implicit-def: $vgpr2
	s_branch .LBB158_1653
.LBB158_1649:
	s_mov_b32 s24, -1
                                        ; implicit-def: $vgpr2
.LBB158_1650:
	s_delay_alu instid0(SALU_CYCLE_1)
	s_and_not1_b32 vcc_lo, exec_lo, s24
	s_cbranch_vccnz .LBB158_1652
; %bb.1651:
	s_wait_loadcnt 0x0
	global_load_b32 v2, v[0:1], off
	s_wait_loadcnt 0x0
	v_cvt_f16_f32_e32 v2, v2
.LBB158_1652:
	s_mov_b32 s24, 0
.LBB158_1653:
	s_delay_alu instid0(SALU_CYCLE_1)
	s_and_not1_b32 vcc_lo, exec_lo, s24
	s_cbranch_vccnz .LBB158_1655
; %bb.1654:
	s_wait_loadcnt 0x0
	global_load_b32 v2, v[0:1], off
.LBB158_1655:
	s_cbranch_execnz .LBB158_1666
.LBB158_1656:
	s_sext_i32_i16 s24, s0
	s_delay_alu instid0(SALU_CYCLE_1)
	s_cmp_lt_i32 s24, 6
	s_cbranch_scc1 .LBB158_1659
; %bb.1657:
	s_cmp_gt_i32 s24, 6
	s_cbranch_scc0 .LBB158_1660
; %bb.1658:
	s_wait_loadcnt 0x0
	global_load_b64 v[2:3], v[0:1], off
	s_mov_b32 s24, 0
	s_wait_loadcnt 0x0
	v_and_or_b32 v2, 0x1ff, v3, v2
	v_lshrrev_b32_e32 v4, 8, v3
	v_bfe_u32 v5, v3, 20, 11
	v_lshrrev_b32_e32 v3, 16, v3
	s_delay_alu instid0(VALU_DEP_4) | instskip(NEXT) | instid1(VALU_DEP_3)
	v_cmp_ne_u32_e32 vcc_lo, 0, v2
	v_sub_nc_u32_e32 v6, 0x3f1, v5
	v_add_nc_u32_e32 v5, 0xfffffc10, v5
	v_cndmask_b32_e64 v2, 0, 1, vcc_lo
	s_delay_alu instid0(VALU_DEP_1) | instskip(NEXT) | instid1(VALU_DEP_4)
	v_and_or_b32 v2, 0xffe, v4, v2
	v_med3_i32 v4, v6, 0, 13
	s_delay_alu instid0(VALU_DEP_2) | instskip(NEXT) | instid1(VALU_DEP_1)
	v_or_b32_e32 v6, 0x1000, v2
	v_lshrrev_b32_e32 v7, v4, v6
	s_delay_alu instid0(VALU_DEP_1) | instskip(NEXT) | instid1(VALU_DEP_1)
	v_lshlrev_b32_e32 v4, v4, v7
	v_cmp_ne_u32_e32 vcc_lo, v4, v6
	v_lshl_or_b32 v6, v5, 12, v2
	v_cndmask_b32_e64 v4, 0, 1, vcc_lo
	v_cmp_gt_i32_e32 vcc_lo, 1, v5
	s_delay_alu instid0(VALU_DEP_2) | instskip(NEXT) | instid1(VALU_DEP_1)
	v_or_b32_e32 v4, v7, v4
	v_cndmask_b32_e32 v4, v6, v4, vcc_lo
	s_delay_alu instid0(VALU_DEP_1) | instskip(NEXT) | instid1(VALU_DEP_1)
	v_dual_lshrrev_b32 v4, 2, v4 :: v_dual_bitop2_b32 v6, 7, v4 bitop3:0x40
	v_cmp_lt_i32_e32 vcc_lo, 5, v6
	v_cndmask_b32_e64 v7, 0, 1, vcc_lo
	v_cmp_eq_u32_e32 vcc_lo, 3, v6
	v_cndmask_b32_e64 v6, 0, 1, vcc_lo
	v_cmp_ne_u32_e32 vcc_lo, 0, v2
	s_delay_alu instid0(VALU_DEP_2) | instskip(NEXT) | instid1(VALU_DEP_1)
	v_or_b32_e32 v6, v6, v7
	v_dual_mov_b32 v7, 0x7e00 :: v_dual_add_nc_u32 v4, v4, v6
	s_delay_alu instid0(VALU_DEP_1) | instskip(SKIP_1) | instid1(VALU_DEP_3)
	v_cndmask_b32_e32 v2, 0x7c00, v7, vcc_lo
	v_cmp_gt_i32_e32 vcc_lo, 31, v5
	v_cndmask_b32_e32 v4, 0x7c00, v4, vcc_lo
	v_cmp_eq_u32_e32 vcc_lo, 0x40f, v5
	s_delay_alu instid0(VALU_DEP_2) | instskip(NEXT) | instid1(VALU_DEP_1)
	v_cndmask_b32_e32 v2, v4, v2, vcc_lo
	v_and_or_b32 v2, 0x8000, v3, v2
	s_branch .LBB158_1661
.LBB158_1659:
	s_mov_b32 s24, -1
                                        ; implicit-def: $vgpr2
	s_branch .LBB158_1664
.LBB158_1660:
	s_mov_b32 s24, -1
                                        ; implicit-def: $vgpr2
.LBB158_1661:
	s_delay_alu instid0(SALU_CYCLE_1)
	s_and_not1_b32 vcc_lo, exec_lo, s24
	s_cbranch_vccnz .LBB158_1663
; %bb.1662:
	s_wait_loadcnt 0x0
	global_load_b32 v2, v[0:1], off
	s_wait_loadcnt 0x0
	v_cvt_f16_f32_e32 v2, v2
.LBB158_1663:
	s_mov_b32 s24, 0
.LBB158_1664:
	s_delay_alu instid0(SALU_CYCLE_1)
	s_and_not1_b32 vcc_lo, exec_lo, s24
	s_cbranch_vccnz .LBB158_1666
; %bb.1665:
	s_wait_loadcnt 0x0
	global_load_u16 v2, v[0:1], off
.LBB158_1666:
	s_cbranch_execnz .LBB158_1685
.LBB158_1667:
	s_sext_i32_i16 s24, s0
	s_delay_alu instid0(SALU_CYCLE_1)
	s_cmp_lt_i32 s24, 2
	s_cbranch_scc1 .LBB158_1671
; %bb.1668:
	s_cmp_lt_i32 s24, 3
	s_cbranch_scc1 .LBB158_1672
; %bb.1669:
	s_cmp_gt_i32 s24, 3
	s_cbranch_scc0 .LBB158_1673
; %bb.1670:
	s_wait_loadcnt 0x0
	global_load_b64 v[2:3], v[0:1], off
	s_mov_b32 s24, 0
	s_wait_loadcnt 0x0
	v_xor_b32_e32 v4, v2, v3
	v_cls_i32_e32 v5, v3
	s_delay_alu instid0(VALU_DEP_2) | instskip(NEXT) | instid1(VALU_DEP_1)
	v_ashrrev_i32_e32 v4, 31, v4
	v_add_nc_u32_e32 v4, 32, v4
	s_delay_alu instid0(VALU_DEP_1) | instskip(NEXT) | instid1(VALU_DEP_1)
	v_add_min_u32_e64 v4, v5, -1, v4
	v_lshlrev_b64_e32 v[2:3], v4, v[2:3]
	s_delay_alu instid0(VALU_DEP_1) | instskip(NEXT) | instid1(VALU_DEP_1)
	v_min_u32_e32 v2, 1, v2
	v_dual_sub_nc_u32 v3, 32, v4 :: v_dual_bitop2_b32 v2, v3, v2 bitop3:0x54
	s_delay_alu instid0(VALU_DEP_1) | instskip(NEXT) | instid1(VALU_DEP_1)
	v_cvt_f32_i32_e32 v2, v2
	v_ldexp_f32 v2, v2, v3
	s_delay_alu instid0(VALU_DEP_1)
	v_cvt_f16_f32_e32 v2, v2
	s_branch .LBB158_1674
.LBB158_1671:
                                        ; implicit-def: $vgpr2
	s_branch .LBB158_1680
.LBB158_1672:
	s_mov_b32 s24, -1
                                        ; implicit-def: $vgpr2
	s_branch .LBB158_1677
.LBB158_1673:
	s_mov_b32 s24, -1
                                        ; implicit-def: $vgpr2
.LBB158_1674:
	s_delay_alu instid0(SALU_CYCLE_1)
	s_and_not1_b32 vcc_lo, exec_lo, s24
	s_cbranch_vccnz .LBB158_1676
; %bb.1675:
	s_wait_loadcnt 0x0
	global_load_b32 v2, v[0:1], off
	s_wait_loadcnt 0x0
	v_cvt_f32_i32_e32 v2, v2
	s_delay_alu instid0(VALU_DEP_1)
	v_cvt_f16_f32_e32 v2, v2
.LBB158_1676:
	s_mov_b32 s24, 0
.LBB158_1677:
	s_delay_alu instid0(SALU_CYCLE_1)
	s_and_not1_b32 vcc_lo, exec_lo, s24
	s_cbranch_vccnz .LBB158_1679
; %bb.1678:
	s_wait_loadcnt 0x0
	global_load_u16 v2, v[0:1], off
	s_wait_loadcnt 0x0
	v_cvt_f16_i16_e32 v2, v2
.LBB158_1679:
	s_cbranch_execnz .LBB158_1685
.LBB158_1680:
	s_sext_i32_i16 s0, s0
	s_delay_alu instid0(SALU_CYCLE_1)
	s_cmp_gt_i32 s0, 0
	s_mov_b32 s0, 0
	s_cbranch_scc0 .LBB158_1682
; %bb.1681:
	s_wait_loadcnt 0x0
	global_load_i8 v2, v[0:1], off
	s_wait_loadcnt 0x0
	v_cvt_f16_i16_e32 v2, v2
	s_branch .LBB158_1683
.LBB158_1682:
	s_mov_b32 s0, -1
                                        ; implicit-def: $vgpr2
.LBB158_1683:
	s_delay_alu instid0(SALU_CYCLE_1)
	s_and_not1_b32 vcc_lo, exec_lo, s0
	s_cbranch_vccnz .LBB158_1685
; %bb.1684:
	global_load_u8 v0, v[0:1], off
	s_wait_loadcnt 0x0
	v_cvt_f16_u16_e32 v2, v0
.LBB158_1685:
	s_or_b32 s26, s26, exec_lo
.LBB158_1686:
	s_wait_xcnt 0x0
	s_or_b32 exec_lo, exec_lo, s23
	s_mov_b32 s25, 0
	s_mov_b32 s27, 0
	;; [unrolled: 1-line block ×3, first 2 shown]
                                        ; implicit-def: $sgpr0
                                        ; implicit-def: $vgpr0_vgpr1
                                        ; implicit-def: $vgpr3
	s_and_saveexec_b32 s23, s26
	s_cbranch_execz .LBB158_1694
; %bb.1687:
	v_mul_lo_u32 v0, v8, s14
	s_and_b32 s0, s3, 0xff
	s_delay_alu instid0(SALU_CYCLE_1) | instskip(NEXT) | instid1(VALU_DEP_1)
	s_cmp_lt_i32 s0, 11
	v_ashrrev_i32_e32 v1, 31, v0
	s_delay_alu instid0(VALU_DEP_1)
	v_add_nc_u64_e32 v[0:1], s[8:9], v[0:1]
	s_cbranch_scc1 .LBB158_1697
; %bb.1688:
	s_and_b32 s24, 0xffff, s0
	s_mov_b32 s26, 0
	s_cmp_gt_i32 s24, 25
	s_cbranch_scc0 .LBB158_1698
; %bb.1689:
	s_cmp_gt_i32 s24, 28
	s_cbranch_scc0 .LBB158_1699
; %bb.1690:
	;; [unrolled: 3-line block ×4, first 2 shown]
	s_cmp_eq_u32 s24, 46
	s_mov_b32 s28, 0
	s_cbranch_scc0 .LBB158_1702
; %bb.1693:
	s_wait_loadcnt 0x0
	global_load_b32 v3, v[0:1], off
	s_mov_b32 s27, -1
	s_wait_loadcnt 0x0
	v_lshlrev_b32_e32 v3, 16, v3
	s_delay_alu instid0(VALU_DEP_1)
	v_cvt_f16_f32_e32 v3, v3
	s_branch .LBB158_1704
.LBB158_1694:
	s_or_b32 exec_lo, exec_lo, s23
	s_and_saveexec_b32 s23, s22
	s_cbranch_execnz .LBB158_1767
.LBB158_1695:
	s_or_b32 exec_lo, exec_lo, s23
	s_and_saveexec_b32 s22, s25
	s_delay_alu instid0(SALU_CYCLE_1)
	s_xor_b32 s22, exec_lo, s22
	s_cbranch_execz .LBB158_1768
.LBB158_1696:
	s_wait_loadcnt 0x0
	global_load_u8 v3, v[0:1], off
	s_or_b32 s24, s24, exec_lo
	s_wait_loadcnt 0x0
	v_cmp_ne_u16_e32 vcc_lo, 0, v3
	v_cndmask_b32_e64 v3, 0, 0x3c00, vcc_lo
	s_wait_xcnt 0x0
	s_or_b32 exec_lo, exec_lo, s22
	s_and_saveexec_b32 s22, s27
	s_cbranch_execz .LBB158_1814
	s_branch .LBB158_1769
.LBB158_1697:
	s_mov_b32 s28, -1
	s_mov_b32 s26, 0
	s_mov_b32 s25, s22
                                        ; implicit-def: $vgpr3
	s_branch .LBB158_1766
.LBB158_1698:
	s_mov_b32 s25, s22
                                        ; implicit-def: $vgpr3
	s_cbranch_execnz .LBB158_1733
	s_branch .LBB158_1765
.LBB158_1699:
	s_mov_b32 s28, -1
	s_mov_b32 s25, s22
                                        ; implicit-def: $vgpr3
	s_branch .LBB158_1714
.LBB158_1700:
	s_mov_b32 s28, -1
	s_mov_b32 s25, s22
                                        ; implicit-def: $vgpr3
	s_branch .LBB158_1709
.LBB158_1701:
	s_mov_b32 s28, -1
	s_mov_b32 s25, s22
	s_branch .LBB158_1703
.LBB158_1702:
	s_mov_b32 s25, -1
.LBB158_1703:
                                        ; implicit-def: $vgpr3
.LBB158_1704:
	s_and_b32 vcc_lo, exec_lo, s28
	s_cbranch_vccz .LBB158_1708
; %bb.1705:
	s_cmp_eq_u32 s24, 44
	s_cbranch_scc0 .LBB158_1707
; %bb.1706:
	s_wait_loadcnt 0x0
	global_load_u8 v3, v[0:1], off
	s_mov_b32 s25, 0
	s_mov_b32 s27, -1
	s_wait_loadcnt 0x0
	v_lshlrev_b32_e32 v4, 23, v3
	v_cmp_ne_u32_e32 vcc_lo, 0xff, v3
	s_delay_alu instid0(VALU_DEP_2) | instskip(NEXT) | instid1(VALU_DEP_1)
	v_cvt_f16_f32_e32 v4, v4
	v_cndmask_b32_e32 v4, 0x7e00, v4, vcc_lo
	v_cmp_ne_u32_e32 vcc_lo, 0, v3
	s_delay_alu instid0(VALU_DEP_2)
	v_cndmask_b32_e32 v3, 0, v4, vcc_lo
	s_branch .LBB158_1708
.LBB158_1707:
	s_mov_b32 s25, -1
                                        ; implicit-def: $vgpr3
.LBB158_1708:
	s_mov_b32 s28, 0
.LBB158_1709:
	s_delay_alu instid0(SALU_CYCLE_1)
	s_and_b32 vcc_lo, exec_lo, s28
	s_cbranch_vccz .LBB158_1713
; %bb.1710:
	s_cmp_eq_u32 s24, 29
	s_cbranch_scc0 .LBB158_1712
; %bb.1711:
	s_wait_loadcnt 0x0
	global_load_b64 v[4:5], v[0:1], off
	s_mov_b32 s25, 0
	s_mov_b32 s27, -1
	s_mov_b32 s28, 0
	s_wait_loadcnt 0x0
	v_clz_i32_u32_e32 v3, v5
	s_delay_alu instid0(VALU_DEP_1) | instskip(NEXT) | instid1(VALU_DEP_1)
	v_min_u32_e32 v3, 32, v3
	v_lshlrev_b64_e32 v[4:5], v3, v[4:5]
	v_sub_nc_u32_e32 v3, 32, v3
	s_delay_alu instid0(VALU_DEP_2) | instskip(NEXT) | instid1(VALU_DEP_1)
	v_min_u32_e32 v4, 1, v4
	v_or_b32_e32 v4, v5, v4
	s_delay_alu instid0(VALU_DEP_1) | instskip(NEXT) | instid1(VALU_DEP_1)
	v_cvt_f32_u32_e32 v4, v4
	v_ldexp_f32 v3, v4, v3
	s_delay_alu instid0(VALU_DEP_1)
	v_cvt_f16_f32_e32 v3, v3
	s_branch .LBB158_1714
.LBB158_1712:
	s_mov_b32 s25, -1
                                        ; implicit-def: $vgpr3
.LBB158_1713:
	s_mov_b32 s28, 0
.LBB158_1714:
	s_delay_alu instid0(SALU_CYCLE_1)
	s_and_b32 vcc_lo, exec_lo, s28
	s_cbranch_vccz .LBB158_1732
; %bb.1715:
	s_cmp_lt_i32 s24, 27
	s_cbranch_scc1 .LBB158_1718
; %bb.1716:
	s_cmp_gt_i32 s24, 27
	s_cbranch_scc0 .LBB158_1719
; %bb.1717:
	s_wait_loadcnt 0x0
	global_load_b32 v3, v[0:1], off
	s_mov_b32 s27, 0
	s_wait_loadcnt 0x0
	v_cvt_f32_u32_e32 v3, v3
	s_delay_alu instid0(VALU_DEP_1)
	v_cvt_f16_f32_e32 v3, v3
	s_branch .LBB158_1720
.LBB158_1718:
	s_mov_b32 s27, -1
                                        ; implicit-def: $vgpr3
	s_branch .LBB158_1723
.LBB158_1719:
	s_mov_b32 s27, -1
                                        ; implicit-def: $vgpr3
.LBB158_1720:
	s_delay_alu instid0(SALU_CYCLE_1)
	s_and_not1_b32 vcc_lo, exec_lo, s27
	s_cbranch_vccnz .LBB158_1722
; %bb.1721:
	s_wait_loadcnt 0x0
	global_load_u16 v3, v[0:1], off
	s_wait_loadcnt 0x0
	v_cvt_f16_u16_e32 v3, v3
.LBB158_1722:
	s_mov_b32 s27, 0
.LBB158_1723:
	s_delay_alu instid0(SALU_CYCLE_1)
	s_and_not1_b32 vcc_lo, exec_lo, s27
	s_cbranch_vccnz .LBB158_1731
; %bb.1724:
	s_wait_loadcnt 0x0
	global_load_u8 v4, v[0:1], off
	s_mov_b32 s27, 0
	s_mov_b32 s28, exec_lo
	s_wait_loadcnt 0x0
	v_cmpx_lt_i16_e32 0x7f, v4
	s_xor_b32 s28, exec_lo, s28
	s_cbranch_execz .LBB158_1744
; %bb.1725:
	s_mov_b32 s27, -1
	s_mov_b32 s29, exec_lo
	v_cmpx_eq_u16_e32 0x80, v4
; %bb.1726:
	s_xor_b32 s27, exec_lo, -1
; %bb.1727:
	s_or_b32 exec_lo, exec_lo, s29
	s_delay_alu instid0(SALU_CYCLE_1)
	s_and_b32 s27, s27, exec_lo
	s_or_saveexec_b32 s28, s28
	v_mov_b32_e32 v3, 0x7e00
	s_xor_b32 exec_lo, exec_lo, s28
	s_cbranch_execnz .LBB158_1745
.LBB158_1728:
	s_or_b32 exec_lo, exec_lo, s28
	s_and_saveexec_b32 s28, s27
	s_cbranch_execz .LBB158_1730
.LBB158_1729:
	v_and_b32_e32 v3, 0xffff, v4
	s_delay_alu instid0(VALU_DEP_1) | instskip(SKIP_1) | instid1(VALU_DEP_2)
	v_and_b32_e32 v5, 7, v3
	v_bfe_u32 v9, v3, 3, 4
	v_clz_i32_u32_e32 v6, v5
	s_delay_alu instid0(VALU_DEP_2) | instskip(NEXT) | instid1(VALU_DEP_2)
	v_cmp_eq_u32_e32 vcc_lo, 0, v9
	v_min_u32_e32 v6, 32, v6
	s_delay_alu instid0(VALU_DEP_1) | instskip(NEXT) | instid1(VALU_DEP_1)
	v_subrev_nc_u32_e32 v7, 28, v6
	v_dual_lshlrev_b32 v3, v7, v3 :: v_dual_sub_nc_u32 v6, 29, v6
	s_delay_alu instid0(VALU_DEP_1) | instskip(NEXT) | instid1(VALU_DEP_2)
	v_dual_lshlrev_b32 v4, 24, v4 :: v_dual_bitop2_b32 v3, 7, v3 bitop3:0x40
	v_cndmask_b32_e32 v6, v9, v6, vcc_lo
	s_delay_alu instid0(VALU_DEP_2) | instskip(NEXT) | instid1(VALU_DEP_3)
	v_cndmask_b32_e32 v3, v5, v3, vcc_lo
	v_and_b32_e32 v4, 0x80000000, v4
	s_delay_alu instid0(VALU_DEP_3) | instskip(NEXT) | instid1(VALU_DEP_3)
	v_lshl_add_u32 v5, v6, 23, 0x3b800000
	v_lshlrev_b32_e32 v3, 20, v3
	s_delay_alu instid0(VALU_DEP_1) | instskip(NEXT) | instid1(VALU_DEP_1)
	v_or3_b32 v3, v4, v5, v3
	v_cvt_f16_f32_e32 v3, v3
.LBB158_1730:
	s_or_b32 exec_lo, exec_lo, s28
.LBB158_1731:
	s_mov_b32 s27, -1
.LBB158_1732:
	s_branch .LBB158_1765
.LBB158_1733:
	s_cmp_gt_i32 s24, 22
	s_cbranch_scc0 .LBB158_1743
; %bb.1734:
	s_cmp_lt_i32 s24, 24
	s_cbranch_scc1 .LBB158_1746
; %bb.1735:
	s_cmp_gt_i32 s24, 24
	s_cbranch_scc0 .LBB158_1747
; %bb.1736:
	s_wait_loadcnt 0x0
	global_load_u8 v4, v[0:1], off
	s_mov_b32 s27, exec_lo
	s_wait_loadcnt 0x0
	v_cmpx_lt_i16_e32 0x7f, v4
	s_xor_b32 s27, exec_lo, s27
	s_cbranch_execz .LBB158_1759
; %bb.1737:
	s_mov_b32 s26, -1
	s_mov_b32 s28, exec_lo
	v_cmpx_eq_u16_e32 0x80, v4
; %bb.1738:
	s_xor_b32 s26, exec_lo, -1
; %bb.1739:
	s_or_b32 exec_lo, exec_lo, s28
	s_delay_alu instid0(SALU_CYCLE_1)
	s_and_b32 s26, s26, exec_lo
	s_or_saveexec_b32 s27, s27
	v_mov_b32_e32 v3, 0x7e00
	s_xor_b32 exec_lo, exec_lo, s27
	s_cbranch_execnz .LBB158_1760
.LBB158_1740:
	s_or_b32 exec_lo, exec_lo, s27
	s_and_saveexec_b32 s27, s26
	s_cbranch_execz .LBB158_1742
.LBB158_1741:
	v_and_b32_e32 v3, 0xffff, v4
	s_delay_alu instid0(VALU_DEP_1) | instskip(SKIP_1) | instid1(VALU_DEP_2)
	v_and_b32_e32 v5, 3, v3
	v_bfe_u32 v9, v3, 2, 5
	v_clz_i32_u32_e32 v6, v5
	s_delay_alu instid0(VALU_DEP_2) | instskip(NEXT) | instid1(VALU_DEP_2)
	v_cmp_eq_u32_e32 vcc_lo, 0, v9
	v_min_u32_e32 v6, 32, v6
	s_delay_alu instid0(VALU_DEP_1) | instskip(NEXT) | instid1(VALU_DEP_1)
	v_subrev_nc_u32_e32 v7, 29, v6
	v_dual_lshlrev_b32 v3, v7, v3 :: v_dual_sub_nc_u32 v6, 30, v6
	s_delay_alu instid0(VALU_DEP_1) | instskip(NEXT) | instid1(VALU_DEP_2)
	v_dual_lshlrev_b32 v4, 24, v4 :: v_dual_bitop2_b32 v3, 3, v3 bitop3:0x40
	v_cndmask_b32_e32 v6, v9, v6, vcc_lo
	s_delay_alu instid0(VALU_DEP_2) | instskip(NEXT) | instid1(VALU_DEP_3)
	v_cndmask_b32_e32 v3, v5, v3, vcc_lo
	v_and_b32_e32 v4, 0x80000000, v4
	s_delay_alu instid0(VALU_DEP_3) | instskip(NEXT) | instid1(VALU_DEP_3)
	v_lshl_add_u32 v5, v6, 23, 0x37800000
	v_lshlrev_b32_e32 v3, 21, v3
	s_delay_alu instid0(VALU_DEP_1) | instskip(NEXT) | instid1(VALU_DEP_1)
	v_or3_b32 v3, v4, v5, v3
	v_cvt_f16_f32_e32 v3, v3
.LBB158_1742:
	s_or_b32 exec_lo, exec_lo, s27
	s_mov_b32 s26, 0
	s_branch .LBB158_1748
.LBB158_1743:
	s_mov_b32 s26, -1
                                        ; implicit-def: $vgpr3
	s_branch .LBB158_1754
.LBB158_1744:
	s_or_saveexec_b32 s28, s28
	v_mov_b32_e32 v3, 0x7e00
	s_xor_b32 exec_lo, exec_lo, s28
	s_cbranch_execz .LBB158_1728
.LBB158_1745:
	v_cmp_ne_u16_e32 vcc_lo, 0, v4
	v_mov_b32_e32 v3, v4
	s_and_not1_b32 s27, s27, exec_lo
	s_and_b32 s29, vcc_lo, exec_lo
	s_delay_alu instid0(SALU_CYCLE_1)
	s_or_b32 s27, s27, s29
	s_or_b32 exec_lo, exec_lo, s28
	s_and_saveexec_b32 s28, s27
	s_cbranch_execnz .LBB158_1729
	s_branch .LBB158_1730
.LBB158_1746:
	s_mov_b32 s26, -1
                                        ; implicit-def: $vgpr3
	s_branch .LBB158_1751
.LBB158_1747:
	s_mov_b32 s26, -1
                                        ; implicit-def: $vgpr3
.LBB158_1748:
	s_delay_alu instid0(SALU_CYCLE_1)
	s_and_b32 vcc_lo, exec_lo, s26
	s_cbranch_vccz .LBB158_1750
; %bb.1749:
	s_wait_loadcnt 0x0
	global_load_u8 v3, v[0:1], off
	s_wait_loadcnt 0x0
	v_lshlrev_b32_e32 v3, 24, v3
	s_delay_alu instid0(VALU_DEP_1) | instskip(NEXT) | instid1(VALU_DEP_1)
	v_and_b32_e32 v4, 0x7f000000, v3
	v_clz_i32_u32_e32 v5, v4
	v_cmp_ne_u32_e32 vcc_lo, 0, v4
	v_add_nc_u32_e32 v7, 0x1000000, v4
	s_delay_alu instid0(VALU_DEP_3) | instskip(NEXT) | instid1(VALU_DEP_1)
	v_min_u32_e32 v5, 32, v5
	v_sub_nc_u32_e64 v5, v5, 4 clamp
	s_delay_alu instid0(VALU_DEP_1) | instskip(NEXT) | instid1(VALU_DEP_1)
	v_dual_lshlrev_b32 v6, v5, v4 :: v_dual_lshlrev_b32 v5, 23, v5
	v_lshrrev_b32_e32 v6, 4, v6
	s_delay_alu instid0(VALU_DEP_1) | instskip(NEXT) | instid1(VALU_DEP_1)
	v_dual_sub_nc_u32 v5, v6, v5 :: v_dual_ashrrev_i32 v6, 8, v7
	v_add_nc_u32_e32 v5, 0x3c000000, v5
	s_delay_alu instid0(VALU_DEP_1) | instskip(NEXT) | instid1(VALU_DEP_1)
	v_and_or_b32 v5, 0x7f800000, v6, v5
	v_cndmask_b32_e32 v4, 0, v5, vcc_lo
	s_delay_alu instid0(VALU_DEP_1) | instskip(NEXT) | instid1(VALU_DEP_1)
	v_and_or_b32 v3, 0x80000000, v3, v4
	v_cvt_f16_f32_e32 v3, v3
.LBB158_1750:
	s_mov_b32 s26, 0
.LBB158_1751:
	s_delay_alu instid0(SALU_CYCLE_1)
	s_and_not1_b32 vcc_lo, exec_lo, s26
	s_cbranch_vccnz .LBB158_1753
; %bb.1752:
	s_wait_loadcnt 0x0
	global_load_u8 v3, v[0:1], off
	s_wait_loadcnt 0x0
	v_lshlrev_b32_e32 v4, 25, v3
	v_lshlrev_b16 v3, 8, v3
	s_delay_alu instid0(VALU_DEP_1) | instskip(SKIP_1) | instid1(VALU_DEP_2)
	v_and_or_b32 v6, 0x7f00, v3, 0.5
	v_bfe_i32 v3, v3, 0, 16
	v_dual_add_f32 v6, -0.5, v6 :: v_dual_lshrrev_b32 v5, 4, v4
	v_cmp_gt_u32_e32 vcc_lo, 0x8000000, v4
	s_delay_alu instid0(VALU_DEP_2) | instskip(NEXT) | instid1(VALU_DEP_1)
	v_or_b32_e32 v5, 0x70000000, v5
	v_mul_f32_e32 v5, 0x7800000, v5
	s_delay_alu instid0(VALU_DEP_1) | instskip(NEXT) | instid1(VALU_DEP_1)
	v_cndmask_b32_e32 v4, v5, v6, vcc_lo
	v_and_or_b32 v3, 0x80000000, v3, v4
	s_delay_alu instid0(VALU_DEP_1)
	v_cvt_f16_f32_e32 v3, v3
.LBB158_1753:
	s_mov_b32 s26, 0
	s_mov_b32 s27, -1
.LBB158_1754:
	s_and_not1_b32 vcc_lo, exec_lo, s26
	s_mov_b32 s26, 0
	s_cbranch_vccnz .LBB158_1765
; %bb.1755:
	s_cmp_gt_i32 s24, 14
	s_cbranch_scc0 .LBB158_1758
; %bb.1756:
	s_cmp_eq_u32 s24, 15
	s_cbranch_scc0 .LBB158_1761
; %bb.1757:
	s_wait_loadcnt 0x0
	global_load_u16 v3, v[0:1], off
	s_mov_b32 s25, 0
	s_mov_b32 s27, -1
	s_wait_loadcnt 0x0
	v_lshlrev_b32_e32 v3, 16, v3
	s_delay_alu instid0(VALU_DEP_1)
	v_cvt_f16_f32_e32 v3, v3
	s_branch .LBB158_1763
.LBB158_1758:
	s_mov_b32 s26, -1
	s_branch .LBB158_1762
.LBB158_1759:
	s_or_saveexec_b32 s27, s27
	v_mov_b32_e32 v3, 0x7e00
	s_xor_b32 exec_lo, exec_lo, s27
	s_cbranch_execz .LBB158_1740
.LBB158_1760:
	v_cmp_ne_u16_e32 vcc_lo, 0, v4
	v_mov_b32_e32 v3, v4
	s_and_not1_b32 s26, s26, exec_lo
	s_and_b32 s28, vcc_lo, exec_lo
	s_delay_alu instid0(SALU_CYCLE_1)
	s_or_b32 s26, s26, s28
	s_or_b32 exec_lo, exec_lo, s27
	s_and_saveexec_b32 s27, s26
	s_cbranch_execnz .LBB158_1741
	s_branch .LBB158_1742
.LBB158_1761:
	s_mov_b32 s25, -1
.LBB158_1762:
                                        ; implicit-def: $vgpr3
.LBB158_1763:
	s_and_b32 vcc_lo, exec_lo, s26
	s_mov_b32 s26, 0
	s_cbranch_vccz .LBB158_1765
; %bb.1764:
	s_cmp_lg_u32 s24, 11
	s_mov_b32 s26, -1
	s_cselect_b32 s24, -1, 0
	s_and_not1_b32 s25, s25, exec_lo
	s_and_b32 s24, s24, exec_lo
	s_delay_alu instid0(SALU_CYCLE_1)
	s_or_b32 s25, s25, s24
.LBB158_1765:
	s_mov_b32 s28, 0
.LBB158_1766:
	s_and_b32 s24, s27, exec_lo
	s_and_b32 s27, s28, exec_lo
	s_and_not1_b32 s22, s22, exec_lo
	s_and_b32 s28, s25, exec_lo
	s_and_b32 s25, s26, exec_lo
	s_or_b32 s22, s22, s28
	s_wait_xcnt 0x0
	s_or_b32 exec_lo, exec_lo, s23
	s_and_saveexec_b32 s23, s22
	s_cbranch_execz .LBB158_1695
.LBB158_1767:
	s_or_b32 s20, s20, exec_lo
	s_and_not1_b32 s25, s25, exec_lo
	s_trap 2
	s_or_b32 exec_lo, exec_lo, s23
	s_and_saveexec_b32 s22, s25
	s_delay_alu instid0(SALU_CYCLE_1)
	s_xor_b32 s22, exec_lo, s22
	s_cbranch_execnz .LBB158_1696
.LBB158_1768:
	s_or_b32 exec_lo, exec_lo, s22
	s_and_saveexec_b32 s22, s27
	s_cbranch_execz .LBB158_1814
.LBB158_1769:
	s_sext_i32_i16 s23, s0
	s_delay_alu instid0(SALU_CYCLE_1)
	s_cmp_lt_i32 s23, 5
	s_cbranch_scc1 .LBB158_1774
; %bb.1770:
	s_cmp_lt_i32 s23, 8
	s_cbranch_scc1 .LBB158_1775
; %bb.1771:
	;; [unrolled: 3-line block ×3, first 2 shown]
	s_cmp_gt_i32 s23, 9
	s_cbranch_scc0 .LBB158_1777
; %bb.1773:
	s_wait_loadcnt 0x0
	global_load_b64 v[4:5], v[0:1], off
	s_mov_b32 s23, 0
	s_wait_loadcnt 0x0
	v_and_or_b32 v3, 0x1ff, v5, v4
	v_lshrrev_b32_e32 v4, 8, v5
	v_bfe_u32 v6, v5, 20, 11
	s_delay_alu instid0(VALU_DEP_3) | instskip(NEXT) | instid1(VALU_DEP_2)
	v_cmp_ne_u32_e32 vcc_lo, 0, v3
	v_sub_nc_u32_e32 v7, 0x3f1, v6
	v_add_nc_u32_e32 v6, 0xfffffc10, v6
	v_cndmask_b32_e64 v3, 0, 1, vcc_lo
	s_delay_alu instid0(VALU_DEP_1) | instskip(NEXT) | instid1(VALU_DEP_4)
	v_and_or_b32 v3, 0xffe, v4, v3
	v_med3_i32 v4, v7, 0, 13
	s_delay_alu instid0(VALU_DEP_2) | instskip(NEXT) | instid1(VALU_DEP_1)
	v_or_b32_e32 v7, 0x1000, v3
	v_lshrrev_b32_e32 v9, v4, v7
	s_delay_alu instid0(VALU_DEP_1) | instskip(NEXT) | instid1(VALU_DEP_1)
	v_lshlrev_b32_e32 v4, v4, v9
	v_cmp_ne_u32_e32 vcc_lo, v4, v7
	v_lshl_or_b32 v7, v6, 12, v3
	v_cndmask_b32_e64 v4, 0, 1, vcc_lo
	v_cmp_gt_i32_e32 vcc_lo, 1, v6
	s_delay_alu instid0(VALU_DEP_2) | instskip(NEXT) | instid1(VALU_DEP_1)
	v_or_b32_e32 v4, v9, v4
	v_cndmask_b32_e32 v4, v7, v4, vcc_lo
	s_delay_alu instid0(VALU_DEP_1) | instskip(NEXT) | instid1(VALU_DEP_1)
	v_dual_lshrrev_b32 v4, 2, v4 :: v_dual_bitop2_b32 v7, 7, v4 bitop3:0x40
	v_cmp_lt_i32_e32 vcc_lo, 5, v7
	v_cndmask_b32_e64 v9, 0, 1, vcc_lo
	v_cmp_eq_u32_e32 vcc_lo, 3, v7
	v_cndmask_b32_e64 v7, 0, 1, vcc_lo
	v_cmp_ne_u32_e32 vcc_lo, 0, v3
	s_delay_alu instid0(VALU_DEP_2) | instskip(NEXT) | instid1(VALU_DEP_1)
	v_or_b32_e32 v7, v7, v9
	v_dual_mov_b32 v9, 0x7e00 :: v_dual_add_nc_u32 v4, v4, v7
	s_delay_alu instid0(VALU_DEP_1) | instskip(SKIP_1) | instid1(VALU_DEP_3)
	v_cndmask_b32_e32 v3, 0x7c00, v9, vcc_lo
	v_cmp_gt_i32_e32 vcc_lo, 31, v6
	v_cndmask_b32_e32 v4, 0x7c00, v4, vcc_lo
	v_cmp_eq_u32_e32 vcc_lo, 0x40f, v6
	s_delay_alu instid0(VALU_DEP_2) | instskip(NEXT) | instid1(VALU_DEP_1)
	v_dual_cndmask_b32 v3, v4, v3 :: v_dual_lshrrev_b32 v4, 16, v5
	v_and_or_b32 v3, 0x8000, v4, v3
	s_branch .LBB158_1778
.LBB158_1774:
                                        ; implicit-def: $vgpr3
	s_branch .LBB158_1795
.LBB158_1775:
                                        ; implicit-def: $vgpr3
	s_branch .LBB158_1784
.LBB158_1776:
	s_mov_b32 s23, -1
                                        ; implicit-def: $vgpr3
	s_branch .LBB158_1781
.LBB158_1777:
	s_mov_b32 s23, -1
                                        ; implicit-def: $vgpr3
.LBB158_1778:
	s_delay_alu instid0(SALU_CYCLE_1)
	s_and_not1_b32 vcc_lo, exec_lo, s23
	s_cbranch_vccnz .LBB158_1780
; %bb.1779:
	s_wait_loadcnt 0x0
	global_load_b32 v3, v[0:1], off
	s_wait_loadcnt 0x0
	v_cvt_f16_f32_e32 v3, v3
.LBB158_1780:
	s_mov_b32 s23, 0
.LBB158_1781:
	s_delay_alu instid0(SALU_CYCLE_1)
	s_and_not1_b32 vcc_lo, exec_lo, s23
	s_cbranch_vccnz .LBB158_1783
; %bb.1782:
	s_wait_loadcnt 0x0
	global_load_b32 v3, v[0:1], off
.LBB158_1783:
	s_cbranch_execnz .LBB158_1794
.LBB158_1784:
	s_sext_i32_i16 s23, s0
	s_delay_alu instid0(SALU_CYCLE_1)
	s_cmp_lt_i32 s23, 6
	s_cbranch_scc1 .LBB158_1787
; %bb.1785:
	s_cmp_gt_i32 s23, 6
	s_cbranch_scc0 .LBB158_1788
; %bb.1786:
	s_wait_loadcnt 0x0
	global_load_b64 v[4:5], v[0:1], off
	s_mov_b32 s23, 0
	s_wait_loadcnt 0x0
	v_and_or_b32 v3, 0x1ff, v5, v4
	v_lshrrev_b32_e32 v4, 8, v5
	v_bfe_u32 v6, v5, 20, 11
	s_delay_alu instid0(VALU_DEP_3) | instskip(NEXT) | instid1(VALU_DEP_2)
	v_cmp_ne_u32_e32 vcc_lo, 0, v3
	v_sub_nc_u32_e32 v7, 0x3f1, v6
	v_add_nc_u32_e32 v6, 0xfffffc10, v6
	v_cndmask_b32_e64 v3, 0, 1, vcc_lo
	s_delay_alu instid0(VALU_DEP_1) | instskip(NEXT) | instid1(VALU_DEP_4)
	v_and_or_b32 v3, 0xffe, v4, v3
	v_med3_i32 v4, v7, 0, 13
	s_delay_alu instid0(VALU_DEP_2) | instskip(NEXT) | instid1(VALU_DEP_1)
	v_or_b32_e32 v7, 0x1000, v3
	v_lshrrev_b32_e32 v9, v4, v7
	s_delay_alu instid0(VALU_DEP_1) | instskip(NEXT) | instid1(VALU_DEP_1)
	v_lshlrev_b32_e32 v4, v4, v9
	v_cmp_ne_u32_e32 vcc_lo, v4, v7
	v_lshl_or_b32 v7, v6, 12, v3
	v_cndmask_b32_e64 v4, 0, 1, vcc_lo
	v_cmp_gt_i32_e32 vcc_lo, 1, v6
	s_delay_alu instid0(VALU_DEP_2) | instskip(NEXT) | instid1(VALU_DEP_1)
	v_or_b32_e32 v4, v9, v4
	v_cndmask_b32_e32 v4, v7, v4, vcc_lo
	s_delay_alu instid0(VALU_DEP_1) | instskip(NEXT) | instid1(VALU_DEP_1)
	v_dual_lshrrev_b32 v4, 2, v4 :: v_dual_bitop2_b32 v7, 7, v4 bitop3:0x40
	v_cmp_lt_i32_e32 vcc_lo, 5, v7
	v_cndmask_b32_e64 v9, 0, 1, vcc_lo
	v_cmp_eq_u32_e32 vcc_lo, 3, v7
	v_cndmask_b32_e64 v7, 0, 1, vcc_lo
	v_cmp_ne_u32_e32 vcc_lo, 0, v3
	s_delay_alu instid0(VALU_DEP_2) | instskip(NEXT) | instid1(VALU_DEP_1)
	v_or_b32_e32 v7, v7, v9
	v_dual_mov_b32 v9, 0x7e00 :: v_dual_add_nc_u32 v4, v4, v7
	s_delay_alu instid0(VALU_DEP_1) | instskip(SKIP_1) | instid1(VALU_DEP_3)
	v_cndmask_b32_e32 v3, 0x7c00, v9, vcc_lo
	v_cmp_gt_i32_e32 vcc_lo, 31, v6
	v_cndmask_b32_e32 v4, 0x7c00, v4, vcc_lo
	v_cmp_eq_u32_e32 vcc_lo, 0x40f, v6
	s_delay_alu instid0(VALU_DEP_2) | instskip(NEXT) | instid1(VALU_DEP_1)
	v_dual_cndmask_b32 v3, v4, v3 :: v_dual_lshrrev_b32 v4, 16, v5
	v_and_or_b32 v3, 0x8000, v4, v3
	s_branch .LBB158_1789
.LBB158_1787:
	s_mov_b32 s23, -1
                                        ; implicit-def: $vgpr3
	s_branch .LBB158_1792
.LBB158_1788:
	s_mov_b32 s23, -1
                                        ; implicit-def: $vgpr3
.LBB158_1789:
	s_delay_alu instid0(SALU_CYCLE_1)
	s_and_not1_b32 vcc_lo, exec_lo, s23
	s_cbranch_vccnz .LBB158_1791
; %bb.1790:
	s_wait_loadcnt 0x0
	global_load_b32 v3, v[0:1], off
	s_wait_loadcnt 0x0
	v_cvt_f16_f32_e32 v3, v3
.LBB158_1791:
	s_mov_b32 s23, 0
.LBB158_1792:
	s_delay_alu instid0(SALU_CYCLE_1)
	s_and_not1_b32 vcc_lo, exec_lo, s23
	s_cbranch_vccnz .LBB158_1794
; %bb.1793:
	s_wait_loadcnt 0x0
	global_load_u16 v3, v[0:1], off
.LBB158_1794:
	s_cbranch_execnz .LBB158_1813
.LBB158_1795:
	s_sext_i32_i16 s23, s0
	s_delay_alu instid0(SALU_CYCLE_1)
	s_cmp_lt_i32 s23, 2
	s_cbranch_scc1 .LBB158_1799
; %bb.1796:
	s_cmp_lt_i32 s23, 3
	s_cbranch_scc1 .LBB158_1800
; %bb.1797:
	s_cmp_gt_i32 s23, 3
	s_cbranch_scc0 .LBB158_1801
; %bb.1798:
	s_wait_loadcnt 0x0
	global_load_b64 v[4:5], v[0:1], off
	s_mov_b32 s23, 0
	s_wait_loadcnt 0x0
	v_xor_b32_e32 v3, v4, v5
	v_cls_i32_e32 v6, v5
	s_delay_alu instid0(VALU_DEP_2) | instskip(NEXT) | instid1(VALU_DEP_1)
	v_ashrrev_i32_e32 v3, 31, v3
	v_add_nc_u32_e32 v3, 32, v3
	s_delay_alu instid0(VALU_DEP_1) | instskip(NEXT) | instid1(VALU_DEP_1)
	v_add_min_u32_e64 v3, v6, -1, v3
	v_lshlrev_b64_e32 v[4:5], v3, v[4:5]
	v_sub_nc_u32_e32 v3, 32, v3
	s_delay_alu instid0(VALU_DEP_2) | instskip(NEXT) | instid1(VALU_DEP_1)
	v_min_u32_e32 v4, 1, v4
	v_or_b32_e32 v4, v5, v4
	s_delay_alu instid0(VALU_DEP_1) | instskip(NEXT) | instid1(VALU_DEP_1)
	v_cvt_f32_i32_e32 v4, v4
	v_ldexp_f32 v3, v4, v3
	s_delay_alu instid0(VALU_DEP_1)
	v_cvt_f16_f32_e32 v3, v3
	s_branch .LBB158_1802
.LBB158_1799:
                                        ; implicit-def: $vgpr3
	s_branch .LBB158_1808
.LBB158_1800:
	s_mov_b32 s23, -1
                                        ; implicit-def: $vgpr3
	s_branch .LBB158_1805
.LBB158_1801:
	s_mov_b32 s23, -1
                                        ; implicit-def: $vgpr3
.LBB158_1802:
	s_delay_alu instid0(SALU_CYCLE_1)
	s_and_not1_b32 vcc_lo, exec_lo, s23
	s_cbranch_vccnz .LBB158_1804
; %bb.1803:
	s_wait_loadcnt 0x0
	global_load_b32 v3, v[0:1], off
	s_wait_loadcnt 0x0
	v_cvt_f32_i32_e32 v3, v3
	s_delay_alu instid0(VALU_DEP_1)
	v_cvt_f16_f32_e32 v3, v3
.LBB158_1804:
	s_mov_b32 s23, 0
.LBB158_1805:
	s_delay_alu instid0(SALU_CYCLE_1)
	s_and_not1_b32 vcc_lo, exec_lo, s23
	s_cbranch_vccnz .LBB158_1807
; %bb.1806:
	s_wait_loadcnt 0x0
	global_load_u16 v3, v[0:1], off
	s_wait_loadcnt 0x0
	v_cvt_f16_i16_e32 v3, v3
.LBB158_1807:
	s_cbranch_execnz .LBB158_1813
.LBB158_1808:
	s_sext_i32_i16 s0, s0
	s_delay_alu instid0(SALU_CYCLE_1)
	s_cmp_gt_i32 s0, 0
	s_mov_b32 s0, 0
	s_cbranch_scc0 .LBB158_1810
; %bb.1809:
	s_wait_loadcnt 0x0
	global_load_i8 v3, v[0:1], off
	s_wait_loadcnt 0x0
	v_cvt_f16_i16_e32 v3, v3
	s_branch .LBB158_1811
.LBB158_1810:
	s_mov_b32 s0, -1
                                        ; implicit-def: $vgpr3
.LBB158_1811:
	s_delay_alu instid0(SALU_CYCLE_1)
	s_and_not1_b32 vcc_lo, exec_lo, s0
	s_cbranch_vccnz .LBB158_1813
; %bb.1812:
	global_load_u8 v0, v[0:1], off
	s_wait_loadcnt 0x0
	v_cvt_f16_u16_e32 v3, v0
.LBB158_1813:
	s_or_b32 s24, s24, exec_lo
.LBB158_1814:
	s_wait_xcnt 0x0
	s_or_b32 exec_lo, exec_lo, s22
	s_mov_b32 s23, 0
	s_mov_b32 s22, 0
	;; [unrolled: 1-line block ×3, first 2 shown]
                                        ; implicit-def: $vgpr0_vgpr1
                                        ; implicit-def: $vgpr5
	s_and_saveexec_b32 s0, s24
	s_cbranch_execz .LBB158_1822
; %bb.1815:
	v_mul_lo_u32 v0, v8, s15
	s_and_b32 s22, 0xffff, s1
	s_delay_alu instid0(SALU_CYCLE_1) | instskip(NEXT) | instid1(VALU_DEP_1)
	s_cmp_lt_i32 s22, 11
	v_ashrrev_i32_e32 v1, 31, v0
	s_delay_alu instid0(VALU_DEP_1)
	v_add_nc_u64_e32 v[0:1], s[10:11], v[0:1]
	s_cbranch_scc1 .LBB158_1825
; %bb.1816:
	s_cmp_gt_i32 s22, 25
	s_mov_b32 s24, 0
	s_cbranch_scc0 .LBB158_1826
; %bb.1817:
	s_cmp_gt_i32 s22, 28
	s_cbranch_scc0 .LBB158_1827
; %bb.1818:
	s_cmp_gt_i32 s22, 43
	;; [unrolled: 3-line block ×3, first 2 shown]
	s_cbranch_scc0 .LBB158_1829
; %bb.1820:
	s_cmp_eq_u32 s22, 46
	s_mov_b32 s26, 0
	s_cbranch_scc0 .LBB158_1830
; %bb.1821:
	s_wait_loadcnt 0x0
	global_load_b32 v4, v[0:1], off
	s_mov_b32 s25, -1
	s_wait_loadcnt 0x0
	v_lshlrev_b32_e32 v4, 16, v4
	s_delay_alu instid0(VALU_DEP_1)
	v_cvt_f16_f32_e32 v5, v4
	s_branch .LBB158_1832
.LBB158_1822:
	s_or_b32 exec_lo, exec_lo, s0
	s_and_saveexec_b32 s0, s21
	s_cbranch_execnz .LBB158_1895
.LBB158_1823:
	s_or_b32 exec_lo, exec_lo, s0
	s_and_saveexec_b32 s0, s23
	s_delay_alu instid0(SALU_CYCLE_1)
	s_xor_b32 s0, exec_lo, s0
	s_cbranch_execz .LBB158_1896
.LBB158_1824:
	s_wait_loadcnt 0x0
	global_load_u8 v4, v[0:1], off
	s_or_b32 s25, s25, exec_lo
	s_wait_loadcnt 0x0
	v_cmp_ne_u16_e32 vcc_lo, 0, v4
	v_cndmask_b32_e64 v5, 0, 0x3c00, vcc_lo
	s_wait_xcnt 0x0
	s_or_b32 exec_lo, exec_lo, s0
	s_and_saveexec_b32 s0, s22
	s_cbranch_execz .LBB158_1942
	s_branch .LBB158_1897
.LBB158_1825:
	s_mov_b32 s22, -1
	s_mov_b32 s24, 0
	s_mov_b32 s23, s21
                                        ; implicit-def: $vgpr5
	s_branch .LBB158_1894
.LBB158_1826:
	s_mov_b32 s23, s21
                                        ; implicit-def: $vgpr5
	s_cbranch_execnz .LBB158_1861
	s_branch .LBB158_1893
.LBB158_1827:
	s_mov_b32 s26, -1
	s_mov_b32 s23, s21
                                        ; implicit-def: $vgpr5
	s_branch .LBB158_1842
.LBB158_1828:
	s_mov_b32 s26, -1
	s_mov_b32 s23, s21
                                        ; implicit-def: $vgpr5
	s_branch .LBB158_1837
.LBB158_1829:
	s_mov_b32 s26, -1
	s_mov_b32 s23, s21
	s_branch .LBB158_1831
.LBB158_1830:
	s_mov_b32 s23, -1
.LBB158_1831:
                                        ; implicit-def: $vgpr5
.LBB158_1832:
	s_and_b32 vcc_lo, exec_lo, s26
	s_cbranch_vccz .LBB158_1836
; %bb.1833:
	s_cmp_eq_u32 s22, 44
	s_cbranch_scc0 .LBB158_1835
; %bb.1834:
	s_wait_loadcnt 0x0
	global_load_u8 v4, v[0:1], off
	s_mov_b32 s23, 0
	s_mov_b32 s25, -1
	s_wait_loadcnt 0x0
	v_lshlrev_b32_e32 v5, 23, v4
	v_cmp_ne_u32_e32 vcc_lo, 0xff, v4
	s_delay_alu instid0(VALU_DEP_2) | instskip(NEXT) | instid1(VALU_DEP_1)
	v_cvt_f16_f32_e32 v5, v5
	v_cndmask_b32_e32 v5, 0x7e00, v5, vcc_lo
	v_cmp_ne_u32_e32 vcc_lo, 0, v4
	s_delay_alu instid0(VALU_DEP_2)
	v_cndmask_b32_e32 v5, 0, v5, vcc_lo
	s_branch .LBB158_1836
.LBB158_1835:
	s_mov_b32 s23, -1
                                        ; implicit-def: $vgpr5
.LBB158_1836:
	s_mov_b32 s26, 0
.LBB158_1837:
	s_delay_alu instid0(SALU_CYCLE_1)
	s_and_b32 vcc_lo, exec_lo, s26
	s_cbranch_vccz .LBB158_1841
; %bb.1838:
	s_cmp_eq_u32 s22, 29
	s_cbranch_scc0 .LBB158_1840
; %bb.1839:
	s_wait_loadcnt 0x0
	global_load_b64 v[4:5], v[0:1], off
	s_mov_b32 s23, 0
	s_mov_b32 s25, -1
	s_mov_b32 s26, 0
	s_wait_loadcnt 0x0
	v_clz_i32_u32_e32 v6, v5
	s_delay_alu instid0(VALU_DEP_1) | instskip(NEXT) | instid1(VALU_DEP_1)
	v_min_u32_e32 v6, 32, v6
	v_lshlrev_b64_e32 v[4:5], v6, v[4:5]
	s_delay_alu instid0(VALU_DEP_1) | instskip(NEXT) | instid1(VALU_DEP_1)
	v_min_u32_e32 v4, 1, v4
	v_dual_sub_nc_u32 v5, 32, v6 :: v_dual_bitop2_b32 v4, v5, v4 bitop3:0x54
	s_delay_alu instid0(VALU_DEP_1) | instskip(NEXT) | instid1(VALU_DEP_1)
	v_cvt_f32_u32_e32 v4, v4
	v_ldexp_f32 v4, v4, v5
	s_delay_alu instid0(VALU_DEP_1)
	v_cvt_f16_f32_e32 v5, v4
	s_branch .LBB158_1842
.LBB158_1840:
	s_mov_b32 s23, -1
                                        ; implicit-def: $vgpr5
.LBB158_1841:
	s_mov_b32 s26, 0
.LBB158_1842:
	s_delay_alu instid0(SALU_CYCLE_1)
	s_and_b32 vcc_lo, exec_lo, s26
	s_cbranch_vccz .LBB158_1860
; %bb.1843:
	s_cmp_lt_i32 s22, 27
	s_cbranch_scc1 .LBB158_1846
; %bb.1844:
	s_cmp_gt_i32 s22, 27
	s_cbranch_scc0 .LBB158_1847
; %bb.1845:
	s_wait_loadcnt 0x0
	global_load_b32 v4, v[0:1], off
	s_mov_b32 s25, 0
	s_wait_loadcnt 0x0
	v_cvt_f32_u32_e32 v4, v4
	s_delay_alu instid0(VALU_DEP_1)
	v_cvt_f16_f32_e32 v5, v4
	s_branch .LBB158_1848
.LBB158_1846:
	s_mov_b32 s25, -1
                                        ; implicit-def: $vgpr5
	s_branch .LBB158_1851
.LBB158_1847:
	s_mov_b32 s25, -1
                                        ; implicit-def: $vgpr5
.LBB158_1848:
	s_delay_alu instid0(SALU_CYCLE_1)
	s_and_not1_b32 vcc_lo, exec_lo, s25
	s_cbranch_vccnz .LBB158_1850
; %bb.1849:
	s_wait_loadcnt 0x0
	global_load_u16 v4, v[0:1], off
	s_wait_loadcnt 0x0
	v_cvt_f16_u16_e32 v5, v4
.LBB158_1850:
	s_mov_b32 s25, 0
.LBB158_1851:
	s_delay_alu instid0(SALU_CYCLE_1)
	s_and_not1_b32 vcc_lo, exec_lo, s25
	s_cbranch_vccnz .LBB158_1859
; %bb.1852:
	s_wait_loadcnt 0x0
	global_load_u8 v4, v[0:1], off
	s_mov_b32 s25, 0
	s_mov_b32 s26, exec_lo
	s_wait_loadcnt 0x0
	v_cmpx_lt_i16_e32 0x7f, v4
	s_xor_b32 s26, exec_lo, s26
	s_cbranch_execz .LBB158_1872
; %bb.1853:
	s_mov_b32 s25, -1
	s_mov_b32 s27, exec_lo
	v_cmpx_eq_u16_e32 0x80, v4
; %bb.1854:
	s_xor_b32 s25, exec_lo, -1
; %bb.1855:
	s_or_b32 exec_lo, exec_lo, s27
	s_delay_alu instid0(SALU_CYCLE_1)
	s_and_b32 s25, s25, exec_lo
	s_or_saveexec_b32 s26, s26
	v_mov_b32_e32 v5, 0x7e00
	s_xor_b32 exec_lo, exec_lo, s26
	s_cbranch_execnz .LBB158_1873
.LBB158_1856:
	s_or_b32 exec_lo, exec_lo, s26
	s_and_saveexec_b32 s26, s25
	s_cbranch_execz .LBB158_1858
.LBB158_1857:
	v_and_b32_e32 v5, 0xffff, v4
	s_delay_alu instid0(VALU_DEP_1) | instskip(SKIP_1) | instid1(VALU_DEP_2)
	v_and_b32_e32 v6, 7, v5
	v_bfe_u32 v10, v5, 3, 4
	v_clz_i32_u32_e32 v7, v6
	s_delay_alu instid0(VALU_DEP_2) | instskip(NEXT) | instid1(VALU_DEP_2)
	v_cmp_eq_u32_e32 vcc_lo, 0, v10
	v_min_u32_e32 v7, 32, v7
	s_delay_alu instid0(VALU_DEP_1) | instskip(NEXT) | instid1(VALU_DEP_1)
	v_subrev_nc_u32_e32 v9, 28, v7
	v_dual_lshlrev_b32 v5, v9, v5 :: v_dual_sub_nc_u32 v7, 29, v7
	s_delay_alu instid0(VALU_DEP_1) | instskip(NEXT) | instid1(VALU_DEP_2)
	v_dual_lshlrev_b32 v4, 24, v4 :: v_dual_bitop2_b32 v5, 7, v5 bitop3:0x40
	v_cndmask_b32_e32 v7, v10, v7, vcc_lo
	s_delay_alu instid0(VALU_DEP_2) | instskip(NEXT) | instid1(VALU_DEP_3)
	v_cndmask_b32_e32 v5, v6, v5, vcc_lo
	v_and_b32_e32 v4, 0x80000000, v4
	s_delay_alu instid0(VALU_DEP_3) | instskip(NEXT) | instid1(VALU_DEP_3)
	v_lshl_add_u32 v6, v7, 23, 0x3b800000
	v_lshlrev_b32_e32 v5, 20, v5
	s_delay_alu instid0(VALU_DEP_1) | instskip(NEXT) | instid1(VALU_DEP_1)
	v_or3_b32 v4, v4, v6, v5
	v_cvt_f16_f32_e32 v5, v4
.LBB158_1858:
	s_or_b32 exec_lo, exec_lo, s26
.LBB158_1859:
	s_mov_b32 s25, -1
.LBB158_1860:
	s_branch .LBB158_1893
.LBB158_1861:
	s_cmp_gt_i32 s22, 22
	s_cbranch_scc0 .LBB158_1871
; %bb.1862:
	s_cmp_lt_i32 s22, 24
	s_cbranch_scc1 .LBB158_1874
; %bb.1863:
	s_cmp_gt_i32 s22, 24
	s_cbranch_scc0 .LBB158_1875
; %bb.1864:
	s_wait_loadcnt 0x0
	global_load_u8 v4, v[0:1], off
	s_mov_b32 s25, exec_lo
	s_wait_loadcnt 0x0
	v_cmpx_lt_i16_e32 0x7f, v4
	s_xor_b32 s25, exec_lo, s25
	s_cbranch_execz .LBB158_1887
; %bb.1865:
	s_mov_b32 s24, -1
	s_mov_b32 s26, exec_lo
	v_cmpx_eq_u16_e32 0x80, v4
; %bb.1866:
	s_xor_b32 s24, exec_lo, -1
; %bb.1867:
	s_or_b32 exec_lo, exec_lo, s26
	s_delay_alu instid0(SALU_CYCLE_1)
	s_and_b32 s24, s24, exec_lo
	s_or_saveexec_b32 s25, s25
	v_mov_b32_e32 v5, 0x7e00
	s_xor_b32 exec_lo, exec_lo, s25
	s_cbranch_execnz .LBB158_1888
.LBB158_1868:
	s_or_b32 exec_lo, exec_lo, s25
	s_and_saveexec_b32 s25, s24
	s_cbranch_execz .LBB158_1870
.LBB158_1869:
	v_and_b32_e32 v5, 0xffff, v4
	s_delay_alu instid0(VALU_DEP_1) | instskip(SKIP_1) | instid1(VALU_DEP_2)
	v_and_b32_e32 v6, 3, v5
	v_bfe_u32 v10, v5, 2, 5
	v_clz_i32_u32_e32 v7, v6
	s_delay_alu instid0(VALU_DEP_2) | instskip(NEXT) | instid1(VALU_DEP_2)
	v_cmp_eq_u32_e32 vcc_lo, 0, v10
	v_min_u32_e32 v7, 32, v7
	s_delay_alu instid0(VALU_DEP_1) | instskip(NEXT) | instid1(VALU_DEP_1)
	v_subrev_nc_u32_e32 v9, 29, v7
	v_dual_lshlrev_b32 v5, v9, v5 :: v_dual_sub_nc_u32 v7, 30, v7
	s_delay_alu instid0(VALU_DEP_1) | instskip(NEXT) | instid1(VALU_DEP_2)
	v_dual_lshlrev_b32 v4, 24, v4 :: v_dual_bitop2_b32 v5, 3, v5 bitop3:0x40
	v_cndmask_b32_e32 v7, v10, v7, vcc_lo
	s_delay_alu instid0(VALU_DEP_2) | instskip(NEXT) | instid1(VALU_DEP_3)
	v_cndmask_b32_e32 v5, v6, v5, vcc_lo
	v_and_b32_e32 v4, 0x80000000, v4
	s_delay_alu instid0(VALU_DEP_3) | instskip(NEXT) | instid1(VALU_DEP_3)
	v_lshl_add_u32 v6, v7, 23, 0x37800000
	v_lshlrev_b32_e32 v5, 21, v5
	s_delay_alu instid0(VALU_DEP_1) | instskip(NEXT) | instid1(VALU_DEP_1)
	v_or3_b32 v4, v4, v6, v5
	v_cvt_f16_f32_e32 v5, v4
.LBB158_1870:
	s_or_b32 exec_lo, exec_lo, s25
	s_mov_b32 s24, 0
	s_branch .LBB158_1876
.LBB158_1871:
	s_mov_b32 s24, -1
                                        ; implicit-def: $vgpr5
	s_branch .LBB158_1882
.LBB158_1872:
	s_or_saveexec_b32 s26, s26
	v_mov_b32_e32 v5, 0x7e00
	s_xor_b32 exec_lo, exec_lo, s26
	s_cbranch_execz .LBB158_1856
.LBB158_1873:
	v_cmp_ne_u16_e32 vcc_lo, 0, v4
	v_mov_b32_e32 v5, v4
	s_and_not1_b32 s25, s25, exec_lo
	s_and_b32 s27, vcc_lo, exec_lo
	s_delay_alu instid0(SALU_CYCLE_1)
	s_or_b32 s25, s25, s27
	s_or_b32 exec_lo, exec_lo, s26
	s_and_saveexec_b32 s26, s25
	s_cbranch_execnz .LBB158_1857
	s_branch .LBB158_1858
.LBB158_1874:
	s_mov_b32 s24, -1
                                        ; implicit-def: $vgpr5
	s_branch .LBB158_1879
.LBB158_1875:
	s_mov_b32 s24, -1
                                        ; implicit-def: $vgpr5
.LBB158_1876:
	s_delay_alu instid0(SALU_CYCLE_1)
	s_and_b32 vcc_lo, exec_lo, s24
	s_cbranch_vccz .LBB158_1878
; %bb.1877:
	s_wait_loadcnt 0x0
	global_load_u8 v4, v[0:1], off
	s_wait_loadcnt 0x0
	v_lshlrev_b32_e32 v4, 24, v4
	s_delay_alu instid0(VALU_DEP_1) | instskip(NEXT) | instid1(VALU_DEP_1)
	v_and_b32_e32 v5, 0x7f000000, v4
	v_clz_i32_u32_e32 v6, v5
	v_add_nc_u32_e32 v9, 0x1000000, v5
	v_cmp_ne_u32_e32 vcc_lo, 0, v5
	s_delay_alu instid0(VALU_DEP_3) | instskip(NEXT) | instid1(VALU_DEP_1)
	v_min_u32_e32 v6, 32, v6
	v_sub_nc_u32_e64 v6, v6, 4 clamp
	s_delay_alu instid0(VALU_DEP_1) | instskip(NEXT) | instid1(VALU_DEP_1)
	v_dual_lshlrev_b32 v7, v6, v5 :: v_dual_lshlrev_b32 v6, 23, v6
	v_lshrrev_b32_e32 v7, 4, v7
	s_delay_alu instid0(VALU_DEP_1) | instskip(NEXT) | instid1(VALU_DEP_1)
	v_dual_sub_nc_u32 v6, v7, v6 :: v_dual_ashrrev_i32 v7, 8, v9
	v_add_nc_u32_e32 v6, 0x3c000000, v6
	s_delay_alu instid0(VALU_DEP_1) | instskip(NEXT) | instid1(VALU_DEP_1)
	v_and_or_b32 v6, 0x7f800000, v7, v6
	v_cndmask_b32_e32 v5, 0, v6, vcc_lo
	s_delay_alu instid0(VALU_DEP_1) | instskip(NEXT) | instid1(VALU_DEP_1)
	v_and_or_b32 v4, 0x80000000, v4, v5
	v_cvt_f16_f32_e32 v5, v4
.LBB158_1878:
	s_mov_b32 s24, 0
.LBB158_1879:
	s_delay_alu instid0(SALU_CYCLE_1)
	s_and_not1_b32 vcc_lo, exec_lo, s24
	s_cbranch_vccnz .LBB158_1881
; %bb.1880:
	s_wait_loadcnt 0x0
	global_load_u8 v4, v[0:1], off
	s_wait_loadcnt 0x0
	v_lshlrev_b32_e32 v5, 25, v4
	v_lshlrev_b16 v4, 8, v4
	s_delay_alu instid0(VALU_DEP_1) | instskip(SKIP_1) | instid1(VALU_DEP_2)
	v_and_or_b32 v7, 0x7f00, v4, 0.5
	v_bfe_i32 v4, v4, 0, 16
	v_dual_add_f32 v7, -0.5, v7 :: v_dual_lshrrev_b32 v6, 4, v5
	v_cmp_gt_u32_e32 vcc_lo, 0x8000000, v5
	s_delay_alu instid0(VALU_DEP_2) | instskip(NEXT) | instid1(VALU_DEP_1)
	v_or_b32_e32 v6, 0x70000000, v6
	v_mul_f32_e32 v6, 0x7800000, v6
	s_delay_alu instid0(VALU_DEP_1) | instskip(NEXT) | instid1(VALU_DEP_1)
	v_cndmask_b32_e32 v5, v6, v7, vcc_lo
	v_and_or_b32 v4, 0x80000000, v4, v5
	s_delay_alu instid0(VALU_DEP_1)
	v_cvt_f16_f32_e32 v5, v4
.LBB158_1881:
	s_mov_b32 s24, 0
	s_mov_b32 s25, -1
.LBB158_1882:
	s_and_not1_b32 vcc_lo, exec_lo, s24
	s_mov_b32 s24, 0
	s_cbranch_vccnz .LBB158_1893
; %bb.1883:
	s_cmp_gt_i32 s22, 14
	s_cbranch_scc0 .LBB158_1886
; %bb.1884:
	s_cmp_eq_u32 s22, 15
	s_cbranch_scc0 .LBB158_1889
; %bb.1885:
	s_wait_loadcnt 0x0
	global_load_u16 v4, v[0:1], off
	s_mov_b32 s23, 0
	s_mov_b32 s25, -1
	s_wait_loadcnt 0x0
	v_lshlrev_b32_e32 v4, 16, v4
	s_delay_alu instid0(VALU_DEP_1)
	v_cvt_f16_f32_e32 v5, v4
	s_branch .LBB158_1891
.LBB158_1886:
	s_mov_b32 s24, -1
	s_branch .LBB158_1890
.LBB158_1887:
	s_or_saveexec_b32 s25, s25
	v_mov_b32_e32 v5, 0x7e00
	s_xor_b32 exec_lo, exec_lo, s25
	s_cbranch_execz .LBB158_1868
.LBB158_1888:
	v_cmp_ne_u16_e32 vcc_lo, 0, v4
	v_mov_b32_e32 v5, v4
	s_and_not1_b32 s24, s24, exec_lo
	s_and_b32 s26, vcc_lo, exec_lo
	s_delay_alu instid0(SALU_CYCLE_1)
	s_or_b32 s24, s24, s26
	s_or_b32 exec_lo, exec_lo, s25
	s_and_saveexec_b32 s25, s24
	s_cbranch_execnz .LBB158_1869
	s_branch .LBB158_1870
.LBB158_1889:
	s_mov_b32 s23, -1
.LBB158_1890:
                                        ; implicit-def: $vgpr5
.LBB158_1891:
	s_and_b32 vcc_lo, exec_lo, s24
	s_mov_b32 s24, 0
	s_cbranch_vccz .LBB158_1893
; %bb.1892:
	s_cmp_lg_u32 s22, 11
	s_mov_b32 s24, -1
	s_cselect_b32 s22, -1, 0
	s_and_not1_b32 s23, s23, exec_lo
	s_and_b32 s22, s22, exec_lo
	s_delay_alu instid0(SALU_CYCLE_1)
	s_or_b32 s23, s23, s22
.LBB158_1893:
	s_mov_b32 s22, 0
.LBB158_1894:
	s_and_not1_b32 s21, s21, exec_lo
	s_and_b32 s26, s23, exec_lo
	s_and_b32 s25, s25, exec_lo
	;; [unrolled: 1-line block ×4, first 2 shown]
	s_or_b32 s21, s21, s26
	s_wait_xcnt 0x0
	s_or_b32 exec_lo, exec_lo, s0
	s_and_saveexec_b32 s0, s21
	s_cbranch_execz .LBB158_1823
.LBB158_1895:
	s_or_b32 s20, s20, exec_lo
	s_and_not1_b32 s23, s23, exec_lo
	s_trap 2
	s_or_b32 exec_lo, exec_lo, s0
	s_and_saveexec_b32 s0, s23
	s_delay_alu instid0(SALU_CYCLE_1)
	s_xor_b32 s0, exec_lo, s0
	s_cbranch_execnz .LBB158_1824
.LBB158_1896:
	s_or_b32 exec_lo, exec_lo, s0
	s_and_saveexec_b32 s0, s22
	s_cbranch_execz .LBB158_1942
.LBB158_1897:
	s_sext_i32_i16 s21, s1
	s_delay_alu instid0(SALU_CYCLE_1)
	s_cmp_lt_i32 s21, 5
	s_cbranch_scc1 .LBB158_1902
; %bb.1898:
	s_cmp_lt_i32 s21, 8
	s_cbranch_scc1 .LBB158_1903
; %bb.1899:
	;; [unrolled: 3-line block ×3, first 2 shown]
	s_cmp_gt_i32 s21, 9
	s_cbranch_scc0 .LBB158_1905
; %bb.1901:
	s_wait_loadcnt 0x0
	global_load_b64 v[4:5], v[0:1], off
	s_mov_b32 s21, 0
	s_wait_loadcnt 0x0
	v_and_or_b32 v4, 0x1ff, v5, v4
	v_lshrrev_b32_e32 v6, 8, v5
	v_bfe_u32 v7, v5, 20, 11
	v_lshrrev_b32_e32 v5, 16, v5
	s_delay_alu instid0(VALU_DEP_4) | instskip(NEXT) | instid1(VALU_DEP_3)
	v_cmp_ne_u32_e32 vcc_lo, 0, v4
	v_sub_nc_u32_e32 v9, 0x3f1, v7
	v_add_nc_u32_e32 v7, 0xfffffc10, v7
	v_cndmask_b32_e64 v4, 0, 1, vcc_lo
	s_delay_alu instid0(VALU_DEP_1) | instskip(NEXT) | instid1(VALU_DEP_4)
	v_and_or_b32 v4, 0xffe, v6, v4
	v_med3_i32 v6, v9, 0, 13
	s_delay_alu instid0(VALU_DEP_2) | instskip(NEXT) | instid1(VALU_DEP_1)
	v_or_b32_e32 v9, 0x1000, v4
	v_lshrrev_b32_e32 v10, v6, v9
	s_delay_alu instid0(VALU_DEP_1) | instskip(NEXT) | instid1(VALU_DEP_1)
	v_lshlrev_b32_e32 v6, v6, v10
	v_cmp_ne_u32_e32 vcc_lo, v6, v9
	v_lshl_or_b32 v9, v7, 12, v4
	v_cndmask_b32_e64 v6, 0, 1, vcc_lo
	v_cmp_gt_i32_e32 vcc_lo, 1, v7
	s_delay_alu instid0(VALU_DEP_2) | instskip(NEXT) | instid1(VALU_DEP_1)
	v_or_b32_e32 v6, v10, v6
	v_cndmask_b32_e32 v6, v9, v6, vcc_lo
	s_delay_alu instid0(VALU_DEP_1) | instskip(NEXT) | instid1(VALU_DEP_1)
	v_dual_lshrrev_b32 v6, 2, v6 :: v_dual_bitop2_b32 v9, 7, v6 bitop3:0x40
	v_cmp_lt_i32_e32 vcc_lo, 5, v9
	v_cndmask_b32_e64 v10, 0, 1, vcc_lo
	v_cmp_eq_u32_e32 vcc_lo, 3, v9
	v_cndmask_b32_e64 v9, 0, 1, vcc_lo
	v_cmp_ne_u32_e32 vcc_lo, 0, v4
	s_delay_alu instid0(VALU_DEP_2) | instskip(SKIP_1) | instid1(VALU_DEP_2)
	v_or_b32_e32 v9, v9, v10
	v_mov_b32_e32 v10, 0x7e00
	v_add_nc_u32_e32 v6, v6, v9
	s_delay_alu instid0(VALU_DEP_2) | instskip(SKIP_1) | instid1(VALU_DEP_3)
	v_cndmask_b32_e32 v4, 0x7c00, v10, vcc_lo
	v_cmp_gt_i32_e32 vcc_lo, 31, v7
	v_cndmask_b32_e32 v6, 0x7c00, v6, vcc_lo
	v_cmp_eq_u32_e32 vcc_lo, 0x40f, v7
	s_delay_alu instid0(VALU_DEP_2) | instskip(NEXT) | instid1(VALU_DEP_1)
	v_cndmask_b32_e32 v4, v6, v4, vcc_lo
	v_and_or_b32 v5, 0x8000, v5, v4
	s_branch .LBB158_1906
.LBB158_1902:
                                        ; implicit-def: $vgpr5
	s_branch .LBB158_1923
.LBB158_1903:
                                        ; implicit-def: $vgpr5
	s_branch .LBB158_1912
.LBB158_1904:
	s_mov_b32 s21, -1
                                        ; implicit-def: $vgpr5
	s_branch .LBB158_1909
.LBB158_1905:
	s_mov_b32 s21, -1
                                        ; implicit-def: $vgpr5
.LBB158_1906:
	s_delay_alu instid0(SALU_CYCLE_1)
	s_and_not1_b32 vcc_lo, exec_lo, s21
	s_cbranch_vccnz .LBB158_1908
; %bb.1907:
	s_wait_loadcnt 0x0
	global_load_b32 v4, v[0:1], off
	s_wait_loadcnt 0x0
	v_cvt_f16_f32_e32 v5, v4
.LBB158_1908:
	s_mov_b32 s21, 0
.LBB158_1909:
	s_delay_alu instid0(SALU_CYCLE_1)
	s_and_not1_b32 vcc_lo, exec_lo, s21
	s_cbranch_vccnz .LBB158_1911
; %bb.1910:
	global_load_b32 v5, v[0:1], off
.LBB158_1911:
	s_cbranch_execnz .LBB158_1922
.LBB158_1912:
	s_sext_i32_i16 s21, s1
	s_delay_alu instid0(SALU_CYCLE_1)
	s_cmp_lt_i32 s21, 6
	s_cbranch_scc1 .LBB158_1915
; %bb.1913:
	s_cmp_gt_i32 s21, 6
	s_cbranch_scc0 .LBB158_1916
; %bb.1914:
	s_wait_loadcnt 0x0
	global_load_b64 v[4:5], v[0:1], off
	s_mov_b32 s21, 0
	s_wait_loadcnt 0x0
	v_and_or_b32 v4, 0x1ff, v5, v4
	v_lshrrev_b32_e32 v6, 8, v5
	v_bfe_u32 v7, v5, 20, 11
	v_lshrrev_b32_e32 v5, 16, v5
	s_delay_alu instid0(VALU_DEP_4) | instskip(NEXT) | instid1(VALU_DEP_3)
	v_cmp_ne_u32_e32 vcc_lo, 0, v4
	v_sub_nc_u32_e32 v9, 0x3f1, v7
	v_add_nc_u32_e32 v7, 0xfffffc10, v7
	v_cndmask_b32_e64 v4, 0, 1, vcc_lo
	s_delay_alu instid0(VALU_DEP_1) | instskip(NEXT) | instid1(VALU_DEP_4)
	v_and_or_b32 v4, 0xffe, v6, v4
	v_med3_i32 v6, v9, 0, 13
	s_delay_alu instid0(VALU_DEP_2) | instskip(NEXT) | instid1(VALU_DEP_1)
	v_or_b32_e32 v9, 0x1000, v4
	v_lshrrev_b32_e32 v10, v6, v9
	s_delay_alu instid0(VALU_DEP_1) | instskip(NEXT) | instid1(VALU_DEP_1)
	v_lshlrev_b32_e32 v6, v6, v10
	v_cmp_ne_u32_e32 vcc_lo, v6, v9
	v_lshl_or_b32 v9, v7, 12, v4
	v_cndmask_b32_e64 v6, 0, 1, vcc_lo
	v_cmp_gt_i32_e32 vcc_lo, 1, v7
	s_delay_alu instid0(VALU_DEP_2) | instskip(NEXT) | instid1(VALU_DEP_1)
	v_or_b32_e32 v6, v10, v6
	v_cndmask_b32_e32 v6, v9, v6, vcc_lo
	s_delay_alu instid0(VALU_DEP_1) | instskip(NEXT) | instid1(VALU_DEP_1)
	v_dual_lshrrev_b32 v6, 2, v6 :: v_dual_bitop2_b32 v9, 7, v6 bitop3:0x40
	v_cmp_lt_i32_e32 vcc_lo, 5, v9
	v_cndmask_b32_e64 v10, 0, 1, vcc_lo
	v_cmp_eq_u32_e32 vcc_lo, 3, v9
	v_cndmask_b32_e64 v9, 0, 1, vcc_lo
	v_cmp_ne_u32_e32 vcc_lo, 0, v4
	s_delay_alu instid0(VALU_DEP_2) | instskip(SKIP_1) | instid1(VALU_DEP_2)
	v_or_b32_e32 v9, v9, v10
	v_mov_b32_e32 v10, 0x7e00
	v_add_nc_u32_e32 v6, v6, v9
	s_delay_alu instid0(VALU_DEP_2) | instskip(SKIP_1) | instid1(VALU_DEP_3)
	v_cndmask_b32_e32 v4, 0x7c00, v10, vcc_lo
	v_cmp_gt_i32_e32 vcc_lo, 31, v7
	v_cndmask_b32_e32 v6, 0x7c00, v6, vcc_lo
	v_cmp_eq_u32_e32 vcc_lo, 0x40f, v7
	s_delay_alu instid0(VALU_DEP_2) | instskip(NEXT) | instid1(VALU_DEP_1)
	v_cndmask_b32_e32 v4, v6, v4, vcc_lo
	v_and_or_b32 v5, 0x8000, v5, v4
	s_branch .LBB158_1917
.LBB158_1915:
	s_mov_b32 s21, -1
                                        ; implicit-def: $vgpr5
	s_branch .LBB158_1920
.LBB158_1916:
	s_mov_b32 s21, -1
                                        ; implicit-def: $vgpr5
.LBB158_1917:
	s_delay_alu instid0(SALU_CYCLE_1)
	s_and_not1_b32 vcc_lo, exec_lo, s21
	s_cbranch_vccnz .LBB158_1919
; %bb.1918:
	s_wait_loadcnt 0x0
	global_load_b32 v4, v[0:1], off
	s_wait_loadcnt 0x0
	v_cvt_f16_f32_e32 v5, v4
.LBB158_1919:
	s_mov_b32 s21, 0
.LBB158_1920:
	s_delay_alu instid0(SALU_CYCLE_1)
	s_and_not1_b32 vcc_lo, exec_lo, s21
	s_cbranch_vccnz .LBB158_1922
; %bb.1921:
	s_wait_loadcnt 0x0
	global_load_u16 v5, v[0:1], off
.LBB158_1922:
	s_cbranch_execnz .LBB158_1941
.LBB158_1923:
	s_sext_i32_i16 s21, s1
	s_delay_alu instid0(SALU_CYCLE_1)
	s_cmp_lt_i32 s21, 2
	s_cbranch_scc1 .LBB158_1927
; %bb.1924:
	s_cmp_lt_i32 s21, 3
	s_cbranch_scc1 .LBB158_1928
; %bb.1925:
	s_cmp_gt_i32 s21, 3
	s_cbranch_scc0 .LBB158_1929
; %bb.1926:
	s_wait_loadcnt 0x0
	global_load_b64 v[4:5], v[0:1], off
	s_mov_b32 s21, 0
	s_wait_loadcnt 0x0
	v_xor_b32_e32 v6, v4, v5
	v_cls_i32_e32 v7, v5
	s_delay_alu instid0(VALU_DEP_2) | instskip(NEXT) | instid1(VALU_DEP_1)
	v_ashrrev_i32_e32 v6, 31, v6
	v_add_nc_u32_e32 v6, 32, v6
	s_delay_alu instid0(VALU_DEP_1) | instskip(NEXT) | instid1(VALU_DEP_1)
	v_add_min_u32_e64 v6, v7, -1, v6
	v_lshlrev_b64_e32 v[4:5], v6, v[4:5]
	s_delay_alu instid0(VALU_DEP_1) | instskip(NEXT) | instid1(VALU_DEP_1)
	v_min_u32_e32 v4, 1, v4
	v_dual_sub_nc_u32 v5, 32, v6 :: v_dual_bitop2_b32 v4, v5, v4 bitop3:0x54
	s_delay_alu instid0(VALU_DEP_1) | instskip(NEXT) | instid1(VALU_DEP_1)
	v_cvt_f32_i32_e32 v4, v4
	v_ldexp_f32 v4, v4, v5
	s_delay_alu instid0(VALU_DEP_1)
	v_cvt_f16_f32_e32 v5, v4
	s_branch .LBB158_1930
.LBB158_1927:
                                        ; implicit-def: $vgpr5
	s_branch .LBB158_1936
.LBB158_1928:
	s_mov_b32 s21, -1
                                        ; implicit-def: $vgpr5
	s_branch .LBB158_1933
.LBB158_1929:
	s_mov_b32 s21, -1
                                        ; implicit-def: $vgpr5
.LBB158_1930:
	s_delay_alu instid0(SALU_CYCLE_1)
	s_and_not1_b32 vcc_lo, exec_lo, s21
	s_cbranch_vccnz .LBB158_1932
; %bb.1931:
	s_wait_loadcnt 0x0
	global_load_b32 v4, v[0:1], off
	s_wait_loadcnt 0x0
	v_cvt_f32_i32_e32 v4, v4
	s_delay_alu instid0(VALU_DEP_1)
	v_cvt_f16_f32_e32 v5, v4
.LBB158_1932:
	s_mov_b32 s21, 0
.LBB158_1933:
	s_delay_alu instid0(SALU_CYCLE_1)
	s_and_not1_b32 vcc_lo, exec_lo, s21
	s_cbranch_vccnz .LBB158_1935
; %bb.1934:
	s_wait_loadcnt 0x0
	global_load_u16 v4, v[0:1], off
	s_wait_loadcnt 0x0
	v_cvt_f16_i16_e32 v5, v4
.LBB158_1935:
	s_cbranch_execnz .LBB158_1941
.LBB158_1936:
	s_sext_i32_i16 s21, s1
	s_delay_alu instid0(SALU_CYCLE_1)
	s_cmp_gt_i32 s21, 0
	s_mov_b32 s21, 0
	s_cbranch_scc0 .LBB158_1938
; %bb.1937:
	s_wait_loadcnt 0x0
	global_load_i8 v4, v[0:1], off
	s_wait_loadcnt 0x0
	v_cvt_f16_i16_e32 v5, v4
	s_branch .LBB158_1939
.LBB158_1938:
	s_mov_b32 s21, -1
                                        ; implicit-def: $vgpr5
.LBB158_1939:
	s_delay_alu instid0(SALU_CYCLE_1)
	s_and_not1_b32 vcc_lo, exec_lo, s21
	s_cbranch_vccnz .LBB158_1941
; %bb.1940:
	global_load_u8 v0, v[0:1], off
	s_wait_loadcnt 0x0
	v_cvt_f16_u16_e32 v5, v0
.LBB158_1941:
	s_or_b32 s25, s25, exec_lo
.LBB158_1942:
	s_wait_xcnt 0x0
	s_or_b32 exec_lo, exec_lo, s0
	s_mov_b32 s0, 0
	s_mov_b32 s23, 0
                                        ; implicit-def: $sgpr21
                                        ; implicit-def: $vgpr0_vgpr1
                                        ; implicit-def: $vgpr4
	s_and_saveexec_b32 s22, s25
	s_cbranch_execz .LBB158_1950
; %bb.1943:
	s_wait_loadcnt 0x0
	v_cmp_gt_f16_e32 vcc_lo, v2, v3
	v_mul_lo_u32 v0, v8, s12
	s_and_b32 s21, s2, 0xff
	s_delay_alu instid0(SALU_CYCLE_1) | instskip(SKIP_1) | instid1(VALU_DEP_1)
	s_cmp_lt_i32 s21, 11
	v_cndmask_b32_e32 v1, v3, v2, vcc_lo
	v_cmp_lt_f16_e32 vcc_lo, v1, v5
	v_cndmask_b32_e32 v1, v5, v1, vcc_lo
	v_cmp_u_f16_e32 vcc_lo, v5, v5
	s_delay_alu instid0(VALU_DEP_2) | instskip(SKIP_1) | instid1(VALU_DEP_2)
	v_dual_cndmask_b32 v4, v1, v5 :: v_dual_ashrrev_i32 v1, 31, v0
	v_cmp_u_f16_e32 vcc_lo, v3, v3
	v_add_nc_u64_e32 v[0:1], s[4:5], v[0:1]
	s_delay_alu instid0(VALU_DEP_3) | instskip(SKIP_1) | instid1(VALU_DEP_2)
	v_cndmask_b32_e32 v3, v4, v3, vcc_lo
	v_cmp_u_f16_e32 vcc_lo, v2, v2
	v_cndmask_b32_e32 v4, v3, v2, vcc_lo
	s_cbranch_scc1 .LBB158_1953
; %bb.1944:
	s_and_b32 s23, 0xffff, s21
	s_mov_b32 s24, -1
	s_cmp_gt_i32 s23, 25
	s_mov_b32 s0, s19
	s_cbranch_scc0 .LBB158_1981
; %bb.1945:
	s_cmp_gt_i32 s23, 28
	s_mov_b32 s0, s19
	s_cbranch_scc0 .LBB158_1965
; %bb.1946:
	;; [unrolled: 4-line block ×4, first 2 shown]
	s_cmp_eq_u32 s23, 46
	s_mov_b32 s0, -1
	s_cbranch_scc0 .LBB158_1954
; %bb.1949:
	v_cvt_f32_f16_e32 v2, v4
	v_cmp_o_f16_e32 vcc_lo, v4, v4
	s_mov_b32 s0, 0
	s_mov_b32 s24, 0
	s_delay_alu instid0(VALU_DEP_2) | instskip(NEXT) | instid1(VALU_DEP_1)
	v_bfe_u32 v3, v2, 16, 1
	v_add3_u32 v2, v2, v3, 0x7fff
	s_delay_alu instid0(VALU_DEP_1) | instskip(NEXT) | instid1(VALU_DEP_1)
	v_lshrrev_b32_e32 v2, 16, v2
	v_cndmask_b32_e32 v2, 0x7fc0, v2, vcc_lo
	global_store_b32 v[0:1], v2, off
	s_branch .LBB158_1955
.LBB158_1950:
	s_or_b32 exec_lo, exec_lo, s22
	s_and_saveexec_b32 s22, s19
	s_cbranch_execnz .LBB158_2023
.LBB158_1951:
	s_or_b32 exec_lo, exec_lo, s22
	s_and_saveexec_b32 s19, s0
	s_delay_alu instid0(SALU_CYCLE_1)
	s_xor_b32 s0, exec_lo, s19
	s_cbranch_execz .LBB158_2024
.LBB158_1952:
	s_wait_loadcnt 0x0
	v_and_b32_e32 v2, 0x7fff, v4
	s_delay_alu instid0(VALU_DEP_1)
	v_cmp_ne_u16_e32 vcc_lo, 0, v2
	v_cndmask_b32_e64 v2, 0, 1, vcc_lo
	global_store_b8 v[0:1], v2, off
	s_wait_xcnt 0x0
	s_or_b32 exec_lo, exec_lo, s0
	s_and_saveexec_b32 s0, s23
	s_delay_alu instid0(SALU_CYCLE_1)
	s_xor_b32 s0, exec_lo, s0
	s_cbranch_execz .LBB158_2062
	s_branch .LBB158_2025
.LBB158_1953:
	s_mov_b32 s25, 0
	s_mov_b32 s24, -1
	s_mov_b32 s0, s19
	s_branch .LBB158_2022
.LBB158_1954:
	s_mov_b32 s24, 0
.LBB158_1955:
	s_delay_alu instid0(SALU_CYCLE_1)
	s_and_b32 vcc_lo, exec_lo, s24
	s_cbranch_vccz .LBB158_1960
; %bb.1956:
	s_cmp_eq_u32 s23, 44
	s_mov_b32 s0, -1
	s_cbranch_scc0 .LBB158_1960
; %bb.1957:
	s_wait_xcnt 0x0
	v_cvt_f32_f16_e32 v2, v4
	v_mov_b32_e32 v3, 0xff
	s_mov_b32 s24, exec_lo
	s_delay_alu instid0(VALU_DEP_2) | instskip(NEXT) | instid1(VALU_DEP_1)
	v_bfe_u32 v5, v2, 23, 8
	v_cmpx_ne_u32_e32 0xff, v5
	s_cbranch_execz .LBB158_1959
; %bb.1958:
	v_and_b32_e32 v3, 0x400000, v2
	v_and_or_b32 v5, 0x3fffff, v2, v5
	v_lshrrev_b32_e32 v2, 23, v2
	s_delay_alu instid0(VALU_DEP_3) | instskip(NEXT) | instid1(VALU_DEP_3)
	v_cmp_ne_u32_e32 vcc_lo, 0, v3
	v_cmp_ne_u32_e64 s0, 0, v5
	s_and_b32 s0, vcc_lo, s0
	s_delay_alu instid0(SALU_CYCLE_1) | instskip(NEXT) | instid1(VALU_DEP_1)
	v_cndmask_b32_e64 v3, 0, 1, s0
	v_add_nc_u32_e32 v3, v2, v3
.LBB158_1959:
	s_or_b32 exec_lo, exec_lo, s24
	s_mov_b32 s0, 0
	global_store_b8 v[0:1], v3, off
.LBB158_1960:
	s_mov_b32 s24, 0
.LBB158_1961:
	s_delay_alu instid0(SALU_CYCLE_1)
	s_and_b32 vcc_lo, exec_lo, s24
	s_cbranch_vccz .LBB158_1964
; %bb.1962:
	s_cmp_eq_u32 s23, 29
	s_mov_b32 s0, -1
	s_cbranch_scc0 .LBB158_1964
; %bb.1963:
	s_wait_xcnt 0x0
	v_cvt_f32_f16_e32 v2, v4
	v_mov_b32_e32 v3, 0
	s_mov_b32 s0, 0
	s_mov_b32 s24, 0
	s_delay_alu instid0(VALU_DEP_2)
	v_cvt_u32_f32_e32 v2, v2
	global_store_b64 v[0:1], v[2:3], off
	s_branch .LBB158_1965
.LBB158_1964:
	s_mov_b32 s24, 0
.LBB158_1965:
	s_delay_alu instid0(SALU_CYCLE_1)
	s_and_b32 vcc_lo, exec_lo, s24
	s_cbranch_vccz .LBB158_1980
; %bb.1966:
	s_cmp_lt_i32 s23, 27
	s_mov_b32 s24, -1
	s_cbranch_scc1 .LBB158_1972
; %bb.1967:
	s_cmp_gt_i32 s23, 27
	s_cbranch_scc0 .LBB158_1969
; %bb.1968:
	s_wait_xcnt 0x0
	v_cvt_f32_f16_e32 v2, v4
	s_mov_b32 s24, 0
	s_delay_alu instid0(VALU_DEP_1)
	v_cvt_u32_f32_e32 v2, v2
	global_store_b32 v[0:1], v2, off
.LBB158_1969:
	s_and_not1_b32 vcc_lo, exec_lo, s24
	s_cbranch_vccnz .LBB158_1971
; %bb.1970:
	s_wait_xcnt 0x0
	v_cvt_u16_f16_e32 v2, v4
	global_store_b16 v[0:1], v2, off
.LBB158_1971:
	s_mov_b32 s24, 0
.LBB158_1972:
	s_delay_alu instid0(SALU_CYCLE_1)
	s_and_not1_b32 vcc_lo, exec_lo, s24
	s_cbranch_vccnz .LBB158_1980
; %bb.1973:
	s_wait_xcnt 0x0
	v_cvt_f32_f16_e32 v2, v4
	v_mov_b32_e32 v5, 0x80
	s_mov_b32 s24, exec_lo
	s_delay_alu instid0(VALU_DEP_2) | instskip(NEXT) | instid1(VALU_DEP_1)
	v_and_b32_e32 v3, 0x7fffffff, v2
	v_cmpx_gt_u32_e32 0x43800000, v3
	s_cbranch_execz .LBB158_1979
; %bb.1974:
	v_cmp_lt_u32_e32 vcc_lo, 0x3bffffff, v3
	s_mov_b32 s25, 0
                                        ; implicit-def: $vgpr3
	s_and_saveexec_b32 s26, vcc_lo
	s_delay_alu instid0(SALU_CYCLE_1)
	s_xor_b32 s26, exec_lo, s26
	s_cbranch_execz .LBB158_2077
; %bb.1975:
	v_bfe_u32 v3, v2, 20, 1
	s_mov_b32 s25, exec_lo
	s_delay_alu instid0(VALU_DEP_1) | instskip(NEXT) | instid1(VALU_DEP_1)
	v_add3_u32 v3, v2, v3, 0x487ffff
	v_lshrrev_b32_e32 v3, 20, v3
	s_and_not1_saveexec_b32 s26, s26
	s_cbranch_execnz .LBB158_2078
.LBB158_1976:
	s_or_b32 exec_lo, exec_lo, s26
	v_mov_b32_e32 v5, 0
	s_and_saveexec_b32 s26, s25
.LBB158_1977:
	v_lshrrev_b32_e32 v2, 24, v2
	s_delay_alu instid0(VALU_DEP_1)
	v_and_or_b32 v5, 0x80, v2, v3
.LBB158_1978:
	s_or_b32 exec_lo, exec_lo, s26
.LBB158_1979:
	s_delay_alu instid0(SALU_CYCLE_1)
	s_or_b32 exec_lo, exec_lo, s24
	global_store_b8 v[0:1], v5, off
.LBB158_1980:
	s_mov_b32 s24, 0
.LBB158_1981:
	s_delay_alu instid0(SALU_CYCLE_1)
	s_and_b32 vcc_lo, exec_lo, s24
	s_mov_b32 s24, 0
	s_cbranch_vccz .LBB158_2021
; %bb.1982:
	s_cmp_gt_i32 s23, 22
	s_mov_b32 s25, -1
	s_cbranch_scc0 .LBB158_2014
; %bb.1983:
	s_cmp_lt_i32 s23, 24
	s_cbranch_scc1 .LBB158_2003
; %bb.1984:
	s_cmp_gt_i32 s23, 24
	s_cbranch_scc0 .LBB158_1992
; %bb.1985:
	s_wait_xcnt 0x0
	v_cvt_f32_f16_e32 v2, v4
	v_mov_b32_e32 v5, 0x80
	s_mov_b32 s25, exec_lo
	s_delay_alu instid0(VALU_DEP_2) | instskip(NEXT) | instid1(VALU_DEP_1)
	v_and_b32_e32 v3, 0x7fffffff, v2
	v_cmpx_gt_u32_e32 0x47800000, v3
	s_cbranch_execz .LBB158_1991
; %bb.1986:
	v_cmp_lt_u32_e32 vcc_lo, 0x37ffffff, v3
	s_mov_b32 s26, 0
                                        ; implicit-def: $vgpr3
	s_and_saveexec_b32 s27, vcc_lo
	s_delay_alu instid0(SALU_CYCLE_1)
	s_xor_b32 s27, exec_lo, s27
	s_cbranch_execz .LBB158_2203
; %bb.1987:
	v_bfe_u32 v3, v2, 21, 1
	s_mov_b32 s26, exec_lo
	s_delay_alu instid0(VALU_DEP_1) | instskip(NEXT) | instid1(VALU_DEP_1)
	v_add3_u32 v3, v2, v3, 0x88fffff
	v_lshrrev_b32_e32 v3, 21, v3
	s_and_not1_saveexec_b32 s27, s27
	s_cbranch_execnz .LBB158_2204
.LBB158_1988:
	s_or_b32 exec_lo, exec_lo, s27
	v_mov_b32_e32 v5, 0
	s_and_saveexec_b32 s27, s26
.LBB158_1989:
	v_lshrrev_b32_e32 v2, 24, v2
	s_delay_alu instid0(VALU_DEP_1)
	v_and_or_b32 v5, 0x80, v2, v3
.LBB158_1990:
	s_or_b32 exec_lo, exec_lo, s27
.LBB158_1991:
	s_delay_alu instid0(SALU_CYCLE_1)
	s_or_b32 exec_lo, exec_lo, s25
	s_mov_b32 s25, 0
	global_store_b8 v[0:1], v5, off
.LBB158_1992:
	s_and_b32 vcc_lo, exec_lo, s25
	s_cbranch_vccz .LBB158_2002
; %bb.1993:
	s_wait_xcnt 0x0
	v_cvt_f32_f16_e32 v2, v4
	s_mov_b32 s25, exec_lo
                                        ; implicit-def: $vgpr3
	s_delay_alu instid0(VALU_DEP_1) | instskip(NEXT) | instid1(VALU_DEP_1)
	v_and_b32_e32 v5, 0x7fffffff, v2
	v_cmpx_gt_u32_e32 0x43f00000, v5
	s_xor_b32 s25, exec_lo, s25
	s_cbranch_execz .LBB158_1999
; %bb.1994:
	s_mov_b32 s26, exec_lo
                                        ; implicit-def: $vgpr3
	v_cmpx_lt_u32_e32 0x3c7fffff, v5
	s_xor_b32 s26, exec_lo, s26
; %bb.1995:
	v_bfe_u32 v3, v2, 20, 1
	s_delay_alu instid0(VALU_DEP_1) | instskip(NEXT) | instid1(VALU_DEP_1)
	v_add3_u32 v3, v2, v3, 0x407ffff
	v_and_b32_e32 v5, 0xff00000, v3
	v_lshrrev_b32_e32 v3, 20, v3
	s_delay_alu instid0(VALU_DEP_2) | instskip(NEXT) | instid1(VALU_DEP_2)
	v_cmp_ne_u32_e32 vcc_lo, 0x7f00000, v5
	v_cndmask_b32_e32 v3, 0x7e, v3, vcc_lo
; %bb.1996:
	s_and_not1_saveexec_b32 s26, s26
; %bb.1997:
	v_add_f32_e64 v3, 0x46800000, |v2|
; %bb.1998:
	s_or_b32 exec_lo, exec_lo, s26
                                        ; implicit-def: $vgpr5
.LBB158_1999:
	s_and_not1_saveexec_b32 s25, s25
; %bb.2000:
	v_mov_b32_e32 v3, 0x7f
	v_cmp_lt_u32_e32 vcc_lo, 0x7f800000, v5
	s_delay_alu instid0(VALU_DEP_2)
	v_cndmask_b32_e32 v3, 0x7e, v3, vcc_lo
; %bb.2001:
	s_or_b32 exec_lo, exec_lo, s25
	v_lshrrev_b32_e32 v2, 24, v2
	s_delay_alu instid0(VALU_DEP_1)
	v_and_or_b32 v2, 0x80, v2, v3
	global_store_b8 v[0:1], v2, off
.LBB158_2002:
	s_mov_b32 s25, 0
.LBB158_2003:
	s_delay_alu instid0(SALU_CYCLE_1)
	s_and_not1_b32 vcc_lo, exec_lo, s25
	s_cbranch_vccnz .LBB158_2013
; %bb.2004:
	s_wait_xcnt 0x0
	v_cvt_f32_f16_e32 v2, v4
	s_mov_b32 s25, exec_lo
                                        ; implicit-def: $vgpr3
	s_delay_alu instid0(VALU_DEP_1) | instskip(NEXT) | instid1(VALU_DEP_1)
	v_and_b32_e32 v5, 0x7fffffff, v2
	v_cmpx_gt_u32_e32 0x47800000, v5
	s_xor_b32 s25, exec_lo, s25
	s_cbranch_execz .LBB158_2010
; %bb.2005:
	s_mov_b32 s26, exec_lo
                                        ; implicit-def: $vgpr3
	v_cmpx_lt_u32_e32 0x387fffff, v5
	s_xor_b32 s26, exec_lo, s26
; %bb.2006:
	v_bfe_u32 v3, v2, 21, 1
	s_delay_alu instid0(VALU_DEP_1) | instskip(NEXT) | instid1(VALU_DEP_1)
	v_add3_u32 v3, v2, v3, 0x80fffff
	v_lshrrev_b32_e32 v3, 21, v3
; %bb.2007:
	s_and_not1_saveexec_b32 s26, s26
; %bb.2008:
	v_add_f32_e64 v3, 0x43000000, |v2|
; %bb.2009:
	s_or_b32 exec_lo, exec_lo, s26
                                        ; implicit-def: $vgpr5
.LBB158_2010:
	s_and_not1_saveexec_b32 s25, s25
; %bb.2011:
	v_mov_b32_e32 v3, 0x7f
	v_cmp_lt_u32_e32 vcc_lo, 0x7f800000, v5
	s_delay_alu instid0(VALU_DEP_2)
	v_cndmask_b32_e32 v3, 0x7c, v3, vcc_lo
; %bb.2012:
	s_or_b32 exec_lo, exec_lo, s25
	v_lshrrev_b32_e32 v2, 24, v2
	s_delay_alu instid0(VALU_DEP_1)
	v_and_or_b32 v2, 0x80, v2, v3
	global_store_b8 v[0:1], v2, off
.LBB158_2013:
	s_mov_b32 s25, 0
.LBB158_2014:
	s_delay_alu instid0(SALU_CYCLE_1)
	s_and_not1_b32 vcc_lo, exec_lo, s25
	s_mov_b32 s25, 0
	s_cbranch_vccnz .LBB158_2022
; %bb.2015:
	s_cmp_gt_i32 s23, 14
	s_mov_b32 s25, -1
	s_cbranch_scc0 .LBB158_2019
; %bb.2016:
	s_cmp_eq_u32 s23, 15
	s_mov_b32 s0, -1
	s_cbranch_scc0 .LBB158_2018
; %bb.2017:
	s_wait_xcnt 0x0
	v_cvt_f32_f16_e32 v2, v4
	v_cmp_o_f16_e32 vcc_lo, v4, v4
	s_mov_b32 s0, 0
	s_delay_alu instid0(VALU_DEP_2) | instskip(NEXT) | instid1(VALU_DEP_1)
	v_bfe_u32 v3, v2, 16, 1
	v_add3_u32 v2, v2, v3, 0x7fff
	s_delay_alu instid0(VALU_DEP_1) | instskip(NEXT) | instid1(VALU_DEP_1)
	v_lshrrev_b32_e32 v2, 16, v2
	v_cndmask_b32_e32 v2, 0x7fc0, v2, vcc_lo
	global_store_b16 v[0:1], v2, off
.LBB158_2018:
	s_mov_b32 s25, 0
.LBB158_2019:
	s_delay_alu instid0(SALU_CYCLE_1)
	s_and_b32 vcc_lo, exec_lo, s25
	s_mov_b32 s25, 0
	s_cbranch_vccz .LBB158_2022
; %bb.2020:
	s_cmp_lg_u32 s23, 11
	s_mov_b32 s25, -1
	s_cselect_b32 s23, -1, 0
	s_and_not1_b32 s0, s0, exec_lo
	s_and_b32 s23, s23, exec_lo
	s_delay_alu instid0(SALU_CYCLE_1)
	s_or_b32 s0, s0, s23
	s_branch .LBB158_2022
.LBB158_2021:
	s_mov_b32 s25, 0
.LBB158_2022:
	s_and_b32 s23, s24, exec_lo
	s_and_not1_b32 s19, s19, exec_lo
	s_and_b32 s24, s0, exec_lo
	s_and_b32 s0, s25, exec_lo
	s_or_b32 s19, s19, s24
	s_wait_xcnt 0x0
	s_or_b32 exec_lo, exec_lo, s22
	s_and_saveexec_b32 s22, s19
	s_cbranch_execz .LBB158_1951
.LBB158_2023:
	s_or_b32 s20, s20, exec_lo
	s_and_not1_b32 s0, s0, exec_lo
	s_trap 2
	s_or_b32 exec_lo, exec_lo, s22
	s_and_saveexec_b32 s19, s0
	s_delay_alu instid0(SALU_CYCLE_1)
	s_xor_b32 s0, exec_lo, s19
	s_cbranch_execnz .LBB158_1952
.LBB158_2024:
	s_or_b32 exec_lo, exec_lo, s0
	s_and_saveexec_b32 s0, s23
	s_delay_alu instid0(SALU_CYCLE_1)
	s_xor_b32 s0, exec_lo, s0
	s_cbranch_execz .LBB158_2062
.LBB158_2025:
	s_sext_i32_i16 s22, s21
	s_mov_b32 s19, -1
	s_cmp_lt_i32 s22, 5
	s_cbranch_scc1 .LBB158_2046
; %bb.2026:
	s_cmp_lt_i32 s22, 8
	s_cbranch_scc1 .LBB158_2036
; %bb.2027:
	;; [unrolled: 3-line block ×3, first 2 shown]
	s_cmp_gt_i32 s22, 9
	s_cbranch_scc0 .LBB158_2030
; %bb.2029:
	s_wait_loadcnt 0x0
	v_cvt_f32_f16_e32 v2, v4
	v_mov_b32_e32 v8, 0
	s_mov_b32 s19, 0
	s_delay_alu instid0(VALU_DEP_2) | instskip(NEXT) | instid1(VALU_DEP_2)
	v_cvt_f64_f32_e32 v[6:7], v2
	v_mov_b32_e32 v9, v8
	global_store_b128 v[0:1], v[6:9], off
.LBB158_2030:
	s_and_not1_b32 vcc_lo, exec_lo, s19
	s_cbranch_vccnz .LBB158_2032
; %bb.2031:
	s_wait_loadcnt 0x0
	v_cvt_f32_f16_e32 v2, v4
	v_mov_b32_e32 v3, 0
	global_store_b64 v[0:1], v[2:3], off
.LBB158_2032:
	s_mov_b32 s19, 0
.LBB158_2033:
	s_delay_alu instid0(SALU_CYCLE_1)
	s_and_not1_b32 vcc_lo, exec_lo, s19
	s_cbranch_vccnz .LBB158_2035
; %bb.2034:
	s_wait_loadcnt 0x0
	v_and_b32_e32 v2, 0xffff, v4
	global_store_b32 v[0:1], v2, off
.LBB158_2035:
	s_mov_b32 s19, 0
.LBB158_2036:
	s_delay_alu instid0(SALU_CYCLE_1)
	s_and_not1_b32 vcc_lo, exec_lo, s19
	s_cbranch_vccnz .LBB158_2045
; %bb.2037:
	s_sext_i32_i16 s22, s21
	s_mov_b32 s19, -1
	s_cmp_lt_i32 s22, 6
	s_cbranch_scc1 .LBB158_2043
; %bb.2038:
	s_cmp_gt_i32 s22, 6
	s_cbranch_scc0 .LBB158_2040
; %bb.2039:
	s_wait_loadcnt 0x0
	v_cvt_f32_f16_e32 v2, v4
	s_mov_b32 s19, 0
	s_delay_alu instid0(VALU_DEP_1)
	v_cvt_f64_f32_e32 v[2:3], v2
	global_store_b64 v[0:1], v[2:3], off
.LBB158_2040:
	s_and_not1_b32 vcc_lo, exec_lo, s19
	s_cbranch_vccnz .LBB158_2042
; %bb.2041:
	s_wait_loadcnt 0x0
	v_cvt_f32_f16_e32 v2, v4
	global_store_b32 v[0:1], v2, off
.LBB158_2042:
	s_mov_b32 s19, 0
.LBB158_2043:
	s_delay_alu instid0(SALU_CYCLE_1)
	s_and_not1_b32 vcc_lo, exec_lo, s19
	s_cbranch_vccnz .LBB158_2045
; %bb.2044:
	s_wait_loadcnt 0x0
	global_store_b16 v[0:1], v4, off
.LBB158_2045:
	s_mov_b32 s19, 0
.LBB158_2046:
	s_delay_alu instid0(SALU_CYCLE_1)
	s_and_not1_b32 vcc_lo, exec_lo, s19
	s_cbranch_vccnz .LBB158_2062
; %bb.2047:
	s_sext_i32_i16 s22, s21
	s_mov_b32 s19, -1
	s_cmp_lt_i32 s22, 2
	s_cbranch_scc1 .LBB158_2057
; %bb.2048:
	s_cmp_lt_i32 s22, 3
	s_cbranch_scc1 .LBB158_2054
; %bb.2049:
	s_cmp_gt_i32 s22, 3
	s_cbranch_scc0 .LBB158_2051
; %bb.2050:
	s_wait_loadcnt 0x0
	v_cvt_f32_f16_e32 v2, v4
	s_mov_b32 s19, 0
	s_delay_alu instid0(VALU_DEP_1) | instskip(NEXT) | instid1(VALU_DEP_1)
	v_cvt_i32_f32_e32 v2, v2
	v_ashrrev_i32_e32 v3, 31, v2
	global_store_b64 v[0:1], v[2:3], off
.LBB158_2051:
	s_and_not1_b32 vcc_lo, exec_lo, s19
	s_cbranch_vccnz .LBB158_2053
; %bb.2052:
	s_wait_loadcnt 0x0
	v_cvt_f32_f16_e32 v2, v4
	s_delay_alu instid0(VALU_DEP_1)
	v_cvt_i32_f32_e32 v2, v2
	global_store_b32 v[0:1], v2, off
.LBB158_2053:
	s_mov_b32 s19, 0
.LBB158_2054:
	s_delay_alu instid0(SALU_CYCLE_1)
	s_and_not1_b32 vcc_lo, exec_lo, s19
	s_cbranch_vccnz .LBB158_2056
; %bb.2055:
	s_wait_loadcnt 0x0
	v_cvt_i16_f16_e32 v2, v4
	global_store_b16 v[0:1], v2, off
.LBB158_2056:
	s_mov_b32 s19, 0
.LBB158_2057:
	s_delay_alu instid0(SALU_CYCLE_1)
	s_and_not1_b32 vcc_lo, exec_lo, s19
	s_cbranch_vccnz .LBB158_2062
; %bb.2058:
	s_sext_i32_i16 s19, s21
	s_delay_alu instid0(SALU_CYCLE_1)
	s_cmp_gt_i32 s19, 0
	s_mov_b32 s19, -1
	s_cbranch_scc0 .LBB158_2060
; %bb.2059:
	s_wait_loadcnt 0x0
	v_cvt_i16_f16_e32 v2, v4
	s_mov_b32 s19, 0
	global_store_b8 v[0:1], v2, off
.LBB158_2060:
	s_and_not1_b32 vcc_lo, exec_lo, s19
	s_cbranch_vccnz .LBB158_2062
; %bb.2061:
	s_wait_loadcnt 0x0
	v_cvt_f32_f16_e32 v2, v4
	s_delay_alu instid0(VALU_DEP_1)
	v_cvt_i32_f32_e32 v2, v2
	global_store_b8 v[0:1], v2, off
.LBB158_2062:
	s_wait_xcnt 0x0
	s_or_b32 exec_lo, exec_lo, s0
	s_delay_alu instid0(SALU_CYCLE_1)
	s_and_b32 s19, s20, exec_lo
                                        ; implicit-def: $vgpr8
.LBB158_2063:
	s_or_saveexec_b32 s18, s18
	s_mov_b32 s0, 0
                                        ; implicit-def: $sgpr20
                                        ; implicit-def: $vgpr0_vgpr1
                                        ; implicit-def: $vgpr4
	s_xor_b32 exec_lo, exec_lo, s18
	s_cbranch_execz .LBB158_4067
; %bb.2064:
	v_mul_lo_u32 v0, s13, v8
	s_and_b32 s17, s17, 0xff
	s_delay_alu instid0(SALU_CYCLE_1) | instskip(NEXT) | instid1(VALU_DEP_1)
	s_cmp_lt_i32 s17, 11
	v_ashrrev_i32_e32 v1, 31, v0
	s_wait_loadcnt 0x0
	s_delay_alu instid0(VALU_DEP_1)
	v_add_nc_u64_e32 v[2:3], s[6:7], v[0:1]
	s_cbranch_scc1 .LBB158_2071
; %bb.2065:
	s_and_b32 s0, 0xffff, s17
	s_mov_b32 s20, 0
	s_cmp_gt_i32 s0, 25
	s_cbranch_scc0 .LBB158_2073
; %bb.2066:
	s_cmp_gt_i32 s0, 28
	s_cbranch_scc0 .LBB158_2074
; %bb.2067:
	;; [unrolled: 3-line block ×4, first 2 shown]
	s_cmp_eq_u32 s0, 46
	s_mov_b32 s22, 0
	s_cbranch_scc0 .LBB158_2079
; %bb.2070:
	global_load_b32 v1, v[2:3], off
	s_mov_b32 s21, -1
	s_wait_loadcnt 0x0
	v_lshlrev_b32_e32 v1, 16, v1
	s_delay_alu instid0(VALU_DEP_1)
	v_cvt_f16_f32_e32 v9, v1
	s_branch .LBB158_2081
.LBB158_2071:
	s_mov_b32 s21, 0
	s_mov_b32 s16, s19
                                        ; implicit-def: $vgpr9
	s_cbranch_execnz .LBB158_2144
.LBB158_2072:
	s_and_not1_b32 vcc_lo, exec_lo, s21
	s_cbranch_vccz .LBB158_2189
	s_branch .LBB158_4065
.LBB158_2073:
	s_mov_b32 s21, 0
                                        ; implicit-def: $vgpr9
	s_cbranch_execnz .LBB158_2109
	s_branch .LBB158_2140
.LBB158_2074:
	s_mov_b32 s22, -1
	s_mov_b32 s21, 0
                                        ; implicit-def: $vgpr9
	s_branch .LBB158_2090
.LBB158_2075:
	s_mov_b32 s21, 0
                                        ; implicit-def: $vgpr9
	s_cbranch_execnz .LBB158_2086
	s_branch .LBB158_2089
.LBB158_2076:
	s_mov_b32 s22, -1
	s_branch .LBB158_2080
.LBB158_2077:
	s_and_not1_saveexec_b32 s26, s26
	s_cbranch_execz .LBB158_1976
.LBB158_2078:
	v_add_f32_e64 v3, 0x46000000, |v2|
	s_and_not1_b32 s25, s25, exec_lo
	s_delay_alu instid0(VALU_DEP_1) | instskip(NEXT) | instid1(VALU_DEP_1)
	v_and_b32_e32 v3, 0xff, v3
	v_cmp_ne_u32_e32 vcc_lo, 0, v3
	s_and_b32 s27, vcc_lo, exec_lo
	s_delay_alu instid0(SALU_CYCLE_1)
	s_or_b32 s25, s25, s27
	s_or_b32 exec_lo, exec_lo, s26
	v_mov_b32_e32 v5, 0
	s_and_saveexec_b32 s26, s25
	s_cbranch_execnz .LBB158_1977
	s_branch .LBB158_1978
.LBB158_2079:
	s_mov_b32 s16, -1
.LBB158_2080:
	s_mov_b32 s21, 0
                                        ; implicit-def: $vgpr9
.LBB158_2081:
	s_and_b32 vcc_lo, exec_lo, s22
	s_cbranch_vccz .LBB158_2084
; %bb.2082:
	s_cmp_eq_u32 s0, 44
	s_cbranch_scc0 .LBB158_2085
; %bb.2083:
	global_load_u8 v1, v[2:3], off
	s_mov_b32 s16, 0
	s_mov_b32 s21, -1
	s_wait_loadcnt 0x0
	v_lshlrev_b32_e32 v4, 23, v1
	v_cmp_ne_u32_e32 vcc_lo, 0xff, v1
	s_delay_alu instid0(VALU_DEP_2) | instskip(NEXT) | instid1(VALU_DEP_1)
	v_cvt_f16_f32_e32 v4, v4
	v_cndmask_b32_e32 v4, 0x7e00, v4, vcc_lo
	v_cmp_ne_u32_e32 vcc_lo, 0, v1
	s_delay_alu instid0(VALU_DEP_2)
	v_cndmask_b32_e32 v9, 0, v4, vcc_lo
.LBB158_2084:
	s_branch .LBB158_2089
.LBB158_2085:
	s_mov_b32 s16, -1
                                        ; implicit-def: $vgpr9
	s_branch .LBB158_2089
.LBB158_2086:
	s_cmp_eq_u32 s0, 29
	s_cbranch_scc0 .LBB158_2088
; %bb.2087:
	global_load_b64 v[4:5], v[2:3], off
	s_mov_b32 s16, 0
	s_mov_b32 s21, -1
	s_mov_b32 s22, 0
	s_wait_loadcnt 0x0
	v_clz_i32_u32_e32 v1, v5
	s_delay_alu instid0(VALU_DEP_1) | instskip(NEXT) | instid1(VALU_DEP_1)
	v_min_u32_e32 v1, 32, v1
	v_lshlrev_b64_e32 v[4:5], v1, v[4:5]
	v_sub_nc_u32_e32 v1, 32, v1
	s_delay_alu instid0(VALU_DEP_2) | instskip(NEXT) | instid1(VALU_DEP_1)
	v_min_u32_e32 v4, 1, v4
	v_or_b32_e32 v4, v5, v4
	s_delay_alu instid0(VALU_DEP_1) | instskip(NEXT) | instid1(VALU_DEP_1)
	v_cvt_f32_u32_e32 v4, v4
	v_ldexp_f32 v1, v4, v1
	s_delay_alu instid0(VALU_DEP_1)
	v_cvt_f16_f32_e32 v9, v1
	s_branch .LBB158_2090
.LBB158_2088:
	s_mov_b32 s16, -1
                                        ; implicit-def: $vgpr9
.LBB158_2089:
	s_mov_b32 s22, 0
.LBB158_2090:
	s_delay_alu instid0(SALU_CYCLE_1)
	s_and_b32 vcc_lo, exec_lo, s22
	s_cbranch_vccz .LBB158_2108
; %bb.2091:
	s_cmp_lt_i32 s0, 27
	s_cbranch_scc1 .LBB158_2094
; %bb.2092:
	s_cmp_gt_i32 s0, 27
	s_cbranch_scc0 .LBB158_2095
; %bb.2093:
	global_load_b32 v1, v[2:3], off
	s_mov_b32 s21, 0
	s_wait_loadcnt 0x0
	v_cvt_f32_u32_e32 v1, v1
	s_delay_alu instid0(VALU_DEP_1)
	v_cvt_f16_f32_e32 v9, v1
	s_branch .LBB158_2096
.LBB158_2094:
	s_mov_b32 s21, -1
                                        ; implicit-def: $vgpr9
	s_branch .LBB158_2099
.LBB158_2095:
	s_mov_b32 s21, -1
                                        ; implicit-def: $vgpr9
.LBB158_2096:
	s_delay_alu instid0(SALU_CYCLE_1)
	s_and_not1_b32 vcc_lo, exec_lo, s21
	s_cbranch_vccnz .LBB158_2098
; %bb.2097:
	global_load_u16 v1, v[2:3], off
	s_wait_loadcnt 0x0
	v_cvt_f16_u16_e32 v9, v1
.LBB158_2098:
	s_mov_b32 s21, 0
.LBB158_2099:
	s_delay_alu instid0(SALU_CYCLE_1)
	s_and_not1_b32 vcc_lo, exec_lo, s21
	s_cbranch_vccnz .LBB158_2107
; %bb.2100:
	global_load_u8 v1, v[2:3], off
	s_mov_b32 s21, 0
	s_mov_b32 s22, exec_lo
	s_wait_loadcnt 0x0
	v_cmpx_lt_i16_e32 0x7f, v1
	s_xor_b32 s22, exec_lo, s22
	s_cbranch_execz .LBB158_2120
; %bb.2101:
	s_mov_b32 s21, -1
	s_mov_b32 s23, exec_lo
	v_cmpx_eq_u16_e32 0x80, v1
; %bb.2102:
	s_xor_b32 s21, exec_lo, -1
; %bb.2103:
	s_or_b32 exec_lo, exec_lo, s23
	s_delay_alu instid0(SALU_CYCLE_1)
	s_and_b32 s21, s21, exec_lo
	s_or_saveexec_b32 s22, s22
	v_mov_b32_e32 v9, 0x7e00
	s_xor_b32 exec_lo, exec_lo, s22
	s_cbranch_execnz .LBB158_2121
.LBB158_2104:
	s_or_b32 exec_lo, exec_lo, s22
	s_and_saveexec_b32 s22, s21
	s_cbranch_execz .LBB158_2106
.LBB158_2105:
	v_and_b32_e32 v4, 0xffff, v1
	s_delay_alu instid0(VALU_DEP_1) | instskip(SKIP_1) | instid1(VALU_DEP_2)
	v_and_b32_e32 v5, 7, v4
	v_bfe_u32 v9, v4, 3, 4
	v_clz_i32_u32_e32 v6, v5
	s_delay_alu instid0(VALU_DEP_2) | instskip(NEXT) | instid1(VALU_DEP_2)
	v_cmp_eq_u32_e32 vcc_lo, 0, v9
	v_min_u32_e32 v6, 32, v6
	s_delay_alu instid0(VALU_DEP_1) | instskip(NEXT) | instid1(VALU_DEP_1)
	v_subrev_nc_u32_e32 v7, 28, v6
	v_dual_lshlrev_b32 v4, v7, v4 :: v_dual_sub_nc_u32 v6, 29, v6
	s_delay_alu instid0(VALU_DEP_1) | instskip(NEXT) | instid1(VALU_DEP_2)
	v_dual_lshlrev_b32 v1, 24, v1 :: v_dual_bitop2_b32 v4, 7, v4 bitop3:0x40
	v_cndmask_b32_e32 v6, v9, v6, vcc_lo
	s_delay_alu instid0(VALU_DEP_2) | instskip(NEXT) | instid1(VALU_DEP_3)
	v_cndmask_b32_e32 v4, v5, v4, vcc_lo
	v_and_b32_e32 v1, 0x80000000, v1
	s_delay_alu instid0(VALU_DEP_3) | instskip(NEXT) | instid1(VALU_DEP_3)
	v_lshl_add_u32 v5, v6, 23, 0x3b800000
	v_lshlrev_b32_e32 v4, 20, v4
	s_delay_alu instid0(VALU_DEP_1) | instskip(NEXT) | instid1(VALU_DEP_1)
	v_or3_b32 v1, v1, v5, v4
	v_cvt_f16_f32_e32 v9, v1
.LBB158_2106:
	s_or_b32 exec_lo, exec_lo, s22
.LBB158_2107:
	s_mov_b32 s21, -1
.LBB158_2108:
	s_branch .LBB158_2140
.LBB158_2109:
	s_cmp_gt_i32 s0, 22
	s_cbranch_scc0 .LBB158_2119
; %bb.2110:
	s_cmp_lt_i32 s0, 24
	s_cbranch_scc1 .LBB158_2122
; %bb.2111:
	s_cmp_gt_i32 s0, 24
	s_cbranch_scc0 .LBB158_2123
; %bb.2112:
	global_load_u8 v1, v[2:3], off
	s_mov_b32 s21, exec_lo
	s_wait_loadcnt 0x0
	v_cmpx_lt_i16_e32 0x7f, v1
	s_xor_b32 s21, exec_lo, s21
	s_cbranch_execz .LBB158_2134
; %bb.2113:
	s_mov_b32 s20, -1
	s_mov_b32 s22, exec_lo
	v_cmpx_eq_u16_e32 0x80, v1
; %bb.2114:
	s_xor_b32 s20, exec_lo, -1
; %bb.2115:
	s_or_b32 exec_lo, exec_lo, s22
	s_delay_alu instid0(SALU_CYCLE_1)
	s_and_b32 s20, s20, exec_lo
	s_or_saveexec_b32 s21, s21
	v_mov_b32_e32 v9, 0x7e00
	s_xor_b32 exec_lo, exec_lo, s21
	s_cbranch_execnz .LBB158_2135
.LBB158_2116:
	s_or_b32 exec_lo, exec_lo, s21
	s_and_saveexec_b32 s21, s20
	s_cbranch_execz .LBB158_2118
.LBB158_2117:
	v_and_b32_e32 v4, 0xffff, v1
	s_delay_alu instid0(VALU_DEP_1) | instskip(SKIP_1) | instid1(VALU_DEP_2)
	v_and_b32_e32 v5, 3, v4
	v_bfe_u32 v9, v4, 2, 5
	v_clz_i32_u32_e32 v6, v5
	s_delay_alu instid0(VALU_DEP_2) | instskip(NEXT) | instid1(VALU_DEP_2)
	v_cmp_eq_u32_e32 vcc_lo, 0, v9
	v_min_u32_e32 v6, 32, v6
	s_delay_alu instid0(VALU_DEP_1) | instskip(NEXT) | instid1(VALU_DEP_1)
	v_subrev_nc_u32_e32 v7, 29, v6
	v_dual_lshlrev_b32 v4, v7, v4 :: v_dual_sub_nc_u32 v6, 30, v6
	s_delay_alu instid0(VALU_DEP_1) | instskip(NEXT) | instid1(VALU_DEP_2)
	v_dual_lshlrev_b32 v1, 24, v1 :: v_dual_bitop2_b32 v4, 3, v4 bitop3:0x40
	v_cndmask_b32_e32 v6, v9, v6, vcc_lo
	s_delay_alu instid0(VALU_DEP_2) | instskip(NEXT) | instid1(VALU_DEP_3)
	v_cndmask_b32_e32 v4, v5, v4, vcc_lo
	v_and_b32_e32 v1, 0x80000000, v1
	s_delay_alu instid0(VALU_DEP_3) | instskip(NEXT) | instid1(VALU_DEP_3)
	v_lshl_add_u32 v5, v6, 23, 0x37800000
	v_lshlrev_b32_e32 v4, 21, v4
	s_delay_alu instid0(VALU_DEP_1) | instskip(NEXT) | instid1(VALU_DEP_1)
	v_or3_b32 v1, v1, v5, v4
	v_cvt_f16_f32_e32 v9, v1
.LBB158_2118:
	s_or_b32 exec_lo, exec_lo, s21
	s_mov_b32 s20, 0
	s_branch .LBB158_2124
.LBB158_2119:
                                        ; implicit-def: $vgpr9
	s_mov_b32 s20, 0
	s_branch .LBB158_2130
.LBB158_2120:
	s_or_saveexec_b32 s22, s22
	v_mov_b32_e32 v9, 0x7e00
	s_xor_b32 exec_lo, exec_lo, s22
	s_cbranch_execz .LBB158_2104
.LBB158_2121:
	v_cmp_ne_u16_e32 vcc_lo, 0, v1
	v_mov_b32_e32 v9, v1
	s_and_not1_b32 s21, s21, exec_lo
	s_and_b32 s23, vcc_lo, exec_lo
	s_delay_alu instid0(SALU_CYCLE_1)
	s_or_b32 s21, s21, s23
	s_or_b32 exec_lo, exec_lo, s22
	s_and_saveexec_b32 s22, s21
	s_cbranch_execnz .LBB158_2105
	s_branch .LBB158_2106
.LBB158_2122:
	s_mov_b32 s20, -1
                                        ; implicit-def: $vgpr9
	s_branch .LBB158_2127
.LBB158_2123:
	s_mov_b32 s20, -1
                                        ; implicit-def: $vgpr9
.LBB158_2124:
	s_delay_alu instid0(SALU_CYCLE_1)
	s_and_b32 vcc_lo, exec_lo, s20
	s_cbranch_vccz .LBB158_2126
; %bb.2125:
	global_load_u8 v1, v[2:3], off
	s_wait_loadcnt 0x0
	v_lshlrev_b32_e32 v1, 24, v1
	s_delay_alu instid0(VALU_DEP_1) | instskip(NEXT) | instid1(VALU_DEP_1)
	v_and_b32_e32 v4, 0x7f000000, v1
	v_clz_i32_u32_e32 v5, v4
	v_cmp_ne_u32_e32 vcc_lo, 0, v4
	v_add_nc_u32_e32 v7, 0x1000000, v4
	s_delay_alu instid0(VALU_DEP_3) | instskip(NEXT) | instid1(VALU_DEP_1)
	v_min_u32_e32 v5, 32, v5
	v_sub_nc_u32_e64 v5, v5, 4 clamp
	s_delay_alu instid0(VALU_DEP_1) | instskip(NEXT) | instid1(VALU_DEP_1)
	v_dual_lshlrev_b32 v6, v5, v4 :: v_dual_lshlrev_b32 v5, 23, v5
	v_lshrrev_b32_e32 v6, 4, v6
	s_delay_alu instid0(VALU_DEP_1) | instskip(NEXT) | instid1(VALU_DEP_1)
	v_dual_sub_nc_u32 v5, v6, v5 :: v_dual_ashrrev_i32 v6, 8, v7
	v_add_nc_u32_e32 v5, 0x3c000000, v5
	s_delay_alu instid0(VALU_DEP_1) | instskip(NEXT) | instid1(VALU_DEP_1)
	v_and_or_b32 v5, 0x7f800000, v6, v5
	v_cndmask_b32_e32 v4, 0, v5, vcc_lo
	s_delay_alu instid0(VALU_DEP_1) | instskip(NEXT) | instid1(VALU_DEP_1)
	v_and_or_b32 v1, 0x80000000, v1, v4
	v_cvt_f16_f32_e32 v9, v1
.LBB158_2126:
	s_mov_b32 s20, 0
.LBB158_2127:
	s_delay_alu instid0(SALU_CYCLE_1)
	s_and_not1_b32 vcc_lo, exec_lo, s20
	s_cbranch_vccnz .LBB158_2129
; %bb.2128:
	global_load_u8 v1, v[2:3], off
	s_wait_loadcnt 0x0
	v_lshlrev_b32_e32 v4, 25, v1
	v_lshlrev_b16 v1, 8, v1
	s_delay_alu instid0(VALU_DEP_1) | instskip(SKIP_1) | instid1(VALU_DEP_2)
	v_and_or_b32 v6, 0x7f00, v1, 0.5
	v_bfe_i32 v1, v1, 0, 16
	v_dual_add_f32 v6, -0.5, v6 :: v_dual_lshrrev_b32 v5, 4, v4
	v_cmp_gt_u32_e32 vcc_lo, 0x8000000, v4
	s_delay_alu instid0(VALU_DEP_2) | instskip(NEXT) | instid1(VALU_DEP_1)
	v_or_b32_e32 v5, 0x70000000, v5
	v_mul_f32_e32 v5, 0x7800000, v5
	s_delay_alu instid0(VALU_DEP_1) | instskip(NEXT) | instid1(VALU_DEP_1)
	v_cndmask_b32_e32 v4, v5, v6, vcc_lo
	v_and_or_b32 v1, 0x80000000, v1, v4
	s_delay_alu instid0(VALU_DEP_1)
	v_cvt_f16_f32_e32 v9, v1
.LBB158_2129:
	s_mov_b32 s21, -1
	s_mov_b32 s20, 0
	s_cbranch_execnz .LBB158_2140
.LBB158_2130:
	s_cmp_gt_i32 s0, 14
	s_cbranch_scc0 .LBB158_2133
; %bb.2131:
	s_cmp_eq_u32 s0, 15
	s_cbranch_scc0 .LBB158_2136
; %bb.2132:
	global_load_u16 v1, v[2:3], off
	s_mov_b32 s16, 0
	s_mov_b32 s21, -1
	s_wait_loadcnt 0x0
	v_lshlrev_b32_e32 v1, 16, v1
	s_delay_alu instid0(VALU_DEP_1)
	v_cvt_f16_f32_e32 v9, v1
	s_branch .LBB158_2138
.LBB158_2133:
	s_mov_b32 s20, -1
	s_branch .LBB158_2137
.LBB158_2134:
	s_or_saveexec_b32 s21, s21
	v_mov_b32_e32 v9, 0x7e00
	s_xor_b32 exec_lo, exec_lo, s21
	s_cbranch_execz .LBB158_2116
.LBB158_2135:
	v_cmp_ne_u16_e32 vcc_lo, 0, v1
	v_mov_b32_e32 v9, v1
	s_and_not1_b32 s20, s20, exec_lo
	s_and_b32 s22, vcc_lo, exec_lo
	s_delay_alu instid0(SALU_CYCLE_1)
	s_or_b32 s20, s20, s22
	s_or_b32 exec_lo, exec_lo, s21
	s_and_saveexec_b32 s21, s20
	s_cbranch_execnz .LBB158_2117
	s_branch .LBB158_2118
.LBB158_2136:
	s_mov_b32 s16, -1
.LBB158_2137:
                                        ; implicit-def: $vgpr9
.LBB158_2138:
	s_and_b32 vcc_lo, exec_lo, s20
	s_mov_b32 s20, 0
	s_cbranch_vccz .LBB158_2140
; %bb.2139:
	s_cmp_lg_u32 s0, 11
	s_mov_b32 s20, -1
	s_cselect_b32 s16, -1, 0
.LBB158_2140:
	s_delay_alu instid0(SALU_CYCLE_1)
	s_and_b32 vcc_lo, exec_lo, s16
	s_mov_b32 s16, s19
	s_cbranch_vccnz .LBB158_2201
; %bb.2141:
	s_and_not1_b32 vcc_lo, exec_lo, s20
	s_cbranch_vccnz .LBB158_2143
.LBB158_2142:
	global_load_u8 v1, v[2:3], off
	s_mov_b32 s21, -1
	s_wait_loadcnt 0x0
	v_cmp_ne_u16_e32 vcc_lo, 0, v1
	v_cndmask_b32_e64 v9, 0, 0x3c00, vcc_lo
.LBB158_2143:
	s_branch .LBB158_2072
.LBB158_2144:
	s_and_b32 s0, 0xffff, s17
	s_delay_alu instid0(SALU_CYCLE_1)
	s_cmp_lt_i32 s0, 5
	s_cbranch_scc1 .LBB158_2149
; %bb.2145:
	s_cmp_lt_i32 s0, 8
	s_cbranch_scc1 .LBB158_2150
; %bb.2146:
	;; [unrolled: 3-line block ×3, first 2 shown]
	s_cmp_gt_i32 s0, 9
	s_cbranch_scc0 .LBB158_2152
; %bb.2148:
	global_load_b64 v[4:5], v[2:3], off
	s_mov_b32 s20, 0
	s_wait_loadcnt 0x0
	v_and_or_b32 v1, 0x1ff, v5, v4
	v_lshrrev_b32_e32 v4, 8, v5
	v_bfe_u32 v6, v5, 20, 11
	s_delay_alu instid0(VALU_DEP_3) | instskip(NEXT) | instid1(VALU_DEP_2)
	v_cmp_ne_u32_e32 vcc_lo, 0, v1
	v_sub_nc_u32_e32 v7, 0x3f1, v6
	v_add_nc_u32_e32 v6, 0xfffffc10, v6
	v_cndmask_b32_e64 v1, 0, 1, vcc_lo
	s_delay_alu instid0(VALU_DEP_1) | instskip(NEXT) | instid1(VALU_DEP_4)
	v_and_or_b32 v1, 0xffe, v4, v1
	v_med3_i32 v4, v7, 0, 13
	s_delay_alu instid0(VALU_DEP_2) | instskip(NEXT) | instid1(VALU_DEP_1)
	v_or_b32_e32 v7, 0x1000, v1
	v_lshrrev_b32_e32 v9, v4, v7
	s_delay_alu instid0(VALU_DEP_1) | instskip(NEXT) | instid1(VALU_DEP_1)
	v_lshlrev_b32_e32 v4, v4, v9
	v_cmp_ne_u32_e32 vcc_lo, v4, v7
	v_lshl_or_b32 v7, v6, 12, v1
	v_cndmask_b32_e64 v4, 0, 1, vcc_lo
	v_cmp_gt_i32_e32 vcc_lo, 1, v6
	s_delay_alu instid0(VALU_DEP_2) | instskip(NEXT) | instid1(VALU_DEP_1)
	v_or_b32_e32 v4, v9, v4
	v_cndmask_b32_e32 v4, v7, v4, vcc_lo
	s_delay_alu instid0(VALU_DEP_1) | instskip(NEXT) | instid1(VALU_DEP_1)
	v_dual_lshrrev_b32 v4, 2, v4 :: v_dual_bitop2_b32 v7, 7, v4 bitop3:0x40
	v_cmp_lt_i32_e32 vcc_lo, 5, v7
	v_cndmask_b32_e64 v9, 0, 1, vcc_lo
	v_cmp_eq_u32_e32 vcc_lo, 3, v7
	v_cndmask_b32_e64 v7, 0, 1, vcc_lo
	v_cmp_ne_u32_e32 vcc_lo, 0, v1
	s_delay_alu instid0(VALU_DEP_2) | instskip(NEXT) | instid1(VALU_DEP_1)
	v_or_b32_e32 v7, v7, v9
	v_dual_mov_b32 v9, 0x7e00 :: v_dual_add_nc_u32 v4, v4, v7
	s_delay_alu instid0(VALU_DEP_1) | instskip(SKIP_1) | instid1(VALU_DEP_3)
	v_cndmask_b32_e32 v1, 0x7c00, v9, vcc_lo
	v_cmp_gt_i32_e32 vcc_lo, 31, v6
	v_cndmask_b32_e32 v4, 0x7c00, v4, vcc_lo
	v_cmp_eq_u32_e32 vcc_lo, 0x40f, v6
	s_delay_alu instid0(VALU_DEP_2) | instskip(SKIP_1) | instid1(VALU_DEP_1)
	v_cndmask_b32_e32 v1, v4, v1, vcc_lo
	v_lshrrev_b32_e32 v4, 16, v5
	v_and_or_b32 v9, 0x8000, v4, v1
	s_branch .LBB158_2153
.LBB158_2149:
                                        ; implicit-def: $vgpr9
	s_branch .LBB158_2170
.LBB158_2150:
                                        ; implicit-def: $vgpr9
	s_branch .LBB158_2159
.LBB158_2151:
	s_mov_b32 s20, -1
                                        ; implicit-def: $vgpr9
	s_branch .LBB158_2156
.LBB158_2152:
	s_mov_b32 s20, -1
                                        ; implicit-def: $vgpr9
.LBB158_2153:
	s_delay_alu instid0(SALU_CYCLE_1)
	s_and_not1_b32 vcc_lo, exec_lo, s20
	s_cbranch_vccnz .LBB158_2155
; %bb.2154:
	global_load_b32 v1, v[2:3], off
	s_wait_loadcnt 0x0
	v_cvt_f16_f32_e32 v9, v1
.LBB158_2155:
	s_mov_b32 s20, 0
.LBB158_2156:
	s_delay_alu instid0(SALU_CYCLE_1)
	s_and_not1_b32 vcc_lo, exec_lo, s20
	s_cbranch_vccnz .LBB158_2158
; %bb.2157:
	global_load_b32 v9, v[2:3], off
.LBB158_2158:
	s_cbranch_execnz .LBB158_2169
.LBB158_2159:
	s_cmp_lt_i32 s0, 6
	s_cbranch_scc1 .LBB158_2162
; %bb.2160:
	s_cmp_gt_i32 s0, 6
	s_cbranch_scc0 .LBB158_2163
; %bb.2161:
	global_load_b64 v[4:5], v[2:3], off
	s_mov_b32 s20, 0
	s_wait_loadcnt 0x0
	v_and_or_b32 v1, 0x1ff, v5, v4
	v_lshrrev_b32_e32 v4, 8, v5
	v_bfe_u32 v6, v5, 20, 11
	s_delay_alu instid0(VALU_DEP_3) | instskip(NEXT) | instid1(VALU_DEP_2)
	v_cmp_ne_u32_e32 vcc_lo, 0, v1
	v_sub_nc_u32_e32 v7, 0x3f1, v6
	v_add_nc_u32_e32 v6, 0xfffffc10, v6
	v_cndmask_b32_e64 v1, 0, 1, vcc_lo
	s_delay_alu instid0(VALU_DEP_1) | instskip(NEXT) | instid1(VALU_DEP_4)
	v_and_or_b32 v1, 0xffe, v4, v1
	v_med3_i32 v4, v7, 0, 13
	s_delay_alu instid0(VALU_DEP_2) | instskip(NEXT) | instid1(VALU_DEP_1)
	v_or_b32_e32 v7, 0x1000, v1
	v_lshrrev_b32_e32 v9, v4, v7
	s_delay_alu instid0(VALU_DEP_1) | instskip(NEXT) | instid1(VALU_DEP_1)
	v_lshlrev_b32_e32 v4, v4, v9
	v_cmp_ne_u32_e32 vcc_lo, v4, v7
	v_lshl_or_b32 v7, v6, 12, v1
	v_cndmask_b32_e64 v4, 0, 1, vcc_lo
	v_cmp_gt_i32_e32 vcc_lo, 1, v6
	s_delay_alu instid0(VALU_DEP_2) | instskip(NEXT) | instid1(VALU_DEP_1)
	v_or_b32_e32 v4, v9, v4
	v_cndmask_b32_e32 v4, v7, v4, vcc_lo
	s_delay_alu instid0(VALU_DEP_1) | instskip(NEXT) | instid1(VALU_DEP_1)
	v_dual_lshrrev_b32 v4, 2, v4 :: v_dual_bitop2_b32 v7, 7, v4 bitop3:0x40
	v_cmp_lt_i32_e32 vcc_lo, 5, v7
	v_cndmask_b32_e64 v9, 0, 1, vcc_lo
	v_cmp_eq_u32_e32 vcc_lo, 3, v7
	v_cndmask_b32_e64 v7, 0, 1, vcc_lo
	v_cmp_ne_u32_e32 vcc_lo, 0, v1
	s_delay_alu instid0(VALU_DEP_2) | instskip(NEXT) | instid1(VALU_DEP_1)
	v_or_b32_e32 v7, v7, v9
	v_dual_mov_b32 v9, 0x7e00 :: v_dual_add_nc_u32 v4, v4, v7
	s_delay_alu instid0(VALU_DEP_1) | instskip(SKIP_1) | instid1(VALU_DEP_3)
	v_cndmask_b32_e32 v1, 0x7c00, v9, vcc_lo
	v_cmp_gt_i32_e32 vcc_lo, 31, v6
	v_cndmask_b32_e32 v4, 0x7c00, v4, vcc_lo
	v_cmp_eq_u32_e32 vcc_lo, 0x40f, v6
	s_delay_alu instid0(VALU_DEP_2) | instskip(SKIP_1) | instid1(VALU_DEP_1)
	v_cndmask_b32_e32 v1, v4, v1, vcc_lo
	v_lshrrev_b32_e32 v4, 16, v5
	v_and_or_b32 v9, 0x8000, v4, v1
	s_branch .LBB158_2164
.LBB158_2162:
	s_mov_b32 s20, -1
                                        ; implicit-def: $vgpr9
	s_branch .LBB158_2167
.LBB158_2163:
	s_mov_b32 s20, -1
                                        ; implicit-def: $vgpr9
.LBB158_2164:
	s_delay_alu instid0(SALU_CYCLE_1)
	s_and_not1_b32 vcc_lo, exec_lo, s20
	s_cbranch_vccnz .LBB158_2166
; %bb.2165:
	global_load_b32 v1, v[2:3], off
	s_wait_loadcnt 0x0
	v_cvt_f16_f32_e32 v9, v1
.LBB158_2166:
	s_mov_b32 s20, 0
.LBB158_2167:
	s_delay_alu instid0(SALU_CYCLE_1)
	s_and_not1_b32 vcc_lo, exec_lo, s20
	s_cbranch_vccnz .LBB158_2169
; %bb.2168:
	s_wait_loadcnt 0x0
	global_load_u16 v9, v[2:3], off
.LBB158_2169:
	s_cbranch_execnz .LBB158_2188
.LBB158_2170:
	s_cmp_lt_i32 s0, 2
	s_cbranch_scc1 .LBB158_2174
; %bb.2171:
	s_cmp_lt_i32 s0, 3
	s_cbranch_scc1 .LBB158_2175
; %bb.2172:
	s_cmp_gt_i32 s0, 3
	s_cbranch_scc0 .LBB158_2176
; %bb.2173:
	global_load_b64 v[4:5], v[2:3], off
	s_mov_b32 s20, 0
	s_wait_loadcnt 0x0
	v_xor_b32_e32 v1, v4, v5
	v_cls_i32_e32 v6, v5
	s_delay_alu instid0(VALU_DEP_2) | instskip(NEXT) | instid1(VALU_DEP_1)
	v_ashrrev_i32_e32 v1, 31, v1
	v_add_nc_u32_e32 v1, 32, v1
	s_delay_alu instid0(VALU_DEP_1) | instskip(NEXT) | instid1(VALU_DEP_1)
	v_add_min_u32_e64 v1, v6, -1, v1
	v_lshlrev_b64_e32 v[4:5], v1, v[4:5]
	v_sub_nc_u32_e32 v1, 32, v1
	s_delay_alu instid0(VALU_DEP_2) | instskip(NEXT) | instid1(VALU_DEP_1)
	v_min_u32_e32 v4, 1, v4
	v_or_b32_e32 v4, v5, v4
	s_delay_alu instid0(VALU_DEP_1) | instskip(NEXT) | instid1(VALU_DEP_1)
	v_cvt_f32_i32_e32 v4, v4
	v_ldexp_f32 v1, v4, v1
	s_delay_alu instid0(VALU_DEP_1)
	v_cvt_f16_f32_e32 v9, v1
	s_branch .LBB158_2177
.LBB158_2174:
                                        ; implicit-def: $vgpr9
	s_branch .LBB158_2183
.LBB158_2175:
	s_mov_b32 s20, -1
                                        ; implicit-def: $vgpr9
	s_branch .LBB158_2180
.LBB158_2176:
	s_mov_b32 s20, -1
                                        ; implicit-def: $vgpr9
.LBB158_2177:
	s_delay_alu instid0(SALU_CYCLE_1)
	s_and_not1_b32 vcc_lo, exec_lo, s20
	s_cbranch_vccnz .LBB158_2179
; %bb.2178:
	global_load_b32 v1, v[2:3], off
	s_wait_loadcnt 0x0
	v_cvt_f32_i32_e32 v1, v1
	s_delay_alu instid0(VALU_DEP_1)
	v_cvt_f16_f32_e32 v9, v1
.LBB158_2179:
	s_mov_b32 s20, 0
.LBB158_2180:
	s_delay_alu instid0(SALU_CYCLE_1)
	s_and_not1_b32 vcc_lo, exec_lo, s20
	s_cbranch_vccnz .LBB158_2182
; %bb.2181:
	global_load_u16 v1, v[2:3], off
	s_wait_loadcnt 0x0
	v_cvt_f16_i16_e32 v9, v1
.LBB158_2182:
	s_cbranch_execnz .LBB158_2188
.LBB158_2183:
	s_cmp_gt_i32 s0, 0
	s_mov_b32 s0, 0
	s_cbranch_scc0 .LBB158_2185
; %bb.2184:
	global_load_i8 v1, v[2:3], off
	s_wait_loadcnt 0x0
	v_cvt_f16_i16_e32 v9, v1
	s_branch .LBB158_2186
.LBB158_2185:
	s_mov_b32 s0, -1
                                        ; implicit-def: $vgpr9
.LBB158_2186:
	s_delay_alu instid0(SALU_CYCLE_1)
	s_and_not1_b32 vcc_lo, exec_lo, s0
	s_cbranch_vccnz .LBB158_2188
; %bb.2187:
	global_load_u8 v1, v[2:3], off
	s_wait_loadcnt 0x0
	v_cvt_f16_u16_e32 v9, v1
.LBB158_2188:
.LBB158_2189:
	s_wait_xcnt 0x0
	v_mul_lo_u32 v2, s14, v8
	s_and_b32 s3, s3, 0xff
	s_delay_alu instid0(SALU_CYCLE_1) | instskip(NEXT) | instid1(VALU_DEP_1)
	s_cmp_lt_i32 s3, 11
	v_ashrrev_i32_e32 v3, 31, v2
	s_delay_alu instid0(VALU_DEP_1)
	v_add_nc_u64_e32 v[4:5], s[8:9], v[2:3]
	s_cbranch_scc1 .LBB158_2196
; %bb.2190:
	s_and_b32 s0, 0xffff, s3
	s_mov_b32 s21, 0
	s_cmp_gt_i32 s0, 25
	s_cbranch_scc0 .LBB158_2198
; %bb.2191:
	s_cmp_gt_i32 s0, 28
	s_cbranch_scc0 .LBB158_2199
; %bb.2192:
	;; [unrolled: 3-line block ×4, first 2 shown]
	s_cmp_eq_u32 s0, 46
	s_mov_b32 s23, 0
	s_cbranch_scc0 .LBB158_2205
; %bb.2195:
	global_load_b32 v1, v[4:5], off
	s_mov_b32 s20, 0
	s_mov_b32 s22, -1
	s_wait_loadcnt 0x0
	v_lshlrev_b32_e32 v1, 16, v1
	s_delay_alu instid0(VALU_DEP_1)
	v_cvt_f16_f32_e32 v10, v1
	s_branch .LBB158_2207
.LBB158_2196:
	s_mov_b32 s22, 0
                                        ; implicit-def: $vgpr10
	s_cbranch_execnz .LBB158_2272
.LBB158_2197:
	s_and_not1_b32 vcc_lo, exec_lo, s22
	s_cbranch_vccnz .LBB158_4065
	s_branch .LBB158_2319
.LBB158_2198:
	s_mov_b32 s22, 0
	s_mov_b32 s20, 0
                                        ; implicit-def: $vgpr10
	s_cbranch_execnz .LBB158_2236
	s_branch .LBB158_2268
.LBB158_2199:
	s_mov_b32 s23, -1
	s_mov_b32 s22, 0
	s_mov_b32 s20, 0
                                        ; implicit-def: $vgpr10
	s_branch .LBB158_2217
.LBB158_2200:
	s_mov_b32 s23, -1
	s_mov_b32 s22, 0
	s_mov_b32 s20, 0
                                        ; implicit-def: $vgpr10
	s_branch .LBB158_2212
.LBB158_2201:
	s_or_b32 s16, s19, exec_lo
	s_trap 2
	s_cbranch_execz .LBB158_2142
	s_branch .LBB158_2143
.LBB158_2202:
	s_mov_b32 s23, -1
	s_mov_b32 s22, 0
	s_mov_b32 s20, 0
	s_branch .LBB158_2206
.LBB158_2203:
	s_and_not1_saveexec_b32 s27, s27
	s_cbranch_execz .LBB158_1988
.LBB158_2204:
	v_add_f32_e64 v3, 0x42800000, |v2|
	s_and_not1_b32 s26, s26, exec_lo
	s_delay_alu instid0(VALU_DEP_1) | instskip(NEXT) | instid1(VALU_DEP_1)
	v_and_b32_e32 v3, 0xff, v3
	v_cmp_ne_u32_e32 vcc_lo, 0, v3
	s_and_b32 s28, vcc_lo, exec_lo
	s_delay_alu instid0(SALU_CYCLE_1)
	s_or_b32 s26, s26, s28
	s_or_b32 exec_lo, exec_lo, s27
	v_mov_b32_e32 v5, 0
	s_and_saveexec_b32 s27, s26
	s_cbranch_execnz .LBB158_1989
	s_branch .LBB158_1990
.LBB158_2205:
	s_mov_b32 s20, -1
	s_mov_b32 s22, 0
.LBB158_2206:
                                        ; implicit-def: $vgpr10
.LBB158_2207:
	s_and_b32 vcc_lo, exec_lo, s23
	s_cbranch_vccz .LBB158_2211
; %bb.2208:
	s_cmp_eq_u32 s0, 44
	s_cbranch_scc0 .LBB158_2210
; %bb.2209:
	global_load_u8 v1, v[4:5], off
	s_mov_b32 s20, 0
	s_mov_b32 s22, -1
	s_wait_loadcnt 0x0
	v_lshlrev_b32_e32 v3, 23, v1
	v_cmp_ne_u32_e32 vcc_lo, 0xff, v1
	s_delay_alu instid0(VALU_DEP_2) | instskip(NEXT) | instid1(VALU_DEP_1)
	v_cvt_f16_f32_e32 v3, v3
	v_cndmask_b32_e32 v3, 0x7e00, v3, vcc_lo
	v_cmp_ne_u32_e32 vcc_lo, 0, v1
	s_delay_alu instid0(VALU_DEP_2)
	v_cndmask_b32_e32 v10, 0, v3, vcc_lo
	s_branch .LBB158_2211
.LBB158_2210:
	s_mov_b32 s20, -1
                                        ; implicit-def: $vgpr10
.LBB158_2211:
	s_mov_b32 s23, 0
.LBB158_2212:
	s_delay_alu instid0(SALU_CYCLE_1)
	s_and_b32 vcc_lo, exec_lo, s23
	s_cbranch_vccz .LBB158_2216
; %bb.2213:
	s_cmp_eq_u32 s0, 29
	s_cbranch_scc0 .LBB158_2215
; %bb.2214:
	global_load_b64 v[6:7], v[4:5], off
	s_mov_b32 s20, 0
	s_mov_b32 s22, -1
	s_mov_b32 s23, 0
	s_wait_loadcnt 0x0
	v_clz_i32_u32_e32 v1, v7
	s_delay_alu instid0(VALU_DEP_1) | instskip(NEXT) | instid1(VALU_DEP_1)
	v_min_u32_e32 v1, 32, v1
	v_lshlrev_b64_e32 v[6:7], v1, v[6:7]
	v_sub_nc_u32_e32 v1, 32, v1
	s_delay_alu instid0(VALU_DEP_2) | instskip(NEXT) | instid1(VALU_DEP_1)
	v_min_u32_e32 v3, 1, v6
	v_or_b32_e32 v3, v7, v3
	s_delay_alu instid0(VALU_DEP_1) | instskip(NEXT) | instid1(VALU_DEP_1)
	v_cvt_f32_u32_e32 v3, v3
	v_ldexp_f32 v1, v3, v1
	s_delay_alu instid0(VALU_DEP_1)
	v_cvt_f16_f32_e32 v10, v1
	s_branch .LBB158_2217
.LBB158_2215:
	s_mov_b32 s20, -1
                                        ; implicit-def: $vgpr10
.LBB158_2216:
	s_mov_b32 s23, 0
.LBB158_2217:
	s_delay_alu instid0(SALU_CYCLE_1)
	s_and_b32 vcc_lo, exec_lo, s23
	s_cbranch_vccz .LBB158_2235
; %bb.2218:
	s_cmp_lt_i32 s0, 27
	s_cbranch_scc1 .LBB158_2221
; %bb.2219:
	s_cmp_gt_i32 s0, 27
	s_cbranch_scc0 .LBB158_2222
; %bb.2220:
	global_load_b32 v1, v[4:5], off
	s_mov_b32 s22, 0
	s_wait_loadcnt 0x0
	v_cvt_f32_u32_e32 v1, v1
	s_delay_alu instid0(VALU_DEP_1)
	v_cvt_f16_f32_e32 v10, v1
	s_branch .LBB158_2223
.LBB158_2221:
	s_mov_b32 s22, -1
                                        ; implicit-def: $vgpr10
	s_branch .LBB158_2226
.LBB158_2222:
	s_mov_b32 s22, -1
                                        ; implicit-def: $vgpr10
.LBB158_2223:
	s_delay_alu instid0(SALU_CYCLE_1)
	s_and_not1_b32 vcc_lo, exec_lo, s22
	s_cbranch_vccnz .LBB158_2225
; %bb.2224:
	global_load_u16 v1, v[4:5], off
	s_wait_loadcnt 0x0
	v_cvt_f16_u16_e32 v10, v1
.LBB158_2225:
	s_mov_b32 s22, 0
.LBB158_2226:
	s_delay_alu instid0(SALU_CYCLE_1)
	s_and_not1_b32 vcc_lo, exec_lo, s22
	s_cbranch_vccnz .LBB158_2234
; %bb.2227:
	global_load_u8 v1, v[4:5], off
	s_mov_b32 s22, 0
	s_mov_b32 s23, exec_lo
	s_wait_loadcnt 0x0
	v_cmpx_lt_i16_e32 0x7f, v1
	s_xor_b32 s23, exec_lo, s23
	s_cbranch_execz .LBB158_2247
; %bb.2228:
	s_mov_b32 s22, -1
	s_mov_b32 s24, exec_lo
	v_cmpx_eq_u16_e32 0x80, v1
; %bb.2229:
	s_xor_b32 s22, exec_lo, -1
; %bb.2230:
	s_or_b32 exec_lo, exec_lo, s24
	s_delay_alu instid0(SALU_CYCLE_1)
	s_and_b32 s22, s22, exec_lo
	s_or_saveexec_b32 s23, s23
	v_mov_b32_e32 v10, 0x7e00
	s_xor_b32 exec_lo, exec_lo, s23
	s_cbranch_execnz .LBB158_2248
.LBB158_2231:
	s_or_b32 exec_lo, exec_lo, s23
	s_and_saveexec_b32 s23, s22
	s_cbranch_execz .LBB158_2233
.LBB158_2232:
	v_and_b32_e32 v3, 0xffff, v1
	s_delay_alu instid0(VALU_DEP_1) | instskip(SKIP_1) | instid1(VALU_DEP_2)
	v_dual_lshlrev_b32 v1, 24, v1 :: v_dual_bitop2_b32 v6, 7, v3 bitop3:0x40
	v_bfe_u32 v11, v3, 3, 4
	v_and_b32_e32 v1, 0x80000000, v1
	s_delay_alu instid0(VALU_DEP_3) | instskip(NEXT) | instid1(VALU_DEP_3)
	v_clz_i32_u32_e32 v7, v6
	v_cmp_eq_u32_e32 vcc_lo, 0, v11
	s_delay_alu instid0(VALU_DEP_2) | instskip(NEXT) | instid1(VALU_DEP_1)
	v_min_u32_e32 v7, 32, v7
	v_subrev_nc_u32_e32 v10, 28, v7
	v_sub_nc_u32_e32 v7, 29, v7
	s_delay_alu instid0(VALU_DEP_2) | instskip(NEXT) | instid1(VALU_DEP_2)
	v_lshlrev_b32_e32 v3, v10, v3
	v_cndmask_b32_e32 v7, v11, v7, vcc_lo
	s_delay_alu instid0(VALU_DEP_2) | instskip(NEXT) | instid1(VALU_DEP_1)
	v_and_b32_e32 v3, 7, v3
	v_cndmask_b32_e32 v3, v6, v3, vcc_lo
	s_delay_alu instid0(VALU_DEP_3) | instskip(NEXT) | instid1(VALU_DEP_2)
	v_lshl_add_u32 v6, v7, 23, 0x3b800000
	v_lshlrev_b32_e32 v3, 20, v3
	s_delay_alu instid0(VALU_DEP_1) | instskip(NEXT) | instid1(VALU_DEP_1)
	v_or3_b32 v1, v1, v6, v3
	v_cvt_f16_f32_e32 v10, v1
.LBB158_2233:
	s_or_b32 exec_lo, exec_lo, s23
.LBB158_2234:
	s_mov_b32 s22, -1
.LBB158_2235:
	s_branch .LBB158_2268
.LBB158_2236:
	s_cmp_gt_i32 s0, 22
	s_cbranch_scc0 .LBB158_2246
; %bb.2237:
	s_cmp_lt_i32 s0, 24
	s_cbranch_scc1 .LBB158_2249
; %bb.2238:
	s_cmp_gt_i32 s0, 24
	s_cbranch_scc0 .LBB158_2250
; %bb.2239:
	global_load_u8 v1, v[4:5], off
	s_mov_b32 s22, exec_lo
	s_wait_loadcnt 0x0
	v_cmpx_lt_i16_e32 0x7f, v1
	s_xor_b32 s22, exec_lo, s22
	s_cbranch_execz .LBB158_2262
; %bb.2240:
	s_mov_b32 s21, -1
	s_mov_b32 s23, exec_lo
	v_cmpx_eq_u16_e32 0x80, v1
; %bb.2241:
	s_xor_b32 s21, exec_lo, -1
; %bb.2242:
	s_or_b32 exec_lo, exec_lo, s23
	s_delay_alu instid0(SALU_CYCLE_1)
	s_and_b32 s21, s21, exec_lo
	s_or_saveexec_b32 s22, s22
	v_mov_b32_e32 v10, 0x7e00
	s_xor_b32 exec_lo, exec_lo, s22
	s_cbranch_execnz .LBB158_2263
.LBB158_2243:
	s_or_b32 exec_lo, exec_lo, s22
	s_and_saveexec_b32 s22, s21
	s_cbranch_execz .LBB158_2245
.LBB158_2244:
	v_and_b32_e32 v3, 0xffff, v1
	s_delay_alu instid0(VALU_DEP_1) | instskip(SKIP_1) | instid1(VALU_DEP_2)
	v_dual_lshlrev_b32 v1, 24, v1 :: v_dual_bitop2_b32 v6, 3, v3 bitop3:0x40
	v_bfe_u32 v11, v3, 2, 5
	v_and_b32_e32 v1, 0x80000000, v1
	s_delay_alu instid0(VALU_DEP_3) | instskip(NEXT) | instid1(VALU_DEP_3)
	v_clz_i32_u32_e32 v7, v6
	v_cmp_eq_u32_e32 vcc_lo, 0, v11
	s_delay_alu instid0(VALU_DEP_2) | instskip(NEXT) | instid1(VALU_DEP_1)
	v_min_u32_e32 v7, 32, v7
	v_subrev_nc_u32_e32 v10, 29, v7
	v_sub_nc_u32_e32 v7, 30, v7
	s_delay_alu instid0(VALU_DEP_2) | instskip(NEXT) | instid1(VALU_DEP_2)
	v_lshlrev_b32_e32 v3, v10, v3
	v_cndmask_b32_e32 v7, v11, v7, vcc_lo
	s_delay_alu instid0(VALU_DEP_2) | instskip(NEXT) | instid1(VALU_DEP_1)
	v_and_b32_e32 v3, 3, v3
	v_cndmask_b32_e32 v3, v6, v3, vcc_lo
	s_delay_alu instid0(VALU_DEP_3) | instskip(NEXT) | instid1(VALU_DEP_2)
	v_lshl_add_u32 v6, v7, 23, 0x37800000
	v_lshlrev_b32_e32 v3, 21, v3
	s_delay_alu instid0(VALU_DEP_1) | instskip(NEXT) | instid1(VALU_DEP_1)
	v_or3_b32 v1, v1, v6, v3
	v_cvt_f16_f32_e32 v10, v1
.LBB158_2245:
	s_or_b32 exec_lo, exec_lo, s22
	s_mov_b32 s21, 0
	s_branch .LBB158_2251
.LBB158_2246:
	s_mov_b32 s21, -1
                                        ; implicit-def: $vgpr10
	s_branch .LBB158_2257
.LBB158_2247:
	s_or_saveexec_b32 s23, s23
	v_mov_b32_e32 v10, 0x7e00
	s_xor_b32 exec_lo, exec_lo, s23
	s_cbranch_execz .LBB158_2231
.LBB158_2248:
	v_cmp_ne_u16_e32 vcc_lo, 0, v1
	v_mov_b32_e32 v10, v1
	s_and_not1_b32 s22, s22, exec_lo
	s_and_b32 s24, vcc_lo, exec_lo
	s_delay_alu instid0(SALU_CYCLE_1)
	s_or_b32 s22, s22, s24
	s_or_b32 exec_lo, exec_lo, s23
	s_and_saveexec_b32 s23, s22
	s_cbranch_execnz .LBB158_2232
	s_branch .LBB158_2233
.LBB158_2249:
	s_mov_b32 s21, -1
                                        ; implicit-def: $vgpr10
	s_branch .LBB158_2254
.LBB158_2250:
	s_mov_b32 s21, -1
                                        ; implicit-def: $vgpr10
.LBB158_2251:
	s_delay_alu instid0(SALU_CYCLE_1)
	s_and_b32 vcc_lo, exec_lo, s21
	s_cbranch_vccz .LBB158_2253
; %bb.2252:
	global_load_u8 v1, v[4:5], off
	s_wait_loadcnt 0x0
	v_lshlrev_b32_e32 v1, 24, v1
	s_delay_alu instid0(VALU_DEP_1) | instskip(NEXT) | instid1(VALU_DEP_1)
	v_and_b32_e32 v3, 0x7f000000, v1
	v_clz_i32_u32_e32 v6, v3
	v_cmp_ne_u32_e32 vcc_lo, 0, v3
	v_add_nc_u32_e32 v10, 0x1000000, v3
	s_delay_alu instid0(VALU_DEP_3) | instskip(NEXT) | instid1(VALU_DEP_1)
	v_min_u32_e32 v6, 32, v6
	v_sub_nc_u32_e64 v6, v6, 4 clamp
	s_delay_alu instid0(VALU_DEP_1) | instskip(NEXT) | instid1(VALU_DEP_1)
	v_dual_lshlrev_b32 v7, v6, v3 :: v_dual_lshlrev_b32 v6, 23, v6
	v_lshrrev_b32_e32 v7, 4, v7
	s_delay_alu instid0(VALU_DEP_1) | instskip(SKIP_1) | instid1(VALU_DEP_2)
	v_sub_nc_u32_e32 v6, v7, v6
	v_ashrrev_i32_e32 v7, 8, v10
	v_add_nc_u32_e32 v6, 0x3c000000, v6
	s_delay_alu instid0(VALU_DEP_1) | instskip(NEXT) | instid1(VALU_DEP_1)
	v_and_or_b32 v6, 0x7f800000, v7, v6
	v_cndmask_b32_e32 v3, 0, v6, vcc_lo
	s_delay_alu instid0(VALU_DEP_1) | instskip(NEXT) | instid1(VALU_DEP_1)
	v_and_or_b32 v1, 0x80000000, v1, v3
	v_cvt_f16_f32_e32 v10, v1
.LBB158_2253:
	s_mov_b32 s21, 0
.LBB158_2254:
	s_delay_alu instid0(SALU_CYCLE_1)
	s_and_not1_b32 vcc_lo, exec_lo, s21
	s_cbranch_vccnz .LBB158_2256
; %bb.2255:
	global_load_u8 v1, v[4:5], off
	s_wait_loadcnt 0x0
	v_lshlrev_b32_e32 v3, 25, v1
	v_lshlrev_b16 v1, 8, v1
	s_delay_alu instid0(VALU_DEP_1) | instskip(SKIP_1) | instid1(VALU_DEP_2)
	v_and_or_b32 v7, 0x7f00, v1, 0.5
	v_bfe_i32 v1, v1, 0, 16
	v_add_f32_e32 v7, -0.5, v7
	v_lshrrev_b32_e32 v6, 4, v3
	v_cmp_gt_u32_e32 vcc_lo, 0x8000000, v3
	s_delay_alu instid0(VALU_DEP_2) | instskip(NEXT) | instid1(VALU_DEP_1)
	v_or_b32_e32 v6, 0x70000000, v6
	v_mul_f32_e32 v6, 0x7800000, v6
	s_delay_alu instid0(VALU_DEP_1) | instskip(NEXT) | instid1(VALU_DEP_1)
	v_cndmask_b32_e32 v3, v6, v7, vcc_lo
	v_and_or_b32 v1, 0x80000000, v1, v3
	s_delay_alu instid0(VALU_DEP_1)
	v_cvt_f16_f32_e32 v10, v1
.LBB158_2256:
	s_mov_b32 s21, 0
	s_mov_b32 s22, -1
.LBB158_2257:
	s_and_not1_b32 vcc_lo, exec_lo, s21
	s_mov_b32 s21, 0
	s_cbranch_vccnz .LBB158_2268
; %bb.2258:
	s_cmp_gt_i32 s0, 14
	s_cbranch_scc0 .LBB158_2261
; %bb.2259:
	s_cmp_eq_u32 s0, 15
	s_cbranch_scc0 .LBB158_2264
; %bb.2260:
	global_load_u16 v1, v[4:5], off
	s_mov_b32 s20, 0
	s_mov_b32 s22, -1
	s_wait_loadcnt 0x0
	v_lshlrev_b32_e32 v1, 16, v1
	s_delay_alu instid0(VALU_DEP_1)
	v_cvt_f16_f32_e32 v10, v1
	s_branch .LBB158_2266
.LBB158_2261:
	s_mov_b32 s21, -1
	s_branch .LBB158_2265
.LBB158_2262:
	s_or_saveexec_b32 s22, s22
	v_mov_b32_e32 v10, 0x7e00
	s_xor_b32 exec_lo, exec_lo, s22
	s_cbranch_execz .LBB158_2243
.LBB158_2263:
	v_cmp_ne_u16_e32 vcc_lo, 0, v1
	v_mov_b32_e32 v10, v1
	s_and_not1_b32 s21, s21, exec_lo
	s_and_b32 s23, vcc_lo, exec_lo
	s_delay_alu instid0(SALU_CYCLE_1)
	s_or_b32 s21, s21, s23
	s_or_b32 exec_lo, exec_lo, s22
	s_and_saveexec_b32 s22, s21
	s_cbranch_execnz .LBB158_2244
	s_branch .LBB158_2245
.LBB158_2264:
	s_mov_b32 s20, -1
.LBB158_2265:
                                        ; implicit-def: $vgpr10
.LBB158_2266:
	s_and_b32 vcc_lo, exec_lo, s21
	s_mov_b32 s21, 0
	s_cbranch_vccz .LBB158_2268
; %bb.2267:
	s_cmp_lg_u32 s0, 11
	s_mov_b32 s21, -1
	s_cselect_b32 s20, -1, 0
.LBB158_2268:
	s_delay_alu instid0(SALU_CYCLE_1)
	s_and_b32 vcc_lo, exec_lo, s20
	s_cbranch_vccnz .LBB158_2331
; %bb.2269:
	s_and_not1_b32 vcc_lo, exec_lo, s21
	s_cbranch_vccnz .LBB158_2271
.LBB158_2270:
	global_load_u8 v1, v[4:5], off
	s_mov_b32 s22, -1
	s_wait_loadcnt 0x0
	v_cmp_ne_u16_e32 vcc_lo, 0, v1
	v_cndmask_b32_e64 v10, 0, 0x3c00, vcc_lo
.LBB158_2271:
	s_branch .LBB158_2197
.LBB158_2272:
	s_and_b32 s0, 0xffff, s3
	s_delay_alu instid0(SALU_CYCLE_1)
	s_cmp_lt_i32 s0, 5
	s_cbranch_scc1 .LBB158_2277
; %bb.2273:
	s_cmp_lt_i32 s0, 8
	s_cbranch_scc1 .LBB158_2278
; %bb.2274:
	s_cmp_lt_i32 s0, 9
	s_cbranch_scc1 .LBB158_2279
; %bb.2275:
	s_cmp_gt_i32 s0, 9
	s_cbranch_scc0 .LBB158_2280
; %bb.2276:
	global_load_b64 v[6:7], v[4:5], off
	s_mov_b32 s20, 0
	s_wait_loadcnt 0x0
	v_and_or_b32 v1, 0x1ff, v7, v6
	v_lshrrev_b32_e32 v3, 8, v7
	v_bfe_u32 v6, v7, 20, 11
	s_delay_alu instid0(VALU_DEP_3) | instskip(NEXT) | instid1(VALU_DEP_2)
	v_cmp_ne_u32_e32 vcc_lo, 0, v1
	v_sub_nc_u32_e32 v10, 0x3f1, v6
	v_add_nc_u32_e32 v6, 0xfffffc10, v6
	v_cndmask_b32_e64 v1, 0, 1, vcc_lo
	s_delay_alu instid0(VALU_DEP_1) | instskip(NEXT) | instid1(VALU_DEP_4)
	v_and_or_b32 v1, 0xffe, v3, v1
	v_med3_i32 v3, v10, 0, 13
	s_delay_alu instid0(VALU_DEP_2) | instskip(NEXT) | instid1(VALU_DEP_1)
	v_or_b32_e32 v10, 0x1000, v1
	v_lshrrev_b32_e32 v11, v3, v10
	s_delay_alu instid0(VALU_DEP_1) | instskip(NEXT) | instid1(VALU_DEP_1)
	v_lshlrev_b32_e32 v3, v3, v11
	v_cmp_ne_u32_e32 vcc_lo, v3, v10
	v_lshl_or_b32 v10, v6, 12, v1
	v_cndmask_b32_e64 v3, 0, 1, vcc_lo
	v_cmp_gt_i32_e32 vcc_lo, 1, v6
	s_delay_alu instid0(VALU_DEP_2) | instskip(NEXT) | instid1(VALU_DEP_1)
	v_or_b32_e32 v3, v11, v3
	v_cndmask_b32_e32 v3, v10, v3, vcc_lo
	s_delay_alu instid0(VALU_DEP_1) | instskip(NEXT) | instid1(VALU_DEP_1)
	v_dual_lshrrev_b32 v3, 2, v3 :: v_dual_bitop2_b32 v10, 7, v3 bitop3:0x40
	v_cmp_lt_i32_e32 vcc_lo, 5, v10
	v_cndmask_b32_e64 v11, 0, 1, vcc_lo
	v_cmp_eq_u32_e32 vcc_lo, 3, v10
	v_cndmask_b32_e64 v10, 0, 1, vcc_lo
	v_cmp_ne_u32_e32 vcc_lo, 0, v1
	s_delay_alu instid0(VALU_DEP_2) | instskip(SKIP_1) | instid1(VALU_DEP_2)
	v_or_b32_e32 v10, v10, v11
	v_mov_b32_e32 v11, 0x7e00
	v_add_nc_u32_e32 v3, v3, v10
	s_delay_alu instid0(VALU_DEP_2) | instskip(SKIP_1) | instid1(VALU_DEP_3)
	v_cndmask_b32_e32 v1, 0x7c00, v11, vcc_lo
	v_cmp_gt_i32_e32 vcc_lo, 31, v6
	v_cndmask_b32_e32 v3, 0x7c00, v3, vcc_lo
	v_cmp_eq_u32_e32 vcc_lo, 0x40f, v6
	s_delay_alu instid0(VALU_DEP_2) | instskip(NEXT) | instid1(VALU_DEP_1)
	v_dual_cndmask_b32 v1, v3, v1, vcc_lo :: v_dual_lshrrev_b32 v3, 16, v7
	v_and_or_b32 v10, 0x8000, v3, v1
	s_branch .LBB158_2281
.LBB158_2277:
                                        ; implicit-def: $vgpr10
	s_branch .LBB158_2299
.LBB158_2278:
	s_mov_b32 s20, -1
                                        ; implicit-def: $vgpr10
	s_branch .LBB158_2287
.LBB158_2279:
	s_mov_b32 s20, -1
                                        ; implicit-def: $vgpr10
	s_branch .LBB158_2284
.LBB158_2280:
	s_mov_b32 s20, -1
                                        ; implicit-def: $vgpr10
.LBB158_2281:
	s_delay_alu instid0(SALU_CYCLE_1)
	s_and_not1_b32 vcc_lo, exec_lo, s20
	s_cbranch_vccnz .LBB158_2283
; %bb.2282:
	global_load_b32 v1, v[4:5], off
	s_wait_loadcnt 0x0
	v_cvt_f16_f32_e32 v10, v1
.LBB158_2283:
	s_mov_b32 s20, 0
.LBB158_2284:
	s_delay_alu instid0(SALU_CYCLE_1)
	s_and_not1_b32 vcc_lo, exec_lo, s20
	s_cbranch_vccnz .LBB158_2286
; %bb.2285:
	global_load_b32 v10, v[4:5], off
.LBB158_2286:
	s_mov_b32 s20, 0
.LBB158_2287:
	s_delay_alu instid0(SALU_CYCLE_1)
	s_and_not1_b32 vcc_lo, exec_lo, s20
	s_cbranch_vccnz .LBB158_2298
; %bb.2288:
	s_cmp_lt_i32 s0, 6
	s_cbranch_scc1 .LBB158_2291
; %bb.2289:
	s_cmp_gt_i32 s0, 6
	s_cbranch_scc0 .LBB158_2292
; %bb.2290:
	global_load_b64 v[6:7], v[4:5], off
	s_mov_b32 s20, 0
	s_wait_loadcnt 0x0
	v_and_or_b32 v1, 0x1ff, v7, v6
	v_lshrrev_b32_e32 v3, 8, v7
	v_bfe_u32 v6, v7, 20, 11
	s_delay_alu instid0(VALU_DEP_3) | instskip(NEXT) | instid1(VALU_DEP_2)
	v_cmp_ne_u32_e32 vcc_lo, 0, v1
	v_sub_nc_u32_e32 v10, 0x3f1, v6
	v_add_nc_u32_e32 v6, 0xfffffc10, v6
	v_cndmask_b32_e64 v1, 0, 1, vcc_lo
	s_delay_alu instid0(VALU_DEP_1) | instskip(NEXT) | instid1(VALU_DEP_4)
	v_and_or_b32 v1, 0xffe, v3, v1
	v_med3_i32 v3, v10, 0, 13
	s_delay_alu instid0(VALU_DEP_2) | instskip(NEXT) | instid1(VALU_DEP_1)
	v_or_b32_e32 v10, 0x1000, v1
	v_lshrrev_b32_e32 v11, v3, v10
	s_delay_alu instid0(VALU_DEP_1) | instskip(NEXT) | instid1(VALU_DEP_1)
	v_lshlrev_b32_e32 v3, v3, v11
	v_cmp_ne_u32_e32 vcc_lo, v3, v10
	v_lshl_or_b32 v10, v6, 12, v1
	v_cndmask_b32_e64 v3, 0, 1, vcc_lo
	v_cmp_gt_i32_e32 vcc_lo, 1, v6
	s_delay_alu instid0(VALU_DEP_2) | instskip(NEXT) | instid1(VALU_DEP_1)
	v_or_b32_e32 v3, v11, v3
	v_cndmask_b32_e32 v3, v10, v3, vcc_lo
	s_delay_alu instid0(VALU_DEP_1) | instskip(NEXT) | instid1(VALU_DEP_1)
	v_dual_lshrrev_b32 v3, 2, v3 :: v_dual_bitop2_b32 v10, 7, v3 bitop3:0x40
	v_cmp_lt_i32_e32 vcc_lo, 5, v10
	v_cndmask_b32_e64 v11, 0, 1, vcc_lo
	v_cmp_eq_u32_e32 vcc_lo, 3, v10
	v_cndmask_b32_e64 v10, 0, 1, vcc_lo
	v_cmp_ne_u32_e32 vcc_lo, 0, v1
	s_delay_alu instid0(VALU_DEP_2) | instskip(SKIP_1) | instid1(VALU_DEP_2)
	v_or_b32_e32 v10, v10, v11
	v_mov_b32_e32 v11, 0x7e00
	v_add_nc_u32_e32 v3, v3, v10
	s_delay_alu instid0(VALU_DEP_2) | instskip(SKIP_1) | instid1(VALU_DEP_3)
	v_cndmask_b32_e32 v1, 0x7c00, v11, vcc_lo
	v_cmp_gt_i32_e32 vcc_lo, 31, v6
	v_cndmask_b32_e32 v3, 0x7c00, v3, vcc_lo
	v_cmp_eq_u32_e32 vcc_lo, 0x40f, v6
	s_delay_alu instid0(VALU_DEP_2) | instskip(NEXT) | instid1(VALU_DEP_1)
	v_dual_cndmask_b32 v1, v3, v1, vcc_lo :: v_dual_lshrrev_b32 v3, 16, v7
	v_and_or_b32 v10, 0x8000, v3, v1
	s_branch .LBB158_2293
.LBB158_2291:
	s_mov_b32 s20, -1
                                        ; implicit-def: $vgpr10
	s_branch .LBB158_2296
.LBB158_2292:
	s_mov_b32 s20, -1
                                        ; implicit-def: $vgpr10
.LBB158_2293:
	s_delay_alu instid0(SALU_CYCLE_1)
	s_and_not1_b32 vcc_lo, exec_lo, s20
	s_cbranch_vccnz .LBB158_2295
; %bb.2294:
	global_load_b32 v1, v[4:5], off
	s_wait_loadcnt 0x0
	v_cvt_f16_f32_e32 v10, v1
.LBB158_2295:
	s_mov_b32 s20, 0
.LBB158_2296:
	s_delay_alu instid0(SALU_CYCLE_1)
	s_and_not1_b32 vcc_lo, exec_lo, s20
	s_cbranch_vccnz .LBB158_2298
; %bb.2297:
	s_wait_loadcnt 0x0
	global_load_u16 v10, v[4:5], off
.LBB158_2298:
	s_cbranch_execnz .LBB158_2318
.LBB158_2299:
	s_cmp_lt_i32 s0, 2
	s_cbranch_scc1 .LBB158_2303
; %bb.2300:
	s_cmp_lt_i32 s0, 3
	s_cbranch_scc1 .LBB158_2304
; %bb.2301:
	s_cmp_gt_i32 s0, 3
	s_cbranch_scc0 .LBB158_2305
; %bb.2302:
	global_load_b64 v[6:7], v[4:5], off
	s_mov_b32 s20, 0
	s_wait_loadcnt 0x0
	v_xor_b32_e32 v1, v6, v7
	v_cls_i32_e32 v3, v7
	s_delay_alu instid0(VALU_DEP_2) | instskip(NEXT) | instid1(VALU_DEP_1)
	v_ashrrev_i32_e32 v1, 31, v1
	v_add_nc_u32_e32 v1, 32, v1
	s_delay_alu instid0(VALU_DEP_1) | instskip(NEXT) | instid1(VALU_DEP_1)
	v_add_min_u32_e64 v1, v3, -1, v1
	v_lshlrev_b64_e32 v[6:7], v1, v[6:7]
	v_sub_nc_u32_e32 v1, 32, v1
	s_delay_alu instid0(VALU_DEP_2) | instskip(NEXT) | instid1(VALU_DEP_1)
	v_min_u32_e32 v3, 1, v6
	v_or_b32_e32 v3, v7, v3
	s_delay_alu instid0(VALU_DEP_1) | instskip(NEXT) | instid1(VALU_DEP_1)
	v_cvt_f32_i32_e32 v3, v3
	v_ldexp_f32 v1, v3, v1
	s_delay_alu instid0(VALU_DEP_1)
	v_cvt_f16_f32_e32 v10, v1
	s_branch .LBB158_2306
.LBB158_2303:
	s_mov_b32 s20, -1
                                        ; implicit-def: $vgpr10
	s_branch .LBB158_2312
.LBB158_2304:
	s_mov_b32 s20, -1
                                        ; implicit-def: $vgpr10
	s_branch .LBB158_2309
.LBB158_2305:
	s_mov_b32 s20, -1
                                        ; implicit-def: $vgpr10
.LBB158_2306:
	s_delay_alu instid0(SALU_CYCLE_1)
	s_and_not1_b32 vcc_lo, exec_lo, s20
	s_cbranch_vccnz .LBB158_2308
; %bb.2307:
	global_load_b32 v1, v[4:5], off
	s_wait_loadcnt 0x0
	v_cvt_f32_i32_e32 v1, v1
	s_delay_alu instid0(VALU_DEP_1)
	v_cvt_f16_f32_e32 v10, v1
.LBB158_2308:
	s_mov_b32 s20, 0
.LBB158_2309:
	s_delay_alu instid0(SALU_CYCLE_1)
	s_and_not1_b32 vcc_lo, exec_lo, s20
	s_cbranch_vccnz .LBB158_2311
; %bb.2310:
	global_load_u16 v1, v[4:5], off
	s_wait_loadcnt 0x0
	v_cvt_f16_i16_e32 v10, v1
.LBB158_2311:
	s_mov_b32 s20, 0
.LBB158_2312:
	s_delay_alu instid0(SALU_CYCLE_1)
	s_and_not1_b32 vcc_lo, exec_lo, s20
	s_cbranch_vccnz .LBB158_2318
; %bb.2313:
	s_cmp_gt_i32 s0, 0
	s_mov_b32 s0, 0
	s_cbranch_scc0 .LBB158_2315
; %bb.2314:
	global_load_i8 v1, v[4:5], off
	s_wait_loadcnt 0x0
	v_cvt_f16_i16_e32 v10, v1
	s_branch .LBB158_2316
.LBB158_2315:
	s_mov_b32 s0, -1
                                        ; implicit-def: $vgpr10
.LBB158_2316:
	s_delay_alu instid0(SALU_CYCLE_1)
	s_and_not1_b32 vcc_lo, exec_lo, s0
	s_cbranch_vccnz .LBB158_2318
; %bb.2317:
	global_load_u8 v1, v[4:5], off
	s_wait_loadcnt 0x0
	v_cvt_f16_u16_e32 v10, v1
.LBB158_2318:
.LBB158_2319:
	s_wait_xcnt 0x0
	v_mul_lo_u32 v4, s15, v8
	s_and_b32 s0, 0xffff, s1
	s_delay_alu instid0(SALU_CYCLE_1) | instskip(NEXT) | instid1(VALU_DEP_1)
	s_cmp_lt_i32 s0, 11
	v_ashrrev_i32_e32 v5, 31, v4
	s_delay_alu instid0(VALU_DEP_1)
	v_add_nc_u64_e32 v[6:7], s[10:11], v[4:5]
	s_cbranch_scc1 .LBB158_2326
; %bb.2320:
	s_cmp_gt_i32 s0, 25
	s_mov_b32 s20, 0
	s_cbranch_scc0 .LBB158_2328
; %bb.2321:
	s_cmp_gt_i32 s0, 28
	s_cbranch_scc0 .LBB158_2329
; %bb.2322:
	s_cmp_gt_i32 s0, 43
	s_cbranch_scc0 .LBB158_2330
; %bb.2323:
	s_cmp_gt_i32 s0, 45
	s_cbranch_scc0 .LBB158_2332
; %bb.2324:
	s_cmp_eq_u32 s0, 46
	s_mov_b32 s22, 0
	s_cbranch_scc0 .LBB158_2333
; %bb.2325:
	global_load_b32 v1, v[6:7], off
	s_mov_b32 s1, 0
	s_mov_b32 s21, -1
	s_wait_loadcnt 0x0
	v_lshlrev_b32_e32 v1, 16, v1
	s_delay_alu instid0(VALU_DEP_1)
	v_cvt_f16_f32_e32 v11, v1
	s_branch .LBB158_2335
.LBB158_2326:
	s_mov_b32 s21, 0
                                        ; implicit-def: $vgpr11
	s_cbranch_execnz .LBB158_2401
.LBB158_2327:
	s_and_not1_b32 vcc_lo, exec_lo, s21
	s_cbranch_vccnz .LBB158_4065
	s_branch .LBB158_2449
.LBB158_2328:
	s_mov_b32 s22, -1
	s_mov_b32 s21, 0
	s_mov_b32 s1, 0
                                        ; implicit-def: $vgpr11
	s_branch .LBB158_2364
.LBB158_2329:
	s_mov_b32 s22, -1
	s_mov_b32 s21, 0
	s_mov_b32 s1, 0
                                        ; implicit-def: $vgpr11
	s_branch .LBB158_2345
.LBB158_2330:
	s_mov_b32 s22, -1
	s_mov_b32 s21, 0
	s_mov_b32 s1, 0
                                        ; implicit-def: $vgpr11
	s_branch .LBB158_2340
.LBB158_2331:
	s_or_b32 s16, s16, exec_lo
	s_trap 2
	s_cbranch_execz .LBB158_2270
	s_branch .LBB158_2271
.LBB158_2332:
	s_mov_b32 s22, -1
	s_mov_b32 s21, 0
	s_mov_b32 s1, 0
	s_branch .LBB158_2334
.LBB158_2333:
	s_mov_b32 s1, -1
	s_mov_b32 s21, 0
.LBB158_2334:
                                        ; implicit-def: $vgpr11
.LBB158_2335:
	s_and_b32 vcc_lo, exec_lo, s22
	s_cbranch_vccz .LBB158_2339
; %bb.2336:
	s_cmp_eq_u32 s0, 44
	s_cbranch_scc0 .LBB158_2338
; %bb.2337:
	global_load_u8 v1, v[6:7], off
	s_mov_b32 s1, 0
	s_mov_b32 s21, -1
	s_wait_loadcnt 0x0
	v_lshlrev_b32_e32 v3, 23, v1
	v_cmp_ne_u32_e32 vcc_lo, 0xff, v1
	s_delay_alu instid0(VALU_DEP_2) | instskip(NEXT) | instid1(VALU_DEP_1)
	v_cvt_f16_f32_e32 v3, v3
	v_cndmask_b32_e32 v3, 0x7e00, v3, vcc_lo
	v_cmp_ne_u32_e32 vcc_lo, 0, v1
	s_delay_alu instid0(VALU_DEP_2)
	v_cndmask_b32_e32 v11, 0, v3, vcc_lo
	s_branch .LBB158_2339
.LBB158_2338:
	s_mov_b32 s1, -1
                                        ; implicit-def: $vgpr11
.LBB158_2339:
	s_mov_b32 s22, 0
.LBB158_2340:
	s_delay_alu instid0(SALU_CYCLE_1)
	s_and_b32 vcc_lo, exec_lo, s22
	s_cbranch_vccz .LBB158_2344
; %bb.2341:
	s_cmp_eq_u32 s0, 29
	s_cbranch_scc0 .LBB158_2343
; %bb.2342:
	global_load_b64 v[12:13], v[6:7], off
	s_mov_b32 s1, 0
	s_mov_b32 s21, -1
	s_mov_b32 s22, 0
	s_wait_loadcnt 0x0
	v_clz_i32_u32_e32 v1, v13
	s_delay_alu instid0(VALU_DEP_1) | instskip(NEXT) | instid1(VALU_DEP_1)
	v_min_u32_e32 v1, 32, v1
	v_lshlrev_b64_e32 v[12:13], v1, v[12:13]
	v_sub_nc_u32_e32 v1, 32, v1
	s_delay_alu instid0(VALU_DEP_2) | instskip(NEXT) | instid1(VALU_DEP_1)
	v_min_u32_e32 v3, 1, v12
	v_or_b32_e32 v3, v13, v3
	s_delay_alu instid0(VALU_DEP_1) | instskip(NEXT) | instid1(VALU_DEP_1)
	v_cvt_f32_u32_e32 v3, v3
	v_ldexp_f32 v1, v3, v1
	s_delay_alu instid0(VALU_DEP_1)
	v_cvt_f16_f32_e32 v11, v1
	s_branch .LBB158_2345
.LBB158_2343:
	s_mov_b32 s1, -1
                                        ; implicit-def: $vgpr11
.LBB158_2344:
	s_mov_b32 s22, 0
.LBB158_2345:
	s_delay_alu instid0(SALU_CYCLE_1)
	s_and_b32 vcc_lo, exec_lo, s22
	s_cbranch_vccz .LBB158_2363
; %bb.2346:
	s_cmp_lt_i32 s0, 27
	s_cbranch_scc1 .LBB158_2349
; %bb.2347:
	s_cmp_gt_i32 s0, 27
	s_cbranch_scc0 .LBB158_2350
; %bb.2348:
	global_load_b32 v1, v[6:7], off
	s_mov_b32 s21, 0
	s_wait_loadcnt 0x0
	v_cvt_f32_u32_e32 v1, v1
	s_delay_alu instid0(VALU_DEP_1)
	v_cvt_f16_f32_e32 v11, v1
	s_branch .LBB158_2351
.LBB158_2349:
	s_mov_b32 s21, -1
                                        ; implicit-def: $vgpr11
	s_branch .LBB158_2354
.LBB158_2350:
	s_mov_b32 s21, -1
                                        ; implicit-def: $vgpr11
.LBB158_2351:
	s_delay_alu instid0(SALU_CYCLE_1)
	s_and_not1_b32 vcc_lo, exec_lo, s21
	s_cbranch_vccnz .LBB158_2353
; %bb.2352:
	global_load_u16 v1, v[6:7], off
	s_wait_loadcnt 0x0
	v_cvt_f16_u16_e32 v11, v1
.LBB158_2353:
	s_mov_b32 s21, 0
.LBB158_2354:
	s_delay_alu instid0(SALU_CYCLE_1)
	s_and_not1_b32 vcc_lo, exec_lo, s21
	s_cbranch_vccnz .LBB158_2362
; %bb.2355:
	global_load_u8 v1, v[6:7], off
	s_mov_b32 s21, 0
	s_mov_b32 s22, exec_lo
	s_wait_loadcnt 0x0
	v_cmpx_lt_i16_e32 0x7f, v1
	s_xor_b32 s22, exec_lo, s22
	s_cbranch_execz .LBB158_2376
; %bb.2356:
	s_mov_b32 s21, -1
	s_mov_b32 s23, exec_lo
	v_cmpx_eq_u16_e32 0x80, v1
; %bb.2357:
	s_xor_b32 s21, exec_lo, -1
; %bb.2358:
	s_or_b32 exec_lo, exec_lo, s23
	s_delay_alu instid0(SALU_CYCLE_1)
	s_and_b32 s21, s21, exec_lo
	s_or_saveexec_b32 s22, s22
	v_mov_b32_e32 v11, 0x7e00
	s_xor_b32 exec_lo, exec_lo, s22
	s_cbranch_execnz .LBB158_2377
.LBB158_2359:
	s_or_b32 exec_lo, exec_lo, s22
	s_and_saveexec_b32 s22, s21
	s_cbranch_execz .LBB158_2361
.LBB158_2360:
	v_and_b32_e32 v3, 0xffff, v1
	s_delay_alu instid0(VALU_DEP_1) | instskip(SKIP_1) | instid1(VALU_DEP_2)
	v_dual_lshlrev_b32 v1, 24, v1 :: v_dual_bitop2_b32 v5, 7, v3 bitop3:0x40
	v_bfe_u32 v13, v3, 3, 4
	v_and_b32_e32 v1, 0x80000000, v1
	s_delay_alu instid0(VALU_DEP_3) | instskip(NEXT) | instid1(VALU_DEP_3)
	v_clz_i32_u32_e32 v11, v5
	v_cmp_eq_u32_e32 vcc_lo, 0, v13
	s_delay_alu instid0(VALU_DEP_2) | instskip(NEXT) | instid1(VALU_DEP_1)
	v_min_u32_e32 v11, 32, v11
	v_subrev_nc_u32_e32 v12, 28, v11
	v_sub_nc_u32_e32 v11, 29, v11
	s_delay_alu instid0(VALU_DEP_2) | instskip(NEXT) | instid1(VALU_DEP_2)
	v_lshlrev_b32_e32 v3, v12, v3
	v_cndmask_b32_e32 v11, v13, v11, vcc_lo
	s_delay_alu instid0(VALU_DEP_2) | instskip(NEXT) | instid1(VALU_DEP_1)
	v_and_b32_e32 v3, 7, v3
	v_cndmask_b32_e32 v3, v5, v3, vcc_lo
	s_delay_alu instid0(VALU_DEP_3) | instskip(NEXT) | instid1(VALU_DEP_2)
	v_lshl_add_u32 v5, v11, 23, 0x3b800000
	v_lshlrev_b32_e32 v3, 20, v3
	s_delay_alu instid0(VALU_DEP_1) | instskip(NEXT) | instid1(VALU_DEP_1)
	v_or3_b32 v1, v1, v5, v3
	v_cvt_f16_f32_e32 v11, v1
.LBB158_2361:
	s_or_b32 exec_lo, exec_lo, s22
.LBB158_2362:
	s_mov_b32 s21, -1
.LBB158_2363:
	s_mov_b32 s22, 0
.LBB158_2364:
	s_delay_alu instid0(SALU_CYCLE_1)
	s_and_b32 vcc_lo, exec_lo, s22
	s_cbranch_vccz .LBB158_2397
; %bb.2365:
	s_cmp_gt_i32 s0, 22
	s_cbranch_scc0 .LBB158_2375
; %bb.2366:
	s_cmp_lt_i32 s0, 24
	s_cbranch_scc1 .LBB158_2378
; %bb.2367:
	s_cmp_gt_i32 s0, 24
	s_cbranch_scc0 .LBB158_2379
; %bb.2368:
	global_load_u8 v1, v[6:7], off
	s_mov_b32 s21, exec_lo
	s_wait_loadcnt 0x0
	v_cmpx_lt_i16_e32 0x7f, v1
	s_xor_b32 s21, exec_lo, s21
	s_cbranch_execz .LBB158_2391
; %bb.2369:
	s_mov_b32 s20, -1
	s_mov_b32 s22, exec_lo
	v_cmpx_eq_u16_e32 0x80, v1
; %bb.2370:
	s_xor_b32 s20, exec_lo, -1
; %bb.2371:
	s_or_b32 exec_lo, exec_lo, s22
	s_delay_alu instid0(SALU_CYCLE_1)
	s_and_b32 s20, s20, exec_lo
	s_or_saveexec_b32 s21, s21
	v_mov_b32_e32 v11, 0x7e00
	s_xor_b32 exec_lo, exec_lo, s21
	s_cbranch_execnz .LBB158_2392
.LBB158_2372:
	s_or_b32 exec_lo, exec_lo, s21
	s_and_saveexec_b32 s21, s20
	s_cbranch_execz .LBB158_2374
.LBB158_2373:
	v_and_b32_e32 v3, 0xffff, v1
	s_delay_alu instid0(VALU_DEP_1) | instskip(SKIP_1) | instid1(VALU_DEP_2)
	v_dual_lshlrev_b32 v1, 24, v1 :: v_dual_bitop2_b32 v5, 3, v3 bitop3:0x40
	v_bfe_u32 v13, v3, 2, 5
	v_and_b32_e32 v1, 0x80000000, v1
	s_delay_alu instid0(VALU_DEP_3) | instskip(NEXT) | instid1(VALU_DEP_3)
	v_clz_i32_u32_e32 v11, v5
	v_cmp_eq_u32_e32 vcc_lo, 0, v13
	s_delay_alu instid0(VALU_DEP_2) | instskip(NEXT) | instid1(VALU_DEP_1)
	v_min_u32_e32 v11, 32, v11
	v_subrev_nc_u32_e32 v12, 29, v11
	v_sub_nc_u32_e32 v11, 30, v11
	s_delay_alu instid0(VALU_DEP_2) | instskip(NEXT) | instid1(VALU_DEP_2)
	v_lshlrev_b32_e32 v3, v12, v3
	v_cndmask_b32_e32 v11, v13, v11, vcc_lo
	s_delay_alu instid0(VALU_DEP_2) | instskip(NEXT) | instid1(VALU_DEP_1)
	v_and_b32_e32 v3, 3, v3
	v_cndmask_b32_e32 v3, v5, v3, vcc_lo
	s_delay_alu instid0(VALU_DEP_3) | instskip(NEXT) | instid1(VALU_DEP_2)
	v_lshl_add_u32 v5, v11, 23, 0x37800000
	v_lshlrev_b32_e32 v3, 21, v3
	s_delay_alu instid0(VALU_DEP_1) | instskip(NEXT) | instid1(VALU_DEP_1)
	v_or3_b32 v1, v1, v5, v3
	v_cvt_f16_f32_e32 v11, v1
.LBB158_2374:
	s_or_b32 exec_lo, exec_lo, s21
	s_mov_b32 s20, 0
	s_branch .LBB158_2380
.LBB158_2375:
	s_mov_b32 s20, -1
                                        ; implicit-def: $vgpr11
	s_branch .LBB158_2386
.LBB158_2376:
	s_or_saveexec_b32 s22, s22
	v_mov_b32_e32 v11, 0x7e00
	s_xor_b32 exec_lo, exec_lo, s22
	s_cbranch_execz .LBB158_2359
.LBB158_2377:
	v_cmp_ne_u16_e32 vcc_lo, 0, v1
	v_mov_b32_e32 v11, v1
	s_and_not1_b32 s21, s21, exec_lo
	s_and_b32 s23, vcc_lo, exec_lo
	s_delay_alu instid0(SALU_CYCLE_1)
	s_or_b32 s21, s21, s23
	s_or_b32 exec_lo, exec_lo, s22
	s_and_saveexec_b32 s22, s21
	s_cbranch_execnz .LBB158_2360
	s_branch .LBB158_2361
.LBB158_2378:
	s_mov_b32 s20, -1
                                        ; implicit-def: $vgpr11
	s_branch .LBB158_2383
.LBB158_2379:
	s_mov_b32 s20, -1
                                        ; implicit-def: $vgpr11
.LBB158_2380:
	s_delay_alu instid0(SALU_CYCLE_1)
	s_and_b32 vcc_lo, exec_lo, s20
	s_cbranch_vccz .LBB158_2382
; %bb.2381:
	global_load_u8 v1, v[6:7], off
	s_wait_loadcnt 0x0
	v_lshlrev_b32_e32 v1, 24, v1
	s_delay_alu instid0(VALU_DEP_1) | instskip(NEXT) | instid1(VALU_DEP_1)
	v_and_b32_e32 v3, 0x7f000000, v1
	v_clz_i32_u32_e32 v5, v3
	v_cmp_ne_u32_e32 vcc_lo, 0, v3
	v_add_nc_u32_e32 v12, 0x1000000, v3
	s_delay_alu instid0(VALU_DEP_3) | instskip(NEXT) | instid1(VALU_DEP_1)
	v_min_u32_e32 v5, 32, v5
	v_sub_nc_u32_e64 v5, v5, 4 clamp
	s_delay_alu instid0(VALU_DEP_1) | instskip(NEXT) | instid1(VALU_DEP_1)
	v_dual_lshlrev_b32 v11, v5, v3 :: v_dual_lshlrev_b32 v5, 23, v5
	v_lshrrev_b32_e32 v11, 4, v11
	s_delay_alu instid0(VALU_DEP_1) | instskip(NEXT) | instid1(VALU_DEP_1)
	v_dual_sub_nc_u32 v5, v11, v5 :: v_dual_ashrrev_i32 v11, 8, v12
	v_add_nc_u32_e32 v5, 0x3c000000, v5
	s_delay_alu instid0(VALU_DEP_1) | instskip(NEXT) | instid1(VALU_DEP_1)
	v_and_or_b32 v5, 0x7f800000, v11, v5
	v_cndmask_b32_e32 v3, 0, v5, vcc_lo
	s_delay_alu instid0(VALU_DEP_1) | instskip(NEXT) | instid1(VALU_DEP_1)
	v_and_or_b32 v1, 0x80000000, v1, v3
	v_cvt_f16_f32_e32 v11, v1
.LBB158_2382:
	s_mov_b32 s20, 0
.LBB158_2383:
	s_delay_alu instid0(SALU_CYCLE_1)
	s_and_not1_b32 vcc_lo, exec_lo, s20
	s_cbranch_vccnz .LBB158_2385
; %bb.2384:
	global_load_u8 v1, v[6:7], off
	s_wait_loadcnt 0x0
	v_lshlrev_b32_e32 v3, 25, v1
	v_lshlrev_b16 v1, 8, v1
	s_delay_alu instid0(VALU_DEP_1) | instskip(SKIP_1) | instid1(VALU_DEP_2)
	v_and_or_b32 v11, 0x7f00, v1, 0.5
	v_bfe_i32 v1, v1, 0, 16
	v_add_f32_e32 v11, -0.5, v11
	v_lshrrev_b32_e32 v5, 4, v3
	v_cmp_gt_u32_e32 vcc_lo, 0x8000000, v3
	s_delay_alu instid0(VALU_DEP_2) | instskip(NEXT) | instid1(VALU_DEP_1)
	v_or_b32_e32 v5, 0x70000000, v5
	v_mul_f32_e32 v5, 0x7800000, v5
	s_delay_alu instid0(VALU_DEP_1) | instskip(NEXT) | instid1(VALU_DEP_1)
	v_cndmask_b32_e32 v3, v5, v11, vcc_lo
	v_and_or_b32 v1, 0x80000000, v1, v3
	s_delay_alu instid0(VALU_DEP_1)
	v_cvt_f16_f32_e32 v11, v1
.LBB158_2385:
	s_mov_b32 s20, 0
	s_mov_b32 s21, -1
.LBB158_2386:
	s_and_not1_b32 vcc_lo, exec_lo, s20
	s_mov_b32 s20, 0
	s_cbranch_vccnz .LBB158_2397
; %bb.2387:
	s_cmp_gt_i32 s0, 14
	s_cbranch_scc0 .LBB158_2390
; %bb.2388:
	s_cmp_eq_u32 s0, 15
	s_cbranch_scc0 .LBB158_2393
; %bb.2389:
	global_load_u16 v1, v[6:7], off
	s_mov_b32 s1, 0
	s_mov_b32 s21, -1
	s_wait_loadcnt 0x0
	v_lshlrev_b32_e32 v1, 16, v1
	s_delay_alu instid0(VALU_DEP_1)
	v_cvt_f16_f32_e32 v11, v1
	s_branch .LBB158_2395
.LBB158_2390:
	s_mov_b32 s20, -1
	s_branch .LBB158_2394
.LBB158_2391:
	s_or_saveexec_b32 s21, s21
	v_mov_b32_e32 v11, 0x7e00
	s_xor_b32 exec_lo, exec_lo, s21
	s_cbranch_execz .LBB158_2372
.LBB158_2392:
	v_cmp_ne_u16_e32 vcc_lo, 0, v1
	v_mov_b32_e32 v11, v1
	s_and_not1_b32 s20, s20, exec_lo
	s_and_b32 s22, vcc_lo, exec_lo
	s_delay_alu instid0(SALU_CYCLE_1)
	s_or_b32 s20, s20, s22
	s_or_b32 exec_lo, exec_lo, s21
	s_and_saveexec_b32 s21, s20
	s_cbranch_execnz .LBB158_2373
	s_branch .LBB158_2374
.LBB158_2393:
	s_mov_b32 s1, -1
.LBB158_2394:
                                        ; implicit-def: $vgpr11
.LBB158_2395:
	s_and_b32 vcc_lo, exec_lo, s20
	s_mov_b32 s20, 0
	s_cbranch_vccz .LBB158_2397
; %bb.2396:
	s_cmp_lg_u32 s0, 11
	s_mov_b32 s20, -1
	s_cselect_b32 s1, -1, 0
.LBB158_2397:
	s_delay_alu instid0(SALU_CYCLE_1)
	s_and_b32 vcc_lo, exec_lo, s1
	s_cbranch_vccnz .LBB158_2460
; %bb.2398:
	s_and_not1_b32 vcc_lo, exec_lo, s20
	s_cbranch_vccnz .LBB158_2400
.LBB158_2399:
	global_load_u8 v1, v[6:7], off
	s_mov_b32 s21, -1
	s_wait_loadcnt 0x0
	v_cmp_ne_u16_e32 vcc_lo, 0, v1
	v_cndmask_b32_e64 v11, 0, 0x3c00, vcc_lo
.LBB158_2400:
	s_branch .LBB158_2327
.LBB158_2401:
	s_cmp_lt_i32 s0, 5
	s_cbranch_scc1 .LBB158_2406
; %bb.2402:
	s_cmp_lt_i32 s0, 8
	s_cbranch_scc1 .LBB158_2407
; %bb.2403:
	s_cmp_lt_i32 s0, 9
	s_cbranch_scc1 .LBB158_2408
; %bb.2404:
	s_cmp_gt_i32 s0, 9
	s_cbranch_scc0 .LBB158_2409
; %bb.2405:
	global_load_b64 v[12:13], v[6:7], off
	s_mov_b32 s1, 0
	s_wait_loadcnt 0x0
	v_and_or_b32 v1, 0x1ff, v13, v12
	v_lshrrev_b32_e32 v3, 8, v13
	v_bfe_u32 v5, v13, 20, 11
	s_delay_alu instid0(VALU_DEP_3) | instskip(NEXT) | instid1(VALU_DEP_2)
	v_cmp_ne_u32_e32 vcc_lo, 0, v1
	v_sub_nc_u32_e32 v11, 0x3f1, v5
	v_add_nc_u32_e32 v5, 0xfffffc10, v5
	v_cndmask_b32_e64 v1, 0, 1, vcc_lo
	s_delay_alu instid0(VALU_DEP_1) | instskip(NEXT) | instid1(VALU_DEP_4)
	v_and_or_b32 v1, 0xffe, v3, v1
	v_med3_i32 v3, v11, 0, 13
	s_delay_alu instid0(VALU_DEP_2) | instskip(NEXT) | instid1(VALU_DEP_1)
	v_or_b32_e32 v11, 0x1000, v1
	v_lshrrev_b32_e32 v12, v3, v11
	s_delay_alu instid0(VALU_DEP_1) | instskip(NEXT) | instid1(VALU_DEP_1)
	v_lshlrev_b32_e32 v3, v3, v12
	v_cmp_ne_u32_e32 vcc_lo, v3, v11
	v_lshl_or_b32 v11, v5, 12, v1
	v_cndmask_b32_e64 v3, 0, 1, vcc_lo
	v_cmp_gt_i32_e32 vcc_lo, 1, v5
	s_delay_alu instid0(VALU_DEP_2) | instskip(NEXT) | instid1(VALU_DEP_1)
	v_or_b32_e32 v3, v12, v3
	v_cndmask_b32_e32 v3, v11, v3, vcc_lo
	s_delay_alu instid0(VALU_DEP_1) | instskip(NEXT) | instid1(VALU_DEP_1)
	v_dual_lshrrev_b32 v3, 2, v3 :: v_dual_bitop2_b32 v11, 7, v3 bitop3:0x40
	v_cmp_lt_i32_e32 vcc_lo, 5, v11
	v_cndmask_b32_e64 v12, 0, 1, vcc_lo
	v_cmp_eq_u32_e32 vcc_lo, 3, v11
	v_cndmask_b32_e64 v11, 0, 1, vcc_lo
	v_cmp_ne_u32_e32 vcc_lo, 0, v1
	s_delay_alu instid0(VALU_DEP_2) | instskip(NEXT) | instid1(VALU_DEP_1)
	v_or_b32_e32 v11, v11, v12
	v_dual_mov_b32 v12, 0x7e00 :: v_dual_add_nc_u32 v3, v3, v11
	s_delay_alu instid0(VALU_DEP_1) | instskip(SKIP_1) | instid1(VALU_DEP_3)
	v_cndmask_b32_e32 v1, 0x7c00, v12, vcc_lo
	v_cmp_gt_i32_e32 vcc_lo, 31, v5
	v_cndmask_b32_e32 v3, 0x7c00, v3, vcc_lo
	v_cmp_eq_u32_e32 vcc_lo, 0x40f, v5
	s_delay_alu instid0(VALU_DEP_2) | instskip(SKIP_1) | instid1(VALU_DEP_1)
	v_cndmask_b32_e32 v1, v3, v1, vcc_lo
	v_lshrrev_b32_e32 v3, 16, v13
	v_and_or_b32 v11, 0x8000, v3, v1
	s_branch .LBB158_2410
.LBB158_2406:
	s_mov_b32 s1, -1
                                        ; implicit-def: $vgpr11
	s_branch .LBB158_2428
.LBB158_2407:
	s_mov_b32 s1, -1
                                        ; implicit-def: $vgpr11
	s_branch .LBB158_2416
.LBB158_2408:
	s_mov_b32 s1, -1
                                        ; implicit-def: $vgpr11
	s_branch .LBB158_2413
.LBB158_2409:
	s_mov_b32 s1, -1
                                        ; implicit-def: $vgpr11
.LBB158_2410:
	s_delay_alu instid0(SALU_CYCLE_1)
	s_and_not1_b32 vcc_lo, exec_lo, s1
	s_cbranch_vccnz .LBB158_2412
; %bb.2411:
	global_load_b32 v1, v[6:7], off
	s_wait_loadcnt 0x0
	v_cvt_f16_f32_e32 v11, v1
.LBB158_2412:
	s_mov_b32 s1, 0
.LBB158_2413:
	s_delay_alu instid0(SALU_CYCLE_1)
	s_and_not1_b32 vcc_lo, exec_lo, s1
	s_cbranch_vccnz .LBB158_2415
; %bb.2414:
	global_load_b32 v11, v[6:7], off
.LBB158_2415:
	s_mov_b32 s1, 0
.LBB158_2416:
	s_delay_alu instid0(SALU_CYCLE_1)
	s_and_not1_b32 vcc_lo, exec_lo, s1
	s_cbranch_vccnz .LBB158_2427
; %bb.2417:
	s_cmp_lt_i32 s0, 6
	s_cbranch_scc1 .LBB158_2420
; %bb.2418:
	s_cmp_gt_i32 s0, 6
	s_cbranch_scc0 .LBB158_2421
; %bb.2419:
	global_load_b64 v[12:13], v[6:7], off
	s_mov_b32 s1, 0
	s_wait_loadcnt 0x0
	v_and_or_b32 v1, 0x1ff, v13, v12
	v_lshrrev_b32_e32 v3, 8, v13
	v_bfe_u32 v5, v13, 20, 11
	s_delay_alu instid0(VALU_DEP_3) | instskip(NEXT) | instid1(VALU_DEP_2)
	v_cmp_ne_u32_e32 vcc_lo, 0, v1
	v_sub_nc_u32_e32 v11, 0x3f1, v5
	v_add_nc_u32_e32 v5, 0xfffffc10, v5
	v_cndmask_b32_e64 v1, 0, 1, vcc_lo
	s_delay_alu instid0(VALU_DEP_1) | instskip(NEXT) | instid1(VALU_DEP_4)
	v_and_or_b32 v1, 0xffe, v3, v1
	v_med3_i32 v3, v11, 0, 13
	s_delay_alu instid0(VALU_DEP_2) | instskip(NEXT) | instid1(VALU_DEP_1)
	v_or_b32_e32 v11, 0x1000, v1
	v_lshrrev_b32_e32 v12, v3, v11
	s_delay_alu instid0(VALU_DEP_1) | instskip(NEXT) | instid1(VALU_DEP_1)
	v_lshlrev_b32_e32 v3, v3, v12
	v_cmp_ne_u32_e32 vcc_lo, v3, v11
	v_lshl_or_b32 v11, v5, 12, v1
	v_cndmask_b32_e64 v3, 0, 1, vcc_lo
	v_cmp_gt_i32_e32 vcc_lo, 1, v5
	s_delay_alu instid0(VALU_DEP_2) | instskip(NEXT) | instid1(VALU_DEP_1)
	v_or_b32_e32 v3, v12, v3
	v_cndmask_b32_e32 v3, v11, v3, vcc_lo
	s_delay_alu instid0(VALU_DEP_1) | instskip(NEXT) | instid1(VALU_DEP_1)
	v_dual_lshrrev_b32 v3, 2, v3 :: v_dual_bitop2_b32 v11, 7, v3 bitop3:0x40
	v_cmp_lt_i32_e32 vcc_lo, 5, v11
	v_cndmask_b32_e64 v12, 0, 1, vcc_lo
	v_cmp_eq_u32_e32 vcc_lo, 3, v11
	v_cndmask_b32_e64 v11, 0, 1, vcc_lo
	v_cmp_ne_u32_e32 vcc_lo, 0, v1
	s_delay_alu instid0(VALU_DEP_2) | instskip(NEXT) | instid1(VALU_DEP_1)
	v_or_b32_e32 v11, v11, v12
	v_dual_mov_b32 v12, 0x7e00 :: v_dual_add_nc_u32 v3, v3, v11
	s_delay_alu instid0(VALU_DEP_1) | instskip(SKIP_1) | instid1(VALU_DEP_3)
	v_cndmask_b32_e32 v1, 0x7c00, v12, vcc_lo
	v_cmp_gt_i32_e32 vcc_lo, 31, v5
	v_cndmask_b32_e32 v3, 0x7c00, v3, vcc_lo
	v_cmp_eq_u32_e32 vcc_lo, 0x40f, v5
	s_delay_alu instid0(VALU_DEP_2) | instskip(SKIP_1) | instid1(VALU_DEP_1)
	v_cndmask_b32_e32 v1, v3, v1, vcc_lo
	v_lshrrev_b32_e32 v3, 16, v13
	v_and_or_b32 v11, 0x8000, v3, v1
	s_branch .LBB158_2422
.LBB158_2420:
	s_mov_b32 s1, -1
                                        ; implicit-def: $vgpr11
	s_branch .LBB158_2425
.LBB158_2421:
	s_mov_b32 s1, -1
                                        ; implicit-def: $vgpr11
.LBB158_2422:
	s_delay_alu instid0(SALU_CYCLE_1)
	s_and_not1_b32 vcc_lo, exec_lo, s1
	s_cbranch_vccnz .LBB158_2424
; %bb.2423:
	global_load_b32 v1, v[6:7], off
	s_wait_loadcnt 0x0
	v_cvt_f16_f32_e32 v11, v1
.LBB158_2424:
	s_mov_b32 s1, 0
.LBB158_2425:
	s_delay_alu instid0(SALU_CYCLE_1)
	s_and_not1_b32 vcc_lo, exec_lo, s1
	s_cbranch_vccnz .LBB158_2427
; %bb.2426:
	s_wait_loadcnt 0x0
	global_load_u16 v11, v[6:7], off
.LBB158_2427:
	s_mov_b32 s1, 0
.LBB158_2428:
	s_delay_alu instid0(SALU_CYCLE_1)
	s_and_not1_b32 vcc_lo, exec_lo, s1
	s_cbranch_vccnz .LBB158_2448
; %bb.2429:
	s_cmp_lt_i32 s0, 2
	s_cbranch_scc1 .LBB158_2433
; %bb.2430:
	s_cmp_lt_i32 s0, 3
	s_cbranch_scc1 .LBB158_2434
; %bb.2431:
	s_cmp_gt_i32 s0, 3
	s_cbranch_scc0 .LBB158_2435
; %bb.2432:
	global_load_b64 v[12:13], v[6:7], off
	s_mov_b32 s1, 0
	s_wait_loadcnt 0x0
	v_xor_b32_e32 v1, v12, v13
	v_cls_i32_e32 v3, v13
	s_delay_alu instid0(VALU_DEP_2) | instskip(NEXT) | instid1(VALU_DEP_1)
	v_ashrrev_i32_e32 v1, 31, v1
	v_add_nc_u32_e32 v1, 32, v1
	s_delay_alu instid0(VALU_DEP_1) | instskip(NEXT) | instid1(VALU_DEP_1)
	v_add_min_u32_e64 v1, v3, -1, v1
	v_lshlrev_b64_e32 v[12:13], v1, v[12:13]
	v_sub_nc_u32_e32 v1, 32, v1
	s_delay_alu instid0(VALU_DEP_2) | instskip(NEXT) | instid1(VALU_DEP_1)
	v_min_u32_e32 v3, 1, v12
	v_or_b32_e32 v3, v13, v3
	s_delay_alu instid0(VALU_DEP_1) | instskip(NEXT) | instid1(VALU_DEP_1)
	v_cvt_f32_i32_e32 v3, v3
	v_ldexp_f32 v1, v3, v1
	s_delay_alu instid0(VALU_DEP_1)
	v_cvt_f16_f32_e32 v11, v1
	s_branch .LBB158_2436
.LBB158_2433:
	s_mov_b32 s1, -1
                                        ; implicit-def: $vgpr11
	s_branch .LBB158_2442
.LBB158_2434:
	s_mov_b32 s1, -1
                                        ; implicit-def: $vgpr11
	s_branch .LBB158_2439
.LBB158_2435:
	s_mov_b32 s1, -1
                                        ; implicit-def: $vgpr11
.LBB158_2436:
	s_delay_alu instid0(SALU_CYCLE_1)
	s_and_not1_b32 vcc_lo, exec_lo, s1
	s_cbranch_vccnz .LBB158_2438
; %bb.2437:
	global_load_b32 v1, v[6:7], off
	s_wait_loadcnt 0x0
	v_cvt_f32_i32_e32 v1, v1
	s_delay_alu instid0(VALU_DEP_1)
	v_cvt_f16_f32_e32 v11, v1
.LBB158_2438:
	s_mov_b32 s1, 0
.LBB158_2439:
	s_delay_alu instid0(SALU_CYCLE_1)
	s_and_not1_b32 vcc_lo, exec_lo, s1
	s_cbranch_vccnz .LBB158_2441
; %bb.2440:
	global_load_u16 v1, v[6:7], off
	s_wait_loadcnt 0x0
	v_cvt_f16_i16_e32 v11, v1
.LBB158_2441:
	s_mov_b32 s1, 0
.LBB158_2442:
	s_delay_alu instid0(SALU_CYCLE_1)
	s_and_not1_b32 vcc_lo, exec_lo, s1
	s_cbranch_vccnz .LBB158_2448
; %bb.2443:
	s_cmp_gt_i32 s0, 0
	s_mov_b32 s1, 0
	s_cbranch_scc0 .LBB158_2445
; %bb.2444:
	global_load_i8 v1, v[6:7], off
	s_wait_loadcnt 0x0
	v_cvt_f16_i16_e32 v11, v1
	s_branch .LBB158_2446
.LBB158_2445:
	s_mov_b32 s1, -1
                                        ; implicit-def: $vgpr11
.LBB158_2446:
	s_delay_alu instid0(SALU_CYCLE_1)
	s_and_not1_b32 vcc_lo, exec_lo, s1
	s_cbranch_vccnz .LBB158_2448
; %bb.2447:
	global_load_u8 v1, v[6:7], off
	s_wait_loadcnt 0x0
	v_cvt_f16_u16_e32 v11, v1
.LBB158_2448:
.LBB158_2449:
	s_lshl_b32 s1, s13, 7
	s_cmp_lt_i32 s17, 11
	v_add_nc_u32_e32 v0, s1, v0
	s_delay_alu instid0(VALU_DEP_1) | instskip(SKIP_1) | instid1(VALU_DEP_1)
	v_ashrrev_i32_e32 v1, 31, v0
	s_wait_xcnt 0x0
	v_add_nc_u64_e32 v[6:7], s[6:7], v[0:1]
	s_cbranch_scc1 .LBB158_2456
; %bb.2450:
	s_and_b32 s13, 0xffff, s17
	s_mov_b32 s21, 0
	s_cmp_gt_i32 s13, 25
	s_cbranch_scc0 .LBB158_2457
; %bb.2451:
	s_cmp_gt_i32 s13, 28
	s_cbranch_scc0 .LBB158_2458
; %bb.2452:
	;; [unrolled: 3-line block ×4, first 2 shown]
	s_cmp_eq_u32 s13, 46
	s_mov_b32 s23, 0
	s_cbranch_scc0 .LBB158_2462
; %bb.2455:
	global_load_b32 v1, v[6:7], off
	s_mov_b32 s20, 0
	s_mov_b32 s22, -1
	s_wait_loadcnt 0x0
	v_lshlrev_b32_e32 v1, 16, v1
	s_delay_alu instid0(VALU_DEP_1)
	v_cvt_f16_f32_e32 v12, v1
	s_branch .LBB158_2464
.LBB158_2456:
	s_mov_b32 s13, -1
	s_mov_b32 s22, 0
                                        ; implicit-def: $vgpr12
	s_branch .LBB158_2530
.LBB158_2457:
	s_mov_b32 s23, -1
	s_mov_b32 s22, 0
	s_mov_b32 s20, 0
                                        ; implicit-def: $vgpr12
	s_branch .LBB158_2493
.LBB158_2458:
	s_mov_b32 s23, -1
	s_mov_b32 s22, 0
	s_mov_b32 s20, 0
                                        ; implicit-def: $vgpr12
	s_branch .LBB158_2474
.LBB158_2459:
	s_mov_b32 s23, -1
	s_mov_b32 s22, 0
	s_mov_b32 s20, 0
                                        ; implicit-def: $vgpr12
	s_branch .LBB158_2469
.LBB158_2460:
	s_or_b32 s16, s16, exec_lo
	s_trap 2
	s_cbranch_execz .LBB158_2399
	s_branch .LBB158_2400
.LBB158_2461:
	s_mov_b32 s23, -1
	s_mov_b32 s22, 0
	s_mov_b32 s20, 0
	s_branch .LBB158_2463
.LBB158_2462:
	s_mov_b32 s20, -1
	s_mov_b32 s22, 0
.LBB158_2463:
                                        ; implicit-def: $vgpr12
.LBB158_2464:
	s_and_b32 vcc_lo, exec_lo, s23
	s_cbranch_vccz .LBB158_2468
; %bb.2465:
	s_cmp_eq_u32 s13, 44
	s_cbranch_scc0 .LBB158_2467
; %bb.2466:
	global_load_u8 v1, v[6:7], off
	s_mov_b32 s20, 0
	s_mov_b32 s22, -1
	s_wait_loadcnt 0x0
	v_lshlrev_b32_e32 v3, 23, v1
	v_cmp_ne_u32_e32 vcc_lo, 0xff, v1
	s_delay_alu instid0(VALU_DEP_2) | instskip(NEXT) | instid1(VALU_DEP_1)
	v_cvt_f16_f32_e32 v3, v3
	v_cndmask_b32_e32 v3, 0x7e00, v3, vcc_lo
	v_cmp_ne_u32_e32 vcc_lo, 0, v1
	s_delay_alu instid0(VALU_DEP_2)
	v_cndmask_b32_e32 v12, 0, v3, vcc_lo
	s_branch .LBB158_2468
.LBB158_2467:
	s_mov_b32 s20, -1
                                        ; implicit-def: $vgpr12
.LBB158_2468:
	s_mov_b32 s23, 0
.LBB158_2469:
	s_delay_alu instid0(SALU_CYCLE_1)
	s_and_b32 vcc_lo, exec_lo, s23
	s_cbranch_vccz .LBB158_2473
; %bb.2470:
	s_cmp_eq_u32 s13, 29
	s_cbranch_scc0 .LBB158_2472
; %bb.2471:
	global_load_b64 v[12:13], v[6:7], off
	s_mov_b32 s20, 0
	s_mov_b32 s22, -1
	s_mov_b32 s23, 0
	s_wait_loadcnt 0x0
	v_clz_i32_u32_e32 v1, v13
	s_delay_alu instid0(VALU_DEP_1) | instskip(NEXT) | instid1(VALU_DEP_1)
	v_min_u32_e32 v1, 32, v1
	v_lshlrev_b64_e32 v[12:13], v1, v[12:13]
	v_sub_nc_u32_e32 v1, 32, v1
	s_delay_alu instid0(VALU_DEP_2) | instskip(NEXT) | instid1(VALU_DEP_1)
	v_min_u32_e32 v3, 1, v12
	v_or_b32_e32 v3, v13, v3
	s_delay_alu instid0(VALU_DEP_1) | instskip(NEXT) | instid1(VALU_DEP_1)
	v_cvt_f32_u32_e32 v3, v3
	v_ldexp_f32 v1, v3, v1
	s_delay_alu instid0(VALU_DEP_1)
	v_cvt_f16_f32_e32 v12, v1
	s_branch .LBB158_2474
.LBB158_2472:
	s_mov_b32 s20, -1
                                        ; implicit-def: $vgpr12
.LBB158_2473:
	s_mov_b32 s23, 0
.LBB158_2474:
	s_delay_alu instid0(SALU_CYCLE_1)
	s_and_b32 vcc_lo, exec_lo, s23
	s_cbranch_vccz .LBB158_2492
; %bb.2475:
	s_cmp_lt_i32 s13, 27
	s_cbranch_scc1 .LBB158_2478
; %bb.2476:
	s_cmp_gt_i32 s13, 27
	s_cbranch_scc0 .LBB158_2479
; %bb.2477:
	global_load_b32 v1, v[6:7], off
	s_mov_b32 s22, 0
	s_wait_loadcnt 0x0
	v_cvt_f32_u32_e32 v1, v1
	s_delay_alu instid0(VALU_DEP_1)
	v_cvt_f16_f32_e32 v12, v1
	s_branch .LBB158_2480
.LBB158_2478:
	s_mov_b32 s22, -1
                                        ; implicit-def: $vgpr12
	s_branch .LBB158_2483
.LBB158_2479:
	s_mov_b32 s22, -1
                                        ; implicit-def: $vgpr12
.LBB158_2480:
	s_delay_alu instid0(SALU_CYCLE_1)
	s_and_not1_b32 vcc_lo, exec_lo, s22
	s_cbranch_vccnz .LBB158_2482
; %bb.2481:
	global_load_u16 v1, v[6:7], off
	s_wait_loadcnt 0x0
	v_cvt_f16_u16_e32 v12, v1
.LBB158_2482:
	s_mov_b32 s22, 0
.LBB158_2483:
	s_delay_alu instid0(SALU_CYCLE_1)
	s_and_not1_b32 vcc_lo, exec_lo, s22
	s_cbranch_vccnz .LBB158_2491
; %bb.2484:
	global_load_u8 v1, v[6:7], off
	s_mov_b32 s22, 0
	s_mov_b32 s23, exec_lo
	s_wait_loadcnt 0x0
	v_cmpx_lt_i16_e32 0x7f, v1
	s_xor_b32 s23, exec_lo, s23
	s_cbranch_execz .LBB158_2505
; %bb.2485:
	s_mov_b32 s22, -1
	s_mov_b32 s24, exec_lo
	v_cmpx_eq_u16_e32 0x80, v1
; %bb.2486:
	s_xor_b32 s22, exec_lo, -1
; %bb.2487:
	s_or_b32 exec_lo, exec_lo, s24
	s_delay_alu instid0(SALU_CYCLE_1)
	s_and_b32 s22, s22, exec_lo
	s_or_saveexec_b32 s23, s23
	v_mov_b32_e32 v12, 0x7e00
	s_xor_b32 exec_lo, exec_lo, s23
	s_cbranch_execnz .LBB158_2506
.LBB158_2488:
	s_or_b32 exec_lo, exec_lo, s23
	s_and_saveexec_b32 s23, s22
	s_cbranch_execz .LBB158_2490
.LBB158_2489:
	v_and_b32_e32 v3, 0xffff, v1
	s_delay_alu instid0(VALU_DEP_1) | instskip(SKIP_1) | instid1(VALU_DEP_2)
	v_and_b32_e32 v5, 7, v3
	v_bfe_u32 v14, v3, 3, 4
	v_clz_i32_u32_e32 v12, v5
	s_delay_alu instid0(VALU_DEP_2) | instskip(NEXT) | instid1(VALU_DEP_2)
	v_cmp_eq_u32_e32 vcc_lo, 0, v14
	v_min_u32_e32 v12, 32, v12
	s_delay_alu instid0(VALU_DEP_1) | instskip(NEXT) | instid1(VALU_DEP_1)
	v_subrev_nc_u32_e32 v13, 28, v12
	v_dual_lshlrev_b32 v3, v13, v3 :: v_dual_sub_nc_u32 v12, 29, v12
	s_delay_alu instid0(VALU_DEP_1) | instskip(NEXT) | instid1(VALU_DEP_1)
	v_dual_lshlrev_b32 v1, 24, v1 :: v_dual_bitop2_b32 v3, 7, v3 bitop3:0x40
	v_dual_cndmask_b32 v12, v14, v12 :: v_dual_cndmask_b32 v3, v5, v3
	s_delay_alu instid0(VALU_DEP_2) | instskip(NEXT) | instid1(VALU_DEP_2)
	v_and_b32_e32 v1, 0x80000000, v1
	v_lshl_add_u32 v5, v12, 23, 0x3b800000
	s_delay_alu instid0(VALU_DEP_3) | instskip(NEXT) | instid1(VALU_DEP_1)
	v_lshlrev_b32_e32 v3, 20, v3
	v_or3_b32 v1, v1, v5, v3
	s_delay_alu instid0(VALU_DEP_1)
	v_cvt_f16_f32_e32 v12, v1
.LBB158_2490:
	s_or_b32 exec_lo, exec_lo, s23
.LBB158_2491:
	s_mov_b32 s22, -1
.LBB158_2492:
	s_mov_b32 s23, 0
.LBB158_2493:
	s_delay_alu instid0(SALU_CYCLE_1)
	s_and_b32 vcc_lo, exec_lo, s23
	s_cbranch_vccz .LBB158_2526
; %bb.2494:
	s_cmp_gt_i32 s13, 22
	s_cbranch_scc0 .LBB158_2504
; %bb.2495:
	s_cmp_lt_i32 s13, 24
	s_cbranch_scc1 .LBB158_2507
; %bb.2496:
	s_cmp_gt_i32 s13, 24
	s_cbranch_scc0 .LBB158_2508
; %bb.2497:
	global_load_u8 v1, v[6:7], off
	s_mov_b32 s22, exec_lo
	s_wait_loadcnt 0x0
	v_cmpx_lt_i16_e32 0x7f, v1
	s_xor_b32 s22, exec_lo, s22
	s_cbranch_execz .LBB158_2520
; %bb.2498:
	s_mov_b32 s21, -1
	s_mov_b32 s23, exec_lo
	v_cmpx_eq_u16_e32 0x80, v1
; %bb.2499:
	s_xor_b32 s21, exec_lo, -1
; %bb.2500:
	s_or_b32 exec_lo, exec_lo, s23
	s_delay_alu instid0(SALU_CYCLE_1)
	s_and_b32 s21, s21, exec_lo
	s_or_saveexec_b32 s22, s22
	v_mov_b32_e32 v12, 0x7e00
	s_xor_b32 exec_lo, exec_lo, s22
	s_cbranch_execnz .LBB158_2521
.LBB158_2501:
	s_or_b32 exec_lo, exec_lo, s22
	s_and_saveexec_b32 s22, s21
	s_cbranch_execz .LBB158_2503
.LBB158_2502:
	v_and_b32_e32 v3, 0xffff, v1
	s_delay_alu instid0(VALU_DEP_1) | instskip(SKIP_1) | instid1(VALU_DEP_2)
	v_and_b32_e32 v5, 3, v3
	v_bfe_u32 v14, v3, 2, 5
	v_clz_i32_u32_e32 v12, v5
	s_delay_alu instid0(VALU_DEP_2) | instskip(NEXT) | instid1(VALU_DEP_2)
	v_cmp_eq_u32_e32 vcc_lo, 0, v14
	v_min_u32_e32 v12, 32, v12
	s_delay_alu instid0(VALU_DEP_1) | instskip(NEXT) | instid1(VALU_DEP_1)
	v_subrev_nc_u32_e32 v13, 29, v12
	v_dual_lshlrev_b32 v3, v13, v3 :: v_dual_sub_nc_u32 v12, 30, v12
	s_delay_alu instid0(VALU_DEP_1) | instskip(NEXT) | instid1(VALU_DEP_1)
	v_dual_lshlrev_b32 v1, 24, v1 :: v_dual_bitop2_b32 v3, 3, v3 bitop3:0x40
	v_dual_cndmask_b32 v12, v14, v12 :: v_dual_cndmask_b32 v3, v5, v3
	s_delay_alu instid0(VALU_DEP_2) | instskip(NEXT) | instid1(VALU_DEP_2)
	v_and_b32_e32 v1, 0x80000000, v1
	v_lshl_add_u32 v5, v12, 23, 0x37800000
	s_delay_alu instid0(VALU_DEP_3) | instskip(NEXT) | instid1(VALU_DEP_1)
	v_lshlrev_b32_e32 v3, 21, v3
	v_or3_b32 v1, v1, v5, v3
	s_delay_alu instid0(VALU_DEP_1)
	v_cvt_f16_f32_e32 v12, v1
.LBB158_2503:
	s_or_b32 exec_lo, exec_lo, s22
	s_mov_b32 s21, 0
	s_branch .LBB158_2509
.LBB158_2504:
	s_mov_b32 s21, -1
                                        ; implicit-def: $vgpr12
	s_branch .LBB158_2515
.LBB158_2505:
	s_or_saveexec_b32 s23, s23
	v_mov_b32_e32 v12, 0x7e00
	s_xor_b32 exec_lo, exec_lo, s23
	s_cbranch_execz .LBB158_2488
.LBB158_2506:
	v_cmp_ne_u16_e32 vcc_lo, 0, v1
	v_mov_b32_e32 v12, v1
	s_and_not1_b32 s22, s22, exec_lo
	s_and_b32 s24, vcc_lo, exec_lo
	s_delay_alu instid0(SALU_CYCLE_1)
	s_or_b32 s22, s22, s24
	s_or_b32 exec_lo, exec_lo, s23
	s_and_saveexec_b32 s23, s22
	s_cbranch_execnz .LBB158_2489
	s_branch .LBB158_2490
.LBB158_2507:
	s_mov_b32 s21, -1
                                        ; implicit-def: $vgpr12
	s_branch .LBB158_2512
.LBB158_2508:
	s_mov_b32 s21, -1
                                        ; implicit-def: $vgpr12
.LBB158_2509:
	s_delay_alu instid0(SALU_CYCLE_1)
	s_and_b32 vcc_lo, exec_lo, s21
	s_cbranch_vccz .LBB158_2511
; %bb.2510:
	global_load_u8 v1, v[6:7], off
	s_wait_loadcnt 0x0
	v_lshlrev_b32_e32 v1, 24, v1
	s_delay_alu instid0(VALU_DEP_1) | instskip(NEXT) | instid1(VALU_DEP_1)
	v_and_b32_e32 v3, 0x7f000000, v1
	v_clz_i32_u32_e32 v5, v3
	v_add_nc_u32_e32 v13, 0x1000000, v3
	v_cmp_ne_u32_e32 vcc_lo, 0, v3
	s_delay_alu instid0(VALU_DEP_3) | instskip(NEXT) | instid1(VALU_DEP_1)
	v_min_u32_e32 v5, 32, v5
	v_sub_nc_u32_e64 v5, v5, 4 clamp
	s_delay_alu instid0(VALU_DEP_1) | instskip(NEXT) | instid1(VALU_DEP_1)
	v_dual_lshlrev_b32 v12, v5, v3 :: v_dual_lshlrev_b32 v5, 23, v5
	v_lshrrev_b32_e32 v12, 4, v12
	s_delay_alu instid0(VALU_DEP_1) | instskip(SKIP_1) | instid1(VALU_DEP_2)
	v_sub_nc_u32_e32 v5, v12, v5
	v_ashrrev_i32_e32 v12, 8, v13
	v_add_nc_u32_e32 v5, 0x3c000000, v5
	s_delay_alu instid0(VALU_DEP_1) | instskip(NEXT) | instid1(VALU_DEP_1)
	v_and_or_b32 v5, 0x7f800000, v12, v5
	v_cndmask_b32_e32 v3, 0, v5, vcc_lo
	s_delay_alu instid0(VALU_DEP_1) | instskip(NEXT) | instid1(VALU_DEP_1)
	v_and_or_b32 v1, 0x80000000, v1, v3
	v_cvt_f16_f32_e32 v12, v1
.LBB158_2511:
	s_mov_b32 s21, 0
.LBB158_2512:
	s_delay_alu instid0(SALU_CYCLE_1)
	s_and_not1_b32 vcc_lo, exec_lo, s21
	s_cbranch_vccnz .LBB158_2514
; %bb.2513:
	global_load_u8 v1, v[6:7], off
	s_wait_loadcnt 0x0
	v_lshlrev_b32_e32 v3, 25, v1
	v_lshlrev_b16 v1, 8, v1
	s_delay_alu instid0(VALU_DEP_1) | instskip(SKIP_1) | instid1(VALU_DEP_2)
	v_and_or_b32 v12, 0x7f00, v1, 0.5
	v_bfe_i32 v1, v1, 0, 16
	v_dual_add_f32 v12, -0.5, v12 :: v_dual_lshrrev_b32 v5, 4, v3
	v_cmp_gt_u32_e32 vcc_lo, 0x8000000, v3
	s_delay_alu instid0(VALU_DEP_2) | instskip(NEXT) | instid1(VALU_DEP_1)
	v_or_b32_e32 v5, 0x70000000, v5
	v_mul_f32_e32 v5, 0x7800000, v5
	s_delay_alu instid0(VALU_DEP_1) | instskip(NEXT) | instid1(VALU_DEP_1)
	v_cndmask_b32_e32 v3, v5, v12, vcc_lo
	v_and_or_b32 v1, 0x80000000, v1, v3
	s_delay_alu instid0(VALU_DEP_1)
	v_cvt_f16_f32_e32 v12, v1
.LBB158_2514:
	s_mov_b32 s21, 0
	s_mov_b32 s22, -1
.LBB158_2515:
	s_and_not1_b32 vcc_lo, exec_lo, s21
	s_mov_b32 s21, 0
	s_cbranch_vccnz .LBB158_2526
; %bb.2516:
	s_cmp_gt_i32 s13, 14
	s_cbranch_scc0 .LBB158_2519
; %bb.2517:
	s_cmp_eq_u32 s13, 15
	s_cbranch_scc0 .LBB158_2522
; %bb.2518:
	global_load_u16 v1, v[6:7], off
	s_mov_b32 s20, 0
	s_mov_b32 s22, -1
	s_wait_loadcnt 0x0
	v_lshlrev_b32_e32 v1, 16, v1
	s_delay_alu instid0(VALU_DEP_1)
	v_cvt_f16_f32_e32 v12, v1
	s_branch .LBB158_2524
.LBB158_2519:
	s_mov_b32 s21, -1
	s_branch .LBB158_2523
.LBB158_2520:
	s_or_saveexec_b32 s22, s22
	v_mov_b32_e32 v12, 0x7e00
	s_xor_b32 exec_lo, exec_lo, s22
	s_cbranch_execz .LBB158_2501
.LBB158_2521:
	v_cmp_ne_u16_e32 vcc_lo, 0, v1
	v_mov_b32_e32 v12, v1
	s_and_not1_b32 s21, s21, exec_lo
	s_and_b32 s23, vcc_lo, exec_lo
	s_delay_alu instid0(SALU_CYCLE_1)
	s_or_b32 s21, s21, s23
	s_or_b32 exec_lo, exec_lo, s22
	s_and_saveexec_b32 s22, s21
	s_cbranch_execnz .LBB158_2502
	s_branch .LBB158_2503
.LBB158_2522:
	s_mov_b32 s20, -1
.LBB158_2523:
                                        ; implicit-def: $vgpr12
.LBB158_2524:
	s_and_b32 vcc_lo, exec_lo, s21
	s_mov_b32 s21, 0
	s_cbranch_vccz .LBB158_2526
; %bb.2525:
	s_cmp_lg_u32 s13, 11
	s_mov_b32 s21, -1
	s_cselect_b32 s20, -1, 0
.LBB158_2526:
	s_delay_alu instid0(SALU_CYCLE_1)
	s_and_b32 vcc_lo, exec_lo, s20
	s_cbranch_vccnz .LBB158_2591
; %bb.2527:
	s_and_not1_b32 vcc_lo, exec_lo, s21
	s_cbranch_vccnz .LBB158_2529
.LBB158_2528:
	global_load_u8 v1, v[6:7], off
	s_mov_b32 s22, -1
	s_wait_loadcnt 0x0
	v_cmp_ne_u16_e32 vcc_lo, 0, v1
	v_cndmask_b32_e64 v12, 0, 0x3c00, vcc_lo
.LBB158_2529:
	s_mov_b32 s13, 0
.LBB158_2530:
	s_delay_alu instid0(SALU_CYCLE_1)
	s_and_b32 vcc_lo, exec_lo, s13
	s_cbranch_vccz .LBB158_2579
; %bb.2531:
	s_and_b32 s13, 0xffff, s17
	s_delay_alu instid0(SALU_CYCLE_1)
	s_cmp_lt_i32 s13, 5
	s_cbranch_scc1 .LBB158_2536
; %bb.2532:
	s_cmp_lt_i32 s13, 8
	s_cbranch_scc1 .LBB158_2537
; %bb.2533:
	;; [unrolled: 3-line block ×3, first 2 shown]
	s_cmp_gt_i32 s13, 9
	s_cbranch_scc0 .LBB158_2539
; %bb.2535:
	global_load_b64 v[12:13], v[6:7], off
	s_mov_b32 s20, 0
	s_wait_loadcnt 0x0
	v_and_or_b32 v1, 0x1ff, v13, v12
	v_lshrrev_b32_e32 v3, 8, v13
	v_bfe_u32 v5, v13, 20, 11
	s_delay_alu instid0(VALU_DEP_3) | instskip(NEXT) | instid1(VALU_DEP_2)
	v_cmp_ne_u32_e32 vcc_lo, 0, v1
	v_sub_nc_u32_e32 v12, 0x3f1, v5
	v_add_nc_u32_e32 v5, 0xfffffc10, v5
	v_cndmask_b32_e64 v1, 0, 1, vcc_lo
	s_delay_alu instid0(VALU_DEP_1) | instskip(NEXT) | instid1(VALU_DEP_4)
	v_and_or_b32 v1, 0xffe, v3, v1
	v_med3_i32 v3, v12, 0, 13
	s_delay_alu instid0(VALU_DEP_2) | instskip(NEXT) | instid1(VALU_DEP_1)
	v_or_b32_e32 v12, 0x1000, v1
	v_lshrrev_b32_e32 v14, v3, v12
	s_delay_alu instid0(VALU_DEP_1) | instskip(NEXT) | instid1(VALU_DEP_1)
	v_lshlrev_b32_e32 v3, v3, v14
	v_cmp_ne_u32_e32 vcc_lo, v3, v12
	v_lshl_or_b32 v12, v5, 12, v1
	v_cndmask_b32_e64 v3, 0, 1, vcc_lo
	v_cmp_gt_i32_e32 vcc_lo, 1, v5
	s_delay_alu instid0(VALU_DEP_2) | instskip(NEXT) | instid1(VALU_DEP_1)
	v_or_b32_e32 v3, v14, v3
	v_cndmask_b32_e32 v3, v12, v3, vcc_lo
	s_delay_alu instid0(VALU_DEP_1) | instskip(NEXT) | instid1(VALU_DEP_1)
	v_dual_lshrrev_b32 v3, 2, v3 :: v_dual_bitop2_b32 v12, 7, v3 bitop3:0x40
	v_cmp_lt_i32_e32 vcc_lo, 5, v12
	v_cndmask_b32_e64 v14, 0, 1, vcc_lo
	v_cmp_eq_u32_e32 vcc_lo, 3, v12
	v_cndmask_b32_e64 v12, 0, 1, vcc_lo
	v_cmp_ne_u32_e32 vcc_lo, 0, v1
	s_delay_alu instid0(VALU_DEP_2) | instskip(NEXT) | instid1(VALU_DEP_1)
	v_or_b32_e32 v12, v12, v14
	v_dual_mov_b32 v14, 0x7e00 :: v_dual_add_nc_u32 v3, v3, v12
	s_delay_alu instid0(VALU_DEP_1) | instskip(SKIP_1) | instid1(VALU_DEP_3)
	v_cndmask_b32_e32 v1, 0x7c00, v14, vcc_lo
	v_cmp_gt_i32_e32 vcc_lo, 31, v5
	v_cndmask_b32_e32 v3, 0x7c00, v3, vcc_lo
	v_cmp_eq_u32_e32 vcc_lo, 0x40f, v5
	s_delay_alu instid0(VALU_DEP_2) | instskip(SKIP_1) | instid1(VALU_DEP_1)
	v_cndmask_b32_e32 v1, v3, v1, vcc_lo
	v_lshrrev_b32_e32 v3, 16, v13
	v_and_or_b32 v12, 0x8000, v3, v1
	s_branch .LBB158_2540
.LBB158_2536:
	s_mov_b32 s20, -1
                                        ; implicit-def: $vgpr12
	s_branch .LBB158_2558
.LBB158_2537:
	s_mov_b32 s20, -1
                                        ; implicit-def: $vgpr12
	s_branch .LBB158_2546
.LBB158_2538:
	s_mov_b32 s20, -1
                                        ; implicit-def: $vgpr12
	s_branch .LBB158_2543
.LBB158_2539:
	s_mov_b32 s20, -1
                                        ; implicit-def: $vgpr12
.LBB158_2540:
	s_delay_alu instid0(SALU_CYCLE_1)
	s_and_not1_b32 vcc_lo, exec_lo, s20
	s_cbranch_vccnz .LBB158_2542
; %bb.2541:
	global_load_b32 v1, v[6:7], off
	s_wait_loadcnt 0x0
	v_cvt_f16_f32_e32 v12, v1
.LBB158_2542:
	s_mov_b32 s20, 0
.LBB158_2543:
	s_delay_alu instid0(SALU_CYCLE_1)
	s_and_not1_b32 vcc_lo, exec_lo, s20
	s_cbranch_vccnz .LBB158_2545
; %bb.2544:
	global_load_b32 v12, v[6:7], off
.LBB158_2545:
	s_mov_b32 s20, 0
.LBB158_2546:
	s_delay_alu instid0(SALU_CYCLE_1)
	s_and_not1_b32 vcc_lo, exec_lo, s20
	s_cbranch_vccnz .LBB158_2557
; %bb.2547:
	s_cmp_lt_i32 s13, 6
	s_cbranch_scc1 .LBB158_2550
; %bb.2548:
	s_cmp_gt_i32 s13, 6
	s_cbranch_scc0 .LBB158_2551
; %bb.2549:
	s_wait_loadcnt 0x0
	global_load_b64 v[12:13], v[6:7], off
	s_mov_b32 s20, 0
	s_wait_loadcnt 0x0
	v_and_or_b32 v1, 0x1ff, v13, v12
	v_lshrrev_b32_e32 v3, 8, v13
	v_bfe_u32 v5, v13, 20, 11
	s_delay_alu instid0(VALU_DEP_3) | instskip(NEXT) | instid1(VALU_DEP_2)
	v_cmp_ne_u32_e32 vcc_lo, 0, v1
	v_sub_nc_u32_e32 v12, 0x3f1, v5
	v_add_nc_u32_e32 v5, 0xfffffc10, v5
	v_cndmask_b32_e64 v1, 0, 1, vcc_lo
	s_delay_alu instid0(VALU_DEP_1) | instskip(NEXT) | instid1(VALU_DEP_4)
	v_and_or_b32 v1, 0xffe, v3, v1
	v_med3_i32 v3, v12, 0, 13
	s_delay_alu instid0(VALU_DEP_2) | instskip(NEXT) | instid1(VALU_DEP_1)
	v_or_b32_e32 v12, 0x1000, v1
	v_lshrrev_b32_e32 v14, v3, v12
	s_delay_alu instid0(VALU_DEP_1) | instskip(NEXT) | instid1(VALU_DEP_1)
	v_lshlrev_b32_e32 v3, v3, v14
	v_cmp_ne_u32_e32 vcc_lo, v3, v12
	v_lshl_or_b32 v12, v5, 12, v1
	v_cndmask_b32_e64 v3, 0, 1, vcc_lo
	v_cmp_gt_i32_e32 vcc_lo, 1, v5
	s_delay_alu instid0(VALU_DEP_2) | instskip(NEXT) | instid1(VALU_DEP_1)
	v_or_b32_e32 v3, v14, v3
	v_cndmask_b32_e32 v3, v12, v3, vcc_lo
	s_delay_alu instid0(VALU_DEP_1) | instskip(NEXT) | instid1(VALU_DEP_1)
	v_dual_lshrrev_b32 v3, 2, v3 :: v_dual_bitop2_b32 v12, 7, v3 bitop3:0x40
	v_cmp_lt_i32_e32 vcc_lo, 5, v12
	v_cndmask_b32_e64 v14, 0, 1, vcc_lo
	v_cmp_eq_u32_e32 vcc_lo, 3, v12
	v_cndmask_b32_e64 v12, 0, 1, vcc_lo
	v_cmp_ne_u32_e32 vcc_lo, 0, v1
	s_delay_alu instid0(VALU_DEP_2) | instskip(NEXT) | instid1(VALU_DEP_1)
	v_or_b32_e32 v12, v12, v14
	v_dual_mov_b32 v14, 0x7e00 :: v_dual_add_nc_u32 v3, v3, v12
	s_delay_alu instid0(VALU_DEP_1) | instskip(SKIP_1) | instid1(VALU_DEP_3)
	v_cndmask_b32_e32 v1, 0x7c00, v14, vcc_lo
	v_cmp_gt_i32_e32 vcc_lo, 31, v5
	v_cndmask_b32_e32 v3, 0x7c00, v3, vcc_lo
	v_cmp_eq_u32_e32 vcc_lo, 0x40f, v5
	s_delay_alu instid0(VALU_DEP_2) | instskip(SKIP_1) | instid1(VALU_DEP_1)
	v_cndmask_b32_e32 v1, v3, v1, vcc_lo
	v_lshrrev_b32_e32 v3, 16, v13
	v_and_or_b32 v12, 0x8000, v3, v1
	s_branch .LBB158_2552
.LBB158_2550:
	s_mov_b32 s20, -1
                                        ; implicit-def: $vgpr12
	s_branch .LBB158_2555
.LBB158_2551:
	s_mov_b32 s20, -1
                                        ; implicit-def: $vgpr12
.LBB158_2552:
	s_delay_alu instid0(SALU_CYCLE_1)
	s_and_not1_b32 vcc_lo, exec_lo, s20
	s_cbranch_vccnz .LBB158_2554
; %bb.2553:
	global_load_b32 v1, v[6:7], off
	s_wait_loadcnt 0x0
	v_cvt_f16_f32_e32 v12, v1
.LBB158_2554:
	s_mov_b32 s20, 0
.LBB158_2555:
	s_delay_alu instid0(SALU_CYCLE_1)
	s_and_not1_b32 vcc_lo, exec_lo, s20
	s_cbranch_vccnz .LBB158_2557
; %bb.2556:
	s_wait_loadcnt 0x0
	global_load_u16 v12, v[6:7], off
.LBB158_2557:
	s_mov_b32 s20, 0
.LBB158_2558:
	s_delay_alu instid0(SALU_CYCLE_1)
	s_and_not1_b32 vcc_lo, exec_lo, s20
	s_cbranch_vccnz .LBB158_2578
; %bb.2559:
	s_cmp_lt_i32 s13, 2
	s_cbranch_scc1 .LBB158_2563
; %bb.2560:
	s_cmp_lt_i32 s13, 3
	s_cbranch_scc1 .LBB158_2564
; %bb.2561:
	s_cmp_gt_i32 s13, 3
	s_cbranch_scc0 .LBB158_2565
; %bb.2562:
	s_wait_loadcnt 0x0
	global_load_b64 v[12:13], v[6:7], off
	s_mov_b32 s20, 0
	s_wait_loadcnt 0x0
	v_xor_b32_e32 v1, v12, v13
	v_cls_i32_e32 v3, v13
	s_delay_alu instid0(VALU_DEP_2) | instskip(NEXT) | instid1(VALU_DEP_1)
	v_ashrrev_i32_e32 v1, 31, v1
	v_add_nc_u32_e32 v1, 32, v1
	s_delay_alu instid0(VALU_DEP_1) | instskip(NEXT) | instid1(VALU_DEP_1)
	v_add_min_u32_e64 v1, v3, -1, v1
	v_lshlrev_b64_e32 v[12:13], v1, v[12:13]
	v_sub_nc_u32_e32 v1, 32, v1
	s_delay_alu instid0(VALU_DEP_2) | instskip(NEXT) | instid1(VALU_DEP_1)
	v_min_u32_e32 v3, 1, v12
	v_or_b32_e32 v3, v13, v3
	s_delay_alu instid0(VALU_DEP_1) | instskip(NEXT) | instid1(VALU_DEP_1)
	v_cvt_f32_i32_e32 v3, v3
	v_ldexp_f32 v1, v3, v1
	s_delay_alu instid0(VALU_DEP_1)
	v_cvt_f16_f32_e32 v12, v1
	s_branch .LBB158_2566
.LBB158_2563:
	s_mov_b32 s20, -1
                                        ; implicit-def: $vgpr12
	s_branch .LBB158_2572
.LBB158_2564:
	s_mov_b32 s20, -1
                                        ; implicit-def: $vgpr12
	s_branch .LBB158_2569
.LBB158_2565:
	s_mov_b32 s20, -1
                                        ; implicit-def: $vgpr12
.LBB158_2566:
	s_delay_alu instid0(SALU_CYCLE_1)
	s_and_not1_b32 vcc_lo, exec_lo, s20
	s_cbranch_vccnz .LBB158_2568
; %bb.2567:
	global_load_b32 v1, v[6:7], off
	s_wait_loadcnt 0x0
	v_cvt_f32_i32_e32 v1, v1
	s_delay_alu instid0(VALU_DEP_1)
	v_cvt_f16_f32_e32 v12, v1
.LBB158_2568:
	s_mov_b32 s20, 0
.LBB158_2569:
	s_delay_alu instid0(SALU_CYCLE_1)
	s_and_not1_b32 vcc_lo, exec_lo, s20
	s_cbranch_vccnz .LBB158_2571
; %bb.2570:
	global_load_u16 v1, v[6:7], off
	s_wait_loadcnt 0x0
	v_cvt_f16_i16_e32 v12, v1
.LBB158_2571:
	s_mov_b32 s20, 0
.LBB158_2572:
	s_delay_alu instid0(SALU_CYCLE_1)
	s_and_not1_b32 vcc_lo, exec_lo, s20
	s_cbranch_vccnz .LBB158_2578
; %bb.2573:
	s_cmp_gt_i32 s13, 0
	s_mov_b32 s13, 0
	s_cbranch_scc0 .LBB158_2575
; %bb.2574:
	global_load_i8 v1, v[6:7], off
	s_wait_loadcnt 0x0
	v_cvt_f16_i16_e32 v12, v1
	s_branch .LBB158_2576
.LBB158_2575:
	s_mov_b32 s13, -1
                                        ; implicit-def: $vgpr12
.LBB158_2576:
	s_delay_alu instid0(SALU_CYCLE_1)
	s_and_not1_b32 vcc_lo, exec_lo, s13
	s_cbranch_vccnz .LBB158_2578
; %bb.2577:
	global_load_u8 v1, v[6:7], off
	s_wait_loadcnt 0x0
	v_cvt_f16_u16_e32 v12, v1
.LBB158_2578:
	s_mov_b32 s22, -1
.LBB158_2579:
	s_delay_alu instid0(SALU_CYCLE_1)
	s_and_not1_b32 vcc_lo, exec_lo, s22
	s_cbranch_vccnz .LBB158_4065
; %bb.2580:
	s_lshl_b32 s13, s14, 7
	s_cmp_lt_i32 s3, 11
	v_add_nc_u32_e32 v2, s13, v2
	s_delay_alu instid0(VALU_DEP_1) | instskip(SKIP_1) | instid1(VALU_DEP_1)
	v_ashrrev_i32_e32 v3, 31, v2
	s_wait_xcnt 0x0
	v_add_nc_u64_e32 v[6:7], s[8:9], v[2:3]
	s_cbranch_scc1 .LBB158_2587
; %bb.2581:
	s_and_b32 s14, 0xffff, s3
	s_mov_b32 s21, 0
	s_cmp_gt_i32 s14, 25
	s_cbranch_scc0 .LBB158_2588
; %bb.2582:
	s_cmp_gt_i32 s14, 28
	s_cbranch_scc0 .LBB158_2589
; %bb.2583:
	;; [unrolled: 3-line block ×4, first 2 shown]
	s_cmp_eq_u32 s14, 46
	s_mov_b32 s23, 0
	s_cbranch_scc0 .LBB158_2593
; %bb.2586:
	global_load_b32 v1, v[6:7], off
	s_mov_b32 s20, 0
	s_mov_b32 s22, -1
	s_wait_loadcnt 0x0
	v_lshlrev_b32_e32 v1, 16, v1
	s_delay_alu instid0(VALU_DEP_1)
	v_cvt_f16_f32_e32 v13, v1
	s_branch .LBB158_2595
.LBB158_2587:
	s_mov_b32 s14, -1
	s_mov_b32 s22, 0
                                        ; implicit-def: $vgpr13
	s_branch .LBB158_2661
.LBB158_2588:
	s_mov_b32 s23, -1
	s_mov_b32 s22, 0
	s_mov_b32 s20, 0
                                        ; implicit-def: $vgpr13
	s_branch .LBB158_2624
.LBB158_2589:
	s_mov_b32 s23, -1
	s_mov_b32 s22, 0
	s_mov_b32 s20, 0
                                        ; implicit-def: $vgpr13
	s_branch .LBB158_2605
.LBB158_2590:
	s_mov_b32 s23, -1
	s_mov_b32 s22, 0
	s_mov_b32 s20, 0
                                        ; implicit-def: $vgpr13
	s_branch .LBB158_2600
.LBB158_2591:
	s_or_b32 s16, s16, exec_lo
	s_trap 2
	s_cbranch_execz .LBB158_2528
	s_branch .LBB158_2529
.LBB158_2592:
	s_mov_b32 s23, -1
	s_mov_b32 s22, 0
	s_mov_b32 s20, 0
	s_branch .LBB158_2594
.LBB158_2593:
	s_mov_b32 s20, -1
	s_mov_b32 s22, 0
.LBB158_2594:
                                        ; implicit-def: $vgpr13
.LBB158_2595:
	s_and_b32 vcc_lo, exec_lo, s23
	s_cbranch_vccz .LBB158_2599
; %bb.2596:
	s_cmp_eq_u32 s14, 44
	s_cbranch_scc0 .LBB158_2598
; %bb.2597:
	global_load_u8 v1, v[6:7], off
	s_mov_b32 s20, 0
	s_mov_b32 s22, -1
	s_wait_loadcnt 0x0
	v_lshlrev_b32_e32 v3, 23, v1
	v_cmp_ne_u32_e32 vcc_lo, 0xff, v1
	s_delay_alu instid0(VALU_DEP_2) | instskip(NEXT) | instid1(VALU_DEP_1)
	v_cvt_f16_f32_e32 v3, v3
	v_cndmask_b32_e32 v3, 0x7e00, v3, vcc_lo
	v_cmp_ne_u32_e32 vcc_lo, 0, v1
	s_delay_alu instid0(VALU_DEP_2)
	v_cndmask_b32_e32 v13, 0, v3, vcc_lo
	s_branch .LBB158_2599
.LBB158_2598:
	s_mov_b32 s20, -1
                                        ; implicit-def: $vgpr13
.LBB158_2599:
	s_mov_b32 s23, 0
.LBB158_2600:
	s_delay_alu instid0(SALU_CYCLE_1)
	s_and_b32 vcc_lo, exec_lo, s23
	s_cbranch_vccz .LBB158_2604
; %bb.2601:
	s_cmp_eq_u32 s14, 29
	s_cbranch_scc0 .LBB158_2603
; %bb.2602:
	global_load_b64 v[14:15], v[6:7], off
	s_mov_b32 s20, 0
	s_mov_b32 s22, -1
	s_mov_b32 s23, 0
	s_wait_loadcnt 0x0
	v_clz_i32_u32_e32 v1, v15
	s_delay_alu instid0(VALU_DEP_1) | instskip(NEXT) | instid1(VALU_DEP_1)
	v_min_u32_e32 v1, 32, v1
	v_lshlrev_b64_e32 v[14:15], v1, v[14:15]
	v_sub_nc_u32_e32 v1, 32, v1
	s_delay_alu instid0(VALU_DEP_2) | instskip(NEXT) | instid1(VALU_DEP_1)
	v_min_u32_e32 v3, 1, v14
	v_or_b32_e32 v3, v15, v3
	s_delay_alu instid0(VALU_DEP_1) | instskip(NEXT) | instid1(VALU_DEP_1)
	v_cvt_f32_u32_e32 v3, v3
	v_ldexp_f32 v1, v3, v1
	s_delay_alu instid0(VALU_DEP_1)
	v_cvt_f16_f32_e32 v13, v1
	s_branch .LBB158_2605
.LBB158_2603:
	s_mov_b32 s20, -1
                                        ; implicit-def: $vgpr13
.LBB158_2604:
	s_mov_b32 s23, 0
.LBB158_2605:
	s_delay_alu instid0(SALU_CYCLE_1)
	s_and_b32 vcc_lo, exec_lo, s23
	s_cbranch_vccz .LBB158_2623
; %bb.2606:
	s_cmp_lt_i32 s14, 27
	s_cbranch_scc1 .LBB158_2609
; %bb.2607:
	s_cmp_gt_i32 s14, 27
	s_cbranch_scc0 .LBB158_2610
; %bb.2608:
	global_load_b32 v1, v[6:7], off
	s_mov_b32 s22, 0
	s_wait_loadcnt 0x0
	v_cvt_f32_u32_e32 v1, v1
	s_delay_alu instid0(VALU_DEP_1)
	v_cvt_f16_f32_e32 v13, v1
	s_branch .LBB158_2611
.LBB158_2609:
	s_mov_b32 s22, -1
                                        ; implicit-def: $vgpr13
	s_branch .LBB158_2614
.LBB158_2610:
	s_mov_b32 s22, -1
                                        ; implicit-def: $vgpr13
.LBB158_2611:
	s_delay_alu instid0(SALU_CYCLE_1)
	s_and_not1_b32 vcc_lo, exec_lo, s22
	s_cbranch_vccnz .LBB158_2613
; %bb.2612:
	global_load_u16 v1, v[6:7], off
	s_wait_loadcnt 0x0
	v_cvt_f16_u16_e32 v13, v1
.LBB158_2613:
	s_mov_b32 s22, 0
.LBB158_2614:
	s_delay_alu instid0(SALU_CYCLE_1)
	s_and_not1_b32 vcc_lo, exec_lo, s22
	s_cbranch_vccnz .LBB158_2622
; %bb.2615:
	global_load_u8 v1, v[6:7], off
	s_mov_b32 s22, 0
	s_mov_b32 s23, exec_lo
	s_wait_loadcnt 0x0
	v_cmpx_lt_i16_e32 0x7f, v1
	s_xor_b32 s23, exec_lo, s23
	s_cbranch_execz .LBB158_2636
; %bb.2616:
	s_mov_b32 s22, -1
	s_mov_b32 s24, exec_lo
	v_cmpx_eq_u16_e32 0x80, v1
; %bb.2617:
	s_xor_b32 s22, exec_lo, -1
; %bb.2618:
	s_or_b32 exec_lo, exec_lo, s24
	s_delay_alu instid0(SALU_CYCLE_1)
	s_and_b32 s22, s22, exec_lo
	s_or_saveexec_b32 s23, s23
	v_mov_b32_e32 v13, 0x7e00
	s_xor_b32 exec_lo, exec_lo, s23
	s_cbranch_execnz .LBB158_2637
.LBB158_2619:
	s_or_b32 exec_lo, exec_lo, s23
	s_and_saveexec_b32 s23, s22
	s_cbranch_execz .LBB158_2621
.LBB158_2620:
	v_and_b32_e32 v3, 0xffff, v1
	s_delay_alu instid0(VALU_DEP_1) | instskip(SKIP_1) | instid1(VALU_DEP_2)
	v_and_b32_e32 v5, 7, v3
	v_bfe_u32 v15, v3, 3, 4
	v_clz_i32_u32_e32 v13, v5
	s_delay_alu instid0(VALU_DEP_2) | instskip(NEXT) | instid1(VALU_DEP_2)
	v_cmp_eq_u32_e32 vcc_lo, 0, v15
	v_min_u32_e32 v13, 32, v13
	s_delay_alu instid0(VALU_DEP_1) | instskip(NEXT) | instid1(VALU_DEP_1)
	v_subrev_nc_u32_e32 v14, 28, v13
	v_dual_lshlrev_b32 v3, v14, v3 :: v_dual_sub_nc_u32 v13, 29, v13
	s_delay_alu instid0(VALU_DEP_1) | instskip(NEXT) | instid1(VALU_DEP_1)
	v_dual_lshlrev_b32 v1, 24, v1 :: v_dual_bitop2_b32 v3, 7, v3 bitop3:0x40
	v_dual_cndmask_b32 v3, v5, v3, vcc_lo :: v_dual_cndmask_b32 v13, v15, v13, vcc_lo
	s_delay_alu instid0(VALU_DEP_2) | instskip(NEXT) | instid1(VALU_DEP_2)
	v_and_b32_e32 v1, 0x80000000, v1
	v_lshlrev_b32_e32 v3, 20, v3
	s_delay_alu instid0(VALU_DEP_3) | instskip(NEXT) | instid1(VALU_DEP_1)
	v_lshl_add_u32 v5, v13, 23, 0x3b800000
	v_or3_b32 v1, v1, v5, v3
	s_delay_alu instid0(VALU_DEP_1)
	v_cvt_f16_f32_e32 v13, v1
.LBB158_2621:
	s_or_b32 exec_lo, exec_lo, s23
.LBB158_2622:
	s_mov_b32 s22, -1
.LBB158_2623:
	s_mov_b32 s23, 0
.LBB158_2624:
	s_delay_alu instid0(SALU_CYCLE_1)
	s_and_b32 vcc_lo, exec_lo, s23
	s_cbranch_vccz .LBB158_2657
; %bb.2625:
	s_cmp_gt_i32 s14, 22
	s_cbranch_scc0 .LBB158_2635
; %bb.2626:
	s_cmp_lt_i32 s14, 24
	s_cbranch_scc1 .LBB158_2638
; %bb.2627:
	s_cmp_gt_i32 s14, 24
	s_cbranch_scc0 .LBB158_2639
; %bb.2628:
	global_load_u8 v1, v[6:7], off
	s_mov_b32 s22, exec_lo
	s_wait_loadcnt 0x0
	v_cmpx_lt_i16_e32 0x7f, v1
	s_xor_b32 s22, exec_lo, s22
	s_cbranch_execz .LBB158_2651
; %bb.2629:
	s_mov_b32 s21, -1
	s_mov_b32 s23, exec_lo
	v_cmpx_eq_u16_e32 0x80, v1
; %bb.2630:
	s_xor_b32 s21, exec_lo, -1
; %bb.2631:
	s_or_b32 exec_lo, exec_lo, s23
	s_delay_alu instid0(SALU_CYCLE_1)
	s_and_b32 s21, s21, exec_lo
	s_or_saveexec_b32 s22, s22
	v_mov_b32_e32 v13, 0x7e00
	s_xor_b32 exec_lo, exec_lo, s22
	s_cbranch_execnz .LBB158_2652
.LBB158_2632:
	s_or_b32 exec_lo, exec_lo, s22
	s_and_saveexec_b32 s22, s21
	s_cbranch_execz .LBB158_2634
.LBB158_2633:
	v_and_b32_e32 v3, 0xffff, v1
	s_delay_alu instid0(VALU_DEP_1) | instskip(SKIP_1) | instid1(VALU_DEP_2)
	v_and_b32_e32 v5, 3, v3
	v_bfe_u32 v15, v3, 2, 5
	v_clz_i32_u32_e32 v13, v5
	s_delay_alu instid0(VALU_DEP_2) | instskip(NEXT) | instid1(VALU_DEP_2)
	v_cmp_eq_u32_e32 vcc_lo, 0, v15
	v_min_u32_e32 v13, 32, v13
	s_delay_alu instid0(VALU_DEP_1) | instskip(NEXT) | instid1(VALU_DEP_1)
	v_subrev_nc_u32_e32 v14, 29, v13
	v_dual_lshlrev_b32 v3, v14, v3 :: v_dual_sub_nc_u32 v13, 30, v13
	s_delay_alu instid0(VALU_DEP_1) | instskip(NEXT) | instid1(VALU_DEP_1)
	v_dual_lshlrev_b32 v1, 24, v1 :: v_dual_bitop2_b32 v3, 3, v3 bitop3:0x40
	v_dual_cndmask_b32 v3, v5, v3, vcc_lo :: v_dual_cndmask_b32 v13, v15, v13, vcc_lo
	s_delay_alu instid0(VALU_DEP_2) | instskip(NEXT) | instid1(VALU_DEP_2)
	v_and_b32_e32 v1, 0x80000000, v1
	v_lshlrev_b32_e32 v3, 21, v3
	s_delay_alu instid0(VALU_DEP_3) | instskip(NEXT) | instid1(VALU_DEP_1)
	v_lshl_add_u32 v5, v13, 23, 0x37800000
	v_or3_b32 v1, v1, v5, v3
	s_delay_alu instid0(VALU_DEP_1)
	v_cvt_f16_f32_e32 v13, v1
.LBB158_2634:
	s_or_b32 exec_lo, exec_lo, s22
	s_mov_b32 s21, 0
	s_branch .LBB158_2640
.LBB158_2635:
	s_mov_b32 s21, -1
                                        ; implicit-def: $vgpr13
	s_branch .LBB158_2646
.LBB158_2636:
	s_or_saveexec_b32 s23, s23
	v_mov_b32_e32 v13, 0x7e00
	s_xor_b32 exec_lo, exec_lo, s23
	s_cbranch_execz .LBB158_2619
.LBB158_2637:
	v_cmp_ne_u16_e32 vcc_lo, 0, v1
	v_mov_b32_e32 v13, v1
	s_and_not1_b32 s22, s22, exec_lo
	s_and_b32 s24, vcc_lo, exec_lo
	s_delay_alu instid0(SALU_CYCLE_1)
	s_or_b32 s22, s22, s24
	s_or_b32 exec_lo, exec_lo, s23
	s_and_saveexec_b32 s23, s22
	s_cbranch_execnz .LBB158_2620
	s_branch .LBB158_2621
.LBB158_2638:
	s_mov_b32 s21, -1
                                        ; implicit-def: $vgpr13
	s_branch .LBB158_2643
.LBB158_2639:
	s_mov_b32 s21, -1
                                        ; implicit-def: $vgpr13
.LBB158_2640:
	s_delay_alu instid0(SALU_CYCLE_1)
	s_and_b32 vcc_lo, exec_lo, s21
	s_cbranch_vccz .LBB158_2642
; %bb.2641:
	global_load_u8 v1, v[6:7], off
	s_wait_loadcnt 0x0
	v_lshlrev_b32_e32 v1, 24, v1
	s_delay_alu instid0(VALU_DEP_1) | instskip(NEXT) | instid1(VALU_DEP_1)
	v_and_b32_e32 v3, 0x7f000000, v1
	v_clz_i32_u32_e32 v5, v3
	v_cmp_ne_u32_e32 vcc_lo, 0, v3
	v_add_nc_u32_e32 v14, 0x1000000, v3
	s_delay_alu instid0(VALU_DEP_3) | instskip(NEXT) | instid1(VALU_DEP_1)
	v_min_u32_e32 v5, 32, v5
	v_sub_nc_u32_e64 v5, v5, 4 clamp
	s_delay_alu instid0(VALU_DEP_1) | instskip(NEXT) | instid1(VALU_DEP_1)
	v_dual_lshlrev_b32 v13, v5, v3 :: v_dual_lshlrev_b32 v5, 23, v5
	v_lshrrev_b32_e32 v13, 4, v13
	s_delay_alu instid0(VALU_DEP_1) | instskip(NEXT) | instid1(VALU_DEP_1)
	v_dual_sub_nc_u32 v5, v13, v5 :: v_dual_ashrrev_i32 v13, 8, v14
	v_add_nc_u32_e32 v5, 0x3c000000, v5
	s_delay_alu instid0(VALU_DEP_1) | instskip(NEXT) | instid1(VALU_DEP_1)
	v_and_or_b32 v5, 0x7f800000, v13, v5
	v_cndmask_b32_e32 v3, 0, v5, vcc_lo
	s_delay_alu instid0(VALU_DEP_1) | instskip(NEXT) | instid1(VALU_DEP_1)
	v_and_or_b32 v1, 0x80000000, v1, v3
	v_cvt_f16_f32_e32 v13, v1
.LBB158_2642:
	s_mov_b32 s21, 0
.LBB158_2643:
	s_delay_alu instid0(SALU_CYCLE_1)
	s_and_not1_b32 vcc_lo, exec_lo, s21
	s_cbranch_vccnz .LBB158_2645
; %bb.2644:
	global_load_u8 v1, v[6:7], off
	s_wait_loadcnt 0x0
	v_lshlrev_b32_e32 v3, 25, v1
	v_lshlrev_b16 v1, 8, v1
	s_delay_alu instid0(VALU_DEP_2) | instskip(NEXT) | instid1(VALU_DEP_2)
	v_cmp_gt_u32_e32 vcc_lo, 0x8000000, v3
	v_and_or_b32 v13, 0x7f00, v1, 0.5
	v_lshrrev_b32_e32 v5, 4, v3
	v_bfe_i32 v1, v1, 0, 16
	s_delay_alu instid0(VALU_DEP_3) | instskip(NEXT) | instid1(VALU_DEP_3)
	v_add_f32_e32 v13, -0.5, v13
	v_or_b32_e32 v5, 0x70000000, v5
	s_delay_alu instid0(VALU_DEP_1) | instskip(NEXT) | instid1(VALU_DEP_1)
	v_mul_f32_e32 v5, 0x7800000, v5
	v_cndmask_b32_e32 v3, v5, v13, vcc_lo
	s_delay_alu instid0(VALU_DEP_1) | instskip(NEXT) | instid1(VALU_DEP_1)
	v_and_or_b32 v1, 0x80000000, v1, v3
	v_cvt_f16_f32_e32 v13, v1
.LBB158_2645:
	s_mov_b32 s21, 0
	s_mov_b32 s22, -1
.LBB158_2646:
	s_and_not1_b32 vcc_lo, exec_lo, s21
	s_mov_b32 s21, 0
	s_cbranch_vccnz .LBB158_2657
; %bb.2647:
	s_cmp_gt_i32 s14, 14
	s_cbranch_scc0 .LBB158_2650
; %bb.2648:
	s_cmp_eq_u32 s14, 15
	s_cbranch_scc0 .LBB158_2653
; %bb.2649:
	global_load_u16 v1, v[6:7], off
	s_mov_b32 s20, 0
	s_mov_b32 s22, -1
	s_wait_loadcnt 0x0
	v_lshlrev_b32_e32 v1, 16, v1
	s_delay_alu instid0(VALU_DEP_1)
	v_cvt_f16_f32_e32 v13, v1
	s_branch .LBB158_2655
.LBB158_2650:
	s_mov_b32 s21, -1
	s_branch .LBB158_2654
.LBB158_2651:
	s_or_saveexec_b32 s22, s22
	v_mov_b32_e32 v13, 0x7e00
	s_xor_b32 exec_lo, exec_lo, s22
	s_cbranch_execz .LBB158_2632
.LBB158_2652:
	v_cmp_ne_u16_e32 vcc_lo, 0, v1
	v_mov_b32_e32 v13, v1
	s_and_not1_b32 s21, s21, exec_lo
	s_and_b32 s23, vcc_lo, exec_lo
	s_delay_alu instid0(SALU_CYCLE_1)
	s_or_b32 s21, s21, s23
	s_or_b32 exec_lo, exec_lo, s22
	s_and_saveexec_b32 s22, s21
	s_cbranch_execnz .LBB158_2633
	s_branch .LBB158_2634
.LBB158_2653:
	s_mov_b32 s20, -1
.LBB158_2654:
                                        ; implicit-def: $vgpr13
.LBB158_2655:
	s_and_b32 vcc_lo, exec_lo, s21
	s_mov_b32 s21, 0
	s_cbranch_vccz .LBB158_2657
; %bb.2656:
	s_cmp_lg_u32 s14, 11
	s_mov_b32 s21, -1
	s_cselect_b32 s20, -1, 0
.LBB158_2657:
	s_delay_alu instid0(SALU_CYCLE_1)
	s_and_b32 vcc_lo, exec_lo, s20
	s_cbranch_vccnz .LBB158_2722
; %bb.2658:
	s_and_not1_b32 vcc_lo, exec_lo, s21
	s_cbranch_vccnz .LBB158_2660
.LBB158_2659:
	global_load_u8 v1, v[6:7], off
	s_mov_b32 s22, -1
	s_wait_loadcnt 0x0
	v_cmp_ne_u16_e32 vcc_lo, 0, v1
	v_cndmask_b32_e64 v13, 0, 0x3c00, vcc_lo
.LBB158_2660:
	s_mov_b32 s14, 0
.LBB158_2661:
	s_delay_alu instid0(SALU_CYCLE_1)
	s_and_b32 vcc_lo, exec_lo, s14
	s_cbranch_vccz .LBB158_2710
; %bb.2662:
	s_and_b32 s14, 0xffff, s3
	s_delay_alu instid0(SALU_CYCLE_1)
	s_cmp_lt_i32 s14, 5
	s_cbranch_scc1 .LBB158_2667
; %bb.2663:
	s_cmp_lt_i32 s14, 8
	s_cbranch_scc1 .LBB158_2668
; %bb.2664:
	;; [unrolled: 3-line block ×3, first 2 shown]
	s_cmp_gt_i32 s14, 9
	s_cbranch_scc0 .LBB158_2670
; %bb.2666:
	global_load_b64 v[14:15], v[6:7], off
	s_mov_b32 s20, 0
	s_wait_loadcnt 0x0
	v_and_or_b32 v1, 0x1ff, v15, v14
	v_lshrrev_b32_e32 v3, 8, v15
	v_bfe_u32 v5, v15, 20, 11
	s_delay_alu instid0(VALU_DEP_3) | instskip(NEXT) | instid1(VALU_DEP_2)
	v_cmp_ne_u32_e32 vcc_lo, 0, v1
	v_sub_nc_u32_e32 v13, 0x3f1, v5
	v_add_nc_u32_e32 v5, 0xfffffc10, v5
	v_cndmask_b32_e64 v1, 0, 1, vcc_lo
	s_delay_alu instid0(VALU_DEP_1) | instskip(NEXT) | instid1(VALU_DEP_4)
	v_and_or_b32 v1, 0xffe, v3, v1
	v_med3_i32 v3, v13, 0, 13
	s_delay_alu instid0(VALU_DEP_2) | instskip(NEXT) | instid1(VALU_DEP_1)
	v_or_b32_e32 v13, 0x1000, v1
	v_lshrrev_b32_e32 v14, v3, v13
	s_delay_alu instid0(VALU_DEP_1) | instskip(NEXT) | instid1(VALU_DEP_1)
	v_lshlrev_b32_e32 v3, v3, v14
	v_cmp_ne_u32_e32 vcc_lo, v3, v13
	v_lshl_or_b32 v13, v5, 12, v1
	v_cndmask_b32_e64 v3, 0, 1, vcc_lo
	v_cmp_gt_i32_e32 vcc_lo, 1, v5
	s_delay_alu instid0(VALU_DEP_2) | instskip(NEXT) | instid1(VALU_DEP_1)
	v_or_b32_e32 v3, v14, v3
	v_cndmask_b32_e32 v3, v13, v3, vcc_lo
	s_delay_alu instid0(VALU_DEP_1) | instskip(NEXT) | instid1(VALU_DEP_1)
	v_dual_lshrrev_b32 v3, 2, v3 :: v_dual_bitop2_b32 v13, 7, v3 bitop3:0x40
	v_cmp_lt_i32_e32 vcc_lo, 5, v13
	v_cndmask_b32_e64 v14, 0, 1, vcc_lo
	v_cmp_eq_u32_e32 vcc_lo, 3, v13
	v_cndmask_b32_e64 v13, 0, 1, vcc_lo
	v_cmp_ne_u32_e32 vcc_lo, 0, v1
	s_delay_alu instid0(VALU_DEP_2) | instskip(NEXT) | instid1(VALU_DEP_1)
	v_or_b32_e32 v13, v13, v14
	v_dual_mov_b32 v14, 0x7e00 :: v_dual_add_nc_u32 v3, v3, v13
	s_delay_alu instid0(VALU_DEP_1) | instskip(SKIP_1) | instid1(VALU_DEP_3)
	v_cndmask_b32_e32 v1, 0x7c00, v14, vcc_lo
	v_cmp_gt_i32_e32 vcc_lo, 31, v5
	v_cndmask_b32_e32 v3, 0x7c00, v3, vcc_lo
	v_cmp_eq_u32_e32 vcc_lo, 0x40f, v5
	s_delay_alu instid0(VALU_DEP_2) | instskip(NEXT) | instid1(VALU_DEP_1)
	v_dual_cndmask_b32 v1, v3, v1, vcc_lo :: v_dual_lshrrev_b32 v3, 16, v15
	v_and_or_b32 v13, 0x8000, v3, v1
	s_branch .LBB158_2671
.LBB158_2667:
	s_mov_b32 s20, -1
                                        ; implicit-def: $vgpr13
	s_branch .LBB158_2689
.LBB158_2668:
	s_mov_b32 s20, -1
                                        ; implicit-def: $vgpr13
	s_branch .LBB158_2677
.LBB158_2669:
	s_mov_b32 s20, -1
                                        ; implicit-def: $vgpr13
	s_branch .LBB158_2674
.LBB158_2670:
	s_mov_b32 s20, -1
                                        ; implicit-def: $vgpr13
.LBB158_2671:
	s_delay_alu instid0(SALU_CYCLE_1)
	s_and_not1_b32 vcc_lo, exec_lo, s20
	s_cbranch_vccnz .LBB158_2673
; %bb.2672:
	global_load_b32 v1, v[6:7], off
	s_wait_loadcnt 0x0
	v_cvt_f16_f32_e32 v13, v1
.LBB158_2673:
	s_mov_b32 s20, 0
.LBB158_2674:
	s_delay_alu instid0(SALU_CYCLE_1)
	s_and_not1_b32 vcc_lo, exec_lo, s20
	s_cbranch_vccnz .LBB158_2676
; %bb.2675:
	global_load_b32 v13, v[6:7], off
.LBB158_2676:
	s_mov_b32 s20, 0
.LBB158_2677:
	s_delay_alu instid0(SALU_CYCLE_1)
	s_and_not1_b32 vcc_lo, exec_lo, s20
	s_cbranch_vccnz .LBB158_2688
; %bb.2678:
	s_cmp_lt_i32 s14, 6
	s_cbranch_scc1 .LBB158_2681
; %bb.2679:
	s_cmp_gt_i32 s14, 6
	s_cbranch_scc0 .LBB158_2682
; %bb.2680:
	global_load_b64 v[14:15], v[6:7], off
	s_mov_b32 s20, 0
	s_wait_loadcnt 0x0
	v_and_or_b32 v1, 0x1ff, v15, v14
	v_lshrrev_b32_e32 v3, 8, v15
	v_bfe_u32 v5, v15, 20, 11
	s_delay_alu instid0(VALU_DEP_3) | instskip(NEXT) | instid1(VALU_DEP_2)
	v_cmp_ne_u32_e32 vcc_lo, 0, v1
	v_sub_nc_u32_e32 v13, 0x3f1, v5
	v_add_nc_u32_e32 v5, 0xfffffc10, v5
	v_cndmask_b32_e64 v1, 0, 1, vcc_lo
	s_delay_alu instid0(VALU_DEP_1) | instskip(NEXT) | instid1(VALU_DEP_4)
	v_and_or_b32 v1, 0xffe, v3, v1
	v_med3_i32 v3, v13, 0, 13
	s_delay_alu instid0(VALU_DEP_2) | instskip(NEXT) | instid1(VALU_DEP_1)
	v_or_b32_e32 v13, 0x1000, v1
	v_lshrrev_b32_e32 v14, v3, v13
	s_delay_alu instid0(VALU_DEP_1) | instskip(NEXT) | instid1(VALU_DEP_1)
	v_lshlrev_b32_e32 v3, v3, v14
	v_cmp_ne_u32_e32 vcc_lo, v3, v13
	v_lshl_or_b32 v13, v5, 12, v1
	v_cndmask_b32_e64 v3, 0, 1, vcc_lo
	v_cmp_gt_i32_e32 vcc_lo, 1, v5
	s_delay_alu instid0(VALU_DEP_2) | instskip(NEXT) | instid1(VALU_DEP_1)
	v_or_b32_e32 v3, v14, v3
	v_cndmask_b32_e32 v3, v13, v3, vcc_lo
	s_delay_alu instid0(VALU_DEP_1) | instskip(NEXT) | instid1(VALU_DEP_1)
	v_dual_lshrrev_b32 v3, 2, v3 :: v_dual_bitop2_b32 v13, 7, v3 bitop3:0x40
	v_cmp_lt_i32_e32 vcc_lo, 5, v13
	v_cndmask_b32_e64 v14, 0, 1, vcc_lo
	v_cmp_eq_u32_e32 vcc_lo, 3, v13
	v_cndmask_b32_e64 v13, 0, 1, vcc_lo
	v_cmp_ne_u32_e32 vcc_lo, 0, v1
	s_delay_alu instid0(VALU_DEP_2) | instskip(NEXT) | instid1(VALU_DEP_1)
	v_or_b32_e32 v13, v13, v14
	v_dual_mov_b32 v14, 0x7e00 :: v_dual_add_nc_u32 v3, v3, v13
	s_delay_alu instid0(VALU_DEP_1) | instskip(SKIP_1) | instid1(VALU_DEP_3)
	v_cndmask_b32_e32 v1, 0x7c00, v14, vcc_lo
	v_cmp_gt_i32_e32 vcc_lo, 31, v5
	v_cndmask_b32_e32 v3, 0x7c00, v3, vcc_lo
	v_cmp_eq_u32_e32 vcc_lo, 0x40f, v5
	s_delay_alu instid0(VALU_DEP_2) | instskip(NEXT) | instid1(VALU_DEP_1)
	v_dual_cndmask_b32 v1, v3, v1, vcc_lo :: v_dual_lshrrev_b32 v3, 16, v15
	v_and_or_b32 v13, 0x8000, v3, v1
	s_branch .LBB158_2683
.LBB158_2681:
	s_mov_b32 s20, -1
                                        ; implicit-def: $vgpr13
	s_branch .LBB158_2686
.LBB158_2682:
	s_mov_b32 s20, -1
                                        ; implicit-def: $vgpr13
.LBB158_2683:
	s_delay_alu instid0(SALU_CYCLE_1)
	s_and_not1_b32 vcc_lo, exec_lo, s20
	s_cbranch_vccnz .LBB158_2685
; %bb.2684:
	global_load_b32 v1, v[6:7], off
	s_wait_loadcnt 0x0
	v_cvt_f16_f32_e32 v13, v1
.LBB158_2685:
	s_mov_b32 s20, 0
.LBB158_2686:
	s_delay_alu instid0(SALU_CYCLE_1)
	s_and_not1_b32 vcc_lo, exec_lo, s20
	s_cbranch_vccnz .LBB158_2688
; %bb.2687:
	s_wait_loadcnt 0x0
	global_load_u16 v13, v[6:7], off
.LBB158_2688:
	s_mov_b32 s20, 0
.LBB158_2689:
	s_delay_alu instid0(SALU_CYCLE_1)
	s_and_not1_b32 vcc_lo, exec_lo, s20
	s_cbranch_vccnz .LBB158_2709
; %bb.2690:
	s_cmp_lt_i32 s14, 2
	s_cbranch_scc1 .LBB158_2694
; %bb.2691:
	s_cmp_lt_i32 s14, 3
	s_cbranch_scc1 .LBB158_2695
; %bb.2692:
	s_cmp_gt_i32 s14, 3
	s_cbranch_scc0 .LBB158_2696
; %bb.2693:
	global_load_b64 v[14:15], v[6:7], off
	s_mov_b32 s20, 0
	s_wait_loadcnt 0x0
	v_xor_b32_e32 v1, v14, v15
	v_cls_i32_e32 v3, v15
	s_delay_alu instid0(VALU_DEP_2) | instskip(NEXT) | instid1(VALU_DEP_1)
	v_ashrrev_i32_e32 v1, 31, v1
	v_add_nc_u32_e32 v1, 32, v1
	s_delay_alu instid0(VALU_DEP_1) | instskip(NEXT) | instid1(VALU_DEP_1)
	v_add_min_u32_e64 v1, v3, -1, v1
	v_lshlrev_b64_e32 v[14:15], v1, v[14:15]
	v_sub_nc_u32_e32 v1, 32, v1
	s_delay_alu instid0(VALU_DEP_2) | instskip(NEXT) | instid1(VALU_DEP_1)
	v_min_u32_e32 v3, 1, v14
	v_or_b32_e32 v3, v15, v3
	s_delay_alu instid0(VALU_DEP_1) | instskip(NEXT) | instid1(VALU_DEP_1)
	v_cvt_f32_i32_e32 v3, v3
	v_ldexp_f32 v1, v3, v1
	s_delay_alu instid0(VALU_DEP_1)
	v_cvt_f16_f32_e32 v13, v1
	s_branch .LBB158_2697
.LBB158_2694:
	s_mov_b32 s20, -1
                                        ; implicit-def: $vgpr13
	s_branch .LBB158_2703
.LBB158_2695:
	s_mov_b32 s20, -1
                                        ; implicit-def: $vgpr13
	s_branch .LBB158_2700
.LBB158_2696:
	s_mov_b32 s20, -1
                                        ; implicit-def: $vgpr13
.LBB158_2697:
	s_delay_alu instid0(SALU_CYCLE_1)
	s_and_not1_b32 vcc_lo, exec_lo, s20
	s_cbranch_vccnz .LBB158_2699
; %bb.2698:
	global_load_b32 v1, v[6:7], off
	s_wait_loadcnt 0x0
	v_cvt_f32_i32_e32 v1, v1
	s_delay_alu instid0(VALU_DEP_1)
	v_cvt_f16_f32_e32 v13, v1
.LBB158_2699:
	s_mov_b32 s20, 0
.LBB158_2700:
	s_delay_alu instid0(SALU_CYCLE_1)
	s_and_not1_b32 vcc_lo, exec_lo, s20
	s_cbranch_vccnz .LBB158_2702
; %bb.2701:
	global_load_u16 v1, v[6:7], off
	s_wait_loadcnt 0x0
	v_cvt_f16_i16_e32 v13, v1
.LBB158_2702:
	s_mov_b32 s20, 0
.LBB158_2703:
	s_delay_alu instid0(SALU_CYCLE_1)
	s_and_not1_b32 vcc_lo, exec_lo, s20
	s_cbranch_vccnz .LBB158_2709
; %bb.2704:
	s_cmp_gt_i32 s14, 0
	s_mov_b32 s14, 0
	s_cbranch_scc0 .LBB158_2706
; %bb.2705:
	global_load_i8 v1, v[6:7], off
	s_wait_loadcnt 0x0
	v_cvt_f16_i16_e32 v13, v1
	s_branch .LBB158_2707
.LBB158_2706:
	s_mov_b32 s14, -1
                                        ; implicit-def: $vgpr13
.LBB158_2707:
	s_delay_alu instid0(SALU_CYCLE_1)
	s_and_not1_b32 vcc_lo, exec_lo, s14
	s_cbranch_vccnz .LBB158_2709
; %bb.2708:
	global_load_u8 v1, v[6:7], off
	s_wait_loadcnt 0x0
	v_cvt_f16_u16_e32 v13, v1
.LBB158_2709:
	s_mov_b32 s22, -1
.LBB158_2710:
	s_delay_alu instid0(SALU_CYCLE_1)
	s_and_not1_b32 vcc_lo, exec_lo, s22
	s_cbranch_vccnz .LBB158_4065
; %bb.2711:
	s_lshl_b32 s14, s15, 7
	s_cmp_lt_i32 s0, 11
	v_add_nc_u32_e32 v4, s14, v4
	s_delay_alu instid0(VALU_DEP_1) | instskip(SKIP_1) | instid1(VALU_DEP_1)
	v_ashrrev_i32_e32 v5, 31, v4
	s_wait_xcnt 0x0
	v_add_nc_u64_e32 v[6:7], s[10:11], v[4:5]
	s_cbranch_scc1 .LBB158_2718
; %bb.2712:
	s_cmp_gt_i32 s0, 25
	s_mov_b32 s20, 0
	s_cbranch_scc0 .LBB158_2719
; %bb.2713:
	s_cmp_gt_i32 s0, 28
	s_cbranch_scc0 .LBB158_2720
; %bb.2714:
	s_cmp_gt_i32 s0, 43
	;; [unrolled: 3-line block ×3, first 2 shown]
	s_cbranch_scc0 .LBB158_2723
; %bb.2716:
	s_cmp_eq_u32 s0, 46
	s_mov_b32 s22, 0
	s_cbranch_scc0 .LBB158_2726
; %bb.2717:
	global_load_b32 v1, v[6:7], off
	s_mov_b32 s15, 0
	s_mov_b32 s21, -1
	s_wait_loadcnt 0x0
	v_lshlrev_b32_e32 v1, 16, v1
	s_delay_alu instid0(VALU_DEP_1)
	v_cvt_f16_f32_e32 v14, v1
	s_branch .LBB158_2728
.LBB158_2718:
	s_mov_b32 s15, -1
	s_mov_b32 s21, 0
                                        ; implicit-def: $vgpr14
	s_branch .LBB158_2794
.LBB158_2719:
	s_mov_b32 s22, -1
	s_mov_b32 s21, 0
	s_mov_b32 s15, 0
                                        ; implicit-def: $vgpr14
	s_branch .LBB158_2757
.LBB158_2720:
	s_mov_b32 s22, -1
	s_mov_b32 s21, 0
	s_mov_b32 s15, 0
                                        ; implicit-def: $vgpr14
	s_branch .LBB158_2738
.LBB158_2721:
	s_mov_b32 s22, -1
	s_mov_b32 s21, 0
	s_mov_b32 s15, 0
                                        ; implicit-def: $vgpr14
	s_branch .LBB158_2733
.LBB158_2722:
	s_or_b32 s16, s16, exec_lo
	s_trap 2
	s_cbranch_execz .LBB158_2659
	s_branch .LBB158_2660
.LBB158_2723:
	s_mov_b32 s22, -1
	s_mov_b32 s21, 0
	s_mov_b32 s15, 0
	s_branch .LBB158_2727
.LBB158_2724:
	s_and_not1_saveexec_b32 s39, s39
	s_cbranch_execz .LBB158_1464
.LBB158_2725:
	v_add_f32_e64 v4, 0x46000000, |v3|
	s_and_not1_b32 s38, s38, exec_lo
	s_delay_alu instid0(VALU_DEP_1) | instskip(NEXT) | instid1(VALU_DEP_1)
	v_and_b32_e32 v4, 0xff, v4
	v_cmp_ne_u32_e32 vcc_lo, 0, v4
	s_and_b32 s40, vcc_lo, exec_lo
	s_delay_alu instid0(SALU_CYCLE_1)
	s_or_b32 s38, s38, s40
	s_or_b32 exec_lo, exec_lo, s39
	v_mov_b32_e32 v5, 0
	s_and_saveexec_b32 s39, s38
	s_cbranch_execnz .LBB158_1465
	s_branch .LBB158_1466
.LBB158_2726:
	s_mov_b32 s15, -1
	s_mov_b32 s21, 0
.LBB158_2727:
                                        ; implicit-def: $vgpr14
.LBB158_2728:
	s_and_b32 vcc_lo, exec_lo, s22
	s_cbranch_vccz .LBB158_2732
; %bb.2729:
	s_cmp_eq_u32 s0, 44
	s_cbranch_scc0 .LBB158_2731
; %bb.2730:
	global_load_u8 v1, v[6:7], off
	s_mov_b32 s15, 0
	s_mov_b32 s21, -1
	s_wait_loadcnt 0x0
	v_lshlrev_b32_e32 v3, 23, v1
	v_cmp_ne_u32_e32 vcc_lo, 0xff, v1
	s_delay_alu instid0(VALU_DEP_2) | instskip(NEXT) | instid1(VALU_DEP_1)
	v_cvt_f16_f32_e32 v3, v3
	v_cndmask_b32_e32 v3, 0x7e00, v3, vcc_lo
	v_cmp_ne_u32_e32 vcc_lo, 0, v1
	s_delay_alu instid0(VALU_DEP_2)
	v_cndmask_b32_e32 v14, 0, v3, vcc_lo
	s_branch .LBB158_2732
.LBB158_2731:
	s_mov_b32 s15, -1
                                        ; implicit-def: $vgpr14
.LBB158_2732:
	s_mov_b32 s22, 0
.LBB158_2733:
	s_delay_alu instid0(SALU_CYCLE_1)
	s_and_b32 vcc_lo, exec_lo, s22
	s_cbranch_vccz .LBB158_2737
; %bb.2734:
	s_cmp_eq_u32 s0, 29
	s_cbranch_scc0 .LBB158_2736
; %bb.2735:
	global_load_b64 v[14:15], v[6:7], off
	s_mov_b32 s15, 0
	s_mov_b32 s21, -1
	s_mov_b32 s22, 0
	s_wait_loadcnt 0x0
	v_clz_i32_u32_e32 v1, v15
	s_delay_alu instid0(VALU_DEP_1) | instskip(NEXT) | instid1(VALU_DEP_1)
	v_min_u32_e32 v1, 32, v1
	v_lshlrev_b64_e32 v[14:15], v1, v[14:15]
	v_sub_nc_u32_e32 v1, 32, v1
	s_delay_alu instid0(VALU_DEP_2) | instskip(NEXT) | instid1(VALU_DEP_1)
	v_min_u32_e32 v3, 1, v14
	v_or_b32_e32 v3, v15, v3
	s_delay_alu instid0(VALU_DEP_1) | instskip(NEXT) | instid1(VALU_DEP_1)
	v_cvt_f32_u32_e32 v3, v3
	v_ldexp_f32 v1, v3, v1
	s_delay_alu instid0(VALU_DEP_1)
	v_cvt_f16_f32_e32 v14, v1
	s_branch .LBB158_2738
.LBB158_2736:
	s_mov_b32 s15, -1
                                        ; implicit-def: $vgpr14
.LBB158_2737:
	s_mov_b32 s22, 0
.LBB158_2738:
	s_delay_alu instid0(SALU_CYCLE_1)
	s_and_b32 vcc_lo, exec_lo, s22
	s_cbranch_vccz .LBB158_2756
; %bb.2739:
	s_cmp_lt_i32 s0, 27
	s_cbranch_scc1 .LBB158_2742
; %bb.2740:
	s_cmp_gt_i32 s0, 27
	s_cbranch_scc0 .LBB158_2743
; %bb.2741:
	global_load_b32 v1, v[6:7], off
	s_mov_b32 s21, 0
	s_wait_loadcnt 0x0
	v_cvt_f32_u32_e32 v1, v1
	s_delay_alu instid0(VALU_DEP_1)
	v_cvt_f16_f32_e32 v14, v1
	s_branch .LBB158_2744
.LBB158_2742:
	s_mov_b32 s21, -1
                                        ; implicit-def: $vgpr14
	s_branch .LBB158_2747
.LBB158_2743:
	s_mov_b32 s21, -1
                                        ; implicit-def: $vgpr14
.LBB158_2744:
	s_delay_alu instid0(SALU_CYCLE_1)
	s_and_not1_b32 vcc_lo, exec_lo, s21
	s_cbranch_vccnz .LBB158_2746
; %bb.2745:
	global_load_u16 v1, v[6:7], off
	s_wait_loadcnt 0x0
	v_cvt_f16_u16_e32 v14, v1
.LBB158_2746:
	s_mov_b32 s21, 0
.LBB158_2747:
	s_delay_alu instid0(SALU_CYCLE_1)
	s_and_not1_b32 vcc_lo, exec_lo, s21
	s_cbranch_vccnz .LBB158_2755
; %bb.2748:
	global_load_u8 v1, v[6:7], off
	s_mov_b32 s21, 0
	s_mov_b32 s22, exec_lo
	s_wait_loadcnt 0x0
	v_cmpx_lt_i16_e32 0x7f, v1
	s_xor_b32 s22, exec_lo, s22
	s_cbranch_execz .LBB158_2769
; %bb.2749:
	s_mov_b32 s21, -1
	s_mov_b32 s23, exec_lo
	v_cmpx_eq_u16_e32 0x80, v1
; %bb.2750:
	s_xor_b32 s21, exec_lo, -1
; %bb.2751:
	s_or_b32 exec_lo, exec_lo, s23
	s_delay_alu instid0(SALU_CYCLE_1)
	s_and_b32 s21, s21, exec_lo
	s_or_saveexec_b32 s22, s22
	v_mov_b32_e32 v14, 0x7e00
	s_xor_b32 exec_lo, exec_lo, s22
	s_cbranch_execnz .LBB158_2770
.LBB158_2752:
	s_or_b32 exec_lo, exec_lo, s22
	s_and_saveexec_b32 s22, s21
	s_cbranch_execz .LBB158_2754
.LBB158_2753:
	v_and_b32_e32 v3, 0xffff, v1
	s_delay_alu instid0(VALU_DEP_1) | instskip(SKIP_1) | instid1(VALU_DEP_2)
	v_and_b32_e32 v5, 7, v3
	v_bfe_u32 v16, v3, 3, 4
	v_clz_i32_u32_e32 v14, v5
	s_delay_alu instid0(VALU_DEP_2) | instskip(NEXT) | instid1(VALU_DEP_2)
	v_cmp_eq_u32_e32 vcc_lo, 0, v16
	v_min_u32_e32 v14, 32, v14
	s_delay_alu instid0(VALU_DEP_1) | instskip(NEXT) | instid1(VALU_DEP_1)
	v_subrev_nc_u32_e32 v15, 28, v14
	v_dual_lshlrev_b32 v3, v15, v3 :: v_dual_sub_nc_u32 v14, 29, v14
	s_delay_alu instid0(VALU_DEP_1) | instskip(NEXT) | instid1(VALU_DEP_1)
	v_dual_lshlrev_b32 v1, 24, v1 :: v_dual_bitop2_b32 v3, 7, v3 bitop3:0x40
	v_dual_cndmask_b32 v14, v16, v14 :: v_dual_cndmask_b32 v3, v5, v3
	s_delay_alu instid0(VALU_DEP_2) | instskip(NEXT) | instid1(VALU_DEP_2)
	v_and_b32_e32 v1, 0x80000000, v1
	v_lshl_add_u32 v5, v14, 23, 0x3b800000
	s_delay_alu instid0(VALU_DEP_3) | instskip(NEXT) | instid1(VALU_DEP_1)
	v_lshlrev_b32_e32 v3, 20, v3
	v_or3_b32 v1, v1, v5, v3
	s_delay_alu instid0(VALU_DEP_1)
	v_cvt_f16_f32_e32 v14, v1
.LBB158_2754:
	s_or_b32 exec_lo, exec_lo, s22
.LBB158_2755:
	s_mov_b32 s21, -1
.LBB158_2756:
	s_mov_b32 s22, 0
.LBB158_2757:
	s_delay_alu instid0(SALU_CYCLE_1)
	s_and_b32 vcc_lo, exec_lo, s22
	s_cbranch_vccz .LBB158_2790
; %bb.2758:
	s_cmp_gt_i32 s0, 22
	s_cbranch_scc0 .LBB158_2768
; %bb.2759:
	s_cmp_lt_i32 s0, 24
	s_cbranch_scc1 .LBB158_2771
; %bb.2760:
	s_cmp_gt_i32 s0, 24
	s_cbranch_scc0 .LBB158_2772
; %bb.2761:
	global_load_u8 v1, v[6:7], off
	s_mov_b32 s21, exec_lo
	s_wait_loadcnt 0x0
	v_cmpx_lt_i16_e32 0x7f, v1
	s_xor_b32 s21, exec_lo, s21
	s_cbranch_execz .LBB158_2784
; %bb.2762:
	s_mov_b32 s20, -1
	s_mov_b32 s22, exec_lo
	v_cmpx_eq_u16_e32 0x80, v1
; %bb.2763:
	s_xor_b32 s20, exec_lo, -1
; %bb.2764:
	s_or_b32 exec_lo, exec_lo, s22
	s_delay_alu instid0(SALU_CYCLE_1)
	s_and_b32 s20, s20, exec_lo
	s_or_saveexec_b32 s21, s21
	v_mov_b32_e32 v14, 0x7e00
	s_xor_b32 exec_lo, exec_lo, s21
	s_cbranch_execnz .LBB158_2785
.LBB158_2765:
	s_or_b32 exec_lo, exec_lo, s21
	s_and_saveexec_b32 s21, s20
	s_cbranch_execz .LBB158_2767
.LBB158_2766:
	v_and_b32_e32 v3, 0xffff, v1
	s_delay_alu instid0(VALU_DEP_1) | instskip(SKIP_1) | instid1(VALU_DEP_2)
	v_and_b32_e32 v5, 3, v3
	v_bfe_u32 v16, v3, 2, 5
	v_clz_i32_u32_e32 v14, v5
	s_delay_alu instid0(VALU_DEP_2) | instskip(NEXT) | instid1(VALU_DEP_2)
	v_cmp_eq_u32_e32 vcc_lo, 0, v16
	v_min_u32_e32 v14, 32, v14
	s_delay_alu instid0(VALU_DEP_1) | instskip(NEXT) | instid1(VALU_DEP_1)
	v_subrev_nc_u32_e32 v15, 29, v14
	v_dual_lshlrev_b32 v3, v15, v3 :: v_dual_sub_nc_u32 v14, 30, v14
	s_delay_alu instid0(VALU_DEP_1) | instskip(NEXT) | instid1(VALU_DEP_1)
	v_dual_lshlrev_b32 v1, 24, v1 :: v_dual_bitop2_b32 v3, 3, v3 bitop3:0x40
	v_dual_cndmask_b32 v14, v16, v14 :: v_dual_cndmask_b32 v3, v5, v3
	s_delay_alu instid0(VALU_DEP_2) | instskip(NEXT) | instid1(VALU_DEP_2)
	v_and_b32_e32 v1, 0x80000000, v1
	v_lshl_add_u32 v5, v14, 23, 0x37800000
	s_delay_alu instid0(VALU_DEP_3) | instskip(NEXT) | instid1(VALU_DEP_1)
	v_lshlrev_b32_e32 v3, 21, v3
	v_or3_b32 v1, v1, v5, v3
	s_delay_alu instid0(VALU_DEP_1)
	v_cvt_f16_f32_e32 v14, v1
.LBB158_2767:
	s_or_b32 exec_lo, exec_lo, s21
	s_mov_b32 s20, 0
	s_branch .LBB158_2773
.LBB158_2768:
	s_mov_b32 s20, -1
                                        ; implicit-def: $vgpr14
	s_branch .LBB158_2779
.LBB158_2769:
	s_or_saveexec_b32 s22, s22
	v_mov_b32_e32 v14, 0x7e00
	s_xor_b32 exec_lo, exec_lo, s22
	s_cbranch_execz .LBB158_2752
.LBB158_2770:
	v_cmp_ne_u16_e32 vcc_lo, 0, v1
	v_mov_b32_e32 v14, v1
	s_and_not1_b32 s21, s21, exec_lo
	s_and_b32 s23, vcc_lo, exec_lo
	s_delay_alu instid0(SALU_CYCLE_1)
	s_or_b32 s21, s21, s23
	s_or_b32 exec_lo, exec_lo, s22
	s_and_saveexec_b32 s22, s21
	s_cbranch_execnz .LBB158_2753
	s_branch .LBB158_2754
.LBB158_2771:
	s_mov_b32 s20, -1
                                        ; implicit-def: $vgpr14
	s_branch .LBB158_2776
.LBB158_2772:
	s_mov_b32 s20, -1
                                        ; implicit-def: $vgpr14
.LBB158_2773:
	s_delay_alu instid0(SALU_CYCLE_1)
	s_and_b32 vcc_lo, exec_lo, s20
	s_cbranch_vccz .LBB158_2775
; %bb.2774:
	global_load_u8 v1, v[6:7], off
	s_wait_loadcnt 0x0
	v_lshlrev_b32_e32 v1, 24, v1
	s_delay_alu instid0(VALU_DEP_1) | instskip(NEXT) | instid1(VALU_DEP_1)
	v_and_b32_e32 v3, 0x7f000000, v1
	v_clz_i32_u32_e32 v5, v3
	v_add_nc_u32_e32 v15, 0x1000000, v3
	v_cmp_ne_u32_e32 vcc_lo, 0, v3
	s_delay_alu instid0(VALU_DEP_3) | instskip(NEXT) | instid1(VALU_DEP_1)
	v_min_u32_e32 v5, 32, v5
	v_sub_nc_u32_e64 v5, v5, 4 clamp
	s_delay_alu instid0(VALU_DEP_1) | instskip(NEXT) | instid1(VALU_DEP_1)
	v_dual_lshlrev_b32 v14, v5, v3 :: v_dual_lshlrev_b32 v5, 23, v5
	v_lshrrev_b32_e32 v14, 4, v14
	s_delay_alu instid0(VALU_DEP_1) | instskip(NEXT) | instid1(VALU_DEP_1)
	v_dual_sub_nc_u32 v5, v14, v5 :: v_dual_ashrrev_i32 v14, 8, v15
	v_add_nc_u32_e32 v5, 0x3c000000, v5
	s_delay_alu instid0(VALU_DEP_1) | instskip(NEXT) | instid1(VALU_DEP_1)
	v_and_or_b32 v5, 0x7f800000, v14, v5
	v_cndmask_b32_e32 v3, 0, v5, vcc_lo
	s_delay_alu instid0(VALU_DEP_1) | instskip(NEXT) | instid1(VALU_DEP_1)
	v_and_or_b32 v1, 0x80000000, v1, v3
	v_cvt_f16_f32_e32 v14, v1
.LBB158_2775:
	s_mov_b32 s20, 0
.LBB158_2776:
	s_delay_alu instid0(SALU_CYCLE_1)
	s_and_not1_b32 vcc_lo, exec_lo, s20
	s_cbranch_vccnz .LBB158_2778
; %bb.2777:
	global_load_u8 v1, v[6:7], off
	s_wait_loadcnt 0x0
	v_lshlrev_b32_e32 v3, 25, v1
	v_lshlrev_b16 v1, 8, v1
	s_delay_alu instid0(VALU_DEP_1) | instskip(SKIP_1) | instid1(VALU_DEP_2)
	v_and_or_b32 v14, 0x7f00, v1, 0.5
	v_bfe_i32 v1, v1, 0, 16
	v_dual_add_f32 v14, -0.5, v14 :: v_dual_lshrrev_b32 v5, 4, v3
	v_cmp_gt_u32_e32 vcc_lo, 0x8000000, v3
	s_delay_alu instid0(VALU_DEP_2) | instskip(NEXT) | instid1(VALU_DEP_1)
	v_or_b32_e32 v5, 0x70000000, v5
	v_mul_f32_e32 v5, 0x7800000, v5
	s_delay_alu instid0(VALU_DEP_1) | instskip(NEXT) | instid1(VALU_DEP_1)
	v_cndmask_b32_e32 v3, v5, v14, vcc_lo
	v_and_or_b32 v1, 0x80000000, v1, v3
	s_delay_alu instid0(VALU_DEP_1)
	v_cvt_f16_f32_e32 v14, v1
.LBB158_2778:
	s_mov_b32 s20, 0
	s_mov_b32 s21, -1
.LBB158_2779:
	s_and_not1_b32 vcc_lo, exec_lo, s20
	s_mov_b32 s20, 0
	s_cbranch_vccnz .LBB158_2790
; %bb.2780:
	s_cmp_gt_i32 s0, 14
	s_cbranch_scc0 .LBB158_2783
; %bb.2781:
	s_cmp_eq_u32 s0, 15
	s_cbranch_scc0 .LBB158_2786
; %bb.2782:
	global_load_u16 v1, v[6:7], off
	s_mov_b32 s15, 0
	s_mov_b32 s21, -1
	s_wait_loadcnt 0x0
	v_lshlrev_b32_e32 v1, 16, v1
	s_delay_alu instid0(VALU_DEP_1)
	v_cvt_f16_f32_e32 v14, v1
	s_branch .LBB158_2788
.LBB158_2783:
	s_mov_b32 s20, -1
	s_branch .LBB158_2787
.LBB158_2784:
	s_or_saveexec_b32 s21, s21
	v_mov_b32_e32 v14, 0x7e00
	s_xor_b32 exec_lo, exec_lo, s21
	s_cbranch_execz .LBB158_2765
.LBB158_2785:
	v_cmp_ne_u16_e32 vcc_lo, 0, v1
	v_mov_b32_e32 v14, v1
	s_and_not1_b32 s20, s20, exec_lo
	s_and_b32 s22, vcc_lo, exec_lo
	s_delay_alu instid0(SALU_CYCLE_1)
	s_or_b32 s20, s20, s22
	s_or_b32 exec_lo, exec_lo, s21
	s_and_saveexec_b32 s21, s20
	s_cbranch_execnz .LBB158_2766
	s_branch .LBB158_2767
.LBB158_2786:
	s_mov_b32 s15, -1
.LBB158_2787:
                                        ; implicit-def: $vgpr14
.LBB158_2788:
	s_and_b32 vcc_lo, exec_lo, s20
	s_mov_b32 s20, 0
	s_cbranch_vccz .LBB158_2790
; %bb.2789:
	s_cmp_lg_u32 s0, 11
	s_mov_b32 s20, -1
	s_cselect_b32 s15, -1, 0
.LBB158_2790:
	s_delay_alu instid0(SALU_CYCLE_1)
	s_and_b32 vcc_lo, exec_lo, s15
	s_cbranch_vccnz .LBB158_2855
; %bb.2791:
	s_and_not1_b32 vcc_lo, exec_lo, s20
	s_cbranch_vccnz .LBB158_2793
.LBB158_2792:
	global_load_u8 v1, v[6:7], off
	s_mov_b32 s21, -1
	s_wait_loadcnt 0x0
	v_cmp_ne_u16_e32 vcc_lo, 0, v1
	v_cndmask_b32_e64 v14, 0, 0x3c00, vcc_lo
.LBB158_2793:
	s_mov_b32 s15, 0
.LBB158_2794:
	s_delay_alu instid0(SALU_CYCLE_1)
	s_and_b32 vcc_lo, exec_lo, s15
	s_cbranch_vccz .LBB158_2843
; %bb.2795:
	s_cmp_lt_i32 s0, 5
	s_cbranch_scc1 .LBB158_2800
; %bb.2796:
	s_cmp_lt_i32 s0, 8
	s_cbranch_scc1 .LBB158_2801
	;; [unrolled: 3-line block ×3, first 2 shown]
; %bb.2798:
	s_cmp_gt_i32 s0, 9
	s_cbranch_scc0 .LBB158_2803
; %bb.2799:
	global_load_b64 v[14:15], v[6:7], off
	s_mov_b32 s15, 0
	s_wait_loadcnt 0x0
	v_and_or_b32 v1, 0x1ff, v15, v14
	v_lshrrev_b32_e32 v3, 8, v15
	v_bfe_u32 v5, v15, 20, 11
	s_delay_alu instid0(VALU_DEP_3) | instskip(NEXT) | instid1(VALU_DEP_2)
	v_cmp_ne_u32_e32 vcc_lo, 0, v1
	v_sub_nc_u32_e32 v14, 0x3f1, v5
	v_add_nc_u32_e32 v5, 0xfffffc10, v5
	v_cndmask_b32_e64 v1, 0, 1, vcc_lo
	s_delay_alu instid0(VALU_DEP_1) | instskip(NEXT) | instid1(VALU_DEP_4)
	v_and_or_b32 v1, 0xffe, v3, v1
	v_med3_i32 v3, v14, 0, 13
	s_delay_alu instid0(VALU_DEP_2) | instskip(NEXT) | instid1(VALU_DEP_1)
	v_or_b32_e32 v14, 0x1000, v1
	v_lshrrev_b32_e32 v16, v3, v14
	s_delay_alu instid0(VALU_DEP_1) | instskip(NEXT) | instid1(VALU_DEP_1)
	v_lshlrev_b32_e32 v3, v3, v16
	v_cmp_ne_u32_e32 vcc_lo, v3, v14
	v_lshl_or_b32 v14, v5, 12, v1
	v_cndmask_b32_e64 v3, 0, 1, vcc_lo
	v_cmp_gt_i32_e32 vcc_lo, 1, v5
	s_delay_alu instid0(VALU_DEP_2) | instskip(NEXT) | instid1(VALU_DEP_1)
	v_or_b32_e32 v3, v16, v3
	v_cndmask_b32_e32 v3, v14, v3, vcc_lo
	s_delay_alu instid0(VALU_DEP_1) | instskip(NEXT) | instid1(VALU_DEP_1)
	v_dual_lshrrev_b32 v3, 2, v3 :: v_dual_bitop2_b32 v14, 7, v3 bitop3:0x40
	v_cmp_lt_i32_e32 vcc_lo, 5, v14
	v_cndmask_b32_e64 v16, 0, 1, vcc_lo
	v_cmp_eq_u32_e32 vcc_lo, 3, v14
	v_cndmask_b32_e64 v14, 0, 1, vcc_lo
	v_cmp_ne_u32_e32 vcc_lo, 0, v1
	s_delay_alu instid0(VALU_DEP_2) | instskip(NEXT) | instid1(VALU_DEP_1)
	v_or_b32_e32 v14, v14, v16
	v_dual_mov_b32 v16, 0x7e00 :: v_dual_add_nc_u32 v3, v3, v14
	s_delay_alu instid0(VALU_DEP_1) | instskip(SKIP_1) | instid1(VALU_DEP_3)
	v_cndmask_b32_e32 v1, 0x7c00, v16, vcc_lo
	v_cmp_gt_i32_e32 vcc_lo, 31, v5
	v_cndmask_b32_e32 v3, 0x7c00, v3, vcc_lo
	v_cmp_eq_u32_e32 vcc_lo, 0x40f, v5
	s_delay_alu instid0(VALU_DEP_2) | instskip(NEXT) | instid1(VALU_DEP_1)
	v_dual_cndmask_b32 v1, v3, v1, vcc_lo :: v_dual_lshrrev_b32 v3, 16, v15
	v_and_or_b32 v14, 0x8000, v3, v1
	s_branch .LBB158_2804
.LBB158_2800:
	s_mov_b32 s15, -1
                                        ; implicit-def: $vgpr14
	s_branch .LBB158_2822
.LBB158_2801:
	s_mov_b32 s15, -1
                                        ; implicit-def: $vgpr14
	s_branch .LBB158_2810
.LBB158_2802:
	s_mov_b32 s15, -1
                                        ; implicit-def: $vgpr14
	s_branch .LBB158_2807
.LBB158_2803:
	s_mov_b32 s15, -1
                                        ; implicit-def: $vgpr14
.LBB158_2804:
	s_delay_alu instid0(SALU_CYCLE_1)
	s_and_not1_b32 vcc_lo, exec_lo, s15
	s_cbranch_vccnz .LBB158_2806
; %bb.2805:
	global_load_b32 v1, v[6:7], off
	s_wait_loadcnt 0x0
	v_cvt_f16_f32_e32 v14, v1
.LBB158_2806:
	s_mov_b32 s15, 0
.LBB158_2807:
	s_delay_alu instid0(SALU_CYCLE_1)
	s_and_not1_b32 vcc_lo, exec_lo, s15
	s_cbranch_vccnz .LBB158_2809
; %bb.2808:
	global_load_b32 v14, v[6:7], off
.LBB158_2809:
	s_mov_b32 s15, 0
.LBB158_2810:
	s_delay_alu instid0(SALU_CYCLE_1)
	s_and_not1_b32 vcc_lo, exec_lo, s15
	s_cbranch_vccnz .LBB158_2821
; %bb.2811:
	s_cmp_lt_i32 s0, 6
	s_cbranch_scc1 .LBB158_2814
; %bb.2812:
	s_cmp_gt_i32 s0, 6
	s_cbranch_scc0 .LBB158_2815
; %bb.2813:
	s_wait_loadcnt 0x0
	global_load_b64 v[14:15], v[6:7], off
	s_mov_b32 s15, 0
	s_wait_loadcnt 0x0
	v_and_or_b32 v1, 0x1ff, v15, v14
	v_lshrrev_b32_e32 v3, 8, v15
	v_bfe_u32 v5, v15, 20, 11
	s_delay_alu instid0(VALU_DEP_3) | instskip(NEXT) | instid1(VALU_DEP_2)
	v_cmp_ne_u32_e32 vcc_lo, 0, v1
	v_sub_nc_u32_e32 v14, 0x3f1, v5
	v_add_nc_u32_e32 v5, 0xfffffc10, v5
	v_cndmask_b32_e64 v1, 0, 1, vcc_lo
	s_delay_alu instid0(VALU_DEP_1) | instskip(NEXT) | instid1(VALU_DEP_4)
	v_and_or_b32 v1, 0xffe, v3, v1
	v_med3_i32 v3, v14, 0, 13
	s_delay_alu instid0(VALU_DEP_2) | instskip(NEXT) | instid1(VALU_DEP_1)
	v_or_b32_e32 v14, 0x1000, v1
	v_lshrrev_b32_e32 v16, v3, v14
	s_delay_alu instid0(VALU_DEP_1) | instskip(NEXT) | instid1(VALU_DEP_1)
	v_lshlrev_b32_e32 v3, v3, v16
	v_cmp_ne_u32_e32 vcc_lo, v3, v14
	v_lshl_or_b32 v14, v5, 12, v1
	v_cndmask_b32_e64 v3, 0, 1, vcc_lo
	v_cmp_gt_i32_e32 vcc_lo, 1, v5
	s_delay_alu instid0(VALU_DEP_2) | instskip(NEXT) | instid1(VALU_DEP_1)
	v_or_b32_e32 v3, v16, v3
	v_cndmask_b32_e32 v3, v14, v3, vcc_lo
	s_delay_alu instid0(VALU_DEP_1) | instskip(NEXT) | instid1(VALU_DEP_1)
	v_dual_lshrrev_b32 v3, 2, v3 :: v_dual_bitop2_b32 v14, 7, v3 bitop3:0x40
	v_cmp_lt_i32_e32 vcc_lo, 5, v14
	v_cndmask_b32_e64 v16, 0, 1, vcc_lo
	v_cmp_eq_u32_e32 vcc_lo, 3, v14
	v_cndmask_b32_e64 v14, 0, 1, vcc_lo
	v_cmp_ne_u32_e32 vcc_lo, 0, v1
	s_delay_alu instid0(VALU_DEP_2) | instskip(NEXT) | instid1(VALU_DEP_1)
	v_or_b32_e32 v14, v14, v16
	v_dual_mov_b32 v16, 0x7e00 :: v_dual_add_nc_u32 v3, v3, v14
	s_delay_alu instid0(VALU_DEP_1) | instskip(SKIP_1) | instid1(VALU_DEP_3)
	v_cndmask_b32_e32 v1, 0x7c00, v16, vcc_lo
	v_cmp_gt_i32_e32 vcc_lo, 31, v5
	v_cndmask_b32_e32 v3, 0x7c00, v3, vcc_lo
	v_cmp_eq_u32_e32 vcc_lo, 0x40f, v5
	s_delay_alu instid0(VALU_DEP_2) | instskip(NEXT) | instid1(VALU_DEP_1)
	v_dual_cndmask_b32 v1, v3, v1, vcc_lo :: v_dual_lshrrev_b32 v3, 16, v15
	v_and_or_b32 v14, 0x8000, v3, v1
	s_branch .LBB158_2816
.LBB158_2814:
	s_mov_b32 s15, -1
                                        ; implicit-def: $vgpr14
	s_branch .LBB158_2819
.LBB158_2815:
	s_mov_b32 s15, -1
                                        ; implicit-def: $vgpr14
.LBB158_2816:
	s_delay_alu instid0(SALU_CYCLE_1)
	s_and_not1_b32 vcc_lo, exec_lo, s15
	s_cbranch_vccnz .LBB158_2818
; %bb.2817:
	global_load_b32 v1, v[6:7], off
	s_wait_loadcnt 0x0
	v_cvt_f16_f32_e32 v14, v1
.LBB158_2818:
	s_mov_b32 s15, 0
.LBB158_2819:
	s_delay_alu instid0(SALU_CYCLE_1)
	s_and_not1_b32 vcc_lo, exec_lo, s15
	s_cbranch_vccnz .LBB158_2821
; %bb.2820:
	s_wait_loadcnt 0x0
	global_load_u16 v14, v[6:7], off
.LBB158_2821:
	s_mov_b32 s15, 0
.LBB158_2822:
	s_delay_alu instid0(SALU_CYCLE_1)
	s_and_not1_b32 vcc_lo, exec_lo, s15
	s_cbranch_vccnz .LBB158_2842
; %bb.2823:
	s_cmp_lt_i32 s0, 2
	s_cbranch_scc1 .LBB158_2827
; %bb.2824:
	s_cmp_lt_i32 s0, 3
	s_cbranch_scc1 .LBB158_2828
; %bb.2825:
	s_cmp_gt_i32 s0, 3
	s_cbranch_scc0 .LBB158_2829
; %bb.2826:
	s_wait_loadcnt 0x0
	global_load_b64 v[14:15], v[6:7], off
	s_mov_b32 s15, 0
	s_wait_loadcnt 0x0
	v_xor_b32_e32 v1, v14, v15
	v_cls_i32_e32 v3, v15
	s_delay_alu instid0(VALU_DEP_2) | instskip(NEXT) | instid1(VALU_DEP_1)
	v_ashrrev_i32_e32 v1, 31, v1
	v_add_nc_u32_e32 v1, 32, v1
	s_delay_alu instid0(VALU_DEP_1) | instskip(NEXT) | instid1(VALU_DEP_1)
	v_add_min_u32_e64 v1, v3, -1, v1
	v_lshlrev_b64_e32 v[14:15], v1, v[14:15]
	v_sub_nc_u32_e32 v1, 32, v1
	s_delay_alu instid0(VALU_DEP_2) | instskip(NEXT) | instid1(VALU_DEP_1)
	v_min_u32_e32 v3, 1, v14
	v_or_b32_e32 v3, v15, v3
	s_delay_alu instid0(VALU_DEP_1) | instskip(NEXT) | instid1(VALU_DEP_1)
	v_cvt_f32_i32_e32 v3, v3
	v_ldexp_f32 v1, v3, v1
	s_delay_alu instid0(VALU_DEP_1)
	v_cvt_f16_f32_e32 v14, v1
	s_branch .LBB158_2830
.LBB158_2827:
	s_mov_b32 s15, -1
                                        ; implicit-def: $vgpr14
	s_branch .LBB158_2836
.LBB158_2828:
	s_mov_b32 s15, -1
                                        ; implicit-def: $vgpr14
	s_branch .LBB158_2833
.LBB158_2829:
	s_mov_b32 s15, -1
                                        ; implicit-def: $vgpr14
.LBB158_2830:
	s_delay_alu instid0(SALU_CYCLE_1)
	s_and_not1_b32 vcc_lo, exec_lo, s15
	s_cbranch_vccnz .LBB158_2832
; %bb.2831:
	global_load_b32 v1, v[6:7], off
	s_wait_loadcnt 0x0
	v_cvt_f32_i32_e32 v1, v1
	s_delay_alu instid0(VALU_DEP_1)
	v_cvt_f16_f32_e32 v14, v1
.LBB158_2832:
	s_mov_b32 s15, 0
.LBB158_2833:
	s_delay_alu instid0(SALU_CYCLE_1)
	s_and_not1_b32 vcc_lo, exec_lo, s15
	s_cbranch_vccnz .LBB158_2835
; %bb.2834:
	global_load_u16 v1, v[6:7], off
	s_wait_loadcnt 0x0
	v_cvt_f16_i16_e32 v14, v1
.LBB158_2835:
	s_mov_b32 s15, 0
.LBB158_2836:
	s_delay_alu instid0(SALU_CYCLE_1)
	s_and_not1_b32 vcc_lo, exec_lo, s15
	s_cbranch_vccnz .LBB158_2842
; %bb.2837:
	s_cmp_gt_i32 s0, 0
	s_mov_b32 s15, 0
	s_cbranch_scc0 .LBB158_2839
; %bb.2838:
	global_load_i8 v1, v[6:7], off
	s_wait_loadcnt 0x0
	v_cvt_f16_i16_e32 v14, v1
	s_branch .LBB158_2840
.LBB158_2839:
	s_mov_b32 s15, -1
                                        ; implicit-def: $vgpr14
.LBB158_2840:
	s_delay_alu instid0(SALU_CYCLE_1)
	s_and_not1_b32 vcc_lo, exec_lo, s15
	s_cbranch_vccnz .LBB158_2842
; %bb.2841:
	global_load_u8 v1, v[6:7], off
	s_wait_loadcnt 0x0
	v_cvt_f16_u16_e32 v14, v1
.LBB158_2842:
	s_mov_b32 s21, -1
.LBB158_2843:
	s_delay_alu instid0(SALU_CYCLE_1)
	s_and_not1_b32 vcc_lo, exec_lo, s21
	s_cbranch_vccnz .LBB158_4065
; %bb.2844:
	v_add_nc_u32_e32 v0, s1, v0
	s_cmp_lt_i32 s17, 11
	s_delay_alu instid0(VALU_DEP_1) | instskip(SKIP_1) | instid1(VALU_DEP_1)
	v_ashrrev_i32_e32 v1, 31, v0
	s_wait_xcnt 0x0
	v_add_nc_u64_e32 v[6:7], s[6:7], v[0:1]
	s_cbranch_scc1 .LBB158_2851
; %bb.2845:
	s_and_b32 s15, 0xffff, s17
	s_mov_b32 s21, 0
	s_cmp_gt_i32 s15, 25
	s_cbranch_scc0 .LBB158_2852
; %bb.2846:
	s_cmp_gt_i32 s15, 28
	s_cbranch_scc0 .LBB158_2853
; %bb.2847:
	;; [unrolled: 3-line block ×4, first 2 shown]
	s_cmp_eq_u32 s15, 46
	s_mov_b32 s23, 0
	s_cbranch_scc0 .LBB158_2859
; %bb.2850:
	global_load_b32 v1, v[6:7], off
	s_mov_b32 s20, 0
	s_mov_b32 s22, -1
	s_wait_loadcnt 0x0
	v_lshlrev_b32_e32 v1, 16, v1
	s_delay_alu instid0(VALU_DEP_1)
	v_cvt_f16_f32_e32 v15, v1
	s_branch .LBB158_2861
.LBB158_2851:
	s_mov_b32 s15, -1
	s_mov_b32 s22, 0
                                        ; implicit-def: $vgpr15
	s_branch .LBB158_2927
.LBB158_2852:
	s_mov_b32 s23, -1
	s_mov_b32 s22, 0
	s_mov_b32 s20, 0
                                        ; implicit-def: $vgpr15
	s_branch .LBB158_2890
.LBB158_2853:
	s_mov_b32 s23, -1
	s_mov_b32 s22, 0
	s_mov_b32 s20, 0
                                        ; implicit-def: $vgpr15
	s_branch .LBB158_2871
.LBB158_2854:
	s_mov_b32 s23, -1
	s_mov_b32 s22, 0
	s_mov_b32 s20, 0
                                        ; implicit-def: $vgpr15
	s_branch .LBB158_2866
.LBB158_2855:
	s_or_b32 s16, s16, exec_lo
	s_trap 2
	s_cbranch_execz .LBB158_2792
	s_branch .LBB158_2793
.LBB158_2856:
	s_mov_b32 s23, -1
	s_mov_b32 s22, 0
	s_mov_b32 s20, 0
	s_branch .LBB158_2860
.LBB158_2857:
	s_and_not1_saveexec_b32 s39, s39
	s_cbranch_execz .LBB158_1477
.LBB158_2858:
	v_add_f32_e64 v4, 0x42800000, |v3|
	s_and_not1_b32 s38, s38, exec_lo
	s_delay_alu instid0(VALU_DEP_1) | instskip(NEXT) | instid1(VALU_DEP_1)
	v_and_b32_e32 v4, 0xff, v4
	v_cmp_ne_u32_e32 vcc_lo, 0, v4
	s_and_b32 s40, vcc_lo, exec_lo
	s_delay_alu instid0(SALU_CYCLE_1)
	s_or_b32 s38, s38, s40
	s_or_b32 exec_lo, exec_lo, s39
	v_mov_b32_e32 v5, 0
	s_and_saveexec_b32 s39, s38
	s_cbranch_execnz .LBB158_1478
	s_branch .LBB158_1479
.LBB158_2859:
	s_mov_b32 s20, -1
	s_mov_b32 s22, 0
.LBB158_2860:
                                        ; implicit-def: $vgpr15
.LBB158_2861:
	s_and_b32 vcc_lo, exec_lo, s23
	s_cbranch_vccz .LBB158_2865
; %bb.2862:
	s_cmp_eq_u32 s15, 44
	s_cbranch_scc0 .LBB158_2864
; %bb.2863:
	global_load_u8 v1, v[6:7], off
	s_mov_b32 s20, 0
	s_mov_b32 s22, -1
	s_wait_loadcnt 0x0
	v_lshlrev_b32_e32 v3, 23, v1
	v_cmp_ne_u32_e32 vcc_lo, 0xff, v1
	s_delay_alu instid0(VALU_DEP_2) | instskip(NEXT) | instid1(VALU_DEP_1)
	v_cvt_f16_f32_e32 v3, v3
	v_cndmask_b32_e32 v3, 0x7e00, v3, vcc_lo
	v_cmp_ne_u32_e32 vcc_lo, 0, v1
	s_delay_alu instid0(VALU_DEP_2)
	v_cndmask_b32_e32 v15, 0, v3, vcc_lo
	s_branch .LBB158_2865
.LBB158_2864:
	s_mov_b32 s20, -1
                                        ; implicit-def: $vgpr15
.LBB158_2865:
	s_mov_b32 s23, 0
.LBB158_2866:
	s_delay_alu instid0(SALU_CYCLE_1)
	s_and_b32 vcc_lo, exec_lo, s23
	s_cbranch_vccz .LBB158_2870
; %bb.2867:
	s_cmp_eq_u32 s15, 29
	s_cbranch_scc0 .LBB158_2869
; %bb.2868:
	global_load_b64 v[16:17], v[6:7], off
	s_mov_b32 s20, 0
	s_mov_b32 s22, -1
	s_mov_b32 s23, 0
	s_wait_loadcnt 0x0
	v_clz_i32_u32_e32 v1, v17
	s_delay_alu instid0(VALU_DEP_1) | instskip(NEXT) | instid1(VALU_DEP_1)
	v_min_u32_e32 v1, 32, v1
	v_lshlrev_b64_e32 v[16:17], v1, v[16:17]
	v_sub_nc_u32_e32 v1, 32, v1
	s_delay_alu instid0(VALU_DEP_2) | instskip(NEXT) | instid1(VALU_DEP_1)
	v_min_u32_e32 v3, 1, v16
	v_or_b32_e32 v3, v17, v3
	s_delay_alu instid0(VALU_DEP_1) | instskip(NEXT) | instid1(VALU_DEP_1)
	v_cvt_f32_u32_e32 v3, v3
	v_ldexp_f32 v1, v3, v1
	s_delay_alu instid0(VALU_DEP_1)
	v_cvt_f16_f32_e32 v15, v1
	s_branch .LBB158_2871
.LBB158_2869:
	s_mov_b32 s20, -1
                                        ; implicit-def: $vgpr15
.LBB158_2870:
	s_mov_b32 s23, 0
.LBB158_2871:
	s_delay_alu instid0(SALU_CYCLE_1)
	s_and_b32 vcc_lo, exec_lo, s23
	s_cbranch_vccz .LBB158_2889
; %bb.2872:
	s_cmp_lt_i32 s15, 27
	s_cbranch_scc1 .LBB158_2875
; %bb.2873:
	s_cmp_gt_i32 s15, 27
	s_cbranch_scc0 .LBB158_2876
; %bb.2874:
	global_load_b32 v1, v[6:7], off
	s_mov_b32 s22, 0
	s_wait_loadcnt 0x0
	v_cvt_f32_u32_e32 v1, v1
	s_delay_alu instid0(VALU_DEP_1)
	v_cvt_f16_f32_e32 v15, v1
	s_branch .LBB158_2877
.LBB158_2875:
	s_mov_b32 s22, -1
                                        ; implicit-def: $vgpr15
	s_branch .LBB158_2880
.LBB158_2876:
	s_mov_b32 s22, -1
                                        ; implicit-def: $vgpr15
.LBB158_2877:
	s_delay_alu instid0(SALU_CYCLE_1)
	s_and_not1_b32 vcc_lo, exec_lo, s22
	s_cbranch_vccnz .LBB158_2879
; %bb.2878:
	global_load_u16 v1, v[6:7], off
	s_wait_loadcnt 0x0
	v_cvt_f16_u16_e32 v15, v1
.LBB158_2879:
	s_mov_b32 s22, 0
.LBB158_2880:
	s_delay_alu instid0(SALU_CYCLE_1)
	s_and_not1_b32 vcc_lo, exec_lo, s22
	s_cbranch_vccnz .LBB158_2888
; %bb.2881:
	global_load_u8 v1, v[6:7], off
	s_mov_b32 s22, 0
	s_mov_b32 s23, exec_lo
	s_wait_loadcnt 0x0
	v_cmpx_lt_i16_e32 0x7f, v1
	s_xor_b32 s23, exec_lo, s23
	s_cbranch_execz .LBB158_2902
; %bb.2882:
	s_mov_b32 s22, -1
	s_mov_b32 s24, exec_lo
	v_cmpx_eq_u16_e32 0x80, v1
; %bb.2883:
	s_xor_b32 s22, exec_lo, -1
; %bb.2884:
	s_or_b32 exec_lo, exec_lo, s24
	s_delay_alu instid0(SALU_CYCLE_1)
	s_and_b32 s22, s22, exec_lo
	s_or_saveexec_b32 s23, s23
	v_mov_b32_e32 v15, 0x7e00
	s_xor_b32 exec_lo, exec_lo, s23
	s_cbranch_execnz .LBB158_2903
.LBB158_2885:
	s_or_b32 exec_lo, exec_lo, s23
	s_and_saveexec_b32 s23, s22
	s_cbranch_execz .LBB158_2887
.LBB158_2886:
	v_and_b32_e32 v3, 0xffff, v1
	s_delay_alu instid0(VALU_DEP_1) | instskip(SKIP_1) | instid1(VALU_DEP_2)
	v_dual_lshlrev_b32 v1, 24, v1 :: v_dual_bitop2_b32 v5, 7, v3 bitop3:0x40
	v_bfe_u32 v17, v3, 3, 4
	v_and_b32_e32 v1, 0x80000000, v1
	s_delay_alu instid0(VALU_DEP_3) | instskip(NEXT) | instid1(VALU_DEP_3)
	v_clz_i32_u32_e32 v15, v5
	v_cmp_eq_u32_e32 vcc_lo, 0, v17
	s_delay_alu instid0(VALU_DEP_2) | instskip(NEXT) | instid1(VALU_DEP_1)
	v_min_u32_e32 v15, 32, v15
	v_subrev_nc_u32_e32 v16, 28, v15
	v_sub_nc_u32_e32 v15, 29, v15
	s_delay_alu instid0(VALU_DEP_2) | instskip(NEXT) | instid1(VALU_DEP_2)
	v_lshlrev_b32_e32 v3, v16, v3
	v_cndmask_b32_e32 v15, v17, v15, vcc_lo
	s_delay_alu instid0(VALU_DEP_2) | instskip(NEXT) | instid1(VALU_DEP_1)
	v_and_b32_e32 v3, 7, v3
	v_cndmask_b32_e32 v3, v5, v3, vcc_lo
	s_delay_alu instid0(VALU_DEP_3) | instskip(NEXT) | instid1(VALU_DEP_2)
	v_lshl_add_u32 v5, v15, 23, 0x3b800000
	v_lshlrev_b32_e32 v3, 20, v3
	s_delay_alu instid0(VALU_DEP_1) | instskip(NEXT) | instid1(VALU_DEP_1)
	v_or3_b32 v1, v1, v5, v3
	v_cvt_f16_f32_e32 v15, v1
.LBB158_2887:
	s_or_b32 exec_lo, exec_lo, s23
.LBB158_2888:
	s_mov_b32 s22, -1
.LBB158_2889:
	s_mov_b32 s23, 0
.LBB158_2890:
	s_delay_alu instid0(SALU_CYCLE_1)
	s_and_b32 vcc_lo, exec_lo, s23
	s_cbranch_vccz .LBB158_2923
; %bb.2891:
	s_cmp_gt_i32 s15, 22
	s_cbranch_scc0 .LBB158_2901
; %bb.2892:
	s_cmp_lt_i32 s15, 24
	s_cbranch_scc1 .LBB158_2904
; %bb.2893:
	s_cmp_gt_i32 s15, 24
	s_cbranch_scc0 .LBB158_2905
; %bb.2894:
	global_load_u8 v1, v[6:7], off
	s_mov_b32 s22, exec_lo
	s_wait_loadcnt 0x0
	v_cmpx_lt_i16_e32 0x7f, v1
	s_xor_b32 s22, exec_lo, s22
	s_cbranch_execz .LBB158_2917
; %bb.2895:
	s_mov_b32 s21, -1
	s_mov_b32 s23, exec_lo
	v_cmpx_eq_u16_e32 0x80, v1
; %bb.2896:
	s_xor_b32 s21, exec_lo, -1
; %bb.2897:
	s_or_b32 exec_lo, exec_lo, s23
	s_delay_alu instid0(SALU_CYCLE_1)
	s_and_b32 s21, s21, exec_lo
	s_or_saveexec_b32 s22, s22
	v_mov_b32_e32 v15, 0x7e00
	s_xor_b32 exec_lo, exec_lo, s22
	s_cbranch_execnz .LBB158_2918
.LBB158_2898:
	s_or_b32 exec_lo, exec_lo, s22
	s_and_saveexec_b32 s22, s21
	s_cbranch_execz .LBB158_2900
.LBB158_2899:
	v_and_b32_e32 v3, 0xffff, v1
	s_delay_alu instid0(VALU_DEP_1) | instskip(SKIP_1) | instid1(VALU_DEP_2)
	v_dual_lshlrev_b32 v1, 24, v1 :: v_dual_bitop2_b32 v5, 3, v3 bitop3:0x40
	v_bfe_u32 v17, v3, 2, 5
	v_and_b32_e32 v1, 0x80000000, v1
	s_delay_alu instid0(VALU_DEP_3) | instskip(NEXT) | instid1(VALU_DEP_3)
	v_clz_i32_u32_e32 v15, v5
	v_cmp_eq_u32_e32 vcc_lo, 0, v17
	s_delay_alu instid0(VALU_DEP_2) | instskip(NEXT) | instid1(VALU_DEP_1)
	v_min_u32_e32 v15, 32, v15
	v_subrev_nc_u32_e32 v16, 29, v15
	v_sub_nc_u32_e32 v15, 30, v15
	s_delay_alu instid0(VALU_DEP_2) | instskip(NEXT) | instid1(VALU_DEP_2)
	v_lshlrev_b32_e32 v3, v16, v3
	v_cndmask_b32_e32 v15, v17, v15, vcc_lo
	s_delay_alu instid0(VALU_DEP_2) | instskip(NEXT) | instid1(VALU_DEP_1)
	v_and_b32_e32 v3, 3, v3
	v_cndmask_b32_e32 v3, v5, v3, vcc_lo
	s_delay_alu instid0(VALU_DEP_3) | instskip(NEXT) | instid1(VALU_DEP_2)
	v_lshl_add_u32 v5, v15, 23, 0x37800000
	v_lshlrev_b32_e32 v3, 21, v3
	s_delay_alu instid0(VALU_DEP_1) | instskip(NEXT) | instid1(VALU_DEP_1)
	v_or3_b32 v1, v1, v5, v3
	v_cvt_f16_f32_e32 v15, v1
.LBB158_2900:
	s_or_b32 exec_lo, exec_lo, s22
	s_mov_b32 s21, 0
	s_branch .LBB158_2906
.LBB158_2901:
	s_mov_b32 s21, -1
                                        ; implicit-def: $vgpr15
	s_branch .LBB158_2912
.LBB158_2902:
	s_or_saveexec_b32 s23, s23
	v_mov_b32_e32 v15, 0x7e00
	s_xor_b32 exec_lo, exec_lo, s23
	s_cbranch_execz .LBB158_2885
.LBB158_2903:
	v_cmp_ne_u16_e32 vcc_lo, 0, v1
	v_mov_b32_e32 v15, v1
	s_and_not1_b32 s22, s22, exec_lo
	s_and_b32 s24, vcc_lo, exec_lo
	s_delay_alu instid0(SALU_CYCLE_1)
	s_or_b32 s22, s22, s24
	s_or_b32 exec_lo, exec_lo, s23
	s_and_saveexec_b32 s23, s22
	s_cbranch_execnz .LBB158_2886
	s_branch .LBB158_2887
.LBB158_2904:
	s_mov_b32 s21, -1
                                        ; implicit-def: $vgpr15
	s_branch .LBB158_2909
.LBB158_2905:
	s_mov_b32 s21, -1
                                        ; implicit-def: $vgpr15
.LBB158_2906:
	s_delay_alu instid0(SALU_CYCLE_1)
	s_and_b32 vcc_lo, exec_lo, s21
	s_cbranch_vccz .LBB158_2908
; %bb.2907:
	global_load_u8 v1, v[6:7], off
	s_wait_loadcnt 0x0
	v_lshlrev_b32_e32 v1, 24, v1
	s_delay_alu instid0(VALU_DEP_1) | instskip(NEXT) | instid1(VALU_DEP_1)
	v_and_b32_e32 v3, 0x7f000000, v1
	v_clz_i32_u32_e32 v5, v3
	v_cmp_ne_u32_e32 vcc_lo, 0, v3
	v_add_nc_u32_e32 v16, 0x1000000, v3
	s_delay_alu instid0(VALU_DEP_3) | instskip(NEXT) | instid1(VALU_DEP_1)
	v_min_u32_e32 v5, 32, v5
	v_sub_nc_u32_e64 v5, v5, 4 clamp
	s_delay_alu instid0(VALU_DEP_1) | instskip(NEXT) | instid1(VALU_DEP_1)
	v_dual_lshlrev_b32 v15, v5, v3 :: v_dual_lshlrev_b32 v5, 23, v5
	v_lshrrev_b32_e32 v15, 4, v15
	s_delay_alu instid0(VALU_DEP_1) | instskip(NEXT) | instid1(VALU_DEP_1)
	v_dual_sub_nc_u32 v5, v15, v5 :: v_dual_ashrrev_i32 v15, 8, v16
	v_add_nc_u32_e32 v5, 0x3c000000, v5
	s_delay_alu instid0(VALU_DEP_1) | instskip(NEXT) | instid1(VALU_DEP_1)
	v_and_or_b32 v5, 0x7f800000, v15, v5
	v_cndmask_b32_e32 v3, 0, v5, vcc_lo
	s_delay_alu instid0(VALU_DEP_1) | instskip(NEXT) | instid1(VALU_DEP_1)
	v_and_or_b32 v1, 0x80000000, v1, v3
	v_cvt_f16_f32_e32 v15, v1
.LBB158_2908:
	s_mov_b32 s21, 0
.LBB158_2909:
	s_delay_alu instid0(SALU_CYCLE_1)
	s_and_not1_b32 vcc_lo, exec_lo, s21
	s_cbranch_vccnz .LBB158_2911
; %bb.2910:
	global_load_u8 v1, v[6:7], off
	s_wait_loadcnt 0x0
	v_lshlrev_b32_e32 v3, 25, v1
	v_lshlrev_b16 v1, 8, v1
	s_delay_alu instid0(VALU_DEP_1) | instskip(SKIP_1) | instid1(VALU_DEP_2)
	v_and_or_b32 v15, 0x7f00, v1, 0.5
	v_bfe_i32 v1, v1, 0, 16
	v_add_f32_e32 v15, -0.5, v15
	v_lshrrev_b32_e32 v5, 4, v3
	v_cmp_gt_u32_e32 vcc_lo, 0x8000000, v3
	s_delay_alu instid0(VALU_DEP_2) | instskip(NEXT) | instid1(VALU_DEP_1)
	v_or_b32_e32 v5, 0x70000000, v5
	v_mul_f32_e32 v5, 0x7800000, v5
	s_delay_alu instid0(VALU_DEP_1) | instskip(NEXT) | instid1(VALU_DEP_1)
	v_cndmask_b32_e32 v3, v5, v15, vcc_lo
	v_and_or_b32 v1, 0x80000000, v1, v3
	s_delay_alu instid0(VALU_DEP_1)
	v_cvt_f16_f32_e32 v15, v1
.LBB158_2911:
	s_mov_b32 s21, 0
	s_mov_b32 s22, -1
.LBB158_2912:
	s_and_not1_b32 vcc_lo, exec_lo, s21
	s_mov_b32 s21, 0
	s_cbranch_vccnz .LBB158_2923
; %bb.2913:
	s_cmp_gt_i32 s15, 14
	s_cbranch_scc0 .LBB158_2916
; %bb.2914:
	s_cmp_eq_u32 s15, 15
	s_cbranch_scc0 .LBB158_2919
; %bb.2915:
	global_load_u16 v1, v[6:7], off
	s_mov_b32 s20, 0
	s_mov_b32 s22, -1
	s_wait_loadcnt 0x0
	v_lshlrev_b32_e32 v1, 16, v1
	s_delay_alu instid0(VALU_DEP_1)
	v_cvt_f16_f32_e32 v15, v1
	s_branch .LBB158_2921
.LBB158_2916:
	s_mov_b32 s21, -1
	s_branch .LBB158_2920
.LBB158_2917:
	s_or_saveexec_b32 s22, s22
	v_mov_b32_e32 v15, 0x7e00
	s_xor_b32 exec_lo, exec_lo, s22
	s_cbranch_execz .LBB158_2898
.LBB158_2918:
	v_cmp_ne_u16_e32 vcc_lo, 0, v1
	v_mov_b32_e32 v15, v1
	s_and_not1_b32 s21, s21, exec_lo
	s_and_b32 s23, vcc_lo, exec_lo
	s_delay_alu instid0(SALU_CYCLE_1)
	s_or_b32 s21, s21, s23
	s_or_b32 exec_lo, exec_lo, s22
	s_and_saveexec_b32 s22, s21
	s_cbranch_execnz .LBB158_2899
	s_branch .LBB158_2900
.LBB158_2919:
	s_mov_b32 s20, -1
.LBB158_2920:
                                        ; implicit-def: $vgpr15
.LBB158_2921:
	s_and_b32 vcc_lo, exec_lo, s21
	s_mov_b32 s21, 0
	s_cbranch_vccz .LBB158_2923
; %bb.2922:
	s_cmp_lg_u32 s15, 11
	s_mov_b32 s21, -1
	s_cselect_b32 s20, -1, 0
.LBB158_2923:
	s_delay_alu instid0(SALU_CYCLE_1)
	s_and_b32 vcc_lo, exec_lo, s20
	s_cbranch_vccnz .LBB158_2988
; %bb.2924:
	s_and_not1_b32 vcc_lo, exec_lo, s21
	s_cbranch_vccnz .LBB158_2926
.LBB158_2925:
	global_load_u8 v1, v[6:7], off
	s_mov_b32 s22, -1
	s_wait_loadcnt 0x0
	v_cmp_ne_u16_e32 vcc_lo, 0, v1
	v_cndmask_b32_e64 v15, 0, 0x3c00, vcc_lo
.LBB158_2926:
	s_mov_b32 s15, 0
.LBB158_2927:
	s_delay_alu instid0(SALU_CYCLE_1)
	s_and_b32 vcc_lo, exec_lo, s15
	s_cbranch_vccz .LBB158_2976
; %bb.2928:
	s_and_b32 s15, 0xffff, s17
	s_delay_alu instid0(SALU_CYCLE_1)
	s_cmp_lt_i32 s15, 5
	s_cbranch_scc1 .LBB158_2933
; %bb.2929:
	s_cmp_lt_i32 s15, 8
	s_cbranch_scc1 .LBB158_2934
; %bb.2930:
	;; [unrolled: 3-line block ×3, first 2 shown]
	s_cmp_gt_i32 s15, 9
	s_cbranch_scc0 .LBB158_2936
; %bb.2932:
	global_load_b64 v[16:17], v[6:7], off
	s_mov_b32 s20, 0
	s_wait_loadcnt 0x0
	v_and_or_b32 v1, 0x1ff, v17, v16
	v_lshrrev_b32_e32 v3, 8, v17
	v_bfe_u32 v5, v17, 20, 11
	s_delay_alu instid0(VALU_DEP_3) | instskip(NEXT) | instid1(VALU_DEP_2)
	v_cmp_ne_u32_e32 vcc_lo, 0, v1
	v_sub_nc_u32_e32 v15, 0x3f1, v5
	v_add_nc_u32_e32 v5, 0xfffffc10, v5
	v_cndmask_b32_e64 v1, 0, 1, vcc_lo
	s_delay_alu instid0(VALU_DEP_1) | instskip(NEXT) | instid1(VALU_DEP_4)
	v_and_or_b32 v1, 0xffe, v3, v1
	v_med3_i32 v3, v15, 0, 13
	s_delay_alu instid0(VALU_DEP_2) | instskip(NEXT) | instid1(VALU_DEP_1)
	v_or_b32_e32 v15, 0x1000, v1
	v_lshrrev_b32_e32 v16, v3, v15
	s_delay_alu instid0(VALU_DEP_1) | instskip(NEXT) | instid1(VALU_DEP_1)
	v_lshlrev_b32_e32 v3, v3, v16
	v_cmp_ne_u32_e32 vcc_lo, v3, v15
	v_lshl_or_b32 v15, v5, 12, v1
	v_cndmask_b32_e64 v3, 0, 1, vcc_lo
	v_cmp_gt_i32_e32 vcc_lo, 1, v5
	s_delay_alu instid0(VALU_DEP_2) | instskip(NEXT) | instid1(VALU_DEP_1)
	v_or_b32_e32 v3, v16, v3
	v_cndmask_b32_e32 v3, v15, v3, vcc_lo
	s_delay_alu instid0(VALU_DEP_1) | instskip(NEXT) | instid1(VALU_DEP_1)
	v_dual_lshrrev_b32 v3, 2, v3 :: v_dual_bitop2_b32 v15, 7, v3 bitop3:0x40
	v_cmp_lt_i32_e32 vcc_lo, 5, v15
	v_cndmask_b32_e64 v16, 0, 1, vcc_lo
	v_cmp_eq_u32_e32 vcc_lo, 3, v15
	v_cndmask_b32_e64 v15, 0, 1, vcc_lo
	v_cmp_ne_u32_e32 vcc_lo, 0, v1
	s_delay_alu instid0(VALU_DEP_2) | instskip(NEXT) | instid1(VALU_DEP_1)
	v_or_b32_e32 v15, v15, v16
	v_dual_mov_b32 v16, 0x7e00 :: v_dual_add_nc_u32 v3, v3, v15
	s_delay_alu instid0(VALU_DEP_1) | instskip(SKIP_1) | instid1(VALU_DEP_3)
	v_cndmask_b32_e32 v1, 0x7c00, v16, vcc_lo
	v_cmp_gt_i32_e32 vcc_lo, 31, v5
	v_cndmask_b32_e32 v3, 0x7c00, v3, vcc_lo
	v_cmp_eq_u32_e32 vcc_lo, 0x40f, v5
	s_delay_alu instid0(VALU_DEP_2) | instskip(SKIP_1) | instid1(VALU_DEP_1)
	v_cndmask_b32_e32 v1, v3, v1, vcc_lo
	v_lshrrev_b32_e32 v3, 16, v17
	v_and_or_b32 v15, 0x8000, v3, v1
	s_branch .LBB158_2937
.LBB158_2933:
	s_mov_b32 s20, -1
                                        ; implicit-def: $vgpr15
	s_branch .LBB158_2955
.LBB158_2934:
	s_mov_b32 s20, -1
                                        ; implicit-def: $vgpr15
	s_branch .LBB158_2943
.LBB158_2935:
	s_mov_b32 s20, -1
                                        ; implicit-def: $vgpr15
	s_branch .LBB158_2940
.LBB158_2936:
	s_mov_b32 s20, -1
                                        ; implicit-def: $vgpr15
.LBB158_2937:
	s_delay_alu instid0(SALU_CYCLE_1)
	s_and_not1_b32 vcc_lo, exec_lo, s20
	s_cbranch_vccnz .LBB158_2939
; %bb.2938:
	global_load_b32 v1, v[6:7], off
	s_wait_loadcnt 0x0
	v_cvt_f16_f32_e32 v15, v1
.LBB158_2939:
	s_mov_b32 s20, 0
.LBB158_2940:
	s_delay_alu instid0(SALU_CYCLE_1)
	s_and_not1_b32 vcc_lo, exec_lo, s20
	s_cbranch_vccnz .LBB158_2942
; %bb.2941:
	global_load_b32 v15, v[6:7], off
.LBB158_2942:
	s_mov_b32 s20, 0
.LBB158_2943:
	s_delay_alu instid0(SALU_CYCLE_1)
	s_and_not1_b32 vcc_lo, exec_lo, s20
	s_cbranch_vccnz .LBB158_2954
; %bb.2944:
	s_cmp_lt_i32 s15, 6
	s_cbranch_scc1 .LBB158_2947
; %bb.2945:
	s_cmp_gt_i32 s15, 6
	s_cbranch_scc0 .LBB158_2948
; %bb.2946:
	global_load_b64 v[16:17], v[6:7], off
	s_mov_b32 s20, 0
	s_wait_loadcnt 0x0
	v_and_or_b32 v1, 0x1ff, v17, v16
	v_lshrrev_b32_e32 v3, 8, v17
	v_bfe_u32 v5, v17, 20, 11
	s_delay_alu instid0(VALU_DEP_3) | instskip(NEXT) | instid1(VALU_DEP_2)
	v_cmp_ne_u32_e32 vcc_lo, 0, v1
	v_sub_nc_u32_e32 v15, 0x3f1, v5
	v_add_nc_u32_e32 v5, 0xfffffc10, v5
	v_cndmask_b32_e64 v1, 0, 1, vcc_lo
	s_delay_alu instid0(VALU_DEP_1) | instskip(NEXT) | instid1(VALU_DEP_4)
	v_and_or_b32 v1, 0xffe, v3, v1
	v_med3_i32 v3, v15, 0, 13
	s_delay_alu instid0(VALU_DEP_2) | instskip(NEXT) | instid1(VALU_DEP_1)
	v_or_b32_e32 v15, 0x1000, v1
	v_lshrrev_b32_e32 v16, v3, v15
	s_delay_alu instid0(VALU_DEP_1) | instskip(NEXT) | instid1(VALU_DEP_1)
	v_lshlrev_b32_e32 v3, v3, v16
	v_cmp_ne_u32_e32 vcc_lo, v3, v15
	v_lshl_or_b32 v15, v5, 12, v1
	v_cndmask_b32_e64 v3, 0, 1, vcc_lo
	v_cmp_gt_i32_e32 vcc_lo, 1, v5
	s_delay_alu instid0(VALU_DEP_2) | instskip(NEXT) | instid1(VALU_DEP_1)
	v_or_b32_e32 v3, v16, v3
	v_cndmask_b32_e32 v3, v15, v3, vcc_lo
	s_delay_alu instid0(VALU_DEP_1) | instskip(NEXT) | instid1(VALU_DEP_1)
	v_dual_lshrrev_b32 v3, 2, v3 :: v_dual_bitop2_b32 v15, 7, v3 bitop3:0x40
	v_cmp_lt_i32_e32 vcc_lo, 5, v15
	v_cndmask_b32_e64 v16, 0, 1, vcc_lo
	v_cmp_eq_u32_e32 vcc_lo, 3, v15
	v_cndmask_b32_e64 v15, 0, 1, vcc_lo
	v_cmp_ne_u32_e32 vcc_lo, 0, v1
	s_delay_alu instid0(VALU_DEP_2) | instskip(NEXT) | instid1(VALU_DEP_1)
	v_or_b32_e32 v15, v15, v16
	v_dual_mov_b32 v16, 0x7e00 :: v_dual_add_nc_u32 v3, v3, v15
	s_delay_alu instid0(VALU_DEP_1) | instskip(SKIP_1) | instid1(VALU_DEP_3)
	v_cndmask_b32_e32 v1, 0x7c00, v16, vcc_lo
	v_cmp_gt_i32_e32 vcc_lo, 31, v5
	v_cndmask_b32_e32 v3, 0x7c00, v3, vcc_lo
	v_cmp_eq_u32_e32 vcc_lo, 0x40f, v5
	s_delay_alu instid0(VALU_DEP_2) | instskip(SKIP_1) | instid1(VALU_DEP_1)
	v_cndmask_b32_e32 v1, v3, v1, vcc_lo
	v_lshrrev_b32_e32 v3, 16, v17
	v_and_or_b32 v15, 0x8000, v3, v1
	s_branch .LBB158_2949
.LBB158_2947:
	s_mov_b32 s20, -1
                                        ; implicit-def: $vgpr15
	s_branch .LBB158_2952
.LBB158_2948:
	s_mov_b32 s20, -1
                                        ; implicit-def: $vgpr15
.LBB158_2949:
	s_delay_alu instid0(SALU_CYCLE_1)
	s_and_not1_b32 vcc_lo, exec_lo, s20
	s_cbranch_vccnz .LBB158_2951
; %bb.2950:
	global_load_b32 v1, v[6:7], off
	s_wait_loadcnt 0x0
	v_cvt_f16_f32_e32 v15, v1
.LBB158_2951:
	s_mov_b32 s20, 0
.LBB158_2952:
	s_delay_alu instid0(SALU_CYCLE_1)
	s_and_not1_b32 vcc_lo, exec_lo, s20
	s_cbranch_vccnz .LBB158_2954
; %bb.2953:
	s_wait_loadcnt 0x0
	global_load_u16 v15, v[6:7], off
.LBB158_2954:
	s_mov_b32 s20, 0
.LBB158_2955:
	s_delay_alu instid0(SALU_CYCLE_1)
	s_and_not1_b32 vcc_lo, exec_lo, s20
	s_cbranch_vccnz .LBB158_2975
; %bb.2956:
	s_cmp_lt_i32 s15, 2
	s_cbranch_scc1 .LBB158_2960
; %bb.2957:
	s_cmp_lt_i32 s15, 3
	s_cbranch_scc1 .LBB158_2961
; %bb.2958:
	s_cmp_gt_i32 s15, 3
	s_cbranch_scc0 .LBB158_2962
; %bb.2959:
	global_load_b64 v[16:17], v[6:7], off
	s_mov_b32 s20, 0
	s_wait_loadcnt 0x0
	v_xor_b32_e32 v1, v16, v17
	v_cls_i32_e32 v3, v17
	s_delay_alu instid0(VALU_DEP_2) | instskip(NEXT) | instid1(VALU_DEP_1)
	v_ashrrev_i32_e32 v1, 31, v1
	v_add_nc_u32_e32 v1, 32, v1
	s_delay_alu instid0(VALU_DEP_1) | instskip(NEXT) | instid1(VALU_DEP_1)
	v_add_min_u32_e64 v1, v3, -1, v1
	v_lshlrev_b64_e32 v[16:17], v1, v[16:17]
	v_sub_nc_u32_e32 v1, 32, v1
	s_delay_alu instid0(VALU_DEP_2) | instskip(NEXT) | instid1(VALU_DEP_1)
	v_min_u32_e32 v3, 1, v16
	v_or_b32_e32 v3, v17, v3
	s_delay_alu instid0(VALU_DEP_1) | instskip(NEXT) | instid1(VALU_DEP_1)
	v_cvt_f32_i32_e32 v3, v3
	v_ldexp_f32 v1, v3, v1
	s_delay_alu instid0(VALU_DEP_1)
	v_cvt_f16_f32_e32 v15, v1
	s_branch .LBB158_2963
.LBB158_2960:
	s_mov_b32 s20, -1
                                        ; implicit-def: $vgpr15
	s_branch .LBB158_2969
.LBB158_2961:
	s_mov_b32 s20, -1
                                        ; implicit-def: $vgpr15
	s_branch .LBB158_2966
.LBB158_2962:
	s_mov_b32 s20, -1
                                        ; implicit-def: $vgpr15
.LBB158_2963:
	s_delay_alu instid0(SALU_CYCLE_1)
	s_and_not1_b32 vcc_lo, exec_lo, s20
	s_cbranch_vccnz .LBB158_2965
; %bb.2964:
	global_load_b32 v1, v[6:7], off
	s_wait_loadcnt 0x0
	v_cvt_f32_i32_e32 v1, v1
	s_delay_alu instid0(VALU_DEP_1)
	v_cvt_f16_f32_e32 v15, v1
.LBB158_2965:
	s_mov_b32 s20, 0
.LBB158_2966:
	s_delay_alu instid0(SALU_CYCLE_1)
	s_and_not1_b32 vcc_lo, exec_lo, s20
	s_cbranch_vccnz .LBB158_2968
; %bb.2967:
	global_load_u16 v1, v[6:7], off
	s_wait_loadcnt 0x0
	v_cvt_f16_i16_e32 v15, v1
.LBB158_2968:
	s_mov_b32 s20, 0
.LBB158_2969:
	s_delay_alu instid0(SALU_CYCLE_1)
	s_and_not1_b32 vcc_lo, exec_lo, s20
	s_cbranch_vccnz .LBB158_2975
; %bb.2970:
	s_cmp_gt_i32 s15, 0
	s_mov_b32 s15, 0
	s_cbranch_scc0 .LBB158_2972
; %bb.2971:
	global_load_i8 v1, v[6:7], off
	s_wait_loadcnt 0x0
	v_cvt_f16_i16_e32 v15, v1
	s_branch .LBB158_2973
.LBB158_2972:
	s_mov_b32 s15, -1
                                        ; implicit-def: $vgpr15
.LBB158_2973:
	s_delay_alu instid0(SALU_CYCLE_1)
	s_and_not1_b32 vcc_lo, exec_lo, s15
	s_cbranch_vccnz .LBB158_2975
; %bb.2974:
	global_load_u8 v1, v[6:7], off
	s_wait_loadcnt 0x0
	v_cvt_f16_u16_e32 v15, v1
.LBB158_2975:
	s_mov_b32 s22, -1
.LBB158_2976:
	s_delay_alu instid0(SALU_CYCLE_1)
	s_and_not1_b32 vcc_lo, exec_lo, s22
	s_cbranch_vccnz .LBB158_4065
; %bb.2977:
	v_add_nc_u32_e32 v2, s13, v2
	s_cmp_lt_i32 s3, 11
	s_delay_alu instid0(VALU_DEP_1) | instskip(SKIP_1) | instid1(VALU_DEP_1)
	v_ashrrev_i32_e32 v3, 31, v2
	s_wait_xcnt 0x0
	v_add_nc_u64_e32 v[6:7], s[8:9], v[2:3]
	s_cbranch_scc1 .LBB158_2984
; %bb.2978:
	s_and_b32 s15, 0xffff, s3
	s_mov_b32 s21, 0
	s_cmp_gt_i32 s15, 25
	s_cbranch_scc0 .LBB158_2985
; %bb.2979:
	s_cmp_gt_i32 s15, 28
	s_cbranch_scc0 .LBB158_2986
; %bb.2980:
	;; [unrolled: 3-line block ×4, first 2 shown]
	s_cmp_eq_u32 s15, 46
	s_mov_b32 s23, 0
	s_cbranch_scc0 .LBB158_2990
; %bb.2983:
	global_load_b32 v1, v[6:7], off
	s_mov_b32 s20, 0
	s_mov_b32 s22, -1
	s_wait_loadcnt 0x0
	v_lshlrev_b32_e32 v1, 16, v1
	s_delay_alu instid0(VALU_DEP_1)
	v_cvt_f16_f32_e32 v16, v1
	s_branch .LBB158_2992
.LBB158_2984:
	s_mov_b32 s15, -1
	s_mov_b32 s22, 0
                                        ; implicit-def: $vgpr16
	s_branch .LBB158_3058
.LBB158_2985:
	s_mov_b32 s23, -1
	s_mov_b32 s22, 0
	s_mov_b32 s20, 0
                                        ; implicit-def: $vgpr16
	s_branch .LBB158_3021
.LBB158_2986:
	s_mov_b32 s23, -1
	s_mov_b32 s22, 0
	s_mov_b32 s20, 0
                                        ; implicit-def: $vgpr16
	s_branch .LBB158_3002
.LBB158_2987:
	s_mov_b32 s23, -1
	s_mov_b32 s22, 0
	s_mov_b32 s20, 0
                                        ; implicit-def: $vgpr16
	s_branch .LBB158_2997
.LBB158_2988:
	s_or_b32 s16, s16, exec_lo
	s_trap 2
	s_cbranch_execz .LBB158_2925
	s_branch .LBB158_2926
.LBB158_2989:
	s_mov_b32 s23, -1
	s_mov_b32 s22, 0
	s_mov_b32 s20, 0
	s_branch .LBB158_2991
.LBB158_2990:
	s_mov_b32 s20, -1
	s_mov_b32 s22, 0
.LBB158_2991:
                                        ; implicit-def: $vgpr16
.LBB158_2992:
	s_and_b32 vcc_lo, exec_lo, s23
	s_cbranch_vccz .LBB158_2996
; %bb.2993:
	s_cmp_eq_u32 s15, 44
	s_cbranch_scc0 .LBB158_2995
; %bb.2994:
	global_load_u8 v1, v[6:7], off
	s_mov_b32 s20, 0
	s_mov_b32 s22, -1
	s_wait_loadcnt 0x0
	v_lshlrev_b32_e32 v3, 23, v1
	v_cmp_ne_u32_e32 vcc_lo, 0xff, v1
	s_delay_alu instid0(VALU_DEP_2) | instskip(NEXT) | instid1(VALU_DEP_1)
	v_cvt_f16_f32_e32 v3, v3
	v_cndmask_b32_e32 v3, 0x7e00, v3, vcc_lo
	v_cmp_ne_u32_e32 vcc_lo, 0, v1
	s_delay_alu instid0(VALU_DEP_2)
	v_cndmask_b32_e32 v16, 0, v3, vcc_lo
	s_branch .LBB158_2996
.LBB158_2995:
	s_mov_b32 s20, -1
                                        ; implicit-def: $vgpr16
.LBB158_2996:
	s_mov_b32 s23, 0
.LBB158_2997:
	s_delay_alu instid0(SALU_CYCLE_1)
	s_and_b32 vcc_lo, exec_lo, s23
	s_cbranch_vccz .LBB158_3001
; %bb.2998:
	s_cmp_eq_u32 s15, 29
	s_cbranch_scc0 .LBB158_3000
; %bb.2999:
	global_load_b64 v[16:17], v[6:7], off
	s_mov_b32 s20, 0
	s_mov_b32 s22, -1
	s_mov_b32 s23, 0
	s_wait_loadcnt 0x0
	v_clz_i32_u32_e32 v1, v17
	s_delay_alu instid0(VALU_DEP_1) | instskip(NEXT) | instid1(VALU_DEP_1)
	v_min_u32_e32 v1, 32, v1
	v_lshlrev_b64_e32 v[16:17], v1, v[16:17]
	v_sub_nc_u32_e32 v1, 32, v1
	s_delay_alu instid0(VALU_DEP_2) | instskip(NEXT) | instid1(VALU_DEP_1)
	v_min_u32_e32 v3, 1, v16
	v_or_b32_e32 v3, v17, v3
	s_delay_alu instid0(VALU_DEP_1) | instskip(NEXT) | instid1(VALU_DEP_1)
	v_cvt_f32_u32_e32 v3, v3
	v_ldexp_f32 v1, v3, v1
	s_delay_alu instid0(VALU_DEP_1)
	v_cvt_f16_f32_e32 v16, v1
	s_branch .LBB158_3002
.LBB158_3000:
	s_mov_b32 s20, -1
                                        ; implicit-def: $vgpr16
.LBB158_3001:
	s_mov_b32 s23, 0
.LBB158_3002:
	s_delay_alu instid0(SALU_CYCLE_1)
	s_and_b32 vcc_lo, exec_lo, s23
	s_cbranch_vccz .LBB158_3020
; %bb.3003:
	s_cmp_lt_i32 s15, 27
	s_cbranch_scc1 .LBB158_3006
; %bb.3004:
	s_cmp_gt_i32 s15, 27
	s_cbranch_scc0 .LBB158_3007
; %bb.3005:
	global_load_b32 v1, v[6:7], off
	s_mov_b32 s22, 0
	s_wait_loadcnt 0x0
	v_cvt_f32_u32_e32 v1, v1
	s_delay_alu instid0(VALU_DEP_1)
	v_cvt_f16_f32_e32 v16, v1
	s_branch .LBB158_3008
.LBB158_3006:
	s_mov_b32 s22, -1
                                        ; implicit-def: $vgpr16
	s_branch .LBB158_3011
.LBB158_3007:
	s_mov_b32 s22, -1
                                        ; implicit-def: $vgpr16
.LBB158_3008:
	s_delay_alu instid0(SALU_CYCLE_1)
	s_and_not1_b32 vcc_lo, exec_lo, s22
	s_cbranch_vccnz .LBB158_3010
; %bb.3009:
	global_load_u16 v1, v[6:7], off
	s_wait_loadcnt 0x0
	v_cvt_f16_u16_e32 v16, v1
.LBB158_3010:
	s_mov_b32 s22, 0
.LBB158_3011:
	s_delay_alu instid0(SALU_CYCLE_1)
	s_and_not1_b32 vcc_lo, exec_lo, s22
	s_cbranch_vccnz .LBB158_3019
; %bb.3012:
	global_load_u8 v1, v[6:7], off
	s_mov_b32 s22, 0
	s_mov_b32 s23, exec_lo
	s_wait_loadcnt 0x0
	v_cmpx_lt_i16_e32 0x7f, v1
	s_xor_b32 s23, exec_lo, s23
	s_cbranch_execz .LBB158_3033
; %bb.3013:
	s_mov_b32 s22, -1
	s_mov_b32 s24, exec_lo
	v_cmpx_eq_u16_e32 0x80, v1
; %bb.3014:
	s_xor_b32 s22, exec_lo, -1
; %bb.3015:
	s_or_b32 exec_lo, exec_lo, s24
	s_delay_alu instid0(SALU_CYCLE_1)
	s_and_b32 s22, s22, exec_lo
	s_or_saveexec_b32 s23, s23
	v_mov_b32_e32 v16, 0x7e00
	s_xor_b32 exec_lo, exec_lo, s23
	s_cbranch_execnz .LBB158_3034
.LBB158_3016:
	s_or_b32 exec_lo, exec_lo, s23
	s_and_saveexec_b32 s23, s22
	s_cbranch_execz .LBB158_3018
.LBB158_3017:
	v_and_b32_e32 v3, 0xffff, v1
	s_delay_alu instid0(VALU_DEP_1) | instskip(SKIP_1) | instid1(VALU_DEP_2)
	v_and_b32_e32 v5, 7, v3
	v_bfe_u32 v18, v3, 3, 4
	v_clz_i32_u32_e32 v16, v5
	s_delay_alu instid0(VALU_DEP_2) | instskip(NEXT) | instid1(VALU_DEP_2)
	v_cmp_eq_u32_e32 vcc_lo, 0, v18
	v_min_u32_e32 v16, 32, v16
	s_delay_alu instid0(VALU_DEP_1) | instskip(NEXT) | instid1(VALU_DEP_1)
	v_subrev_nc_u32_e32 v17, 28, v16
	v_dual_lshlrev_b32 v3, v17, v3 :: v_dual_sub_nc_u32 v16, 29, v16
	s_delay_alu instid0(VALU_DEP_1) | instskip(NEXT) | instid1(VALU_DEP_1)
	v_dual_lshlrev_b32 v1, 24, v1 :: v_dual_bitop2_b32 v3, 7, v3 bitop3:0x40
	v_dual_cndmask_b32 v16, v18, v16 :: v_dual_cndmask_b32 v3, v5, v3
	s_delay_alu instid0(VALU_DEP_2) | instskip(NEXT) | instid1(VALU_DEP_2)
	v_and_b32_e32 v1, 0x80000000, v1
	v_lshl_add_u32 v5, v16, 23, 0x3b800000
	s_delay_alu instid0(VALU_DEP_3) | instskip(NEXT) | instid1(VALU_DEP_1)
	v_lshlrev_b32_e32 v3, 20, v3
	v_or3_b32 v1, v1, v5, v3
	s_delay_alu instid0(VALU_DEP_1)
	v_cvt_f16_f32_e32 v16, v1
.LBB158_3018:
	s_or_b32 exec_lo, exec_lo, s23
.LBB158_3019:
	s_mov_b32 s22, -1
.LBB158_3020:
	s_mov_b32 s23, 0
.LBB158_3021:
	s_delay_alu instid0(SALU_CYCLE_1)
	s_and_b32 vcc_lo, exec_lo, s23
	s_cbranch_vccz .LBB158_3054
; %bb.3022:
	s_cmp_gt_i32 s15, 22
	s_cbranch_scc0 .LBB158_3032
; %bb.3023:
	s_cmp_lt_i32 s15, 24
	s_cbranch_scc1 .LBB158_3035
; %bb.3024:
	s_cmp_gt_i32 s15, 24
	s_cbranch_scc0 .LBB158_3036
; %bb.3025:
	global_load_u8 v1, v[6:7], off
	s_mov_b32 s22, exec_lo
	s_wait_loadcnt 0x0
	v_cmpx_lt_i16_e32 0x7f, v1
	s_xor_b32 s22, exec_lo, s22
	s_cbranch_execz .LBB158_3048
; %bb.3026:
	s_mov_b32 s21, -1
	s_mov_b32 s23, exec_lo
	v_cmpx_eq_u16_e32 0x80, v1
; %bb.3027:
	s_xor_b32 s21, exec_lo, -1
; %bb.3028:
	s_or_b32 exec_lo, exec_lo, s23
	s_delay_alu instid0(SALU_CYCLE_1)
	s_and_b32 s21, s21, exec_lo
	s_or_saveexec_b32 s22, s22
	v_mov_b32_e32 v16, 0x7e00
	s_xor_b32 exec_lo, exec_lo, s22
	s_cbranch_execnz .LBB158_3049
.LBB158_3029:
	s_or_b32 exec_lo, exec_lo, s22
	s_and_saveexec_b32 s22, s21
	s_cbranch_execz .LBB158_3031
.LBB158_3030:
	v_and_b32_e32 v3, 0xffff, v1
	s_delay_alu instid0(VALU_DEP_1) | instskip(SKIP_1) | instid1(VALU_DEP_2)
	v_and_b32_e32 v5, 3, v3
	v_bfe_u32 v18, v3, 2, 5
	v_clz_i32_u32_e32 v16, v5
	s_delay_alu instid0(VALU_DEP_2) | instskip(NEXT) | instid1(VALU_DEP_2)
	v_cmp_eq_u32_e32 vcc_lo, 0, v18
	v_min_u32_e32 v16, 32, v16
	s_delay_alu instid0(VALU_DEP_1) | instskip(NEXT) | instid1(VALU_DEP_1)
	v_subrev_nc_u32_e32 v17, 29, v16
	v_dual_lshlrev_b32 v3, v17, v3 :: v_dual_sub_nc_u32 v16, 30, v16
	s_delay_alu instid0(VALU_DEP_1) | instskip(NEXT) | instid1(VALU_DEP_1)
	v_dual_lshlrev_b32 v1, 24, v1 :: v_dual_bitop2_b32 v3, 3, v3 bitop3:0x40
	v_dual_cndmask_b32 v16, v18, v16 :: v_dual_cndmask_b32 v3, v5, v3
	s_delay_alu instid0(VALU_DEP_2) | instskip(NEXT) | instid1(VALU_DEP_2)
	v_and_b32_e32 v1, 0x80000000, v1
	v_lshl_add_u32 v5, v16, 23, 0x37800000
	s_delay_alu instid0(VALU_DEP_3) | instskip(NEXT) | instid1(VALU_DEP_1)
	v_lshlrev_b32_e32 v3, 21, v3
	v_or3_b32 v1, v1, v5, v3
	s_delay_alu instid0(VALU_DEP_1)
	v_cvt_f16_f32_e32 v16, v1
.LBB158_3031:
	s_or_b32 exec_lo, exec_lo, s22
	s_mov_b32 s21, 0
	s_branch .LBB158_3037
.LBB158_3032:
	s_mov_b32 s21, -1
                                        ; implicit-def: $vgpr16
	s_branch .LBB158_3043
.LBB158_3033:
	s_or_saveexec_b32 s23, s23
	v_mov_b32_e32 v16, 0x7e00
	s_xor_b32 exec_lo, exec_lo, s23
	s_cbranch_execz .LBB158_3016
.LBB158_3034:
	v_cmp_ne_u16_e32 vcc_lo, 0, v1
	v_mov_b32_e32 v16, v1
	s_and_not1_b32 s22, s22, exec_lo
	s_and_b32 s24, vcc_lo, exec_lo
	s_delay_alu instid0(SALU_CYCLE_1)
	s_or_b32 s22, s22, s24
	s_or_b32 exec_lo, exec_lo, s23
	s_and_saveexec_b32 s23, s22
	s_cbranch_execnz .LBB158_3017
	s_branch .LBB158_3018
.LBB158_3035:
	s_mov_b32 s21, -1
                                        ; implicit-def: $vgpr16
	s_branch .LBB158_3040
.LBB158_3036:
	s_mov_b32 s21, -1
                                        ; implicit-def: $vgpr16
.LBB158_3037:
	s_delay_alu instid0(SALU_CYCLE_1)
	s_and_b32 vcc_lo, exec_lo, s21
	s_cbranch_vccz .LBB158_3039
; %bb.3038:
	global_load_u8 v1, v[6:7], off
	s_wait_loadcnt 0x0
	v_lshlrev_b32_e32 v1, 24, v1
	s_delay_alu instid0(VALU_DEP_1) | instskip(NEXT) | instid1(VALU_DEP_1)
	v_and_b32_e32 v3, 0x7f000000, v1
	v_clz_i32_u32_e32 v5, v3
	v_add_nc_u32_e32 v17, 0x1000000, v3
	v_cmp_ne_u32_e32 vcc_lo, 0, v3
	s_delay_alu instid0(VALU_DEP_3) | instskip(NEXT) | instid1(VALU_DEP_1)
	v_min_u32_e32 v5, 32, v5
	v_sub_nc_u32_e64 v5, v5, 4 clamp
	s_delay_alu instid0(VALU_DEP_1) | instskip(NEXT) | instid1(VALU_DEP_1)
	v_dual_lshlrev_b32 v16, v5, v3 :: v_dual_lshlrev_b32 v5, 23, v5
	v_lshrrev_b32_e32 v16, 4, v16
	s_delay_alu instid0(VALU_DEP_1) | instskip(SKIP_1) | instid1(VALU_DEP_2)
	v_sub_nc_u32_e32 v5, v16, v5
	v_ashrrev_i32_e32 v16, 8, v17
	v_add_nc_u32_e32 v5, 0x3c000000, v5
	s_delay_alu instid0(VALU_DEP_1) | instskip(NEXT) | instid1(VALU_DEP_1)
	v_and_or_b32 v5, 0x7f800000, v16, v5
	v_cndmask_b32_e32 v3, 0, v5, vcc_lo
	s_delay_alu instid0(VALU_DEP_1) | instskip(NEXT) | instid1(VALU_DEP_1)
	v_and_or_b32 v1, 0x80000000, v1, v3
	v_cvt_f16_f32_e32 v16, v1
.LBB158_3039:
	s_mov_b32 s21, 0
.LBB158_3040:
	s_delay_alu instid0(SALU_CYCLE_1)
	s_and_not1_b32 vcc_lo, exec_lo, s21
	s_cbranch_vccnz .LBB158_3042
; %bb.3041:
	global_load_u8 v1, v[6:7], off
	s_wait_loadcnt 0x0
	v_lshlrev_b32_e32 v3, 25, v1
	v_lshlrev_b16 v1, 8, v1
	s_delay_alu instid0(VALU_DEP_1) | instskip(SKIP_1) | instid1(VALU_DEP_2)
	v_and_or_b32 v16, 0x7f00, v1, 0.5
	v_bfe_i32 v1, v1, 0, 16
	v_dual_add_f32 v16, -0.5, v16 :: v_dual_lshrrev_b32 v5, 4, v3
	v_cmp_gt_u32_e32 vcc_lo, 0x8000000, v3
	s_delay_alu instid0(VALU_DEP_2) | instskip(NEXT) | instid1(VALU_DEP_1)
	v_or_b32_e32 v5, 0x70000000, v5
	v_mul_f32_e32 v5, 0x7800000, v5
	s_delay_alu instid0(VALU_DEP_1) | instskip(NEXT) | instid1(VALU_DEP_1)
	v_cndmask_b32_e32 v3, v5, v16, vcc_lo
	v_and_or_b32 v1, 0x80000000, v1, v3
	s_delay_alu instid0(VALU_DEP_1)
	v_cvt_f16_f32_e32 v16, v1
.LBB158_3042:
	s_mov_b32 s21, 0
	s_mov_b32 s22, -1
.LBB158_3043:
	s_and_not1_b32 vcc_lo, exec_lo, s21
	s_mov_b32 s21, 0
	s_cbranch_vccnz .LBB158_3054
; %bb.3044:
	s_cmp_gt_i32 s15, 14
	s_cbranch_scc0 .LBB158_3047
; %bb.3045:
	s_cmp_eq_u32 s15, 15
	s_cbranch_scc0 .LBB158_3050
; %bb.3046:
	global_load_u16 v1, v[6:7], off
	s_mov_b32 s20, 0
	s_mov_b32 s22, -1
	s_wait_loadcnt 0x0
	v_lshlrev_b32_e32 v1, 16, v1
	s_delay_alu instid0(VALU_DEP_1)
	v_cvt_f16_f32_e32 v16, v1
	s_branch .LBB158_3052
.LBB158_3047:
	s_mov_b32 s21, -1
	s_branch .LBB158_3051
.LBB158_3048:
	s_or_saveexec_b32 s22, s22
	v_mov_b32_e32 v16, 0x7e00
	s_xor_b32 exec_lo, exec_lo, s22
	s_cbranch_execz .LBB158_3029
.LBB158_3049:
	v_cmp_ne_u16_e32 vcc_lo, 0, v1
	v_mov_b32_e32 v16, v1
	s_and_not1_b32 s21, s21, exec_lo
	s_and_b32 s23, vcc_lo, exec_lo
	s_delay_alu instid0(SALU_CYCLE_1)
	s_or_b32 s21, s21, s23
	s_or_b32 exec_lo, exec_lo, s22
	s_and_saveexec_b32 s22, s21
	s_cbranch_execnz .LBB158_3030
	s_branch .LBB158_3031
.LBB158_3050:
	s_mov_b32 s20, -1
.LBB158_3051:
                                        ; implicit-def: $vgpr16
.LBB158_3052:
	s_and_b32 vcc_lo, exec_lo, s21
	s_mov_b32 s21, 0
	s_cbranch_vccz .LBB158_3054
; %bb.3053:
	s_cmp_lg_u32 s15, 11
	s_mov_b32 s21, -1
	s_cselect_b32 s20, -1, 0
.LBB158_3054:
	s_delay_alu instid0(SALU_CYCLE_1)
	s_and_b32 vcc_lo, exec_lo, s20
	s_cbranch_vccnz .LBB158_3119
; %bb.3055:
	s_and_not1_b32 vcc_lo, exec_lo, s21
	s_cbranch_vccnz .LBB158_3057
.LBB158_3056:
	global_load_u8 v1, v[6:7], off
	s_mov_b32 s22, -1
	s_wait_loadcnt 0x0
	v_cmp_ne_u16_e32 vcc_lo, 0, v1
	v_cndmask_b32_e64 v16, 0, 0x3c00, vcc_lo
.LBB158_3057:
	s_mov_b32 s15, 0
.LBB158_3058:
	s_delay_alu instid0(SALU_CYCLE_1)
	s_and_b32 vcc_lo, exec_lo, s15
	s_cbranch_vccz .LBB158_3107
; %bb.3059:
	s_and_b32 s15, 0xffff, s3
	s_delay_alu instid0(SALU_CYCLE_1)
	s_cmp_lt_i32 s15, 5
	s_cbranch_scc1 .LBB158_3064
; %bb.3060:
	s_cmp_lt_i32 s15, 8
	s_cbranch_scc1 .LBB158_3065
; %bb.3061:
	s_cmp_lt_i32 s15, 9
	s_cbranch_scc1 .LBB158_3066
; %bb.3062:
	s_cmp_gt_i32 s15, 9
	s_cbranch_scc0 .LBB158_3067
; %bb.3063:
	global_load_b64 v[16:17], v[6:7], off
	s_mov_b32 s20, 0
	s_wait_loadcnt 0x0
	v_and_or_b32 v1, 0x1ff, v17, v16
	v_lshrrev_b32_e32 v3, 8, v17
	v_bfe_u32 v5, v17, 20, 11
	s_delay_alu instid0(VALU_DEP_3) | instskip(NEXT) | instid1(VALU_DEP_2)
	v_cmp_ne_u32_e32 vcc_lo, 0, v1
	v_sub_nc_u32_e32 v16, 0x3f1, v5
	v_add_nc_u32_e32 v5, 0xfffffc10, v5
	v_cndmask_b32_e64 v1, 0, 1, vcc_lo
	s_delay_alu instid0(VALU_DEP_1) | instskip(NEXT) | instid1(VALU_DEP_4)
	v_and_or_b32 v1, 0xffe, v3, v1
	v_med3_i32 v3, v16, 0, 13
	s_delay_alu instid0(VALU_DEP_2) | instskip(NEXT) | instid1(VALU_DEP_1)
	v_or_b32_e32 v16, 0x1000, v1
	v_lshrrev_b32_e32 v18, v3, v16
	s_delay_alu instid0(VALU_DEP_1) | instskip(NEXT) | instid1(VALU_DEP_1)
	v_lshlrev_b32_e32 v3, v3, v18
	v_cmp_ne_u32_e32 vcc_lo, v3, v16
	v_lshl_or_b32 v16, v5, 12, v1
	v_cndmask_b32_e64 v3, 0, 1, vcc_lo
	v_cmp_gt_i32_e32 vcc_lo, 1, v5
	s_delay_alu instid0(VALU_DEP_2) | instskip(NEXT) | instid1(VALU_DEP_1)
	v_or_b32_e32 v3, v18, v3
	v_cndmask_b32_e32 v3, v16, v3, vcc_lo
	s_delay_alu instid0(VALU_DEP_1) | instskip(NEXT) | instid1(VALU_DEP_1)
	v_dual_lshrrev_b32 v3, 2, v3 :: v_dual_bitop2_b32 v16, 7, v3 bitop3:0x40
	v_cmp_lt_i32_e32 vcc_lo, 5, v16
	v_cndmask_b32_e64 v18, 0, 1, vcc_lo
	v_cmp_eq_u32_e32 vcc_lo, 3, v16
	v_cndmask_b32_e64 v16, 0, 1, vcc_lo
	v_cmp_ne_u32_e32 vcc_lo, 0, v1
	s_delay_alu instid0(VALU_DEP_2) | instskip(NEXT) | instid1(VALU_DEP_1)
	v_or_b32_e32 v16, v16, v18
	v_dual_mov_b32 v18, 0x7e00 :: v_dual_add_nc_u32 v3, v3, v16
	s_delay_alu instid0(VALU_DEP_1) | instskip(SKIP_1) | instid1(VALU_DEP_3)
	v_cndmask_b32_e32 v1, 0x7c00, v18, vcc_lo
	v_cmp_gt_i32_e32 vcc_lo, 31, v5
	v_cndmask_b32_e32 v3, 0x7c00, v3, vcc_lo
	v_cmp_eq_u32_e32 vcc_lo, 0x40f, v5
	s_delay_alu instid0(VALU_DEP_2) | instskip(SKIP_1) | instid1(VALU_DEP_1)
	v_cndmask_b32_e32 v1, v3, v1, vcc_lo
	v_lshrrev_b32_e32 v3, 16, v17
	v_and_or_b32 v16, 0x8000, v3, v1
	s_branch .LBB158_3068
.LBB158_3064:
	s_mov_b32 s20, -1
                                        ; implicit-def: $vgpr16
	s_branch .LBB158_3086
.LBB158_3065:
	s_mov_b32 s20, -1
                                        ; implicit-def: $vgpr16
	s_branch .LBB158_3074
.LBB158_3066:
	s_mov_b32 s20, -1
                                        ; implicit-def: $vgpr16
	s_branch .LBB158_3071
.LBB158_3067:
	s_mov_b32 s20, -1
                                        ; implicit-def: $vgpr16
.LBB158_3068:
	s_delay_alu instid0(SALU_CYCLE_1)
	s_and_not1_b32 vcc_lo, exec_lo, s20
	s_cbranch_vccnz .LBB158_3070
; %bb.3069:
	global_load_b32 v1, v[6:7], off
	s_wait_loadcnt 0x0
	v_cvt_f16_f32_e32 v16, v1
.LBB158_3070:
	s_mov_b32 s20, 0
.LBB158_3071:
	s_delay_alu instid0(SALU_CYCLE_1)
	s_and_not1_b32 vcc_lo, exec_lo, s20
	s_cbranch_vccnz .LBB158_3073
; %bb.3072:
	global_load_b32 v16, v[6:7], off
.LBB158_3073:
	s_mov_b32 s20, 0
.LBB158_3074:
	s_delay_alu instid0(SALU_CYCLE_1)
	s_and_not1_b32 vcc_lo, exec_lo, s20
	s_cbranch_vccnz .LBB158_3085
; %bb.3075:
	s_cmp_lt_i32 s15, 6
	s_cbranch_scc1 .LBB158_3078
; %bb.3076:
	s_cmp_gt_i32 s15, 6
	s_cbranch_scc0 .LBB158_3079
; %bb.3077:
	s_wait_loadcnt 0x0
	global_load_b64 v[16:17], v[6:7], off
	s_mov_b32 s20, 0
	s_wait_loadcnt 0x0
	v_and_or_b32 v1, 0x1ff, v17, v16
	v_lshrrev_b32_e32 v3, 8, v17
	v_bfe_u32 v5, v17, 20, 11
	s_delay_alu instid0(VALU_DEP_3) | instskip(NEXT) | instid1(VALU_DEP_2)
	v_cmp_ne_u32_e32 vcc_lo, 0, v1
	v_sub_nc_u32_e32 v16, 0x3f1, v5
	v_add_nc_u32_e32 v5, 0xfffffc10, v5
	v_cndmask_b32_e64 v1, 0, 1, vcc_lo
	s_delay_alu instid0(VALU_DEP_1) | instskip(NEXT) | instid1(VALU_DEP_4)
	v_and_or_b32 v1, 0xffe, v3, v1
	v_med3_i32 v3, v16, 0, 13
	s_delay_alu instid0(VALU_DEP_2) | instskip(NEXT) | instid1(VALU_DEP_1)
	v_or_b32_e32 v16, 0x1000, v1
	v_lshrrev_b32_e32 v18, v3, v16
	s_delay_alu instid0(VALU_DEP_1) | instskip(NEXT) | instid1(VALU_DEP_1)
	v_lshlrev_b32_e32 v3, v3, v18
	v_cmp_ne_u32_e32 vcc_lo, v3, v16
	v_lshl_or_b32 v16, v5, 12, v1
	v_cndmask_b32_e64 v3, 0, 1, vcc_lo
	v_cmp_gt_i32_e32 vcc_lo, 1, v5
	s_delay_alu instid0(VALU_DEP_2) | instskip(NEXT) | instid1(VALU_DEP_1)
	v_or_b32_e32 v3, v18, v3
	v_cndmask_b32_e32 v3, v16, v3, vcc_lo
	s_delay_alu instid0(VALU_DEP_1) | instskip(NEXT) | instid1(VALU_DEP_1)
	v_dual_lshrrev_b32 v3, 2, v3 :: v_dual_bitop2_b32 v16, 7, v3 bitop3:0x40
	v_cmp_lt_i32_e32 vcc_lo, 5, v16
	v_cndmask_b32_e64 v18, 0, 1, vcc_lo
	v_cmp_eq_u32_e32 vcc_lo, 3, v16
	v_cndmask_b32_e64 v16, 0, 1, vcc_lo
	v_cmp_ne_u32_e32 vcc_lo, 0, v1
	s_delay_alu instid0(VALU_DEP_2) | instskip(NEXT) | instid1(VALU_DEP_1)
	v_or_b32_e32 v16, v16, v18
	v_dual_mov_b32 v18, 0x7e00 :: v_dual_add_nc_u32 v3, v3, v16
	s_delay_alu instid0(VALU_DEP_1) | instskip(SKIP_1) | instid1(VALU_DEP_3)
	v_cndmask_b32_e32 v1, 0x7c00, v18, vcc_lo
	v_cmp_gt_i32_e32 vcc_lo, 31, v5
	v_cndmask_b32_e32 v3, 0x7c00, v3, vcc_lo
	v_cmp_eq_u32_e32 vcc_lo, 0x40f, v5
	s_delay_alu instid0(VALU_DEP_2) | instskip(SKIP_1) | instid1(VALU_DEP_1)
	v_cndmask_b32_e32 v1, v3, v1, vcc_lo
	v_lshrrev_b32_e32 v3, 16, v17
	v_and_or_b32 v16, 0x8000, v3, v1
	s_branch .LBB158_3080
.LBB158_3078:
	s_mov_b32 s20, -1
                                        ; implicit-def: $vgpr16
	s_branch .LBB158_3083
.LBB158_3079:
	s_mov_b32 s20, -1
                                        ; implicit-def: $vgpr16
.LBB158_3080:
	s_delay_alu instid0(SALU_CYCLE_1)
	s_and_not1_b32 vcc_lo, exec_lo, s20
	s_cbranch_vccnz .LBB158_3082
; %bb.3081:
	global_load_b32 v1, v[6:7], off
	s_wait_loadcnt 0x0
	v_cvt_f16_f32_e32 v16, v1
.LBB158_3082:
	s_mov_b32 s20, 0
.LBB158_3083:
	s_delay_alu instid0(SALU_CYCLE_1)
	s_and_not1_b32 vcc_lo, exec_lo, s20
	s_cbranch_vccnz .LBB158_3085
; %bb.3084:
	s_wait_loadcnt 0x0
	global_load_u16 v16, v[6:7], off
.LBB158_3085:
	s_mov_b32 s20, 0
.LBB158_3086:
	s_delay_alu instid0(SALU_CYCLE_1)
	s_and_not1_b32 vcc_lo, exec_lo, s20
	s_cbranch_vccnz .LBB158_3106
; %bb.3087:
	s_cmp_lt_i32 s15, 2
	s_cbranch_scc1 .LBB158_3091
; %bb.3088:
	s_cmp_lt_i32 s15, 3
	s_cbranch_scc1 .LBB158_3092
; %bb.3089:
	s_cmp_gt_i32 s15, 3
	s_cbranch_scc0 .LBB158_3093
; %bb.3090:
	s_wait_loadcnt 0x0
	global_load_b64 v[16:17], v[6:7], off
	s_mov_b32 s20, 0
	s_wait_loadcnt 0x0
	v_xor_b32_e32 v1, v16, v17
	v_cls_i32_e32 v3, v17
	s_delay_alu instid0(VALU_DEP_2) | instskip(NEXT) | instid1(VALU_DEP_1)
	v_ashrrev_i32_e32 v1, 31, v1
	v_add_nc_u32_e32 v1, 32, v1
	s_delay_alu instid0(VALU_DEP_1) | instskip(NEXT) | instid1(VALU_DEP_1)
	v_add_min_u32_e64 v1, v3, -1, v1
	v_lshlrev_b64_e32 v[16:17], v1, v[16:17]
	v_sub_nc_u32_e32 v1, 32, v1
	s_delay_alu instid0(VALU_DEP_2) | instskip(NEXT) | instid1(VALU_DEP_1)
	v_min_u32_e32 v3, 1, v16
	v_or_b32_e32 v3, v17, v3
	s_delay_alu instid0(VALU_DEP_1) | instskip(NEXT) | instid1(VALU_DEP_1)
	v_cvt_f32_i32_e32 v3, v3
	v_ldexp_f32 v1, v3, v1
	s_delay_alu instid0(VALU_DEP_1)
	v_cvt_f16_f32_e32 v16, v1
	s_branch .LBB158_3094
.LBB158_3091:
	s_mov_b32 s20, -1
                                        ; implicit-def: $vgpr16
	s_branch .LBB158_3100
.LBB158_3092:
	s_mov_b32 s20, -1
                                        ; implicit-def: $vgpr16
	s_branch .LBB158_3097
.LBB158_3093:
	s_mov_b32 s20, -1
                                        ; implicit-def: $vgpr16
.LBB158_3094:
	s_delay_alu instid0(SALU_CYCLE_1)
	s_and_not1_b32 vcc_lo, exec_lo, s20
	s_cbranch_vccnz .LBB158_3096
; %bb.3095:
	global_load_b32 v1, v[6:7], off
	s_wait_loadcnt 0x0
	v_cvt_f32_i32_e32 v1, v1
	s_delay_alu instid0(VALU_DEP_1)
	v_cvt_f16_f32_e32 v16, v1
.LBB158_3096:
	s_mov_b32 s20, 0
.LBB158_3097:
	s_delay_alu instid0(SALU_CYCLE_1)
	s_and_not1_b32 vcc_lo, exec_lo, s20
	s_cbranch_vccnz .LBB158_3099
; %bb.3098:
	global_load_u16 v1, v[6:7], off
	s_wait_loadcnt 0x0
	v_cvt_f16_i16_e32 v16, v1
.LBB158_3099:
	s_mov_b32 s20, 0
.LBB158_3100:
	s_delay_alu instid0(SALU_CYCLE_1)
	s_and_not1_b32 vcc_lo, exec_lo, s20
	s_cbranch_vccnz .LBB158_3106
; %bb.3101:
	s_cmp_gt_i32 s15, 0
	s_mov_b32 s15, 0
	s_cbranch_scc0 .LBB158_3103
; %bb.3102:
	global_load_i8 v1, v[6:7], off
	s_wait_loadcnt 0x0
	v_cvt_f16_i16_e32 v16, v1
	s_branch .LBB158_3104
.LBB158_3103:
	s_mov_b32 s15, -1
                                        ; implicit-def: $vgpr16
.LBB158_3104:
	s_delay_alu instid0(SALU_CYCLE_1)
	s_and_not1_b32 vcc_lo, exec_lo, s15
	s_cbranch_vccnz .LBB158_3106
; %bb.3105:
	global_load_u8 v1, v[6:7], off
	s_wait_loadcnt 0x0
	v_cvt_f16_u16_e32 v16, v1
.LBB158_3106:
	s_mov_b32 s22, -1
.LBB158_3107:
	s_delay_alu instid0(SALU_CYCLE_1)
	s_and_not1_b32 vcc_lo, exec_lo, s22
	s_cbranch_vccnz .LBB158_4065
; %bb.3108:
	v_add_nc_u32_e32 v4, s14, v4
	s_cmp_lt_i32 s0, 11
	s_delay_alu instid0(VALU_DEP_1) | instskip(SKIP_1) | instid1(VALU_DEP_1)
	v_ashrrev_i32_e32 v5, 31, v4
	s_wait_xcnt 0x0
	v_add_nc_u64_e32 v[6:7], s[10:11], v[4:5]
	s_cbranch_scc1 .LBB158_3115
; %bb.3109:
	s_cmp_gt_i32 s0, 25
	s_mov_b32 s20, 0
	s_cbranch_scc0 .LBB158_3116
; %bb.3110:
	s_cmp_gt_i32 s0, 28
	s_cbranch_scc0 .LBB158_3117
; %bb.3111:
	s_cmp_gt_i32 s0, 43
	;; [unrolled: 3-line block ×3, first 2 shown]
	s_cbranch_scc0 .LBB158_3120
; %bb.3113:
	s_cmp_eq_u32 s0, 46
	s_mov_b32 s22, 0
	s_cbranch_scc0 .LBB158_3121
; %bb.3114:
	global_load_b32 v1, v[6:7], off
	s_mov_b32 s15, 0
	s_mov_b32 s21, -1
	s_wait_loadcnt 0x0
	v_lshlrev_b32_e32 v1, 16, v1
	s_delay_alu instid0(VALU_DEP_1)
	v_cvt_f16_f32_e32 v5, v1
	s_branch .LBB158_3123
.LBB158_3115:
	s_mov_b32 s15, -1
	s_mov_b32 s21, 0
                                        ; implicit-def: $vgpr5
	s_branch .LBB158_3189
.LBB158_3116:
	s_mov_b32 s22, -1
	s_mov_b32 s21, 0
	s_mov_b32 s15, 0
                                        ; implicit-def: $vgpr5
	s_branch .LBB158_3152
.LBB158_3117:
	s_mov_b32 s22, -1
	s_mov_b32 s21, 0
	s_mov_b32 s15, 0
                                        ; implicit-def: $vgpr5
	s_branch .LBB158_3133
.LBB158_3118:
	s_mov_b32 s22, -1
	s_mov_b32 s21, 0
	s_mov_b32 s15, 0
                                        ; implicit-def: $vgpr5
	s_branch .LBB158_3128
.LBB158_3119:
	s_or_b32 s16, s16, exec_lo
	s_trap 2
	s_cbranch_execz .LBB158_3056
	s_branch .LBB158_3057
.LBB158_3120:
	s_mov_b32 s22, -1
	s_mov_b32 s21, 0
	s_mov_b32 s15, 0
	s_branch .LBB158_3122
.LBB158_3121:
	s_mov_b32 s15, -1
	s_mov_b32 s21, 0
.LBB158_3122:
                                        ; implicit-def: $vgpr5
.LBB158_3123:
	s_and_b32 vcc_lo, exec_lo, s22
	s_cbranch_vccz .LBB158_3127
; %bb.3124:
	s_cmp_eq_u32 s0, 44
	s_cbranch_scc0 .LBB158_3126
; %bb.3125:
	global_load_u8 v1, v[6:7], off
	s_mov_b32 s15, 0
	s_mov_b32 s21, -1
	s_wait_loadcnt 0x0
	v_lshlrev_b32_e32 v3, 23, v1
	v_cmp_ne_u32_e32 vcc_lo, 0xff, v1
	s_delay_alu instid0(VALU_DEP_2) | instskip(NEXT) | instid1(VALU_DEP_1)
	v_cvt_f16_f32_e32 v3, v3
	v_cndmask_b32_e32 v3, 0x7e00, v3, vcc_lo
	v_cmp_ne_u32_e32 vcc_lo, 0, v1
	s_delay_alu instid0(VALU_DEP_2)
	v_cndmask_b32_e32 v5, 0, v3, vcc_lo
	s_branch .LBB158_3127
.LBB158_3126:
	s_mov_b32 s15, -1
                                        ; implicit-def: $vgpr5
.LBB158_3127:
	s_mov_b32 s22, 0
.LBB158_3128:
	s_delay_alu instid0(SALU_CYCLE_1)
	s_and_b32 vcc_lo, exec_lo, s22
	s_cbranch_vccz .LBB158_3132
; %bb.3129:
	s_cmp_eq_u32 s0, 29
	s_cbranch_scc0 .LBB158_3131
; %bb.3130:
	global_load_b64 v[18:19], v[6:7], off
	s_mov_b32 s15, 0
	s_mov_b32 s21, -1
	s_mov_b32 s22, 0
	s_wait_loadcnt 0x0
	v_clz_i32_u32_e32 v1, v19
	s_delay_alu instid0(VALU_DEP_1) | instskip(NEXT) | instid1(VALU_DEP_1)
	v_min_u32_e32 v1, 32, v1
	v_lshlrev_b64_e32 v[18:19], v1, v[18:19]
	v_sub_nc_u32_e32 v1, 32, v1
	s_delay_alu instid0(VALU_DEP_2) | instskip(NEXT) | instid1(VALU_DEP_1)
	v_min_u32_e32 v3, 1, v18
	v_or_b32_e32 v3, v19, v3
	s_delay_alu instid0(VALU_DEP_1) | instskip(NEXT) | instid1(VALU_DEP_1)
	v_cvt_f32_u32_e32 v3, v3
	v_ldexp_f32 v1, v3, v1
	s_delay_alu instid0(VALU_DEP_1)
	v_cvt_f16_f32_e32 v5, v1
	s_branch .LBB158_3133
.LBB158_3131:
	s_mov_b32 s15, -1
                                        ; implicit-def: $vgpr5
.LBB158_3132:
	s_mov_b32 s22, 0
.LBB158_3133:
	s_delay_alu instid0(SALU_CYCLE_1)
	s_and_b32 vcc_lo, exec_lo, s22
	s_cbranch_vccz .LBB158_3151
; %bb.3134:
	s_cmp_lt_i32 s0, 27
	s_cbranch_scc1 .LBB158_3137
; %bb.3135:
	s_cmp_gt_i32 s0, 27
	s_cbranch_scc0 .LBB158_3138
; %bb.3136:
	global_load_b32 v1, v[6:7], off
	s_mov_b32 s21, 0
	s_wait_loadcnt 0x0
	v_cvt_f32_u32_e32 v1, v1
	s_delay_alu instid0(VALU_DEP_1)
	v_cvt_f16_f32_e32 v5, v1
	s_branch .LBB158_3139
.LBB158_3137:
	s_mov_b32 s21, -1
                                        ; implicit-def: $vgpr5
	s_branch .LBB158_3142
.LBB158_3138:
	s_mov_b32 s21, -1
                                        ; implicit-def: $vgpr5
.LBB158_3139:
	s_delay_alu instid0(SALU_CYCLE_1)
	s_and_not1_b32 vcc_lo, exec_lo, s21
	s_cbranch_vccnz .LBB158_3141
; %bb.3140:
	global_load_u16 v1, v[6:7], off
	s_wait_loadcnt 0x0
	v_cvt_f16_u16_e32 v5, v1
.LBB158_3141:
	s_mov_b32 s21, 0
.LBB158_3142:
	s_delay_alu instid0(SALU_CYCLE_1)
	s_and_not1_b32 vcc_lo, exec_lo, s21
	s_cbranch_vccnz .LBB158_3150
; %bb.3143:
	global_load_u8 v1, v[6:7], off
	s_mov_b32 s21, 0
	s_mov_b32 s22, exec_lo
	s_wait_loadcnt 0x0
	v_cmpx_lt_i16_e32 0x7f, v1
	s_xor_b32 s22, exec_lo, s22
	s_cbranch_execz .LBB158_3164
; %bb.3144:
	s_mov_b32 s21, -1
	s_mov_b32 s23, exec_lo
	v_cmpx_eq_u16_e32 0x80, v1
; %bb.3145:
	s_xor_b32 s21, exec_lo, -1
; %bb.3146:
	s_or_b32 exec_lo, exec_lo, s23
	s_delay_alu instid0(SALU_CYCLE_1)
	s_and_b32 s21, s21, exec_lo
	s_or_saveexec_b32 s22, s22
	v_mov_b32_e32 v5, 0x7e00
	s_xor_b32 exec_lo, exec_lo, s22
	s_cbranch_execnz .LBB158_3165
.LBB158_3147:
	s_or_b32 exec_lo, exec_lo, s22
	s_and_saveexec_b32 s22, s21
	s_cbranch_execz .LBB158_3149
.LBB158_3148:
	v_and_b32_e32 v3, 0xffff, v1
	s_delay_alu instid0(VALU_DEP_1) | instskip(SKIP_1) | instid1(VALU_DEP_2)
	v_and_b32_e32 v5, 7, v3
	v_bfe_u32 v19, v3, 3, 4
	v_clz_i32_u32_e32 v17, v5
	s_delay_alu instid0(VALU_DEP_2) | instskip(NEXT) | instid1(VALU_DEP_2)
	v_cmp_eq_u32_e32 vcc_lo, 0, v19
	v_min_u32_e32 v17, 32, v17
	s_delay_alu instid0(VALU_DEP_1) | instskip(NEXT) | instid1(VALU_DEP_1)
	v_subrev_nc_u32_e32 v18, 28, v17
	v_dual_lshlrev_b32 v3, v18, v3 :: v_dual_sub_nc_u32 v17, 29, v17
	s_delay_alu instid0(VALU_DEP_1) | instskip(NEXT) | instid1(VALU_DEP_1)
	v_dual_lshlrev_b32 v1, 24, v1 :: v_dual_bitop2_b32 v3, 7, v3 bitop3:0x40
	v_dual_cndmask_b32 v3, v5, v3, vcc_lo :: v_dual_cndmask_b32 v17, v19, v17, vcc_lo
	s_delay_alu instid0(VALU_DEP_2) | instskip(NEXT) | instid1(VALU_DEP_2)
	v_and_b32_e32 v1, 0x80000000, v1
	v_lshlrev_b32_e32 v3, 20, v3
	s_delay_alu instid0(VALU_DEP_3) | instskip(NEXT) | instid1(VALU_DEP_1)
	v_lshl_add_u32 v5, v17, 23, 0x3b800000
	v_or3_b32 v1, v1, v5, v3
	s_delay_alu instid0(VALU_DEP_1)
	v_cvt_f16_f32_e32 v5, v1
.LBB158_3149:
	s_or_b32 exec_lo, exec_lo, s22
.LBB158_3150:
	s_mov_b32 s21, -1
.LBB158_3151:
	s_mov_b32 s22, 0
.LBB158_3152:
	s_delay_alu instid0(SALU_CYCLE_1)
	s_and_b32 vcc_lo, exec_lo, s22
	s_cbranch_vccz .LBB158_3185
; %bb.3153:
	s_cmp_gt_i32 s0, 22
	s_cbranch_scc0 .LBB158_3163
; %bb.3154:
	s_cmp_lt_i32 s0, 24
	s_cbranch_scc1 .LBB158_3166
; %bb.3155:
	s_cmp_gt_i32 s0, 24
	s_cbranch_scc0 .LBB158_3167
; %bb.3156:
	global_load_u8 v1, v[6:7], off
	s_mov_b32 s21, exec_lo
	s_wait_loadcnt 0x0
	v_cmpx_lt_i16_e32 0x7f, v1
	s_xor_b32 s21, exec_lo, s21
	s_cbranch_execz .LBB158_3179
; %bb.3157:
	s_mov_b32 s20, -1
	s_mov_b32 s22, exec_lo
	v_cmpx_eq_u16_e32 0x80, v1
; %bb.3158:
	s_xor_b32 s20, exec_lo, -1
; %bb.3159:
	s_or_b32 exec_lo, exec_lo, s22
	s_delay_alu instid0(SALU_CYCLE_1)
	s_and_b32 s20, s20, exec_lo
	s_or_saveexec_b32 s21, s21
	v_mov_b32_e32 v5, 0x7e00
	s_xor_b32 exec_lo, exec_lo, s21
	s_cbranch_execnz .LBB158_3180
.LBB158_3160:
	s_or_b32 exec_lo, exec_lo, s21
	s_and_saveexec_b32 s21, s20
	s_cbranch_execz .LBB158_3162
.LBB158_3161:
	v_and_b32_e32 v3, 0xffff, v1
	s_delay_alu instid0(VALU_DEP_1) | instskip(SKIP_1) | instid1(VALU_DEP_2)
	v_and_b32_e32 v5, 3, v3
	v_bfe_u32 v19, v3, 2, 5
	v_clz_i32_u32_e32 v17, v5
	s_delay_alu instid0(VALU_DEP_2) | instskip(NEXT) | instid1(VALU_DEP_2)
	v_cmp_eq_u32_e32 vcc_lo, 0, v19
	v_min_u32_e32 v17, 32, v17
	s_delay_alu instid0(VALU_DEP_1) | instskip(NEXT) | instid1(VALU_DEP_1)
	v_subrev_nc_u32_e32 v18, 29, v17
	v_dual_lshlrev_b32 v3, v18, v3 :: v_dual_sub_nc_u32 v17, 30, v17
	s_delay_alu instid0(VALU_DEP_1) | instskip(NEXT) | instid1(VALU_DEP_1)
	v_dual_lshlrev_b32 v1, 24, v1 :: v_dual_bitop2_b32 v3, 3, v3 bitop3:0x40
	v_dual_cndmask_b32 v3, v5, v3, vcc_lo :: v_dual_cndmask_b32 v17, v19, v17, vcc_lo
	s_delay_alu instid0(VALU_DEP_2) | instskip(NEXT) | instid1(VALU_DEP_2)
	v_and_b32_e32 v1, 0x80000000, v1
	v_lshlrev_b32_e32 v3, 21, v3
	s_delay_alu instid0(VALU_DEP_3) | instskip(NEXT) | instid1(VALU_DEP_1)
	v_lshl_add_u32 v5, v17, 23, 0x37800000
	v_or3_b32 v1, v1, v5, v3
	s_delay_alu instid0(VALU_DEP_1)
	v_cvt_f16_f32_e32 v5, v1
.LBB158_3162:
	s_or_b32 exec_lo, exec_lo, s21
	s_mov_b32 s20, 0
	s_branch .LBB158_3168
.LBB158_3163:
	s_mov_b32 s20, -1
                                        ; implicit-def: $vgpr5
	s_branch .LBB158_3174
.LBB158_3164:
	s_or_saveexec_b32 s22, s22
	v_mov_b32_e32 v5, 0x7e00
	s_xor_b32 exec_lo, exec_lo, s22
	s_cbranch_execz .LBB158_3147
.LBB158_3165:
	v_cmp_ne_u16_e32 vcc_lo, 0, v1
	v_mov_b32_e32 v5, v1
	s_and_not1_b32 s21, s21, exec_lo
	s_and_b32 s23, vcc_lo, exec_lo
	s_delay_alu instid0(SALU_CYCLE_1)
	s_or_b32 s21, s21, s23
	s_or_b32 exec_lo, exec_lo, s22
	s_and_saveexec_b32 s22, s21
	s_cbranch_execnz .LBB158_3148
	s_branch .LBB158_3149
.LBB158_3166:
	s_mov_b32 s20, -1
                                        ; implicit-def: $vgpr5
	s_branch .LBB158_3171
.LBB158_3167:
	s_mov_b32 s20, -1
                                        ; implicit-def: $vgpr5
.LBB158_3168:
	s_delay_alu instid0(SALU_CYCLE_1)
	s_and_b32 vcc_lo, exec_lo, s20
	s_cbranch_vccz .LBB158_3170
; %bb.3169:
	global_load_u8 v1, v[6:7], off
	s_wait_loadcnt 0x0
	v_lshlrev_b32_e32 v1, 24, v1
	s_delay_alu instid0(VALU_DEP_1) | instskip(NEXT) | instid1(VALU_DEP_1)
	v_and_b32_e32 v3, 0x7f000000, v1
	v_clz_i32_u32_e32 v5, v3
	v_cmp_ne_u32_e32 vcc_lo, 0, v3
	v_add_nc_u32_e32 v18, 0x1000000, v3
	s_delay_alu instid0(VALU_DEP_3) | instskip(NEXT) | instid1(VALU_DEP_1)
	v_min_u32_e32 v5, 32, v5
	v_sub_nc_u32_e64 v5, v5, 4 clamp
	s_delay_alu instid0(VALU_DEP_1) | instskip(NEXT) | instid1(VALU_DEP_1)
	v_dual_lshlrev_b32 v17, v5, v3 :: v_dual_lshlrev_b32 v5, 23, v5
	v_lshrrev_b32_e32 v17, 4, v17
	s_delay_alu instid0(VALU_DEP_1) | instskip(NEXT) | instid1(VALU_DEP_1)
	v_dual_sub_nc_u32 v5, v17, v5 :: v_dual_ashrrev_i32 v17, 8, v18
	v_add_nc_u32_e32 v5, 0x3c000000, v5
	s_delay_alu instid0(VALU_DEP_1) | instskip(NEXT) | instid1(VALU_DEP_1)
	v_and_or_b32 v5, 0x7f800000, v17, v5
	v_cndmask_b32_e32 v3, 0, v5, vcc_lo
	s_delay_alu instid0(VALU_DEP_1) | instskip(NEXT) | instid1(VALU_DEP_1)
	v_and_or_b32 v1, 0x80000000, v1, v3
	v_cvt_f16_f32_e32 v5, v1
.LBB158_3170:
	s_mov_b32 s20, 0
.LBB158_3171:
	s_delay_alu instid0(SALU_CYCLE_1)
	s_and_not1_b32 vcc_lo, exec_lo, s20
	s_cbranch_vccnz .LBB158_3173
; %bb.3172:
	global_load_u8 v1, v[6:7], off
	s_wait_loadcnt 0x0
	v_lshlrev_b32_e32 v3, 25, v1
	v_lshlrev_b16 v1, 8, v1
	s_delay_alu instid0(VALU_DEP_2) | instskip(NEXT) | instid1(VALU_DEP_2)
	v_cmp_gt_u32_e32 vcc_lo, 0x8000000, v3
	v_and_or_b32 v17, 0x7f00, v1, 0.5
	v_lshrrev_b32_e32 v5, 4, v3
	v_bfe_i32 v1, v1, 0, 16
	s_delay_alu instid0(VALU_DEP_3) | instskip(NEXT) | instid1(VALU_DEP_3)
	v_add_f32_e32 v17, -0.5, v17
	v_or_b32_e32 v5, 0x70000000, v5
	s_delay_alu instid0(VALU_DEP_1) | instskip(NEXT) | instid1(VALU_DEP_1)
	v_mul_f32_e32 v5, 0x7800000, v5
	v_cndmask_b32_e32 v3, v5, v17, vcc_lo
	s_delay_alu instid0(VALU_DEP_1) | instskip(NEXT) | instid1(VALU_DEP_1)
	v_and_or_b32 v1, 0x80000000, v1, v3
	v_cvt_f16_f32_e32 v5, v1
.LBB158_3173:
	s_mov_b32 s20, 0
	s_mov_b32 s21, -1
.LBB158_3174:
	s_and_not1_b32 vcc_lo, exec_lo, s20
	s_mov_b32 s20, 0
	s_cbranch_vccnz .LBB158_3185
; %bb.3175:
	s_cmp_gt_i32 s0, 14
	s_cbranch_scc0 .LBB158_3178
; %bb.3176:
	s_cmp_eq_u32 s0, 15
	s_cbranch_scc0 .LBB158_3181
; %bb.3177:
	global_load_u16 v1, v[6:7], off
	s_mov_b32 s15, 0
	s_mov_b32 s21, -1
	s_wait_loadcnt 0x0
	v_lshlrev_b32_e32 v1, 16, v1
	s_delay_alu instid0(VALU_DEP_1)
	v_cvt_f16_f32_e32 v5, v1
	s_branch .LBB158_3183
.LBB158_3178:
	s_mov_b32 s20, -1
	s_branch .LBB158_3182
.LBB158_3179:
	s_or_saveexec_b32 s21, s21
	v_mov_b32_e32 v5, 0x7e00
	s_xor_b32 exec_lo, exec_lo, s21
	s_cbranch_execz .LBB158_3160
.LBB158_3180:
	v_cmp_ne_u16_e32 vcc_lo, 0, v1
	v_mov_b32_e32 v5, v1
	s_and_not1_b32 s20, s20, exec_lo
	s_and_b32 s22, vcc_lo, exec_lo
	s_delay_alu instid0(SALU_CYCLE_1)
	s_or_b32 s20, s20, s22
	s_or_b32 exec_lo, exec_lo, s21
	s_and_saveexec_b32 s21, s20
	s_cbranch_execnz .LBB158_3161
	s_branch .LBB158_3162
.LBB158_3181:
	s_mov_b32 s15, -1
.LBB158_3182:
                                        ; implicit-def: $vgpr5
.LBB158_3183:
	s_and_b32 vcc_lo, exec_lo, s20
	s_mov_b32 s20, 0
	s_cbranch_vccz .LBB158_3185
; %bb.3184:
	s_cmp_lg_u32 s0, 11
	s_mov_b32 s20, -1
	s_cselect_b32 s15, -1, 0
.LBB158_3185:
	s_delay_alu instid0(SALU_CYCLE_1)
	s_and_b32 vcc_lo, exec_lo, s15
	s_cbranch_vccnz .LBB158_3250
; %bb.3186:
	s_and_not1_b32 vcc_lo, exec_lo, s20
	s_cbranch_vccnz .LBB158_3188
.LBB158_3187:
	global_load_u8 v1, v[6:7], off
	s_mov_b32 s21, -1
	s_wait_loadcnt 0x0
	v_cmp_ne_u16_e32 vcc_lo, 0, v1
	v_cndmask_b32_e64 v5, 0, 0x3c00, vcc_lo
.LBB158_3188:
	s_mov_b32 s15, 0
.LBB158_3189:
	s_delay_alu instid0(SALU_CYCLE_1)
	s_and_b32 vcc_lo, exec_lo, s15
	s_cbranch_vccz .LBB158_3238
; %bb.3190:
	s_cmp_lt_i32 s0, 5
	s_cbranch_scc1 .LBB158_3195
; %bb.3191:
	s_cmp_lt_i32 s0, 8
	s_cbranch_scc1 .LBB158_3196
	;; [unrolled: 3-line block ×3, first 2 shown]
; %bb.3193:
	s_cmp_gt_i32 s0, 9
	s_cbranch_scc0 .LBB158_3198
; %bb.3194:
	global_load_b64 v[18:19], v[6:7], off
	s_mov_b32 s15, 0
	s_wait_loadcnt 0x0
	v_and_or_b32 v1, 0x1ff, v19, v18
	v_lshrrev_b32_e32 v3, 8, v19
	v_bfe_u32 v5, v19, 20, 11
	s_delay_alu instid0(VALU_DEP_3) | instskip(NEXT) | instid1(VALU_DEP_2)
	v_cmp_ne_u32_e32 vcc_lo, 0, v1
	v_sub_nc_u32_e32 v17, 0x3f1, v5
	v_add_nc_u32_e32 v5, 0xfffffc10, v5
	v_cndmask_b32_e64 v1, 0, 1, vcc_lo
	s_delay_alu instid0(VALU_DEP_1) | instskip(NEXT) | instid1(VALU_DEP_4)
	v_and_or_b32 v1, 0xffe, v3, v1
	v_med3_i32 v3, v17, 0, 13
	s_delay_alu instid0(VALU_DEP_2) | instskip(NEXT) | instid1(VALU_DEP_1)
	v_or_b32_e32 v17, 0x1000, v1
	v_lshrrev_b32_e32 v18, v3, v17
	s_delay_alu instid0(VALU_DEP_1) | instskip(NEXT) | instid1(VALU_DEP_1)
	v_lshlrev_b32_e32 v3, v3, v18
	v_cmp_ne_u32_e32 vcc_lo, v3, v17
	v_lshl_or_b32 v17, v5, 12, v1
	v_cndmask_b32_e64 v3, 0, 1, vcc_lo
	v_cmp_gt_i32_e32 vcc_lo, 1, v5
	s_delay_alu instid0(VALU_DEP_2) | instskip(NEXT) | instid1(VALU_DEP_1)
	v_or_b32_e32 v3, v18, v3
	v_cndmask_b32_e32 v3, v17, v3, vcc_lo
	s_delay_alu instid0(VALU_DEP_1) | instskip(NEXT) | instid1(VALU_DEP_1)
	v_dual_lshrrev_b32 v3, 2, v3 :: v_dual_bitop2_b32 v17, 7, v3 bitop3:0x40
	v_cmp_lt_i32_e32 vcc_lo, 5, v17
	v_cndmask_b32_e64 v18, 0, 1, vcc_lo
	v_cmp_eq_u32_e32 vcc_lo, 3, v17
	v_cndmask_b32_e64 v17, 0, 1, vcc_lo
	v_cmp_ne_u32_e32 vcc_lo, 0, v1
	s_delay_alu instid0(VALU_DEP_2) | instskip(NEXT) | instid1(VALU_DEP_1)
	v_or_b32_e32 v17, v17, v18
	v_dual_mov_b32 v18, 0x7e00 :: v_dual_add_nc_u32 v3, v3, v17
	s_delay_alu instid0(VALU_DEP_1) | instskip(SKIP_1) | instid1(VALU_DEP_3)
	v_cndmask_b32_e32 v1, 0x7c00, v18, vcc_lo
	v_cmp_gt_i32_e32 vcc_lo, 31, v5
	v_cndmask_b32_e32 v3, 0x7c00, v3, vcc_lo
	v_cmp_eq_u32_e32 vcc_lo, 0x40f, v5
	s_delay_alu instid0(VALU_DEP_2) | instskip(NEXT) | instid1(VALU_DEP_1)
	v_dual_cndmask_b32 v1, v3, v1, vcc_lo :: v_dual_lshrrev_b32 v3, 16, v19
	v_and_or_b32 v5, 0x8000, v3, v1
	s_branch .LBB158_3199
.LBB158_3195:
	s_mov_b32 s15, -1
                                        ; implicit-def: $vgpr5
	s_branch .LBB158_3217
.LBB158_3196:
	s_mov_b32 s15, -1
                                        ; implicit-def: $vgpr5
	s_branch .LBB158_3205
.LBB158_3197:
	s_mov_b32 s15, -1
                                        ; implicit-def: $vgpr5
	s_branch .LBB158_3202
.LBB158_3198:
	s_mov_b32 s15, -1
                                        ; implicit-def: $vgpr5
.LBB158_3199:
	s_delay_alu instid0(SALU_CYCLE_1)
	s_and_not1_b32 vcc_lo, exec_lo, s15
	s_cbranch_vccnz .LBB158_3201
; %bb.3200:
	global_load_b32 v1, v[6:7], off
	s_wait_loadcnt 0x0
	v_cvt_f16_f32_e32 v5, v1
.LBB158_3201:
	s_mov_b32 s15, 0
.LBB158_3202:
	s_delay_alu instid0(SALU_CYCLE_1)
	s_and_not1_b32 vcc_lo, exec_lo, s15
	s_cbranch_vccnz .LBB158_3204
; %bb.3203:
	global_load_b32 v5, v[6:7], off
.LBB158_3204:
	s_mov_b32 s15, 0
.LBB158_3205:
	s_delay_alu instid0(SALU_CYCLE_1)
	s_and_not1_b32 vcc_lo, exec_lo, s15
	s_cbranch_vccnz .LBB158_3216
; %bb.3206:
	s_cmp_lt_i32 s0, 6
	s_cbranch_scc1 .LBB158_3209
; %bb.3207:
	s_cmp_gt_i32 s0, 6
	s_cbranch_scc0 .LBB158_3210
; %bb.3208:
	global_load_b64 v[18:19], v[6:7], off
	s_mov_b32 s15, 0
	s_wait_loadcnt 0x0
	v_and_or_b32 v1, 0x1ff, v19, v18
	v_lshrrev_b32_e32 v3, 8, v19
	v_bfe_u32 v5, v19, 20, 11
	s_delay_alu instid0(VALU_DEP_3) | instskip(NEXT) | instid1(VALU_DEP_2)
	v_cmp_ne_u32_e32 vcc_lo, 0, v1
	v_sub_nc_u32_e32 v17, 0x3f1, v5
	v_add_nc_u32_e32 v5, 0xfffffc10, v5
	v_cndmask_b32_e64 v1, 0, 1, vcc_lo
	s_delay_alu instid0(VALU_DEP_1) | instskip(NEXT) | instid1(VALU_DEP_4)
	v_and_or_b32 v1, 0xffe, v3, v1
	v_med3_i32 v3, v17, 0, 13
	s_delay_alu instid0(VALU_DEP_2) | instskip(NEXT) | instid1(VALU_DEP_1)
	v_or_b32_e32 v17, 0x1000, v1
	v_lshrrev_b32_e32 v18, v3, v17
	s_delay_alu instid0(VALU_DEP_1) | instskip(NEXT) | instid1(VALU_DEP_1)
	v_lshlrev_b32_e32 v3, v3, v18
	v_cmp_ne_u32_e32 vcc_lo, v3, v17
	v_lshl_or_b32 v17, v5, 12, v1
	v_cndmask_b32_e64 v3, 0, 1, vcc_lo
	v_cmp_gt_i32_e32 vcc_lo, 1, v5
	s_delay_alu instid0(VALU_DEP_2) | instskip(NEXT) | instid1(VALU_DEP_1)
	v_or_b32_e32 v3, v18, v3
	v_cndmask_b32_e32 v3, v17, v3, vcc_lo
	s_delay_alu instid0(VALU_DEP_1) | instskip(NEXT) | instid1(VALU_DEP_1)
	v_dual_lshrrev_b32 v3, 2, v3 :: v_dual_bitop2_b32 v17, 7, v3 bitop3:0x40
	v_cmp_lt_i32_e32 vcc_lo, 5, v17
	v_cndmask_b32_e64 v18, 0, 1, vcc_lo
	v_cmp_eq_u32_e32 vcc_lo, 3, v17
	v_cndmask_b32_e64 v17, 0, 1, vcc_lo
	v_cmp_ne_u32_e32 vcc_lo, 0, v1
	s_delay_alu instid0(VALU_DEP_2) | instskip(NEXT) | instid1(VALU_DEP_1)
	v_or_b32_e32 v17, v17, v18
	v_dual_mov_b32 v18, 0x7e00 :: v_dual_add_nc_u32 v3, v3, v17
	s_delay_alu instid0(VALU_DEP_1) | instskip(SKIP_1) | instid1(VALU_DEP_3)
	v_cndmask_b32_e32 v1, 0x7c00, v18, vcc_lo
	v_cmp_gt_i32_e32 vcc_lo, 31, v5
	v_cndmask_b32_e32 v3, 0x7c00, v3, vcc_lo
	v_cmp_eq_u32_e32 vcc_lo, 0x40f, v5
	s_delay_alu instid0(VALU_DEP_2) | instskip(NEXT) | instid1(VALU_DEP_1)
	v_dual_cndmask_b32 v1, v3, v1, vcc_lo :: v_dual_lshrrev_b32 v3, 16, v19
	v_and_or_b32 v5, 0x8000, v3, v1
	s_branch .LBB158_3211
.LBB158_3209:
	s_mov_b32 s15, -1
                                        ; implicit-def: $vgpr5
	s_branch .LBB158_3214
.LBB158_3210:
	s_mov_b32 s15, -1
                                        ; implicit-def: $vgpr5
.LBB158_3211:
	s_delay_alu instid0(SALU_CYCLE_1)
	s_and_not1_b32 vcc_lo, exec_lo, s15
	s_cbranch_vccnz .LBB158_3213
; %bb.3212:
	global_load_b32 v1, v[6:7], off
	s_wait_loadcnt 0x0
	v_cvt_f16_f32_e32 v5, v1
.LBB158_3213:
	s_mov_b32 s15, 0
.LBB158_3214:
	s_delay_alu instid0(SALU_CYCLE_1)
	s_and_not1_b32 vcc_lo, exec_lo, s15
	s_cbranch_vccnz .LBB158_3216
; %bb.3215:
	s_wait_loadcnt 0x0
	global_load_u16 v5, v[6:7], off
.LBB158_3216:
	s_mov_b32 s15, 0
.LBB158_3217:
	s_delay_alu instid0(SALU_CYCLE_1)
	s_and_not1_b32 vcc_lo, exec_lo, s15
	s_cbranch_vccnz .LBB158_3237
; %bb.3218:
	s_cmp_lt_i32 s0, 2
	s_cbranch_scc1 .LBB158_3222
; %bb.3219:
	s_cmp_lt_i32 s0, 3
	s_cbranch_scc1 .LBB158_3223
; %bb.3220:
	s_cmp_gt_i32 s0, 3
	s_cbranch_scc0 .LBB158_3224
; %bb.3221:
	global_load_b64 v[18:19], v[6:7], off
	s_mov_b32 s15, 0
	s_wait_loadcnt 0x0
	v_xor_b32_e32 v1, v18, v19
	v_cls_i32_e32 v3, v19
	s_delay_alu instid0(VALU_DEP_2) | instskip(NEXT) | instid1(VALU_DEP_1)
	v_ashrrev_i32_e32 v1, 31, v1
	v_add_nc_u32_e32 v1, 32, v1
	s_delay_alu instid0(VALU_DEP_1) | instskip(NEXT) | instid1(VALU_DEP_1)
	v_add_min_u32_e64 v1, v3, -1, v1
	v_lshlrev_b64_e32 v[18:19], v1, v[18:19]
	v_sub_nc_u32_e32 v1, 32, v1
	s_delay_alu instid0(VALU_DEP_2) | instskip(NEXT) | instid1(VALU_DEP_1)
	v_min_u32_e32 v3, 1, v18
	v_or_b32_e32 v3, v19, v3
	s_delay_alu instid0(VALU_DEP_1) | instskip(NEXT) | instid1(VALU_DEP_1)
	v_cvt_f32_i32_e32 v3, v3
	v_ldexp_f32 v1, v3, v1
	s_delay_alu instid0(VALU_DEP_1)
	v_cvt_f16_f32_e32 v5, v1
	s_branch .LBB158_3225
.LBB158_3222:
	s_mov_b32 s15, -1
                                        ; implicit-def: $vgpr5
	s_branch .LBB158_3231
.LBB158_3223:
	s_mov_b32 s15, -1
                                        ; implicit-def: $vgpr5
	s_branch .LBB158_3228
.LBB158_3224:
	s_mov_b32 s15, -1
                                        ; implicit-def: $vgpr5
.LBB158_3225:
	s_delay_alu instid0(SALU_CYCLE_1)
	s_and_not1_b32 vcc_lo, exec_lo, s15
	s_cbranch_vccnz .LBB158_3227
; %bb.3226:
	global_load_b32 v1, v[6:7], off
	s_wait_loadcnt 0x0
	v_cvt_f32_i32_e32 v1, v1
	s_delay_alu instid0(VALU_DEP_1)
	v_cvt_f16_f32_e32 v5, v1
.LBB158_3227:
	s_mov_b32 s15, 0
.LBB158_3228:
	s_delay_alu instid0(SALU_CYCLE_1)
	s_and_not1_b32 vcc_lo, exec_lo, s15
	s_cbranch_vccnz .LBB158_3230
; %bb.3229:
	global_load_u16 v1, v[6:7], off
	s_wait_loadcnt 0x0
	v_cvt_f16_i16_e32 v5, v1
.LBB158_3230:
	s_mov_b32 s15, 0
.LBB158_3231:
	s_delay_alu instid0(SALU_CYCLE_1)
	s_and_not1_b32 vcc_lo, exec_lo, s15
	s_cbranch_vccnz .LBB158_3237
; %bb.3232:
	s_cmp_gt_i32 s0, 0
	s_mov_b32 s15, 0
	s_cbranch_scc0 .LBB158_3234
; %bb.3233:
	global_load_i8 v1, v[6:7], off
	s_wait_loadcnt 0x0
	v_cvt_f16_i16_e32 v5, v1
	s_branch .LBB158_3235
.LBB158_3234:
	s_mov_b32 s15, -1
                                        ; implicit-def: $vgpr5
.LBB158_3235:
	s_delay_alu instid0(SALU_CYCLE_1)
	s_and_not1_b32 vcc_lo, exec_lo, s15
	s_cbranch_vccnz .LBB158_3237
; %bb.3236:
	global_load_u8 v1, v[6:7], off
	s_wait_loadcnt 0x0
	v_cvt_f16_u16_e32 v5, v1
.LBB158_3237:
	s_mov_b32 s21, -1
.LBB158_3238:
	s_delay_alu instid0(SALU_CYCLE_1)
	s_and_not1_b32 vcc_lo, exec_lo, s21
	s_cbranch_vccnz .LBB158_4065
; %bb.3239:
	v_add_nc_u32_e32 v0, s1, v0
	s_cmp_lt_i32 s17, 11
	s_delay_alu instid0(VALU_DEP_1) | instskip(NEXT) | instid1(VALU_DEP_1)
	v_ashrrev_i32_e32 v1, 31, v0
	v_add_nc_u64_e32 v[0:1], s[6:7], v[0:1]
	s_cbranch_scc1 .LBB158_3246
; %bb.3240:
	s_and_b32 s1, 0xffff, s17
	s_mov_b32 s7, 0
	s_cmp_gt_i32 s1, 25
	s_cbranch_scc0 .LBB158_3247
; %bb.3241:
	s_cmp_gt_i32 s1, 28
	s_cbranch_scc0 .LBB158_3248
; %bb.3242:
	;; [unrolled: 3-line block ×4, first 2 shown]
	s_cmp_eq_u32 s1, 46
	s_mov_b32 s20, 0
	s_cbranch_scc0 .LBB158_3252
; %bb.3245:
	global_load_b32 v3, v[0:1], off
	s_mov_b32 s6, 0
	s_mov_b32 s15, -1
	s_wait_loadcnt 0x0
	v_lshlrev_b32_e32 v3, 16, v3
	s_wait_xcnt 0x1
	s_delay_alu instid0(VALU_DEP_1)
	v_cvt_f16_f32_e32 v6, v3
	s_branch .LBB158_3254
.LBB158_3246:
	s_mov_b32 s1, -1
	s_mov_b32 s15, 0
                                        ; implicit-def: $vgpr6
	s_branch .LBB158_3320
.LBB158_3247:
	s_mov_b32 s20, -1
	s_mov_b32 s15, 0
	s_mov_b32 s6, 0
                                        ; implicit-def: $vgpr6
	s_branch .LBB158_3283
.LBB158_3248:
	s_mov_b32 s20, -1
	s_mov_b32 s15, 0
	s_mov_b32 s6, 0
                                        ; implicit-def: $vgpr6
	s_branch .LBB158_3264
.LBB158_3249:
	s_mov_b32 s20, -1
	s_mov_b32 s15, 0
	s_mov_b32 s6, 0
                                        ; implicit-def: $vgpr6
	s_branch .LBB158_3259
.LBB158_3250:
	s_or_b32 s16, s16, exec_lo
	s_trap 2
	s_cbranch_execz .LBB158_3187
	s_branch .LBB158_3188
.LBB158_3251:
	s_mov_b32 s20, -1
	s_mov_b32 s15, 0
	s_mov_b32 s6, 0
	s_branch .LBB158_3253
.LBB158_3252:
	s_mov_b32 s6, -1
	s_mov_b32 s15, 0
.LBB158_3253:
                                        ; implicit-def: $vgpr6
.LBB158_3254:
	s_and_b32 vcc_lo, exec_lo, s20
	s_cbranch_vccz .LBB158_3258
; %bb.3255:
	s_cmp_eq_u32 s1, 44
	s_cbranch_scc0 .LBB158_3257
; %bb.3256:
	global_load_u8 v3, v[0:1], off
	s_mov_b32 s6, 0
	s_mov_b32 s15, -1
	s_wait_loadcnt 0x0
	s_wait_xcnt 0x1
	v_lshlrev_b32_e32 v6, 23, v3
	v_cmp_ne_u32_e32 vcc_lo, 0xff, v3
	s_delay_alu instid0(VALU_DEP_2) | instskip(NEXT) | instid1(VALU_DEP_1)
	v_cvt_f16_f32_e32 v6, v6
	v_cndmask_b32_e32 v6, 0x7e00, v6, vcc_lo
	v_cmp_ne_u32_e32 vcc_lo, 0, v3
	s_delay_alu instid0(VALU_DEP_2)
	v_cndmask_b32_e32 v6, 0, v6, vcc_lo
	s_branch .LBB158_3258
.LBB158_3257:
	s_mov_b32 s6, -1
                                        ; implicit-def: $vgpr6
.LBB158_3258:
	s_mov_b32 s20, 0
.LBB158_3259:
	s_delay_alu instid0(SALU_CYCLE_1)
	s_and_b32 vcc_lo, exec_lo, s20
	s_cbranch_vccz .LBB158_3263
; %bb.3260:
	s_cmp_eq_u32 s1, 29
	s_cbranch_scc0 .LBB158_3262
; %bb.3261:
	global_load_b64 v[6:7], v[0:1], off
	s_mov_b32 s6, 0
	s_mov_b32 s15, -1
	s_mov_b32 s20, 0
	s_wait_loadcnt 0x0
	v_clz_i32_u32_e32 v3, v7
	s_delay_alu instid0(VALU_DEP_1) | instskip(NEXT) | instid1(VALU_DEP_1)
	v_min_u32_e32 v3, 32, v3
	v_lshlrev_b64_e32 v[6:7], v3, v[6:7]
	v_sub_nc_u32_e32 v3, 32, v3
	s_delay_alu instid0(VALU_DEP_2) | instskip(NEXT) | instid1(VALU_DEP_1)
	v_min_u32_e32 v6, 1, v6
	v_or_b32_e32 v6, v7, v6
	s_delay_alu instid0(VALU_DEP_1) | instskip(NEXT) | instid1(VALU_DEP_1)
	v_cvt_f32_u32_e32 v6, v6
	v_ldexp_f32 v3, v6, v3
	s_delay_alu instid0(VALU_DEP_1)
	v_cvt_f16_f32_e32 v6, v3
	s_branch .LBB158_3264
.LBB158_3262:
	s_mov_b32 s6, -1
                                        ; implicit-def: $vgpr6
.LBB158_3263:
	s_mov_b32 s20, 0
.LBB158_3264:
	s_delay_alu instid0(SALU_CYCLE_1)
	s_and_b32 vcc_lo, exec_lo, s20
	s_cbranch_vccz .LBB158_3282
; %bb.3265:
	s_cmp_lt_i32 s1, 27
	s_cbranch_scc1 .LBB158_3268
; %bb.3266:
	s_cmp_gt_i32 s1, 27
	s_cbranch_scc0 .LBB158_3269
; %bb.3267:
	global_load_b32 v3, v[0:1], off
	s_mov_b32 s15, 0
	s_wait_loadcnt 0x0
	v_cvt_f32_u32_e32 v3, v3
	s_wait_xcnt 0x1
	s_delay_alu instid0(VALU_DEP_1)
	v_cvt_f16_f32_e32 v6, v3
	s_branch .LBB158_3270
.LBB158_3268:
	s_mov_b32 s15, -1
                                        ; implicit-def: $vgpr6
	s_branch .LBB158_3273
.LBB158_3269:
	s_mov_b32 s15, -1
                                        ; implicit-def: $vgpr6
.LBB158_3270:
	s_delay_alu instid0(SALU_CYCLE_1)
	s_and_not1_b32 vcc_lo, exec_lo, s15
	s_cbranch_vccnz .LBB158_3272
; %bb.3271:
	global_load_u16 v3, v[0:1], off
	s_wait_loadcnt 0x0
	s_wait_xcnt 0x1
	v_cvt_f16_u16_e32 v6, v3
.LBB158_3272:
	s_mov_b32 s15, 0
.LBB158_3273:
	s_delay_alu instid0(SALU_CYCLE_1)
	s_and_not1_b32 vcc_lo, exec_lo, s15
	s_cbranch_vccnz .LBB158_3281
; %bb.3274:
	global_load_u8 v3, v[0:1], off
	s_mov_b32 s15, 0
	s_mov_b32 s20, exec_lo
	s_wait_loadcnt 0x0
	v_cmpx_lt_i16_e32 0x7f, v3
	s_xor_b32 s20, exec_lo, s20
	s_cbranch_execz .LBB158_3295
; %bb.3275:
	s_mov_b32 s15, -1
	s_mov_b32 s21, exec_lo
	v_cmpx_eq_u16_e32 0x80, v3
; %bb.3276:
	s_xor_b32 s15, exec_lo, -1
; %bb.3277:
	s_or_b32 exec_lo, exec_lo, s21
	s_delay_alu instid0(SALU_CYCLE_1)
	s_and_b32 s15, s15, exec_lo
	s_or_saveexec_b32 s20, s20
	v_mov_b32_e32 v6, 0x7e00
	s_xor_b32 exec_lo, exec_lo, s20
	s_cbranch_execnz .LBB158_3296
.LBB158_3278:
	s_or_b32 exec_lo, exec_lo, s20
	s_and_saveexec_b32 s20, s15
	s_cbranch_execz .LBB158_3280
.LBB158_3279:
	v_and_b32_e32 v6, 0xffff, v3
	s_delay_alu instid0(VALU_DEP_1) | instskip(SKIP_1) | instid1(VALU_DEP_2)
	v_and_b32_e32 v7, 7, v6
	v_bfe_u32 v19, v6, 3, 4
	v_clz_i32_u32_e32 v17, v7
	s_delay_alu instid0(VALU_DEP_2) | instskip(NEXT) | instid1(VALU_DEP_2)
	v_cmp_eq_u32_e32 vcc_lo, 0, v19
	v_min_u32_e32 v17, 32, v17
	s_delay_alu instid0(VALU_DEP_1) | instskip(NEXT) | instid1(VALU_DEP_1)
	v_subrev_nc_u32_e32 v18, 28, v17
	v_dual_lshlrev_b32 v6, v18, v6 :: v_dual_sub_nc_u32 v17, 29, v17
	s_delay_alu instid0(VALU_DEP_1) | instskip(NEXT) | instid1(VALU_DEP_2)
	v_dual_lshlrev_b32 v3, 24, v3 :: v_dual_bitop2_b32 v6, 7, v6 bitop3:0x40
	v_cndmask_b32_e32 v17, v19, v17, vcc_lo
	s_delay_alu instid0(VALU_DEP_2) | instskip(NEXT) | instid1(VALU_DEP_3)
	v_cndmask_b32_e32 v6, v7, v6, vcc_lo
	v_and_b32_e32 v3, 0x80000000, v3
	s_delay_alu instid0(VALU_DEP_3) | instskip(NEXT) | instid1(VALU_DEP_3)
	v_lshl_add_u32 v7, v17, 23, 0x3b800000
	v_lshlrev_b32_e32 v6, 20, v6
	s_delay_alu instid0(VALU_DEP_1) | instskip(NEXT) | instid1(VALU_DEP_1)
	v_or3_b32 v3, v3, v7, v6
	v_cvt_f16_f32_e32 v6, v3
.LBB158_3280:
	s_or_b32 exec_lo, exec_lo, s20
.LBB158_3281:
	s_mov_b32 s15, -1
.LBB158_3282:
	s_mov_b32 s20, 0
.LBB158_3283:
	s_delay_alu instid0(SALU_CYCLE_1)
	s_and_b32 vcc_lo, exec_lo, s20
	s_cbranch_vccz .LBB158_3316
; %bb.3284:
	s_cmp_gt_i32 s1, 22
	s_cbranch_scc0 .LBB158_3294
; %bb.3285:
	s_cmp_lt_i32 s1, 24
	s_cbranch_scc1 .LBB158_3297
; %bb.3286:
	s_cmp_gt_i32 s1, 24
	s_cbranch_scc0 .LBB158_3298
; %bb.3287:
	global_load_u8 v3, v[0:1], off
	s_mov_b32 s15, exec_lo
	s_wait_loadcnt 0x0
	v_cmpx_lt_i16_e32 0x7f, v3
	s_xor_b32 s15, exec_lo, s15
	s_cbranch_execz .LBB158_3310
; %bb.3288:
	s_mov_b32 s7, -1
	s_mov_b32 s20, exec_lo
	v_cmpx_eq_u16_e32 0x80, v3
; %bb.3289:
	s_xor_b32 s7, exec_lo, -1
; %bb.3290:
	s_or_b32 exec_lo, exec_lo, s20
	s_delay_alu instid0(SALU_CYCLE_1)
	s_and_b32 s7, s7, exec_lo
	s_or_saveexec_b32 s15, s15
	v_mov_b32_e32 v6, 0x7e00
	s_xor_b32 exec_lo, exec_lo, s15
	s_cbranch_execnz .LBB158_3311
.LBB158_3291:
	s_or_b32 exec_lo, exec_lo, s15
	s_and_saveexec_b32 s15, s7
	s_cbranch_execz .LBB158_3293
.LBB158_3292:
	v_and_b32_e32 v6, 0xffff, v3
	s_delay_alu instid0(VALU_DEP_1) | instskip(SKIP_1) | instid1(VALU_DEP_2)
	v_and_b32_e32 v7, 3, v6
	v_bfe_u32 v19, v6, 2, 5
	v_clz_i32_u32_e32 v17, v7
	s_delay_alu instid0(VALU_DEP_2) | instskip(NEXT) | instid1(VALU_DEP_2)
	v_cmp_eq_u32_e32 vcc_lo, 0, v19
	v_min_u32_e32 v17, 32, v17
	s_delay_alu instid0(VALU_DEP_1) | instskip(NEXT) | instid1(VALU_DEP_1)
	v_subrev_nc_u32_e32 v18, 29, v17
	v_dual_lshlrev_b32 v6, v18, v6 :: v_dual_sub_nc_u32 v17, 30, v17
	s_delay_alu instid0(VALU_DEP_1) | instskip(NEXT) | instid1(VALU_DEP_2)
	v_dual_lshlrev_b32 v3, 24, v3 :: v_dual_bitop2_b32 v6, 3, v6 bitop3:0x40
	v_cndmask_b32_e32 v17, v19, v17, vcc_lo
	s_delay_alu instid0(VALU_DEP_2) | instskip(NEXT) | instid1(VALU_DEP_3)
	v_cndmask_b32_e32 v6, v7, v6, vcc_lo
	v_and_b32_e32 v3, 0x80000000, v3
	s_delay_alu instid0(VALU_DEP_3) | instskip(NEXT) | instid1(VALU_DEP_3)
	v_lshl_add_u32 v7, v17, 23, 0x37800000
	v_lshlrev_b32_e32 v6, 21, v6
	s_delay_alu instid0(VALU_DEP_1) | instskip(NEXT) | instid1(VALU_DEP_1)
	v_or3_b32 v3, v3, v7, v6
	v_cvt_f16_f32_e32 v6, v3
.LBB158_3293:
	s_or_b32 exec_lo, exec_lo, s15
	s_mov_b32 s7, 0
	s_branch .LBB158_3299
.LBB158_3294:
	s_mov_b32 s7, -1
                                        ; implicit-def: $vgpr6
	s_branch .LBB158_3305
.LBB158_3295:
	s_or_saveexec_b32 s20, s20
	v_mov_b32_e32 v6, 0x7e00
	s_xor_b32 exec_lo, exec_lo, s20
	s_cbranch_execz .LBB158_3278
.LBB158_3296:
	v_cmp_ne_u16_e32 vcc_lo, 0, v3
	v_mov_b32_e32 v6, v3
	s_and_not1_b32 s15, s15, exec_lo
	s_and_b32 s21, vcc_lo, exec_lo
	s_delay_alu instid0(SALU_CYCLE_1)
	s_or_b32 s15, s15, s21
	s_or_b32 exec_lo, exec_lo, s20
	s_and_saveexec_b32 s20, s15
	s_cbranch_execnz .LBB158_3279
	s_branch .LBB158_3280
.LBB158_3297:
	s_mov_b32 s7, -1
                                        ; implicit-def: $vgpr6
	s_branch .LBB158_3302
.LBB158_3298:
	s_mov_b32 s7, -1
                                        ; implicit-def: $vgpr6
.LBB158_3299:
	s_delay_alu instid0(SALU_CYCLE_1)
	s_and_b32 vcc_lo, exec_lo, s7
	s_cbranch_vccz .LBB158_3301
; %bb.3300:
	global_load_u8 v3, v[0:1], off
	s_wait_loadcnt 0x0
	v_lshlrev_b32_e32 v3, 24, v3
	s_wait_xcnt 0x1
	s_delay_alu instid0(VALU_DEP_1) | instskip(NEXT) | instid1(VALU_DEP_1)
	v_and_b32_e32 v6, 0x7f000000, v3
	v_clz_i32_u32_e32 v7, v6
	v_add_nc_u32_e32 v18, 0x1000000, v6
	v_cmp_ne_u32_e32 vcc_lo, 0, v6
	s_delay_alu instid0(VALU_DEP_3) | instskip(NEXT) | instid1(VALU_DEP_1)
	v_min_u32_e32 v7, 32, v7
	v_sub_nc_u32_e64 v7, v7, 4 clamp
	s_delay_alu instid0(VALU_DEP_1) | instskip(NEXT) | instid1(VALU_DEP_1)
	v_dual_lshlrev_b32 v17, v7, v6 :: v_dual_lshlrev_b32 v7, 23, v7
	v_lshrrev_b32_e32 v17, 4, v17
	s_delay_alu instid0(VALU_DEP_1) | instskip(NEXT) | instid1(VALU_DEP_1)
	v_dual_sub_nc_u32 v7, v17, v7 :: v_dual_ashrrev_i32 v17, 8, v18
	v_add_nc_u32_e32 v7, 0x3c000000, v7
	s_delay_alu instid0(VALU_DEP_1) | instskip(NEXT) | instid1(VALU_DEP_1)
	v_and_or_b32 v7, 0x7f800000, v17, v7
	v_cndmask_b32_e32 v6, 0, v7, vcc_lo
	s_delay_alu instid0(VALU_DEP_1) | instskip(NEXT) | instid1(VALU_DEP_1)
	v_and_or_b32 v3, 0x80000000, v3, v6
	v_cvt_f16_f32_e32 v6, v3
.LBB158_3301:
	s_mov_b32 s7, 0
.LBB158_3302:
	s_delay_alu instid0(SALU_CYCLE_1)
	s_and_not1_b32 vcc_lo, exec_lo, s7
	s_cbranch_vccnz .LBB158_3304
; %bb.3303:
	global_load_u8 v3, v[0:1], off
	s_wait_loadcnt 0x0
	s_wait_xcnt 0x1
	v_lshlrev_b32_e32 v6, 25, v3
	v_lshlrev_b16 v3, 8, v3
	s_delay_alu instid0(VALU_DEP_1) | instskip(SKIP_1) | instid1(VALU_DEP_2)
	v_and_or_b32 v17, 0x7f00, v3, 0.5
	v_bfe_i32 v3, v3, 0, 16
	v_dual_add_f32 v17, -0.5, v17 :: v_dual_lshrrev_b32 v7, 4, v6
	v_cmp_gt_u32_e32 vcc_lo, 0x8000000, v6
	s_delay_alu instid0(VALU_DEP_2) | instskip(NEXT) | instid1(VALU_DEP_1)
	v_or_b32_e32 v7, 0x70000000, v7
	v_mul_f32_e32 v7, 0x7800000, v7
	s_delay_alu instid0(VALU_DEP_1) | instskip(NEXT) | instid1(VALU_DEP_1)
	v_cndmask_b32_e32 v6, v7, v17, vcc_lo
	v_and_or_b32 v3, 0x80000000, v3, v6
	s_delay_alu instid0(VALU_DEP_1)
	v_cvt_f16_f32_e32 v6, v3
.LBB158_3304:
	s_mov_b32 s7, 0
	s_mov_b32 s15, -1
.LBB158_3305:
	s_and_not1_b32 vcc_lo, exec_lo, s7
	s_mov_b32 s7, 0
	s_cbranch_vccnz .LBB158_3316
; %bb.3306:
	s_cmp_gt_i32 s1, 14
	s_cbranch_scc0 .LBB158_3309
; %bb.3307:
	s_cmp_eq_u32 s1, 15
	s_cbranch_scc0 .LBB158_3312
; %bb.3308:
	global_load_u16 v3, v[0:1], off
	s_mov_b32 s6, 0
	s_mov_b32 s15, -1
	s_wait_loadcnt 0x0
	v_lshlrev_b32_e32 v3, 16, v3
	s_wait_xcnt 0x1
	s_delay_alu instid0(VALU_DEP_1)
	v_cvt_f16_f32_e32 v6, v3
	s_branch .LBB158_3314
.LBB158_3309:
	s_mov_b32 s7, -1
	s_branch .LBB158_3313
.LBB158_3310:
	s_or_saveexec_b32 s15, s15
	v_mov_b32_e32 v6, 0x7e00
	s_xor_b32 exec_lo, exec_lo, s15
	s_cbranch_execz .LBB158_3291
.LBB158_3311:
	v_cmp_ne_u16_e32 vcc_lo, 0, v3
	v_mov_b32_e32 v6, v3
	s_and_not1_b32 s7, s7, exec_lo
	s_and_b32 s20, vcc_lo, exec_lo
	s_delay_alu instid0(SALU_CYCLE_1)
	s_or_b32 s7, s7, s20
	s_or_b32 exec_lo, exec_lo, s15
	s_and_saveexec_b32 s15, s7
	s_cbranch_execnz .LBB158_3292
	s_branch .LBB158_3293
.LBB158_3312:
	s_mov_b32 s6, -1
.LBB158_3313:
                                        ; implicit-def: $vgpr6
.LBB158_3314:
	s_and_b32 vcc_lo, exec_lo, s7
	s_mov_b32 s7, 0
	s_cbranch_vccz .LBB158_3316
; %bb.3315:
	s_cmp_lg_u32 s1, 11
	s_mov_b32 s7, -1
	s_cselect_b32 s6, -1, 0
.LBB158_3316:
	s_delay_alu instid0(SALU_CYCLE_1)
	s_and_b32 vcc_lo, exec_lo, s6
	s_cbranch_vccnz .LBB158_3381
; %bb.3317:
	s_and_not1_b32 vcc_lo, exec_lo, s7
	s_cbranch_vccnz .LBB158_3319
.LBB158_3318:
	global_load_u8 v3, v[0:1], off
	s_mov_b32 s15, -1
	s_wait_loadcnt 0x0
	v_cmp_ne_u16_e32 vcc_lo, 0, v3
	s_wait_xcnt 0x1
	v_cndmask_b32_e64 v6, 0, 0x3c00, vcc_lo
.LBB158_3319:
	s_mov_b32 s1, 0
.LBB158_3320:
	s_delay_alu instid0(SALU_CYCLE_1)
	s_and_b32 vcc_lo, exec_lo, s1
	s_cbranch_vccz .LBB158_3369
; %bb.3321:
	s_and_b32 s1, 0xffff, s17
	s_delay_alu instid0(SALU_CYCLE_1)
	s_cmp_lt_i32 s1, 5
	s_cbranch_scc1 .LBB158_3326
; %bb.3322:
	s_cmp_lt_i32 s1, 8
	s_cbranch_scc1 .LBB158_3327
; %bb.3323:
	;; [unrolled: 3-line block ×3, first 2 shown]
	s_cmp_gt_i32 s1, 9
	s_cbranch_scc0 .LBB158_3329
; %bb.3325:
	global_load_b64 v[6:7], v[0:1], off
	s_mov_b32 s6, 0
	s_wait_loadcnt 0x0
	v_and_or_b32 v3, 0x1ff, v7, v6
	v_lshrrev_b32_e32 v6, 8, v7
	v_bfe_u32 v17, v7, 20, 11
	s_delay_alu instid0(VALU_DEP_3) | instskip(NEXT) | instid1(VALU_DEP_2)
	v_cmp_ne_u32_e32 vcc_lo, 0, v3
	v_sub_nc_u32_e32 v18, 0x3f1, v17
	v_cndmask_b32_e64 v3, 0, 1, vcc_lo
	s_delay_alu instid0(VALU_DEP_1) | instskip(NEXT) | instid1(VALU_DEP_3)
	v_and_or_b32 v3, 0xffe, v6, v3
	v_med3_i32 v6, v18, 0, 13
	s_delay_alu instid0(VALU_DEP_2) | instskip(NEXT) | instid1(VALU_DEP_1)
	v_or_b32_e32 v18, 0x1000, v3
	v_lshrrev_b32_e32 v19, v6, v18
	s_delay_alu instid0(VALU_DEP_1) | instskip(NEXT) | instid1(VALU_DEP_1)
	v_lshlrev_b32_e32 v6, v6, v19
	v_cmp_ne_u32_e32 vcc_lo, v6, v18
	v_cndmask_b32_e64 v6, 0, 1, vcc_lo
	s_delay_alu instid0(VALU_DEP_1) | instskip(SKIP_1) | instid1(VALU_DEP_1)
	v_or_b32_e32 v6, v19, v6
	v_add_nc_u32_e32 v17, 0xfffffc10, v17
	v_lshl_or_b32 v18, v17, 12, v3
	v_cmp_gt_i32_e32 vcc_lo, 1, v17
	s_delay_alu instid0(VALU_DEP_2) | instskip(NEXT) | instid1(VALU_DEP_1)
	v_cndmask_b32_e32 v6, v18, v6, vcc_lo
	v_dual_lshrrev_b32 v6, 2, v6 :: v_dual_bitop2_b32 v18, 7, v6 bitop3:0x40
	s_delay_alu instid0(VALU_DEP_1) | instskip(SKIP_4) | instid1(VALU_DEP_2)
	v_cmp_lt_i32_e32 vcc_lo, 5, v18
	v_cndmask_b32_e64 v19, 0, 1, vcc_lo
	v_cmp_eq_u32_e32 vcc_lo, 3, v18
	v_cndmask_b32_e64 v18, 0, 1, vcc_lo
	v_cmp_ne_u32_e32 vcc_lo, 0, v3
	v_or_b32_e32 v18, v18, v19
	s_delay_alu instid0(VALU_DEP_1) | instskip(NEXT) | instid1(VALU_DEP_1)
	v_dual_mov_b32 v19, 0x7e00 :: v_dual_add_nc_u32 v6, v6, v18
	v_cndmask_b32_e32 v3, 0x7c00, v19, vcc_lo
	v_cmp_gt_i32_e32 vcc_lo, 31, v17
	s_delay_alu instid0(VALU_DEP_3) | instskip(SKIP_1) | instid1(VALU_DEP_2)
	v_cndmask_b32_e32 v6, 0x7c00, v6, vcc_lo
	v_cmp_eq_u32_e32 vcc_lo, 0x40f, v17
	v_cndmask_b32_e32 v3, v6, v3, vcc_lo
	v_lshrrev_b32_e32 v6, 16, v7
	s_delay_alu instid0(VALU_DEP_1)
	v_and_or_b32 v6, 0x8000, v6, v3
	s_branch .LBB158_3330
.LBB158_3326:
	s_mov_b32 s6, -1
                                        ; implicit-def: $vgpr6
	s_branch .LBB158_3348
.LBB158_3327:
	s_mov_b32 s6, -1
                                        ; implicit-def: $vgpr6
	s_branch .LBB158_3336
.LBB158_3328:
	s_mov_b32 s6, -1
                                        ; implicit-def: $vgpr6
	s_branch .LBB158_3333
.LBB158_3329:
	s_mov_b32 s6, -1
                                        ; implicit-def: $vgpr6
.LBB158_3330:
	s_delay_alu instid0(SALU_CYCLE_1)
	s_and_not1_b32 vcc_lo, exec_lo, s6
	s_cbranch_vccnz .LBB158_3332
; %bb.3331:
	global_load_b32 v3, v[0:1], off
	s_wait_loadcnt 0x0
	s_wait_xcnt 0x1
	v_cvt_f16_f32_e32 v6, v3
.LBB158_3332:
	s_mov_b32 s6, 0
.LBB158_3333:
	s_delay_alu instid0(SALU_CYCLE_1)
	s_and_not1_b32 vcc_lo, exec_lo, s6
	s_cbranch_vccnz .LBB158_3335
; %bb.3334:
	global_load_b32 v6, v[0:1], off
.LBB158_3335:
	s_mov_b32 s6, 0
.LBB158_3336:
	s_delay_alu instid0(SALU_CYCLE_1)
	s_and_not1_b32 vcc_lo, exec_lo, s6
	s_cbranch_vccnz .LBB158_3347
; %bb.3337:
	s_cmp_lt_i32 s1, 6
	s_cbranch_scc1 .LBB158_3340
; %bb.3338:
	s_cmp_gt_i32 s1, 6
	s_cbranch_scc0 .LBB158_3341
; %bb.3339:
	s_wait_loadcnt 0x0
	global_load_b64 v[6:7], v[0:1], off
	s_mov_b32 s6, 0
	s_wait_loadcnt 0x0
	v_and_or_b32 v3, 0x1ff, v7, v6
	v_lshrrev_b32_e32 v6, 8, v7
	v_bfe_u32 v17, v7, 20, 11
	s_delay_alu instid0(VALU_DEP_3) | instskip(NEXT) | instid1(VALU_DEP_2)
	v_cmp_ne_u32_e32 vcc_lo, 0, v3
	v_sub_nc_u32_e32 v18, 0x3f1, v17
	v_cndmask_b32_e64 v3, 0, 1, vcc_lo
	s_delay_alu instid0(VALU_DEP_1) | instskip(NEXT) | instid1(VALU_DEP_3)
	v_and_or_b32 v3, 0xffe, v6, v3
	v_med3_i32 v6, v18, 0, 13
	s_delay_alu instid0(VALU_DEP_2) | instskip(NEXT) | instid1(VALU_DEP_1)
	v_or_b32_e32 v18, 0x1000, v3
	v_lshrrev_b32_e32 v19, v6, v18
	s_delay_alu instid0(VALU_DEP_1) | instskip(NEXT) | instid1(VALU_DEP_1)
	v_lshlrev_b32_e32 v6, v6, v19
	v_cmp_ne_u32_e32 vcc_lo, v6, v18
	v_cndmask_b32_e64 v6, 0, 1, vcc_lo
	s_delay_alu instid0(VALU_DEP_1) | instskip(SKIP_1) | instid1(VALU_DEP_1)
	v_or_b32_e32 v6, v19, v6
	v_add_nc_u32_e32 v17, 0xfffffc10, v17
	v_lshl_or_b32 v18, v17, 12, v3
	v_cmp_gt_i32_e32 vcc_lo, 1, v17
	s_delay_alu instid0(VALU_DEP_2) | instskip(NEXT) | instid1(VALU_DEP_1)
	v_cndmask_b32_e32 v6, v18, v6, vcc_lo
	v_dual_lshrrev_b32 v6, 2, v6 :: v_dual_bitop2_b32 v18, 7, v6 bitop3:0x40
	s_delay_alu instid0(VALU_DEP_1) | instskip(SKIP_4) | instid1(VALU_DEP_2)
	v_cmp_lt_i32_e32 vcc_lo, 5, v18
	v_cndmask_b32_e64 v19, 0, 1, vcc_lo
	v_cmp_eq_u32_e32 vcc_lo, 3, v18
	v_cndmask_b32_e64 v18, 0, 1, vcc_lo
	v_cmp_ne_u32_e32 vcc_lo, 0, v3
	v_or_b32_e32 v18, v18, v19
	s_delay_alu instid0(VALU_DEP_1) | instskip(NEXT) | instid1(VALU_DEP_1)
	v_dual_mov_b32 v19, 0x7e00 :: v_dual_add_nc_u32 v6, v6, v18
	v_cndmask_b32_e32 v3, 0x7c00, v19, vcc_lo
	v_cmp_gt_i32_e32 vcc_lo, 31, v17
	s_delay_alu instid0(VALU_DEP_3) | instskip(SKIP_1) | instid1(VALU_DEP_2)
	v_cndmask_b32_e32 v6, 0x7c00, v6, vcc_lo
	v_cmp_eq_u32_e32 vcc_lo, 0x40f, v17
	v_cndmask_b32_e32 v3, v6, v3, vcc_lo
	v_lshrrev_b32_e32 v6, 16, v7
	s_delay_alu instid0(VALU_DEP_1)
	v_and_or_b32 v6, 0x8000, v6, v3
	s_branch .LBB158_3342
.LBB158_3340:
	s_mov_b32 s6, -1
                                        ; implicit-def: $vgpr6
	s_branch .LBB158_3345
.LBB158_3341:
	s_mov_b32 s6, -1
                                        ; implicit-def: $vgpr6
.LBB158_3342:
	s_delay_alu instid0(SALU_CYCLE_1)
	s_and_not1_b32 vcc_lo, exec_lo, s6
	s_cbranch_vccnz .LBB158_3344
; %bb.3343:
	global_load_b32 v3, v[0:1], off
	s_wait_loadcnt 0x0
	s_wait_xcnt 0x1
	v_cvt_f16_f32_e32 v6, v3
.LBB158_3344:
	s_mov_b32 s6, 0
.LBB158_3345:
	s_delay_alu instid0(SALU_CYCLE_1)
	s_and_not1_b32 vcc_lo, exec_lo, s6
	s_cbranch_vccnz .LBB158_3347
; %bb.3346:
	s_wait_loadcnt 0x0
	global_load_u16 v6, v[0:1], off
.LBB158_3347:
	s_mov_b32 s6, 0
.LBB158_3348:
	s_delay_alu instid0(SALU_CYCLE_1)
	s_and_not1_b32 vcc_lo, exec_lo, s6
	s_cbranch_vccnz .LBB158_3368
; %bb.3349:
	s_cmp_lt_i32 s1, 2
	s_cbranch_scc1 .LBB158_3353
; %bb.3350:
	s_cmp_lt_i32 s1, 3
	s_cbranch_scc1 .LBB158_3354
; %bb.3351:
	s_cmp_gt_i32 s1, 3
	s_cbranch_scc0 .LBB158_3355
; %bb.3352:
	s_wait_loadcnt 0x0
	global_load_b64 v[6:7], v[0:1], off
	s_mov_b32 s6, 0
	s_wait_loadcnt 0x0
	v_xor_b32_e32 v3, v6, v7
	v_cls_i32_e32 v17, v7
	s_delay_alu instid0(VALU_DEP_2) | instskip(NEXT) | instid1(VALU_DEP_1)
	v_ashrrev_i32_e32 v3, 31, v3
	v_add_nc_u32_e32 v3, 32, v3
	s_delay_alu instid0(VALU_DEP_1) | instskip(NEXT) | instid1(VALU_DEP_1)
	v_add_min_u32_e64 v3, v17, -1, v3
	v_lshlrev_b64_e32 v[6:7], v3, v[6:7]
	v_sub_nc_u32_e32 v3, 32, v3
	s_delay_alu instid0(VALU_DEP_2) | instskip(NEXT) | instid1(VALU_DEP_1)
	v_min_u32_e32 v6, 1, v6
	v_or_b32_e32 v6, v7, v6
	s_delay_alu instid0(VALU_DEP_1) | instskip(NEXT) | instid1(VALU_DEP_1)
	v_cvt_f32_i32_e32 v6, v6
	v_ldexp_f32 v3, v6, v3
	s_delay_alu instid0(VALU_DEP_1)
	v_cvt_f16_f32_e32 v6, v3
	s_branch .LBB158_3356
.LBB158_3353:
	s_mov_b32 s6, -1
                                        ; implicit-def: $vgpr6
	s_branch .LBB158_3362
.LBB158_3354:
	s_mov_b32 s6, -1
                                        ; implicit-def: $vgpr6
	s_branch .LBB158_3359
.LBB158_3355:
	s_mov_b32 s6, -1
                                        ; implicit-def: $vgpr6
.LBB158_3356:
	s_delay_alu instid0(SALU_CYCLE_1)
	s_and_not1_b32 vcc_lo, exec_lo, s6
	s_cbranch_vccnz .LBB158_3358
; %bb.3357:
	global_load_b32 v3, v[0:1], off
	s_wait_loadcnt 0x0
	v_cvt_f32_i32_e32 v3, v3
	s_wait_xcnt 0x1
	s_delay_alu instid0(VALU_DEP_1)
	v_cvt_f16_f32_e32 v6, v3
.LBB158_3358:
	s_mov_b32 s6, 0
.LBB158_3359:
	s_delay_alu instid0(SALU_CYCLE_1)
	s_and_not1_b32 vcc_lo, exec_lo, s6
	s_cbranch_vccnz .LBB158_3361
; %bb.3360:
	global_load_u16 v3, v[0:1], off
	s_wait_loadcnt 0x0
	s_wait_xcnt 0x1
	v_cvt_f16_i16_e32 v6, v3
.LBB158_3361:
	s_mov_b32 s6, 0
.LBB158_3362:
	s_delay_alu instid0(SALU_CYCLE_1)
	s_and_not1_b32 vcc_lo, exec_lo, s6
	s_cbranch_vccnz .LBB158_3368
; %bb.3363:
	s_cmp_gt_i32 s1, 0
	s_mov_b32 s1, 0
	s_cbranch_scc0 .LBB158_3365
; %bb.3364:
	global_load_i8 v3, v[0:1], off
	s_wait_loadcnt 0x0
	s_wait_xcnt 0x1
	v_cvt_f16_i16_e32 v6, v3
	s_branch .LBB158_3366
.LBB158_3365:
	s_mov_b32 s1, -1
                                        ; implicit-def: $vgpr6
.LBB158_3366:
	s_delay_alu instid0(SALU_CYCLE_1)
	s_and_not1_b32 vcc_lo, exec_lo, s1
	s_cbranch_vccnz .LBB158_3368
; %bb.3367:
	global_load_u8 v0, v[0:1], off
	s_wait_loadcnt 0x0
	v_cvt_f16_u16_e32 v6, v0
.LBB158_3368:
	s_mov_b32 s15, -1
.LBB158_3369:
	s_delay_alu instid0(SALU_CYCLE_1)
	s_and_not1_b32 vcc_lo, exec_lo, s15
	s_cbranch_vccnz .LBB158_4065
; %bb.3370:
	s_wait_xcnt 0x0
	v_add_nc_u32_e32 v0, s13, v2
	s_cmp_lt_i32 s3, 11
	s_delay_alu instid0(VALU_DEP_1) | instskip(NEXT) | instid1(VALU_DEP_1)
	v_ashrrev_i32_e32 v1, 31, v0
	v_add_nc_u64_e32 v[0:1], s[8:9], v[0:1]
	s_cbranch_scc1 .LBB158_3377
; %bb.3371:
	s_and_b32 s1, 0xffff, s3
	s_mov_b32 s7, 0
	s_cmp_gt_i32 s1, 25
	s_cbranch_scc0 .LBB158_3378
; %bb.3372:
	s_cmp_gt_i32 s1, 28
	s_cbranch_scc0 .LBB158_3379
; %bb.3373:
	;; [unrolled: 3-line block ×4, first 2 shown]
	s_cmp_eq_u32 s1, 46
	s_mov_b32 s9, 0
	s_cbranch_scc0 .LBB158_3383
; %bb.3376:
	global_load_b32 v2, v[0:1], off
	s_mov_b32 s6, 0
	s_mov_b32 s8, -1
	s_wait_loadcnt 0x0
	v_lshlrev_b32_e32 v2, 16, v2
	s_delay_alu instid0(VALU_DEP_1)
	v_cvt_f16_f32_e32 v7, v2
	s_branch .LBB158_3385
.LBB158_3377:
	s_mov_b32 s1, -1
	s_mov_b32 s8, 0
                                        ; implicit-def: $vgpr7
	s_branch .LBB158_3451
.LBB158_3378:
	s_mov_b32 s9, -1
	s_mov_b32 s8, 0
	s_mov_b32 s6, 0
                                        ; implicit-def: $vgpr7
	s_branch .LBB158_3414
.LBB158_3379:
	s_mov_b32 s9, -1
	s_mov_b32 s8, 0
	s_mov_b32 s6, 0
                                        ; implicit-def: $vgpr7
	s_branch .LBB158_3395
.LBB158_3380:
	s_mov_b32 s9, -1
	s_mov_b32 s8, 0
	s_mov_b32 s6, 0
                                        ; implicit-def: $vgpr7
	s_branch .LBB158_3390
.LBB158_3381:
	s_or_b32 s16, s16, exec_lo
	s_trap 2
	s_cbranch_execz .LBB158_3318
	s_branch .LBB158_3319
.LBB158_3382:
	s_mov_b32 s9, -1
	s_mov_b32 s8, 0
	s_mov_b32 s6, 0
	s_branch .LBB158_3384
.LBB158_3383:
	s_mov_b32 s6, -1
	s_mov_b32 s8, 0
.LBB158_3384:
                                        ; implicit-def: $vgpr7
.LBB158_3385:
	s_and_b32 vcc_lo, exec_lo, s9
	s_cbranch_vccz .LBB158_3389
; %bb.3386:
	s_cmp_eq_u32 s1, 44
	s_cbranch_scc0 .LBB158_3388
; %bb.3387:
	global_load_u8 v2, v[0:1], off
	s_mov_b32 s6, 0
	s_mov_b32 s8, -1
	s_wait_loadcnt 0x0
	v_lshlrev_b32_e32 v3, 23, v2
	v_cmp_ne_u32_e32 vcc_lo, 0xff, v2
	s_delay_alu instid0(VALU_DEP_2) | instskip(NEXT) | instid1(VALU_DEP_1)
	v_cvt_f16_f32_e32 v3, v3
	v_cndmask_b32_e32 v3, 0x7e00, v3, vcc_lo
	v_cmp_ne_u32_e32 vcc_lo, 0, v2
	s_delay_alu instid0(VALU_DEP_2)
	v_cndmask_b32_e32 v7, 0, v3, vcc_lo
	s_branch .LBB158_3389
.LBB158_3388:
	s_mov_b32 s6, -1
                                        ; implicit-def: $vgpr7
.LBB158_3389:
	s_mov_b32 s9, 0
.LBB158_3390:
	s_delay_alu instid0(SALU_CYCLE_1)
	s_and_b32 vcc_lo, exec_lo, s9
	s_cbranch_vccz .LBB158_3394
; %bb.3391:
	s_cmp_eq_u32 s1, 29
	s_cbranch_scc0 .LBB158_3393
; %bb.3392:
	global_load_b64 v[2:3], v[0:1], off
	s_mov_b32 s6, 0
	s_mov_b32 s8, -1
	s_mov_b32 s9, 0
	s_wait_loadcnt 0x0
	v_clz_i32_u32_e32 v7, v3
	s_delay_alu instid0(VALU_DEP_1) | instskip(NEXT) | instid1(VALU_DEP_1)
	v_min_u32_e32 v7, 32, v7
	v_lshlrev_b64_e32 v[2:3], v7, v[2:3]
	s_delay_alu instid0(VALU_DEP_1) | instskip(NEXT) | instid1(VALU_DEP_1)
	v_min_u32_e32 v2, 1, v2
	v_dual_sub_nc_u32 v3, 32, v7 :: v_dual_bitop2_b32 v2, v3, v2 bitop3:0x54
	s_delay_alu instid0(VALU_DEP_1) | instskip(NEXT) | instid1(VALU_DEP_1)
	v_cvt_f32_u32_e32 v2, v2
	v_ldexp_f32 v2, v2, v3
	s_delay_alu instid0(VALU_DEP_1)
	v_cvt_f16_f32_e32 v7, v2
	s_branch .LBB158_3395
.LBB158_3393:
	s_mov_b32 s6, -1
                                        ; implicit-def: $vgpr7
.LBB158_3394:
	s_mov_b32 s9, 0
.LBB158_3395:
	s_delay_alu instid0(SALU_CYCLE_1)
	s_and_b32 vcc_lo, exec_lo, s9
	s_cbranch_vccz .LBB158_3413
; %bb.3396:
	s_cmp_lt_i32 s1, 27
	s_cbranch_scc1 .LBB158_3399
; %bb.3397:
	s_cmp_gt_i32 s1, 27
	s_cbranch_scc0 .LBB158_3400
; %bb.3398:
	global_load_b32 v2, v[0:1], off
	s_mov_b32 s8, 0
	s_wait_loadcnt 0x0
	v_cvt_f32_u32_e32 v2, v2
	s_delay_alu instid0(VALU_DEP_1)
	v_cvt_f16_f32_e32 v7, v2
	s_branch .LBB158_3401
.LBB158_3399:
	s_mov_b32 s8, -1
                                        ; implicit-def: $vgpr7
	s_branch .LBB158_3404
.LBB158_3400:
	s_mov_b32 s8, -1
                                        ; implicit-def: $vgpr7
.LBB158_3401:
	s_delay_alu instid0(SALU_CYCLE_1)
	s_and_not1_b32 vcc_lo, exec_lo, s8
	s_cbranch_vccnz .LBB158_3403
; %bb.3402:
	global_load_u16 v2, v[0:1], off
	s_wait_loadcnt 0x0
	v_cvt_f16_u16_e32 v7, v2
.LBB158_3403:
	s_mov_b32 s8, 0
.LBB158_3404:
	s_delay_alu instid0(SALU_CYCLE_1)
	s_and_not1_b32 vcc_lo, exec_lo, s8
	s_cbranch_vccnz .LBB158_3412
; %bb.3405:
	global_load_u8 v2, v[0:1], off
	s_mov_b32 s8, 0
	s_mov_b32 s9, exec_lo
	s_wait_loadcnt 0x0
	v_cmpx_lt_i16_e32 0x7f, v2
	s_xor_b32 s9, exec_lo, s9
	s_cbranch_execz .LBB158_3426
; %bb.3406:
	s_mov_b32 s8, -1
	s_mov_b32 s13, exec_lo
	v_cmpx_eq_u16_e32 0x80, v2
; %bb.3407:
	s_xor_b32 s8, exec_lo, -1
; %bb.3408:
	s_or_b32 exec_lo, exec_lo, s13
	s_delay_alu instid0(SALU_CYCLE_1)
	s_and_b32 s8, s8, exec_lo
	s_or_saveexec_b32 s9, s9
	v_mov_b32_e32 v7, 0x7e00
	s_xor_b32 exec_lo, exec_lo, s9
	s_cbranch_execnz .LBB158_3427
.LBB158_3409:
	s_or_b32 exec_lo, exec_lo, s9
	s_and_saveexec_b32 s9, s8
	s_cbranch_execz .LBB158_3411
.LBB158_3410:
	v_and_b32_e32 v3, 0xffff, v2
	s_delay_alu instid0(VALU_DEP_1) | instskip(SKIP_1) | instid1(VALU_DEP_2)
	v_and_b32_e32 v7, 7, v3
	v_bfe_u32 v19, v3, 3, 4
	v_clz_i32_u32_e32 v17, v7
	s_delay_alu instid0(VALU_DEP_2) | instskip(NEXT) | instid1(VALU_DEP_2)
	v_cmp_eq_u32_e32 vcc_lo, 0, v19
	v_min_u32_e32 v17, 32, v17
	s_delay_alu instid0(VALU_DEP_1) | instskip(NEXT) | instid1(VALU_DEP_1)
	v_subrev_nc_u32_e32 v18, 28, v17
	v_dual_lshlrev_b32 v3, v18, v3 :: v_dual_sub_nc_u32 v17, 29, v17
	s_delay_alu instid0(VALU_DEP_1) | instskip(NEXT) | instid1(VALU_DEP_2)
	v_dual_lshlrev_b32 v2, 24, v2 :: v_dual_bitop2_b32 v3, 7, v3 bitop3:0x40
	v_cndmask_b32_e32 v17, v19, v17, vcc_lo
	s_delay_alu instid0(VALU_DEP_2) | instskip(NEXT) | instid1(VALU_DEP_3)
	v_cndmask_b32_e32 v3, v7, v3, vcc_lo
	v_and_b32_e32 v2, 0x80000000, v2
	s_delay_alu instid0(VALU_DEP_3) | instskip(NEXT) | instid1(VALU_DEP_3)
	v_lshl_add_u32 v7, v17, 23, 0x3b800000
	v_lshlrev_b32_e32 v3, 20, v3
	s_delay_alu instid0(VALU_DEP_1) | instskip(NEXT) | instid1(VALU_DEP_1)
	v_or3_b32 v2, v2, v7, v3
	v_cvt_f16_f32_e32 v7, v2
.LBB158_3411:
	s_or_b32 exec_lo, exec_lo, s9
.LBB158_3412:
	s_mov_b32 s8, -1
.LBB158_3413:
	s_mov_b32 s9, 0
.LBB158_3414:
	s_delay_alu instid0(SALU_CYCLE_1)
	s_and_b32 vcc_lo, exec_lo, s9
	s_cbranch_vccz .LBB158_3447
; %bb.3415:
	s_cmp_gt_i32 s1, 22
	s_cbranch_scc0 .LBB158_3425
; %bb.3416:
	s_cmp_lt_i32 s1, 24
	s_cbranch_scc1 .LBB158_3428
; %bb.3417:
	s_cmp_gt_i32 s1, 24
	s_cbranch_scc0 .LBB158_3429
; %bb.3418:
	global_load_u8 v2, v[0:1], off
	s_mov_b32 s8, exec_lo
	s_wait_loadcnt 0x0
	v_cmpx_lt_i16_e32 0x7f, v2
	s_xor_b32 s8, exec_lo, s8
	s_cbranch_execz .LBB158_3441
; %bb.3419:
	s_mov_b32 s7, -1
	s_mov_b32 s9, exec_lo
	v_cmpx_eq_u16_e32 0x80, v2
; %bb.3420:
	s_xor_b32 s7, exec_lo, -1
; %bb.3421:
	s_or_b32 exec_lo, exec_lo, s9
	s_delay_alu instid0(SALU_CYCLE_1)
	s_and_b32 s7, s7, exec_lo
	s_or_saveexec_b32 s8, s8
	v_mov_b32_e32 v7, 0x7e00
	s_xor_b32 exec_lo, exec_lo, s8
	s_cbranch_execnz .LBB158_3442
.LBB158_3422:
	s_or_b32 exec_lo, exec_lo, s8
	s_and_saveexec_b32 s8, s7
	s_cbranch_execz .LBB158_3424
.LBB158_3423:
	v_and_b32_e32 v3, 0xffff, v2
	s_delay_alu instid0(VALU_DEP_1) | instskip(SKIP_1) | instid1(VALU_DEP_2)
	v_and_b32_e32 v7, 3, v3
	v_bfe_u32 v19, v3, 2, 5
	v_clz_i32_u32_e32 v17, v7
	s_delay_alu instid0(VALU_DEP_2) | instskip(NEXT) | instid1(VALU_DEP_2)
	v_cmp_eq_u32_e32 vcc_lo, 0, v19
	v_min_u32_e32 v17, 32, v17
	s_delay_alu instid0(VALU_DEP_1) | instskip(NEXT) | instid1(VALU_DEP_1)
	v_subrev_nc_u32_e32 v18, 29, v17
	v_dual_lshlrev_b32 v3, v18, v3 :: v_dual_sub_nc_u32 v17, 30, v17
	s_delay_alu instid0(VALU_DEP_1) | instskip(NEXT) | instid1(VALU_DEP_2)
	v_dual_lshlrev_b32 v2, 24, v2 :: v_dual_bitop2_b32 v3, 3, v3 bitop3:0x40
	v_cndmask_b32_e32 v17, v19, v17, vcc_lo
	s_delay_alu instid0(VALU_DEP_2) | instskip(NEXT) | instid1(VALU_DEP_3)
	v_cndmask_b32_e32 v3, v7, v3, vcc_lo
	v_and_b32_e32 v2, 0x80000000, v2
	s_delay_alu instid0(VALU_DEP_3) | instskip(NEXT) | instid1(VALU_DEP_3)
	v_lshl_add_u32 v7, v17, 23, 0x37800000
	v_lshlrev_b32_e32 v3, 21, v3
	s_delay_alu instid0(VALU_DEP_1) | instskip(NEXT) | instid1(VALU_DEP_1)
	v_or3_b32 v2, v2, v7, v3
	v_cvt_f16_f32_e32 v7, v2
.LBB158_3424:
	s_or_b32 exec_lo, exec_lo, s8
	s_mov_b32 s7, 0
	s_branch .LBB158_3430
.LBB158_3425:
	s_mov_b32 s7, -1
                                        ; implicit-def: $vgpr7
	s_branch .LBB158_3436
.LBB158_3426:
	s_or_saveexec_b32 s9, s9
	v_mov_b32_e32 v7, 0x7e00
	s_xor_b32 exec_lo, exec_lo, s9
	s_cbranch_execz .LBB158_3409
.LBB158_3427:
	v_cmp_ne_u16_e32 vcc_lo, 0, v2
	v_mov_b32_e32 v7, v2
	s_and_not1_b32 s8, s8, exec_lo
	s_and_b32 s13, vcc_lo, exec_lo
	s_delay_alu instid0(SALU_CYCLE_1)
	s_or_b32 s8, s8, s13
	s_or_b32 exec_lo, exec_lo, s9
	s_and_saveexec_b32 s9, s8
	s_cbranch_execnz .LBB158_3410
	s_branch .LBB158_3411
.LBB158_3428:
	s_mov_b32 s7, -1
                                        ; implicit-def: $vgpr7
	s_branch .LBB158_3433
.LBB158_3429:
	s_mov_b32 s7, -1
                                        ; implicit-def: $vgpr7
.LBB158_3430:
	s_delay_alu instid0(SALU_CYCLE_1)
	s_and_b32 vcc_lo, exec_lo, s7
	s_cbranch_vccz .LBB158_3432
; %bb.3431:
	global_load_u8 v2, v[0:1], off
	s_wait_loadcnt 0x0
	v_lshlrev_b32_e32 v2, 24, v2
	s_delay_alu instid0(VALU_DEP_1) | instskip(NEXT) | instid1(VALU_DEP_1)
	v_and_b32_e32 v3, 0x7f000000, v2
	v_clz_i32_u32_e32 v7, v3
	v_add_nc_u32_e32 v18, 0x1000000, v3
	v_cmp_ne_u32_e32 vcc_lo, 0, v3
	s_delay_alu instid0(VALU_DEP_3) | instskip(NEXT) | instid1(VALU_DEP_1)
	v_min_u32_e32 v7, 32, v7
	v_sub_nc_u32_e64 v7, v7, 4 clamp
	s_delay_alu instid0(VALU_DEP_1) | instskip(NEXT) | instid1(VALU_DEP_1)
	v_lshlrev_b32_e32 v17, v7, v3
	v_dual_lshlrev_b32 v7, 23, v7 :: v_dual_lshrrev_b32 v17, 4, v17
	s_delay_alu instid0(VALU_DEP_1) | instskip(NEXT) | instid1(VALU_DEP_1)
	v_dual_sub_nc_u32 v7, v17, v7 :: v_dual_ashrrev_i32 v17, 8, v18
	v_add_nc_u32_e32 v7, 0x3c000000, v7
	s_delay_alu instid0(VALU_DEP_1) | instskip(NEXT) | instid1(VALU_DEP_1)
	v_and_or_b32 v7, 0x7f800000, v17, v7
	v_cndmask_b32_e32 v3, 0, v7, vcc_lo
	s_delay_alu instid0(VALU_DEP_1) | instskip(NEXT) | instid1(VALU_DEP_1)
	v_and_or_b32 v2, 0x80000000, v2, v3
	v_cvt_f16_f32_e32 v7, v2
.LBB158_3432:
	s_mov_b32 s7, 0
.LBB158_3433:
	s_delay_alu instid0(SALU_CYCLE_1)
	s_and_not1_b32 vcc_lo, exec_lo, s7
	s_cbranch_vccnz .LBB158_3435
; %bb.3434:
	global_load_u8 v2, v[0:1], off
	s_wait_loadcnt 0x0
	v_lshlrev_b32_e32 v3, 25, v2
	v_lshlrev_b16 v2, 8, v2
	s_delay_alu instid0(VALU_DEP_1) | instskip(SKIP_1) | instid1(VALU_DEP_2)
	v_and_or_b32 v17, 0x7f00, v2, 0.5
	v_bfe_i32 v2, v2, 0, 16
	v_dual_add_f32 v17, -0.5, v17 :: v_dual_lshrrev_b32 v7, 4, v3
	v_cmp_gt_u32_e32 vcc_lo, 0x8000000, v3
	s_delay_alu instid0(VALU_DEP_2) | instskip(NEXT) | instid1(VALU_DEP_1)
	v_or_b32_e32 v7, 0x70000000, v7
	v_mul_f32_e32 v7, 0x7800000, v7
	s_delay_alu instid0(VALU_DEP_1) | instskip(NEXT) | instid1(VALU_DEP_1)
	v_cndmask_b32_e32 v3, v7, v17, vcc_lo
	v_and_or_b32 v2, 0x80000000, v2, v3
	s_delay_alu instid0(VALU_DEP_1)
	v_cvt_f16_f32_e32 v7, v2
.LBB158_3435:
	s_mov_b32 s7, 0
	s_mov_b32 s8, -1
.LBB158_3436:
	s_and_not1_b32 vcc_lo, exec_lo, s7
	s_mov_b32 s7, 0
	s_cbranch_vccnz .LBB158_3447
; %bb.3437:
	s_cmp_gt_i32 s1, 14
	s_cbranch_scc0 .LBB158_3440
; %bb.3438:
	s_cmp_eq_u32 s1, 15
	s_cbranch_scc0 .LBB158_3443
; %bb.3439:
	global_load_u16 v2, v[0:1], off
	s_mov_b32 s6, 0
	s_mov_b32 s8, -1
	s_wait_loadcnt 0x0
	v_lshlrev_b32_e32 v2, 16, v2
	s_delay_alu instid0(VALU_DEP_1)
	v_cvt_f16_f32_e32 v7, v2
	s_branch .LBB158_3445
.LBB158_3440:
	s_mov_b32 s7, -1
	s_branch .LBB158_3444
.LBB158_3441:
	s_or_saveexec_b32 s8, s8
	v_mov_b32_e32 v7, 0x7e00
	s_xor_b32 exec_lo, exec_lo, s8
	s_cbranch_execz .LBB158_3422
.LBB158_3442:
	v_cmp_ne_u16_e32 vcc_lo, 0, v2
	v_mov_b32_e32 v7, v2
	s_and_not1_b32 s7, s7, exec_lo
	s_and_b32 s9, vcc_lo, exec_lo
	s_delay_alu instid0(SALU_CYCLE_1)
	s_or_b32 s7, s7, s9
	s_or_b32 exec_lo, exec_lo, s8
	s_and_saveexec_b32 s8, s7
	s_cbranch_execnz .LBB158_3423
	s_branch .LBB158_3424
.LBB158_3443:
	s_mov_b32 s6, -1
.LBB158_3444:
                                        ; implicit-def: $vgpr7
.LBB158_3445:
	s_and_b32 vcc_lo, exec_lo, s7
	s_mov_b32 s7, 0
	s_cbranch_vccz .LBB158_3447
; %bb.3446:
	s_cmp_lg_u32 s1, 11
	s_mov_b32 s7, -1
	s_cselect_b32 s6, -1, 0
.LBB158_3447:
	s_delay_alu instid0(SALU_CYCLE_1)
	s_and_b32 vcc_lo, exec_lo, s6
	s_cbranch_vccnz .LBB158_3512
; %bb.3448:
	s_and_not1_b32 vcc_lo, exec_lo, s7
	s_cbranch_vccnz .LBB158_3450
.LBB158_3449:
	global_load_u8 v2, v[0:1], off
	s_mov_b32 s8, -1
	s_wait_loadcnt 0x0
	v_cmp_ne_u16_e32 vcc_lo, 0, v2
	v_cndmask_b32_e64 v7, 0, 0x3c00, vcc_lo
.LBB158_3450:
	s_mov_b32 s1, 0
.LBB158_3451:
	s_delay_alu instid0(SALU_CYCLE_1)
	s_and_b32 vcc_lo, exec_lo, s1
	s_cbranch_vccz .LBB158_3500
; %bb.3452:
	s_and_b32 s1, 0xffff, s3
	s_delay_alu instid0(SALU_CYCLE_1)
	s_cmp_lt_i32 s1, 5
	s_cbranch_scc1 .LBB158_3457
; %bb.3453:
	s_cmp_lt_i32 s1, 8
	s_cbranch_scc1 .LBB158_3458
; %bb.3454:
	;; [unrolled: 3-line block ×3, first 2 shown]
	s_cmp_gt_i32 s1, 9
	s_cbranch_scc0 .LBB158_3460
; %bb.3456:
	global_load_b64 v[2:3], v[0:1], off
	s_mov_b32 s3, 0
	s_wait_loadcnt 0x0
	v_and_or_b32 v2, 0x1ff, v3, v2
	v_lshrrev_b32_e32 v7, 8, v3
	v_bfe_u32 v17, v3, 20, 11
	v_lshrrev_b32_e32 v3, 16, v3
	s_delay_alu instid0(VALU_DEP_4) | instskip(NEXT) | instid1(VALU_DEP_3)
	v_cmp_ne_u32_e32 vcc_lo, 0, v2
	v_sub_nc_u32_e32 v18, 0x3f1, v17
	v_add_nc_u32_e32 v17, 0xfffffc10, v17
	v_cndmask_b32_e64 v2, 0, 1, vcc_lo
	s_delay_alu instid0(VALU_DEP_1) | instskip(NEXT) | instid1(VALU_DEP_4)
	v_and_or_b32 v2, 0xffe, v7, v2
	v_med3_i32 v7, v18, 0, 13
	s_delay_alu instid0(VALU_DEP_2) | instskip(NEXT) | instid1(VALU_DEP_1)
	v_or_b32_e32 v18, 0x1000, v2
	v_lshrrev_b32_e32 v19, v7, v18
	s_delay_alu instid0(VALU_DEP_1) | instskip(NEXT) | instid1(VALU_DEP_1)
	v_lshlrev_b32_e32 v7, v7, v19
	v_cmp_ne_u32_e32 vcc_lo, v7, v18
	v_lshl_or_b32 v18, v17, 12, v2
	v_cndmask_b32_e64 v7, 0, 1, vcc_lo
	v_cmp_gt_i32_e32 vcc_lo, 1, v17
	s_delay_alu instid0(VALU_DEP_2) | instskip(NEXT) | instid1(VALU_DEP_1)
	v_or_b32_e32 v7, v19, v7
	v_cndmask_b32_e32 v7, v18, v7, vcc_lo
	s_delay_alu instid0(VALU_DEP_1) | instskip(NEXT) | instid1(VALU_DEP_1)
	v_dual_lshrrev_b32 v7, 2, v7 :: v_dual_bitop2_b32 v18, 7, v7 bitop3:0x40
	v_cmp_lt_i32_e32 vcc_lo, 5, v18
	v_cndmask_b32_e64 v19, 0, 1, vcc_lo
	v_cmp_eq_u32_e32 vcc_lo, 3, v18
	v_cndmask_b32_e64 v18, 0, 1, vcc_lo
	v_cmp_ne_u32_e32 vcc_lo, 0, v2
	s_delay_alu instid0(VALU_DEP_2) | instskip(SKIP_1) | instid1(VALU_DEP_1)
	v_or_b32_e32 v18, v18, v19
	v_mov_b32_e32 v19, 0x7e00
	v_dual_cndmask_b32 v2, 0x7c00, v19 :: v_dual_add_nc_u32 v7, v7, v18
	v_cmp_gt_i32_e32 vcc_lo, 31, v17
	s_delay_alu instid0(VALU_DEP_2) | instskip(SKIP_1) | instid1(VALU_DEP_2)
	v_cndmask_b32_e32 v7, 0x7c00, v7, vcc_lo
	v_cmp_eq_u32_e32 vcc_lo, 0x40f, v17
	v_cndmask_b32_e32 v2, v7, v2, vcc_lo
	s_delay_alu instid0(VALU_DEP_1)
	v_and_or_b32 v7, 0x8000, v3, v2
	s_branch .LBB158_3461
.LBB158_3457:
	s_mov_b32 s3, -1
                                        ; implicit-def: $vgpr7
	s_branch .LBB158_3479
.LBB158_3458:
	s_mov_b32 s3, -1
                                        ; implicit-def: $vgpr7
	s_branch .LBB158_3467
.LBB158_3459:
	s_mov_b32 s3, -1
                                        ; implicit-def: $vgpr7
	s_branch .LBB158_3464
.LBB158_3460:
	s_mov_b32 s3, -1
                                        ; implicit-def: $vgpr7
.LBB158_3461:
	s_delay_alu instid0(SALU_CYCLE_1)
	s_and_not1_b32 vcc_lo, exec_lo, s3
	s_cbranch_vccnz .LBB158_3463
; %bb.3462:
	global_load_b32 v2, v[0:1], off
	s_wait_loadcnt 0x0
	v_cvt_f16_f32_e32 v7, v2
.LBB158_3463:
	s_mov_b32 s3, 0
.LBB158_3464:
	s_delay_alu instid0(SALU_CYCLE_1)
	s_and_not1_b32 vcc_lo, exec_lo, s3
	s_cbranch_vccnz .LBB158_3466
; %bb.3465:
	global_load_b32 v7, v[0:1], off
.LBB158_3466:
	s_mov_b32 s3, 0
.LBB158_3467:
	s_delay_alu instid0(SALU_CYCLE_1)
	s_and_not1_b32 vcc_lo, exec_lo, s3
	s_cbranch_vccnz .LBB158_3478
; %bb.3468:
	s_cmp_lt_i32 s1, 6
	s_cbranch_scc1 .LBB158_3471
; %bb.3469:
	s_cmp_gt_i32 s1, 6
	s_cbranch_scc0 .LBB158_3472
; %bb.3470:
	global_load_b64 v[2:3], v[0:1], off
	s_mov_b32 s3, 0
	s_wait_loadcnt 0x0
	v_and_or_b32 v2, 0x1ff, v3, v2
	v_lshrrev_b32_e32 v7, 8, v3
	v_bfe_u32 v17, v3, 20, 11
	v_lshrrev_b32_e32 v3, 16, v3
	s_delay_alu instid0(VALU_DEP_4) | instskip(NEXT) | instid1(VALU_DEP_3)
	v_cmp_ne_u32_e32 vcc_lo, 0, v2
	v_sub_nc_u32_e32 v18, 0x3f1, v17
	v_add_nc_u32_e32 v17, 0xfffffc10, v17
	v_cndmask_b32_e64 v2, 0, 1, vcc_lo
	s_delay_alu instid0(VALU_DEP_1) | instskip(NEXT) | instid1(VALU_DEP_4)
	v_and_or_b32 v2, 0xffe, v7, v2
	v_med3_i32 v7, v18, 0, 13
	s_delay_alu instid0(VALU_DEP_2) | instskip(NEXT) | instid1(VALU_DEP_1)
	v_or_b32_e32 v18, 0x1000, v2
	v_lshrrev_b32_e32 v19, v7, v18
	s_delay_alu instid0(VALU_DEP_1) | instskip(NEXT) | instid1(VALU_DEP_1)
	v_lshlrev_b32_e32 v7, v7, v19
	v_cmp_ne_u32_e32 vcc_lo, v7, v18
	v_lshl_or_b32 v18, v17, 12, v2
	v_cndmask_b32_e64 v7, 0, 1, vcc_lo
	v_cmp_gt_i32_e32 vcc_lo, 1, v17
	s_delay_alu instid0(VALU_DEP_2) | instskip(NEXT) | instid1(VALU_DEP_1)
	v_or_b32_e32 v7, v19, v7
	v_cndmask_b32_e32 v7, v18, v7, vcc_lo
	s_delay_alu instid0(VALU_DEP_1) | instskip(NEXT) | instid1(VALU_DEP_1)
	v_dual_lshrrev_b32 v7, 2, v7 :: v_dual_bitop2_b32 v18, 7, v7 bitop3:0x40
	v_cmp_lt_i32_e32 vcc_lo, 5, v18
	v_cndmask_b32_e64 v19, 0, 1, vcc_lo
	v_cmp_eq_u32_e32 vcc_lo, 3, v18
	v_cndmask_b32_e64 v18, 0, 1, vcc_lo
	v_cmp_ne_u32_e32 vcc_lo, 0, v2
	s_delay_alu instid0(VALU_DEP_2) | instskip(SKIP_1) | instid1(VALU_DEP_1)
	v_or_b32_e32 v18, v18, v19
	v_mov_b32_e32 v19, 0x7e00
	v_dual_cndmask_b32 v2, 0x7c00, v19 :: v_dual_add_nc_u32 v7, v7, v18
	v_cmp_gt_i32_e32 vcc_lo, 31, v17
	s_delay_alu instid0(VALU_DEP_2) | instskip(SKIP_1) | instid1(VALU_DEP_2)
	v_cndmask_b32_e32 v7, 0x7c00, v7, vcc_lo
	v_cmp_eq_u32_e32 vcc_lo, 0x40f, v17
	v_cndmask_b32_e32 v2, v7, v2, vcc_lo
	s_delay_alu instid0(VALU_DEP_1)
	v_and_or_b32 v7, 0x8000, v3, v2
	s_branch .LBB158_3473
.LBB158_3471:
	s_mov_b32 s3, -1
                                        ; implicit-def: $vgpr7
	s_branch .LBB158_3476
.LBB158_3472:
	s_mov_b32 s3, -1
                                        ; implicit-def: $vgpr7
.LBB158_3473:
	s_delay_alu instid0(SALU_CYCLE_1)
	s_and_not1_b32 vcc_lo, exec_lo, s3
	s_cbranch_vccnz .LBB158_3475
; %bb.3474:
	global_load_b32 v2, v[0:1], off
	s_wait_loadcnt 0x0
	v_cvt_f16_f32_e32 v7, v2
.LBB158_3475:
	s_mov_b32 s3, 0
.LBB158_3476:
	s_delay_alu instid0(SALU_CYCLE_1)
	s_and_not1_b32 vcc_lo, exec_lo, s3
	s_cbranch_vccnz .LBB158_3478
; %bb.3477:
	s_wait_loadcnt 0x0
	global_load_u16 v7, v[0:1], off
.LBB158_3478:
	s_mov_b32 s3, 0
.LBB158_3479:
	s_delay_alu instid0(SALU_CYCLE_1)
	s_and_not1_b32 vcc_lo, exec_lo, s3
	s_cbranch_vccnz .LBB158_3499
; %bb.3480:
	s_cmp_lt_i32 s1, 2
	s_cbranch_scc1 .LBB158_3484
; %bb.3481:
	s_cmp_lt_i32 s1, 3
	s_cbranch_scc1 .LBB158_3485
; %bb.3482:
	s_cmp_gt_i32 s1, 3
	s_cbranch_scc0 .LBB158_3486
; %bb.3483:
	global_load_b64 v[2:3], v[0:1], off
	s_mov_b32 s3, 0
	s_wait_loadcnt 0x0
	v_xor_b32_e32 v7, v2, v3
	v_cls_i32_e32 v17, v3
	s_delay_alu instid0(VALU_DEP_2) | instskip(NEXT) | instid1(VALU_DEP_1)
	v_ashrrev_i32_e32 v7, 31, v7
	v_add_nc_u32_e32 v7, 32, v7
	s_delay_alu instid0(VALU_DEP_1) | instskip(NEXT) | instid1(VALU_DEP_1)
	v_add_min_u32_e64 v7, v17, -1, v7
	v_lshlrev_b64_e32 v[2:3], v7, v[2:3]
	s_delay_alu instid0(VALU_DEP_1) | instskip(NEXT) | instid1(VALU_DEP_1)
	v_min_u32_e32 v2, 1, v2
	v_dual_sub_nc_u32 v3, 32, v7 :: v_dual_bitop2_b32 v2, v3, v2 bitop3:0x54
	s_delay_alu instid0(VALU_DEP_1) | instskip(NEXT) | instid1(VALU_DEP_1)
	v_cvt_f32_i32_e32 v2, v2
	v_ldexp_f32 v2, v2, v3
	s_delay_alu instid0(VALU_DEP_1)
	v_cvt_f16_f32_e32 v7, v2
	s_branch .LBB158_3487
.LBB158_3484:
	s_mov_b32 s3, -1
                                        ; implicit-def: $vgpr7
	s_branch .LBB158_3493
.LBB158_3485:
	s_mov_b32 s3, -1
                                        ; implicit-def: $vgpr7
	s_branch .LBB158_3490
.LBB158_3486:
	s_mov_b32 s3, -1
                                        ; implicit-def: $vgpr7
.LBB158_3487:
	s_delay_alu instid0(SALU_CYCLE_1)
	s_and_not1_b32 vcc_lo, exec_lo, s3
	s_cbranch_vccnz .LBB158_3489
; %bb.3488:
	global_load_b32 v2, v[0:1], off
	s_wait_loadcnt 0x0
	v_cvt_f32_i32_e32 v2, v2
	s_delay_alu instid0(VALU_DEP_1)
	v_cvt_f16_f32_e32 v7, v2
.LBB158_3489:
	s_mov_b32 s3, 0
.LBB158_3490:
	s_delay_alu instid0(SALU_CYCLE_1)
	s_and_not1_b32 vcc_lo, exec_lo, s3
	s_cbranch_vccnz .LBB158_3492
; %bb.3491:
	global_load_u16 v2, v[0:1], off
	s_wait_loadcnt 0x0
	v_cvt_f16_i16_e32 v7, v2
.LBB158_3492:
	s_mov_b32 s3, 0
.LBB158_3493:
	s_delay_alu instid0(SALU_CYCLE_1)
	s_and_not1_b32 vcc_lo, exec_lo, s3
	s_cbranch_vccnz .LBB158_3499
; %bb.3494:
	s_cmp_gt_i32 s1, 0
	s_mov_b32 s1, 0
	s_cbranch_scc0 .LBB158_3496
; %bb.3495:
	global_load_i8 v2, v[0:1], off
	s_wait_loadcnt 0x0
	v_cvt_f16_i16_e32 v7, v2
	s_branch .LBB158_3497
.LBB158_3496:
	s_mov_b32 s1, -1
                                        ; implicit-def: $vgpr7
.LBB158_3497:
	s_delay_alu instid0(SALU_CYCLE_1)
	s_and_not1_b32 vcc_lo, exec_lo, s1
	s_cbranch_vccnz .LBB158_3499
; %bb.3498:
	global_load_u8 v0, v[0:1], off
	s_wait_loadcnt 0x0
	v_cvt_f16_u16_e32 v7, v0
.LBB158_3499:
	s_mov_b32 s8, -1
.LBB158_3500:
	s_delay_alu instid0(SALU_CYCLE_1)
	s_and_not1_b32 vcc_lo, exec_lo, s8
	s_cbranch_vccnz .LBB158_4065
; %bb.3501:
	s_wait_xcnt 0x0
	v_add_nc_u32_e32 v0, s14, v4
	s_cmp_lt_i32 s0, 11
	s_delay_alu instid0(VALU_DEP_1) | instskip(NEXT) | instid1(VALU_DEP_1)
	v_ashrrev_i32_e32 v1, 31, v0
	v_add_nc_u64_e32 v[0:1], s[10:11], v[0:1]
	s_cbranch_scc1 .LBB158_3508
; %bb.3502:
	s_cmp_gt_i32 s0, 25
	s_mov_b32 s3, 0
	s_cbranch_scc0 .LBB158_3509
; %bb.3503:
	s_cmp_gt_i32 s0, 28
	s_cbranch_scc0 .LBB158_3510
; %bb.3504:
	s_cmp_gt_i32 s0, 43
	;; [unrolled: 3-line block ×3, first 2 shown]
	s_cbranch_scc0 .LBB158_3513
; %bb.3506:
	s_cmp_eq_u32 s0, 46
	s_mov_b32 s7, 0
	s_cbranch_scc0 .LBB158_3514
; %bb.3507:
	global_load_b32 v2, v[0:1], off
	s_mov_b32 s1, 0
	s_mov_b32 s6, -1
	s_wait_loadcnt 0x0
	v_lshlrev_b32_e32 v2, 16, v2
	s_delay_alu instid0(VALU_DEP_1)
	v_cvt_f16_f32_e32 v4, v2
	s_branch .LBB158_3516
.LBB158_3508:
	s_mov_b32 s1, -1
	s_mov_b32 s6, 0
                                        ; implicit-def: $vgpr4
	s_branch .LBB158_3582
.LBB158_3509:
	s_mov_b32 s7, -1
	s_mov_b32 s6, 0
	s_mov_b32 s1, 0
                                        ; implicit-def: $vgpr4
	s_branch .LBB158_3545
.LBB158_3510:
	s_mov_b32 s7, -1
	s_mov_b32 s6, 0
	s_mov_b32 s1, 0
                                        ; implicit-def: $vgpr4
	s_branch .LBB158_3526
.LBB158_3511:
	s_mov_b32 s7, -1
	s_mov_b32 s6, 0
	s_mov_b32 s1, 0
                                        ; implicit-def: $vgpr4
	s_branch .LBB158_3521
.LBB158_3512:
	s_or_b32 s16, s16, exec_lo
	s_trap 2
	s_cbranch_execz .LBB158_3449
	s_branch .LBB158_3450
.LBB158_3513:
	s_mov_b32 s7, -1
	s_mov_b32 s6, 0
	s_mov_b32 s1, 0
	s_branch .LBB158_3515
.LBB158_3514:
	s_mov_b32 s1, -1
	s_mov_b32 s6, 0
.LBB158_3515:
                                        ; implicit-def: $vgpr4
.LBB158_3516:
	s_and_b32 vcc_lo, exec_lo, s7
	s_cbranch_vccz .LBB158_3520
; %bb.3517:
	s_cmp_eq_u32 s0, 44
	s_cbranch_scc0 .LBB158_3519
; %bb.3518:
	global_load_u8 v2, v[0:1], off
	s_mov_b32 s1, 0
	s_mov_b32 s6, -1
	s_wait_loadcnt 0x0
	v_lshlrev_b32_e32 v3, 23, v2
	v_cmp_ne_u32_e32 vcc_lo, 0xff, v2
	s_delay_alu instid0(VALU_DEP_2) | instskip(NEXT) | instid1(VALU_DEP_1)
	v_cvt_f16_f32_e32 v3, v3
	v_cndmask_b32_e32 v3, 0x7e00, v3, vcc_lo
	v_cmp_ne_u32_e32 vcc_lo, 0, v2
	s_delay_alu instid0(VALU_DEP_2)
	v_cndmask_b32_e32 v4, 0, v3, vcc_lo
	s_branch .LBB158_3520
.LBB158_3519:
	s_mov_b32 s1, -1
                                        ; implicit-def: $vgpr4
.LBB158_3520:
	s_mov_b32 s7, 0
.LBB158_3521:
	s_delay_alu instid0(SALU_CYCLE_1)
	s_and_b32 vcc_lo, exec_lo, s7
	s_cbranch_vccz .LBB158_3525
; %bb.3522:
	s_cmp_eq_u32 s0, 29
	s_cbranch_scc0 .LBB158_3524
; %bb.3523:
	global_load_b64 v[2:3], v[0:1], off
	s_mov_b32 s1, 0
	s_mov_b32 s6, -1
	s_mov_b32 s7, 0
	s_wait_loadcnt 0x0
	v_clz_i32_u32_e32 v4, v3
	s_delay_alu instid0(VALU_DEP_1) | instskip(NEXT) | instid1(VALU_DEP_1)
	v_min_u32_e32 v4, 32, v4
	v_lshlrev_b64_e32 v[2:3], v4, v[2:3]
	s_delay_alu instid0(VALU_DEP_1) | instskip(NEXT) | instid1(VALU_DEP_1)
	v_min_u32_e32 v2, 1, v2
	v_dual_sub_nc_u32 v3, 32, v4 :: v_dual_bitop2_b32 v2, v3, v2 bitop3:0x54
	s_delay_alu instid0(VALU_DEP_1) | instskip(NEXT) | instid1(VALU_DEP_1)
	v_cvt_f32_u32_e32 v2, v2
	v_ldexp_f32 v2, v2, v3
	s_delay_alu instid0(VALU_DEP_1)
	v_cvt_f16_f32_e32 v4, v2
	s_branch .LBB158_3526
.LBB158_3524:
	s_mov_b32 s1, -1
                                        ; implicit-def: $vgpr4
.LBB158_3525:
	s_mov_b32 s7, 0
.LBB158_3526:
	s_delay_alu instid0(SALU_CYCLE_1)
	s_and_b32 vcc_lo, exec_lo, s7
	s_cbranch_vccz .LBB158_3544
; %bb.3527:
	s_cmp_lt_i32 s0, 27
	s_cbranch_scc1 .LBB158_3530
; %bb.3528:
	s_cmp_gt_i32 s0, 27
	s_cbranch_scc0 .LBB158_3531
; %bb.3529:
	global_load_b32 v2, v[0:1], off
	s_mov_b32 s6, 0
	s_wait_loadcnt 0x0
	v_cvt_f32_u32_e32 v2, v2
	s_delay_alu instid0(VALU_DEP_1)
	v_cvt_f16_f32_e32 v4, v2
	s_branch .LBB158_3532
.LBB158_3530:
	s_mov_b32 s6, -1
                                        ; implicit-def: $vgpr4
	s_branch .LBB158_3535
.LBB158_3531:
	s_mov_b32 s6, -1
                                        ; implicit-def: $vgpr4
.LBB158_3532:
	s_delay_alu instid0(SALU_CYCLE_1)
	s_and_not1_b32 vcc_lo, exec_lo, s6
	s_cbranch_vccnz .LBB158_3534
; %bb.3533:
	global_load_u16 v2, v[0:1], off
	s_wait_loadcnt 0x0
	v_cvt_f16_u16_e32 v4, v2
.LBB158_3534:
	s_mov_b32 s6, 0
.LBB158_3535:
	s_delay_alu instid0(SALU_CYCLE_1)
	s_and_not1_b32 vcc_lo, exec_lo, s6
	s_cbranch_vccnz .LBB158_3543
; %bb.3536:
	global_load_u8 v2, v[0:1], off
	s_mov_b32 s6, 0
	s_mov_b32 s7, exec_lo
	s_wait_loadcnt 0x0
	v_cmpx_lt_i16_e32 0x7f, v2
	s_xor_b32 s7, exec_lo, s7
	s_cbranch_execz .LBB158_3557
; %bb.3537:
	s_mov_b32 s6, -1
	s_mov_b32 s8, exec_lo
	v_cmpx_eq_u16_e32 0x80, v2
; %bb.3538:
	s_xor_b32 s6, exec_lo, -1
; %bb.3539:
	s_or_b32 exec_lo, exec_lo, s8
	s_delay_alu instid0(SALU_CYCLE_1)
	s_and_b32 s6, s6, exec_lo
	s_or_saveexec_b32 s7, s7
	v_mov_b32_e32 v4, 0x7e00
	s_xor_b32 exec_lo, exec_lo, s7
	s_cbranch_execnz .LBB158_3558
.LBB158_3540:
	s_or_b32 exec_lo, exec_lo, s7
	s_and_saveexec_b32 s7, s6
	s_cbranch_execz .LBB158_3542
.LBB158_3541:
	v_and_b32_e32 v3, 0xffff, v2
	s_delay_alu instid0(VALU_DEP_1) | instskip(SKIP_1) | instid1(VALU_DEP_2)
	v_and_b32_e32 v4, 7, v3
	v_bfe_u32 v19, v3, 3, 4
	v_clz_i32_u32_e32 v17, v4
	s_delay_alu instid0(VALU_DEP_2) | instskip(NEXT) | instid1(VALU_DEP_2)
	v_cmp_eq_u32_e32 vcc_lo, 0, v19
	v_min_u32_e32 v17, 32, v17
	s_delay_alu instid0(VALU_DEP_1) | instskip(NEXT) | instid1(VALU_DEP_1)
	v_subrev_nc_u32_e32 v18, 28, v17
	v_dual_lshlrev_b32 v3, v18, v3 :: v_dual_sub_nc_u32 v17, 29, v17
	s_delay_alu instid0(VALU_DEP_1) | instskip(NEXT) | instid1(VALU_DEP_1)
	v_dual_lshlrev_b32 v2, 24, v2 :: v_dual_bitop2_b32 v3, 7, v3 bitop3:0x40
	v_dual_cndmask_b32 v17, v19, v17, vcc_lo :: v_dual_cndmask_b32 v3, v4, v3, vcc_lo
	s_delay_alu instid0(VALU_DEP_2) | instskip(NEXT) | instid1(VALU_DEP_2)
	v_and_b32_e32 v2, 0x80000000, v2
	v_lshl_add_u32 v4, v17, 23, 0x3b800000
	s_delay_alu instid0(VALU_DEP_3) | instskip(NEXT) | instid1(VALU_DEP_1)
	v_lshlrev_b32_e32 v3, 20, v3
	v_or3_b32 v2, v2, v4, v3
	s_delay_alu instid0(VALU_DEP_1)
	v_cvt_f16_f32_e32 v4, v2
.LBB158_3542:
	s_or_b32 exec_lo, exec_lo, s7
.LBB158_3543:
	s_mov_b32 s6, -1
.LBB158_3544:
	s_mov_b32 s7, 0
.LBB158_3545:
	s_delay_alu instid0(SALU_CYCLE_1)
	s_and_b32 vcc_lo, exec_lo, s7
	s_cbranch_vccz .LBB158_3578
; %bb.3546:
	s_cmp_gt_i32 s0, 22
	s_cbranch_scc0 .LBB158_3556
; %bb.3547:
	s_cmp_lt_i32 s0, 24
	s_cbranch_scc1 .LBB158_3559
; %bb.3548:
	s_cmp_gt_i32 s0, 24
	s_cbranch_scc0 .LBB158_3560
; %bb.3549:
	global_load_u8 v2, v[0:1], off
	s_mov_b32 s6, exec_lo
	s_wait_loadcnt 0x0
	v_cmpx_lt_i16_e32 0x7f, v2
	s_xor_b32 s6, exec_lo, s6
	s_cbranch_execz .LBB158_3572
; %bb.3550:
	s_mov_b32 s3, -1
	s_mov_b32 s7, exec_lo
	v_cmpx_eq_u16_e32 0x80, v2
; %bb.3551:
	s_xor_b32 s3, exec_lo, -1
; %bb.3552:
	s_or_b32 exec_lo, exec_lo, s7
	s_delay_alu instid0(SALU_CYCLE_1)
	s_and_b32 s3, s3, exec_lo
	s_or_saveexec_b32 s6, s6
	v_mov_b32_e32 v4, 0x7e00
	s_xor_b32 exec_lo, exec_lo, s6
	s_cbranch_execnz .LBB158_3573
.LBB158_3553:
	s_or_b32 exec_lo, exec_lo, s6
	s_and_saveexec_b32 s6, s3
	s_cbranch_execz .LBB158_3555
.LBB158_3554:
	v_and_b32_e32 v3, 0xffff, v2
	s_delay_alu instid0(VALU_DEP_1) | instskip(SKIP_1) | instid1(VALU_DEP_2)
	v_and_b32_e32 v4, 3, v3
	v_bfe_u32 v19, v3, 2, 5
	v_clz_i32_u32_e32 v17, v4
	s_delay_alu instid0(VALU_DEP_2) | instskip(NEXT) | instid1(VALU_DEP_2)
	v_cmp_eq_u32_e32 vcc_lo, 0, v19
	v_min_u32_e32 v17, 32, v17
	s_delay_alu instid0(VALU_DEP_1) | instskip(NEXT) | instid1(VALU_DEP_1)
	v_subrev_nc_u32_e32 v18, 29, v17
	v_dual_lshlrev_b32 v3, v18, v3 :: v_dual_sub_nc_u32 v17, 30, v17
	s_delay_alu instid0(VALU_DEP_1) | instskip(NEXT) | instid1(VALU_DEP_1)
	v_dual_lshlrev_b32 v2, 24, v2 :: v_dual_bitop2_b32 v3, 3, v3 bitop3:0x40
	v_dual_cndmask_b32 v17, v19, v17, vcc_lo :: v_dual_cndmask_b32 v3, v4, v3, vcc_lo
	s_delay_alu instid0(VALU_DEP_2) | instskip(NEXT) | instid1(VALU_DEP_2)
	v_and_b32_e32 v2, 0x80000000, v2
	v_lshl_add_u32 v4, v17, 23, 0x37800000
	s_delay_alu instid0(VALU_DEP_3) | instskip(NEXT) | instid1(VALU_DEP_1)
	v_lshlrev_b32_e32 v3, 21, v3
	v_or3_b32 v2, v2, v4, v3
	s_delay_alu instid0(VALU_DEP_1)
	v_cvt_f16_f32_e32 v4, v2
.LBB158_3555:
	s_or_b32 exec_lo, exec_lo, s6
	s_mov_b32 s3, 0
	s_branch .LBB158_3561
.LBB158_3556:
	s_mov_b32 s3, -1
                                        ; implicit-def: $vgpr4
	s_branch .LBB158_3567
.LBB158_3557:
	s_or_saveexec_b32 s7, s7
	v_mov_b32_e32 v4, 0x7e00
	s_xor_b32 exec_lo, exec_lo, s7
	s_cbranch_execz .LBB158_3540
.LBB158_3558:
	v_cmp_ne_u16_e32 vcc_lo, 0, v2
	v_mov_b32_e32 v4, v2
	s_and_not1_b32 s6, s6, exec_lo
	s_and_b32 s8, vcc_lo, exec_lo
	s_delay_alu instid0(SALU_CYCLE_1)
	s_or_b32 s6, s6, s8
	s_or_b32 exec_lo, exec_lo, s7
	s_and_saveexec_b32 s7, s6
	s_cbranch_execnz .LBB158_3541
	s_branch .LBB158_3542
.LBB158_3559:
	s_mov_b32 s3, -1
                                        ; implicit-def: $vgpr4
	s_branch .LBB158_3564
.LBB158_3560:
	s_mov_b32 s3, -1
                                        ; implicit-def: $vgpr4
.LBB158_3561:
	s_delay_alu instid0(SALU_CYCLE_1)
	s_and_b32 vcc_lo, exec_lo, s3
	s_cbranch_vccz .LBB158_3563
; %bb.3562:
	global_load_u8 v2, v[0:1], off
	s_wait_loadcnt 0x0
	v_lshlrev_b32_e32 v2, 24, v2
	s_delay_alu instid0(VALU_DEP_1) | instskip(NEXT) | instid1(VALU_DEP_1)
	v_and_b32_e32 v3, 0x7f000000, v2
	v_clz_i32_u32_e32 v4, v3
	v_cmp_ne_u32_e32 vcc_lo, 0, v3
	v_add_nc_u32_e32 v18, 0x1000000, v3
	s_delay_alu instid0(VALU_DEP_3) | instskip(NEXT) | instid1(VALU_DEP_1)
	v_min_u32_e32 v4, 32, v4
	v_sub_nc_u32_e64 v4, v4, 4 clamp
	s_delay_alu instid0(VALU_DEP_1) | instskip(NEXT) | instid1(VALU_DEP_1)
	v_dual_lshlrev_b32 v17, v4, v3 :: v_dual_lshlrev_b32 v4, 23, v4
	v_lshrrev_b32_e32 v17, 4, v17
	s_delay_alu instid0(VALU_DEP_1) | instskip(NEXT) | instid1(VALU_DEP_1)
	v_dual_sub_nc_u32 v4, v17, v4 :: v_dual_ashrrev_i32 v17, 8, v18
	v_add_nc_u32_e32 v4, 0x3c000000, v4
	s_delay_alu instid0(VALU_DEP_1) | instskip(NEXT) | instid1(VALU_DEP_1)
	v_and_or_b32 v4, 0x7f800000, v17, v4
	v_cndmask_b32_e32 v3, 0, v4, vcc_lo
	s_delay_alu instid0(VALU_DEP_1) | instskip(NEXT) | instid1(VALU_DEP_1)
	v_and_or_b32 v2, 0x80000000, v2, v3
	v_cvt_f16_f32_e32 v4, v2
.LBB158_3563:
	s_mov_b32 s3, 0
.LBB158_3564:
	s_delay_alu instid0(SALU_CYCLE_1)
	s_and_not1_b32 vcc_lo, exec_lo, s3
	s_cbranch_vccnz .LBB158_3566
; %bb.3565:
	global_load_u8 v2, v[0:1], off
	s_wait_loadcnt 0x0
	v_lshlrev_b32_e32 v3, 25, v2
	v_lshlrev_b16 v2, 8, v2
	s_delay_alu instid0(VALU_DEP_1) | instskip(SKIP_1) | instid1(VALU_DEP_2)
	v_and_or_b32 v17, 0x7f00, v2, 0.5
	v_bfe_i32 v2, v2, 0, 16
	v_dual_add_f32 v17, -0.5, v17 :: v_dual_lshrrev_b32 v4, 4, v3
	v_cmp_gt_u32_e32 vcc_lo, 0x8000000, v3
	s_delay_alu instid0(VALU_DEP_2) | instskip(NEXT) | instid1(VALU_DEP_1)
	v_or_b32_e32 v4, 0x70000000, v4
	v_mul_f32_e32 v4, 0x7800000, v4
	s_delay_alu instid0(VALU_DEP_1) | instskip(NEXT) | instid1(VALU_DEP_1)
	v_cndmask_b32_e32 v3, v4, v17, vcc_lo
	v_and_or_b32 v2, 0x80000000, v2, v3
	s_delay_alu instid0(VALU_DEP_1)
	v_cvt_f16_f32_e32 v4, v2
.LBB158_3566:
	s_mov_b32 s3, 0
	s_mov_b32 s6, -1
.LBB158_3567:
	s_and_not1_b32 vcc_lo, exec_lo, s3
	s_mov_b32 s3, 0
	s_cbranch_vccnz .LBB158_3578
; %bb.3568:
	s_cmp_gt_i32 s0, 14
	s_cbranch_scc0 .LBB158_3571
; %bb.3569:
	s_cmp_eq_u32 s0, 15
	s_cbranch_scc0 .LBB158_3574
; %bb.3570:
	global_load_u16 v2, v[0:1], off
	s_mov_b32 s1, 0
	s_mov_b32 s6, -1
	s_wait_loadcnt 0x0
	v_lshlrev_b32_e32 v2, 16, v2
	s_delay_alu instid0(VALU_DEP_1)
	v_cvt_f16_f32_e32 v4, v2
	s_branch .LBB158_3576
.LBB158_3571:
	s_mov_b32 s3, -1
	s_branch .LBB158_3575
.LBB158_3572:
	s_or_saveexec_b32 s6, s6
	v_mov_b32_e32 v4, 0x7e00
	s_xor_b32 exec_lo, exec_lo, s6
	s_cbranch_execz .LBB158_3553
.LBB158_3573:
	v_cmp_ne_u16_e32 vcc_lo, 0, v2
	v_mov_b32_e32 v4, v2
	s_and_not1_b32 s3, s3, exec_lo
	s_and_b32 s7, vcc_lo, exec_lo
	s_delay_alu instid0(SALU_CYCLE_1)
	s_or_b32 s3, s3, s7
	s_or_b32 exec_lo, exec_lo, s6
	s_and_saveexec_b32 s6, s3
	s_cbranch_execnz .LBB158_3554
	s_branch .LBB158_3555
.LBB158_3574:
	s_mov_b32 s1, -1
.LBB158_3575:
                                        ; implicit-def: $vgpr4
.LBB158_3576:
	s_and_b32 vcc_lo, exec_lo, s3
	s_mov_b32 s3, 0
	s_cbranch_vccz .LBB158_3578
; %bb.3577:
	s_cmp_lg_u32 s0, 11
	s_mov_b32 s3, -1
	s_cselect_b32 s1, -1, 0
.LBB158_3578:
	s_delay_alu instid0(SALU_CYCLE_1)
	s_and_b32 vcc_lo, exec_lo, s1
	s_cbranch_vccnz .LBB158_4111
; %bb.3579:
	s_and_not1_b32 vcc_lo, exec_lo, s3
	s_cbranch_vccnz .LBB158_3581
.LBB158_3580:
	global_load_u8 v2, v[0:1], off
	s_mov_b32 s6, -1
	s_wait_loadcnt 0x0
	v_cmp_ne_u16_e32 vcc_lo, 0, v2
	v_cndmask_b32_e64 v4, 0, 0x3c00, vcc_lo
.LBB158_3581:
	s_mov_b32 s1, 0
.LBB158_3582:
	s_delay_alu instid0(SALU_CYCLE_1)
	s_and_b32 vcc_lo, exec_lo, s1
	s_cbranch_vccz .LBB158_3631
; %bb.3583:
	s_cmp_lt_i32 s0, 5
	s_cbranch_scc1 .LBB158_3588
; %bb.3584:
	s_cmp_lt_i32 s0, 8
	s_cbranch_scc1 .LBB158_3589
	;; [unrolled: 3-line block ×3, first 2 shown]
; %bb.3586:
	s_cmp_gt_i32 s0, 9
	s_cbranch_scc0 .LBB158_3591
; %bb.3587:
	global_load_b64 v[2:3], v[0:1], off
	s_mov_b32 s1, 0
	s_wait_loadcnt 0x0
	v_and_or_b32 v2, 0x1ff, v3, v2
	v_lshrrev_b32_e32 v4, 8, v3
	v_bfe_u32 v17, v3, 20, 11
	v_lshrrev_b32_e32 v3, 16, v3
	s_delay_alu instid0(VALU_DEP_4) | instskip(NEXT) | instid1(VALU_DEP_3)
	v_cmp_ne_u32_e32 vcc_lo, 0, v2
	v_sub_nc_u32_e32 v18, 0x3f1, v17
	v_add_nc_u32_e32 v17, 0xfffffc10, v17
	v_cndmask_b32_e64 v2, 0, 1, vcc_lo
	s_delay_alu instid0(VALU_DEP_1) | instskip(NEXT) | instid1(VALU_DEP_4)
	v_and_or_b32 v2, 0xffe, v4, v2
	v_med3_i32 v4, v18, 0, 13
	s_delay_alu instid0(VALU_DEP_2) | instskip(NEXT) | instid1(VALU_DEP_1)
	v_or_b32_e32 v18, 0x1000, v2
	v_lshrrev_b32_e32 v19, v4, v18
	s_delay_alu instid0(VALU_DEP_1) | instskip(NEXT) | instid1(VALU_DEP_1)
	v_lshlrev_b32_e32 v4, v4, v19
	v_cmp_ne_u32_e32 vcc_lo, v4, v18
	v_lshl_or_b32 v18, v17, 12, v2
	v_cndmask_b32_e64 v4, 0, 1, vcc_lo
	v_cmp_gt_i32_e32 vcc_lo, 1, v17
	s_delay_alu instid0(VALU_DEP_2) | instskip(NEXT) | instid1(VALU_DEP_1)
	v_or_b32_e32 v4, v19, v4
	v_cndmask_b32_e32 v4, v18, v4, vcc_lo
	s_delay_alu instid0(VALU_DEP_1) | instskip(NEXT) | instid1(VALU_DEP_1)
	v_dual_lshrrev_b32 v4, 2, v4 :: v_dual_bitop2_b32 v18, 7, v4 bitop3:0x40
	v_cmp_lt_i32_e32 vcc_lo, 5, v18
	v_cndmask_b32_e64 v19, 0, 1, vcc_lo
	v_cmp_eq_u32_e32 vcc_lo, 3, v18
	v_cndmask_b32_e64 v18, 0, 1, vcc_lo
	v_cmp_ne_u32_e32 vcc_lo, 0, v2
	s_delay_alu instid0(VALU_DEP_2) | instskip(NEXT) | instid1(VALU_DEP_1)
	v_or_b32_e32 v18, v18, v19
	v_dual_mov_b32 v19, 0x7e00 :: v_dual_add_nc_u32 v4, v4, v18
	s_delay_alu instid0(VALU_DEP_1) | instskip(SKIP_1) | instid1(VALU_DEP_3)
	v_cndmask_b32_e32 v2, 0x7c00, v19, vcc_lo
	v_cmp_gt_i32_e32 vcc_lo, 31, v17
	v_cndmask_b32_e32 v4, 0x7c00, v4, vcc_lo
	v_cmp_eq_u32_e32 vcc_lo, 0x40f, v17
	s_delay_alu instid0(VALU_DEP_2) | instskip(NEXT) | instid1(VALU_DEP_1)
	v_cndmask_b32_e32 v2, v4, v2, vcc_lo
	v_and_or_b32 v4, 0x8000, v3, v2
	s_branch .LBB158_3592
.LBB158_3588:
	s_mov_b32 s1, -1
                                        ; implicit-def: $vgpr4
	s_branch .LBB158_3610
.LBB158_3589:
	s_mov_b32 s1, -1
                                        ; implicit-def: $vgpr4
	s_branch .LBB158_3598
.LBB158_3590:
	s_mov_b32 s1, -1
                                        ; implicit-def: $vgpr4
	s_branch .LBB158_3595
.LBB158_3591:
	s_mov_b32 s1, -1
                                        ; implicit-def: $vgpr4
.LBB158_3592:
	s_delay_alu instid0(SALU_CYCLE_1)
	s_and_not1_b32 vcc_lo, exec_lo, s1
	s_cbranch_vccnz .LBB158_3594
; %bb.3593:
	global_load_b32 v2, v[0:1], off
	s_wait_loadcnt 0x0
	v_cvt_f16_f32_e32 v4, v2
.LBB158_3594:
	s_mov_b32 s1, 0
.LBB158_3595:
	s_delay_alu instid0(SALU_CYCLE_1)
	s_and_not1_b32 vcc_lo, exec_lo, s1
	s_cbranch_vccnz .LBB158_3597
; %bb.3596:
	global_load_b32 v4, v[0:1], off
.LBB158_3597:
	s_mov_b32 s1, 0
.LBB158_3598:
	s_delay_alu instid0(SALU_CYCLE_1)
	s_and_not1_b32 vcc_lo, exec_lo, s1
	s_cbranch_vccnz .LBB158_3609
; %bb.3599:
	s_cmp_lt_i32 s0, 6
	s_cbranch_scc1 .LBB158_3602
; %bb.3600:
	s_cmp_gt_i32 s0, 6
	s_cbranch_scc0 .LBB158_3603
; %bb.3601:
	global_load_b64 v[2:3], v[0:1], off
	s_mov_b32 s1, 0
	s_wait_loadcnt 0x0
	v_and_or_b32 v2, 0x1ff, v3, v2
	v_lshrrev_b32_e32 v4, 8, v3
	v_bfe_u32 v17, v3, 20, 11
	v_lshrrev_b32_e32 v3, 16, v3
	s_delay_alu instid0(VALU_DEP_4) | instskip(NEXT) | instid1(VALU_DEP_3)
	v_cmp_ne_u32_e32 vcc_lo, 0, v2
	v_sub_nc_u32_e32 v18, 0x3f1, v17
	v_add_nc_u32_e32 v17, 0xfffffc10, v17
	v_cndmask_b32_e64 v2, 0, 1, vcc_lo
	s_delay_alu instid0(VALU_DEP_1) | instskip(NEXT) | instid1(VALU_DEP_4)
	v_and_or_b32 v2, 0xffe, v4, v2
	v_med3_i32 v4, v18, 0, 13
	s_delay_alu instid0(VALU_DEP_2) | instskip(NEXT) | instid1(VALU_DEP_1)
	v_or_b32_e32 v18, 0x1000, v2
	v_lshrrev_b32_e32 v19, v4, v18
	s_delay_alu instid0(VALU_DEP_1) | instskip(NEXT) | instid1(VALU_DEP_1)
	v_lshlrev_b32_e32 v4, v4, v19
	v_cmp_ne_u32_e32 vcc_lo, v4, v18
	v_lshl_or_b32 v18, v17, 12, v2
	v_cndmask_b32_e64 v4, 0, 1, vcc_lo
	v_cmp_gt_i32_e32 vcc_lo, 1, v17
	s_delay_alu instid0(VALU_DEP_2) | instskip(NEXT) | instid1(VALU_DEP_1)
	v_or_b32_e32 v4, v19, v4
	v_cndmask_b32_e32 v4, v18, v4, vcc_lo
	s_delay_alu instid0(VALU_DEP_1) | instskip(NEXT) | instid1(VALU_DEP_1)
	v_dual_lshrrev_b32 v4, 2, v4 :: v_dual_bitop2_b32 v18, 7, v4 bitop3:0x40
	v_cmp_lt_i32_e32 vcc_lo, 5, v18
	v_cndmask_b32_e64 v19, 0, 1, vcc_lo
	v_cmp_eq_u32_e32 vcc_lo, 3, v18
	v_cndmask_b32_e64 v18, 0, 1, vcc_lo
	v_cmp_ne_u32_e32 vcc_lo, 0, v2
	s_delay_alu instid0(VALU_DEP_2) | instskip(NEXT) | instid1(VALU_DEP_1)
	v_or_b32_e32 v18, v18, v19
	v_dual_mov_b32 v19, 0x7e00 :: v_dual_add_nc_u32 v4, v4, v18
	s_delay_alu instid0(VALU_DEP_1) | instskip(SKIP_1) | instid1(VALU_DEP_3)
	v_cndmask_b32_e32 v2, 0x7c00, v19, vcc_lo
	v_cmp_gt_i32_e32 vcc_lo, 31, v17
	v_cndmask_b32_e32 v4, 0x7c00, v4, vcc_lo
	v_cmp_eq_u32_e32 vcc_lo, 0x40f, v17
	s_delay_alu instid0(VALU_DEP_2) | instskip(NEXT) | instid1(VALU_DEP_1)
	v_cndmask_b32_e32 v2, v4, v2, vcc_lo
	v_and_or_b32 v4, 0x8000, v3, v2
	s_branch .LBB158_3604
.LBB158_3602:
	s_mov_b32 s1, -1
                                        ; implicit-def: $vgpr4
	s_branch .LBB158_3607
.LBB158_3603:
	s_mov_b32 s1, -1
                                        ; implicit-def: $vgpr4
.LBB158_3604:
	s_delay_alu instid0(SALU_CYCLE_1)
	s_and_not1_b32 vcc_lo, exec_lo, s1
	s_cbranch_vccnz .LBB158_3606
; %bb.3605:
	global_load_b32 v2, v[0:1], off
	s_wait_loadcnt 0x0
	v_cvt_f16_f32_e32 v4, v2
.LBB158_3606:
	s_mov_b32 s1, 0
.LBB158_3607:
	s_delay_alu instid0(SALU_CYCLE_1)
	s_and_not1_b32 vcc_lo, exec_lo, s1
	s_cbranch_vccnz .LBB158_3609
; %bb.3608:
	s_wait_loadcnt 0x0
	global_load_u16 v4, v[0:1], off
.LBB158_3609:
	s_mov_b32 s1, 0
.LBB158_3610:
	s_delay_alu instid0(SALU_CYCLE_1)
	s_and_not1_b32 vcc_lo, exec_lo, s1
	s_cbranch_vccnz .LBB158_3630
; %bb.3611:
	s_cmp_lt_i32 s0, 2
	s_cbranch_scc1 .LBB158_3615
; %bb.3612:
	s_cmp_lt_i32 s0, 3
	s_cbranch_scc1 .LBB158_3616
; %bb.3613:
	s_cmp_gt_i32 s0, 3
	s_cbranch_scc0 .LBB158_3617
; %bb.3614:
	global_load_b64 v[2:3], v[0:1], off
	s_mov_b32 s1, 0
	s_wait_loadcnt 0x0
	v_xor_b32_e32 v4, v2, v3
	v_cls_i32_e32 v17, v3
	s_delay_alu instid0(VALU_DEP_2) | instskip(NEXT) | instid1(VALU_DEP_1)
	v_ashrrev_i32_e32 v4, 31, v4
	v_add_nc_u32_e32 v4, 32, v4
	s_delay_alu instid0(VALU_DEP_1) | instskip(NEXT) | instid1(VALU_DEP_1)
	v_add_min_u32_e64 v4, v17, -1, v4
	v_lshlrev_b64_e32 v[2:3], v4, v[2:3]
	s_delay_alu instid0(VALU_DEP_1) | instskip(NEXT) | instid1(VALU_DEP_1)
	v_min_u32_e32 v2, 1, v2
	v_dual_sub_nc_u32 v3, 32, v4 :: v_dual_bitop2_b32 v2, v3, v2 bitop3:0x54
	s_delay_alu instid0(VALU_DEP_1) | instskip(NEXT) | instid1(VALU_DEP_1)
	v_cvt_f32_i32_e32 v2, v2
	v_ldexp_f32 v2, v2, v3
	s_delay_alu instid0(VALU_DEP_1)
	v_cvt_f16_f32_e32 v4, v2
	s_branch .LBB158_3618
.LBB158_3615:
	s_mov_b32 s1, -1
                                        ; implicit-def: $vgpr4
	s_branch .LBB158_3624
.LBB158_3616:
	s_mov_b32 s1, -1
                                        ; implicit-def: $vgpr4
	s_branch .LBB158_3621
.LBB158_3617:
	s_mov_b32 s1, -1
                                        ; implicit-def: $vgpr4
.LBB158_3618:
	s_delay_alu instid0(SALU_CYCLE_1)
	s_and_not1_b32 vcc_lo, exec_lo, s1
	s_cbranch_vccnz .LBB158_3620
; %bb.3619:
	global_load_b32 v2, v[0:1], off
	s_wait_loadcnt 0x0
	v_cvt_f32_i32_e32 v2, v2
	s_delay_alu instid0(VALU_DEP_1)
	v_cvt_f16_f32_e32 v4, v2
.LBB158_3620:
	s_mov_b32 s1, 0
.LBB158_3621:
	s_delay_alu instid0(SALU_CYCLE_1)
	s_and_not1_b32 vcc_lo, exec_lo, s1
	s_cbranch_vccnz .LBB158_3623
; %bb.3622:
	global_load_u16 v2, v[0:1], off
	s_wait_loadcnt 0x0
	v_cvt_f16_i16_e32 v4, v2
.LBB158_3623:
	s_mov_b32 s1, 0
.LBB158_3624:
	s_delay_alu instid0(SALU_CYCLE_1)
	s_and_not1_b32 vcc_lo, exec_lo, s1
	s_cbranch_vccnz .LBB158_3630
; %bb.3625:
	s_cmp_gt_i32 s0, 0
	s_mov_b32 s0, 0
	s_cbranch_scc0 .LBB158_3627
; %bb.3626:
	global_load_i8 v2, v[0:1], off
	s_wait_loadcnt 0x0
	v_cvt_f16_i16_e32 v4, v2
	s_branch .LBB158_3628
.LBB158_3627:
	s_mov_b32 s0, -1
                                        ; implicit-def: $vgpr4
.LBB158_3628:
	s_delay_alu instid0(SALU_CYCLE_1)
	s_and_not1_b32 vcc_lo, exec_lo, s0
	s_cbranch_vccnz .LBB158_3630
; %bb.3629:
	global_load_u8 v0, v[0:1], off
	s_wait_loadcnt 0x0
	v_cvt_f16_u16_e32 v4, v0
.LBB158_3630:
	s_mov_b32 s6, -1
.LBB158_3631:
	s_delay_alu instid0(SALU_CYCLE_1)
	s_and_not1_b32 vcc_lo, exec_lo, s6
	s_cbranch_vccnz .LBB158_4065
; %bb.3632:
	s_wait_loadcnt 0x0
	v_cmp_gt_f16_e32 vcc_lo, v9, v10
	s_wait_xcnt 0x0
	v_mul_lo_u32 v0, s12, v8
	s_and_b32 s20, s2, 0xff
	s_delay_alu instid0(SALU_CYCLE_1) | instskip(SKIP_1) | instid1(VALU_DEP_1)
	s_cmp_lt_i32 s20, 11
	v_cndmask_b32_e32 v1, v10, v9, vcc_lo
	v_cmp_lt_f16_e32 vcc_lo, v1, v11
	v_cndmask_b32_e32 v1, v11, v1, vcc_lo
	v_cmp_u_f16_e32 vcc_lo, v11, v11
	s_delay_alu instid0(VALU_DEP_2) | instskip(SKIP_1) | instid1(VALU_DEP_2)
	v_dual_cndmask_b32 v2, v1, v11 :: v_dual_ashrrev_i32 v1, 31, v0
	v_cmp_u_f16_e32 vcc_lo, v10, v10
	v_cndmask_b32_e32 v8, v2, v10, vcc_lo
	v_cmp_u_f16_e32 vcc_lo, v9, v9
	s_delay_alu instid0(VALU_DEP_4) | instskip(NEXT) | instid1(VALU_DEP_3)
	v_add_nc_u64_e32 v[2:3], s[4:5], v[0:1]
	v_cndmask_b32_e32 v1, v8, v9, vcc_lo
	s_cbranch_scc1 .LBB158_3710
; %bb.3633:
	s_and_b32 s1, 0xffff, s20
	s_mov_b32 s6, -1
	s_mov_b32 s2, 0
	s_cmp_gt_i32 s1, 25
	s_mov_b32 s3, 0
	s_mov_b32 s0, 0
	s_cbranch_scc0 .LBB158_3666
; %bb.3634:
	s_cmp_gt_i32 s1, 28
	s_cbranch_scc0 .LBB158_3649
; %bb.3635:
	s_cmp_gt_i32 s1, 43
	;; [unrolled: 3-line block ×3, first 2 shown]
	s_cbranch_scc0 .LBB158_3639
; %bb.3637:
	s_mov_b32 s0, -1
	s_mov_b32 s6, 0
	s_cmp_eq_u32 s1, 46
	s_cbranch_scc0 .LBB158_3639
; %bb.3638:
	v_cvt_f32_f16_e32 v8, v1
	v_cmp_o_f16_e32 vcc_lo, v1, v1
	s_mov_b32 s0, 0
	s_mov_b32 s3, -1
	s_delay_alu instid0(VALU_DEP_2) | instskip(NEXT) | instid1(VALU_DEP_1)
	v_bfe_u32 v9, v8, 16, 1
	v_add3_u32 v8, v8, v9, 0x7fff
	s_delay_alu instid0(VALU_DEP_1) | instskip(NEXT) | instid1(VALU_DEP_1)
	v_lshrrev_b32_e32 v8, 16, v8
	v_cndmask_b32_e32 v8, 0x7fc0, v8, vcc_lo
	global_store_b32 v[2:3], v8, off
.LBB158_3639:
	s_and_b32 vcc_lo, exec_lo, s6
	s_cbranch_vccz .LBB158_3644
; %bb.3640:
	s_cmp_eq_u32 s1, 44
	s_mov_b32 s0, -1
	s_cbranch_scc0 .LBB158_3644
; %bb.3641:
	s_wait_xcnt 0x0
	v_cvt_f32_f16_e32 v8, v1
	v_mov_b32_e32 v9, 0xff
	s_mov_b32 s3, exec_lo
	s_delay_alu instid0(VALU_DEP_2) | instskip(NEXT) | instid1(VALU_DEP_1)
	v_bfe_u32 v10, v8, 23, 8
	v_cmpx_ne_u32_e32 0xff, v10
	s_cbranch_execz .LBB158_3643
; %bb.3642:
	v_and_b32_e32 v9, 0x400000, v8
	v_and_or_b32 v10, 0x3fffff, v8, v10
	v_lshrrev_b32_e32 v8, 23, v8
	s_delay_alu instid0(VALU_DEP_3) | instskip(NEXT) | instid1(VALU_DEP_3)
	v_cmp_ne_u32_e32 vcc_lo, 0, v9
	v_cmp_ne_u32_e64 s0, 0, v10
	s_and_b32 s0, vcc_lo, s0
	s_delay_alu instid0(SALU_CYCLE_1) | instskip(NEXT) | instid1(VALU_DEP_1)
	v_cndmask_b32_e64 v9, 0, 1, s0
	v_add_nc_u32_e32 v9, v8, v9
.LBB158_3643:
	s_or_b32 exec_lo, exec_lo, s3
	s_mov_b32 s0, 0
	s_mov_b32 s3, -1
	global_store_b8 v[2:3], v9, off
.LBB158_3644:
	s_mov_b32 s6, 0
.LBB158_3645:
	s_delay_alu instid0(SALU_CYCLE_1)
	s_and_b32 vcc_lo, exec_lo, s6
	s_cbranch_vccz .LBB158_3648
; %bb.3646:
	s_cmp_eq_u32 s1, 29
	s_mov_b32 s0, -1
	s_cbranch_scc0 .LBB158_3648
; %bb.3647:
	s_wait_xcnt 0x0
	v_cvt_f32_f16_e32 v8, v1
	v_mov_b32_e32 v9, 0
	s_mov_b32 s0, 0
	s_mov_b32 s3, -1
	s_delay_alu instid0(VALU_DEP_2)
	v_cvt_u32_f32_e32 v8, v8
	global_store_b64 v[2:3], v[8:9], off
.LBB158_3648:
	s_mov_b32 s6, 0
.LBB158_3649:
	s_delay_alu instid0(SALU_CYCLE_1)
	s_and_b32 vcc_lo, exec_lo, s6
	s_cbranch_vccz .LBB158_3665
; %bb.3650:
	s_cmp_lt_i32 s1, 27
	s_mov_b32 s3, -1
	s_cbranch_scc1 .LBB158_3656
; %bb.3651:
	s_cmp_gt_i32 s1, 27
	s_cbranch_scc0 .LBB158_3653
; %bb.3652:
	s_wait_xcnt 0x0
	v_cvt_f32_f16_e32 v8, v1
	s_mov_b32 s3, 0
	s_delay_alu instid0(VALU_DEP_1)
	v_cvt_u32_f32_e32 v8, v8
	global_store_b32 v[2:3], v8, off
.LBB158_3653:
	s_and_not1_b32 vcc_lo, exec_lo, s3
	s_cbranch_vccnz .LBB158_3655
; %bb.3654:
	s_wait_xcnt 0x0
	v_cvt_u16_f16_e32 v8, v1
	global_store_b16 v[2:3], v8, off
.LBB158_3655:
	s_mov_b32 s3, 0
.LBB158_3656:
	s_delay_alu instid0(SALU_CYCLE_1)
	s_and_not1_b32 vcc_lo, exec_lo, s3
	s_cbranch_vccnz .LBB158_3664
; %bb.3657:
	s_wait_xcnt 0x0
	v_cvt_f32_f16_e32 v8, v1
	v_mov_b32_e32 v10, 0x80
	s_mov_b32 s3, exec_lo
	s_delay_alu instid0(VALU_DEP_2) | instskip(NEXT) | instid1(VALU_DEP_1)
	v_and_b32_e32 v9, 0x7fffffff, v8
	v_cmpx_gt_u32_e32 0x43800000, v9
	s_cbranch_execz .LBB158_3663
; %bb.3658:
	v_cmp_lt_u32_e32 vcc_lo, 0x3bffffff, v9
	s_mov_b32 s6, 0
                                        ; implicit-def: $vgpr9
	s_and_saveexec_b32 s7, vcc_lo
	s_delay_alu instid0(SALU_CYCLE_1)
	s_xor_b32 s7, exec_lo, s7
	s_cbranch_execz .LBB158_4112
; %bb.3659:
	v_bfe_u32 v9, v8, 20, 1
	s_mov_b32 s6, exec_lo
	s_delay_alu instid0(VALU_DEP_1) | instskip(NEXT) | instid1(VALU_DEP_1)
	v_add3_u32 v9, v8, v9, 0x487ffff
	v_lshrrev_b32_e32 v9, 20, v9
	s_and_not1_saveexec_b32 s7, s7
	s_cbranch_execnz .LBB158_4113
.LBB158_3660:
	s_or_b32 exec_lo, exec_lo, s7
	v_mov_b32_e32 v10, 0
	s_and_saveexec_b32 s7, s6
.LBB158_3661:
	v_lshrrev_b32_e32 v8, 24, v8
	s_delay_alu instid0(VALU_DEP_1)
	v_and_or_b32 v10, 0x80, v8, v9
.LBB158_3662:
	s_or_b32 exec_lo, exec_lo, s7
.LBB158_3663:
	s_delay_alu instid0(SALU_CYCLE_1)
	s_or_b32 exec_lo, exec_lo, s3
	global_store_b8 v[2:3], v10, off
.LBB158_3664:
	s_mov_b32 s3, -1
.LBB158_3665:
	s_mov_b32 s6, 0
.LBB158_3666:
	s_delay_alu instid0(SALU_CYCLE_1)
	s_and_b32 vcc_lo, exec_lo, s6
	s_cbranch_vccz .LBB158_3706
; %bb.3667:
	s_cmp_gt_i32 s1, 22
	s_mov_b32 s2, -1
	s_cbranch_scc0 .LBB158_3699
; %bb.3668:
	s_cmp_lt_i32 s1, 24
	s_cbranch_scc1 .LBB158_3688
; %bb.3669:
	s_cmp_gt_i32 s1, 24
	s_cbranch_scc0 .LBB158_3677
; %bb.3670:
	s_wait_xcnt 0x0
	v_cvt_f32_f16_e32 v8, v1
	v_mov_b32_e32 v10, 0x80
	s_mov_b32 s2, exec_lo
	s_delay_alu instid0(VALU_DEP_2) | instskip(NEXT) | instid1(VALU_DEP_1)
	v_and_b32_e32 v9, 0x7fffffff, v8
	v_cmpx_gt_u32_e32 0x47800000, v9
	s_cbranch_execz .LBB158_3676
; %bb.3671:
	v_cmp_lt_u32_e32 vcc_lo, 0x37ffffff, v9
	s_mov_b32 s3, 0
                                        ; implicit-def: $vgpr9
	s_and_saveexec_b32 s6, vcc_lo
	s_delay_alu instid0(SALU_CYCLE_1)
	s_xor_b32 s6, exec_lo, s6
	s_cbranch_execz .LBB158_4115
; %bb.3672:
	v_bfe_u32 v9, v8, 21, 1
	s_mov_b32 s3, exec_lo
	s_delay_alu instid0(VALU_DEP_1) | instskip(NEXT) | instid1(VALU_DEP_1)
	v_add3_u32 v9, v8, v9, 0x88fffff
	v_lshrrev_b32_e32 v9, 21, v9
	s_and_not1_saveexec_b32 s6, s6
	s_cbranch_execnz .LBB158_4116
.LBB158_3673:
	s_or_b32 exec_lo, exec_lo, s6
	v_mov_b32_e32 v10, 0
	s_and_saveexec_b32 s6, s3
.LBB158_3674:
	v_lshrrev_b32_e32 v8, 24, v8
	s_delay_alu instid0(VALU_DEP_1)
	v_and_or_b32 v10, 0x80, v8, v9
.LBB158_3675:
	s_or_b32 exec_lo, exec_lo, s6
.LBB158_3676:
	s_delay_alu instid0(SALU_CYCLE_1)
	s_or_b32 exec_lo, exec_lo, s2
	s_mov_b32 s2, 0
	global_store_b8 v[2:3], v10, off
.LBB158_3677:
	s_and_b32 vcc_lo, exec_lo, s2
	s_cbranch_vccz .LBB158_3687
; %bb.3678:
	s_wait_xcnt 0x0
	v_cvt_f32_f16_e32 v8, v1
	s_mov_b32 s2, exec_lo
                                        ; implicit-def: $vgpr9
	s_delay_alu instid0(VALU_DEP_1) | instskip(NEXT) | instid1(VALU_DEP_1)
	v_and_b32_e32 v10, 0x7fffffff, v8
	v_cmpx_gt_u32_e32 0x43f00000, v10
	s_xor_b32 s2, exec_lo, s2
	s_cbranch_execz .LBB158_3684
; %bb.3679:
	s_mov_b32 s3, exec_lo
                                        ; implicit-def: $vgpr9
	v_cmpx_lt_u32_e32 0x3c7fffff, v10
	s_xor_b32 s3, exec_lo, s3
; %bb.3680:
	v_bfe_u32 v9, v8, 20, 1
	s_delay_alu instid0(VALU_DEP_1) | instskip(NEXT) | instid1(VALU_DEP_1)
	v_add3_u32 v9, v8, v9, 0x407ffff
	v_and_b32_e32 v10, 0xff00000, v9
	v_lshrrev_b32_e32 v9, 20, v9
	s_delay_alu instid0(VALU_DEP_2) | instskip(NEXT) | instid1(VALU_DEP_2)
	v_cmp_ne_u32_e32 vcc_lo, 0x7f00000, v10
	v_cndmask_b32_e32 v9, 0x7e, v9, vcc_lo
; %bb.3681:
	s_and_not1_saveexec_b32 s3, s3
; %bb.3682:
	v_add_f32_e64 v9, 0x46800000, |v8|
; %bb.3683:
	s_or_b32 exec_lo, exec_lo, s3
                                        ; implicit-def: $vgpr10
.LBB158_3684:
	s_and_not1_saveexec_b32 s2, s2
; %bb.3685:
	v_mov_b32_e32 v9, 0x7f
	v_cmp_lt_u32_e32 vcc_lo, 0x7f800000, v10
	s_delay_alu instid0(VALU_DEP_2)
	v_cndmask_b32_e32 v9, 0x7e, v9, vcc_lo
; %bb.3686:
	s_or_b32 exec_lo, exec_lo, s2
	v_lshrrev_b32_e32 v8, 24, v8
	s_delay_alu instid0(VALU_DEP_1)
	v_and_or_b32 v8, 0x80, v8, v9
	global_store_b8 v[2:3], v8, off
.LBB158_3687:
	s_mov_b32 s2, 0
.LBB158_3688:
	s_delay_alu instid0(SALU_CYCLE_1)
	s_and_not1_b32 vcc_lo, exec_lo, s2
	s_cbranch_vccnz .LBB158_3698
; %bb.3689:
	s_wait_xcnt 0x0
	v_cvt_f32_f16_e32 v8, v1
	s_mov_b32 s2, exec_lo
                                        ; implicit-def: $vgpr9
	s_delay_alu instid0(VALU_DEP_1) | instskip(NEXT) | instid1(VALU_DEP_1)
	v_and_b32_e32 v10, 0x7fffffff, v8
	v_cmpx_gt_u32_e32 0x47800000, v10
	s_xor_b32 s2, exec_lo, s2
	s_cbranch_execz .LBB158_3695
; %bb.3690:
	s_mov_b32 s3, exec_lo
                                        ; implicit-def: $vgpr9
	v_cmpx_lt_u32_e32 0x387fffff, v10
	s_xor_b32 s3, exec_lo, s3
; %bb.3691:
	v_bfe_u32 v9, v8, 21, 1
	s_delay_alu instid0(VALU_DEP_1) | instskip(NEXT) | instid1(VALU_DEP_1)
	v_add3_u32 v9, v8, v9, 0x80fffff
	v_lshrrev_b32_e32 v9, 21, v9
; %bb.3692:
	s_and_not1_saveexec_b32 s3, s3
; %bb.3693:
	v_add_f32_e64 v9, 0x43000000, |v8|
; %bb.3694:
	s_or_b32 exec_lo, exec_lo, s3
                                        ; implicit-def: $vgpr10
.LBB158_3695:
	s_and_not1_saveexec_b32 s2, s2
; %bb.3696:
	v_mov_b32_e32 v9, 0x7f
	v_cmp_lt_u32_e32 vcc_lo, 0x7f800000, v10
	s_delay_alu instid0(VALU_DEP_2)
	v_cndmask_b32_e32 v9, 0x7c, v9, vcc_lo
; %bb.3697:
	s_or_b32 exec_lo, exec_lo, s2
	v_lshrrev_b32_e32 v8, 24, v8
	s_delay_alu instid0(VALU_DEP_1)
	v_and_or_b32 v8, 0x80, v8, v9
	global_store_b8 v[2:3], v8, off
.LBB158_3698:
	s_mov_b32 s2, 0
	s_mov_b32 s3, -1
.LBB158_3699:
	s_and_not1_b32 vcc_lo, exec_lo, s2
	s_mov_b32 s2, 0
	s_cbranch_vccnz .LBB158_3706
; %bb.3700:
	s_cmp_gt_i32 s1, 14
	s_mov_b32 s2, -1
	s_cbranch_scc0 .LBB158_3704
; %bb.3701:
	s_cmp_eq_u32 s1, 15
	s_mov_b32 s0, -1
	s_cbranch_scc0 .LBB158_3703
; %bb.3702:
	s_wait_xcnt 0x0
	v_cvt_f32_f16_e32 v8, v1
	v_cmp_o_f16_e32 vcc_lo, v1, v1
	s_mov_b32 s0, 0
	s_mov_b32 s3, -1
	s_delay_alu instid0(VALU_DEP_2) | instskip(NEXT) | instid1(VALU_DEP_1)
	v_bfe_u32 v9, v8, 16, 1
	v_add3_u32 v8, v8, v9, 0x7fff
	s_delay_alu instid0(VALU_DEP_1) | instskip(NEXT) | instid1(VALU_DEP_1)
	v_lshrrev_b32_e32 v8, 16, v8
	v_cndmask_b32_e32 v8, 0x7fc0, v8, vcc_lo
	global_store_b16 v[2:3], v8, off
.LBB158_3703:
	s_mov_b32 s2, 0
.LBB158_3704:
	s_delay_alu instid0(SALU_CYCLE_1)
	s_and_b32 vcc_lo, exec_lo, s2
	s_mov_b32 s2, 0
	s_cbranch_vccz .LBB158_3706
; %bb.3705:
	s_cmp_lg_u32 s1, 11
	s_mov_b32 s2, -1
	s_cselect_b32 s0, -1, 0
.LBB158_3706:
	s_delay_alu instid0(SALU_CYCLE_1)
	s_and_b32 vcc_lo, exec_lo, s0
	s_cbranch_vccnz .LBB158_4114
; %bb.3707:
	s_and_not1_b32 vcc_lo, exec_lo, s2
	s_cbranch_vccnz .LBB158_3709
.LBB158_3708:
	s_wait_xcnt 0x0
	v_and_b32_e32 v8, 0x7fff, v1
	s_mov_b32 s3, -1
	s_delay_alu instid0(VALU_DEP_1)
	v_cmp_ne_u16_e32 vcc_lo, 0, v8
	v_cndmask_b32_e64 v8, 0, 1, vcc_lo
	global_store_b8 v[2:3], v8, off
.LBB158_3709:
	s_mov_b32 s0, 0
	s_branch .LBB158_3711
.LBB158_3710:
	s_mov_b32 s0, -1
	s_mov_b32 s3, 0
.LBB158_3711:
	s_and_b32 vcc_lo, exec_lo, s0
	s_cbranch_vccz .LBB158_3750
; %bb.3712:
	s_and_b32 s0, 0xffff, s20
	s_mov_b32 s1, -1
	s_cmp_lt_i32 s0, 5
	s_cbranch_scc1 .LBB158_3733
; %bb.3713:
	s_cmp_lt_i32 s0, 8
	s_cbranch_scc1 .LBB158_3723
; %bb.3714:
	;; [unrolled: 3-line block ×3, first 2 shown]
	s_cmp_gt_i32 s0, 9
	s_cbranch_scc0 .LBB158_3717
; %bb.3716:
	s_wait_xcnt 0x0
	v_cvt_f32_f16_e32 v8, v1
	v_mov_b32_e32 v10, 0
	s_mov_b32 s1, 0
	s_delay_alu instid0(VALU_DEP_2) | instskip(NEXT) | instid1(VALU_DEP_2)
	v_cvt_f64_f32_e32 v[8:9], v8
	v_mov_b32_e32 v11, v10
	global_store_b128 v[2:3], v[8:11], off
.LBB158_3717:
	s_and_not1_b32 vcc_lo, exec_lo, s1
	s_cbranch_vccnz .LBB158_3719
; %bb.3718:
	s_wait_xcnt 0x0
	v_cvt_f32_f16_e32 v8, v1
	v_mov_b32_e32 v9, 0
	global_store_b64 v[2:3], v[8:9], off
.LBB158_3719:
	s_mov_b32 s1, 0
.LBB158_3720:
	s_delay_alu instid0(SALU_CYCLE_1)
	s_and_not1_b32 vcc_lo, exec_lo, s1
	s_cbranch_vccnz .LBB158_3722
; %bb.3721:
	s_wait_xcnt 0x0
	v_and_b32_e32 v8, 0xffff, v1
	global_store_b32 v[2:3], v8, off
.LBB158_3722:
	s_mov_b32 s1, 0
.LBB158_3723:
	s_delay_alu instid0(SALU_CYCLE_1)
	s_and_not1_b32 vcc_lo, exec_lo, s1
	s_cbranch_vccnz .LBB158_3732
; %bb.3724:
	s_cmp_lt_i32 s0, 6
	s_mov_b32 s1, -1
	s_cbranch_scc1 .LBB158_3730
; %bb.3725:
	s_cmp_gt_i32 s0, 6
	s_cbranch_scc0 .LBB158_3727
; %bb.3726:
	s_wait_xcnt 0x0
	v_cvt_f32_f16_e32 v8, v1
	s_mov_b32 s1, 0
	s_delay_alu instid0(VALU_DEP_1)
	v_cvt_f64_f32_e32 v[8:9], v8
	global_store_b64 v[2:3], v[8:9], off
.LBB158_3727:
	s_and_not1_b32 vcc_lo, exec_lo, s1
	s_cbranch_vccnz .LBB158_3729
; %bb.3728:
	s_wait_xcnt 0x0
	v_cvt_f32_f16_e32 v8, v1
	global_store_b32 v[2:3], v8, off
.LBB158_3729:
	s_mov_b32 s1, 0
.LBB158_3730:
	s_delay_alu instid0(SALU_CYCLE_1)
	s_and_not1_b32 vcc_lo, exec_lo, s1
	s_cbranch_vccnz .LBB158_3732
; %bb.3731:
	global_store_b16 v[2:3], v1, off
.LBB158_3732:
	s_mov_b32 s1, 0
.LBB158_3733:
	s_delay_alu instid0(SALU_CYCLE_1)
	s_and_not1_b32 vcc_lo, exec_lo, s1
	s_cbranch_vccnz .LBB158_3749
; %bb.3734:
	s_cmp_lt_i32 s0, 2
	s_mov_b32 s1, -1
	s_cbranch_scc1 .LBB158_3744
; %bb.3735:
	s_cmp_lt_i32 s0, 3
	s_cbranch_scc1 .LBB158_3741
; %bb.3736:
	s_cmp_gt_i32 s0, 3
	s_cbranch_scc0 .LBB158_3738
; %bb.3737:
	s_wait_xcnt 0x0
	v_cvt_f32_f16_e32 v8, v1
	s_mov_b32 s1, 0
	s_delay_alu instid0(VALU_DEP_1) | instskip(NEXT) | instid1(VALU_DEP_1)
	v_cvt_i32_f32_e32 v8, v8
	v_ashrrev_i32_e32 v9, 31, v8
	global_store_b64 v[2:3], v[8:9], off
.LBB158_3738:
	s_and_not1_b32 vcc_lo, exec_lo, s1
	s_cbranch_vccnz .LBB158_3740
; %bb.3739:
	s_wait_xcnt 0x0
	v_cvt_f32_f16_e32 v8, v1
	s_delay_alu instid0(VALU_DEP_1)
	v_cvt_i32_f32_e32 v8, v8
	global_store_b32 v[2:3], v8, off
.LBB158_3740:
	s_mov_b32 s1, 0
.LBB158_3741:
	s_delay_alu instid0(SALU_CYCLE_1)
	s_and_not1_b32 vcc_lo, exec_lo, s1
	s_cbranch_vccnz .LBB158_3743
; %bb.3742:
	s_wait_xcnt 0x0
	v_cvt_i16_f16_e32 v8, v1
	global_store_b16 v[2:3], v8, off
.LBB158_3743:
	s_mov_b32 s1, 0
.LBB158_3744:
	s_delay_alu instid0(SALU_CYCLE_1)
	s_and_not1_b32 vcc_lo, exec_lo, s1
	s_cbranch_vccnz .LBB158_3749
; %bb.3745:
	s_cmp_gt_i32 s0, 0
	s_mov_b32 s0, -1
	s_cbranch_scc0 .LBB158_3747
; %bb.3746:
	s_wait_xcnt 0x0
	v_cvt_i16_f16_e32 v8, v1
	s_mov_b32 s0, 0
	global_store_b8 v[2:3], v8, off
.LBB158_3747:
	s_and_not1_b32 vcc_lo, exec_lo, s0
	s_cbranch_vccnz .LBB158_3749
; %bb.3748:
	s_wait_xcnt 0x0
	v_cvt_f32_f16_e32 v1, v1
	s_delay_alu instid0(VALU_DEP_1)
	v_cvt_i32_f32_e32 v1, v1
	global_store_b8 v[2:3], v1, off
.LBB158_3749:
	s_mov_b32 s3, -1
.LBB158_3750:
	s_delay_alu instid0(SALU_CYCLE_1)
	s_and_not1_b32 vcc_lo, exec_lo, s3
	s_cbranch_vccnz .LBB158_4065
; %bb.3751:
	v_cmp_gt_f16_e32 vcc_lo, v12, v13
	s_lshl_b32 s1, s12, 7
	s_cmp_lt_i32 s20, 11
	v_add_nc_u32_e32 v0, s1, v0
	s_wait_xcnt 0x0
	v_cndmask_b32_e32 v1, v13, v12, vcc_lo
	s_delay_alu instid0(VALU_DEP_1) | instskip(SKIP_2) | instid1(VALU_DEP_2)
	v_cmp_lt_f16_e32 vcc_lo, v1, v14
	v_cndmask_b32_e32 v1, v14, v1, vcc_lo
	v_cmp_u_f16_e32 vcc_lo, v14, v14
	v_dual_cndmask_b32 v2, v1, v14 :: v_dual_ashrrev_i32 v1, 31, v0
	v_cmp_u_f16_e32 vcc_lo, v13, v13
	s_delay_alu instid0(VALU_DEP_2) | instskip(SKIP_1) | instid1(VALU_DEP_4)
	v_cndmask_b32_e32 v8, v2, v13, vcc_lo
	v_cmp_u_f16_e32 vcc_lo, v12, v12
	v_add_nc_u64_e32 v[2:3], s[4:5], v[0:1]
	s_delay_alu instid0(VALU_DEP_3)
	v_cndmask_b32_e32 v1, v8, v12, vcc_lo
	s_cbranch_scc1 .LBB158_3829
; %bb.3752:
	s_and_b32 s2, 0xffff, s20
	s_mov_b32 s7, -1
	s_mov_b32 s3, 0
	s_cmp_gt_i32 s2, 25
	s_mov_b32 s6, 0
	s_mov_b32 s0, 0
	s_cbranch_scc0 .LBB158_3785
; %bb.3753:
	s_cmp_gt_i32 s2, 28
	s_cbranch_scc0 .LBB158_3768
; %bb.3754:
	s_cmp_gt_i32 s2, 43
	s_cbranch_scc0 .LBB158_3764
; %bb.3755:
	s_cmp_gt_i32 s2, 45
	s_cbranch_scc0 .LBB158_3758
; %bb.3756:
	s_mov_b32 s0, -1
	s_mov_b32 s7, 0
	s_cmp_eq_u32 s2, 46
	s_cbranch_scc0 .LBB158_3758
; %bb.3757:
	v_cvt_f32_f16_e32 v8, v1
	v_cmp_o_f16_e32 vcc_lo, v1, v1
	s_mov_b32 s0, 0
	s_mov_b32 s6, -1
	s_delay_alu instid0(VALU_DEP_2) | instskip(NEXT) | instid1(VALU_DEP_1)
	v_bfe_u32 v9, v8, 16, 1
	v_add3_u32 v8, v8, v9, 0x7fff
	s_delay_alu instid0(VALU_DEP_1) | instskip(NEXT) | instid1(VALU_DEP_1)
	v_lshrrev_b32_e32 v8, 16, v8
	v_cndmask_b32_e32 v8, 0x7fc0, v8, vcc_lo
	global_store_b32 v[2:3], v8, off
.LBB158_3758:
	s_and_b32 vcc_lo, exec_lo, s7
	s_cbranch_vccz .LBB158_3763
; %bb.3759:
	s_cmp_eq_u32 s2, 44
	s_mov_b32 s0, -1
	s_cbranch_scc0 .LBB158_3763
; %bb.3760:
	s_wait_xcnt 0x0
	v_cvt_f32_f16_e32 v8, v1
	v_mov_b32_e32 v9, 0xff
	s_mov_b32 s6, exec_lo
	s_delay_alu instid0(VALU_DEP_2) | instskip(NEXT) | instid1(VALU_DEP_1)
	v_bfe_u32 v10, v8, 23, 8
	v_cmpx_ne_u32_e32 0xff, v10
	s_cbranch_execz .LBB158_3762
; %bb.3761:
	v_and_b32_e32 v9, 0x400000, v8
	v_and_or_b32 v10, 0x3fffff, v8, v10
	v_lshrrev_b32_e32 v8, 23, v8
	s_delay_alu instid0(VALU_DEP_3) | instskip(NEXT) | instid1(VALU_DEP_3)
	v_cmp_ne_u32_e32 vcc_lo, 0, v9
	v_cmp_ne_u32_e64 s0, 0, v10
	s_and_b32 s0, vcc_lo, s0
	s_delay_alu instid0(SALU_CYCLE_1) | instskip(NEXT) | instid1(VALU_DEP_1)
	v_cndmask_b32_e64 v9, 0, 1, s0
	v_add_nc_u32_e32 v9, v8, v9
.LBB158_3762:
	s_or_b32 exec_lo, exec_lo, s6
	s_mov_b32 s0, 0
	s_mov_b32 s6, -1
	global_store_b8 v[2:3], v9, off
.LBB158_3763:
	s_mov_b32 s7, 0
.LBB158_3764:
	s_delay_alu instid0(SALU_CYCLE_1)
	s_and_b32 vcc_lo, exec_lo, s7
	s_cbranch_vccz .LBB158_3767
; %bb.3765:
	s_cmp_eq_u32 s2, 29
	s_mov_b32 s0, -1
	s_cbranch_scc0 .LBB158_3767
; %bb.3766:
	s_wait_xcnt 0x0
	v_cvt_f32_f16_e32 v8, v1
	v_mov_b32_e32 v9, 0
	s_mov_b32 s0, 0
	s_mov_b32 s6, -1
	s_delay_alu instid0(VALU_DEP_2)
	v_cvt_u32_f32_e32 v8, v8
	global_store_b64 v[2:3], v[8:9], off
.LBB158_3767:
	s_mov_b32 s7, 0
.LBB158_3768:
	s_delay_alu instid0(SALU_CYCLE_1)
	s_and_b32 vcc_lo, exec_lo, s7
	s_cbranch_vccz .LBB158_3784
; %bb.3769:
	s_cmp_lt_i32 s2, 27
	s_mov_b32 s6, -1
	s_cbranch_scc1 .LBB158_3775
; %bb.3770:
	s_cmp_gt_i32 s2, 27
	s_cbranch_scc0 .LBB158_3772
; %bb.3771:
	s_wait_xcnt 0x0
	v_cvt_f32_f16_e32 v8, v1
	s_mov_b32 s6, 0
	s_delay_alu instid0(VALU_DEP_1)
	v_cvt_u32_f32_e32 v8, v8
	global_store_b32 v[2:3], v8, off
.LBB158_3772:
	s_and_not1_b32 vcc_lo, exec_lo, s6
	s_cbranch_vccnz .LBB158_3774
; %bb.3773:
	s_wait_xcnt 0x0
	v_cvt_u16_f16_e32 v8, v1
	global_store_b16 v[2:3], v8, off
.LBB158_3774:
	s_mov_b32 s6, 0
.LBB158_3775:
	s_delay_alu instid0(SALU_CYCLE_1)
	s_and_not1_b32 vcc_lo, exec_lo, s6
	s_cbranch_vccnz .LBB158_3783
; %bb.3776:
	s_wait_xcnt 0x0
	v_cvt_f32_f16_e32 v8, v1
	v_mov_b32_e32 v10, 0x80
	s_mov_b32 s6, exec_lo
	s_delay_alu instid0(VALU_DEP_2) | instskip(NEXT) | instid1(VALU_DEP_1)
	v_and_b32_e32 v9, 0x7fffffff, v8
	v_cmpx_gt_u32_e32 0x43800000, v9
	s_cbranch_execz .LBB158_3782
; %bb.3777:
	v_cmp_lt_u32_e32 vcc_lo, 0x3bffffff, v9
	s_mov_b32 s7, 0
                                        ; implicit-def: $vgpr9
	s_and_saveexec_b32 s8, vcc_lo
	s_delay_alu instid0(SALU_CYCLE_1)
	s_xor_b32 s8, exec_lo, s8
	s_cbranch_execz .LBB158_4117
; %bb.3778:
	v_bfe_u32 v9, v8, 20, 1
	s_mov_b32 s7, exec_lo
	s_delay_alu instid0(VALU_DEP_1) | instskip(NEXT) | instid1(VALU_DEP_1)
	v_add3_u32 v9, v8, v9, 0x487ffff
	v_lshrrev_b32_e32 v9, 20, v9
	s_and_not1_saveexec_b32 s8, s8
	s_cbranch_execnz .LBB158_4118
.LBB158_3779:
	s_or_b32 exec_lo, exec_lo, s8
	v_mov_b32_e32 v10, 0
	s_and_saveexec_b32 s8, s7
.LBB158_3780:
	v_lshrrev_b32_e32 v8, 24, v8
	s_delay_alu instid0(VALU_DEP_1)
	v_and_or_b32 v10, 0x80, v8, v9
.LBB158_3781:
	s_or_b32 exec_lo, exec_lo, s8
.LBB158_3782:
	s_delay_alu instid0(SALU_CYCLE_1)
	s_or_b32 exec_lo, exec_lo, s6
	global_store_b8 v[2:3], v10, off
.LBB158_3783:
	s_mov_b32 s6, -1
.LBB158_3784:
	s_mov_b32 s7, 0
.LBB158_3785:
	s_delay_alu instid0(SALU_CYCLE_1)
	s_and_b32 vcc_lo, exec_lo, s7
	s_cbranch_vccz .LBB158_3825
; %bb.3786:
	s_cmp_gt_i32 s2, 22
	s_mov_b32 s3, -1
	s_cbranch_scc0 .LBB158_3818
; %bb.3787:
	s_cmp_lt_i32 s2, 24
	s_cbranch_scc1 .LBB158_3807
; %bb.3788:
	s_cmp_gt_i32 s2, 24
	s_cbranch_scc0 .LBB158_3796
; %bb.3789:
	s_wait_xcnt 0x0
	v_cvt_f32_f16_e32 v8, v1
	v_mov_b32_e32 v10, 0x80
	s_mov_b32 s3, exec_lo
	s_delay_alu instid0(VALU_DEP_2) | instskip(NEXT) | instid1(VALU_DEP_1)
	v_and_b32_e32 v9, 0x7fffffff, v8
	v_cmpx_gt_u32_e32 0x47800000, v9
	s_cbranch_execz .LBB158_3795
; %bb.3790:
	v_cmp_lt_u32_e32 vcc_lo, 0x37ffffff, v9
	s_mov_b32 s6, 0
                                        ; implicit-def: $vgpr9
	s_and_saveexec_b32 s7, vcc_lo
	s_delay_alu instid0(SALU_CYCLE_1)
	s_xor_b32 s7, exec_lo, s7
	s_cbranch_execz .LBB158_4120
; %bb.3791:
	v_bfe_u32 v9, v8, 21, 1
	s_mov_b32 s6, exec_lo
	s_delay_alu instid0(VALU_DEP_1) | instskip(NEXT) | instid1(VALU_DEP_1)
	v_add3_u32 v9, v8, v9, 0x88fffff
	v_lshrrev_b32_e32 v9, 21, v9
	s_and_not1_saveexec_b32 s7, s7
	s_cbranch_execnz .LBB158_4121
.LBB158_3792:
	s_or_b32 exec_lo, exec_lo, s7
	v_mov_b32_e32 v10, 0
	s_and_saveexec_b32 s7, s6
.LBB158_3793:
	v_lshrrev_b32_e32 v8, 24, v8
	s_delay_alu instid0(VALU_DEP_1)
	v_and_or_b32 v10, 0x80, v8, v9
.LBB158_3794:
	s_or_b32 exec_lo, exec_lo, s7
.LBB158_3795:
	s_delay_alu instid0(SALU_CYCLE_1)
	s_or_b32 exec_lo, exec_lo, s3
	s_mov_b32 s3, 0
	global_store_b8 v[2:3], v10, off
.LBB158_3796:
	s_and_b32 vcc_lo, exec_lo, s3
	s_cbranch_vccz .LBB158_3806
; %bb.3797:
	s_wait_xcnt 0x0
	v_cvt_f32_f16_e32 v8, v1
	s_mov_b32 s3, exec_lo
                                        ; implicit-def: $vgpr9
	s_delay_alu instid0(VALU_DEP_1) | instskip(NEXT) | instid1(VALU_DEP_1)
	v_and_b32_e32 v10, 0x7fffffff, v8
	v_cmpx_gt_u32_e32 0x43f00000, v10
	s_xor_b32 s3, exec_lo, s3
	s_cbranch_execz .LBB158_3803
; %bb.3798:
	s_mov_b32 s6, exec_lo
                                        ; implicit-def: $vgpr9
	v_cmpx_lt_u32_e32 0x3c7fffff, v10
	s_xor_b32 s6, exec_lo, s6
; %bb.3799:
	v_bfe_u32 v9, v8, 20, 1
	s_delay_alu instid0(VALU_DEP_1) | instskip(NEXT) | instid1(VALU_DEP_1)
	v_add3_u32 v9, v8, v9, 0x407ffff
	v_and_b32_e32 v10, 0xff00000, v9
	v_lshrrev_b32_e32 v9, 20, v9
	s_delay_alu instid0(VALU_DEP_2) | instskip(NEXT) | instid1(VALU_DEP_2)
	v_cmp_ne_u32_e32 vcc_lo, 0x7f00000, v10
	v_cndmask_b32_e32 v9, 0x7e, v9, vcc_lo
; %bb.3800:
	s_and_not1_saveexec_b32 s6, s6
; %bb.3801:
	v_add_f32_e64 v9, 0x46800000, |v8|
; %bb.3802:
	s_or_b32 exec_lo, exec_lo, s6
                                        ; implicit-def: $vgpr10
.LBB158_3803:
	s_and_not1_saveexec_b32 s3, s3
; %bb.3804:
	v_mov_b32_e32 v9, 0x7f
	v_cmp_lt_u32_e32 vcc_lo, 0x7f800000, v10
	s_delay_alu instid0(VALU_DEP_2)
	v_cndmask_b32_e32 v9, 0x7e, v9, vcc_lo
; %bb.3805:
	s_or_b32 exec_lo, exec_lo, s3
	v_lshrrev_b32_e32 v8, 24, v8
	s_delay_alu instid0(VALU_DEP_1)
	v_and_or_b32 v8, 0x80, v8, v9
	global_store_b8 v[2:3], v8, off
.LBB158_3806:
	s_mov_b32 s3, 0
.LBB158_3807:
	s_delay_alu instid0(SALU_CYCLE_1)
	s_and_not1_b32 vcc_lo, exec_lo, s3
	s_cbranch_vccnz .LBB158_3817
; %bb.3808:
	s_wait_xcnt 0x0
	v_cvt_f32_f16_e32 v8, v1
	s_mov_b32 s3, exec_lo
                                        ; implicit-def: $vgpr9
	s_delay_alu instid0(VALU_DEP_1) | instskip(NEXT) | instid1(VALU_DEP_1)
	v_and_b32_e32 v10, 0x7fffffff, v8
	v_cmpx_gt_u32_e32 0x47800000, v10
	s_xor_b32 s3, exec_lo, s3
	s_cbranch_execz .LBB158_3814
; %bb.3809:
	s_mov_b32 s6, exec_lo
                                        ; implicit-def: $vgpr9
	v_cmpx_lt_u32_e32 0x387fffff, v10
	s_xor_b32 s6, exec_lo, s6
; %bb.3810:
	v_bfe_u32 v9, v8, 21, 1
	s_delay_alu instid0(VALU_DEP_1) | instskip(NEXT) | instid1(VALU_DEP_1)
	v_add3_u32 v9, v8, v9, 0x80fffff
	v_lshrrev_b32_e32 v9, 21, v9
; %bb.3811:
	s_and_not1_saveexec_b32 s6, s6
; %bb.3812:
	v_add_f32_e64 v9, 0x43000000, |v8|
; %bb.3813:
	s_or_b32 exec_lo, exec_lo, s6
                                        ; implicit-def: $vgpr10
.LBB158_3814:
	s_and_not1_saveexec_b32 s3, s3
; %bb.3815:
	v_mov_b32_e32 v9, 0x7f
	v_cmp_lt_u32_e32 vcc_lo, 0x7f800000, v10
	s_delay_alu instid0(VALU_DEP_2)
	v_cndmask_b32_e32 v9, 0x7c, v9, vcc_lo
; %bb.3816:
	s_or_b32 exec_lo, exec_lo, s3
	v_lshrrev_b32_e32 v8, 24, v8
	s_delay_alu instid0(VALU_DEP_1)
	v_and_or_b32 v8, 0x80, v8, v9
	global_store_b8 v[2:3], v8, off
.LBB158_3817:
	s_mov_b32 s3, 0
	s_mov_b32 s6, -1
.LBB158_3818:
	s_and_not1_b32 vcc_lo, exec_lo, s3
	s_mov_b32 s3, 0
	s_cbranch_vccnz .LBB158_3825
; %bb.3819:
	s_cmp_gt_i32 s2, 14
	s_mov_b32 s3, -1
	s_cbranch_scc0 .LBB158_3823
; %bb.3820:
	s_cmp_eq_u32 s2, 15
	s_mov_b32 s0, -1
	s_cbranch_scc0 .LBB158_3822
; %bb.3821:
	s_wait_xcnt 0x0
	v_cvt_f32_f16_e32 v8, v1
	v_cmp_o_f16_e32 vcc_lo, v1, v1
	s_mov_b32 s0, 0
	s_mov_b32 s6, -1
	s_delay_alu instid0(VALU_DEP_2) | instskip(NEXT) | instid1(VALU_DEP_1)
	v_bfe_u32 v9, v8, 16, 1
	v_add3_u32 v8, v8, v9, 0x7fff
	s_delay_alu instid0(VALU_DEP_1) | instskip(NEXT) | instid1(VALU_DEP_1)
	v_lshrrev_b32_e32 v8, 16, v8
	v_cndmask_b32_e32 v8, 0x7fc0, v8, vcc_lo
	global_store_b16 v[2:3], v8, off
.LBB158_3822:
	s_mov_b32 s3, 0
.LBB158_3823:
	s_delay_alu instid0(SALU_CYCLE_1)
	s_and_b32 vcc_lo, exec_lo, s3
	s_mov_b32 s3, 0
	s_cbranch_vccz .LBB158_3825
; %bb.3824:
	s_cmp_lg_u32 s2, 11
	s_mov_b32 s3, -1
	s_cselect_b32 s0, -1, 0
.LBB158_3825:
	s_delay_alu instid0(SALU_CYCLE_1)
	s_and_b32 vcc_lo, exec_lo, s0
	s_cbranch_vccnz .LBB158_4119
; %bb.3826:
	s_and_not1_b32 vcc_lo, exec_lo, s3
	s_cbranch_vccnz .LBB158_3828
.LBB158_3827:
	s_wait_xcnt 0x0
	v_and_b32_e32 v8, 0x7fff, v1
	s_mov_b32 s6, -1
	s_delay_alu instid0(VALU_DEP_1)
	v_cmp_ne_u16_e32 vcc_lo, 0, v8
	v_cndmask_b32_e64 v8, 0, 1, vcc_lo
	global_store_b8 v[2:3], v8, off
.LBB158_3828:
	s_mov_b32 s0, 0
	s_branch .LBB158_3830
.LBB158_3829:
	s_mov_b32 s0, -1
	s_mov_b32 s6, 0
.LBB158_3830:
	s_and_b32 vcc_lo, exec_lo, s0
	s_cbranch_vccz .LBB158_3869
; %bb.3831:
	s_and_b32 s0, 0xffff, s20
	s_mov_b32 s2, -1
	s_cmp_lt_i32 s0, 5
	s_cbranch_scc1 .LBB158_3852
; %bb.3832:
	s_cmp_lt_i32 s0, 8
	s_cbranch_scc1 .LBB158_3842
; %bb.3833:
	;; [unrolled: 3-line block ×3, first 2 shown]
	s_cmp_gt_i32 s0, 9
	s_cbranch_scc0 .LBB158_3836
; %bb.3835:
	s_wait_xcnt 0x0
	v_cvt_f32_f16_e32 v8, v1
	v_mov_b32_e32 v10, 0
	s_mov_b32 s2, 0
	s_delay_alu instid0(VALU_DEP_2) | instskip(NEXT) | instid1(VALU_DEP_2)
	v_cvt_f64_f32_e32 v[8:9], v8
	v_mov_b32_e32 v11, v10
	global_store_b128 v[2:3], v[8:11], off
.LBB158_3836:
	s_and_not1_b32 vcc_lo, exec_lo, s2
	s_cbranch_vccnz .LBB158_3838
; %bb.3837:
	s_wait_xcnt 0x0
	v_cvt_f32_f16_e32 v8, v1
	v_mov_b32_e32 v9, 0
	global_store_b64 v[2:3], v[8:9], off
.LBB158_3838:
	s_mov_b32 s2, 0
.LBB158_3839:
	s_delay_alu instid0(SALU_CYCLE_1)
	s_and_not1_b32 vcc_lo, exec_lo, s2
	s_cbranch_vccnz .LBB158_3841
; %bb.3840:
	s_wait_xcnt 0x0
	v_and_b32_e32 v8, 0xffff, v1
	global_store_b32 v[2:3], v8, off
.LBB158_3841:
	s_mov_b32 s2, 0
.LBB158_3842:
	s_delay_alu instid0(SALU_CYCLE_1)
	s_and_not1_b32 vcc_lo, exec_lo, s2
	s_cbranch_vccnz .LBB158_3851
; %bb.3843:
	s_cmp_lt_i32 s0, 6
	s_mov_b32 s2, -1
	s_cbranch_scc1 .LBB158_3849
; %bb.3844:
	s_cmp_gt_i32 s0, 6
	s_cbranch_scc0 .LBB158_3846
; %bb.3845:
	s_wait_xcnt 0x0
	v_cvt_f32_f16_e32 v8, v1
	s_mov_b32 s2, 0
	s_delay_alu instid0(VALU_DEP_1)
	v_cvt_f64_f32_e32 v[8:9], v8
	global_store_b64 v[2:3], v[8:9], off
.LBB158_3846:
	s_and_not1_b32 vcc_lo, exec_lo, s2
	s_cbranch_vccnz .LBB158_3848
; %bb.3847:
	s_wait_xcnt 0x0
	v_cvt_f32_f16_e32 v8, v1
	global_store_b32 v[2:3], v8, off
.LBB158_3848:
	s_mov_b32 s2, 0
.LBB158_3849:
	s_delay_alu instid0(SALU_CYCLE_1)
	s_and_not1_b32 vcc_lo, exec_lo, s2
	s_cbranch_vccnz .LBB158_3851
; %bb.3850:
	global_store_b16 v[2:3], v1, off
.LBB158_3851:
	s_mov_b32 s2, 0
.LBB158_3852:
	s_delay_alu instid0(SALU_CYCLE_1)
	s_and_not1_b32 vcc_lo, exec_lo, s2
	s_cbranch_vccnz .LBB158_3868
; %bb.3853:
	s_cmp_lt_i32 s0, 2
	s_mov_b32 s2, -1
	s_cbranch_scc1 .LBB158_3863
; %bb.3854:
	s_cmp_lt_i32 s0, 3
	s_cbranch_scc1 .LBB158_3860
; %bb.3855:
	s_cmp_gt_i32 s0, 3
	s_cbranch_scc0 .LBB158_3857
; %bb.3856:
	s_wait_xcnt 0x0
	v_cvt_f32_f16_e32 v8, v1
	s_mov_b32 s2, 0
	s_delay_alu instid0(VALU_DEP_1) | instskip(NEXT) | instid1(VALU_DEP_1)
	v_cvt_i32_f32_e32 v8, v8
	v_ashrrev_i32_e32 v9, 31, v8
	global_store_b64 v[2:3], v[8:9], off
.LBB158_3857:
	s_and_not1_b32 vcc_lo, exec_lo, s2
	s_cbranch_vccnz .LBB158_3859
; %bb.3858:
	s_wait_xcnt 0x0
	v_cvt_f32_f16_e32 v8, v1
	s_delay_alu instid0(VALU_DEP_1)
	v_cvt_i32_f32_e32 v8, v8
	global_store_b32 v[2:3], v8, off
.LBB158_3859:
	s_mov_b32 s2, 0
.LBB158_3860:
	s_delay_alu instid0(SALU_CYCLE_1)
	s_and_not1_b32 vcc_lo, exec_lo, s2
	s_cbranch_vccnz .LBB158_3862
; %bb.3861:
	s_wait_xcnt 0x0
	v_cvt_i16_f16_e32 v8, v1
	global_store_b16 v[2:3], v8, off
.LBB158_3862:
	s_mov_b32 s2, 0
.LBB158_3863:
	s_delay_alu instid0(SALU_CYCLE_1)
	s_and_not1_b32 vcc_lo, exec_lo, s2
	s_cbranch_vccnz .LBB158_3868
; %bb.3864:
	s_cmp_gt_i32 s0, 0
	s_mov_b32 s0, -1
	s_cbranch_scc0 .LBB158_3866
; %bb.3865:
	s_wait_xcnt 0x0
	v_cvt_i16_f16_e32 v8, v1
	s_mov_b32 s0, 0
	global_store_b8 v[2:3], v8, off
.LBB158_3866:
	s_and_not1_b32 vcc_lo, exec_lo, s0
	s_cbranch_vccnz .LBB158_3868
; %bb.3867:
	s_wait_xcnt 0x0
	v_cvt_f32_f16_e32 v1, v1
	s_delay_alu instid0(VALU_DEP_1)
	v_cvt_i32_f32_e32 v1, v1
	global_store_b8 v[2:3], v1, off
.LBB158_3868:
	s_mov_b32 s6, -1
.LBB158_3869:
	s_delay_alu instid0(SALU_CYCLE_1)
	s_and_not1_b32 vcc_lo, exec_lo, s6
	s_cbranch_vccnz .LBB158_4065
; %bb.3870:
	v_cmp_gt_f16_e32 vcc_lo, v15, v16
	s_cmp_lt_i32 s20, 11
	s_wait_xcnt 0x0
	v_dual_cndmask_b32 v1, v16, v15 :: v_dual_add_nc_u32 v0, s1, v0
	s_delay_alu instid0(VALU_DEP_1) | instskip(SKIP_2) | instid1(VALU_DEP_2)
	v_cmp_lt_f16_e32 vcc_lo, v1, v5
	v_cndmask_b32_e32 v1, v5, v1, vcc_lo
	v_cmp_u_f16_e32 vcc_lo, v5, v5
	v_dual_cndmask_b32 v2, v1, v5 :: v_dual_ashrrev_i32 v1, 31, v0
	v_cmp_u_f16_e32 vcc_lo, v16, v16
	s_delay_alu instid0(VALU_DEP_2) | instskip(SKIP_1) | instid1(VALU_DEP_4)
	v_cndmask_b32_e32 v5, v2, v16, vcc_lo
	v_cmp_u_f16_e32 vcc_lo, v15, v15
	v_add_nc_u64_e32 v[2:3], s[4:5], v[0:1]
	s_delay_alu instid0(VALU_DEP_3)
	v_cndmask_b32_e32 v1, v5, v15, vcc_lo
	s_cbranch_scc1 .LBB158_3948
; %bb.3871:
	s_and_b32 s2, 0xffff, s20
	s_mov_b32 s7, -1
	s_mov_b32 s3, 0
	s_cmp_gt_i32 s2, 25
	s_mov_b32 s6, 0
	s_mov_b32 s0, 0
	s_cbranch_scc0 .LBB158_3904
; %bb.3872:
	s_cmp_gt_i32 s2, 28
	s_cbranch_scc0 .LBB158_3887
; %bb.3873:
	s_cmp_gt_i32 s2, 43
	;; [unrolled: 3-line block ×3, first 2 shown]
	s_cbranch_scc0 .LBB158_3877
; %bb.3875:
	s_mov_b32 s0, -1
	s_mov_b32 s7, 0
	s_cmp_eq_u32 s2, 46
	s_cbranch_scc0 .LBB158_3877
; %bb.3876:
	v_cvt_f32_f16_e32 v5, v1
	v_cmp_o_f16_e32 vcc_lo, v1, v1
	s_mov_b32 s0, 0
	s_mov_b32 s6, -1
	s_delay_alu instid0(VALU_DEP_2) | instskip(NEXT) | instid1(VALU_DEP_1)
	v_bfe_u32 v8, v5, 16, 1
	v_add3_u32 v5, v5, v8, 0x7fff
	s_delay_alu instid0(VALU_DEP_1) | instskip(NEXT) | instid1(VALU_DEP_1)
	v_lshrrev_b32_e32 v5, 16, v5
	v_cndmask_b32_e32 v5, 0x7fc0, v5, vcc_lo
	global_store_b32 v[2:3], v5, off
.LBB158_3877:
	s_and_b32 vcc_lo, exec_lo, s7
	s_cbranch_vccz .LBB158_3882
; %bb.3878:
	s_cmp_eq_u32 s2, 44
	s_mov_b32 s0, -1
	s_cbranch_scc0 .LBB158_3882
; %bb.3879:
	s_wait_xcnt 0x0
	v_cvt_f32_f16_e32 v5, v1
	v_mov_b32_e32 v8, 0xff
	s_mov_b32 s6, exec_lo
	s_delay_alu instid0(VALU_DEP_2) | instskip(NEXT) | instid1(VALU_DEP_1)
	v_bfe_u32 v9, v5, 23, 8
	v_cmpx_ne_u32_e32 0xff, v9
	s_cbranch_execz .LBB158_3881
; %bb.3880:
	v_and_b32_e32 v8, 0x400000, v5
	v_and_or_b32 v9, 0x3fffff, v5, v9
	v_lshrrev_b32_e32 v5, 23, v5
	s_delay_alu instid0(VALU_DEP_3) | instskip(NEXT) | instid1(VALU_DEP_3)
	v_cmp_ne_u32_e32 vcc_lo, 0, v8
	v_cmp_ne_u32_e64 s0, 0, v9
	s_and_b32 s0, vcc_lo, s0
	s_delay_alu instid0(SALU_CYCLE_1) | instskip(NEXT) | instid1(VALU_DEP_1)
	v_cndmask_b32_e64 v8, 0, 1, s0
	v_add_nc_u32_e32 v8, v5, v8
.LBB158_3881:
	s_or_b32 exec_lo, exec_lo, s6
	s_mov_b32 s0, 0
	s_mov_b32 s6, -1
	global_store_b8 v[2:3], v8, off
.LBB158_3882:
	s_mov_b32 s7, 0
.LBB158_3883:
	s_delay_alu instid0(SALU_CYCLE_1)
	s_and_b32 vcc_lo, exec_lo, s7
	s_cbranch_vccz .LBB158_3886
; %bb.3884:
	s_cmp_eq_u32 s2, 29
	s_mov_b32 s0, -1
	s_cbranch_scc0 .LBB158_3886
; %bb.3885:
	s_wait_xcnt 0x0
	v_cvt_f32_f16_e32 v5, v1
	v_mov_b32_e32 v9, 0
	s_mov_b32 s0, 0
	s_mov_b32 s6, -1
	s_delay_alu instid0(VALU_DEP_2)
	v_cvt_u32_f32_e32 v8, v5
	global_store_b64 v[2:3], v[8:9], off
.LBB158_3886:
	s_mov_b32 s7, 0
.LBB158_3887:
	s_delay_alu instid0(SALU_CYCLE_1)
	s_and_b32 vcc_lo, exec_lo, s7
	s_cbranch_vccz .LBB158_3903
; %bb.3888:
	s_cmp_lt_i32 s2, 27
	s_mov_b32 s6, -1
	s_cbranch_scc1 .LBB158_3894
; %bb.3889:
	s_cmp_gt_i32 s2, 27
	s_cbranch_scc0 .LBB158_3891
; %bb.3890:
	s_wait_xcnt 0x0
	v_cvt_f32_f16_e32 v5, v1
	s_mov_b32 s6, 0
	s_delay_alu instid0(VALU_DEP_1)
	v_cvt_u32_f32_e32 v5, v5
	global_store_b32 v[2:3], v5, off
.LBB158_3891:
	s_and_not1_b32 vcc_lo, exec_lo, s6
	s_cbranch_vccnz .LBB158_3893
; %bb.3892:
	s_wait_xcnt 0x0
	v_cvt_u16_f16_e32 v5, v1
	global_store_b16 v[2:3], v5, off
.LBB158_3893:
	s_mov_b32 s6, 0
.LBB158_3894:
	s_delay_alu instid0(SALU_CYCLE_1)
	s_and_not1_b32 vcc_lo, exec_lo, s6
	s_cbranch_vccnz .LBB158_3902
; %bb.3895:
	s_wait_xcnt 0x0
	v_cvt_f32_f16_e32 v5, v1
	v_mov_b32_e32 v9, 0x80
	s_mov_b32 s6, exec_lo
	s_delay_alu instid0(VALU_DEP_2) | instskip(NEXT) | instid1(VALU_DEP_1)
	v_and_b32_e32 v8, 0x7fffffff, v5
	v_cmpx_gt_u32_e32 0x43800000, v8
	s_cbranch_execz .LBB158_3901
; %bb.3896:
	v_cmp_lt_u32_e32 vcc_lo, 0x3bffffff, v8
	s_mov_b32 s7, 0
                                        ; implicit-def: $vgpr8
	s_and_saveexec_b32 s8, vcc_lo
	s_delay_alu instid0(SALU_CYCLE_1)
	s_xor_b32 s8, exec_lo, s8
	s_cbranch_execz .LBB158_4122
; %bb.3897:
	v_bfe_u32 v8, v5, 20, 1
	s_mov_b32 s7, exec_lo
	s_delay_alu instid0(VALU_DEP_1) | instskip(NEXT) | instid1(VALU_DEP_1)
	v_add3_u32 v8, v5, v8, 0x487ffff
	v_lshrrev_b32_e32 v8, 20, v8
	s_and_not1_saveexec_b32 s8, s8
	s_cbranch_execnz .LBB158_4123
.LBB158_3898:
	s_or_b32 exec_lo, exec_lo, s8
	v_mov_b32_e32 v9, 0
	s_and_saveexec_b32 s8, s7
.LBB158_3899:
	v_lshrrev_b32_e32 v5, 24, v5
	s_delay_alu instid0(VALU_DEP_1)
	v_and_or_b32 v9, 0x80, v5, v8
.LBB158_3900:
	s_or_b32 exec_lo, exec_lo, s8
.LBB158_3901:
	s_delay_alu instid0(SALU_CYCLE_1)
	s_or_b32 exec_lo, exec_lo, s6
	global_store_b8 v[2:3], v9, off
.LBB158_3902:
	s_mov_b32 s6, -1
.LBB158_3903:
	s_mov_b32 s7, 0
.LBB158_3904:
	s_delay_alu instid0(SALU_CYCLE_1)
	s_and_b32 vcc_lo, exec_lo, s7
	s_cbranch_vccz .LBB158_3944
; %bb.3905:
	s_cmp_gt_i32 s2, 22
	s_mov_b32 s3, -1
	s_cbranch_scc0 .LBB158_3937
; %bb.3906:
	s_cmp_lt_i32 s2, 24
	s_cbranch_scc1 .LBB158_3926
; %bb.3907:
	s_cmp_gt_i32 s2, 24
	s_cbranch_scc0 .LBB158_3915
; %bb.3908:
	s_wait_xcnt 0x0
	v_cvt_f32_f16_e32 v5, v1
	v_mov_b32_e32 v9, 0x80
	s_mov_b32 s3, exec_lo
	s_delay_alu instid0(VALU_DEP_2) | instskip(NEXT) | instid1(VALU_DEP_1)
	v_and_b32_e32 v8, 0x7fffffff, v5
	v_cmpx_gt_u32_e32 0x47800000, v8
	s_cbranch_execz .LBB158_3914
; %bb.3909:
	v_cmp_lt_u32_e32 vcc_lo, 0x37ffffff, v8
	s_mov_b32 s6, 0
                                        ; implicit-def: $vgpr8
	s_and_saveexec_b32 s7, vcc_lo
	s_delay_alu instid0(SALU_CYCLE_1)
	s_xor_b32 s7, exec_lo, s7
	s_cbranch_execz .LBB158_4125
; %bb.3910:
	v_bfe_u32 v8, v5, 21, 1
	s_mov_b32 s6, exec_lo
	s_delay_alu instid0(VALU_DEP_1) | instskip(NEXT) | instid1(VALU_DEP_1)
	v_add3_u32 v8, v5, v8, 0x88fffff
	v_lshrrev_b32_e32 v8, 21, v8
	s_and_not1_saveexec_b32 s7, s7
	s_cbranch_execnz .LBB158_4126
.LBB158_3911:
	s_or_b32 exec_lo, exec_lo, s7
	v_mov_b32_e32 v9, 0
	s_and_saveexec_b32 s7, s6
.LBB158_3912:
	v_lshrrev_b32_e32 v5, 24, v5
	s_delay_alu instid0(VALU_DEP_1)
	v_and_or_b32 v9, 0x80, v5, v8
.LBB158_3913:
	s_or_b32 exec_lo, exec_lo, s7
.LBB158_3914:
	s_delay_alu instid0(SALU_CYCLE_1)
	s_or_b32 exec_lo, exec_lo, s3
	s_mov_b32 s3, 0
	global_store_b8 v[2:3], v9, off
.LBB158_3915:
	s_and_b32 vcc_lo, exec_lo, s3
	s_cbranch_vccz .LBB158_3925
; %bb.3916:
	s_wait_xcnt 0x0
	v_cvt_f32_f16_e32 v5, v1
	s_mov_b32 s3, exec_lo
                                        ; implicit-def: $vgpr8
	s_delay_alu instid0(VALU_DEP_1) | instskip(NEXT) | instid1(VALU_DEP_1)
	v_and_b32_e32 v9, 0x7fffffff, v5
	v_cmpx_gt_u32_e32 0x43f00000, v9
	s_xor_b32 s3, exec_lo, s3
	s_cbranch_execz .LBB158_3922
; %bb.3917:
	s_mov_b32 s6, exec_lo
                                        ; implicit-def: $vgpr8
	v_cmpx_lt_u32_e32 0x3c7fffff, v9
	s_xor_b32 s6, exec_lo, s6
; %bb.3918:
	v_bfe_u32 v8, v5, 20, 1
	s_delay_alu instid0(VALU_DEP_1) | instskip(NEXT) | instid1(VALU_DEP_1)
	v_add3_u32 v8, v5, v8, 0x407ffff
	v_and_b32_e32 v9, 0xff00000, v8
	v_lshrrev_b32_e32 v8, 20, v8
	s_delay_alu instid0(VALU_DEP_2) | instskip(NEXT) | instid1(VALU_DEP_2)
	v_cmp_ne_u32_e32 vcc_lo, 0x7f00000, v9
	v_cndmask_b32_e32 v8, 0x7e, v8, vcc_lo
; %bb.3919:
	s_and_not1_saveexec_b32 s6, s6
; %bb.3920:
	v_add_f32_e64 v8, 0x46800000, |v5|
; %bb.3921:
	s_or_b32 exec_lo, exec_lo, s6
                                        ; implicit-def: $vgpr9
.LBB158_3922:
	s_and_not1_saveexec_b32 s3, s3
; %bb.3923:
	v_mov_b32_e32 v8, 0x7f
	v_cmp_lt_u32_e32 vcc_lo, 0x7f800000, v9
	s_delay_alu instid0(VALU_DEP_2)
	v_cndmask_b32_e32 v8, 0x7e, v8, vcc_lo
; %bb.3924:
	s_or_b32 exec_lo, exec_lo, s3
	v_lshrrev_b32_e32 v5, 24, v5
	s_delay_alu instid0(VALU_DEP_1)
	v_and_or_b32 v5, 0x80, v5, v8
	global_store_b8 v[2:3], v5, off
.LBB158_3925:
	s_mov_b32 s3, 0
.LBB158_3926:
	s_delay_alu instid0(SALU_CYCLE_1)
	s_and_not1_b32 vcc_lo, exec_lo, s3
	s_cbranch_vccnz .LBB158_3936
; %bb.3927:
	s_wait_xcnt 0x0
	v_cvt_f32_f16_e32 v5, v1
	s_mov_b32 s3, exec_lo
                                        ; implicit-def: $vgpr8
	s_delay_alu instid0(VALU_DEP_1) | instskip(NEXT) | instid1(VALU_DEP_1)
	v_and_b32_e32 v9, 0x7fffffff, v5
	v_cmpx_gt_u32_e32 0x47800000, v9
	s_xor_b32 s3, exec_lo, s3
	s_cbranch_execz .LBB158_3933
; %bb.3928:
	s_mov_b32 s6, exec_lo
                                        ; implicit-def: $vgpr8
	v_cmpx_lt_u32_e32 0x387fffff, v9
	s_xor_b32 s6, exec_lo, s6
; %bb.3929:
	v_bfe_u32 v8, v5, 21, 1
	s_delay_alu instid0(VALU_DEP_1) | instskip(NEXT) | instid1(VALU_DEP_1)
	v_add3_u32 v8, v5, v8, 0x80fffff
	v_lshrrev_b32_e32 v8, 21, v8
; %bb.3930:
	s_and_not1_saveexec_b32 s6, s6
; %bb.3931:
	v_add_f32_e64 v8, 0x43000000, |v5|
; %bb.3932:
	s_or_b32 exec_lo, exec_lo, s6
                                        ; implicit-def: $vgpr9
.LBB158_3933:
	s_and_not1_saveexec_b32 s3, s3
; %bb.3934:
	v_mov_b32_e32 v8, 0x7f
	v_cmp_lt_u32_e32 vcc_lo, 0x7f800000, v9
	s_delay_alu instid0(VALU_DEP_2)
	v_cndmask_b32_e32 v8, 0x7c, v8, vcc_lo
; %bb.3935:
	s_or_b32 exec_lo, exec_lo, s3
	v_lshrrev_b32_e32 v5, 24, v5
	s_delay_alu instid0(VALU_DEP_1)
	v_and_or_b32 v5, 0x80, v5, v8
	global_store_b8 v[2:3], v5, off
.LBB158_3936:
	s_mov_b32 s3, 0
	s_mov_b32 s6, -1
.LBB158_3937:
	s_and_not1_b32 vcc_lo, exec_lo, s3
	s_mov_b32 s3, 0
	s_cbranch_vccnz .LBB158_3944
; %bb.3938:
	s_cmp_gt_i32 s2, 14
	s_mov_b32 s3, -1
	s_cbranch_scc0 .LBB158_3942
; %bb.3939:
	s_cmp_eq_u32 s2, 15
	s_mov_b32 s0, -1
	s_cbranch_scc0 .LBB158_3941
; %bb.3940:
	s_wait_xcnt 0x0
	v_cvt_f32_f16_e32 v5, v1
	v_cmp_o_f16_e32 vcc_lo, v1, v1
	s_mov_b32 s0, 0
	s_mov_b32 s6, -1
	s_delay_alu instid0(VALU_DEP_2) | instskip(NEXT) | instid1(VALU_DEP_1)
	v_bfe_u32 v8, v5, 16, 1
	v_add3_u32 v5, v5, v8, 0x7fff
	s_delay_alu instid0(VALU_DEP_1) | instskip(NEXT) | instid1(VALU_DEP_1)
	v_lshrrev_b32_e32 v5, 16, v5
	v_cndmask_b32_e32 v5, 0x7fc0, v5, vcc_lo
	global_store_b16 v[2:3], v5, off
.LBB158_3941:
	s_mov_b32 s3, 0
.LBB158_3942:
	s_delay_alu instid0(SALU_CYCLE_1)
	s_and_b32 vcc_lo, exec_lo, s3
	s_mov_b32 s3, 0
	s_cbranch_vccz .LBB158_3944
; %bb.3943:
	s_cmp_lg_u32 s2, 11
	s_mov_b32 s3, -1
	s_cselect_b32 s0, -1, 0
.LBB158_3944:
	s_delay_alu instid0(SALU_CYCLE_1)
	s_and_b32 vcc_lo, exec_lo, s0
	s_cbranch_vccnz .LBB158_4124
; %bb.3945:
	s_and_not1_b32 vcc_lo, exec_lo, s3
	s_cbranch_vccnz .LBB158_3947
.LBB158_3946:
	s_wait_xcnt 0x0
	v_and_b32_e32 v5, 0x7fff, v1
	s_mov_b32 s6, -1
	s_delay_alu instid0(VALU_DEP_1)
	v_cmp_ne_u16_e32 vcc_lo, 0, v5
	v_cndmask_b32_e64 v5, 0, 1, vcc_lo
	global_store_b8 v[2:3], v5, off
.LBB158_3947:
	s_mov_b32 s0, 0
	s_branch .LBB158_3949
.LBB158_3948:
	s_mov_b32 s0, -1
	s_mov_b32 s6, 0
.LBB158_3949:
	s_and_b32 vcc_lo, exec_lo, s0
	s_cbranch_vccz .LBB158_3988
; %bb.3950:
	s_and_b32 s0, 0xffff, s20
	s_mov_b32 s2, -1
	s_cmp_lt_i32 s0, 5
	s_cbranch_scc1 .LBB158_3971
; %bb.3951:
	s_cmp_lt_i32 s0, 8
	s_cbranch_scc1 .LBB158_3961
; %bb.3952:
	;; [unrolled: 3-line block ×3, first 2 shown]
	s_cmp_gt_i32 s0, 9
	s_cbranch_scc0 .LBB158_3955
; %bb.3954:
	s_wait_xcnt 0x0
	v_cvt_f32_f16_e32 v5, v1
	v_mov_b32_e32 v10, 0
	s_mov_b32 s2, 0
	s_delay_alu instid0(VALU_DEP_2) | instskip(NEXT) | instid1(VALU_DEP_2)
	v_cvt_f64_f32_e32 v[8:9], v5
	v_mov_b32_e32 v11, v10
	global_store_b128 v[2:3], v[8:11], off
.LBB158_3955:
	s_and_not1_b32 vcc_lo, exec_lo, s2
	s_cbranch_vccnz .LBB158_3957
; %bb.3956:
	s_wait_xcnt 0x0
	v_cvt_f32_f16_e32 v8, v1
	v_mov_b32_e32 v9, 0
	global_store_b64 v[2:3], v[8:9], off
.LBB158_3957:
	s_mov_b32 s2, 0
.LBB158_3958:
	s_delay_alu instid0(SALU_CYCLE_1)
	s_and_not1_b32 vcc_lo, exec_lo, s2
	s_cbranch_vccnz .LBB158_3960
; %bb.3959:
	s_wait_xcnt 0x0
	v_and_b32_e32 v5, 0xffff, v1
	global_store_b32 v[2:3], v5, off
.LBB158_3960:
	s_mov_b32 s2, 0
.LBB158_3961:
	s_delay_alu instid0(SALU_CYCLE_1)
	s_and_not1_b32 vcc_lo, exec_lo, s2
	s_cbranch_vccnz .LBB158_3970
; %bb.3962:
	s_cmp_lt_i32 s0, 6
	s_mov_b32 s2, -1
	s_cbranch_scc1 .LBB158_3968
; %bb.3963:
	s_cmp_gt_i32 s0, 6
	s_cbranch_scc0 .LBB158_3965
; %bb.3964:
	s_wait_xcnt 0x0
	v_cvt_f32_f16_e32 v5, v1
	s_mov_b32 s2, 0
	s_delay_alu instid0(VALU_DEP_1)
	v_cvt_f64_f32_e32 v[8:9], v5
	global_store_b64 v[2:3], v[8:9], off
.LBB158_3965:
	s_and_not1_b32 vcc_lo, exec_lo, s2
	s_cbranch_vccnz .LBB158_3967
; %bb.3966:
	s_wait_xcnt 0x0
	v_cvt_f32_f16_e32 v5, v1
	global_store_b32 v[2:3], v5, off
.LBB158_3967:
	s_mov_b32 s2, 0
.LBB158_3968:
	s_delay_alu instid0(SALU_CYCLE_1)
	s_and_not1_b32 vcc_lo, exec_lo, s2
	s_cbranch_vccnz .LBB158_3970
; %bb.3969:
	global_store_b16 v[2:3], v1, off
.LBB158_3970:
	s_mov_b32 s2, 0
.LBB158_3971:
	s_delay_alu instid0(SALU_CYCLE_1)
	s_and_not1_b32 vcc_lo, exec_lo, s2
	s_cbranch_vccnz .LBB158_3987
; %bb.3972:
	s_cmp_lt_i32 s0, 2
	s_mov_b32 s2, -1
	s_cbranch_scc1 .LBB158_3982
; %bb.3973:
	s_cmp_lt_i32 s0, 3
	s_cbranch_scc1 .LBB158_3979
; %bb.3974:
	s_cmp_gt_i32 s0, 3
	s_cbranch_scc0 .LBB158_3976
; %bb.3975:
	s_wait_xcnt 0x0
	v_cvt_f32_f16_e32 v5, v1
	s_mov_b32 s2, 0
	s_delay_alu instid0(VALU_DEP_1) | instskip(NEXT) | instid1(VALU_DEP_1)
	v_cvt_i32_f32_e32 v8, v5
	v_ashrrev_i32_e32 v9, 31, v8
	global_store_b64 v[2:3], v[8:9], off
.LBB158_3976:
	s_and_not1_b32 vcc_lo, exec_lo, s2
	s_cbranch_vccnz .LBB158_3978
; %bb.3977:
	s_wait_xcnt 0x0
	v_cvt_f32_f16_e32 v5, v1
	s_delay_alu instid0(VALU_DEP_1)
	v_cvt_i32_f32_e32 v5, v5
	global_store_b32 v[2:3], v5, off
.LBB158_3978:
	s_mov_b32 s2, 0
.LBB158_3979:
	s_delay_alu instid0(SALU_CYCLE_1)
	s_and_not1_b32 vcc_lo, exec_lo, s2
	s_cbranch_vccnz .LBB158_3981
; %bb.3980:
	s_wait_xcnt 0x0
	v_cvt_i16_f16_e32 v5, v1
	global_store_b16 v[2:3], v5, off
.LBB158_3981:
	s_mov_b32 s2, 0
.LBB158_3982:
	s_delay_alu instid0(SALU_CYCLE_1)
	s_and_not1_b32 vcc_lo, exec_lo, s2
	s_cbranch_vccnz .LBB158_3987
; %bb.3983:
	s_cmp_gt_i32 s0, 0
	s_mov_b32 s0, -1
	s_cbranch_scc0 .LBB158_3985
; %bb.3984:
	s_wait_xcnt 0x0
	v_cvt_i16_f16_e32 v5, v1
	s_mov_b32 s0, 0
	global_store_b8 v[2:3], v5, off
.LBB158_3985:
	s_and_not1_b32 vcc_lo, exec_lo, s0
	s_cbranch_vccnz .LBB158_3987
; %bb.3986:
	s_wait_xcnt 0x0
	v_cvt_f32_f16_e32 v1, v1
	s_delay_alu instid0(VALU_DEP_1)
	v_cvt_i32_f32_e32 v1, v1
	global_store_b8 v[2:3], v1, off
.LBB158_3987:
	s_mov_b32 s6, -1
.LBB158_3988:
	s_delay_alu instid0(SALU_CYCLE_1)
	s_and_not1_b32 vcc_lo, exec_lo, s6
	s_cbranch_vccnz .LBB158_4065
; %bb.3989:
	v_cmp_gt_f16_e32 vcc_lo, v6, v7
	s_cmp_lt_i32 s20, 11
	s_wait_xcnt 0x0
	v_dual_cndmask_b32 v1, v7, v6 :: v_dual_add_nc_u32 v0, s1, v0
	s_delay_alu instid0(VALU_DEP_1) | instskip(SKIP_2) | instid1(VALU_DEP_2)
	v_cmp_lt_f16_e32 vcc_lo, v1, v4
	v_cndmask_b32_e32 v1, v4, v1, vcc_lo
	v_cmp_u_f16_e32 vcc_lo, v4, v4
	v_cndmask_b32_e32 v2, v1, v4, vcc_lo
	v_cmp_u_f16_e32 vcc_lo, v7, v7
	s_delay_alu instid0(VALU_DEP_2) | instskip(SKIP_1) | instid1(VALU_DEP_2)
	v_cndmask_b32_e32 v2, v2, v7, vcc_lo
	v_cmp_u_f16_e32 vcc_lo, v6, v6
	v_dual_cndmask_b32 v4, v2, v6 :: v_dual_ashrrev_i32 v1, 31, v0
	s_delay_alu instid0(VALU_DEP_1)
	v_add_nc_u64_e32 v[0:1], s[4:5], v[0:1]
	s_cbranch_scc1 .LBB158_4110
; %bb.3990:
	s_and_b32 s2, 0xffff, s20
	s_mov_b32 s3, -1
	s_mov_b32 s1, 0
	s_cmp_gt_i32 s2, 25
	s_mov_b32 s0, 0
	s_cbranch_scc0 .LBB158_4023
; %bb.3991:
	s_cmp_gt_i32 s2, 28
	s_cbranch_scc0 .LBB158_4007
; %bb.3992:
	s_cmp_gt_i32 s2, 43
	s_cbranch_scc0 .LBB158_4003
; %bb.3993:
	s_cmp_gt_i32 s2, 45
	s_cbranch_scc0 .LBB158_3997
; %bb.3994:
	s_cmp_eq_u32 s2, 46
	s_mov_b32 s0, -1
	s_cbranch_scc0 .LBB158_3996
; %bb.3995:
	v_cvt_f32_f16_e32 v2, v4
	v_cmp_o_f16_e32 vcc_lo, v4, v4
	s_mov_b32 s0, 0
	s_delay_alu instid0(VALU_DEP_2) | instskip(NEXT) | instid1(VALU_DEP_1)
	v_bfe_u32 v3, v2, 16, 1
	v_add3_u32 v2, v2, v3, 0x7fff
	s_delay_alu instid0(VALU_DEP_1) | instskip(NEXT) | instid1(VALU_DEP_1)
	v_lshrrev_b32_e32 v2, 16, v2
	v_cndmask_b32_e32 v2, 0x7fc0, v2, vcc_lo
	global_store_b32 v[0:1], v2, off
.LBB158_3996:
	s_mov_b32 s3, 0
.LBB158_3997:
	s_delay_alu instid0(SALU_CYCLE_1)
	s_and_b32 vcc_lo, exec_lo, s3
	s_cbranch_vccz .LBB158_4002
; %bb.3998:
	s_cmp_eq_u32 s2, 44
	s_mov_b32 s0, -1
	s_cbranch_scc0 .LBB158_4002
; %bb.3999:
	s_wait_xcnt 0x0
	v_cvt_f32_f16_e32 v2, v4
	v_mov_b32_e32 v3, 0xff
	s_mov_b32 s3, exec_lo
	s_delay_alu instid0(VALU_DEP_2) | instskip(NEXT) | instid1(VALU_DEP_1)
	v_bfe_u32 v5, v2, 23, 8
	v_cmpx_ne_u32_e32 0xff, v5
	s_cbranch_execz .LBB158_4001
; %bb.4000:
	v_and_b32_e32 v3, 0x400000, v2
	v_and_or_b32 v5, 0x3fffff, v2, v5
	v_lshrrev_b32_e32 v2, 23, v2
	s_delay_alu instid0(VALU_DEP_3) | instskip(NEXT) | instid1(VALU_DEP_3)
	v_cmp_ne_u32_e32 vcc_lo, 0, v3
	v_cmp_ne_u32_e64 s0, 0, v5
	s_and_b32 s0, vcc_lo, s0
	s_delay_alu instid0(SALU_CYCLE_1) | instskip(NEXT) | instid1(VALU_DEP_1)
	v_cndmask_b32_e64 v3, 0, 1, s0
	v_add_nc_u32_e32 v3, v2, v3
.LBB158_4001:
	s_or_b32 exec_lo, exec_lo, s3
	s_mov_b32 s0, 0
	global_store_b8 v[0:1], v3, off
.LBB158_4002:
	s_mov_b32 s3, 0
.LBB158_4003:
	s_delay_alu instid0(SALU_CYCLE_1)
	s_and_b32 vcc_lo, exec_lo, s3
	s_cbranch_vccz .LBB158_4006
; %bb.4004:
	s_cmp_eq_u32 s2, 29
	s_mov_b32 s0, -1
	s_cbranch_scc0 .LBB158_4006
; %bb.4005:
	s_wait_xcnt 0x0
	v_cvt_f32_f16_e32 v2, v4
	v_mov_b32_e32 v3, 0
	s_mov_b32 s0, 0
	s_delay_alu instid0(VALU_DEP_2)
	v_cvt_u32_f32_e32 v2, v2
	global_store_b64 v[0:1], v[2:3], off
.LBB158_4006:
	s_mov_b32 s3, 0
.LBB158_4007:
	s_delay_alu instid0(SALU_CYCLE_1)
	s_and_b32 vcc_lo, exec_lo, s3
	s_cbranch_vccz .LBB158_4022
; %bb.4008:
	s_cmp_lt_i32 s2, 27
	s_mov_b32 s3, -1
	s_cbranch_scc1 .LBB158_4014
; %bb.4009:
	s_cmp_gt_i32 s2, 27
	s_cbranch_scc0 .LBB158_4011
; %bb.4010:
	s_wait_xcnt 0x0
	v_cvt_f32_f16_e32 v2, v4
	s_mov_b32 s3, 0
	s_delay_alu instid0(VALU_DEP_1)
	v_cvt_u32_f32_e32 v2, v2
	global_store_b32 v[0:1], v2, off
.LBB158_4011:
	s_and_not1_b32 vcc_lo, exec_lo, s3
	s_cbranch_vccnz .LBB158_4013
; %bb.4012:
	s_wait_xcnt 0x0
	v_cvt_u16_f16_e32 v2, v4
	global_store_b16 v[0:1], v2, off
.LBB158_4013:
	s_mov_b32 s3, 0
.LBB158_4014:
	s_delay_alu instid0(SALU_CYCLE_1)
	s_and_not1_b32 vcc_lo, exec_lo, s3
	s_cbranch_vccnz .LBB158_4022
; %bb.4015:
	s_wait_xcnt 0x0
	v_cvt_f32_f16_e32 v2, v4
	v_mov_b32_e32 v5, 0x80
	s_mov_b32 s3, exec_lo
	s_delay_alu instid0(VALU_DEP_2) | instskip(NEXT) | instid1(VALU_DEP_1)
	v_and_b32_e32 v3, 0x7fffffff, v2
	v_cmpx_gt_u32_e32 0x43800000, v3
	s_cbranch_execz .LBB158_4021
; %bb.4016:
	v_cmp_lt_u32_e32 vcc_lo, 0x3bffffff, v3
	s_mov_b32 s4, 0
                                        ; implicit-def: $vgpr3
	s_and_saveexec_b32 s5, vcc_lo
	s_delay_alu instid0(SALU_CYCLE_1)
	s_xor_b32 s5, exec_lo, s5
	s_cbranch_execz .LBB158_4127
; %bb.4017:
	v_bfe_u32 v3, v2, 20, 1
	s_mov_b32 s4, exec_lo
	s_delay_alu instid0(VALU_DEP_1) | instskip(NEXT) | instid1(VALU_DEP_1)
	v_add3_u32 v3, v2, v3, 0x487ffff
	v_lshrrev_b32_e32 v3, 20, v3
	s_and_not1_saveexec_b32 s5, s5
	s_cbranch_execnz .LBB158_4128
.LBB158_4018:
	s_or_b32 exec_lo, exec_lo, s5
	v_mov_b32_e32 v5, 0
	s_and_saveexec_b32 s5, s4
.LBB158_4019:
	v_lshrrev_b32_e32 v2, 24, v2
	s_delay_alu instid0(VALU_DEP_1)
	v_and_or_b32 v5, 0x80, v2, v3
.LBB158_4020:
	s_or_b32 exec_lo, exec_lo, s5
.LBB158_4021:
	s_delay_alu instid0(SALU_CYCLE_1)
	s_or_b32 exec_lo, exec_lo, s3
	global_store_b8 v[0:1], v5, off
.LBB158_4022:
	s_mov_b32 s3, 0
.LBB158_4023:
	s_delay_alu instid0(SALU_CYCLE_1)
	s_and_b32 vcc_lo, exec_lo, s3
	s_cbranch_vccz .LBB158_4063
; %bb.4024:
	s_cmp_gt_i32 s2, 22
	s_mov_b32 s1, -1
	s_cbranch_scc0 .LBB158_4056
; %bb.4025:
	s_cmp_lt_i32 s2, 24
	s_cbranch_scc1 .LBB158_4045
; %bb.4026:
	s_cmp_gt_i32 s2, 24
	s_cbranch_scc0 .LBB158_4034
; %bb.4027:
	s_wait_xcnt 0x0
	v_cvt_f32_f16_e32 v2, v4
	v_mov_b32_e32 v5, 0x80
	s_mov_b32 s1, exec_lo
	s_delay_alu instid0(VALU_DEP_2) | instskip(NEXT) | instid1(VALU_DEP_1)
	v_and_b32_e32 v3, 0x7fffffff, v2
	v_cmpx_gt_u32_e32 0x47800000, v3
	s_cbranch_execz .LBB158_4033
; %bb.4028:
	v_cmp_lt_u32_e32 vcc_lo, 0x37ffffff, v3
	s_mov_b32 s3, 0
                                        ; implicit-def: $vgpr3
	s_and_saveexec_b32 s4, vcc_lo
	s_delay_alu instid0(SALU_CYCLE_1)
	s_xor_b32 s4, exec_lo, s4
	s_cbranch_execz .LBB158_4130
; %bb.4029:
	v_bfe_u32 v3, v2, 21, 1
	s_mov_b32 s3, exec_lo
	s_delay_alu instid0(VALU_DEP_1) | instskip(NEXT) | instid1(VALU_DEP_1)
	v_add3_u32 v3, v2, v3, 0x88fffff
	v_lshrrev_b32_e32 v3, 21, v3
	s_and_not1_saveexec_b32 s4, s4
	s_cbranch_execnz .LBB158_4131
.LBB158_4030:
	s_or_b32 exec_lo, exec_lo, s4
	v_mov_b32_e32 v5, 0
	s_and_saveexec_b32 s4, s3
.LBB158_4031:
	v_lshrrev_b32_e32 v2, 24, v2
	s_delay_alu instid0(VALU_DEP_1)
	v_and_or_b32 v5, 0x80, v2, v3
.LBB158_4032:
	s_or_b32 exec_lo, exec_lo, s4
.LBB158_4033:
	s_delay_alu instid0(SALU_CYCLE_1)
	s_or_b32 exec_lo, exec_lo, s1
	s_mov_b32 s1, 0
	global_store_b8 v[0:1], v5, off
.LBB158_4034:
	s_and_b32 vcc_lo, exec_lo, s1
	s_cbranch_vccz .LBB158_4044
; %bb.4035:
	s_wait_xcnt 0x0
	v_cvt_f32_f16_e32 v2, v4
	s_mov_b32 s1, exec_lo
                                        ; implicit-def: $vgpr3
	s_delay_alu instid0(VALU_DEP_1) | instskip(NEXT) | instid1(VALU_DEP_1)
	v_and_b32_e32 v5, 0x7fffffff, v2
	v_cmpx_gt_u32_e32 0x43f00000, v5
	s_xor_b32 s1, exec_lo, s1
	s_cbranch_execz .LBB158_4041
; %bb.4036:
	s_mov_b32 s3, exec_lo
                                        ; implicit-def: $vgpr3
	v_cmpx_lt_u32_e32 0x3c7fffff, v5
	s_xor_b32 s3, exec_lo, s3
; %bb.4037:
	v_bfe_u32 v3, v2, 20, 1
	s_delay_alu instid0(VALU_DEP_1) | instskip(NEXT) | instid1(VALU_DEP_1)
	v_add3_u32 v3, v2, v3, 0x407ffff
	v_and_b32_e32 v5, 0xff00000, v3
	v_lshrrev_b32_e32 v3, 20, v3
	s_delay_alu instid0(VALU_DEP_2) | instskip(NEXT) | instid1(VALU_DEP_2)
	v_cmp_ne_u32_e32 vcc_lo, 0x7f00000, v5
	v_cndmask_b32_e32 v3, 0x7e, v3, vcc_lo
; %bb.4038:
	s_and_not1_saveexec_b32 s3, s3
; %bb.4039:
	v_add_f32_e64 v3, 0x46800000, |v2|
; %bb.4040:
	s_or_b32 exec_lo, exec_lo, s3
                                        ; implicit-def: $vgpr5
.LBB158_4041:
	s_and_not1_saveexec_b32 s1, s1
; %bb.4042:
	v_mov_b32_e32 v3, 0x7f
	v_cmp_lt_u32_e32 vcc_lo, 0x7f800000, v5
	s_delay_alu instid0(VALU_DEP_2)
	v_cndmask_b32_e32 v3, 0x7e, v3, vcc_lo
; %bb.4043:
	s_or_b32 exec_lo, exec_lo, s1
	v_lshrrev_b32_e32 v2, 24, v2
	s_delay_alu instid0(VALU_DEP_1)
	v_and_or_b32 v2, 0x80, v2, v3
	global_store_b8 v[0:1], v2, off
.LBB158_4044:
	s_mov_b32 s1, 0
.LBB158_4045:
	s_delay_alu instid0(SALU_CYCLE_1)
	s_and_not1_b32 vcc_lo, exec_lo, s1
	s_cbranch_vccnz .LBB158_4055
; %bb.4046:
	s_wait_xcnt 0x0
	v_cvt_f32_f16_e32 v2, v4
	s_mov_b32 s1, exec_lo
                                        ; implicit-def: $vgpr3
	s_delay_alu instid0(VALU_DEP_1) | instskip(NEXT) | instid1(VALU_DEP_1)
	v_and_b32_e32 v5, 0x7fffffff, v2
	v_cmpx_gt_u32_e32 0x47800000, v5
	s_xor_b32 s1, exec_lo, s1
	s_cbranch_execz .LBB158_4052
; %bb.4047:
	s_mov_b32 s3, exec_lo
                                        ; implicit-def: $vgpr3
	v_cmpx_lt_u32_e32 0x387fffff, v5
	s_xor_b32 s3, exec_lo, s3
; %bb.4048:
	v_bfe_u32 v3, v2, 21, 1
	s_delay_alu instid0(VALU_DEP_1) | instskip(NEXT) | instid1(VALU_DEP_1)
	v_add3_u32 v3, v2, v3, 0x80fffff
	v_lshrrev_b32_e32 v3, 21, v3
; %bb.4049:
	s_and_not1_saveexec_b32 s3, s3
; %bb.4050:
	v_add_f32_e64 v3, 0x43000000, |v2|
; %bb.4051:
	s_or_b32 exec_lo, exec_lo, s3
                                        ; implicit-def: $vgpr5
.LBB158_4052:
	s_and_not1_saveexec_b32 s1, s1
; %bb.4053:
	v_mov_b32_e32 v3, 0x7f
	v_cmp_lt_u32_e32 vcc_lo, 0x7f800000, v5
	s_delay_alu instid0(VALU_DEP_2)
	v_cndmask_b32_e32 v3, 0x7c, v3, vcc_lo
; %bb.4054:
	s_or_b32 exec_lo, exec_lo, s1
	v_lshrrev_b32_e32 v2, 24, v2
	s_delay_alu instid0(VALU_DEP_1)
	v_and_or_b32 v2, 0x80, v2, v3
	global_store_b8 v[0:1], v2, off
.LBB158_4055:
	s_mov_b32 s1, 0
.LBB158_4056:
	s_delay_alu instid0(SALU_CYCLE_1)
	s_and_not1_b32 vcc_lo, exec_lo, s1
	s_mov_b32 s1, 0
	s_cbranch_vccnz .LBB158_4063
; %bb.4057:
	s_cmp_gt_i32 s2, 14
	s_mov_b32 s1, -1
	s_cbranch_scc0 .LBB158_4061
; %bb.4058:
	s_cmp_eq_u32 s2, 15
	s_mov_b32 s0, -1
	s_cbranch_scc0 .LBB158_4060
; %bb.4059:
	s_wait_xcnt 0x0
	v_cvt_f32_f16_e32 v2, v4
	v_cmp_o_f16_e32 vcc_lo, v4, v4
	s_mov_b32 s0, 0
	s_delay_alu instid0(VALU_DEP_2) | instskip(NEXT) | instid1(VALU_DEP_1)
	v_bfe_u32 v3, v2, 16, 1
	v_add3_u32 v2, v2, v3, 0x7fff
	s_delay_alu instid0(VALU_DEP_1) | instskip(NEXT) | instid1(VALU_DEP_1)
	v_lshrrev_b32_e32 v2, 16, v2
	v_cndmask_b32_e32 v2, 0x7fc0, v2, vcc_lo
	global_store_b16 v[0:1], v2, off
.LBB158_4060:
	s_mov_b32 s1, 0
.LBB158_4061:
	s_delay_alu instid0(SALU_CYCLE_1)
	s_and_b32 vcc_lo, exec_lo, s1
	s_mov_b32 s1, 0
	s_cbranch_vccz .LBB158_4063
; %bb.4062:
	s_cmp_lg_u32 s2, 11
	s_mov_b32 s1, -1
	s_cselect_b32 s0, -1, 0
.LBB158_4063:
	s_delay_alu instid0(SALU_CYCLE_1)
	s_and_b32 vcc_lo, exec_lo, s0
	s_cbranch_vccnz .LBB158_4129
.LBB158_4064:
	s_mov_b32 s0, 0
	s_branch .LBB158_4066
.LBB158_4065:
	s_mov_b32 s0, 0
	s_mov_b32 s1, 0
                                        ; implicit-def: $sgpr20
                                        ; implicit-def: $vgpr0_vgpr1
                                        ; implicit-def: $vgpr4
.LBB158_4066:
	s_and_not1_b32 s2, s19, exec_lo
	s_and_b32 s3, s16, exec_lo
	s_and_b32 s0, s0, exec_lo
	;; [unrolled: 1-line block ×3, first 2 shown]
	s_or_b32 s19, s2, s3
.LBB158_4067:
	s_wait_xcnt 0x0
	s_or_b32 exec_lo, exec_lo, s18
	s_and_saveexec_b32 s1, s19
	s_cbranch_execz .LBB158_4070
; %bb.4068:
	; divergent unreachable
	s_or_b32 exec_lo, exec_lo, s1
	s_and_saveexec_b32 s1, s16
	s_delay_alu instid0(SALU_CYCLE_1)
	s_xor_b32 s1, exec_lo, s1
	s_cbranch_execnz .LBB158_4071
.LBB158_4069:
	s_or_b32 exec_lo, exec_lo, s1
	s_and_saveexec_b32 s1, s0
	s_cbranch_execnz .LBB158_4072
	s_branch .LBB158_4109
.LBB158_4070:
	s_or_b32 exec_lo, exec_lo, s1
	s_and_saveexec_b32 s1, s16
	s_delay_alu instid0(SALU_CYCLE_1)
	s_xor_b32 s1, exec_lo, s1
	s_cbranch_execz .LBB158_4069
.LBB158_4071:
	s_wait_loadcnt 0x0
	v_and_b32_e32 v2, 0x7fff, v4
	s_delay_alu instid0(VALU_DEP_1)
	v_cmp_ne_u16_e32 vcc_lo, 0, v2
	v_cndmask_b32_e64 v2, 0, 1, vcc_lo
	global_store_b8 v[0:1], v2, off
	s_wait_xcnt 0x0
	s_or_b32 exec_lo, exec_lo, s1
	s_and_saveexec_b32 s1, s0
	s_cbranch_execz .LBB158_4109
.LBB158_4072:
	s_sext_i32_i16 s1, s20
	s_mov_b32 s0, -1
	s_cmp_lt_i32 s1, 5
	s_cbranch_scc1 .LBB158_4093
; %bb.4073:
	s_cmp_lt_i32 s1, 8
	s_cbranch_scc1 .LBB158_4083
; %bb.4074:
	;; [unrolled: 3-line block ×3, first 2 shown]
	s_wait_loadcnt 0x0
	v_cvt_f32_f16_e32 v2, v4
	s_cmp_gt_i32 s1, 9
	s_cbranch_scc0 .LBB158_4077
; %bb.4076:
	s_delay_alu instid0(VALU_DEP_1) | instskip(SKIP_2) | instid1(VALU_DEP_1)
	v_cvt_f64_f32_e32 v[6:7], v2
	v_mov_b32_e32 v8, 0
	s_mov_b32 s0, 0
	v_mov_b32_e32 v9, v8
	global_store_b128 v[0:1], v[6:9], off
.LBB158_4077:
	s_and_not1_b32 vcc_lo, exec_lo, s0
	s_cbranch_vccnz .LBB158_4079
; %bb.4078:
	v_mov_b32_e32 v3, 0
	global_store_b64 v[0:1], v[2:3], off
.LBB158_4079:
	s_mov_b32 s0, 0
.LBB158_4080:
	s_delay_alu instid0(SALU_CYCLE_1)
	s_and_not1_b32 vcc_lo, exec_lo, s0
	s_cbranch_vccnz .LBB158_4082
; %bb.4081:
	s_wait_loadcnt 0x0
	v_and_b32_e32 v2, 0xffff, v4
	global_store_b32 v[0:1], v2, off
.LBB158_4082:
	s_mov_b32 s0, 0
.LBB158_4083:
	s_delay_alu instid0(SALU_CYCLE_1)
	s_and_not1_b32 vcc_lo, exec_lo, s0
	s_cbranch_vccnz .LBB158_4092
; %bb.4084:
	s_sext_i32_i16 s1, s20
	s_mov_b32 s0, -1
	s_cmp_lt_i32 s1, 6
	s_cbranch_scc1 .LBB158_4090
; %bb.4085:
	s_wait_loadcnt 0x0
	v_cvt_f32_f16_e32 v2, v4
	s_cmp_gt_i32 s1, 6
	s_cbranch_scc0 .LBB158_4087
; %bb.4086:
	s_delay_alu instid0(VALU_DEP_1)
	v_cvt_f64_f32_e32 v[6:7], v2
	s_mov_b32 s0, 0
	global_store_b64 v[0:1], v[6:7], off
.LBB158_4087:
	s_and_not1_b32 vcc_lo, exec_lo, s0
	s_cbranch_vccnz .LBB158_4089
; %bb.4088:
	global_store_b32 v[0:1], v2, off
.LBB158_4089:
	s_mov_b32 s0, 0
.LBB158_4090:
	s_delay_alu instid0(SALU_CYCLE_1)
	s_and_not1_b32 vcc_lo, exec_lo, s0
	s_cbranch_vccnz .LBB158_4092
; %bb.4091:
	s_wait_loadcnt 0x0
	global_store_b16 v[0:1], v4, off
.LBB158_4092:
	s_mov_b32 s0, 0
.LBB158_4093:
	s_delay_alu instid0(SALU_CYCLE_1)
	s_and_not1_b32 vcc_lo, exec_lo, s0
	s_cbranch_vccnz .LBB158_4109
; %bb.4094:
	s_sext_i32_i16 s1, s20
	s_mov_b32 s0, -1
	s_cmp_lt_i32 s1, 2
	s_cbranch_scc1 .LBB158_4104
; %bb.4095:
	s_cmp_lt_i32 s1, 3
	s_cbranch_scc1 .LBB158_4101
; %bb.4096:
	s_wait_loadcnt 0x0
	v_cvt_f32_f16_e32 v2, v4
	s_cmp_gt_i32 s1, 3
	s_delay_alu instid0(VALU_DEP_1)
	v_cvt_i32_f32_e32 v2, v2
	s_cbranch_scc0 .LBB158_4098
; %bb.4097:
	s_delay_alu instid0(VALU_DEP_1)
	v_ashrrev_i32_e32 v3, 31, v2
	s_mov_b32 s0, 0
	global_store_b64 v[0:1], v[2:3], off
.LBB158_4098:
	s_and_not1_b32 vcc_lo, exec_lo, s0
	s_cbranch_vccnz .LBB158_4100
; %bb.4099:
	global_store_b32 v[0:1], v2, off
.LBB158_4100:
	s_mov_b32 s0, 0
.LBB158_4101:
	s_delay_alu instid0(SALU_CYCLE_1)
	s_and_not1_b32 vcc_lo, exec_lo, s0
	s_cbranch_vccnz .LBB158_4103
; %bb.4102:
	s_wait_loadcnt 0x0
	v_cvt_i16_f16_e32 v2, v4
	global_store_b16 v[0:1], v2, off
.LBB158_4103:
	s_mov_b32 s0, 0
.LBB158_4104:
	s_delay_alu instid0(SALU_CYCLE_1)
	s_and_not1_b32 vcc_lo, exec_lo, s0
	s_cbranch_vccnz .LBB158_4109
; %bb.4105:
	s_sext_i32_i16 s0, s20
	s_delay_alu instid0(SALU_CYCLE_1)
	s_cmp_gt_i32 s0, 0
	s_mov_b32 s0, -1
	s_cbranch_scc0 .LBB158_4107
; %bb.4106:
	s_wait_loadcnt 0x0
	v_cvt_i16_f16_e32 v2, v4
	s_mov_b32 s0, 0
	global_store_b8 v[0:1], v2, off
.LBB158_4107:
	s_and_not1_b32 vcc_lo, exec_lo, s0
	s_cbranch_vccnz .LBB158_4109
; %bb.4108:
	s_wait_loadcnt 0x0
	v_cvt_f32_f16_e32 v2, v4
	s_delay_alu instid0(VALU_DEP_1)
	v_cvt_i32_f32_e32 v2, v2
	global_store_b8 v[0:1], v2, off
	s_endpgm
.LBB158_4109:
	s_endpgm
.LBB158_4110:
	s_mov_b32 s1, 0
	s_mov_b32 s0, -1
	s_branch .LBB158_4066
.LBB158_4111:
	s_or_b32 s16, s16, exec_lo
	s_trap 2
	s_cbranch_execz .LBB158_3580
	s_branch .LBB158_3581
.LBB158_4112:
	s_and_not1_saveexec_b32 s7, s7
	s_cbranch_execz .LBB158_3660
.LBB158_4113:
	v_add_f32_e64 v9, 0x46000000, |v8|
	s_and_not1_b32 s6, s6, exec_lo
	s_delay_alu instid0(VALU_DEP_1) | instskip(NEXT) | instid1(VALU_DEP_1)
	v_and_b32_e32 v9, 0xff, v9
	v_cmp_ne_u32_e32 vcc_lo, 0, v9
	s_and_b32 s8, vcc_lo, exec_lo
	s_delay_alu instid0(SALU_CYCLE_1)
	s_or_b32 s6, s6, s8
	s_or_b32 exec_lo, exec_lo, s7
	v_mov_b32_e32 v10, 0
	s_and_saveexec_b32 s7, s6
	s_cbranch_execnz .LBB158_3661
	s_branch .LBB158_3662
.LBB158_4114:
	s_or_b32 s16, s16, exec_lo
	s_trap 2
	s_cbranch_execz .LBB158_3708
	s_branch .LBB158_3709
.LBB158_4115:
	s_and_not1_saveexec_b32 s6, s6
	s_cbranch_execz .LBB158_3673
.LBB158_4116:
	v_add_f32_e64 v9, 0x42800000, |v8|
	s_and_not1_b32 s3, s3, exec_lo
	s_delay_alu instid0(VALU_DEP_1) | instskip(NEXT) | instid1(VALU_DEP_1)
	v_and_b32_e32 v9, 0xff, v9
	v_cmp_ne_u32_e32 vcc_lo, 0, v9
	s_and_b32 s7, vcc_lo, exec_lo
	s_delay_alu instid0(SALU_CYCLE_1)
	s_or_b32 s3, s3, s7
	s_or_b32 exec_lo, exec_lo, s6
	v_mov_b32_e32 v10, 0
	s_and_saveexec_b32 s6, s3
	s_cbranch_execnz .LBB158_3674
	s_branch .LBB158_3675
.LBB158_4117:
	s_and_not1_saveexec_b32 s8, s8
	s_cbranch_execz .LBB158_3779
.LBB158_4118:
	v_add_f32_e64 v9, 0x46000000, |v8|
	s_and_not1_b32 s7, s7, exec_lo
	s_delay_alu instid0(VALU_DEP_1) | instskip(NEXT) | instid1(VALU_DEP_1)
	v_and_b32_e32 v9, 0xff, v9
	v_cmp_ne_u32_e32 vcc_lo, 0, v9
	s_and_b32 s9, vcc_lo, exec_lo
	s_delay_alu instid0(SALU_CYCLE_1)
	s_or_b32 s7, s7, s9
	s_or_b32 exec_lo, exec_lo, s8
	v_mov_b32_e32 v10, 0
	s_and_saveexec_b32 s8, s7
	s_cbranch_execnz .LBB158_3780
	s_branch .LBB158_3781
.LBB158_4119:
	s_or_b32 s16, s16, exec_lo
	s_trap 2
	s_cbranch_execz .LBB158_3827
	s_branch .LBB158_3828
.LBB158_4120:
	s_and_not1_saveexec_b32 s7, s7
	s_cbranch_execz .LBB158_3792
.LBB158_4121:
	v_add_f32_e64 v9, 0x42800000, |v8|
	s_and_not1_b32 s6, s6, exec_lo
	s_delay_alu instid0(VALU_DEP_1) | instskip(NEXT) | instid1(VALU_DEP_1)
	v_and_b32_e32 v9, 0xff, v9
	v_cmp_ne_u32_e32 vcc_lo, 0, v9
	s_and_b32 s8, vcc_lo, exec_lo
	s_delay_alu instid0(SALU_CYCLE_1)
	s_or_b32 s6, s6, s8
	s_or_b32 exec_lo, exec_lo, s7
	v_mov_b32_e32 v10, 0
	s_and_saveexec_b32 s7, s6
	s_cbranch_execnz .LBB158_3793
	s_branch .LBB158_3794
.LBB158_4122:
	s_and_not1_saveexec_b32 s8, s8
	s_cbranch_execz .LBB158_3898
.LBB158_4123:
	v_add_f32_e64 v8, 0x46000000, |v5|
	s_and_not1_b32 s7, s7, exec_lo
	s_delay_alu instid0(VALU_DEP_1) | instskip(NEXT) | instid1(VALU_DEP_1)
	v_and_b32_e32 v8, 0xff, v8
	v_cmp_ne_u32_e32 vcc_lo, 0, v8
	s_and_b32 s9, vcc_lo, exec_lo
	s_delay_alu instid0(SALU_CYCLE_1)
	s_or_b32 s7, s7, s9
	s_or_b32 exec_lo, exec_lo, s8
	v_mov_b32_e32 v9, 0
	s_and_saveexec_b32 s8, s7
	s_cbranch_execnz .LBB158_3899
	s_branch .LBB158_3900
.LBB158_4124:
	s_or_b32 s16, s16, exec_lo
	s_trap 2
	s_cbranch_execz .LBB158_3946
	s_branch .LBB158_3947
.LBB158_4125:
	s_and_not1_saveexec_b32 s7, s7
	s_cbranch_execz .LBB158_3911
.LBB158_4126:
	v_add_f32_e64 v8, 0x42800000, |v5|
	s_and_not1_b32 s6, s6, exec_lo
	s_delay_alu instid0(VALU_DEP_1) | instskip(NEXT) | instid1(VALU_DEP_1)
	v_and_b32_e32 v8, 0xff, v8
	v_cmp_ne_u32_e32 vcc_lo, 0, v8
	s_and_b32 s8, vcc_lo, exec_lo
	s_delay_alu instid0(SALU_CYCLE_1)
	s_or_b32 s6, s6, s8
	s_or_b32 exec_lo, exec_lo, s7
	v_mov_b32_e32 v9, 0
	s_and_saveexec_b32 s7, s6
	s_cbranch_execnz .LBB158_3912
	s_branch .LBB158_3913
.LBB158_4127:
	s_and_not1_saveexec_b32 s5, s5
	s_cbranch_execz .LBB158_4018
.LBB158_4128:
	v_add_f32_e64 v3, 0x46000000, |v2|
	s_and_not1_b32 s4, s4, exec_lo
	s_delay_alu instid0(VALU_DEP_1) | instskip(NEXT) | instid1(VALU_DEP_1)
	v_and_b32_e32 v3, 0xff, v3
	v_cmp_ne_u32_e32 vcc_lo, 0, v3
	s_and_b32 s6, vcc_lo, exec_lo
	s_delay_alu instid0(SALU_CYCLE_1)
	s_or_b32 s4, s4, s6
	s_or_b32 exec_lo, exec_lo, s5
	v_mov_b32_e32 v5, 0
	s_and_saveexec_b32 s5, s4
	s_cbranch_execnz .LBB158_4019
	s_branch .LBB158_4020
.LBB158_4129:
	s_mov_b32 s1, 0
	s_or_b32 s16, s16, exec_lo
	s_trap 2
	s_branch .LBB158_4064
.LBB158_4130:
	s_and_not1_saveexec_b32 s4, s4
	s_cbranch_execz .LBB158_4030
.LBB158_4131:
	v_add_f32_e64 v3, 0x42800000, |v2|
	s_and_not1_b32 s3, s3, exec_lo
	s_delay_alu instid0(VALU_DEP_1) | instskip(NEXT) | instid1(VALU_DEP_1)
	v_and_b32_e32 v3, 0xff, v3
	v_cmp_ne_u32_e32 vcc_lo, 0, v3
	s_and_b32 s5, vcc_lo, exec_lo
	s_delay_alu instid0(SALU_CYCLE_1)
	s_or_b32 s3, s3, s5
	s_or_b32 exec_lo, exec_lo, s4
	v_mov_b32_e32 v5, 0
	s_and_saveexec_b32 s4, s3
	s_cbranch_execnz .LBB158_4031
	s_branch .LBB158_4032
	.section	.rodata,"a",@progbits
	.p2align	6, 0x0
	.amdhsa_kernel _ZN2at6native32elementwise_kernel_manual_unrollILi128ELi4EZNS0_15gpu_kernel_implIZZZNS0_12_GLOBAL__N_117clamp_kernel_implERNS_18TensorIteratorBaseEENKUlvE_clEvENKUlvE6_clEvEUlN3c104HalfES9_S9_E_EEvS5_RKT_EUlibE_EEviT1_
		.amdhsa_group_segment_fixed_size 0
		.amdhsa_private_segment_fixed_size 0
		.amdhsa_kernarg_size 64
		.amdhsa_user_sgpr_count 2
		.amdhsa_user_sgpr_dispatch_ptr 0
		.amdhsa_user_sgpr_queue_ptr 0
		.amdhsa_user_sgpr_kernarg_segment_ptr 1
		.amdhsa_user_sgpr_dispatch_id 0
		.amdhsa_user_sgpr_kernarg_preload_length 0
		.amdhsa_user_sgpr_kernarg_preload_offset 0
		.amdhsa_user_sgpr_private_segment_size 0
		.amdhsa_wavefront_size32 1
		.amdhsa_uses_dynamic_stack 0
		.amdhsa_enable_private_segment 0
		.amdhsa_system_sgpr_workgroup_id_x 1
		.amdhsa_system_sgpr_workgroup_id_y 0
		.amdhsa_system_sgpr_workgroup_id_z 0
		.amdhsa_system_sgpr_workgroup_info 0
		.amdhsa_system_vgpr_workitem_id 0
		.amdhsa_next_free_vgpr 20
		.amdhsa_next_free_sgpr 42
		.amdhsa_named_barrier_count 0
		.amdhsa_reserve_vcc 1
		.amdhsa_float_round_mode_32 0
		.amdhsa_float_round_mode_16_64 0
		.amdhsa_float_denorm_mode_32 3
		.amdhsa_float_denorm_mode_16_64 3
		.amdhsa_fp16_overflow 0
		.amdhsa_memory_ordered 1
		.amdhsa_forward_progress 1
		.amdhsa_inst_pref_size 255
		.amdhsa_round_robin_scheduling 0
		.amdhsa_exception_fp_ieee_invalid_op 0
		.amdhsa_exception_fp_denorm_src 0
		.amdhsa_exception_fp_ieee_div_zero 0
		.amdhsa_exception_fp_ieee_overflow 0
		.amdhsa_exception_fp_ieee_underflow 0
		.amdhsa_exception_fp_ieee_inexact 0
		.amdhsa_exception_int_div_zero 0
	.end_amdhsa_kernel
	.section	.text._ZN2at6native32elementwise_kernel_manual_unrollILi128ELi4EZNS0_15gpu_kernel_implIZZZNS0_12_GLOBAL__N_117clamp_kernel_implERNS_18TensorIteratorBaseEENKUlvE_clEvENKUlvE6_clEvEUlN3c104HalfES9_S9_E_EEvS5_RKT_EUlibE_EEviT1_,"axG",@progbits,_ZN2at6native32elementwise_kernel_manual_unrollILi128ELi4EZNS0_15gpu_kernel_implIZZZNS0_12_GLOBAL__N_117clamp_kernel_implERNS_18TensorIteratorBaseEENKUlvE_clEvENKUlvE6_clEvEUlN3c104HalfES9_S9_E_EEvS5_RKT_EUlibE_EEviT1_,comdat
.Lfunc_end158:
	.size	_ZN2at6native32elementwise_kernel_manual_unrollILi128ELi4EZNS0_15gpu_kernel_implIZZZNS0_12_GLOBAL__N_117clamp_kernel_implERNS_18TensorIteratorBaseEENKUlvE_clEvENKUlvE6_clEvEUlN3c104HalfES9_S9_E_EEvS5_RKT_EUlibE_EEviT1_, .Lfunc_end158-_ZN2at6native32elementwise_kernel_manual_unrollILi128ELi4EZNS0_15gpu_kernel_implIZZZNS0_12_GLOBAL__N_117clamp_kernel_implERNS_18TensorIteratorBaseEENKUlvE_clEvENKUlvE6_clEvEUlN3c104HalfES9_S9_E_EEvS5_RKT_EUlibE_EEviT1_
                                        ; -- End function
	.set _ZN2at6native32elementwise_kernel_manual_unrollILi128ELi4EZNS0_15gpu_kernel_implIZZZNS0_12_GLOBAL__N_117clamp_kernel_implERNS_18TensorIteratorBaseEENKUlvE_clEvENKUlvE6_clEvEUlN3c104HalfES9_S9_E_EEvS5_RKT_EUlibE_EEviT1_.num_vgpr, 20
	.set _ZN2at6native32elementwise_kernel_manual_unrollILi128ELi4EZNS0_15gpu_kernel_implIZZZNS0_12_GLOBAL__N_117clamp_kernel_implERNS_18TensorIteratorBaseEENKUlvE_clEvENKUlvE6_clEvEUlN3c104HalfES9_S9_E_EEvS5_RKT_EUlibE_EEviT1_.num_agpr, 0
	.set _ZN2at6native32elementwise_kernel_manual_unrollILi128ELi4EZNS0_15gpu_kernel_implIZZZNS0_12_GLOBAL__N_117clamp_kernel_implERNS_18TensorIteratorBaseEENKUlvE_clEvENKUlvE6_clEvEUlN3c104HalfES9_S9_E_EEvS5_RKT_EUlibE_EEviT1_.numbered_sgpr, 42
	.set _ZN2at6native32elementwise_kernel_manual_unrollILi128ELi4EZNS0_15gpu_kernel_implIZZZNS0_12_GLOBAL__N_117clamp_kernel_implERNS_18TensorIteratorBaseEENKUlvE_clEvENKUlvE6_clEvEUlN3c104HalfES9_S9_E_EEvS5_RKT_EUlibE_EEviT1_.num_named_barrier, 0
	.set _ZN2at6native32elementwise_kernel_manual_unrollILi128ELi4EZNS0_15gpu_kernel_implIZZZNS0_12_GLOBAL__N_117clamp_kernel_implERNS_18TensorIteratorBaseEENKUlvE_clEvENKUlvE6_clEvEUlN3c104HalfES9_S9_E_EEvS5_RKT_EUlibE_EEviT1_.private_seg_size, 0
	.set _ZN2at6native32elementwise_kernel_manual_unrollILi128ELi4EZNS0_15gpu_kernel_implIZZZNS0_12_GLOBAL__N_117clamp_kernel_implERNS_18TensorIteratorBaseEENKUlvE_clEvENKUlvE6_clEvEUlN3c104HalfES9_S9_E_EEvS5_RKT_EUlibE_EEviT1_.uses_vcc, 1
	.set _ZN2at6native32elementwise_kernel_manual_unrollILi128ELi4EZNS0_15gpu_kernel_implIZZZNS0_12_GLOBAL__N_117clamp_kernel_implERNS_18TensorIteratorBaseEENKUlvE_clEvENKUlvE6_clEvEUlN3c104HalfES9_S9_E_EEvS5_RKT_EUlibE_EEviT1_.uses_flat_scratch, 0
	.set _ZN2at6native32elementwise_kernel_manual_unrollILi128ELi4EZNS0_15gpu_kernel_implIZZZNS0_12_GLOBAL__N_117clamp_kernel_implERNS_18TensorIteratorBaseEENKUlvE_clEvENKUlvE6_clEvEUlN3c104HalfES9_S9_E_EEvS5_RKT_EUlibE_EEviT1_.has_dyn_sized_stack, 0
	.set _ZN2at6native32elementwise_kernel_manual_unrollILi128ELi4EZNS0_15gpu_kernel_implIZZZNS0_12_GLOBAL__N_117clamp_kernel_implERNS_18TensorIteratorBaseEENKUlvE_clEvENKUlvE6_clEvEUlN3c104HalfES9_S9_E_EEvS5_RKT_EUlibE_EEviT1_.has_recursion, 0
	.set _ZN2at6native32elementwise_kernel_manual_unrollILi128ELi4EZNS0_15gpu_kernel_implIZZZNS0_12_GLOBAL__N_117clamp_kernel_implERNS_18TensorIteratorBaseEENKUlvE_clEvENKUlvE6_clEvEUlN3c104HalfES9_S9_E_EEvS5_RKT_EUlibE_EEviT1_.has_indirect_call, 0
	.section	.AMDGPU.csdata,"",@progbits
; Kernel info:
; codeLenInByte = 88384
; TotalNumSgprs: 44
; NumVgprs: 20
; ScratchSize: 0
; MemoryBound: 0
; FloatMode: 240
; IeeeMode: 1
; LDSByteSize: 0 bytes/workgroup (compile time only)
; SGPRBlocks: 0
; VGPRBlocks: 1
; NumSGPRsForWavesPerEU: 44
; NumVGPRsForWavesPerEU: 20
; NamedBarCnt: 0
; Occupancy: 16
; WaveLimiterHint : 0
; COMPUTE_PGM_RSRC2:SCRATCH_EN: 0
; COMPUTE_PGM_RSRC2:USER_SGPR: 2
; COMPUTE_PGM_RSRC2:TRAP_HANDLER: 0
; COMPUTE_PGM_RSRC2:TGID_X_EN: 1
; COMPUTE_PGM_RSRC2:TGID_Y_EN: 0
; COMPUTE_PGM_RSRC2:TGID_Z_EN: 0
; COMPUTE_PGM_RSRC2:TIDIG_COMP_CNT: 0
	.section	.text._ZN2at6native32elementwise_kernel_manual_unrollILi128ELi4EZNS0_15gpu_kernel_implIZZZNS0_12_GLOBAL__N_117clamp_kernel_implERNS_18TensorIteratorBaseEENKUlvE_clEvENKUlvE6_clEvEUlN3c104HalfES9_S9_E_EEvS5_RKT_EUlibE0_EEviT1_,"axG",@progbits,_ZN2at6native32elementwise_kernel_manual_unrollILi128ELi4EZNS0_15gpu_kernel_implIZZZNS0_12_GLOBAL__N_117clamp_kernel_implERNS_18TensorIteratorBaseEENKUlvE_clEvENKUlvE6_clEvEUlN3c104HalfES9_S9_E_EEvS5_RKT_EUlibE0_EEviT1_,comdat
	.globl	_ZN2at6native32elementwise_kernel_manual_unrollILi128ELi4EZNS0_15gpu_kernel_implIZZZNS0_12_GLOBAL__N_117clamp_kernel_implERNS_18TensorIteratorBaseEENKUlvE_clEvENKUlvE6_clEvEUlN3c104HalfES9_S9_E_EEvS5_RKT_EUlibE0_EEviT1_ ; -- Begin function _ZN2at6native32elementwise_kernel_manual_unrollILi128ELi4EZNS0_15gpu_kernel_implIZZZNS0_12_GLOBAL__N_117clamp_kernel_implERNS_18TensorIteratorBaseEENKUlvE_clEvENKUlvE6_clEvEUlN3c104HalfES9_S9_E_EEvS5_RKT_EUlibE0_EEviT1_
	.p2align	8
	.type	_ZN2at6native32elementwise_kernel_manual_unrollILi128ELi4EZNS0_15gpu_kernel_implIZZZNS0_12_GLOBAL__N_117clamp_kernel_implERNS_18TensorIteratorBaseEENKUlvE_clEvENKUlvE6_clEvEUlN3c104HalfES9_S9_E_EEvS5_RKT_EUlibE0_EEviT1_,@function
_ZN2at6native32elementwise_kernel_manual_unrollILi128ELi4EZNS0_15gpu_kernel_implIZZZNS0_12_GLOBAL__N_117clamp_kernel_implERNS_18TensorIteratorBaseEENKUlvE_clEvENKUlvE6_clEvEUlN3c104HalfES9_S9_E_EEvS5_RKT_EUlibE0_EEviT1_: ; @_ZN2at6native32elementwise_kernel_manual_unrollILi128ELi4EZNS0_15gpu_kernel_implIZZZNS0_12_GLOBAL__N_117clamp_kernel_implERNS_18TensorIteratorBaseEENKUlvE_clEvENKUlvE6_clEvEUlN3c104HalfES9_S9_E_EEvS5_RKT_EUlibE0_EEviT1_
; %bb.0:
	s_clause 0x1
	s_load_b32 s33, s[0:1], 0x8
	s_load_b32 s44, s[0:1], 0x0
	s_bfe_u32 s2, ttmp6, 0x4000c
	s_and_b32 s3, ttmp6, 15
	s_add_co_i32 s2, s2, 1
	s_getreg_b32 s4, hwreg(HW_REG_IB_STS2, 6, 4)
	s_mul_i32 s2, ttmp9, s2
	s_mov_b32 s35, 0
	s_add_co_i32 s3, s3, s2
	s_cmp_eq_u32 s4, 0
	s_mov_b32 s29, -1
	s_cselect_b32 s2, ttmp9, s3
	s_mov_b32 s10, 0
	v_lshl_or_b32 v0, s2, 9, v0
	s_add_nc_u64 s[2:3], s[0:1], 8
	s_wait_xcnt 0x0
	s_mov_b32 s0, exec_lo
	s_delay_alu instid0(VALU_DEP_1) | instskip(SKIP_2) | instid1(SALU_CYCLE_1)
	v_or_b32_e32 v5, 0x180, v0
	s_wait_kmcnt 0x0
	s_add_co_i32 s34, s33, -1
	s_cmp_gt_u32 s34, 1
	s_cselect_b32 s36, -1, 0
	v_cmpx_le_i32_e64 s44, v5
	s_xor_b32 s37, exec_lo, s0
	s_cbranch_execz .LBB159_2109
; %bb.1:
	v_mov_b32_e32 v1, 0
	s_clause 0x3
	s_load_b128 s[20:23], s[2:3], 0x4
	s_load_b64 s[0:1], s[2:3], 0x14
	s_load_b256 s[12:19], s[2:3], 0xc4
	s_load_b256 s[4:11], s[2:3], 0x1c8
	s_cmp_lg_u32 s33, 0
	s_mov_b32 s25, 0
	s_cselect_b32 s45, -1, 0
	global_load_b32 v1, v1, s[2:3] offset:489
	s_min_u32 s42, s34, 15
	s_cmp_gt_u32 s33, 1
	s_mov_b32 s27, s25
	s_mov_b32 s48, s25
	;; [unrolled: 1-line block ×4, first 2 shown]
	s_cselect_b32 s41, -1, 0
	s_mov_b32 s43, s25
	s_mov_b32 s49, exec_lo
	s_wait_kmcnt 0x0
	s_mov_b32 s24, s21
	s_mov_b32 s26, s0
	s_wait_loadcnt 0x0
	v_readfirstlane_b32 s38, v1
	s_lshr_b32 s39, s38, 16
	s_lshr_b32 s40, s38, 8
	;; [unrolled: 1-line block ×3, first 2 shown]
	v_cmpx_gt_i32_e64 s44, v0
	s_cbranch_execz .LBB159_523
; %bb.2:
	s_and_not1_b32 vcc_lo, exec_lo, s36
	s_cbranch_vccnz .LBB159_8
; %bb.3:
	s_and_not1_b32 vcc_lo, exec_lo, s45
	s_cbranch_vccnz .LBB159_9
; %bb.4:
	v_dual_mov_b32 v6, 0 :: v_dual_mov_b32 v1, v0
	v_dual_mov_b32 v4, 0 :: v_dual_mov_b32 v2, 0
	v_mov_b32_e32 v8, 0
	s_add_co_i32 s0, s42, 1
	s_mov_b64 s[28:29], 0xffffffffffffffe0
	s_and_b32 s0, s0, 30
	s_add_nc_u64 s[28:29], s[2:3], s[28:29]
	s_mov_b64 s[30:31], s[2:3]
.LBB159_5:                              ; =>This Inner Loop Header: Depth=1
	s_clause 0x1
	s_load_b128 s[60:63], s[30:31], 0x4
	s_load_b64 s[46:47], s[30:31], 0x14
	s_load_b256 s[52:59], s[28:29], 0xe4
	s_add_co_i32 s0, s0, -2
	s_wait_xcnt 0x0
	s_add_nc_u64 s[30:31], s[30:31], 24
	s_cmp_lg_u32 s0, 0
	s_add_nc_u64 s[28:29], s[28:29], 32
	s_wait_kmcnt 0x0
	v_mul_hi_u32 v3, s61, v1
	s_delay_alu instid0(VALU_DEP_1) | instskip(NEXT) | instid1(VALU_DEP_1)
	v_add_nc_u32_e32 v3, v1, v3
	v_lshrrev_b32_e32 v3, s62, v3
	s_delay_alu instid0(VALU_DEP_1) | instskip(SKIP_1) | instid1(VALU_DEP_1)
	v_mul_hi_u32 v5, s46, v3
	v_mul_lo_u32 v7, v3, s60
	v_dual_add_nc_u32 v5, v3, v5 :: v_dual_sub_nc_u32 v7, v1, v7
	s_delay_alu instid0(VALU_DEP_1) | instskip(NEXT) | instid1(VALU_DEP_2)
	v_lshrrev_b32_e32 v1, s47, v5
	v_mad_u32 v8, v7, s53, v8
	v_mad_u32 v2, v7, s52, v2
	;; [unrolled: 1-line block ×4, first 2 shown]
	v_mul_lo_u32 v5, v1, s63
	s_delay_alu instid0(VALU_DEP_1) | instskip(NEXT) | instid1(VALU_DEP_1)
	v_sub_nc_u32_e32 v3, v3, v5
	v_mad_u32 v8, v3, s57, v8
	v_mad_u32 v2, v3, s56, v2
	;; [unrolled: 1-line block ×4, first 2 shown]
	s_cbranch_scc1 .LBB159_5
; %bb.6:
	s_bitcmp1_b32 s42, 0
	s_cselect_b32 s0, -1, 0
	s_delay_alu instid0(SALU_CYCLE_1)
	s_and_b32 vcc_lo, exec_lo, s0
	s_cbranch_vccnz .LBB159_10
; %bb.7:
	s_load_b96 s[56:58], s[30:31], 0x4
	s_load_b128 s[52:55], s[28:29], 0xe4
	s_wait_kmcnt 0x0
	v_mul_hi_u32 v3, s57, v1
	s_delay_alu instid0(VALU_DEP_1) | instskip(NEXT) | instid1(VALU_DEP_1)
	v_add_nc_u32_e32 v3, v1, v3
	v_lshrrev_b32_e32 v3, s58, v3
	s_delay_alu instid0(VALU_DEP_1) | instskip(NEXT) | instid1(VALU_DEP_1)
	v_mul_lo_u32 v3, v3, s56
	v_sub_nc_u32_e32 v1, v1, v3
	s_delay_alu instid0(VALU_DEP_1)
	v_mad_u32 v2, v1, s52, v2
	v_mad_u32 v8, v1, s53, v8
	;; [unrolled: 1-line block ×4, first 2 shown]
	s_cbranch_execz .LBB159_11
	s_branch .LBB159_13
.LBB159_8:
                                        ; implicit-def: $vgpr8
                                        ; implicit-def: $vgpr2
                                        ; implicit-def: $vgpr4
                                        ; implicit-def: $vgpr6
	s_branch .LBB159_11
.LBB159_9:
	v_dual_mov_b32 v8, 0 :: v_dual_mov_b32 v2, 0
	v_dual_mov_b32 v4, 0 :: v_dual_mov_b32 v6, 0
.LBB159_10:
	s_cbranch_execnz .LBB159_13
.LBB159_11:
	v_mov_b32_e32 v1, 0
	s_and_not1_b32 vcc_lo, exec_lo, s41
	s_delay_alu instid0(VALU_DEP_1) | instskip(NEXT) | instid1(VALU_DEP_1)
	v_mul_u64_e32 v[2:3], s[24:25], v[0:1]
	v_add_nc_u32_e32 v2, v0, v3
	s_delay_alu instid0(VALU_DEP_1) | instskip(NEXT) | instid1(VALU_DEP_1)
	v_lshrrev_b32_e32 v10, s22, v2
	v_mul_lo_u32 v2, v10, s20
	s_delay_alu instid0(VALU_DEP_1) | instskip(NEXT) | instid1(VALU_DEP_1)
	v_sub_nc_u32_e32 v3, v0, v2
	v_mul_lo_u32 v8, v3, s13
	v_mul_lo_u32 v2, v3, s12
	;; [unrolled: 1-line block ×4, first 2 shown]
	s_cbranch_vccnz .LBB159_13
; %bb.12:
	v_mov_b32_e32 v11, v1
	s_delay_alu instid0(VALU_DEP_1) | instskip(NEXT) | instid1(VALU_DEP_1)
	v_mul_u64_e32 v[12:13], s[26:27], v[10:11]
	v_add_nc_u32_e32 v1, v10, v13
	s_delay_alu instid0(VALU_DEP_1) | instskip(NEXT) | instid1(VALU_DEP_1)
	v_lshrrev_b32_e32 v1, s1, v1
	v_mul_lo_u32 v1, v1, s23
	s_delay_alu instid0(VALU_DEP_1) | instskip(NEXT) | instid1(VALU_DEP_1)
	v_sub_nc_u32_e32 v1, v10, v1
	v_mad_u32 v2, v1, s16, v2
	v_mad_u32 v8, v1, s17, v8
	;; [unrolled: 1-line block ×4, first 2 shown]
.LBB159_13:
	v_mov_b32_e32 v9, 0
	s_and_b32 s0, s40, 0xff
	s_delay_alu instid0(SALU_CYCLE_1) | instskip(NEXT) | instid1(VALU_DEP_1)
	s_cmp_lt_i32 s0, 11
	v_add_nc_u64_e32 v[8:9], s[6:7], v[8:9]
	s_cbranch_scc1 .LBB159_20
; %bb.14:
	s_and_b32 s29, 0xffff, s0
	s_delay_alu instid0(SALU_CYCLE_1)
	s_cmp_gt_i32 s29, 25
	s_cbranch_scc0 .LBB159_29
; %bb.15:
	s_cmp_gt_i32 s29, 28
	s_cbranch_scc0 .LBB159_39
; %bb.16:
	;; [unrolled: 3-line block ×4, first 2 shown]
	s_cmp_eq_u32 s29, 46
	s_mov_b32 s31, 0
	s_cbranch_scc0 .LBB159_48
; %bb.19:
	global_load_b32 v1, v[8:9], off
	s_mov_b32 s30, -1
	s_mov_b32 s28, 0
	s_wait_loadcnt 0x0
	v_lshlrev_b32_e32 v1, 16, v1
	s_delay_alu instid0(VALU_DEP_1)
	v_cvt_f16_f32_e32 v1, v1
	s_branch .LBB159_50
.LBB159_20:
	s_mov_b32 s28, 0
	s_mov_b32 s30, 0
                                        ; implicit-def: $vgpr1
	s_cbranch_execnz .LBB159_116
.LBB159_21:
	s_and_not1_b32 vcc_lo, exec_lo, s30
	s_cbranch_vccnz .LBB159_163
.LBB159_22:
	v_mov_b32_e32 v7, 0
	s_and_b32 s0, s39, 0xff
	s_delay_alu instid0(SALU_CYCLE_1) | instskip(NEXT) | instid1(VALU_DEP_1)
	s_cmp_lt_i32 s0, 11
	v_add_nc_u64_e32 v[6:7], s[8:9], v[6:7]
	s_cbranch_scc1 .LBB159_30
; %bb.23:
	s_and_b32 s30, 0xffff, s0
	s_delay_alu instid0(SALU_CYCLE_1)
	s_cmp_gt_i32 s30, 25
	s_cbranch_scc0 .LBB159_40
; %bb.24:
	s_cmp_gt_i32 s30, 28
	s_cbranch_scc0 .LBB159_43
; %bb.25:
	;; [unrolled: 3-line block ×4, first 2 shown]
	s_cmp_eq_u32 s30, 46
	s_mov_b32 s43, 0
	s_cbranch_scc0 .LBB159_164
; %bb.28:
	global_load_b32 v3, v[6:7], off
	s_mov_b32 s31, -1
	s_mov_b32 s29, 0
	s_wait_loadcnt 0x0
	v_lshlrev_b32_e32 v3, 16, v3
	s_delay_alu instid0(VALU_DEP_1)
	v_cvt_f16_f32_e32 v8, v3
	s_branch .LBB159_166
.LBB159_29:
	s_mov_b32 s28, 0
	s_mov_b32 s30, 0
                                        ; implicit-def: $vgpr1
	s_cbranch_execnz .LBB159_81
	s_branch .LBB159_115
.LBB159_30:
	s_mov_b32 s29, 0
	s_mov_b32 s31, 0
                                        ; implicit-def: $vgpr8
	s_cbranch_execnz .LBB159_232
.LBB159_31:
	s_and_not1_b32 vcc_lo, exec_lo, s31
	s_cbranch_vccnz .LBB159_280
.LBB159_32:
	v_mov_b32_e32 v5, 0
	s_and_b32 s0, 0xffff, s21
	s_delay_alu instid0(SALU_CYCLE_1) | instskip(NEXT) | instid1(VALU_DEP_1)
	s_cmp_lt_i32 s0, 11
	v_add_nc_u64_e32 v[4:5], s[10:11], v[4:5]
	s_cbranch_scc1 .LBB159_41
; %bb.33:
	s_cmp_gt_i32 s0, 25
	s_cbranch_scc0 .LBB159_44
; %bb.34:
	s_cmp_gt_i32 s0, 28
	s_cbranch_scc0 .LBB159_47
; %bb.35:
	s_cmp_gt_i32 s0, 43
	s_cbranch_scc0 .LBB159_54
; %bb.36:
	s_cmp_gt_i32 s0, 45
	s_cbranch_scc0 .LBB159_169
; %bb.37:
	s_cmp_eq_u32 s0, 46
	s_mov_b32 s43, 0
	s_cbranch_scc0 .LBB159_281
; %bb.38:
	global_load_b32 v3, v[4:5], off
	s_mov_b32 s31, -1
	s_mov_b32 s30, 0
	s_wait_loadcnt 0x0
	v_lshlrev_b32_e32 v3, 16, v3
	s_delay_alu instid0(VALU_DEP_1)
	v_cvt_f16_f32_e32 v3, v3
	s_branch .LBB159_283
.LBB159_39:
	s_mov_b32 s31, -1
	s_mov_b32 s28, 0
	s_mov_b32 s30, 0
                                        ; implicit-def: $vgpr1
	s_branch .LBB159_62
.LBB159_40:
	s_mov_b32 s43, -1
	s_mov_b32 s29, 0
	s_mov_b32 s31, 0
                                        ; implicit-def: $vgpr8
	s_branch .LBB159_196
.LBB159_41:
	s_mov_b32 s43, -1
	s_mov_b32 s30, 0
	s_mov_b32 s31, 0
                                        ; implicit-def: $vgpr3
	s_branch .LBB159_348
.LBB159_42:
	s_mov_b32 s31, -1
	s_mov_b32 s28, 0
	s_mov_b32 s30, 0
                                        ; implicit-def: $vgpr1
	s_branch .LBB159_57
.LBB159_43:
	s_mov_b32 s43, -1
	s_mov_b32 s29, 0
	s_mov_b32 s31, 0
                                        ; implicit-def: $vgpr8
	s_branch .LBB159_177
.LBB159_44:
	s_mov_b32 s43, -1
	s_mov_b32 s30, 0
	s_mov_b32 s31, 0
                                        ; implicit-def: $vgpr3
	s_branch .LBB159_312
.LBB159_45:
	s_mov_b32 s31, -1
	s_mov_b32 s28, 0
	s_branch .LBB159_49
.LBB159_46:
	s_mov_b32 s43, -1
	s_mov_b32 s29, 0
	s_mov_b32 s31, 0
                                        ; implicit-def: $vgpr8
	s_branch .LBB159_172
.LBB159_47:
	s_mov_b32 s43, -1
	s_mov_b32 s30, 0
	s_mov_b32 s31, 0
                                        ; implicit-def: $vgpr3
	s_branch .LBB159_293
.LBB159_48:
	s_mov_b32 s28, -1
.LBB159_49:
	s_mov_b32 s30, 0
                                        ; implicit-def: $vgpr1
.LBB159_50:
	s_and_b32 vcc_lo, exec_lo, s31
	s_cbranch_vccz .LBB159_56
; %bb.51:
	s_cmp_eq_u32 s29, 44
	s_cbranch_scc0 .LBB159_55
; %bb.52:
	global_load_u8 v1, v[8:9], off
	s_mov_b32 s28, 0
	s_mov_b32 s30, -1
	s_wait_loadcnt 0x0
	v_lshlrev_b32_e32 v3, 23, v1
	v_cmp_ne_u32_e32 vcc_lo, 0xff, v1
	s_delay_alu instid0(VALU_DEP_2) | instskip(NEXT) | instid1(VALU_DEP_1)
	v_cvt_f16_f32_e32 v3, v3
	v_cndmask_b32_e32 v3, 0x7e00, v3, vcc_lo
	v_cmp_ne_u32_e32 vcc_lo, 0, v1
	s_delay_alu instid0(VALU_DEP_2)
	v_cndmask_b32_e32 v1, 0, v3, vcc_lo
	s_branch .LBB159_56
.LBB159_53:
	s_mov_b32 s43, -1
	s_mov_b32 s29, 0
	s_branch .LBB159_165
.LBB159_54:
	s_mov_b32 s43, -1
	s_mov_b32 s30, 0
	s_mov_b32 s31, 0
                                        ; implicit-def: $vgpr3
	s_branch .LBB159_288
.LBB159_55:
	s_mov_b32 s28, -1
                                        ; implicit-def: $vgpr1
.LBB159_56:
	s_mov_b32 s31, 0
.LBB159_57:
	s_delay_alu instid0(SALU_CYCLE_1)
	s_and_b32 vcc_lo, exec_lo, s31
	s_cbranch_vccz .LBB159_61
; %bb.58:
	s_cmp_eq_u32 s29, 29
	s_cbranch_scc0 .LBB159_60
; %bb.59:
	global_load_b64 v[10:11], v[8:9], off
	s_mov_b32 s30, -1
	s_mov_b32 s28, 0
	s_mov_b32 s31, 0
	s_wait_loadcnt 0x0
	v_clz_i32_u32_e32 v1, v11
	s_delay_alu instid0(VALU_DEP_1) | instskip(NEXT) | instid1(VALU_DEP_1)
	v_min_u32_e32 v1, 32, v1
	v_lshlrev_b64_e32 v[10:11], v1, v[10:11]
	v_sub_nc_u32_e32 v1, 32, v1
	s_delay_alu instid0(VALU_DEP_2) | instskip(NEXT) | instid1(VALU_DEP_1)
	v_min_u32_e32 v3, 1, v10
	v_or_b32_e32 v3, v11, v3
	s_delay_alu instid0(VALU_DEP_1) | instskip(NEXT) | instid1(VALU_DEP_1)
	v_cvt_f32_u32_e32 v3, v3
	v_ldexp_f32 v1, v3, v1
	s_delay_alu instid0(VALU_DEP_1)
	v_cvt_f16_f32_e32 v1, v1
	s_branch .LBB159_62
.LBB159_60:
	s_mov_b32 s28, -1
                                        ; implicit-def: $vgpr1
.LBB159_61:
	s_mov_b32 s31, 0
.LBB159_62:
	s_delay_alu instid0(SALU_CYCLE_1)
	s_and_b32 vcc_lo, exec_lo, s31
	s_cbranch_vccz .LBB159_80
; %bb.63:
	s_cmp_lt_i32 s29, 27
	s_cbranch_scc1 .LBB159_66
; %bb.64:
	s_cmp_gt_i32 s29, 27
	s_cbranch_scc0 .LBB159_67
; %bb.65:
	global_load_b32 v1, v[8:9], off
	s_mov_b32 s30, 0
	s_wait_loadcnt 0x0
	v_cvt_f32_u32_e32 v1, v1
	s_delay_alu instid0(VALU_DEP_1)
	v_cvt_f16_f32_e32 v1, v1
	s_branch .LBB159_68
.LBB159_66:
	s_mov_b32 s30, -1
                                        ; implicit-def: $vgpr1
	s_branch .LBB159_71
.LBB159_67:
	s_mov_b32 s30, -1
                                        ; implicit-def: $vgpr1
.LBB159_68:
	s_delay_alu instid0(SALU_CYCLE_1)
	s_and_not1_b32 vcc_lo, exec_lo, s30
	s_cbranch_vccnz .LBB159_70
; %bb.69:
	global_load_u16 v1, v[8:9], off
	s_wait_loadcnt 0x0
	v_cvt_f16_u16_e32 v1, v1
.LBB159_70:
	s_mov_b32 s30, 0
.LBB159_71:
	s_delay_alu instid0(SALU_CYCLE_1)
	s_and_not1_b32 vcc_lo, exec_lo, s30
	s_cbranch_vccnz .LBB159_79
; %bb.72:
	global_load_u8 v3, v[8:9], off
	s_mov_b32 s30, 0
	s_mov_b32 s31, exec_lo
	s_wait_loadcnt 0x0
	v_cmpx_lt_i16_e32 0x7f, v3
	s_xor_b32 s31, exec_lo, s31
	s_cbranch_execz .LBB159_92
; %bb.73:
	s_mov_b32 s30, -1
	s_mov_b32 s43, exec_lo
	v_cmpx_eq_u16_e32 0x80, v3
; %bb.74:
	s_xor_b32 s30, exec_lo, -1
; %bb.75:
	s_or_b32 exec_lo, exec_lo, s43
	s_delay_alu instid0(SALU_CYCLE_1)
	s_and_b32 s30, s30, exec_lo
	s_or_saveexec_b32 s31, s31
	v_mov_b32_e32 v1, 0x7e00
	s_xor_b32 exec_lo, exec_lo, s31
	s_cbranch_execnz .LBB159_93
.LBB159_76:
	s_or_b32 exec_lo, exec_lo, s31
	s_and_saveexec_b32 s31, s30
	s_cbranch_execz .LBB159_78
.LBB159_77:
	v_and_b32_e32 v1, 0xffff, v3
	s_delay_alu instid0(VALU_DEP_1) | instskip(SKIP_1) | instid1(VALU_DEP_2)
	v_and_b32_e32 v5, 7, v1
	v_bfe_u32 v11, v1, 3, 4
	v_clz_i32_u32_e32 v7, v5
	s_delay_alu instid0(VALU_DEP_2) | instskip(NEXT) | instid1(VALU_DEP_2)
	v_cmp_eq_u32_e32 vcc_lo, 0, v11
	v_min_u32_e32 v7, 32, v7
	s_delay_alu instid0(VALU_DEP_1) | instskip(NEXT) | instid1(VALU_DEP_1)
	v_subrev_nc_u32_e32 v10, 28, v7
	v_dual_lshlrev_b32 v1, v10, v1 :: v_dual_sub_nc_u32 v7, 29, v7
	s_delay_alu instid0(VALU_DEP_1) | instskip(NEXT) | instid1(VALU_DEP_1)
	v_dual_lshlrev_b32 v3, 24, v3 :: v_dual_bitop2_b32 v1, 7, v1 bitop3:0x40
	v_dual_cndmask_b32 v1, v5, v1, vcc_lo :: v_dual_cndmask_b32 v7, v11, v7, vcc_lo
	s_delay_alu instid0(VALU_DEP_2) | instskip(NEXT) | instid1(VALU_DEP_2)
	v_and_b32_e32 v3, 0x80000000, v3
	v_lshlrev_b32_e32 v1, 20, v1
	s_delay_alu instid0(VALU_DEP_3) | instskip(NEXT) | instid1(VALU_DEP_1)
	v_lshl_add_u32 v5, v7, 23, 0x3b800000
	v_or3_b32 v1, v3, v5, v1
	s_delay_alu instid0(VALU_DEP_1)
	v_cvt_f16_f32_e32 v1, v1
.LBB159_78:
	s_or_b32 exec_lo, exec_lo, s31
.LBB159_79:
	s_mov_b32 s30, -1
.LBB159_80:
	s_branch .LBB159_115
.LBB159_81:
	s_cmp_gt_i32 s29, 22
	s_cbranch_scc0 .LBB159_91
; %bb.82:
	s_cmp_lt_i32 s29, 24
	s_cbranch_scc1 .LBB159_94
; %bb.83:
	s_cmp_gt_i32 s29, 24
	s_cbranch_scc0 .LBB159_95
; %bb.84:
	global_load_u8 v3, v[8:9], off
	s_mov_b32 s30, 0
	s_mov_b32 s31, exec_lo
	s_wait_loadcnt 0x0
	v_cmpx_lt_i16_e32 0x7f, v3
	s_xor_b32 s31, exec_lo, s31
	s_cbranch_execz .LBB159_107
; %bb.85:
	s_mov_b32 s30, -1
	s_mov_b32 s43, exec_lo
	v_cmpx_eq_u16_e32 0x80, v3
; %bb.86:
	s_xor_b32 s30, exec_lo, -1
; %bb.87:
	s_or_b32 exec_lo, exec_lo, s43
	s_delay_alu instid0(SALU_CYCLE_1)
	s_and_b32 s30, s30, exec_lo
	s_or_saveexec_b32 s31, s31
	v_mov_b32_e32 v1, 0x7e00
	s_xor_b32 exec_lo, exec_lo, s31
	s_cbranch_execnz .LBB159_108
.LBB159_88:
	s_or_b32 exec_lo, exec_lo, s31
	s_and_saveexec_b32 s31, s30
	s_cbranch_execz .LBB159_90
.LBB159_89:
	v_and_b32_e32 v1, 0xffff, v3
	s_delay_alu instid0(VALU_DEP_1) | instskip(SKIP_1) | instid1(VALU_DEP_2)
	v_and_b32_e32 v5, 3, v1
	v_bfe_u32 v11, v1, 2, 5
	v_clz_i32_u32_e32 v7, v5
	s_delay_alu instid0(VALU_DEP_2) | instskip(NEXT) | instid1(VALU_DEP_2)
	v_cmp_eq_u32_e32 vcc_lo, 0, v11
	v_min_u32_e32 v7, 32, v7
	s_delay_alu instid0(VALU_DEP_1) | instskip(NEXT) | instid1(VALU_DEP_1)
	v_subrev_nc_u32_e32 v10, 29, v7
	v_dual_lshlrev_b32 v1, v10, v1 :: v_dual_sub_nc_u32 v7, 30, v7
	s_delay_alu instid0(VALU_DEP_1) | instskip(NEXT) | instid1(VALU_DEP_1)
	v_dual_lshlrev_b32 v3, 24, v3 :: v_dual_bitop2_b32 v1, 3, v1 bitop3:0x40
	v_dual_cndmask_b32 v1, v5, v1, vcc_lo :: v_dual_cndmask_b32 v7, v11, v7, vcc_lo
	s_delay_alu instid0(VALU_DEP_2) | instskip(NEXT) | instid1(VALU_DEP_2)
	v_and_b32_e32 v3, 0x80000000, v3
	v_lshlrev_b32_e32 v1, 21, v1
	s_delay_alu instid0(VALU_DEP_3) | instskip(NEXT) | instid1(VALU_DEP_1)
	v_lshl_add_u32 v5, v7, 23, 0x37800000
	v_or3_b32 v1, v3, v5, v1
	s_delay_alu instid0(VALU_DEP_1)
	v_cvt_f16_f32_e32 v1, v1
.LBB159_90:
	s_or_b32 exec_lo, exec_lo, s31
	s_mov_b32 s30, 0
	s_branch .LBB159_96
.LBB159_91:
	s_mov_b32 s31, -1
                                        ; implicit-def: $vgpr1
	s_branch .LBB159_102
.LBB159_92:
	s_or_saveexec_b32 s31, s31
	v_mov_b32_e32 v1, 0x7e00
	s_xor_b32 exec_lo, exec_lo, s31
	s_cbranch_execz .LBB159_76
.LBB159_93:
	v_cmp_ne_u16_e32 vcc_lo, 0, v3
	v_mov_b32_e32 v1, v3
	s_and_not1_b32 s30, s30, exec_lo
	s_and_b32 s43, vcc_lo, exec_lo
	s_delay_alu instid0(SALU_CYCLE_1)
	s_or_b32 s30, s30, s43
	s_or_b32 exec_lo, exec_lo, s31
	s_and_saveexec_b32 s31, s30
	s_cbranch_execnz .LBB159_77
	s_branch .LBB159_78
.LBB159_94:
	s_mov_b32 s30, -1
                                        ; implicit-def: $vgpr1
	s_branch .LBB159_99
.LBB159_95:
	s_mov_b32 s30, -1
                                        ; implicit-def: $vgpr1
.LBB159_96:
	s_delay_alu instid0(SALU_CYCLE_1)
	s_and_b32 vcc_lo, exec_lo, s30
	s_cbranch_vccz .LBB159_98
; %bb.97:
	global_load_u8 v1, v[8:9], off
	s_wait_loadcnt 0x0
	v_lshlrev_b32_e32 v1, 24, v1
	s_delay_alu instid0(VALU_DEP_1) | instskip(NEXT) | instid1(VALU_DEP_1)
	v_and_b32_e32 v3, 0x7f000000, v1
	v_clz_i32_u32_e32 v5, v3
	v_cmp_ne_u32_e32 vcc_lo, 0, v3
	v_add_nc_u32_e32 v10, 0x1000000, v3
	s_delay_alu instid0(VALU_DEP_3) | instskip(NEXT) | instid1(VALU_DEP_1)
	v_min_u32_e32 v5, 32, v5
	v_sub_nc_u32_e64 v5, v5, 4 clamp
	s_delay_alu instid0(VALU_DEP_1) | instskip(NEXT) | instid1(VALU_DEP_1)
	v_dual_lshlrev_b32 v7, v5, v3 :: v_dual_lshlrev_b32 v5, 23, v5
	v_lshrrev_b32_e32 v7, 4, v7
	s_delay_alu instid0(VALU_DEP_1) | instskip(NEXT) | instid1(VALU_DEP_1)
	v_dual_sub_nc_u32 v5, v7, v5 :: v_dual_ashrrev_i32 v7, 8, v10
	v_add_nc_u32_e32 v5, 0x3c000000, v5
	s_delay_alu instid0(VALU_DEP_1) | instskip(NEXT) | instid1(VALU_DEP_1)
	v_and_or_b32 v5, 0x7f800000, v7, v5
	v_cndmask_b32_e32 v3, 0, v5, vcc_lo
	s_delay_alu instid0(VALU_DEP_1) | instskip(NEXT) | instid1(VALU_DEP_1)
	v_and_or_b32 v1, 0x80000000, v1, v3
	v_cvt_f16_f32_e32 v1, v1
.LBB159_98:
	s_mov_b32 s30, 0
.LBB159_99:
	s_delay_alu instid0(SALU_CYCLE_1)
	s_and_not1_b32 vcc_lo, exec_lo, s30
	s_cbranch_vccnz .LBB159_101
; %bb.100:
	global_load_u8 v1, v[8:9], off
	s_wait_loadcnt 0x0
	v_lshlrev_b32_e32 v3, 25, v1
	v_lshlrev_b16 v1, 8, v1
	s_delay_alu instid0(VALU_DEP_1) | instskip(SKIP_1) | instid1(VALU_DEP_2)
	v_and_or_b32 v7, 0x7f00, v1, 0.5
	v_bfe_i32 v1, v1, 0, 16
	v_add_f32_e32 v7, -0.5, v7
	v_lshrrev_b32_e32 v5, 4, v3
	v_cmp_gt_u32_e32 vcc_lo, 0x8000000, v3
	s_delay_alu instid0(VALU_DEP_2) | instskip(NEXT) | instid1(VALU_DEP_1)
	v_or_b32_e32 v5, 0x70000000, v5
	v_mul_f32_e32 v5, 0x7800000, v5
	s_delay_alu instid0(VALU_DEP_1) | instskip(NEXT) | instid1(VALU_DEP_1)
	v_cndmask_b32_e32 v3, v5, v7, vcc_lo
	v_and_or_b32 v1, 0x80000000, v1, v3
	s_delay_alu instid0(VALU_DEP_1)
	v_cvt_f16_f32_e32 v1, v1
.LBB159_101:
	s_mov_b32 s31, 0
	s_mov_b32 s30, -1
.LBB159_102:
	s_and_not1_b32 vcc_lo, exec_lo, s31
	s_cbranch_vccnz .LBB159_115
; %bb.103:
	s_cmp_gt_i32 s29, 14
	s_cbranch_scc0 .LBB159_106
; %bb.104:
	s_cmp_eq_u32 s29, 15
	s_cbranch_scc0 .LBB159_109
; %bb.105:
	global_load_u16 v1, v[8:9], off
	s_mov_b32 s30, -1
	s_mov_b32 s28, 0
	s_wait_loadcnt 0x0
	v_lshlrev_b32_e32 v1, 16, v1
	s_delay_alu instid0(VALU_DEP_1)
	v_cvt_f16_f32_e32 v1, v1
	s_branch .LBB159_110
.LBB159_106:
	s_mov_b32 s31, -1
                                        ; implicit-def: $vgpr1
	s_branch .LBB159_111
.LBB159_107:
	s_or_saveexec_b32 s31, s31
	v_mov_b32_e32 v1, 0x7e00
	s_xor_b32 exec_lo, exec_lo, s31
	s_cbranch_execz .LBB159_88
.LBB159_108:
	v_cmp_ne_u16_e32 vcc_lo, 0, v3
	v_mov_b32_e32 v1, v3
	s_and_not1_b32 s30, s30, exec_lo
	s_and_b32 s43, vcc_lo, exec_lo
	s_delay_alu instid0(SALU_CYCLE_1)
	s_or_b32 s30, s30, s43
	s_or_b32 exec_lo, exec_lo, s31
	s_and_saveexec_b32 s31, s30
	s_cbranch_execnz .LBB159_89
	s_branch .LBB159_90
.LBB159_109:
	s_mov_b32 s28, -1
                                        ; implicit-def: $vgpr1
.LBB159_110:
	s_mov_b32 s31, 0
.LBB159_111:
	s_delay_alu instid0(SALU_CYCLE_1)
	s_and_b32 vcc_lo, exec_lo, s31
	s_cbranch_vccz .LBB159_115
; %bb.112:
	s_cmp_eq_u32 s29, 11
	s_cbranch_scc0 .LBB159_114
; %bb.113:
	global_load_u8 v1, v[8:9], off
	s_mov_b32 s28, 0
	s_mov_b32 s30, -1
	s_wait_loadcnt 0x0
	v_cmp_ne_u16_e32 vcc_lo, 0, v1
	v_cndmask_b32_e64 v1, 0, 0x3c00, vcc_lo
	s_branch .LBB159_115
.LBB159_114:
	s_mov_b32 s28, -1
                                        ; implicit-def: $vgpr1
.LBB159_115:
	s_branch .LBB159_21
.LBB159_116:
	s_and_b32 s0, 0xffff, s0
	s_delay_alu instid0(SALU_CYCLE_1)
	s_cmp_lt_i32 s0, 5
	s_cbranch_scc1 .LBB159_121
; %bb.117:
	s_cmp_lt_i32 s0, 8
	s_cbranch_scc1 .LBB159_122
; %bb.118:
	;; [unrolled: 3-line block ×3, first 2 shown]
	s_cmp_gt_i32 s0, 9
	s_cbranch_scc0 .LBB159_124
; %bb.120:
	global_load_b64 v[10:11], v[8:9], off
	s_mov_b32 s29, 0
	s_wait_loadcnt 0x0
	v_and_or_b32 v1, 0x1ff, v11, v10
	v_lshrrev_b32_e32 v3, 8, v11
	v_bfe_u32 v5, v11, 20, 11
	s_delay_alu instid0(VALU_DEP_3) | instskip(NEXT) | instid1(VALU_DEP_2)
	v_cmp_ne_u32_e32 vcc_lo, 0, v1
	v_sub_nc_u32_e32 v7, 0x3f1, v5
	v_add_nc_u32_e32 v5, 0xfffffc10, v5
	v_cndmask_b32_e64 v1, 0, 1, vcc_lo
	s_delay_alu instid0(VALU_DEP_1) | instskip(NEXT) | instid1(VALU_DEP_4)
	v_and_or_b32 v1, 0xffe, v3, v1
	v_med3_i32 v3, v7, 0, 13
	s_delay_alu instid0(VALU_DEP_2) | instskip(NEXT) | instid1(VALU_DEP_1)
	v_or_b32_e32 v7, 0x1000, v1
	v_lshrrev_b32_e32 v10, v3, v7
	s_delay_alu instid0(VALU_DEP_1) | instskip(NEXT) | instid1(VALU_DEP_1)
	v_lshlrev_b32_e32 v3, v3, v10
	v_cmp_ne_u32_e32 vcc_lo, v3, v7
	v_lshl_or_b32 v7, v5, 12, v1
	v_cndmask_b32_e64 v3, 0, 1, vcc_lo
	v_cmp_gt_i32_e32 vcc_lo, 1, v5
	s_delay_alu instid0(VALU_DEP_2) | instskip(NEXT) | instid1(VALU_DEP_1)
	v_or_b32_e32 v3, v10, v3
	v_cndmask_b32_e32 v3, v7, v3, vcc_lo
	s_delay_alu instid0(VALU_DEP_1) | instskip(NEXT) | instid1(VALU_DEP_1)
	v_dual_lshrrev_b32 v3, 2, v3 :: v_dual_bitop2_b32 v7, 7, v3 bitop3:0x40
	v_cmp_lt_i32_e32 vcc_lo, 5, v7
	v_cndmask_b32_e64 v10, 0, 1, vcc_lo
	v_cmp_eq_u32_e32 vcc_lo, 3, v7
	v_cndmask_b32_e64 v7, 0, 1, vcc_lo
	v_cmp_ne_u32_e32 vcc_lo, 0, v1
	s_delay_alu instid0(VALU_DEP_2) | instskip(NEXT) | instid1(VALU_DEP_1)
	v_or_b32_e32 v7, v7, v10
	v_dual_mov_b32 v10, 0x7e00 :: v_dual_add_nc_u32 v3, v3, v7
	s_delay_alu instid0(VALU_DEP_1) | instskip(SKIP_1) | instid1(VALU_DEP_3)
	v_cndmask_b32_e32 v1, 0x7c00, v10, vcc_lo
	v_cmp_gt_i32_e32 vcc_lo, 31, v5
	v_cndmask_b32_e32 v3, 0x7c00, v3, vcc_lo
	v_cmp_eq_u32_e32 vcc_lo, 0x40f, v5
	s_delay_alu instid0(VALU_DEP_2) | instskip(NEXT) | instid1(VALU_DEP_1)
	v_dual_cndmask_b32 v1, v3, v1, vcc_lo :: v_dual_lshrrev_b32 v3, 16, v11
	v_and_or_b32 v1, 0x8000, v3, v1
	s_branch .LBB159_125
.LBB159_121:
                                        ; implicit-def: $vgpr1
	s_branch .LBB159_143
.LBB159_122:
	s_mov_b32 s29, -1
                                        ; implicit-def: $vgpr1
	s_branch .LBB159_131
.LBB159_123:
	s_mov_b32 s29, -1
                                        ; implicit-def: $vgpr1
	s_branch .LBB159_128
.LBB159_124:
	s_mov_b32 s29, -1
                                        ; implicit-def: $vgpr1
.LBB159_125:
	s_delay_alu instid0(SALU_CYCLE_1)
	s_and_not1_b32 vcc_lo, exec_lo, s29
	s_cbranch_vccnz .LBB159_127
; %bb.126:
	global_load_b32 v1, v[8:9], off
	s_wait_loadcnt 0x0
	v_cvt_f16_f32_e32 v1, v1
.LBB159_127:
	s_mov_b32 s29, 0
.LBB159_128:
	s_delay_alu instid0(SALU_CYCLE_1)
	s_and_not1_b32 vcc_lo, exec_lo, s29
	s_cbranch_vccnz .LBB159_130
; %bb.129:
	global_load_b32 v1, v[8:9], off
.LBB159_130:
	s_mov_b32 s29, 0
.LBB159_131:
	s_delay_alu instid0(SALU_CYCLE_1)
	s_and_not1_b32 vcc_lo, exec_lo, s29
	s_cbranch_vccnz .LBB159_142
; %bb.132:
	s_cmp_lt_i32 s0, 6
	s_cbranch_scc1 .LBB159_135
; %bb.133:
	s_cmp_gt_i32 s0, 6
	s_cbranch_scc0 .LBB159_136
; %bb.134:
	global_load_b64 v[10:11], v[8:9], off
	s_mov_b32 s29, 0
	s_wait_loadcnt 0x0
	v_and_or_b32 v1, 0x1ff, v11, v10
	v_lshrrev_b32_e32 v3, 8, v11
	v_bfe_u32 v5, v11, 20, 11
	s_delay_alu instid0(VALU_DEP_3) | instskip(NEXT) | instid1(VALU_DEP_2)
	v_cmp_ne_u32_e32 vcc_lo, 0, v1
	v_sub_nc_u32_e32 v7, 0x3f1, v5
	v_add_nc_u32_e32 v5, 0xfffffc10, v5
	v_cndmask_b32_e64 v1, 0, 1, vcc_lo
	s_delay_alu instid0(VALU_DEP_1) | instskip(NEXT) | instid1(VALU_DEP_4)
	v_and_or_b32 v1, 0xffe, v3, v1
	v_med3_i32 v3, v7, 0, 13
	s_delay_alu instid0(VALU_DEP_2) | instskip(NEXT) | instid1(VALU_DEP_1)
	v_or_b32_e32 v7, 0x1000, v1
	v_lshrrev_b32_e32 v10, v3, v7
	s_delay_alu instid0(VALU_DEP_1) | instskip(NEXT) | instid1(VALU_DEP_1)
	v_lshlrev_b32_e32 v3, v3, v10
	v_cmp_ne_u32_e32 vcc_lo, v3, v7
	v_lshl_or_b32 v7, v5, 12, v1
	v_cndmask_b32_e64 v3, 0, 1, vcc_lo
	v_cmp_gt_i32_e32 vcc_lo, 1, v5
	s_delay_alu instid0(VALU_DEP_2) | instskip(NEXT) | instid1(VALU_DEP_1)
	v_or_b32_e32 v3, v10, v3
	v_cndmask_b32_e32 v3, v7, v3, vcc_lo
	s_delay_alu instid0(VALU_DEP_1) | instskip(NEXT) | instid1(VALU_DEP_1)
	v_dual_lshrrev_b32 v3, 2, v3 :: v_dual_bitop2_b32 v7, 7, v3 bitop3:0x40
	v_cmp_lt_i32_e32 vcc_lo, 5, v7
	v_cndmask_b32_e64 v10, 0, 1, vcc_lo
	v_cmp_eq_u32_e32 vcc_lo, 3, v7
	v_cndmask_b32_e64 v7, 0, 1, vcc_lo
	v_cmp_ne_u32_e32 vcc_lo, 0, v1
	s_delay_alu instid0(VALU_DEP_2) | instskip(NEXT) | instid1(VALU_DEP_1)
	v_or_b32_e32 v7, v7, v10
	v_dual_mov_b32 v10, 0x7e00 :: v_dual_add_nc_u32 v3, v3, v7
	s_delay_alu instid0(VALU_DEP_1) | instskip(SKIP_1) | instid1(VALU_DEP_3)
	v_cndmask_b32_e32 v1, 0x7c00, v10, vcc_lo
	v_cmp_gt_i32_e32 vcc_lo, 31, v5
	v_cndmask_b32_e32 v3, 0x7c00, v3, vcc_lo
	v_cmp_eq_u32_e32 vcc_lo, 0x40f, v5
	s_delay_alu instid0(VALU_DEP_2) | instskip(NEXT) | instid1(VALU_DEP_1)
	v_dual_cndmask_b32 v1, v3, v1, vcc_lo :: v_dual_lshrrev_b32 v3, 16, v11
	v_and_or_b32 v1, 0x8000, v3, v1
	s_branch .LBB159_137
.LBB159_135:
	s_mov_b32 s29, -1
                                        ; implicit-def: $vgpr1
	s_branch .LBB159_140
.LBB159_136:
	s_mov_b32 s29, -1
                                        ; implicit-def: $vgpr1
.LBB159_137:
	s_delay_alu instid0(SALU_CYCLE_1)
	s_and_not1_b32 vcc_lo, exec_lo, s29
	s_cbranch_vccnz .LBB159_139
; %bb.138:
	s_wait_loadcnt 0x0
	global_load_b32 v1, v[8:9], off
	s_wait_loadcnt 0x0
	v_cvt_f16_f32_e32 v1, v1
.LBB159_139:
	s_mov_b32 s29, 0
.LBB159_140:
	s_delay_alu instid0(SALU_CYCLE_1)
	s_and_not1_b32 vcc_lo, exec_lo, s29
	s_cbranch_vccnz .LBB159_142
; %bb.141:
	s_wait_loadcnt 0x0
	global_load_u16 v1, v[8:9], off
.LBB159_142:
	s_cbranch_execnz .LBB159_162
.LBB159_143:
	s_cmp_lt_i32 s0, 2
	s_cbranch_scc1 .LBB159_147
; %bb.144:
	s_cmp_lt_i32 s0, 3
	s_cbranch_scc1 .LBB159_148
; %bb.145:
	s_cmp_gt_i32 s0, 3
	s_cbranch_scc0 .LBB159_149
; %bb.146:
	global_load_b64 v[10:11], v[8:9], off
	s_mov_b32 s29, 0
	s_wait_loadcnt 0x0
	v_xor_b32_e32 v1, v10, v11
	v_cls_i32_e32 v3, v11
	s_delay_alu instid0(VALU_DEP_2) | instskip(NEXT) | instid1(VALU_DEP_1)
	v_ashrrev_i32_e32 v1, 31, v1
	v_add_nc_u32_e32 v1, 32, v1
	s_delay_alu instid0(VALU_DEP_1) | instskip(NEXT) | instid1(VALU_DEP_1)
	v_add_min_u32_e64 v1, v3, -1, v1
	v_lshlrev_b64_e32 v[10:11], v1, v[10:11]
	v_sub_nc_u32_e32 v1, 32, v1
	s_delay_alu instid0(VALU_DEP_2) | instskip(NEXT) | instid1(VALU_DEP_1)
	v_min_u32_e32 v3, 1, v10
	v_or_b32_e32 v3, v11, v3
	s_delay_alu instid0(VALU_DEP_1) | instskip(NEXT) | instid1(VALU_DEP_1)
	v_cvt_f32_i32_e32 v3, v3
	v_ldexp_f32 v1, v3, v1
	s_delay_alu instid0(VALU_DEP_1)
	v_cvt_f16_f32_e32 v1, v1
	s_branch .LBB159_150
.LBB159_147:
	s_mov_b32 s29, -1
                                        ; implicit-def: $vgpr1
	s_branch .LBB159_156
.LBB159_148:
	s_mov_b32 s29, -1
                                        ; implicit-def: $vgpr1
	s_branch .LBB159_153
.LBB159_149:
	s_mov_b32 s29, -1
                                        ; implicit-def: $vgpr1
.LBB159_150:
	s_delay_alu instid0(SALU_CYCLE_1)
	s_and_not1_b32 vcc_lo, exec_lo, s29
	s_cbranch_vccnz .LBB159_152
; %bb.151:
	s_wait_loadcnt 0x0
	global_load_b32 v1, v[8:9], off
	s_wait_loadcnt 0x0
	v_cvt_f32_i32_e32 v1, v1
	s_delay_alu instid0(VALU_DEP_1)
	v_cvt_f16_f32_e32 v1, v1
.LBB159_152:
	s_mov_b32 s29, 0
.LBB159_153:
	s_delay_alu instid0(SALU_CYCLE_1)
	s_and_not1_b32 vcc_lo, exec_lo, s29
	s_cbranch_vccnz .LBB159_155
; %bb.154:
	s_wait_loadcnt 0x0
	global_load_u16 v1, v[8:9], off
	s_wait_loadcnt 0x0
	v_cvt_f16_i16_e32 v1, v1
.LBB159_155:
	s_mov_b32 s29, 0
.LBB159_156:
	s_delay_alu instid0(SALU_CYCLE_1)
	s_and_not1_b32 vcc_lo, exec_lo, s29
	s_cbranch_vccnz .LBB159_162
; %bb.157:
	s_cmp_gt_i32 s0, 0
	s_mov_b32 s0, 0
	s_cbranch_scc0 .LBB159_159
; %bb.158:
	s_wait_loadcnt 0x0
	global_load_i8 v1, v[8:9], off
	s_wait_loadcnt 0x0
	v_cvt_f16_i16_e32 v1, v1
	s_branch .LBB159_160
.LBB159_159:
	s_mov_b32 s0, -1
                                        ; implicit-def: $vgpr1
.LBB159_160:
	s_delay_alu instid0(SALU_CYCLE_1)
	s_and_not1_b32 vcc_lo, exec_lo, s0
	s_cbranch_vccnz .LBB159_162
; %bb.161:
	s_wait_loadcnt 0x0
	global_load_u8 v1, v[8:9], off
	s_wait_loadcnt 0x0
	v_cvt_f16_u16_e32 v1, v1
.LBB159_162:
	s_branch .LBB159_22
.LBB159_163:
	s_mov_b32 s0, 0
	s_mov_b32 s30, 0
	;; [unrolled: 1-line block ×3, first 2 shown]
	s_branch .LBB159_521
.LBB159_164:
	s_mov_b32 s29, -1
.LBB159_165:
	s_mov_b32 s31, 0
                                        ; implicit-def: $vgpr8
.LBB159_166:
	s_and_b32 vcc_lo, exec_lo, s43
	s_cbranch_vccz .LBB159_171
; %bb.167:
	s_cmp_eq_u32 s30, 44
	s_cbranch_scc0 .LBB159_170
; %bb.168:
	global_load_u8 v3, v[6:7], off
	s_mov_b32 s29, 0
	s_mov_b32 s31, -1
	s_wait_loadcnt 0x0
	v_lshlrev_b32_e32 v5, 23, v3
	v_cmp_ne_u32_e32 vcc_lo, 0xff, v3
	s_delay_alu instid0(VALU_DEP_2) | instskip(NEXT) | instid1(VALU_DEP_1)
	v_cvt_f16_f32_e32 v5, v5
	v_cndmask_b32_e32 v5, 0x7e00, v5, vcc_lo
	v_cmp_ne_u32_e32 vcc_lo, 0, v3
	s_delay_alu instid0(VALU_DEP_2)
	v_cndmask_b32_e32 v8, 0, v5, vcc_lo
	s_branch .LBB159_171
.LBB159_169:
	s_mov_b32 s43, -1
	s_mov_b32 s30, 0
	s_branch .LBB159_282
.LBB159_170:
	s_mov_b32 s29, -1
                                        ; implicit-def: $vgpr8
.LBB159_171:
	s_mov_b32 s43, 0
.LBB159_172:
	s_delay_alu instid0(SALU_CYCLE_1)
	s_and_b32 vcc_lo, exec_lo, s43
	s_cbranch_vccz .LBB159_176
; %bb.173:
	s_cmp_eq_u32 s30, 29
	s_cbranch_scc0 .LBB159_175
; %bb.174:
	global_load_b64 v[8:9], v[6:7], off
	s_mov_b32 s31, -1
	s_mov_b32 s29, 0
	s_mov_b32 s43, 0
	s_wait_loadcnt 0x0
	v_clz_i32_u32_e32 v3, v9
	s_delay_alu instid0(VALU_DEP_1) | instskip(NEXT) | instid1(VALU_DEP_1)
	v_min_u32_e32 v3, 32, v3
	v_lshlrev_b64_e32 v[8:9], v3, v[8:9]
	v_sub_nc_u32_e32 v3, 32, v3
	s_delay_alu instid0(VALU_DEP_2) | instskip(NEXT) | instid1(VALU_DEP_1)
	v_min_u32_e32 v5, 1, v8
	v_or_b32_e32 v5, v9, v5
	s_delay_alu instid0(VALU_DEP_1) | instskip(NEXT) | instid1(VALU_DEP_1)
	v_cvt_f32_u32_e32 v5, v5
	v_ldexp_f32 v3, v5, v3
	s_delay_alu instid0(VALU_DEP_1)
	v_cvt_f16_f32_e32 v8, v3
	s_branch .LBB159_177
.LBB159_175:
	s_mov_b32 s29, -1
                                        ; implicit-def: $vgpr8
.LBB159_176:
	s_mov_b32 s43, 0
.LBB159_177:
	s_delay_alu instid0(SALU_CYCLE_1)
	s_and_b32 vcc_lo, exec_lo, s43
	s_cbranch_vccz .LBB159_195
; %bb.178:
	s_cmp_lt_i32 s30, 27
	s_cbranch_scc1 .LBB159_181
; %bb.179:
	s_cmp_gt_i32 s30, 27
	s_cbranch_scc0 .LBB159_182
; %bb.180:
	global_load_b32 v3, v[6:7], off
	s_mov_b32 s31, 0
	s_wait_loadcnt 0x0
	v_cvt_f32_u32_e32 v3, v3
	s_delay_alu instid0(VALU_DEP_1)
	v_cvt_f16_f32_e32 v8, v3
	s_branch .LBB159_183
.LBB159_181:
	s_mov_b32 s31, -1
                                        ; implicit-def: $vgpr8
	s_branch .LBB159_186
.LBB159_182:
	s_mov_b32 s31, -1
                                        ; implicit-def: $vgpr8
.LBB159_183:
	s_delay_alu instid0(SALU_CYCLE_1)
	s_and_not1_b32 vcc_lo, exec_lo, s31
	s_cbranch_vccnz .LBB159_185
; %bb.184:
	global_load_u16 v3, v[6:7], off
	s_wait_loadcnt 0x0
	v_cvt_f16_u16_e32 v8, v3
.LBB159_185:
	s_mov_b32 s31, 0
.LBB159_186:
	s_delay_alu instid0(SALU_CYCLE_1)
	s_and_not1_b32 vcc_lo, exec_lo, s31
	s_cbranch_vccnz .LBB159_194
; %bb.187:
	global_load_u8 v3, v[6:7], off
	s_mov_b32 s31, 0
	s_mov_b32 s43, exec_lo
	s_wait_loadcnt 0x0
	v_cmpx_lt_i16_e32 0x7f, v3
	s_xor_b32 s43, exec_lo, s43
	s_cbranch_execz .LBB159_208
; %bb.188:
	s_mov_b32 s31, -1
	s_mov_b32 s46, exec_lo
	v_cmpx_eq_u16_e32 0x80, v3
; %bb.189:
	s_xor_b32 s31, exec_lo, -1
; %bb.190:
	s_or_b32 exec_lo, exec_lo, s46
	s_delay_alu instid0(SALU_CYCLE_1)
	s_and_b32 s31, s31, exec_lo
	s_or_saveexec_b32 s43, s43
	v_mov_b32_e32 v8, 0x7e00
	s_xor_b32 exec_lo, exec_lo, s43
	s_cbranch_execnz .LBB159_209
.LBB159_191:
	s_or_b32 exec_lo, exec_lo, s43
	s_and_saveexec_b32 s43, s31
	s_cbranch_execz .LBB159_193
.LBB159_192:
	v_and_b32_e32 v5, 0xffff, v3
	s_delay_alu instid0(VALU_DEP_1) | instskip(SKIP_1) | instid1(VALU_DEP_2)
	v_dual_lshlrev_b32 v3, 24, v3 :: v_dual_bitop2_b32 v8, 7, v5 bitop3:0x40
	v_bfe_u32 v11, v5, 3, 4
	v_and_b32_e32 v3, 0x80000000, v3
	s_delay_alu instid0(VALU_DEP_3) | instskip(NEXT) | instid1(VALU_DEP_3)
	v_clz_i32_u32_e32 v9, v8
	v_cmp_eq_u32_e32 vcc_lo, 0, v11
	s_delay_alu instid0(VALU_DEP_2) | instskip(NEXT) | instid1(VALU_DEP_1)
	v_min_u32_e32 v9, 32, v9
	v_subrev_nc_u32_e32 v10, 28, v9
	v_sub_nc_u32_e32 v9, 29, v9
	s_delay_alu instid0(VALU_DEP_2) | instskip(NEXT) | instid1(VALU_DEP_2)
	v_lshlrev_b32_e32 v5, v10, v5
	v_cndmask_b32_e32 v9, v11, v9, vcc_lo
	s_delay_alu instid0(VALU_DEP_2) | instskip(NEXT) | instid1(VALU_DEP_1)
	v_and_b32_e32 v5, 7, v5
	v_cndmask_b32_e32 v5, v8, v5, vcc_lo
	s_delay_alu instid0(VALU_DEP_3) | instskip(NEXT) | instid1(VALU_DEP_2)
	v_lshl_add_u32 v8, v9, 23, 0x3b800000
	v_lshlrev_b32_e32 v5, 20, v5
	s_delay_alu instid0(VALU_DEP_1) | instskip(NEXT) | instid1(VALU_DEP_1)
	v_or3_b32 v3, v3, v8, v5
	v_cvt_f16_f32_e32 v8, v3
.LBB159_193:
	s_or_b32 exec_lo, exec_lo, s43
.LBB159_194:
	s_mov_b32 s31, -1
.LBB159_195:
	s_mov_b32 s43, 0
.LBB159_196:
	s_delay_alu instid0(SALU_CYCLE_1)
	s_and_b32 vcc_lo, exec_lo, s43
	s_cbranch_vccz .LBB159_231
; %bb.197:
	s_cmp_gt_i32 s30, 22
	s_cbranch_scc0 .LBB159_207
; %bb.198:
	s_cmp_lt_i32 s30, 24
	s_cbranch_scc1 .LBB159_210
; %bb.199:
	s_cmp_gt_i32 s30, 24
	s_cbranch_scc0 .LBB159_211
; %bb.200:
	global_load_u8 v3, v[6:7], off
	s_mov_b32 s31, 0
	s_mov_b32 s43, exec_lo
	s_wait_loadcnt 0x0
	v_cmpx_lt_i16_e32 0x7f, v3
	s_xor_b32 s43, exec_lo, s43
	s_cbranch_execz .LBB159_223
; %bb.201:
	s_mov_b32 s31, -1
	s_mov_b32 s46, exec_lo
	v_cmpx_eq_u16_e32 0x80, v3
; %bb.202:
	s_xor_b32 s31, exec_lo, -1
; %bb.203:
	s_or_b32 exec_lo, exec_lo, s46
	s_delay_alu instid0(SALU_CYCLE_1)
	s_and_b32 s31, s31, exec_lo
	s_or_saveexec_b32 s43, s43
	v_mov_b32_e32 v8, 0x7e00
	s_xor_b32 exec_lo, exec_lo, s43
	s_cbranch_execnz .LBB159_224
.LBB159_204:
	s_or_b32 exec_lo, exec_lo, s43
	s_and_saveexec_b32 s43, s31
	s_cbranch_execz .LBB159_206
.LBB159_205:
	v_and_b32_e32 v5, 0xffff, v3
	s_delay_alu instid0(VALU_DEP_1) | instskip(SKIP_1) | instid1(VALU_DEP_2)
	v_dual_lshlrev_b32 v3, 24, v3 :: v_dual_bitop2_b32 v8, 3, v5 bitop3:0x40
	v_bfe_u32 v11, v5, 2, 5
	v_and_b32_e32 v3, 0x80000000, v3
	s_delay_alu instid0(VALU_DEP_3) | instskip(NEXT) | instid1(VALU_DEP_3)
	v_clz_i32_u32_e32 v9, v8
	v_cmp_eq_u32_e32 vcc_lo, 0, v11
	s_delay_alu instid0(VALU_DEP_2) | instskip(NEXT) | instid1(VALU_DEP_1)
	v_min_u32_e32 v9, 32, v9
	v_subrev_nc_u32_e32 v10, 29, v9
	v_sub_nc_u32_e32 v9, 30, v9
	s_delay_alu instid0(VALU_DEP_2) | instskip(NEXT) | instid1(VALU_DEP_2)
	v_lshlrev_b32_e32 v5, v10, v5
	v_cndmask_b32_e32 v9, v11, v9, vcc_lo
	s_delay_alu instid0(VALU_DEP_2) | instskip(NEXT) | instid1(VALU_DEP_1)
	v_and_b32_e32 v5, 3, v5
	v_cndmask_b32_e32 v5, v8, v5, vcc_lo
	s_delay_alu instid0(VALU_DEP_3) | instskip(NEXT) | instid1(VALU_DEP_2)
	v_lshl_add_u32 v8, v9, 23, 0x37800000
	v_lshlrev_b32_e32 v5, 21, v5
	s_delay_alu instid0(VALU_DEP_1) | instskip(NEXT) | instid1(VALU_DEP_1)
	v_or3_b32 v3, v3, v8, v5
	v_cvt_f16_f32_e32 v8, v3
.LBB159_206:
	s_or_b32 exec_lo, exec_lo, s43
	s_mov_b32 s31, 0
	s_branch .LBB159_212
.LBB159_207:
	s_mov_b32 s43, -1
                                        ; implicit-def: $vgpr8
	s_branch .LBB159_218
.LBB159_208:
	s_or_saveexec_b32 s43, s43
	v_mov_b32_e32 v8, 0x7e00
	s_xor_b32 exec_lo, exec_lo, s43
	s_cbranch_execz .LBB159_191
.LBB159_209:
	v_cmp_ne_u16_e32 vcc_lo, 0, v3
	v_mov_b32_e32 v8, v3
	s_and_not1_b32 s31, s31, exec_lo
	s_and_b32 s46, vcc_lo, exec_lo
	s_delay_alu instid0(SALU_CYCLE_1)
	s_or_b32 s31, s31, s46
	s_or_b32 exec_lo, exec_lo, s43
	s_and_saveexec_b32 s43, s31
	s_cbranch_execnz .LBB159_192
	s_branch .LBB159_193
.LBB159_210:
	s_mov_b32 s31, -1
                                        ; implicit-def: $vgpr8
	s_branch .LBB159_215
.LBB159_211:
	s_mov_b32 s31, -1
                                        ; implicit-def: $vgpr8
.LBB159_212:
	s_delay_alu instid0(SALU_CYCLE_1)
	s_and_b32 vcc_lo, exec_lo, s31
	s_cbranch_vccz .LBB159_214
; %bb.213:
	global_load_u8 v3, v[6:7], off
	s_wait_loadcnt 0x0
	v_lshlrev_b32_e32 v3, 24, v3
	s_delay_alu instid0(VALU_DEP_1) | instskip(NEXT) | instid1(VALU_DEP_1)
	v_and_b32_e32 v5, 0x7f000000, v3
	v_clz_i32_u32_e32 v8, v5
	v_cmp_ne_u32_e32 vcc_lo, 0, v5
	v_add_nc_u32_e32 v10, 0x1000000, v5
	s_delay_alu instid0(VALU_DEP_3) | instskip(NEXT) | instid1(VALU_DEP_1)
	v_min_u32_e32 v8, 32, v8
	v_sub_nc_u32_e64 v8, v8, 4 clamp
	s_delay_alu instid0(VALU_DEP_1) | instskip(NEXT) | instid1(VALU_DEP_1)
	v_dual_lshlrev_b32 v9, v8, v5 :: v_dual_lshlrev_b32 v8, 23, v8
	v_lshrrev_b32_e32 v9, 4, v9
	s_delay_alu instid0(VALU_DEP_1) | instskip(NEXT) | instid1(VALU_DEP_1)
	v_dual_sub_nc_u32 v8, v9, v8 :: v_dual_ashrrev_i32 v9, 8, v10
	v_add_nc_u32_e32 v8, 0x3c000000, v8
	s_delay_alu instid0(VALU_DEP_1) | instskip(NEXT) | instid1(VALU_DEP_1)
	v_and_or_b32 v8, 0x7f800000, v9, v8
	v_cndmask_b32_e32 v5, 0, v8, vcc_lo
	s_delay_alu instid0(VALU_DEP_1) | instskip(NEXT) | instid1(VALU_DEP_1)
	v_and_or_b32 v3, 0x80000000, v3, v5
	v_cvt_f16_f32_e32 v8, v3
.LBB159_214:
	s_mov_b32 s31, 0
.LBB159_215:
	s_delay_alu instid0(SALU_CYCLE_1)
	s_and_not1_b32 vcc_lo, exec_lo, s31
	s_cbranch_vccnz .LBB159_217
; %bb.216:
	global_load_u8 v3, v[6:7], off
	s_wait_loadcnt 0x0
	v_lshlrev_b32_e32 v5, 25, v3
	v_lshlrev_b16 v3, 8, v3
	s_delay_alu instid0(VALU_DEP_1) | instskip(SKIP_1) | instid1(VALU_DEP_2)
	v_and_or_b32 v9, 0x7f00, v3, 0.5
	v_bfe_i32 v3, v3, 0, 16
	v_add_f32_e32 v9, -0.5, v9
	v_lshrrev_b32_e32 v8, 4, v5
	v_cmp_gt_u32_e32 vcc_lo, 0x8000000, v5
	s_delay_alu instid0(VALU_DEP_2) | instskip(NEXT) | instid1(VALU_DEP_1)
	v_or_b32_e32 v8, 0x70000000, v8
	v_mul_f32_e32 v8, 0x7800000, v8
	s_delay_alu instid0(VALU_DEP_1) | instskip(NEXT) | instid1(VALU_DEP_1)
	v_cndmask_b32_e32 v5, v8, v9, vcc_lo
	v_and_or_b32 v3, 0x80000000, v3, v5
	s_delay_alu instid0(VALU_DEP_1)
	v_cvt_f16_f32_e32 v8, v3
.LBB159_217:
	s_mov_b32 s43, 0
	s_mov_b32 s31, -1
.LBB159_218:
	s_and_not1_b32 vcc_lo, exec_lo, s43
	s_cbranch_vccnz .LBB159_231
; %bb.219:
	s_cmp_gt_i32 s30, 14
	s_cbranch_scc0 .LBB159_222
; %bb.220:
	s_cmp_eq_u32 s30, 15
	s_cbranch_scc0 .LBB159_225
; %bb.221:
	global_load_u16 v3, v[6:7], off
	s_mov_b32 s31, -1
	s_mov_b32 s29, 0
	s_wait_loadcnt 0x0
	v_lshlrev_b32_e32 v3, 16, v3
	s_delay_alu instid0(VALU_DEP_1)
	v_cvt_f16_f32_e32 v8, v3
	s_branch .LBB159_226
.LBB159_222:
	s_mov_b32 s43, -1
                                        ; implicit-def: $vgpr8
	s_branch .LBB159_227
.LBB159_223:
	s_or_saveexec_b32 s43, s43
	v_mov_b32_e32 v8, 0x7e00
	s_xor_b32 exec_lo, exec_lo, s43
	s_cbranch_execz .LBB159_204
.LBB159_224:
	v_cmp_ne_u16_e32 vcc_lo, 0, v3
	v_mov_b32_e32 v8, v3
	s_and_not1_b32 s31, s31, exec_lo
	s_and_b32 s46, vcc_lo, exec_lo
	s_delay_alu instid0(SALU_CYCLE_1)
	s_or_b32 s31, s31, s46
	s_or_b32 exec_lo, exec_lo, s43
	s_and_saveexec_b32 s43, s31
	s_cbranch_execnz .LBB159_205
	s_branch .LBB159_206
.LBB159_225:
	s_mov_b32 s29, -1
                                        ; implicit-def: $vgpr8
.LBB159_226:
	s_mov_b32 s43, 0
.LBB159_227:
	s_delay_alu instid0(SALU_CYCLE_1)
	s_and_b32 vcc_lo, exec_lo, s43
	s_cbranch_vccz .LBB159_231
; %bb.228:
	s_cmp_eq_u32 s30, 11
	s_cbranch_scc0 .LBB159_230
; %bb.229:
	global_load_u8 v3, v[6:7], off
	s_mov_b32 s29, 0
	s_mov_b32 s31, -1
	s_wait_loadcnt 0x0
	v_cmp_ne_u16_e32 vcc_lo, 0, v3
	v_cndmask_b32_e64 v8, 0, 0x3c00, vcc_lo
	s_branch .LBB159_231
.LBB159_230:
	s_mov_b32 s29, -1
                                        ; implicit-def: $vgpr8
.LBB159_231:
	s_branch .LBB159_31
.LBB159_232:
	s_and_b32 s0, 0xffff, s0
	s_delay_alu instid0(SALU_CYCLE_1)
	s_cmp_lt_i32 s0, 5
	s_cbranch_scc1 .LBB159_237
; %bb.233:
	s_cmp_lt_i32 s0, 8
	s_cbranch_scc1 .LBB159_238
; %bb.234:
	;; [unrolled: 3-line block ×3, first 2 shown]
	s_cmp_gt_i32 s0, 9
	s_cbranch_scc0 .LBB159_240
; %bb.236:
	global_load_b64 v[8:9], v[6:7], off
	s_mov_b32 s30, 0
	s_wait_loadcnt 0x0
	v_and_or_b32 v3, 0x1ff, v9, v8
	v_lshrrev_b32_e32 v5, 8, v9
	v_bfe_u32 v8, v9, 20, 11
	s_delay_alu instid0(VALU_DEP_3) | instskip(NEXT) | instid1(VALU_DEP_2)
	v_cmp_ne_u32_e32 vcc_lo, 0, v3
	v_sub_nc_u32_e32 v10, 0x3f1, v8
	v_add_nc_u32_e32 v8, 0xfffffc10, v8
	v_cndmask_b32_e64 v3, 0, 1, vcc_lo
	s_delay_alu instid0(VALU_DEP_1) | instskip(NEXT) | instid1(VALU_DEP_4)
	v_and_or_b32 v3, 0xffe, v5, v3
	v_med3_i32 v5, v10, 0, 13
	s_delay_alu instid0(VALU_DEP_2) | instskip(NEXT) | instid1(VALU_DEP_1)
	v_or_b32_e32 v10, 0x1000, v3
	v_lshrrev_b32_e32 v11, v5, v10
	s_delay_alu instid0(VALU_DEP_1) | instskip(NEXT) | instid1(VALU_DEP_1)
	v_lshlrev_b32_e32 v5, v5, v11
	v_cmp_ne_u32_e32 vcc_lo, v5, v10
	v_lshl_or_b32 v10, v8, 12, v3
	v_cndmask_b32_e64 v5, 0, 1, vcc_lo
	v_cmp_gt_i32_e32 vcc_lo, 1, v8
	s_delay_alu instid0(VALU_DEP_2) | instskip(NEXT) | instid1(VALU_DEP_1)
	v_or_b32_e32 v5, v11, v5
	v_cndmask_b32_e32 v5, v10, v5, vcc_lo
	s_delay_alu instid0(VALU_DEP_1) | instskip(NEXT) | instid1(VALU_DEP_1)
	v_dual_lshrrev_b32 v5, 2, v5 :: v_dual_bitop2_b32 v10, 7, v5 bitop3:0x40
	v_cmp_lt_i32_e32 vcc_lo, 5, v10
	v_cndmask_b32_e64 v11, 0, 1, vcc_lo
	v_cmp_eq_u32_e32 vcc_lo, 3, v10
	v_cndmask_b32_e64 v10, 0, 1, vcc_lo
	v_cmp_ne_u32_e32 vcc_lo, 0, v3
	s_delay_alu instid0(VALU_DEP_2) | instskip(SKIP_1) | instid1(VALU_DEP_2)
	v_or_b32_e32 v10, v10, v11
	v_mov_b32_e32 v11, 0x7e00
	v_add_nc_u32_e32 v5, v5, v10
	s_delay_alu instid0(VALU_DEP_2) | instskip(SKIP_1) | instid1(VALU_DEP_3)
	v_cndmask_b32_e32 v3, 0x7c00, v11, vcc_lo
	v_cmp_gt_i32_e32 vcc_lo, 31, v8
	v_cndmask_b32_e32 v5, 0x7c00, v5, vcc_lo
	v_cmp_eq_u32_e32 vcc_lo, 0x40f, v8
	s_delay_alu instid0(VALU_DEP_2) | instskip(NEXT) | instid1(VALU_DEP_1)
	v_dual_cndmask_b32 v3, v5, v3, vcc_lo :: v_dual_lshrrev_b32 v5, 16, v9
	v_and_or_b32 v8, 0x8000, v5, v3
	s_branch .LBB159_241
.LBB159_237:
	s_mov_b32 s30, -1
                                        ; implicit-def: $vgpr8
	s_branch .LBB159_259
.LBB159_238:
	s_mov_b32 s30, -1
                                        ; implicit-def: $vgpr8
	s_branch .LBB159_247
.LBB159_239:
	s_mov_b32 s30, -1
                                        ; implicit-def: $vgpr8
	s_branch .LBB159_244
.LBB159_240:
	s_mov_b32 s30, -1
                                        ; implicit-def: $vgpr8
.LBB159_241:
	s_delay_alu instid0(SALU_CYCLE_1)
	s_and_not1_b32 vcc_lo, exec_lo, s30
	s_cbranch_vccnz .LBB159_243
; %bb.242:
	global_load_b32 v3, v[6:7], off
	s_wait_loadcnt 0x0
	v_cvt_f16_f32_e32 v8, v3
.LBB159_243:
	s_mov_b32 s30, 0
.LBB159_244:
	s_delay_alu instid0(SALU_CYCLE_1)
	s_and_not1_b32 vcc_lo, exec_lo, s30
	s_cbranch_vccnz .LBB159_246
; %bb.245:
	global_load_b32 v8, v[6:7], off
.LBB159_246:
	s_mov_b32 s30, 0
.LBB159_247:
	s_delay_alu instid0(SALU_CYCLE_1)
	s_and_not1_b32 vcc_lo, exec_lo, s30
	s_cbranch_vccnz .LBB159_258
; %bb.248:
	s_cmp_lt_i32 s0, 6
	s_cbranch_scc1 .LBB159_251
; %bb.249:
	s_cmp_gt_i32 s0, 6
	s_cbranch_scc0 .LBB159_252
; %bb.250:
	s_wait_loadcnt 0x0
	global_load_b64 v[8:9], v[6:7], off
	s_mov_b32 s30, 0
	s_wait_loadcnt 0x0
	v_and_or_b32 v3, 0x1ff, v9, v8
	v_lshrrev_b32_e32 v5, 8, v9
	v_bfe_u32 v8, v9, 20, 11
	s_delay_alu instid0(VALU_DEP_3) | instskip(NEXT) | instid1(VALU_DEP_2)
	v_cmp_ne_u32_e32 vcc_lo, 0, v3
	v_sub_nc_u32_e32 v10, 0x3f1, v8
	v_add_nc_u32_e32 v8, 0xfffffc10, v8
	v_cndmask_b32_e64 v3, 0, 1, vcc_lo
	s_delay_alu instid0(VALU_DEP_1) | instskip(NEXT) | instid1(VALU_DEP_4)
	v_and_or_b32 v3, 0xffe, v5, v3
	v_med3_i32 v5, v10, 0, 13
	s_delay_alu instid0(VALU_DEP_2) | instskip(NEXT) | instid1(VALU_DEP_1)
	v_or_b32_e32 v10, 0x1000, v3
	v_lshrrev_b32_e32 v11, v5, v10
	s_delay_alu instid0(VALU_DEP_1) | instskip(NEXT) | instid1(VALU_DEP_1)
	v_lshlrev_b32_e32 v5, v5, v11
	v_cmp_ne_u32_e32 vcc_lo, v5, v10
	v_lshl_or_b32 v10, v8, 12, v3
	v_cndmask_b32_e64 v5, 0, 1, vcc_lo
	v_cmp_gt_i32_e32 vcc_lo, 1, v8
	s_delay_alu instid0(VALU_DEP_2) | instskip(NEXT) | instid1(VALU_DEP_1)
	v_or_b32_e32 v5, v11, v5
	v_cndmask_b32_e32 v5, v10, v5, vcc_lo
	s_delay_alu instid0(VALU_DEP_1) | instskip(NEXT) | instid1(VALU_DEP_1)
	v_dual_lshrrev_b32 v5, 2, v5 :: v_dual_bitop2_b32 v10, 7, v5 bitop3:0x40
	v_cmp_lt_i32_e32 vcc_lo, 5, v10
	v_cndmask_b32_e64 v11, 0, 1, vcc_lo
	v_cmp_eq_u32_e32 vcc_lo, 3, v10
	v_cndmask_b32_e64 v10, 0, 1, vcc_lo
	v_cmp_ne_u32_e32 vcc_lo, 0, v3
	s_delay_alu instid0(VALU_DEP_2) | instskip(SKIP_1) | instid1(VALU_DEP_2)
	v_or_b32_e32 v10, v10, v11
	v_mov_b32_e32 v11, 0x7e00
	v_add_nc_u32_e32 v5, v5, v10
	s_delay_alu instid0(VALU_DEP_2) | instskip(SKIP_1) | instid1(VALU_DEP_3)
	v_cndmask_b32_e32 v3, 0x7c00, v11, vcc_lo
	v_cmp_gt_i32_e32 vcc_lo, 31, v8
	v_cndmask_b32_e32 v5, 0x7c00, v5, vcc_lo
	v_cmp_eq_u32_e32 vcc_lo, 0x40f, v8
	s_delay_alu instid0(VALU_DEP_2) | instskip(NEXT) | instid1(VALU_DEP_1)
	v_dual_cndmask_b32 v3, v5, v3, vcc_lo :: v_dual_lshrrev_b32 v5, 16, v9
	v_and_or_b32 v8, 0x8000, v5, v3
	s_branch .LBB159_253
.LBB159_251:
	s_mov_b32 s30, -1
                                        ; implicit-def: $vgpr8
	s_branch .LBB159_256
.LBB159_252:
	s_mov_b32 s30, -1
                                        ; implicit-def: $vgpr8
.LBB159_253:
	s_delay_alu instid0(SALU_CYCLE_1)
	s_and_not1_b32 vcc_lo, exec_lo, s30
	s_cbranch_vccnz .LBB159_255
; %bb.254:
	global_load_b32 v3, v[6:7], off
	s_wait_loadcnt 0x0
	v_cvt_f16_f32_e32 v8, v3
.LBB159_255:
	s_mov_b32 s30, 0
.LBB159_256:
	s_delay_alu instid0(SALU_CYCLE_1)
	s_and_not1_b32 vcc_lo, exec_lo, s30
	s_cbranch_vccnz .LBB159_258
; %bb.257:
	s_wait_loadcnt 0x0
	global_load_u16 v8, v[6:7], off
.LBB159_258:
	s_mov_b32 s30, 0
.LBB159_259:
	s_delay_alu instid0(SALU_CYCLE_1)
	s_and_not1_b32 vcc_lo, exec_lo, s30
	s_cbranch_vccnz .LBB159_279
; %bb.260:
	s_cmp_lt_i32 s0, 2
	s_cbranch_scc1 .LBB159_264
; %bb.261:
	s_cmp_lt_i32 s0, 3
	s_cbranch_scc1 .LBB159_265
; %bb.262:
	s_cmp_gt_i32 s0, 3
	s_cbranch_scc0 .LBB159_266
; %bb.263:
	s_wait_loadcnt 0x0
	global_load_b64 v[8:9], v[6:7], off
	s_mov_b32 s30, 0
	s_wait_loadcnt 0x0
	v_xor_b32_e32 v3, v8, v9
	v_cls_i32_e32 v5, v9
	s_delay_alu instid0(VALU_DEP_2) | instskip(NEXT) | instid1(VALU_DEP_1)
	v_ashrrev_i32_e32 v3, 31, v3
	v_add_nc_u32_e32 v3, 32, v3
	s_delay_alu instid0(VALU_DEP_1) | instskip(NEXT) | instid1(VALU_DEP_1)
	v_add_min_u32_e64 v3, v5, -1, v3
	v_lshlrev_b64_e32 v[8:9], v3, v[8:9]
	v_sub_nc_u32_e32 v3, 32, v3
	s_delay_alu instid0(VALU_DEP_2) | instskip(NEXT) | instid1(VALU_DEP_1)
	v_min_u32_e32 v5, 1, v8
	v_or_b32_e32 v5, v9, v5
	s_delay_alu instid0(VALU_DEP_1) | instskip(NEXT) | instid1(VALU_DEP_1)
	v_cvt_f32_i32_e32 v5, v5
	v_ldexp_f32 v3, v5, v3
	s_delay_alu instid0(VALU_DEP_1)
	v_cvt_f16_f32_e32 v8, v3
	s_branch .LBB159_267
.LBB159_264:
	s_mov_b32 s30, -1
                                        ; implicit-def: $vgpr8
	s_branch .LBB159_273
.LBB159_265:
	s_mov_b32 s30, -1
                                        ; implicit-def: $vgpr8
	s_branch .LBB159_270
.LBB159_266:
	s_mov_b32 s30, -1
                                        ; implicit-def: $vgpr8
.LBB159_267:
	s_delay_alu instid0(SALU_CYCLE_1)
	s_and_not1_b32 vcc_lo, exec_lo, s30
	s_cbranch_vccnz .LBB159_269
; %bb.268:
	global_load_b32 v3, v[6:7], off
	s_wait_loadcnt 0x0
	v_cvt_f32_i32_e32 v3, v3
	s_delay_alu instid0(VALU_DEP_1)
	v_cvt_f16_f32_e32 v8, v3
.LBB159_269:
	s_mov_b32 s30, 0
.LBB159_270:
	s_delay_alu instid0(SALU_CYCLE_1)
	s_and_not1_b32 vcc_lo, exec_lo, s30
	s_cbranch_vccnz .LBB159_272
; %bb.271:
	global_load_u16 v3, v[6:7], off
	s_wait_loadcnt 0x0
	v_cvt_f16_i16_e32 v8, v3
.LBB159_272:
	s_mov_b32 s30, 0
.LBB159_273:
	s_delay_alu instid0(SALU_CYCLE_1)
	s_and_not1_b32 vcc_lo, exec_lo, s30
	s_cbranch_vccnz .LBB159_279
; %bb.274:
	s_cmp_gt_i32 s0, 0
	s_mov_b32 s0, 0
	s_cbranch_scc0 .LBB159_276
; %bb.275:
	global_load_i8 v3, v[6:7], off
	s_wait_loadcnt 0x0
	v_cvt_f16_i16_e32 v8, v3
	s_branch .LBB159_277
.LBB159_276:
	s_mov_b32 s0, -1
                                        ; implicit-def: $vgpr8
.LBB159_277:
	s_delay_alu instid0(SALU_CYCLE_1)
	s_and_not1_b32 vcc_lo, exec_lo, s0
	s_cbranch_vccnz .LBB159_279
; %bb.278:
	global_load_u8 v3, v[6:7], off
	s_wait_loadcnt 0x0
	v_cvt_f16_u16_e32 v8, v3
.LBB159_279:
	s_branch .LBB159_32
.LBB159_280:
	s_mov_b32 s0, 0
	s_mov_b32 s30, 0
	s_branch .LBB159_521
.LBB159_281:
	s_mov_b32 s30, -1
.LBB159_282:
	s_mov_b32 s31, 0
                                        ; implicit-def: $vgpr3
.LBB159_283:
	s_and_b32 vcc_lo, exec_lo, s43
	s_cbranch_vccz .LBB159_287
; %bb.284:
	s_cmp_eq_u32 s0, 44
	s_cbranch_scc0 .LBB159_286
; %bb.285:
	global_load_u8 v3, v[4:5], off
	s_mov_b32 s30, 0
	s_mov_b32 s31, -1
	s_wait_loadcnt 0x0
	v_lshlrev_b32_e32 v6, 23, v3
	v_cmp_ne_u32_e32 vcc_lo, 0xff, v3
	s_delay_alu instid0(VALU_DEP_2) | instskip(NEXT) | instid1(VALU_DEP_1)
	v_cvt_f16_f32_e32 v6, v6
	v_cndmask_b32_e32 v6, 0x7e00, v6, vcc_lo
	v_cmp_ne_u32_e32 vcc_lo, 0, v3
	s_delay_alu instid0(VALU_DEP_2)
	v_cndmask_b32_e32 v3, 0, v6, vcc_lo
	s_branch .LBB159_287
.LBB159_286:
	s_mov_b32 s30, -1
                                        ; implicit-def: $vgpr3
.LBB159_287:
	s_mov_b32 s43, 0
.LBB159_288:
	s_delay_alu instid0(SALU_CYCLE_1)
	s_and_b32 vcc_lo, exec_lo, s43
	s_cbranch_vccz .LBB159_292
; %bb.289:
	s_cmp_eq_u32 s0, 29
	s_cbranch_scc0 .LBB159_291
; %bb.290:
	global_load_b64 v[6:7], v[4:5], off
	s_mov_b32 s31, -1
	s_mov_b32 s30, 0
	s_mov_b32 s43, 0
	s_wait_loadcnt 0x0
	v_clz_i32_u32_e32 v3, v7
	s_delay_alu instid0(VALU_DEP_1) | instskip(NEXT) | instid1(VALU_DEP_1)
	v_min_u32_e32 v3, 32, v3
	v_lshlrev_b64_e32 v[6:7], v3, v[6:7]
	v_sub_nc_u32_e32 v3, 32, v3
	s_delay_alu instid0(VALU_DEP_2) | instskip(NEXT) | instid1(VALU_DEP_1)
	v_min_u32_e32 v6, 1, v6
	v_or_b32_e32 v6, v7, v6
	s_delay_alu instid0(VALU_DEP_1) | instskip(NEXT) | instid1(VALU_DEP_1)
	v_cvt_f32_u32_e32 v6, v6
	v_ldexp_f32 v3, v6, v3
	s_delay_alu instid0(VALU_DEP_1)
	v_cvt_f16_f32_e32 v3, v3
	s_branch .LBB159_293
.LBB159_291:
	s_mov_b32 s30, -1
                                        ; implicit-def: $vgpr3
.LBB159_292:
	s_mov_b32 s43, 0
.LBB159_293:
	s_delay_alu instid0(SALU_CYCLE_1)
	s_and_b32 vcc_lo, exec_lo, s43
	s_cbranch_vccz .LBB159_311
; %bb.294:
	s_cmp_lt_i32 s0, 27
	s_cbranch_scc1 .LBB159_297
; %bb.295:
	s_cmp_gt_i32 s0, 27
	s_cbranch_scc0 .LBB159_298
; %bb.296:
	global_load_b32 v3, v[4:5], off
	s_mov_b32 s31, 0
	s_wait_loadcnt 0x0
	v_cvt_f32_u32_e32 v3, v3
	s_delay_alu instid0(VALU_DEP_1)
	v_cvt_f16_f32_e32 v3, v3
	s_branch .LBB159_299
.LBB159_297:
	s_mov_b32 s31, -1
                                        ; implicit-def: $vgpr3
	s_branch .LBB159_302
.LBB159_298:
	s_mov_b32 s31, -1
                                        ; implicit-def: $vgpr3
.LBB159_299:
	s_delay_alu instid0(SALU_CYCLE_1)
	s_and_not1_b32 vcc_lo, exec_lo, s31
	s_cbranch_vccnz .LBB159_301
; %bb.300:
	global_load_u16 v3, v[4:5], off
	s_wait_loadcnt 0x0
	v_cvt_f16_u16_e32 v3, v3
.LBB159_301:
	s_mov_b32 s31, 0
.LBB159_302:
	s_delay_alu instid0(SALU_CYCLE_1)
	s_and_not1_b32 vcc_lo, exec_lo, s31
	s_cbranch_vccnz .LBB159_310
; %bb.303:
	global_load_u8 v6, v[4:5], off
	s_mov_b32 s31, 0
	s_mov_b32 s43, exec_lo
	s_wait_loadcnt 0x0
	v_cmpx_lt_i16_e32 0x7f, v6
	s_xor_b32 s43, exec_lo, s43
	s_cbranch_execz .LBB159_324
; %bb.304:
	s_mov_b32 s31, -1
	s_mov_b32 s46, exec_lo
	v_cmpx_eq_u16_e32 0x80, v6
; %bb.305:
	s_xor_b32 s31, exec_lo, -1
; %bb.306:
	s_or_b32 exec_lo, exec_lo, s46
	s_delay_alu instid0(SALU_CYCLE_1)
	s_and_b32 s31, s31, exec_lo
	s_or_saveexec_b32 s43, s43
	v_mov_b32_e32 v3, 0x7e00
	s_xor_b32 exec_lo, exec_lo, s43
	s_cbranch_execnz .LBB159_325
.LBB159_307:
	s_or_b32 exec_lo, exec_lo, s43
	s_and_saveexec_b32 s43, s31
	s_cbranch_execz .LBB159_309
.LBB159_308:
	v_and_b32_e32 v3, 0xffff, v6
	s_delay_alu instid0(VALU_DEP_1) | instskip(SKIP_1) | instid1(VALU_DEP_2)
	v_and_b32_e32 v7, 7, v3
	v_bfe_u32 v11, v3, 3, 4
	v_clz_i32_u32_e32 v9, v7
	s_delay_alu instid0(VALU_DEP_2) | instskip(NEXT) | instid1(VALU_DEP_2)
	v_cmp_eq_u32_e32 vcc_lo, 0, v11
	v_min_u32_e32 v9, 32, v9
	s_delay_alu instid0(VALU_DEP_1) | instskip(NEXT) | instid1(VALU_DEP_1)
	v_subrev_nc_u32_e32 v10, 28, v9
	v_dual_lshlrev_b32 v3, v10, v3 :: v_dual_sub_nc_u32 v9, 29, v9
	s_delay_alu instid0(VALU_DEP_1) | instskip(NEXT) | instid1(VALU_DEP_2)
	v_dual_lshlrev_b32 v6, 24, v6 :: v_dual_bitop2_b32 v3, 7, v3 bitop3:0x40
	v_cndmask_b32_e32 v9, v11, v9, vcc_lo
	s_delay_alu instid0(VALU_DEP_2) | instskip(NEXT) | instid1(VALU_DEP_3)
	v_cndmask_b32_e32 v3, v7, v3, vcc_lo
	v_and_b32_e32 v6, 0x80000000, v6
	s_delay_alu instid0(VALU_DEP_3) | instskip(NEXT) | instid1(VALU_DEP_3)
	v_lshl_add_u32 v7, v9, 23, 0x3b800000
	v_lshlrev_b32_e32 v3, 20, v3
	s_delay_alu instid0(VALU_DEP_1) | instskip(NEXT) | instid1(VALU_DEP_1)
	v_or3_b32 v3, v6, v7, v3
	v_cvt_f16_f32_e32 v3, v3
.LBB159_309:
	s_or_b32 exec_lo, exec_lo, s43
.LBB159_310:
	s_mov_b32 s31, -1
.LBB159_311:
	s_mov_b32 s43, 0
.LBB159_312:
	s_delay_alu instid0(SALU_CYCLE_1)
	s_and_b32 vcc_lo, exec_lo, s43
	s_cbranch_vccz .LBB159_347
; %bb.313:
	s_cmp_gt_i32 s0, 22
	s_cbranch_scc0 .LBB159_323
; %bb.314:
	s_cmp_lt_i32 s0, 24
	s_cbranch_scc1 .LBB159_326
; %bb.315:
	s_cmp_gt_i32 s0, 24
	s_cbranch_scc0 .LBB159_327
; %bb.316:
	global_load_u8 v6, v[4:5], off
	s_mov_b32 s31, 0
	s_mov_b32 s43, exec_lo
	s_wait_loadcnt 0x0
	v_cmpx_lt_i16_e32 0x7f, v6
	s_xor_b32 s43, exec_lo, s43
	s_cbranch_execz .LBB159_339
; %bb.317:
	s_mov_b32 s31, -1
	s_mov_b32 s46, exec_lo
	v_cmpx_eq_u16_e32 0x80, v6
; %bb.318:
	s_xor_b32 s31, exec_lo, -1
; %bb.319:
	s_or_b32 exec_lo, exec_lo, s46
	s_delay_alu instid0(SALU_CYCLE_1)
	s_and_b32 s31, s31, exec_lo
	s_or_saveexec_b32 s43, s43
	v_mov_b32_e32 v3, 0x7e00
	s_xor_b32 exec_lo, exec_lo, s43
	s_cbranch_execnz .LBB159_340
.LBB159_320:
	s_or_b32 exec_lo, exec_lo, s43
	s_and_saveexec_b32 s43, s31
	s_cbranch_execz .LBB159_322
.LBB159_321:
	v_and_b32_e32 v3, 0xffff, v6
	s_delay_alu instid0(VALU_DEP_1) | instskip(SKIP_1) | instid1(VALU_DEP_2)
	v_and_b32_e32 v7, 3, v3
	v_bfe_u32 v11, v3, 2, 5
	v_clz_i32_u32_e32 v9, v7
	s_delay_alu instid0(VALU_DEP_2) | instskip(NEXT) | instid1(VALU_DEP_2)
	v_cmp_eq_u32_e32 vcc_lo, 0, v11
	v_min_u32_e32 v9, 32, v9
	s_delay_alu instid0(VALU_DEP_1) | instskip(NEXT) | instid1(VALU_DEP_1)
	v_subrev_nc_u32_e32 v10, 29, v9
	v_dual_lshlrev_b32 v3, v10, v3 :: v_dual_sub_nc_u32 v9, 30, v9
	s_delay_alu instid0(VALU_DEP_1) | instskip(NEXT) | instid1(VALU_DEP_2)
	v_dual_lshlrev_b32 v6, 24, v6 :: v_dual_bitop2_b32 v3, 3, v3 bitop3:0x40
	v_cndmask_b32_e32 v9, v11, v9, vcc_lo
	s_delay_alu instid0(VALU_DEP_2) | instskip(NEXT) | instid1(VALU_DEP_3)
	v_cndmask_b32_e32 v3, v7, v3, vcc_lo
	v_and_b32_e32 v6, 0x80000000, v6
	s_delay_alu instid0(VALU_DEP_3) | instskip(NEXT) | instid1(VALU_DEP_3)
	v_lshl_add_u32 v7, v9, 23, 0x37800000
	v_lshlrev_b32_e32 v3, 21, v3
	s_delay_alu instid0(VALU_DEP_1) | instskip(NEXT) | instid1(VALU_DEP_1)
	v_or3_b32 v3, v6, v7, v3
	v_cvt_f16_f32_e32 v3, v3
.LBB159_322:
	s_or_b32 exec_lo, exec_lo, s43
	s_mov_b32 s31, 0
	s_branch .LBB159_328
.LBB159_323:
	s_mov_b32 s43, -1
                                        ; implicit-def: $vgpr3
	s_branch .LBB159_334
.LBB159_324:
	s_or_saveexec_b32 s43, s43
	v_mov_b32_e32 v3, 0x7e00
	s_xor_b32 exec_lo, exec_lo, s43
	s_cbranch_execz .LBB159_307
.LBB159_325:
	v_cmp_ne_u16_e32 vcc_lo, 0, v6
	v_mov_b32_e32 v3, v6
	s_and_not1_b32 s31, s31, exec_lo
	s_and_b32 s46, vcc_lo, exec_lo
	s_delay_alu instid0(SALU_CYCLE_1)
	s_or_b32 s31, s31, s46
	s_or_b32 exec_lo, exec_lo, s43
	s_and_saveexec_b32 s43, s31
	s_cbranch_execnz .LBB159_308
	s_branch .LBB159_309
.LBB159_326:
	s_mov_b32 s31, -1
                                        ; implicit-def: $vgpr3
	s_branch .LBB159_331
.LBB159_327:
	s_mov_b32 s31, -1
                                        ; implicit-def: $vgpr3
.LBB159_328:
	s_delay_alu instid0(SALU_CYCLE_1)
	s_and_b32 vcc_lo, exec_lo, s31
	s_cbranch_vccz .LBB159_330
; %bb.329:
	global_load_u8 v3, v[4:5], off
	s_wait_loadcnt 0x0
	v_lshlrev_b32_e32 v3, 24, v3
	s_delay_alu instid0(VALU_DEP_1) | instskip(NEXT) | instid1(VALU_DEP_1)
	v_and_b32_e32 v6, 0x7f000000, v3
	v_clz_i32_u32_e32 v7, v6
	v_add_nc_u32_e32 v10, 0x1000000, v6
	v_cmp_ne_u32_e32 vcc_lo, 0, v6
	s_delay_alu instid0(VALU_DEP_3) | instskip(NEXT) | instid1(VALU_DEP_1)
	v_min_u32_e32 v7, 32, v7
	v_sub_nc_u32_e64 v7, v7, 4 clamp
	s_delay_alu instid0(VALU_DEP_1) | instskip(NEXT) | instid1(VALU_DEP_1)
	v_dual_lshlrev_b32 v9, v7, v6 :: v_dual_lshlrev_b32 v7, 23, v7
	v_lshrrev_b32_e32 v9, 4, v9
	s_delay_alu instid0(VALU_DEP_1) | instskip(NEXT) | instid1(VALU_DEP_1)
	v_dual_sub_nc_u32 v7, v9, v7 :: v_dual_ashrrev_i32 v9, 8, v10
	v_add_nc_u32_e32 v7, 0x3c000000, v7
	s_delay_alu instid0(VALU_DEP_1) | instskip(NEXT) | instid1(VALU_DEP_1)
	v_and_or_b32 v7, 0x7f800000, v9, v7
	v_cndmask_b32_e32 v6, 0, v7, vcc_lo
	s_delay_alu instid0(VALU_DEP_1) | instskip(NEXT) | instid1(VALU_DEP_1)
	v_and_or_b32 v3, 0x80000000, v3, v6
	v_cvt_f16_f32_e32 v3, v3
.LBB159_330:
	s_mov_b32 s31, 0
.LBB159_331:
	s_delay_alu instid0(SALU_CYCLE_1)
	s_and_not1_b32 vcc_lo, exec_lo, s31
	s_cbranch_vccnz .LBB159_333
; %bb.332:
	global_load_u8 v3, v[4:5], off
	s_wait_loadcnt 0x0
	v_lshlrev_b32_e32 v6, 25, v3
	v_lshlrev_b16 v3, 8, v3
	s_delay_alu instid0(VALU_DEP_1) | instskip(SKIP_1) | instid1(VALU_DEP_2)
	v_and_or_b32 v9, 0x7f00, v3, 0.5
	v_bfe_i32 v3, v3, 0, 16
	v_dual_add_f32 v9, -0.5, v9 :: v_dual_lshrrev_b32 v7, 4, v6
	v_cmp_gt_u32_e32 vcc_lo, 0x8000000, v6
	s_delay_alu instid0(VALU_DEP_2) | instskip(NEXT) | instid1(VALU_DEP_1)
	v_or_b32_e32 v7, 0x70000000, v7
	v_mul_f32_e32 v7, 0x7800000, v7
	s_delay_alu instid0(VALU_DEP_1) | instskip(NEXT) | instid1(VALU_DEP_1)
	v_cndmask_b32_e32 v6, v7, v9, vcc_lo
	v_and_or_b32 v3, 0x80000000, v3, v6
	s_delay_alu instid0(VALU_DEP_1)
	v_cvt_f16_f32_e32 v3, v3
.LBB159_333:
	s_mov_b32 s43, 0
	s_mov_b32 s31, -1
.LBB159_334:
	s_and_not1_b32 vcc_lo, exec_lo, s43
	s_cbranch_vccnz .LBB159_347
; %bb.335:
	s_cmp_gt_i32 s0, 14
	s_cbranch_scc0 .LBB159_338
; %bb.336:
	s_cmp_eq_u32 s0, 15
	s_cbranch_scc0 .LBB159_341
; %bb.337:
	global_load_u16 v3, v[4:5], off
	s_mov_b32 s31, -1
	s_mov_b32 s30, 0
	s_wait_loadcnt 0x0
	v_lshlrev_b32_e32 v3, 16, v3
	s_delay_alu instid0(VALU_DEP_1)
	v_cvt_f16_f32_e32 v3, v3
	s_branch .LBB159_342
.LBB159_338:
	s_mov_b32 s43, -1
                                        ; implicit-def: $vgpr3
	s_branch .LBB159_343
.LBB159_339:
	s_or_saveexec_b32 s43, s43
	v_mov_b32_e32 v3, 0x7e00
	s_xor_b32 exec_lo, exec_lo, s43
	s_cbranch_execz .LBB159_320
.LBB159_340:
	v_cmp_ne_u16_e32 vcc_lo, 0, v6
	v_mov_b32_e32 v3, v6
	s_and_not1_b32 s31, s31, exec_lo
	s_and_b32 s46, vcc_lo, exec_lo
	s_delay_alu instid0(SALU_CYCLE_1)
	s_or_b32 s31, s31, s46
	s_or_b32 exec_lo, exec_lo, s43
	s_and_saveexec_b32 s43, s31
	s_cbranch_execnz .LBB159_321
	s_branch .LBB159_322
.LBB159_341:
	s_mov_b32 s30, -1
                                        ; implicit-def: $vgpr3
.LBB159_342:
	s_mov_b32 s43, 0
.LBB159_343:
	s_delay_alu instid0(SALU_CYCLE_1)
	s_and_b32 vcc_lo, exec_lo, s43
	s_cbranch_vccz .LBB159_347
; %bb.344:
	s_cmp_eq_u32 s0, 11
	s_cbranch_scc0 .LBB159_346
; %bb.345:
	global_load_u8 v3, v[4:5], off
	s_mov_b32 s30, 0
	s_mov_b32 s31, -1
	s_wait_loadcnt 0x0
	v_cmp_ne_u16_e32 vcc_lo, 0, v3
	v_cndmask_b32_e64 v3, 0, 0x3c00, vcc_lo
	s_branch .LBB159_347
.LBB159_346:
	s_mov_b32 s30, -1
                                        ; implicit-def: $vgpr3
.LBB159_347:
	s_mov_b32 s43, 0
.LBB159_348:
	s_delay_alu instid0(SALU_CYCLE_1)
	s_and_b32 vcc_lo, exec_lo, s43
	s_cbranch_vccz .LBB159_397
; %bb.349:
	s_cmp_lt_i32 s0, 5
	s_cbranch_scc1 .LBB159_354
; %bb.350:
	s_cmp_lt_i32 s0, 8
	s_cbranch_scc1 .LBB159_355
	;; [unrolled: 3-line block ×3, first 2 shown]
; %bb.352:
	s_cmp_gt_i32 s0, 9
	s_cbranch_scc0 .LBB159_357
; %bb.353:
	global_load_b64 v[6:7], v[4:5], off
	s_mov_b32 s31, 0
	s_wait_loadcnt 0x0
	v_and_or_b32 v3, 0x1ff, v7, v6
	v_lshrrev_b32_e32 v6, 8, v7
	v_bfe_u32 v9, v7, 20, 11
	s_delay_alu instid0(VALU_DEP_3) | instskip(NEXT) | instid1(VALU_DEP_2)
	v_cmp_ne_u32_e32 vcc_lo, 0, v3
	v_sub_nc_u32_e32 v10, 0x3f1, v9
	v_cndmask_b32_e64 v3, 0, 1, vcc_lo
	s_delay_alu instid0(VALU_DEP_1) | instskip(NEXT) | instid1(VALU_DEP_3)
	v_and_or_b32 v3, 0xffe, v6, v3
	v_med3_i32 v6, v10, 0, 13
	s_delay_alu instid0(VALU_DEP_2) | instskip(NEXT) | instid1(VALU_DEP_1)
	v_or_b32_e32 v10, 0x1000, v3
	v_lshrrev_b32_e32 v11, v6, v10
	s_delay_alu instid0(VALU_DEP_1) | instskip(NEXT) | instid1(VALU_DEP_1)
	v_lshlrev_b32_e32 v6, v6, v11
	v_cmp_ne_u32_e32 vcc_lo, v6, v10
	v_cndmask_b32_e64 v6, 0, 1, vcc_lo
	s_delay_alu instid0(VALU_DEP_1) | instskip(SKIP_1) | instid1(VALU_DEP_1)
	v_or_b32_e32 v6, v11, v6
	v_add_nc_u32_e32 v9, 0xfffffc10, v9
	v_lshl_or_b32 v10, v9, 12, v3
	v_cmp_gt_i32_e32 vcc_lo, 1, v9
	s_delay_alu instid0(VALU_DEP_2) | instskip(NEXT) | instid1(VALU_DEP_1)
	v_cndmask_b32_e32 v6, v10, v6, vcc_lo
	v_dual_lshrrev_b32 v6, 2, v6 :: v_dual_bitop2_b32 v10, 7, v6 bitop3:0x40
	s_delay_alu instid0(VALU_DEP_1) | instskip(SKIP_4) | instid1(VALU_DEP_2)
	v_cmp_lt_i32_e32 vcc_lo, 5, v10
	v_cndmask_b32_e64 v11, 0, 1, vcc_lo
	v_cmp_eq_u32_e32 vcc_lo, 3, v10
	v_cndmask_b32_e64 v10, 0, 1, vcc_lo
	v_cmp_ne_u32_e32 vcc_lo, 0, v3
	v_or_b32_e32 v10, v10, v11
	s_delay_alu instid0(VALU_DEP_1) | instskip(NEXT) | instid1(VALU_DEP_1)
	v_dual_mov_b32 v11, 0x7e00 :: v_dual_add_nc_u32 v6, v6, v10
	v_cndmask_b32_e32 v3, 0x7c00, v11, vcc_lo
	v_cmp_gt_i32_e32 vcc_lo, 31, v9
	s_delay_alu instid0(VALU_DEP_3) | instskip(SKIP_1) | instid1(VALU_DEP_2)
	v_cndmask_b32_e32 v6, 0x7c00, v6, vcc_lo
	v_cmp_eq_u32_e32 vcc_lo, 0x40f, v9
	v_cndmask_b32_e32 v3, v6, v3, vcc_lo
	v_lshrrev_b32_e32 v6, 16, v7
	s_delay_alu instid0(VALU_DEP_1)
	v_and_or_b32 v3, 0x8000, v6, v3
	s_branch .LBB159_358
.LBB159_354:
	s_mov_b32 s31, -1
                                        ; implicit-def: $vgpr3
	s_branch .LBB159_376
.LBB159_355:
	s_mov_b32 s31, -1
                                        ; implicit-def: $vgpr3
	s_branch .LBB159_364
.LBB159_356:
	s_mov_b32 s31, -1
                                        ; implicit-def: $vgpr3
	s_branch .LBB159_361
.LBB159_357:
	s_mov_b32 s31, -1
                                        ; implicit-def: $vgpr3
.LBB159_358:
	s_delay_alu instid0(SALU_CYCLE_1)
	s_and_not1_b32 vcc_lo, exec_lo, s31
	s_cbranch_vccnz .LBB159_360
; %bb.359:
	global_load_b32 v3, v[4:5], off
	s_wait_loadcnt 0x0
	v_cvt_f16_f32_e32 v3, v3
.LBB159_360:
	s_mov_b32 s31, 0
.LBB159_361:
	s_delay_alu instid0(SALU_CYCLE_1)
	s_and_not1_b32 vcc_lo, exec_lo, s31
	s_cbranch_vccnz .LBB159_363
; %bb.362:
	global_load_b32 v3, v[4:5], off
.LBB159_363:
	s_mov_b32 s31, 0
.LBB159_364:
	s_delay_alu instid0(SALU_CYCLE_1)
	s_and_not1_b32 vcc_lo, exec_lo, s31
	s_cbranch_vccnz .LBB159_375
; %bb.365:
	s_cmp_lt_i32 s0, 6
	s_cbranch_scc1 .LBB159_368
; %bb.366:
	s_cmp_gt_i32 s0, 6
	s_cbranch_scc0 .LBB159_369
; %bb.367:
	global_load_b64 v[6:7], v[4:5], off
	s_mov_b32 s31, 0
	s_wait_loadcnt 0x0
	v_and_or_b32 v3, 0x1ff, v7, v6
	v_lshrrev_b32_e32 v6, 8, v7
	v_bfe_u32 v9, v7, 20, 11
	s_delay_alu instid0(VALU_DEP_3) | instskip(NEXT) | instid1(VALU_DEP_2)
	v_cmp_ne_u32_e32 vcc_lo, 0, v3
	v_sub_nc_u32_e32 v10, 0x3f1, v9
	v_cndmask_b32_e64 v3, 0, 1, vcc_lo
	s_delay_alu instid0(VALU_DEP_1) | instskip(NEXT) | instid1(VALU_DEP_3)
	v_and_or_b32 v3, 0xffe, v6, v3
	v_med3_i32 v6, v10, 0, 13
	s_delay_alu instid0(VALU_DEP_2) | instskip(NEXT) | instid1(VALU_DEP_1)
	v_or_b32_e32 v10, 0x1000, v3
	v_lshrrev_b32_e32 v11, v6, v10
	s_delay_alu instid0(VALU_DEP_1) | instskip(NEXT) | instid1(VALU_DEP_1)
	v_lshlrev_b32_e32 v6, v6, v11
	v_cmp_ne_u32_e32 vcc_lo, v6, v10
	v_cndmask_b32_e64 v6, 0, 1, vcc_lo
	s_delay_alu instid0(VALU_DEP_1) | instskip(SKIP_1) | instid1(VALU_DEP_1)
	v_or_b32_e32 v6, v11, v6
	v_add_nc_u32_e32 v9, 0xfffffc10, v9
	v_lshl_or_b32 v10, v9, 12, v3
	v_cmp_gt_i32_e32 vcc_lo, 1, v9
	s_delay_alu instid0(VALU_DEP_2) | instskip(NEXT) | instid1(VALU_DEP_1)
	v_cndmask_b32_e32 v6, v10, v6, vcc_lo
	v_dual_lshrrev_b32 v6, 2, v6 :: v_dual_bitop2_b32 v10, 7, v6 bitop3:0x40
	s_delay_alu instid0(VALU_DEP_1) | instskip(SKIP_4) | instid1(VALU_DEP_2)
	v_cmp_lt_i32_e32 vcc_lo, 5, v10
	v_cndmask_b32_e64 v11, 0, 1, vcc_lo
	v_cmp_eq_u32_e32 vcc_lo, 3, v10
	v_cndmask_b32_e64 v10, 0, 1, vcc_lo
	v_cmp_ne_u32_e32 vcc_lo, 0, v3
	v_or_b32_e32 v10, v10, v11
	s_delay_alu instid0(VALU_DEP_1) | instskip(NEXT) | instid1(VALU_DEP_1)
	v_dual_mov_b32 v11, 0x7e00 :: v_dual_add_nc_u32 v6, v6, v10
	v_cndmask_b32_e32 v3, 0x7c00, v11, vcc_lo
	v_cmp_gt_i32_e32 vcc_lo, 31, v9
	s_delay_alu instid0(VALU_DEP_3) | instskip(SKIP_1) | instid1(VALU_DEP_2)
	v_cndmask_b32_e32 v6, 0x7c00, v6, vcc_lo
	v_cmp_eq_u32_e32 vcc_lo, 0x40f, v9
	v_cndmask_b32_e32 v3, v6, v3, vcc_lo
	v_lshrrev_b32_e32 v6, 16, v7
	s_delay_alu instid0(VALU_DEP_1)
	v_and_or_b32 v3, 0x8000, v6, v3
	s_branch .LBB159_370
.LBB159_368:
	s_mov_b32 s31, -1
                                        ; implicit-def: $vgpr3
	s_branch .LBB159_373
.LBB159_369:
	s_mov_b32 s31, -1
                                        ; implicit-def: $vgpr3
.LBB159_370:
	s_delay_alu instid0(SALU_CYCLE_1)
	s_and_not1_b32 vcc_lo, exec_lo, s31
	s_cbranch_vccnz .LBB159_372
; %bb.371:
	s_wait_loadcnt 0x0
	global_load_b32 v3, v[4:5], off
	s_wait_loadcnt 0x0
	v_cvt_f16_f32_e32 v3, v3
.LBB159_372:
	s_mov_b32 s31, 0
.LBB159_373:
	s_delay_alu instid0(SALU_CYCLE_1)
	s_and_not1_b32 vcc_lo, exec_lo, s31
	s_cbranch_vccnz .LBB159_375
; %bb.374:
	s_wait_loadcnt 0x0
	global_load_u16 v3, v[4:5], off
.LBB159_375:
	s_mov_b32 s31, 0
.LBB159_376:
	s_delay_alu instid0(SALU_CYCLE_1)
	s_and_not1_b32 vcc_lo, exec_lo, s31
	s_cbranch_vccnz .LBB159_396
; %bb.377:
	s_cmp_lt_i32 s0, 2
	s_cbranch_scc1 .LBB159_381
; %bb.378:
	s_cmp_lt_i32 s0, 3
	s_cbranch_scc1 .LBB159_382
; %bb.379:
	s_cmp_gt_i32 s0, 3
	s_cbranch_scc0 .LBB159_383
; %bb.380:
	global_load_b64 v[6:7], v[4:5], off
	s_mov_b32 s31, 0
	s_wait_loadcnt 0x0
	v_xor_b32_e32 v3, v6, v7
	v_cls_i32_e32 v9, v7
	s_delay_alu instid0(VALU_DEP_2) | instskip(NEXT) | instid1(VALU_DEP_1)
	v_ashrrev_i32_e32 v3, 31, v3
	v_add_nc_u32_e32 v3, 32, v3
	s_delay_alu instid0(VALU_DEP_1) | instskip(NEXT) | instid1(VALU_DEP_1)
	v_add_min_u32_e64 v3, v9, -1, v3
	v_lshlrev_b64_e32 v[6:7], v3, v[6:7]
	v_sub_nc_u32_e32 v3, 32, v3
	s_delay_alu instid0(VALU_DEP_2) | instskip(NEXT) | instid1(VALU_DEP_1)
	v_min_u32_e32 v6, 1, v6
	v_or_b32_e32 v6, v7, v6
	s_delay_alu instid0(VALU_DEP_1) | instskip(NEXT) | instid1(VALU_DEP_1)
	v_cvt_f32_i32_e32 v6, v6
	v_ldexp_f32 v3, v6, v3
	s_delay_alu instid0(VALU_DEP_1)
	v_cvt_f16_f32_e32 v3, v3
	s_branch .LBB159_384
.LBB159_381:
	s_mov_b32 s31, -1
                                        ; implicit-def: $vgpr3
	s_branch .LBB159_390
.LBB159_382:
	s_mov_b32 s31, -1
                                        ; implicit-def: $vgpr3
	s_branch .LBB159_387
.LBB159_383:
	s_mov_b32 s31, -1
                                        ; implicit-def: $vgpr3
.LBB159_384:
	s_delay_alu instid0(SALU_CYCLE_1)
	s_and_not1_b32 vcc_lo, exec_lo, s31
	s_cbranch_vccnz .LBB159_386
; %bb.385:
	s_wait_loadcnt 0x0
	global_load_b32 v3, v[4:5], off
	s_wait_loadcnt 0x0
	v_cvt_f32_i32_e32 v3, v3
	s_delay_alu instid0(VALU_DEP_1)
	v_cvt_f16_f32_e32 v3, v3
.LBB159_386:
	s_mov_b32 s31, 0
.LBB159_387:
	s_delay_alu instid0(SALU_CYCLE_1)
	s_and_not1_b32 vcc_lo, exec_lo, s31
	s_cbranch_vccnz .LBB159_389
; %bb.388:
	s_wait_loadcnt 0x0
	global_load_u16 v3, v[4:5], off
	s_wait_loadcnt 0x0
	v_cvt_f16_i16_e32 v3, v3
.LBB159_389:
	s_mov_b32 s31, 0
.LBB159_390:
	s_delay_alu instid0(SALU_CYCLE_1)
	s_and_not1_b32 vcc_lo, exec_lo, s31
	s_cbranch_vccnz .LBB159_396
; %bb.391:
	s_cmp_gt_i32 s0, 0
	s_mov_b32 s0, 0
	s_cbranch_scc0 .LBB159_393
; %bb.392:
	s_wait_loadcnt 0x0
	global_load_i8 v3, v[4:5], off
	s_wait_loadcnt 0x0
	v_cvt_f16_i16_e32 v3, v3
	s_branch .LBB159_394
.LBB159_393:
	s_mov_b32 s0, -1
                                        ; implicit-def: $vgpr3
.LBB159_394:
	s_delay_alu instid0(SALU_CYCLE_1)
	s_and_not1_b32 vcc_lo, exec_lo, s0
	s_cbranch_vccnz .LBB159_396
; %bb.395:
	s_wait_loadcnt 0x0
	global_load_u8 v3, v[4:5], off
	s_wait_loadcnt 0x0
	v_cvt_f16_u16_e32 v3, v3
.LBB159_396:
	s_mov_b32 s31, -1
.LBB159_397:
	s_delay_alu instid0(SALU_CYCLE_1)
	s_and_not1_b32 vcc_lo, exec_lo, s31
	s_cbranch_vccnz .LBB159_405
; %bb.398:
	s_wait_loadcnt 0x0
	v_cmp_gt_f16_e32 vcc_lo, v1, v8
	s_and_b32 s31, s38, 0xff
	s_delay_alu instid0(SALU_CYCLE_1) | instskip(SKIP_1) | instid1(VALU_DEP_1)
	s_cmp_lt_i32 s31, 11
	v_cndmask_b32_e32 v4, v8, v1, vcc_lo
	v_cmp_lt_f16_e32 vcc_lo, v4, v3
	v_cndmask_b32_e32 v4, v3, v4, vcc_lo
	v_cmp_u_f16_e32 vcc_lo, v3, v3
	s_delay_alu instid0(VALU_DEP_2) | instskip(SKIP_1) | instid1(VALU_DEP_2)
	v_cndmask_b32_e32 v4, v4, v3, vcc_lo
	v_cmp_u_f16_e32 vcc_lo, v8, v8
	v_dual_mov_b32 v3, 0 :: v_dual_cndmask_b32 v4, v4, v8
	v_cmp_u_f16_e32 vcc_lo, v1, v1
	s_delay_alu instid0(VALU_DEP_2) | instskip(NEXT) | instid1(VALU_DEP_3)
	v_add_nc_u64_e32 v[2:3], s[4:5], v[2:3]
	v_cndmask_b32_e32 v1, v4, v1, vcc_lo
	s_cbranch_scc1 .LBB159_406
; %bb.399:
	s_and_b32 s43, 0xffff, s31
	s_delay_alu instid0(SALU_CYCLE_1)
	s_cmp_gt_i32 s43, 25
	s_cbranch_scc0 .LBB159_407
; %bb.400:
	s_cmp_gt_i32 s43, 28
	s_cbranch_scc0 .LBB159_408
; %bb.401:
	;; [unrolled: 3-line block ×4, first 2 shown]
	s_mov_b32 s47, 0
	s_mov_b32 s0, -1
	s_cmp_eq_u32 s43, 46
	s_mov_b32 s46, 0
	s_cbranch_scc0 .LBB159_411
; %bb.404:
	v_cvt_f32_f16_e32 v4, v1
	v_cmp_o_f16_e32 vcc_lo, v1, v1
	s_mov_b32 s46, -1
	s_mov_b32 s0, 0
	s_delay_alu instid0(VALU_DEP_2) | instskip(NEXT) | instid1(VALU_DEP_1)
	v_bfe_u32 v5, v4, 16, 1
	v_add3_u32 v4, v4, v5, 0x7fff
	s_delay_alu instid0(VALU_DEP_1) | instskip(NEXT) | instid1(VALU_DEP_1)
	v_lshrrev_b32_e32 v4, 16, v4
	v_cndmask_b32_e32 v4, 0x7fc0, v4, vcc_lo
	global_store_b32 v[2:3], v4, off
	s_branch .LBB159_411
.LBB159_405:
	s_mov_b32 s0, 0
	s_branch .LBB159_521
.LBB159_406:
	s_mov_b32 s43, -1
	s_mov_b32 s0, 0
	s_mov_b32 s46, 0
	s_branch .LBB159_480
.LBB159_407:
	s_mov_b32 s47, -1
	s_mov_b32 s0, 0
	s_mov_b32 s46, 0
	s_branch .LBB159_438
.LBB159_408:
	s_mov_b32 s47, -1
	s_mov_b32 s0, 0
	s_mov_b32 s46, 0
	s_branch .LBB159_421
.LBB159_409:
	s_mov_b32 s47, -1
	s_mov_b32 s0, 0
	s_mov_b32 s46, 0
	s_branch .LBB159_417
.LBB159_410:
	s_mov_b32 s47, -1
	s_mov_b32 s0, 0
	s_mov_b32 s46, 0
.LBB159_411:
	s_and_b32 vcc_lo, exec_lo, s47
	s_cbranch_vccz .LBB159_416
; %bb.412:
	s_cmp_eq_u32 s43, 44
	s_mov_b32 s0, -1
	s_cbranch_scc0 .LBB159_416
; %bb.413:
	s_wait_xcnt 0x0
	v_cvt_f32_f16_e32 v4, v1
	v_mov_b32_e32 v5, 0xff
	s_mov_b32 s46, exec_lo
	s_delay_alu instid0(VALU_DEP_2) | instskip(NEXT) | instid1(VALU_DEP_1)
	v_bfe_u32 v6, v4, 23, 8
	v_cmpx_ne_u32_e32 0xff, v6
	s_cbranch_execz .LBB159_415
; %bb.414:
	v_and_b32_e32 v5, 0x400000, v4
	v_and_or_b32 v6, 0x3fffff, v4, v6
	v_lshrrev_b32_e32 v4, 23, v4
	s_delay_alu instid0(VALU_DEP_3) | instskip(NEXT) | instid1(VALU_DEP_3)
	v_cmp_ne_u32_e32 vcc_lo, 0, v5
	v_cmp_ne_u32_e64 s0, 0, v6
	s_and_b32 s0, vcc_lo, s0
	s_delay_alu instid0(SALU_CYCLE_1) | instskip(NEXT) | instid1(VALU_DEP_1)
	v_cndmask_b32_e64 v5, 0, 1, s0
	v_add_nc_u32_e32 v5, v4, v5
.LBB159_415:
	s_or_b32 exec_lo, exec_lo, s46
	s_mov_b32 s46, -1
	s_mov_b32 s0, 0
	global_store_b8 v[2:3], v5, off
.LBB159_416:
	s_mov_b32 s47, 0
.LBB159_417:
	s_delay_alu instid0(SALU_CYCLE_1)
	s_and_b32 vcc_lo, exec_lo, s47
	s_cbranch_vccz .LBB159_420
; %bb.418:
	s_cmp_eq_u32 s43, 29
	s_mov_b32 s0, -1
	s_cbranch_scc0 .LBB159_420
; %bb.419:
	s_wait_xcnt 0x0
	v_cvt_f32_f16_e32 v4, v1
	v_mov_b32_e32 v5, 0
	s_mov_b32 s46, -1
	s_mov_b32 s0, 0
	s_mov_b32 s47, 0
	v_cvt_u32_f32_e32 v4, v4
	global_store_b64 v[2:3], v[4:5], off
	s_branch .LBB159_421
.LBB159_420:
	s_mov_b32 s47, 0
.LBB159_421:
	s_delay_alu instid0(SALU_CYCLE_1)
	s_and_b32 vcc_lo, exec_lo, s47
	s_cbranch_vccz .LBB159_437
; %bb.422:
	s_cmp_lt_i32 s43, 27
	s_mov_b32 s46, -1
	s_cbranch_scc1 .LBB159_428
; %bb.423:
	s_cmp_gt_i32 s43, 27
	s_cbranch_scc0 .LBB159_425
; %bb.424:
	s_wait_xcnt 0x0
	v_cvt_f32_f16_e32 v4, v1
	s_mov_b32 s46, 0
	s_delay_alu instid0(VALU_DEP_1)
	v_cvt_u32_f32_e32 v4, v4
	global_store_b32 v[2:3], v4, off
.LBB159_425:
	s_and_not1_b32 vcc_lo, exec_lo, s46
	s_cbranch_vccnz .LBB159_427
; %bb.426:
	s_wait_xcnt 0x0
	v_cvt_u16_f16_e32 v4, v1
	global_store_b16 v[2:3], v4, off
.LBB159_427:
	s_mov_b32 s46, 0
.LBB159_428:
	s_delay_alu instid0(SALU_CYCLE_1)
	s_and_not1_b32 vcc_lo, exec_lo, s46
	s_cbranch_vccnz .LBB159_436
; %bb.429:
	s_wait_xcnt 0x0
	v_cvt_f32_f16_e32 v4, v1
	v_mov_b32_e32 v6, 0x80
	s_mov_b32 s46, exec_lo
	s_delay_alu instid0(VALU_DEP_2) | instskip(NEXT) | instid1(VALU_DEP_1)
	v_and_b32_e32 v5, 0x7fffffff, v4
	v_cmpx_gt_u32_e32 0x43800000, v5
	s_cbranch_execz .LBB159_435
; %bb.430:
	v_cmp_lt_u32_e32 vcc_lo, 0x3bffffff, v5
	s_mov_b32 s47, 0
                                        ; implicit-def: $vgpr5
	s_and_saveexec_b32 s48, vcc_lo
	s_delay_alu instid0(SALU_CYCLE_1)
	s_xor_b32 s48, exec_lo, s48
	s_cbranch_execz .LBB159_680
; %bb.431:
	v_bfe_u32 v5, v4, 20, 1
	s_mov_b32 s47, exec_lo
	s_delay_alu instid0(VALU_DEP_1) | instskip(NEXT) | instid1(VALU_DEP_1)
	v_add3_u32 v5, v4, v5, 0x487ffff
	v_lshrrev_b32_e32 v5, 20, v5
	s_and_not1_saveexec_b32 s48, s48
	s_cbranch_execnz .LBB159_681
.LBB159_432:
	s_or_b32 exec_lo, exec_lo, s48
	v_mov_b32_e32 v6, 0
	s_and_saveexec_b32 s48, s47
.LBB159_433:
	v_lshrrev_b32_e32 v4, 24, v4
	s_delay_alu instid0(VALU_DEP_1)
	v_and_or_b32 v6, 0x80, v4, v5
.LBB159_434:
	s_or_b32 exec_lo, exec_lo, s48
.LBB159_435:
	s_delay_alu instid0(SALU_CYCLE_1)
	s_or_b32 exec_lo, exec_lo, s46
	global_store_b8 v[2:3], v6, off
.LBB159_436:
	s_mov_b32 s46, -1
.LBB159_437:
	s_mov_b32 s47, 0
.LBB159_438:
	s_delay_alu instid0(SALU_CYCLE_1)
	s_and_b32 vcc_lo, exec_lo, s47
	s_cbranch_vccz .LBB159_479
; %bb.439:
	s_cmp_gt_i32 s43, 22
	s_mov_b32 s47, -1
	s_cbranch_scc0 .LBB159_471
; %bb.440:
	s_cmp_lt_i32 s43, 24
	s_mov_b32 s46, -1
	s_cbranch_scc1 .LBB159_460
; %bb.441:
	s_cmp_gt_i32 s43, 24
	s_cbranch_scc0 .LBB159_449
; %bb.442:
	s_wait_xcnt 0x0
	v_cvt_f32_f16_e32 v4, v1
	v_mov_b32_e32 v6, 0x80
	s_mov_b32 s46, exec_lo
	s_delay_alu instid0(VALU_DEP_2) | instskip(NEXT) | instid1(VALU_DEP_1)
	v_and_b32_e32 v5, 0x7fffffff, v4
	v_cmpx_gt_u32_e32 0x47800000, v5
	s_cbranch_execz .LBB159_448
; %bb.443:
	v_cmp_lt_u32_e32 vcc_lo, 0x37ffffff, v5
	s_mov_b32 s47, 0
                                        ; implicit-def: $vgpr5
	s_and_saveexec_b32 s48, vcc_lo
	s_delay_alu instid0(SALU_CYCLE_1)
	s_xor_b32 s48, exec_lo, s48
	s_cbranch_execz .LBB159_812
; %bb.444:
	v_bfe_u32 v5, v4, 21, 1
	s_mov_b32 s47, exec_lo
	s_delay_alu instid0(VALU_DEP_1) | instskip(NEXT) | instid1(VALU_DEP_1)
	v_add3_u32 v5, v4, v5, 0x88fffff
	v_lshrrev_b32_e32 v5, 21, v5
	s_and_not1_saveexec_b32 s48, s48
	s_cbranch_execnz .LBB159_813
.LBB159_445:
	s_or_b32 exec_lo, exec_lo, s48
	v_mov_b32_e32 v6, 0
	s_and_saveexec_b32 s48, s47
.LBB159_446:
	v_lshrrev_b32_e32 v4, 24, v4
	s_delay_alu instid0(VALU_DEP_1)
	v_and_or_b32 v6, 0x80, v4, v5
.LBB159_447:
	s_or_b32 exec_lo, exec_lo, s48
.LBB159_448:
	s_delay_alu instid0(SALU_CYCLE_1)
	s_or_b32 exec_lo, exec_lo, s46
	s_mov_b32 s46, 0
	global_store_b8 v[2:3], v6, off
.LBB159_449:
	s_and_b32 vcc_lo, exec_lo, s46
	s_cbranch_vccz .LBB159_459
; %bb.450:
	s_wait_xcnt 0x0
	v_cvt_f32_f16_e32 v4, v1
	s_mov_b32 s46, exec_lo
                                        ; implicit-def: $vgpr5
	s_delay_alu instid0(VALU_DEP_1) | instskip(NEXT) | instid1(VALU_DEP_1)
	v_and_b32_e32 v6, 0x7fffffff, v4
	v_cmpx_gt_u32_e32 0x43f00000, v6
	s_xor_b32 s46, exec_lo, s46
	s_cbranch_execz .LBB159_456
; %bb.451:
	s_mov_b32 s47, exec_lo
                                        ; implicit-def: $vgpr5
	v_cmpx_lt_u32_e32 0x3c7fffff, v6
	s_xor_b32 s47, exec_lo, s47
; %bb.452:
	v_bfe_u32 v5, v4, 20, 1
	s_delay_alu instid0(VALU_DEP_1) | instskip(NEXT) | instid1(VALU_DEP_1)
	v_add3_u32 v5, v4, v5, 0x407ffff
	v_and_b32_e32 v6, 0xff00000, v5
	v_lshrrev_b32_e32 v5, 20, v5
	s_delay_alu instid0(VALU_DEP_2) | instskip(NEXT) | instid1(VALU_DEP_2)
	v_cmp_ne_u32_e32 vcc_lo, 0x7f00000, v6
	v_cndmask_b32_e32 v5, 0x7e, v5, vcc_lo
; %bb.453:
	s_and_not1_saveexec_b32 s47, s47
; %bb.454:
	v_add_f32_e64 v5, 0x46800000, |v4|
; %bb.455:
	s_or_b32 exec_lo, exec_lo, s47
                                        ; implicit-def: $vgpr6
.LBB159_456:
	s_and_not1_saveexec_b32 s46, s46
; %bb.457:
	v_mov_b32_e32 v5, 0x7f
	v_cmp_lt_u32_e32 vcc_lo, 0x7f800000, v6
	s_delay_alu instid0(VALU_DEP_2)
	v_cndmask_b32_e32 v5, 0x7e, v5, vcc_lo
; %bb.458:
	s_or_b32 exec_lo, exec_lo, s46
	v_lshrrev_b32_e32 v4, 24, v4
	s_delay_alu instid0(VALU_DEP_1)
	v_and_or_b32 v4, 0x80, v4, v5
	global_store_b8 v[2:3], v4, off
.LBB159_459:
	s_mov_b32 s46, 0
.LBB159_460:
	s_delay_alu instid0(SALU_CYCLE_1)
	s_and_not1_b32 vcc_lo, exec_lo, s46
	s_cbranch_vccnz .LBB159_470
; %bb.461:
	s_wait_xcnt 0x0
	v_cvt_f32_f16_e32 v4, v1
	s_mov_b32 s46, exec_lo
                                        ; implicit-def: $vgpr5
	s_delay_alu instid0(VALU_DEP_1) | instskip(NEXT) | instid1(VALU_DEP_1)
	v_and_b32_e32 v6, 0x7fffffff, v4
	v_cmpx_gt_u32_e32 0x47800000, v6
	s_xor_b32 s46, exec_lo, s46
	s_cbranch_execz .LBB159_467
; %bb.462:
	s_mov_b32 s47, exec_lo
                                        ; implicit-def: $vgpr5
	v_cmpx_lt_u32_e32 0x387fffff, v6
	s_xor_b32 s47, exec_lo, s47
; %bb.463:
	v_bfe_u32 v5, v4, 21, 1
	s_delay_alu instid0(VALU_DEP_1) | instskip(NEXT) | instid1(VALU_DEP_1)
	v_add3_u32 v5, v4, v5, 0x80fffff
	v_lshrrev_b32_e32 v5, 21, v5
; %bb.464:
	s_and_not1_saveexec_b32 s47, s47
; %bb.465:
	v_add_f32_e64 v5, 0x43000000, |v4|
; %bb.466:
	s_or_b32 exec_lo, exec_lo, s47
                                        ; implicit-def: $vgpr6
.LBB159_467:
	s_and_not1_saveexec_b32 s46, s46
; %bb.468:
	v_mov_b32_e32 v5, 0x7f
	v_cmp_lt_u32_e32 vcc_lo, 0x7f800000, v6
	s_delay_alu instid0(VALU_DEP_2)
	v_cndmask_b32_e32 v5, 0x7c, v5, vcc_lo
; %bb.469:
	s_or_b32 exec_lo, exec_lo, s46
	v_lshrrev_b32_e32 v4, 24, v4
	s_delay_alu instid0(VALU_DEP_1)
	v_and_or_b32 v4, 0x80, v4, v5
	global_store_b8 v[2:3], v4, off
.LBB159_470:
	s_mov_b32 s47, 0
	s_mov_b32 s46, -1
.LBB159_471:
	s_and_not1_b32 vcc_lo, exec_lo, s47
	s_cbranch_vccnz .LBB159_479
; %bb.472:
	s_cmp_gt_i32 s43, 14
	s_mov_b32 s47, -1
	s_cbranch_scc0 .LBB159_476
; %bb.473:
	s_cmp_eq_u32 s43, 15
	s_mov_b32 s0, -1
	s_cbranch_scc0 .LBB159_475
; %bb.474:
	s_wait_xcnt 0x0
	v_cvt_f32_f16_e32 v4, v1
	v_cmp_o_f16_e32 vcc_lo, v1, v1
	s_mov_b32 s46, -1
	s_mov_b32 s0, 0
	s_delay_alu instid0(VALU_DEP_2) | instskip(NEXT) | instid1(VALU_DEP_1)
	v_bfe_u32 v5, v4, 16, 1
	v_add3_u32 v4, v4, v5, 0x7fff
	s_delay_alu instid0(VALU_DEP_1) | instskip(NEXT) | instid1(VALU_DEP_1)
	v_lshrrev_b32_e32 v4, 16, v4
	v_cndmask_b32_e32 v4, 0x7fc0, v4, vcc_lo
	global_store_b16 v[2:3], v4, off
.LBB159_475:
	s_mov_b32 s47, 0
.LBB159_476:
	s_delay_alu instid0(SALU_CYCLE_1)
	s_and_b32 vcc_lo, exec_lo, s47
	s_cbranch_vccz .LBB159_479
; %bb.477:
	s_cmp_eq_u32 s43, 11
	s_mov_b32 s0, -1
	s_cbranch_scc0 .LBB159_479
; %bb.478:
	s_wait_xcnt 0x0
	v_and_b32_e32 v4, 0x7fff, v1
	s_mov_b32 s0, 0
	s_mov_b32 s46, -1
	s_delay_alu instid0(VALU_DEP_1)
	v_cmp_ne_u16_e32 vcc_lo, 0, v4
	v_cndmask_b32_e64 v4, 0, 1, vcc_lo
	global_store_b8 v[2:3], v4, off
.LBB159_479:
	s_mov_b32 s43, 0
.LBB159_480:
	s_delay_alu instid0(SALU_CYCLE_1)
	s_and_b32 vcc_lo, exec_lo, s43
	s_cbranch_vccz .LBB159_519
; %bb.481:
	s_and_b32 s31, 0xffff, s31
	s_mov_b32 s43, -1
	s_cmp_lt_i32 s31, 5
	s_cbranch_scc1 .LBB159_502
; %bb.482:
	s_cmp_lt_i32 s31, 8
	s_cbranch_scc1 .LBB159_492
; %bb.483:
	;; [unrolled: 3-line block ×3, first 2 shown]
	s_cmp_gt_i32 s31, 9
	s_cbranch_scc0 .LBB159_486
; %bb.485:
	s_wait_xcnt 0x0
	v_cvt_f32_f16_e32 v4, v1
	v_mov_b32_e32 v6, 0
	s_mov_b32 s43, 0
	s_delay_alu instid0(VALU_DEP_2) | instskip(NEXT) | instid1(VALU_DEP_2)
	v_cvt_f64_f32_e32 v[4:5], v4
	v_mov_b32_e32 v7, v6
	global_store_b128 v[2:3], v[4:7], off
.LBB159_486:
	s_and_not1_b32 vcc_lo, exec_lo, s43
	s_cbranch_vccnz .LBB159_488
; %bb.487:
	s_wait_xcnt 0x0
	v_cvt_f32_f16_e32 v4, v1
	v_mov_b32_e32 v5, 0
	global_store_b64 v[2:3], v[4:5], off
.LBB159_488:
	s_mov_b32 s43, 0
.LBB159_489:
	s_delay_alu instid0(SALU_CYCLE_1)
	s_and_not1_b32 vcc_lo, exec_lo, s43
	s_cbranch_vccnz .LBB159_491
; %bb.490:
	s_wait_xcnt 0x0
	v_and_b32_e32 v4, 0xffff, v1
	global_store_b32 v[2:3], v4, off
.LBB159_491:
	s_mov_b32 s43, 0
.LBB159_492:
	s_delay_alu instid0(SALU_CYCLE_1)
	s_and_not1_b32 vcc_lo, exec_lo, s43
	s_cbranch_vccnz .LBB159_501
; %bb.493:
	s_cmp_lt_i32 s31, 6
	s_mov_b32 s43, -1
	s_cbranch_scc1 .LBB159_499
; %bb.494:
	s_cmp_gt_i32 s31, 6
	s_cbranch_scc0 .LBB159_496
; %bb.495:
	s_wait_xcnt 0x0
	v_cvt_f32_f16_e32 v4, v1
	s_mov_b32 s43, 0
	s_delay_alu instid0(VALU_DEP_1)
	v_cvt_f64_f32_e32 v[4:5], v4
	global_store_b64 v[2:3], v[4:5], off
.LBB159_496:
	s_and_not1_b32 vcc_lo, exec_lo, s43
	s_cbranch_vccnz .LBB159_498
; %bb.497:
	s_wait_xcnt 0x0
	v_cvt_f32_f16_e32 v4, v1
	global_store_b32 v[2:3], v4, off
.LBB159_498:
	s_mov_b32 s43, 0
.LBB159_499:
	s_delay_alu instid0(SALU_CYCLE_1)
	s_and_not1_b32 vcc_lo, exec_lo, s43
	s_cbranch_vccnz .LBB159_501
; %bb.500:
	global_store_b16 v[2:3], v1, off
.LBB159_501:
	s_mov_b32 s43, 0
.LBB159_502:
	s_delay_alu instid0(SALU_CYCLE_1)
	s_and_not1_b32 vcc_lo, exec_lo, s43
	s_cbranch_vccnz .LBB159_518
; %bb.503:
	s_cmp_lt_i32 s31, 2
	s_mov_b32 s43, -1
	s_cbranch_scc1 .LBB159_513
; %bb.504:
	s_cmp_lt_i32 s31, 3
	s_cbranch_scc1 .LBB159_510
; %bb.505:
	s_cmp_gt_i32 s31, 3
	s_cbranch_scc0 .LBB159_507
; %bb.506:
	s_wait_xcnt 0x0
	v_cvt_f32_f16_e32 v4, v1
	s_mov_b32 s43, 0
	s_delay_alu instid0(VALU_DEP_1) | instskip(NEXT) | instid1(VALU_DEP_1)
	v_cvt_i32_f32_e32 v4, v4
	v_ashrrev_i32_e32 v5, 31, v4
	global_store_b64 v[2:3], v[4:5], off
.LBB159_507:
	s_and_not1_b32 vcc_lo, exec_lo, s43
	s_cbranch_vccnz .LBB159_509
; %bb.508:
	s_wait_xcnt 0x0
	v_cvt_f32_f16_e32 v4, v1
	s_delay_alu instid0(VALU_DEP_1)
	v_cvt_i32_f32_e32 v4, v4
	global_store_b32 v[2:3], v4, off
.LBB159_509:
	s_mov_b32 s43, 0
.LBB159_510:
	s_delay_alu instid0(SALU_CYCLE_1)
	s_and_not1_b32 vcc_lo, exec_lo, s43
	s_cbranch_vccnz .LBB159_512
; %bb.511:
	s_wait_xcnt 0x0
	v_cvt_i16_f16_e32 v4, v1
	global_store_b16 v[2:3], v4, off
.LBB159_512:
	s_mov_b32 s43, 0
.LBB159_513:
	s_delay_alu instid0(SALU_CYCLE_1)
	s_and_not1_b32 vcc_lo, exec_lo, s43
	s_cbranch_vccnz .LBB159_518
; %bb.514:
	s_cmp_gt_i32 s31, 0
	s_mov_b32 s31, -1
	s_cbranch_scc0 .LBB159_516
; %bb.515:
	s_wait_xcnt 0x0
	v_cvt_i16_f16_e32 v4, v1
	s_mov_b32 s31, 0
	global_store_b8 v[2:3], v4, off
.LBB159_516:
	s_and_not1_b32 vcc_lo, exec_lo, s31
	s_cbranch_vccnz .LBB159_518
; %bb.517:
	s_wait_xcnt 0x0
	v_cvt_f32_f16_e32 v1, v1
	s_delay_alu instid0(VALU_DEP_1)
	v_cvt_i32_f32_e32 v1, v1
	global_store_b8 v[2:3], v1, off
.LBB159_518:
	s_mov_b32 s46, -1
.LBB159_519:
	s_delay_alu instid0(SALU_CYCLE_1)
	s_and_not1_b32 vcc_lo, exec_lo, s46
	s_cbranch_vccnz .LBB159_521
; %bb.520:
	v_add_nc_u32_e32 v0, 0x80, v0
	s_mov_b32 s31, -1
	s_branch .LBB159_522
.LBB159_521:
	s_mov_b32 s31, 0
                                        ; implicit-def: $vgpr0
.LBB159_522:
	s_and_b32 s43, s0, exec_lo
	s_and_b32 s46, s30, exec_lo
	;; [unrolled: 1-line block ×4, first 2 shown]
	s_or_not1_b32 s29, s31, exec_lo
.LBB159_523:
	s_wait_xcnt 0x0
	s_or_b32 exec_lo, exec_lo, s49
	s_mov_b32 s30, 0
	s_mov_b32 s28, 0
                                        ; implicit-def: $sgpr0
                                        ; implicit-def: $vgpr8_vgpr9
                                        ; implicit-def: $vgpr2
                                        ; implicit-def: $vgpr4
                                        ; implicit-def: $vgpr6
                                        ; implicit-def: $vgpr10
	s_and_saveexec_b32 s49, s29
	s_cbranch_execz .LBB159_531
; %bb.524:
	s_mov_b32 s31, -1
	s_mov_b32 s50, s48
	s_mov_b32 s53, s47
	;; [unrolled: 1-line block ×4, first 2 shown]
	s_mov_b32 s54, exec_lo
	v_cmpx_gt_i32_e64 s44, v0
	s_cbranch_execz .LBB159_1057
; %bb.525:
	s_and_not1_b32 vcc_lo, exec_lo, s36
	s_cbranch_vccnz .LBB159_534
; %bb.526:
	s_and_not1_b32 vcc_lo, exec_lo, s45
	s_cbranch_vccnz .LBB159_535
; %bb.527:
	s_wait_loadcnt 0x0
	v_dual_mov_b32 v6, 0 :: v_dual_mov_b32 v1, v0
	v_dual_mov_b32 v4, 0 :: v_dual_mov_b32 v2, 0
	v_mov_b32_e32 v8, 0
	s_add_co_i32 s0, s42, 1
	s_mov_b64 s[28:29], 0xffffffffffffffe0
	s_and_b32 s0, s0, 30
	s_add_nc_u64 s[28:29], s[2:3], s[28:29]
	s_mov_b64 s[30:31], s[2:3]
.LBB159_528:                            ; =>This Inner Loop Header: Depth=1
	s_clause 0x1
	s_load_b128 s[64:67], s[30:31], 0x4
	s_load_b64 s[50:51], s[30:31], 0x14
	s_load_b256 s[56:63], s[28:29], 0xe4
	s_add_co_i32 s0, s0, -2
	s_wait_xcnt 0x0
	s_add_nc_u64 s[30:31], s[30:31], 24
	s_cmp_eq_u32 s0, 0
	s_add_nc_u64 s[28:29], s[28:29], 32
	s_wait_kmcnt 0x0
	v_mul_hi_u32 v3, s65, v1
	s_delay_alu instid0(VALU_DEP_1) | instskip(NEXT) | instid1(VALU_DEP_1)
	v_add_nc_u32_e32 v3, v1, v3
	v_lshrrev_b32_e32 v3, s66, v3
	s_delay_alu instid0(VALU_DEP_1) | instskip(SKIP_1) | instid1(VALU_DEP_1)
	v_mul_hi_u32 v5, s50, v3
	v_mul_lo_u32 v7, v3, s64
	v_dual_add_nc_u32 v5, v3, v5 :: v_dual_sub_nc_u32 v7, v1, v7
	s_delay_alu instid0(VALU_DEP_1) | instskip(NEXT) | instid1(VALU_DEP_2)
	v_lshrrev_b32_e32 v1, s51, v5
	v_mad_u32 v8, v7, s57, v8
	v_mad_u32 v2, v7, s56, v2
	;; [unrolled: 1-line block ×4, first 2 shown]
	v_mul_lo_u32 v5, v1, s67
	s_delay_alu instid0(VALU_DEP_1) | instskip(NEXT) | instid1(VALU_DEP_1)
	v_sub_nc_u32_e32 v3, v3, v5
	v_mad_u32 v8, v3, s61, v8
	v_mad_u32 v2, v3, s60, v2
	;; [unrolled: 1-line block ×4, first 2 shown]
	s_cbranch_scc0 .LBB159_528
; %bb.529:
	s_bitcmp1_b32 s42, 0
	s_cselect_b32 s0, -1, 0
	s_delay_alu instid0(SALU_CYCLE_1)
	s_and_b32 vcc_lo, exec_lo, s0
	s_cbranch_vccnz .LBB159_536
; %bb.530:
	s_load_b96 s[60:62], s[30:31], 0x4
	s_load_b128 s[56:59], s[28:29], 0xe4
	s_wait_kmcnt 0x0
	v_mul_hi_u32 v3, s61, v1
	s_delay_alu instid0(VALU_DEP_1) | instskip(NEXT) | instid1(VALU_DEP_1)
	v_add_nc_u32_e32 v3, v1, v3
	v_lshrrev_b32_e32 v3, s62, v3
	s_delay_alu instid0(VALU_DEP_1) | instskip(NEXT) | instid1(VALU_DEP_1)
	v_mul_lo_u32 v3, v3, s60
	v_sub_nc_u32_e32 v1, v1, v3
	s_delay_alu instid0(VALU_DEP_1)
	v_mad_u32 v2, v1, s56, v2
	v_mad_u32 v8, v1, s57, v8
	;; [unrolled: 1-line block ×4, first 2 shown]
	s_branch .LBB159_536
.LBB159_531:
	s_or_b32 exec_lo, exec_lo, s49
	s_mov_b32 s1, 0
	s_and_saveexec_b32 s6, s48
	s_cbranch_execnz .LBB159_1685
.LBB159_532:
	s_or_b32 exec_lo, exec_lo, s6
	s_and_saveexec_b32 s6, s25
	s_delay_alu instid0(SALU_CYCLE_1)
	s_xor_b32 s6, exec_lo, s6
	s_cbranch_execz .LBB159_1686
.LBB159_533:
	s_wait_loadcnt 0x0
	global_load_u8 v0, v[8:9], off
	s_or_b32 s28, s28, exec_lo
	s_wait_loadcnt 0x0
	v_cmp_ne_u16_e32 vcc_lo, 0, v0
	v_cndmask_b32_e64 v10, 0, 0x3c00, vcc_lo
	s_wait_xcnt 0x0
	s_or_b32 exec_lo, exec_lo, s6
	s_and_saveexec_b32 s6, s30
	s_cbranch_execz .LBB159_1732
	s_branch .LBB159_1687
.LBB159_534:
                                        ; implicit-def: $vgpr8
                                        ; implicit-def: $vgpr2
                                        ; implicit-def: $vgpr4
                                        ; implicit-def: $vgpr6
	s_branch .LBB159_537
.LBB159_535:
	s_wait_loadcnt 0x0
	v_dual_mov_b32 v8, 0 :: v_dual_mov_b32 v2, 0
	v_dual_mov_b32 v4, 0 :: v_dual_mov_b32 v6, 0
.LBB159_536:
	s_cbranch_execnz .LBB159_539
.LBB159_537:
	s_wait_loadcnt 0x0
	v_mov_b32_e32 v1, 0
	s_and_not1_b32 vcc_lo, exec_lo, s41
	s_delay_alu instid0(VALU_DEP_1) | instskip(NEXT) | instid1(VALU_DEP_1)
	v_mul_u64_e32 v[2:3], s[24:25], v[0:1]
	v_add_nc_u32_e32 v2, v0, v3
	s_delay_alu instid0(VALU_DEP_1) | instskip(NEXT) | instid1(VALU_DEP_1)
	v_lshrrev_b32_e32 v10, s22, v2
	v_mul_lo_u32 v2, v10, s20
	s_delay_alu instid0(VALU_DEP_1) | instskip(NEXT) | instid1(VALU_DEP_1)
	v_sub_nc_u32_e32 v3, v0, v2
	v_mul_lo_u32 v8, v3, s13
	v_mul_lo_u32 v2, v3, s12
	;; [unrolled: 1-line block ×4, first 2 shown]
	s_cbranch_vccnz .LBB159_539
; %bb.538:
	v_mov_b32_e32 v11, v1
	s_delay_alu instid0(VALU_DEP_1) | instskip(NEXT) | instid1(VALU_DEP_1)
	v_mul_u64_e32 v[12:13], s[26:27], v[10:11]
	v_add_nc_u32_e32 v1, v10, v13
	s_delay_alu instid0(VALU_DEP_1) | instskip(NEXT) | instid1(VALU_DEP_1)
	v_lshrrev_b32_e32 v1, s1, v1
	v_mul_lo_u32 v1, v1, s23
	s_delay_alu instid0(VALU_DEP_1) | instskip(NEXT) | instid1(VALU_DEP_1)
	v_sub_nc_u32_e32 v1, v10, v1
	v_mad_u32 v2, v1, s16, v2
	v_mad_u32 v8, v1, s17, v8
	;; [unrolled: 1-line block ×4, first 2 shown]
.LBB159_539:
	v_mov_b32_e32 v9, 0
	s_and_b32 s0, s40, 0xff
	s_delay_alu instid0(SALU_CYCLE_1) | instskip(SKIP_1) | instid1(VALU_DEP_1)
	s_cmp_lt_i32 s0, 11
	s_wait_loadcnt 0x0
	v_add_nc_u64_e32 v[8:9], s[6:7], v[8:9]
	s_cbranch_scc1 .LBB159_546
; %bb.540:
	s_and_b32 s29, 0xffff, s0
	s_delay_alu instid0(SALU_CYCLE_1)
	s_cmp_gt_i32 s29, 25
	s_cbranch_scc0 .LBB159_555
; %bb.541:
	s_cmp_gt_i32 s29, 28
	s_cbranch_scc0 .LBB159_557
; %bb.542:
	;; [unrolled: 3-line block ×4, first 2 shown]
	s_cmp_eq_u32 s29, 46
	s_mov_b32 s31, 0
	s_cbranch_scc0 .LBB159_563
; %bb.545:
	global_load_b32 v1, v[8:9], off
	s_mov_b32 s30, -1
	s_mov_b32 s28, 0
	s_wait_loadcnt 0x0
	v_lshlrev_b32_e32 v1, 16, v1
	s_delay_alu instid0(VALU_DEP_1)
	v_cvt_f16_f32_e32 v1, v1
	s_branch .LBB159_565
.LBB159_546:
	s_mov_b32 s30, 0
	s_mov_b32 s28, s48
                                        ; implicit-def: $vgpr1
	s_cbranch_execnz .LBB159_631
.LBB159_547:
	s_and_not1_b32 vcc_lo, exec_lo, s30
	s_cbranch_vccnz .LBB159_679
.LBB159_548:
	v_mov_b32_e32 v7, 0
	s_and_b32 s0, s39, 0xff
	s_delay_alu instid0(SALU_CYCLE_1) | instskip(NEXT) | instid1(VALU_DEP_1)
	s_cmp_lt_i32 s0, 11
	v_add_nc_u64_e32 v[6:7], s[8:9], v[6:7]
	s_cbranch_scc1 .LBB159_556
; %bb.549:
	s_and_b32 s30, 0xffff, s0
	s_delay_alu instid0(SALU_CYCLE_1)
	s_cmp_gt_i32 s30, 25
	s_cbranch_scc0 .LBB159_558
; %bb.550:
	s_cmp_gt_i32 s30, 28
	s_cbranch_scc0 .LBB159_560
; %bb.551:
	;; [unrolled: 3-line block ×4, first 2 shown]
	s_cmp_eq_u32 s30, 46
	s_mov_b32 s50, 0
	s_cbranch_scc0 .LBB159_682
; %bb.554:
	global_load_b32 v3, v[6:7], off
	s_mov_b32 s31, -1
	s_mov_b32 s29, 0
	s_wait_loadcnt 0x0
	v_lshlrev_b32_e32 v3, 16, v3
	s_wait_xcnt 0x1
	s_delay_alu instid0(VALU_DEP_1)
	v_cvt_f16_f32_e32 v8, v3
	s_branch .LBB159_684
.LBB159_555:
	s_mov_b32 s31, -1
	s_mov_b32 s30, 0
	s_mov_b32 s28, s48
                                        ; implicit-def: $vgpr1
	s_branch .LBB159_595
.LBB159_556:
	s_mov_b32 s30, -1
	s_mov_b32 s31, 0
	s_mov_b32 s29, s47
                                        ; implicit-def: $vgpr8
	s_branch .LBB159_749
.LBB159_557:
	s_mov_b32 s31, -1
	s_mov_b32 s30, 0
	s_mov_b32 s28, s48
                                        ; implicit-def: $vgpr1
	s_branch .LBB159_576
.LBB159_558:
	s_mov_b32 s50, -1
	s_mov_b32 s31, 0
	s_mov_b32 s29, s47
                                        ; implicit-def: $vgpr8
	s_branch .LBB159_713
.LBB159_559:
	s_mov_b32 s31, -1
	s_mov_b32 s30, 0
	s_mov_b32 s28, s48
                                        ; implicit-def: $vgpr1
	s_branch .LBB159_571
.LBB159_560:
	s_mov_b32 s50, -1
	s_mov_b32 s31, 0
	s_mov_b32 s29, s47
                                        ; implicit-def: $vgpr8
	s_branch .LBB159_694
.LBB159_561:
	s_mov_b32 s31, -1
	s_mov_b32 s30, 0
	s_mov_b32 s28, s48
	s_branch .LBB159_564
.LBB159_562:
	s_mov_b32 s50, -1
	s_mov_b32 s31, 0
	s_mov_b32 s29, s47
                                        ; implicit-def: $vgpr8
	s_branch .LBB159_689
.LBB159_563:
	s_mov_b32 s28, -1
	s_mov_b32 s30, 0
.LBB159_564:
                                        ; implicit-def: $vgpr1
.LBB159_565:
	s_and_b32 vcc_lo, exec_lo, s31
	s_cbranch_vccz .LBB159_570
; %bb.566:
	s_cmp_eq_u32 s29, 44
	s_cbranch_scc0 .LBB159_569
; %bb.567:
	global_load_u8 v1, v[8:9], off
	s_mov_b32 s28, 0
	s_mov_b32 s30, -1
	s_wait_loadcnt 0x0
	v_lshlrev_b32_e32 v3, 23, v1
	v_cmp_ne_u32_e32 vcc_lo, 0xff, v1
	s_delay_alu instid0(VALU_DEP_2) | instskip(NEXT) | instid1(VALU_DEP_1)
	v_cvt_f16_f32_e32 v3, v3
	v_cndmask_b32_e32 v3, 0x7e00, v3, vcc_lo
	v_cmp_ne_u32_e32 vcc_lo, 0, v1
	s_delay_alu instid0(VALU_DEP_2)
	v_cndmask_b32_e32 v1, 0, v3, vcc_lo
	s_branch .LBB159_570
.LBB159_568:
	s_mov_b32 s50, -1
	s_mov_b32 s31, 0
	s_mov_b32 s29, s47
	s_branch .LBB159_683
.LBB159_569:
	s_mov_b32 s28, -1
                                        ; implicit-def: $vgpr1
.LBB159_570:
	s_mov_b32 s31, 0
.LBB159_571:
	s_delay_alu instid0(SALU_CYCLE_1)
	s_and_b32 vcc_lo, exec_lo, s31
	s_cbranch_vccz .LBB159_575
; %bb.572:
	s_cmp_eq_u32 s29, 29
	s_cbranch_scc0 .LBB159_574
; %bb.573:
	global_load_b64 v[10:11], v[8:9], off
	s_mov_b32 s30, -1
	s_mov_b32 s28, 0
	s_mov_b32 s31, 0
	s_wait_loadcnt 0x0
	v_clz_i32_u32_e32 v1, v11
	s_delay_alu instid0(VALU_DEP_1) | instskip(NEXT) | instid1(VALU_DEP_1)
	v_min_u32_e32 v1, 32, v1
	v_lshlrev_b64_e32 v[10:11], v1, v[10:11]
	v_sub_nc_u32_e32 v1, 32, v1
	s_delay_alu instid0(VALU_DEP_2) | instskip(NEXT) | instid1(VALU_DEP_1)
	v_min_u32_e32 v3, 1, v10
	v_or_b32_e32 v3, v11, v3
	s_delay_alu instid0(VALU_DEP_1) | instskip(NEXT) | instid1(VALU_DEP_1)
	v_cvt_f32_u32_e32 v3, v3
	v_ldexp_f32 v1, v3, v1
	s_delay_alu instid0(VALU_DEP_1)
	v_cvt_f16_f32_e32 v1, v1
	s_branch .LBB159_576
.LBB159_574:
	s_mov_b32 s28, -1
                                        ; implicit-def: $vgpr1
.LBB159_575:
	s_mov_b32 s31, 0
.LBB159_576:
	s_delay_alu instid0(SALU_CYCLE_1)
	s_and_b32 vcc_lo, exec_lo, s31
	s_cbranch_vccz .LBB159_594
; %bb.577:
	s_cmp_lt_i32 s29, 27
	s_cbranch_scc1 .LBB159_580
; %bb.578:
	s_cmp_gt_i32 s29, 27
	s_cbranch_scc0 .LBB159_581
; %bb.579:
	global_load_b32 v1, v[8:9], off
	s_mov_b32 s30, 0
	s_wait_loadcnt 0x0
	v_cvt_f32_u32_e32 v1, v1
	s_delay_alu instid0(VALU_DEP_1)
	v_cvt_f16_f32_e32 v1, v1
	s_branch .LBB159_582
.LBB159_580:
	s_mov_b32 s30, -1
                                        ; implicit-def: $vgpr1
	s_branch .LBB159_585
.LBB159_581:
	s_mov_b32 s30, -1
                                        ; implicit-def: $vgpr1
.LBB159_582:
	s_delay_alu instid0(SALU_CYCLE_1)
	s_and_not1_b32 vcc_lo, exec_lo, s30
	s_cbranch_vccnz .LBB159_584
; %bb.583:
	global_load_u16 v1, v[8:9], off
	s_wait_loadcnt 0x0
	v_cvt_f16_u16_e32 v1, v1
.LBB159_584:
	s_mov_b32 s30, 0
.LBB159_585:
	s_delay_alu instid0(SALU_CYCLE_1)
	s_and_not1_b32 vcc_lo, exec_lo, s30
	s_cbranch_vccnz .LBB159_593
; %bb.586:
	global_load_u8 v3, v[8:9], off
	s_mov_b32 s30, 0
	s_mov_b32 s31, exec_lo
	s_wait_loadcnt 0x0
	v_cmpx_lt_i16_e32 0x7f, v3
	s_xor_b32 s31, exec_lo, s31
	s_cbranch_execz .LBB159_607
; %bb.587:
	s_mov_b32 s30, -1
	s_mov_b32 s50, exec_lo
	v_cmpx_eq_u16_e32 0x80, v3
; %bb.588:
	s_xor_b32 s30, exec_lo, -1
; %bb.589:
	s_or_b32 exec_lo, exec_lo, s50
	s_delay_alu instid0(SALU_CYCLE_1)
	s_and_b32 s30, s30, exec_lo
	s_or_saveexec_b32 s31, s31
	v_mov_b32_e32 v1, 0x7e00
	s_xor_b32 exec_lo, exec_lo, s31
	s_cbranch_execnz .LBB159_608
.LBB159_590:
	s_or_b32 exec_lo, exec_lo, s31
	s_and_saveexec_b32 s31, s30
	s_cbranch_execz .LBB159_592
.LBB159_591:
	v_and_b32_e32 v1, 0xffff, v3
	s_delay_alu instid0(VALU_DEP_1) | instskip(SKIP_1) | instid1(VALU_DEP_2)
	v_and_b32_e32 v5, 7, v1
	v_bfe_u32 v11, v1, 3, 4
	v_clz_i32_u32_e32 v7, v5
	s_delay_alu instid0(VALU_DEP_2) | instskip(NEXT) | instid1(VALU_DEP_2)
	v_cmp_eq_u32_e32 vcc_lo, 0, v11
	v_min_u32_e32 v7, 32, v7
	s_delay_alu instid0(VALU_DEP_1) | instskip(NEXT) | instid1(VALU_DEP_1)
	v_subrev_nc_u32_e32 v10, 28, v7
	v_dual_lshlrev_b32 v1, v10, v1 :: v_dual_sub_nc_u32 v7, 29, v7
	s_delay_alu instid0(VALU_DEP_1) | instskip(NEXT) | instid1(VALU_DEP_1)
	v_dual_lshlrev_b32 v3, 24, v3 :: v_dual_bitop2_b32 v1, 7, v1 bitop3:0x40
	v_dual_cndmask_b32 v1, v5, v1, vcc_lo :: v_dual_cndmask_b32 v7, v11, v7, vcc_lo
	s_delay_alu instid0(VALU_DEP_2) | instskip(NEXT) | instid1(VALU_DEP_2)
	v_and_b32_e32 v3, 0x80000000, v3
	v_lshlrev_b32_e32 v1, 20, v1
	s_delay_alu instid0(VALU_DEP_3) | instskip(NEXT) | instid1(VALU_DEP_1)
	v_lshl_add_u32 v5, v7, 23, 0x3b800000
	v_or3_b32 v1, v3, v5, v1
	s_delay_alu instid0(VALU_DEP_1)
	v_cvt_f16_f32_e32 v1, v1
.LBB159_592:
	s_or_b32 exec_lo, exec_lo, s31
.LBB159_593:
	s_mov_b32 s30, -1
.LBB159_594:
	s_mov_b32 s31, 0
.LBB159_595:
	s_delay_alu instid0(SALU_CYCLE_1)
	s_and_b32 vcc_lo, exec_lo, s31
	s_cbranch_vccz .LBB159_630
; %bb.596:
	s_cmp_gt_i32 s29, 22
	s_cbranch_scc0 .LBB159_606
; %bb.597:
	s_cmp_lt_i32 s29, 24
	s_cbranch_scc1 .LBB159_609
; %bb.598:
	s_cmp_gt_i32 s29, 24
	s_cbranch_scc0 .LBB159_610
; %bb.599:
	global_load_u8 v3, v[8:9], off
	s_mov_b32 s30, 0
	s_mov_b32 s31, exec_lo
	s_wait_loadcnt 0x0
	v_cmpx_lt_i16_e32 0x7f, v3
	s_xor_b32 s31, exec_lo, s31
	s_cbranch_execz .LBB159_622
; %bb.600:
	s_mov_b32 s30, -1
	s_mov_b32 s50, exec_lo
	v_cmpx_eq_u16_e32 0x80, v3
; %bb.601:
	s_xor_b32 s30, exec_lo, -1
; %bb.602:
	s_or_b32 exec_lo, exec_lo, s50
	s_delay_alu instid0(SALU_CYCLE_1)
	s_and_b32 s30, s30, exec_lo
	s_or_saveexec_b32 s31, s31
	v_mov_b32_e32 v1, 0x7e00
	s_xor_b32 exec_lo, exec_lo, s31
	s_cbranch_execnz .LBB159_623
.LBB159_603:
	s_or_b32 exec_lo, exec_lo, s31
	s_and_saveexec_b32 s31, s30
	s_cbranch_execz .LBB159_605
.LBB159_604:
	v_and_b32_e32 v1, 0xffff, v3
	s_delay_alu instid0(VALU_DEP_1) | instskip(SKIP_1) | instid1(VALU_DEP_2)
	v_and_b32_e32 v5, 3, v1
	v_bfe_u32 v11, v1, 2, 5
	v_clz_i32_u32_e32 v7, v5
	s_delay_alu instid0(VALU_DEP_2) | instskip(NEXT) | instid1(VALU_DEP_2)
	v_cmp_eq_u32_e32 vcc_lo, 0, v11
	v_min_u32_e32 v7, 32, v7
	s_delay_alu instid0(VALU_DEP_1) | instskip(NEXT) | instid1(VALU_DEP_1)
	v_subrev_nc_u32_e32 v10, 29, v7
	v_dual_lshlrev_b32 v1, v10, v1 :: v_dual_sub_nc_u32 v7, 30, v7
	s_delay_alu instid0(VALU_DEP_1) | instskip(NEXT) | instid1(VALU_DEP_1)
	v_dual_lshlrev_b32 v3, 24, v3 :: v_dual_bitop2_b32 v1, 3, v1 bitop3:0x40
	v_dual_cndmask_b32 v1, v5, v1, vcc_lo :: v_dual_cndmask_b32 v7, v11, v7, vcc_lo
	s_delay_alu instid0(VALU_DEP_2) | instskip(NEXT) | instid1(VALU_DEP_2)
	v_and_b32_e32 v3, 0x80000000, v3
	v_lshlrev_b32_e32 v1, 21, v1
	s_delay_alu instid0(VALU_DEP_3) | instskip(NEXT) | instid1(VALU_DEP_1)
	v_lshl_add_u32 v5, v7, 23, 0x37800000
	v_or3_b32 v1, v3, v5, v1
	s_delay_alu instid0(VALU_DEP_1)
	v_cvt_f16_f32_e32 v1, v1
.LBB159_605:
	s_or_b32 exec_lo, exec_lo, s31
	s_mov_b32 s30, 0
	s_branch .LBB159_611
.LBB159_606:
	s_mov_b32 s31, -1
                                        ; implicit-def: $vgpr1
	s_branch .LBB159_617
.LBB159_607:
	s_or_saveexec_b32 s31, s31
	v_mov_b32_e32 v1, 0x7e00
	s_xor_b32 exec_lo, exec_lo, s31
	s_cbranch_execz .LBB159_590
.LBB159_608:
	v_cmp_ne_u16_e32 vcc_lo, 0, v3
	v_mov_b32_e32 v1, v3
	s_and_not1_b32 s30, s30, exec_lo
	s_and_b32 s50, vcc_lo, exec_lo
	s_delay_alu instid0(SALU_CYCLE_1)
	s_or_b32 s30, s30, s50
	s_or_b32 exec_lo, exec_lo, s31
	s_and_saveexec_b32 s31, s30
	s_cbranch_execnz .LBB159_591
	s_branch .LBB159_592
.LBB159_609:
	s_mov_b32 s30, -1
                                        ; implicit-def: $vgpr1
	s_branch .LBB159_614
.LBB159_610:
	s_mov_b32 s30, -1
                                        ; implicit-def: $vgpr1
.LBB159_611:
	s_delay_alu instid0(SALU_CYCLE_1)
	s_and_b32 vcc_lo, exec_lo, s30
	s_cbranch_vccz .LBB159_613
; %bb.612:
	global_load_u8 v1, v[8:9], off
	s_wait_loadcnt 0x0
	v_lshlrev_b32_e32 v1, 24, v1
	s_delay_alu instid0(VALU_DEP_1) | instskip(NEXT) | instid1(VALU_DEP_1)
	v_and_b32_e32 v3, 0x7f000000, v1
	v_clz_i32_u32_e32 v5, v3
	v_cmp_ne_u32_e32 vcc_lo, 0, v3
	v_add_nc_u32_e32 v10, 0x1000000, v3
	s_delay_alu instid0(VALU_DEP_3) | instskip(NEXT) | instid1(VALU_DEP_1)
	v_min_u32_e32 v5, 32, v5
	v_sub_nc_u32_e64 v5, v5, 4 clamp
	s_delay_alu instid0(VALU_DEP_1) | instskip(NEXT) | instid1(VALU_DEP_1)
	v_dual_lshlrev_b32 v7, v5, v3 :: v_dual_lshlrev_b32 v5, 23, v5
	v_lshrrev_b32_e32 v7, 4, v7
	s_delay_alu instid0(VALU_DEP_1) | instskip(NEXT) | instid1(VALU_DEP_1)
	v_dual_sub_nc_u32 v5, v7, v5 :: v_dual_ashrrev_i32 v7, 8, v10
	v_add_nc_u32_e32 v5, 0x3c000000, v5
	s_delay_alu instid0(VALU_DEP_1) | instskip(NEXT) | instid1(VALU_DEP_1)
	v_and_or_b32 v5, 0x7f800000, v7, v5
	v_cndmask_b32_e32 v3, 0, v5, vcc_lo
	s_delay_alu instid0(VALU_DEP_1) | instskip(NEXT) | instid1(VALU_DEP_1)
	v_and_or_b32 v1, 0x80000000, v1, v3
	v_cvt_f16_f32_e32 v1, v1
.LBB159_613:
	s_mov_b32 s30, 0
.LBB159_614:
	s_delay_alu instid0(SALU_CYCLE_1)
	s_and_not1_b32 vcc_lo, exec_lo, s30
	s_cbranch_vccnz .LBB159_616
; %bb.615:
	global_load_u8 v1, v[8:9], off
	s_wait_loadcnt 0x0
	v_lshlrev_b32_e32 v3, 25, v1
	v_lshlrev_b16 v1, 8, v1
	s_delay_alu instid0(VALU_DEP_1) | instskip(SKIP_1) | instid1(VALU_DEP_2)
	v_and_or_b32 v7, 0x7f00, v1, 0.5
	v_bfe_i32 v1, v1, 0, 16
	v_add_f32_e32 v7, -0.5, v7
	v_lshrrev_b32_e32 v5, 4, v3
	v_cmp_gt_u32_e32 vcc_lo, 0x8000000, v3
	s_delay_alu instid0(VALU_DEP_2) | instskip(NEXT) | instid1(VALU_DEP_1)
	v_or_b32_e32 v5, 0x70000000, v5
	v_mul_f32_e32 v5, 0x7800000, v5
	s_delay_alu instid0(VALU_DEP_1) | instskip(NEXT) | instid1(VALU_DEP_1)
	v_cndmask_b32_e32 v3, v5, v7, vcc_lo
	v_and_or_b32 v1, 0x80000000, v1, v3
	s_delay_alu instid0(VALU_DEP_1)
	v_cvt_f16_f32_e32 v1, v1
.LBB159_616:
	s_mov_b32 s31, 0
	s_mov_b32 s30, -1
.LBB159_617:
	s_and_not1_b32 vcc_lo, exec_lo, s31
	s_cbranch_vccnz .LBB159_630
; %bb.618:
	s_cmp_gt_i32 s29, 14
	s_cbranch_scc0 .LBB159_621
; %bb.619:
	s_cmp_eq_u32 s29, 15
	s_cbranch_scc0 .LBB159_624
; %bb.620:
	global_load_u16 v1, v[8:9], off
	s_mov_b32 s30, -1
	s_mov_b32 s28, 0
	s_wait_loadcnt 0x0
	v_lshlrev_b32_e32 v1, 16, v1
	s_delay_alu instid0(VALU_DEP_1)
	v_cvt_f16_f32_e32 v1, v1
	s_branch .LBB159_625
.LBB159_621:
	s_mov_b32 s31, -1
                                        ; implicit-def: $vgpr1
	s_branch .LBB159_626
.LBB159_622:
	s_or_saveexec_b32 s31, s31
	v_mov_b32_e32 v1, 0x7e00
	s_xor_b32 exec_lo, exec_lo, s31
	s_cbranch_execz .LBB159_603
.LBB159_623:
	v_cmp_ne_u16_e32 vcc_lo, 0, v3
	v_mov_b32_e32 v1, v3
	s_and_not1_b32 s30, s30, exec_lo
	s_and_b32 s50, vcc_lo, exec_lo
	s_delay_alu instid0(SALU_CYCLE_1)
	s_or_b32 s30, s30, s50
	s_or_b32 exec_lo, exec_lo, s31
	s_and_saveexec_b32 s31, s30
	s_cbranch_execnz .LBB159_604
	s_branch .LBB159_605
.LBB159_624:
	s_mov_b32 s28, -1
                                        ; implicit-def: $vgpr1
.LBB159_625:
	s_mov_b32 s31, 0
.LBB159_626:
	s_delay_alu instid0(SALU_CYCLE_1)
	s_and_b32 vcc_lo, exec_lo, s31
	s_cbranch_vccz .LBB159_630
; %bb.627:
	s_cmp_eq_u32 s29, 11
	s_cbranch_scc0 .LBB159_629
; %bb.628:
	global_load_u8 v1, v[8:9], off
	s_mov_b32 s28, 0
	s_mov_b32 s30, -1
	s_wait_loadcnt 0x0
	v_cmp_ne_u16_e32 vcc_lo, 0, v1
	v_cndmask_b32_e64 v1, 0, 0x3c00, vcc_lo
	s_branch .LBB159_630
.LBB159_629:
	s_mov_b32 s28, -1
                                        ; implicit-def: $vgpr1
.LBB159_630:
	s_branch .LBB159_547
.LBB159_631:
	s_and_b32 s0, 0xffff, s0
	s_delay_alu instid0(SALU_CYCLE_1)
	s_cmp_lt_i32 s0, 5
	s_cbranch_scc1 .LBB159_636
; %bb.632:
	s_cmp_lt_i32 s0, 8
	s_cbranch_scc1 .LBB159_637
; %bb.633:
	;; [unrolled: 3-line block ×3, first 2 shown]
	s_cmp_gt_i32 s0, 9
	s_cbranch_scc0 .LBB159_639
; %bb.635:
	global_load_b64 v[10:11], v[8:9], off
	s_mov_b32 s29, 0
	s_wait_loadcnt 0x0
	v_and_or_b32 v1, 0x1ff, v11, v10
	v_lshrrev_b32_e32 v3, 8, v11
	v_bfe_u32 v5, v11, 20, 11
	s_delay_alu instid0(VALU_DEP_3) | instskip(NEXT) | instid1(VALU_DEP_2)
	v_cmp_ne_u32_e32 vcc_lo, 0, v1
	v_sub_nc_u32_e32 v7, 0x3f1, v5
	v_add_nc_u32_e32 v5, 0xfffffc10, v5
	v_cndmask_b32_e64 v1, 0, 1, vcc_lo
	s_delay_alu instid0(VALU_DEP_1) | instskip(NEXT) | instid1(VALU_DEP_4)
	v_and_or_b32 v1, 0xffe, v3, v1
	v_med3_i32 v3, v7, 0, 13
	s_delay_alu instid0(VALU_DEP_2) | instskip(NEXT) | instid1(VALU_DEP_1)
	v_or_b32_e32 v7, 0x1000, v1
	v_lshrrev_b32_e32 v10, v3, v7
	s_delay_alu instid0(VALU_DEP_1) | instskip(NEXT) | instid1(VALU_DEP_1)
	v_lshlrev_b32_e32 v3, v3, v10
	v_cmp_ne_u32_e32 vcc_lo, v3, v7
	v_lshl_or_b32 v7, v5, 12, v1
	v_cndmask_b32_e64 v3, 0, 1, vcc_lo
	v_cmp_gt_i32_e32 vcc_lo, 1, v5
	s_delay_alu instid0(VALU_DEP_2) | instskip(NEXT) | instid1(VALU_DEP_1)
	v_or_b32_e32 v3, v10, v3
	v_cndmask_b32_e32 v3, v7, v3, vcc_lo
	s_delay_alu instid0(VALU_DEP_1) | instskip(NEXT) | instid1(VALU_DEP_1)
	v_dual_lshrrev_b32 v3, 2, v3 :: v_dual_bitop2_b32 v7, 7, v3 bitop3:0x40
	v_cmp_lt_i32_e32 vcc_lo, 5, v7
	v_cndmask_b32_e64 v10, 0, 1, vcc_lo
	v_cmp_eq_u32_e32 vcc_lo, 3, v7
	v_cndmask_b32_e64 v7, 0, 1, vcc_lo
	v_cmp_ne_u32_e32 vcc_lo, 0, v1
	s_delay_alu instid0(VALU_DEP_2) | instskip(NEXT) | instid1(VALU_DEP_1)
	v_or_b32_e32 v7, v7, v10
	v_dual_mov_b32 v10, 0x7e00 :: v_dual_add_nc_u32 v3, v3, v7
	s_delay_alu instid0(VALU_DEP_1) | instskip(SKIP_1) | instid1(VALU_DEP_3)
	v_cndmask_b32_e32 v1, 0x7c00, v10, vcc_lo
	v_cmp_gt_i32_e32 vcc_lo, 31, v5
	v_cndmask_b32_e32 v3, 0x7c00, v3, vcc_lo
	v_cmp_eq_u32_e32 vcc_lo, 0x40f, v5
	s_delay_alu instid0(VALU_DEP_2) | instskip(NEXT) | instid1(VALU_DEP_1)
	v_dual_cndmask_b32 v1, v3, v1, vcc_lo :: v_dual_lshrrev_b32 v3, 16, v11
	v_and_or_b32 v1, 0x8000, v3, v1
	s_branch .LBB159_640
.LBB159_636:
	s_mov_b32 s29, -1
                                        ; implicit-def: $vgpr1
	s_branch .LBB159_658
.LBB159_637:
	s_mov_b32 s29, -1
                                        ; implicit-def: $vgpr1
	s_branch .LBB159_646
.LBB159_638:
	s_mov_b32 s29, -1
                                        ; implicit-def: $vgpr1
	s_branch .LBB159_643
.LBB159_639:
	s_mov_b32 s29, -1
                                        ; implicit-def: $vgpr1
.LBB159_640:
	s_delay_alu instid0(SALU_CYCLE_1)
	s_and_not1_b32 vcc_lo, exec_lo, s29
	s_cbranch_vccnz .LBB159_642
; %bb.641:
	global_load_b32 v1, v[8:9], off
	s_wait_loadcnt 0x0
	v_cvt_f16_f32_e32 v1, v1
.LBB159_642:
	s_mov_b32 s29, 0
.LBB159_643:
	s_delay_alu instid0(SALU_CYCLE_1)
	s_and_not1_b32 vcc_lo, exec_lo, s29
	s_cbranch_vccnz .LBB159_645
; %bb.644:
	global_load_b32 v1, v[8:9], off
.LBB159_645:
	s_mov_b32 s29, 0
.LBB159_646:
	s_delay_alu instid0(SALU_CYCLE_1)
	s_and_not1_b32 vcc_lo, exec_lo, s29
	s_cbranch_vccnz .LBB159_657
; %bb.647:
	s_cmp_lt_i32 s0, 6
	s_cbranch_scc1 .LBB159_650
; %bb.648:
	s_cmp_gt_i32 s0, 6
	s_cbranch_scc0 .LBB159_651
; %bb.649:
	global_load_b64 v[10:11], v[8:9], off
	s_mov_b32 s29, 0
	s_wait_loadcnt 0x0
	v_and_or_b32 v1, 0x1ff, v11, v10
	v_lshrrev_b32_e32 v3, 8, v11
	v_bfe_u32 v5, v11, 20, 11
	s_delay_alu instid0(VALU_DEP_3) | instskip(NEXT) | instid1(VALU_DEP_2)
	v_cmp_ne_u32_e32 vcc_lo, 0, v1
	v_sub_nc_u32_e32 v7, 0x3f1, v5
	v_add_nc_u32_e32 v5, 0xfffffc10, v5
	v_cndmask_b32_e64 v1, 0, 1, vcc_lo
	s_delay_alu instid0(VALU_DEP_1) | instskip(NEXT) | instid1(VALU_DEP_4)
	v_and_or_b32 v1, 0xffe, v3, v1
	v_med3_i32 v3, v7, 0, 13
	s_delay_alu instid0(VALU_DEP_2) | instskip(NEXT) | instid1(VALU_DEP_1)
	v_or_b32_e32 v7, 0x1000, v1
	v_lshrrev_b32_e32 v10, v3, v7
	s_delay_alu instid0(VALU_DEP_1) | instskip(NEXT) | instid1(VALU_DEP_1)
	v_lshlrev_b32_e32 v3, v3, v10
	v_cmp_ne_u32_e32 vcc_lo, v3, v7
	v_lshl_or_b32 v7, v5, 12, v1
	v_cndmask_b32_e64 v3, 0, 1, vcc_lo
	v_cmp_gt_i32_e32 vcc_lo, 1, v5
	s_delay_alu instid0(VALU_DEP_2) | instskip(NEXT) | instid1(VALU_DEP_1)
	v_or_b32_e32 v3, v10, v3
	v_cndmask_b32_e32 v3, v7, v3, vcc_lo
	s_delay_alu instid0(VALU_DEP_1) | instskip(NEXT) | instid1(VALU_DEP_1)
	v_dual_lshrrev_b32 v3, 2, v3 :: v_dual_bitop2_b32 v7, 7, v3 bitop3:0x40
	v_cmp_lt_i32_e32 vcc_lo, 5, v7
	v_cndmask_b32_e64 v10, 0, 1, vcc_lo
	v_cmp_eq_u32_e32 vcc_lo, 3, v7
	v_cndmask_b32_e64 v7, 0, 1, vcc_lo
	v_cmp_ne_u32_e32 vcc_lo, 0, v1
	s_delay_alu instid0(VALU_DEP_2) | instskip(NEXT) | instid1(VALU_DEP_1)
	v_or_b32_e32 v7, v7, v10
	v_dual_mov_b32 v10, 0x7e00 :: v_dual_add_nc_u32 v3, v3, v7
	s_delay_alu instid0(VALU_DEP_1) | instskip(SKIP_1) | instid1(VALU_DEP_3)
	v_cndmask_b32_e32 v1, 0x7c00, v10, vcc_lo
	v_cmp_gt_i32_e32 vcc_lo, 31, v5
	v_cndmask_b32_e32 v3, 0x7c00, v3, vcc_lo
	v_cmp_eq_u32_e32 vcc_lo, 0x40f, v5
	s_delay_alu instid0(VALU_DEP_2) | instskip(NEXT) | instid1(VALU_DEP_1)
	v_dual_cndmask_b32 v1, v3, v1, vcc_lo :: v_dual_lshrrev_b32 v3, 16, v11
	v_and_or_b32 v1, 0x8000, v3, v1
	s_branch .LBB159_652
.LBB159_650:
	s_mov_b32 s29, -1
                                        ; implicit-def: $vgpr1
	s_branch .LBB159_655
.LBB159_651:
	s_mov_b32 s29, -1
                                        ; implicit-def: $vgpr1
.LBB159_652:
	s_delay_alu instid0(SALU_CYCLE_1)
	s_and_not1_b32 vcc_lo, exec_lo, s29
	s_cbranch_vccnz .LBB159_654
; %bb.653:
	s_wait_loadcnt 0x0
	global_load_b32 v1, v[8:9], off
	s_wait_loadcnt 0x0
	v_cvt_f16_f32_e32 v1, v1
.LBB159_654:
	s_mov_b32 s29, 0
.LBB159_655:
	s_delay_alu instid0(SALU_CYCLE_1)
	s_and_not1_b32 vcc_lo, exec_lo, s29
	s_cbranch_vccnz .LBB159_657
; %bb.656:
	s_wait_loadcnt 0x0
	global_load_u16 v1, v[8:9], off
.LBB159_657:
	s_mov_b32 s29, 0
.LBB159_658:
	s_delay_alu instid0(SALU_CYCLE_1)
	s_and_not1_b32 vcc_lo, exec_lo, s29
	s_cbranch_vccnz .LBB159_678
; %bb.659:
	s_cmp_lt_i32 s0, 2
	s_cbranch_scc1 .LBB159_663
; %bb.660:
	s_cmp_lt_i32 s0, 3
	s_cbranch_scc1 .LBB159_664
; %bb.661:
	s_cmp_gt_i32 s0, 3
	s_cbranch_scc0 .LBB159_665
; %bb.662:
	global_load_b64 v[10:11], v[8:9], off
	s_mov_b32 s29, 0
	s_wait_loadcnt 0x0
	v_xor_b32_e32 v1, v10, v11
	v_cls_i32_e32 v3, v11
	s_delay_alu instid0(VALU_DEP_2) | instskip(NEXT) | instid1(VALU_DEP_1)
	v_ashrrev_i32_e32 v1, 31, v1
	v_add_nc_u32_e32 v1, 32, v1
	s_delay_alu instid0(VALU_DEP_1) | instskip(NEXT) | instid1(VALU_DEP_1)
	v_add_min_u32_e64 v1, v3, -1, v1
	v_lshlrev_b64_e32 v[10:11], v1, v[10:11]
	v_sub_nc_u32_e32 v1, 32, v1
	s_delay_alu instid0(VALU_DEP_2) | instskip(NEXT) | instid1(VALU_DEP_1)
	v_min_u32_e32 v3, 1, v10
	v_or_b32_e32 v3, v11, v3
	s_delay_alu instid0(VALU_DEP_1) | instskip(NEXT) | instid1(VALU_DEP_1)
	v_cvt_f32_i32_e32 v3, v3
	v_ldexp_f32 v1, v3, v1
	s_delay_alu instid0(VALU_DEP_1)
	v_cvt_f16_f32_e32 v1, v1
	s_branch .LBB159_666
.LBB159_663:
	s_mov_b32 s29, -1
                                        ; implicit-def: $vgpr1
	s_branch .LBB159_672
.LBB159_664:
	s_mov_b32 s29, -1
                                        ; implicit-def: $vgpr1
	s_branch .LBB159_669
.LBB159_665:
	s_mov_b32 s29, -1
                                        ; implicit-def: $vgpr1
.LBB159_666:
	s_delay_alu instid0(SALU_CYCLE_1)
	s_and_not1_b32 vcc_lo, exec_lo, s29
	s_cbranch_vccnz .LBB159_668
; %bb.667:
	s_wait_loadcnt 0x0
	global_load_b32 v1, v[8:9], off
	s_wait_loadcnt 0x0
	v_cvt_f32_i32_e32 v1, v1
	s_delay_alu instid0(VALU_DEP_1)
	v_cvt_f16_f32_e32 v1, v1
.LBB159_668:
	s_mov_b32 s29, 0
.LBB159_669:
	s_delay_alu instid0(SALU_CYCLE_1)
	s_and_not1_b32 vcc_lo, exec_lo, s29
	s_cbranch_vccnz .LBB159_671
; %bb.670:
	s_wait_loadcnt 0x0
	global_load_u16 v1, v[8:9], off
	s_wait_loadcnt 0x0
	v_cvt_f16_i16_e32 v1, v1
.LBB159_671:
	s_mov_b32 s29, 0
.LBB159_672:
	s_delay_alu instid0(SALU_CYCLE_1)
	s_and_not1_b32 vcc_lo, exec_lo, s29
	s_cbranch_vccnz .LBB159_678
; %bb.673:
	s_cmp_gt_i32 s0, 0
	s_mov_b32 s0, 0
	s_cbranch_scc0 .LBB159_675
; %bb.674:
	s_wait_loadcnt 0x0
	global_load_i8 v1, v[8:9], off
	s_wait_loadcnt 0x0
	v_cvt_f16_i16_e32 v1, v1
	s_branch .LBB159_676
.LBB159_675:
	s_mov_b32 s0, -1
                                        ; implicit-def: $vgpr1
.LBB159_676:
	s_delay_alu instid0(SALU_CYCLE_1)
	s_and_not1_b32 vcc_lo, exec_lo, s0
	s_cbranch_vccnz .LBB159_678
; %bb.677:
	s_wait_loadcnt 0x0
	global_load_u8 v1, v[8:9], off
	s_wait_loadcnt 0x0
	v_cvt_f16_u16_e32 v1, v1
.LBB159_678:
	s_branch .LBB159_548
.LBB159_679:
	s_mov_b32 s31, 0
	s_mov_b32 s0, s43
	;; [unrolled: 1-line block ×4, first 2 shown]
	s_branch .LBB159_1055
.LBB159_680:
	s_and_not1_saveexec_b32 s48, s48
	s_cbranch_execz .LBB159_432
.LBB159_681:
	v_add_f32_e64 v5, 0x46000000, |v4|
	s_and_not1_b32 s47, s47, exec_lo
	s_delay_alu instid0(VALU_DEP_1) | instskip(NEXT) | instid1(VALU_DEP_1)
	v_and_b32_e32 v5, 0xff, v5
	v_cmp_ne_u32_e32 vcc_lo, 0, v5
	s_and_b32 s50, vcc_lo, exec_lo
	s_delay_alu instid0(SALU_CYCLE_1)
	s_or_b32 s47, s47, s50
	s_or_b32 exec_lo, exec_lo, s48
	v_mov_b32_e32 v6, 0
	s_and_saveexec_b32 s48, s47
	s_cbranch_execnz .LBB159_433
	s_branch .LBB159_434
.LBB159_682:
	s_mov_b32 s29, -1
	s_mov_b32 s31, 0
.LBB159_683:
                                        ; implicit-def: $vgpr8
.LBB159_684:
	s_and_b32 vcc_lo, exec_lo, s50
	s_cbranch_vccz .LBB159_688
; %bb.685:
	s_cmp_eq_u32 s30, 44
	s_cbranch_scc0 .LBB159_687
; %bb.686:
	global_load_u8 v3, v[6:7], off
	s_mov_b32 s29, 0
	s_mov_b32 s31, -1
	s_wait_loadcnt 0x0
	v_lshlrev_b32_e32 v5, 23, v3
	v_cmp_ne_u32_e32 vcc_lo, 0xff, v3
	s_delay_alu instid0(VALU_DEP_2) | instskip(NEXT) | instid1(VALU_DEP_1)
	v_cvt_f16_f32_e32 v5, v5
	v_cndmask_b32_e32 v5, 0x7e00, v5, vcc_lo
	v_cmp_ne_u32_e32 vcc_lo, 0, v3
	s_wait_xcnt 0x1
	s_delay_alu instid0(VALU_DEP_2)
	v_cndmask_b32_e32 v8, 0, v5, vcc_lo
	s_branch .LBB159_688
.LBB159_687:
	s_mov_b32 s29, -1
                                        ; implicit-def: $vgpr8
.LBB159_688:
	s_mov_b32 s50, 0
.LBB159_689:
	s_delay_alu instid0(SALU_CYCLE_1)
	s_and_b32 vcc_lo, exec_lo, s50
	s_cbranch_vccz .LBB159_693
; %bb.690:
	s_cmp_eq_u32 s30, 29
	s_cbranch_scc0 .LBB159_692
; %bb.691:
	global_load_b64 v[8:9], v[6:7], off
	s_mov_b32 s31, -1
	s_mov_b32 s29, 0
	s_mov_b32 s50, 0
	s_wait_loadcnt 0x0
	v_clz_i32_u32_e32 v3, v9
	s_delay_alu instid0(VALU_DEP_1) | instskip(NEXT) | instid1(VALU_DEP_1)
	v_min_u32_e32 v3, 32, v3
	v_lshlrev_b64_e32 v[8:9], v3, v[8:9]
	v_sub_nc_u32_e32 v3, 32, v3
	s_delay_alu instid0(VALU_DEP_2) | instskip(NEXT) | instid1(VALU_DEP_1)
	v_min_u32_e32 v5, 1, v8
	v_or_b32_e32 v5, v9, v5
	s_delay_alu instid0(VALU_DEP_1) | instskip(NEXT) | instid1(VALU_DEP_1)
	v_cvt_f32_u32_e32 v5, v5
	v_ldexp_f32 v3, v5, v3
	s_delay_alu instid0(VALU_DEP_1)
	v_cvt_f16_f32_e32 v8, v3
	s_branch .LBB159_694
.LBB159_692:
	s_mov_b32 s29, -1
                                        ; implicit-def: $vgpr8
.LBB159_693:
	s_mov_b32 s50, 0
.LBB159_694:
	s_delay_alu instid0(SALU_CYCLE_1)
	s_and_b32 vcc_lo, exec_lo, s50
	s_cbranch_vccz .LBB159_712
; %bb.695:
	s_cmp_lt_i32 s30, 27
	s_cbranch_scc1 .LBB159_698
; %bb.696:
	s_cmp_gt_i32 s30, 27
	s_cbranch_scc0 .LBB159_699
; %bb.697:
	global_load_b32 v3, v[6:7], off
	s_mov_b32 s31, 0
	s_wait_loadcnt 0x0
	v_cvt_f32_u32_e32 v3, v3
	s_wait_xcnt 0x1
	s_delay_alu instid0(VALU_DEP_1)
	v_cvt_f16_f32_e32 v8, v3
	s_branch .LBB159_700
.LBB159_698:
	s_mov_b32 s31, -1
                                        ; implicit-def: $vgpr8
	s_branch .LBB159_703
.LBB159_699:
	s_mov_b32 s31, -1
                                        ; implicit-def: $vgpr8
.LBB159_700:
	s_delay_alu instid0(SALU_CYCLE_1)
	s_and_not1_b32 vcc_lo, exec_lo, s31
	s_cbranch_vccnz .LBB159_702
; %bb.701:
	global_load_u16 v3, v[6:7], off
	s_wait_loadcnt 0x0
	s_wait_xcnt 0x1
	v_cvt_f16_u16_e32 v8, v3
.LBB159_702:
	s_mov_b32 s31, 0
.LBB159_703:
	s_delay_alu instid0(SALU_CYCLE_1)
	s_and_not1_b32 vcc_lo, exec_lo, s31
	s_cbranch_vccnz .LBB159_711
; %bb.704:
	global_load_u8 v3, v[6:7], off
	s_mov_b32 s31, 0
	s_mov_b32 s50, exec_lo
	s_wait_loadcnt 0x0
	v_cmpx_lt_i16_e32 0x7f, v3
	s_xor_b32 s50, exec_lo, s50
	s_cbranch_execz .LBB159_725
; %bb.705:
	s_mov_b32 s31, -1
	s_mov_b32 s51, exec_lo
	v_cmpx_eq_u16_e32 0x80, v3
; %bb.706:
	s_xor_b32 s31, exec_lo, -1
; %bb.707:
	s_or_b32 exec_lo, exec_lo, s51
	s_delay_alu instid0(SALU_CYCLE_1)
	s_and_b32 s31, s31, exec_lo
	s_or_saveexec_b32 s50, s50
	v_mov_b32_e32 v8, 0x7e00
	s_xor_b32 exec_lo, exec_lo, s50
	s_cbranch_execnz .LBB159_726
.LBB159_708:
	s_or_b32 exec_lo, exec_lo, s50
	s_and_saveexec_b32 s50, s31
	s_cbranch_execz .LBB159_710
.LBB159_709:
	v_and_b32_e32 v5, 0xffff, v3
	s_delay_alu instid0(VALU_DEP_1) | instskip(SKIP_1) | instid1(VALU_DEP_2)
	v_dual_lshlrev_b32 v3, 24, v3 :: v_dual_bitop2_b32 v8, 7, v5 bitop3:0x40
	v_bfe_u32 v11, v5, 3, 4
	v_and_b32_e32 v3, 0x80000000, v3
	s_delay_alu instid0(VALU_DEP_3) | instskip(NEXT) | instid1(VALU_DEP_3)
	v_clz_i32_u32_e32 v9, v8
	v_cmp_eq_u32_e32 vcc_lo, 0, v11
	s_delay_alu instid0(VALU_DEP_2) | instskip(NEXT) | instid1(VALU_DEP_1)
	v_min_u32_e32 v9, 32, v9
	v_subrev_nc_u32_e32 v10, 28, v9
	v_sub_nc_u32_e32 v9, 29, v9
	s_delay_alu instid0(VALU_DEP_2) | instskip(NEXT) | instid1(VALU_DEP_2)
	v_lshlrev_b32_e32 v5, v10, v5
	v_cndmask_b32_e32 v9, v11, v9, vcc_lo
	s_delay_alu instid0(VALU_DEP_2) | instskip(NEXT) | instid1(VALU_DEP_1)
	v_and_b32_e32 v5, 7, v5
	v_cndmask_b32_e32 v5, v8, v5, vcc_lo
	s_delay_alu instid0(VALU_DEP_3) | instskip(NEXT) | instid1(VALU_DEP_2)
	v_lshl_add_u32 v8, v9, 23, 0x3b800000
	v_lshlrev_b32_e32 v5, 20, v5
	s_delay_alu instid0(VALU_DEP_1) | instskip(NEXT) | instid1(VALU_DEP_1)
	v_or3_b32 v3, v3, v8, v5
	v_cvt_f16_f32_e32 v8, v3
.LBB159_710:
	s_or_b32 exec_lo, exec_lo, s50
.LBB159_711:
	s_mov_b32 s31, -1
.LBB159_712:
	s_mov_b32 s50, 0
.LBB159_713:
	s_delay_alu instid0(SALU_CYCLE_1)
	s_and_b32 vcc_lo, exec_lo, s50
	s_cbranch_vccz .LBB159_748
; %bb.714:
	s_cmp_gt_i32 s30, 22
	s_cbranch_scc0 .LBB159_724
; %bb.715:
	s_cmp_lt_i32 s30, 24
	s_cbranch_scc1 .LBB159_727
; %bb.716:
	s_cmp_gt_i32 s30, 24
	s_cbranch_scc0 .LBB159_728
; %bb.717:
	global_load_u8 v3, v[6:7], off
	s_mov_b32 s31, 0
	s_mov_b32 s50, exec_lo
	s_wait_loadcnt 0x0
	v_cmpx_lt_i16_e32 0x7f, v3
	s_xor_b32 s50, exec_lo, s50
	s_cbranch_execz .LBB159_740
; %bb.718:
	s_mov_b32 s31, -1
	s_mov_b32 s51, exec_lo
	v_cmpx_eq_u16_e32 0x80, v3
; %bb.719:
	s_xor_b32 s31, exec_lo, -1
; %bb.720:
	s_or_b32 exec_lo, exec_lo, s51
	s_delay_alu instid0(SALU_CYCLE_1)
	s_and_b32 s31, s31, exec_lo
	s_or_saveexec_b32 s50, s50
	v_mov_b32_e32 v8, 0x7e00
	s_xor_b32 exec_lo, exec_lo, s50
	s_cbranch_execnz .LBB159_741
.LBB159_721:
	s_or_b32 exec_lo, exec_lo, s50
	s_and_saveexec_b32 s50, s31
	s_cbranch_execz .LBB159_723
.LBB159_722:
	v_and_b32_e32 v5, 0xffff, v3
	s_delay_alu instid0(VALU_DEP_1) | instskip(SKIP_1) | instid1(VALU_DEP_2)
	v_dual_lshlrev_b32 v3, 24, v3 :: v_dual_bitop2_b32 v8, 3, v5 bitop3:0x40
	v_bfe_u32 v11, v5, 2, 5
	v_and_b32_e32 v3, 0x80000000, v3
	s_delay_alu instid0(VALU_DEP_3) | instskip(NEXT) | instid1(VALU_DEP_3)
	v_clz_i32_u32_e32 v9, v8
	v_cmp_eq_u32_e32 vcc_lo, 0, v11
	s_delay_alu instid0(VALU_DEP_2) | instskip(NEXT) | instid1(VALU_DEP_1)
	v_min_u32_e32 v9, 32, v9
	v_subrev_nc_u32_e32 v10, 29, v9
	v_sub_nc_u32_e32 v9, 30, v9
	s_delay_alu instid0(VALU_DEP_2) | instskip(NEXT) | instid1(VALU_DEP_2)
	v_lshlrev_b32_e32 v5, v10, v5
	v_cndmask_b32_e32 v9, v11, v9, vcc_lo
	s_delay_alu instid0(VALU_DEP_2) | instskip(NEXT) | instid1(VALU_DEP_1)
	v_and_b32_e32 v5, 3, v5
	v_cndmask_b32_e32 v5, v8, v5, vcc_lo
	s_delay_alu instid0(VALU_DEP_3) | instskip(NEXT) | instid1(VALU_DEP_2)
	v_lshl_add_u32 v8, v9, 23, 0x37800000
	v_lshlrev_b32_e32 v5, 21, v5
	s_delay_alu instid0(VALU_DEP_1) | instskip(NEXT) | instid1(VALU_DEP_1)
	v_or3_b32 v3, v3, v8, v5
	v_cvt_f16_f32_e32 v8, v3
.LBB159_723:
	s_or_b32 exec_lo, exec_lo, s50
	s_mov_b32 s31, 0
	s_branch .LBB159_729
.LBB159_724:
	s_mov_b32 s50, -1
                                        ; implicit-def: $vgpr8
	s_branch .LBB159_735
.LBB159_725:
	s_or_saveexec_b32 s50, s50
	v_mov_b32_e32 v8, 0x7e00
	s_xor_b32 exec_lo, exec_lo, s50
	s_cbranch_execz .LBB159_708
.LBB159_726:
	v_cmp_ne_u16_e32 vcc_lo, 0, v3
	v_mov_b32_e32 v8, v3
	s_and_not1_b32 s31, s31, exec_lo
	s_and_b32 s51, vcc_lo, exec_lo
	s_delay_alu instid0(SALU_CYCLE_1)
	s_or_b32 s31, s31, s51
	s_or_b32 exec_lo, exec_lo, s50
	s_and_saveexec_b32 s50, s31
	s_cbranch_execnz .LBB159_709
	s_branch .LBB159_710
.LBB159_727:
	s_mov_b32 s31, -1
                                        ; implicit-def: $vgpr8
	s_branch .LBB159_732
.LBB159_728:
	s_mov_b32 s31, -1
                                        ; implicit-def: $vgpr8
.LBB159_729:
	s_delay_alu instid0(SALU_CYCLE_1)
	s_and_b32 vcc_lo, exec_lo, s31
	s_cbranch_vccz .LBB159_731
; %bb.730:
	global_load_u8 v3, v[6:7], off
	s_wait_loadcnt 0x0
	v_lshlrev_b32_e32 v3, 24, v3
	s_delay_alu instid0(VALU_DEP_1) | instskip(SKIP_1) | instid1(VALU_DEP_1)
	v_and_b32_e32 v5, 0x7f000000, v3
	s_wait_xcnt 0x1
	v_clz_i32_u32_e32 v8, v5
	v_cmp_ne_u32_e32 vcc_lo, 0, v5
	v_add_nc_u32_e32 v10, 0x1000000, v5
	s_delay_alu instid0(VALU_DEP_3) | instskip(NEXT) | instid1(VALU_DEP_1)
	v_min_u32_e32 v8, 32, v8
	v_sub_nc_u32_e64 v8, v8, 4 clamp
	s_delay_alu instid0(VALU_DEP_1) | instskip(NEXT) | instid1(VALU_DEP_1)
	v_dual_lshlrev_b32 v9, v8, v5 :: v_dual_lshlrev_b32 v8, 23, v8
	v_lshrrev_b32_e32 v9, 4, v9
	s_delay_alu instid0(VALU_DEP_1) | instskip(NEXT) | instid1(VALU_DEP_1)
	v_dual_sub_nc_u32 v8, v9, v8 :: v_dual_ashrrev_i32 v9, 8, v10
	v_add_nc_u32_e32 v8, 0x3c000000, v8
	s_delay_alu instid0(VALU_DEP_1) | instskip(NEXT) | instid1(VALU_DEP_1)
	v_and_or_b32 v8, 0x7f800000, v9, v8
	v_cndmask_b32_e32 v5, 0, v8, vcc_lo
	s_delay_alu instid0(VALU_DEP_1) | instskip(NEXT) | instid1(VALU_DEP_1)
	v_and_or_b32 v3, 0x80000000, v3, v5
	v_cvt_f16_f32_e32 v8, v3
.LBB159_731:
	s_mov_b32 s31, 0
.LBB159_732:
	s_delay_alu instid0(SALU_CYCLE_1)
	s_and_not1_b32 vcc_lo, exec_lo, s31
	s_cbranch_vccnz .LBB159_734
; %bb.733:
	global_load_u8 v3, v[6:7], off
	s_wait_loadcnt 0x0
	v_lshlrev_b32_e32 v5, 25, v3
	v_lshlrev_b16 v3, 8, v3
	s_wait_xcnt 0x1
	s_delay_alu instid0(VALU_DEP_1) | instskip(SKIP_1) | instid1(VALU_DEP_2)
	v_and_or_b32 v9, 0x7f00, v3, 0.5
	v_bfe_i32 v3, v3, 0, 16
	v_add_f32_e32 v9, -0.5, v9
	v_lshrrev_b32_e32 v8, 4, v5
	v_cmp_gt_u32_e32 vcc_lo, 0x8000000, v5
	s_delay_alu instid0(VALU_DEP_2) | instskip(NEXT) | instid1(VALU_DEP_1)
	v_or_b32_e32 v8, 0x70000000, v8
	v_mul_f32_e32 v8, 0x7800000, v8
	s_delay_alu instid0(VALU_DEP_1) | instskip(NEXT) | instid1(VALU_DEP_1)
	v_cndmask_b32_e32 v5, v8, v9, vcc_lo
	v_and_or_b32 v3, 0x80000000, v3, v5
	s_delay_alu instid0(VALU_DEP_1)
	v_cvt_f16_f32_e32 v8, v3
.LBB159_734:
	s_mov_b32 s50, 0
	s_mov_b32 s31, -1
.LBB159_735:
	s_and_not1_b32 vcc_lo, exec_lo, s50
	s_cbranch_vccnz .LBB159_748
; %bb.736:
	s_cmp_gt_i32 s30, 14
	s_cbranch_scc0 .LBB159_739
; %bb.737:
	s_cmp_eq_u32 s30, 15
	s_cbranch_scc0 .LBB159_742
; %bb.738:
	global_load_u16 v3, v[6:7], off
	s_mov_b32 s31, -1
	s_mov_b32 s29, 0
	s_wait_loadcnt 0x0
	v_lshlrev_b32_e32 v3, 16, v3
	s_wait_xcnt 0x1
	s_delay_alu instid0(VALU_DEP_1)
	v_cvt_f16_f32_e32 v8, v3
	s_branch .LBB159_743
.LBB159_739:
	s_mov_b32 s50, -1
                                        ; implicit-def: $vgpr8
	s_branch .LBB159_744
.LBB159_740:
	s_or_saveexec_b32 s50, s50
	v_mov_b32_e32 v8, 0x7e00
	s_xor_b32 exec_lo, exec_lo, s50
	s_cbranch_execz .LBB159_721
.LBB159_741:
	v_cmp_ne_u16_e32 vcc_lo, 0, v3
	v_mov_b32_e32 v8, v3
	s_and_not1_b32 s31, s31, exec_lo
	s_and_b32 s51, vcc_lo, exec_lo
	s_delay_alu instid0(SALU_CYCLE_1)
	s_or_b32 s31, s31, s51
	s_or_b32 exec_lo, exec_lo, s50
	s_and_saveexec_b32 s50, s31
	s_cbranch_execnz .LBB159_722
	s_branch .LBB159_723
.LBB159_742:
	s_mov_b32 s29, -1
                                        ; implicit-def: $vgpr8
.LBB159_743:
	s_mov_b32 s50, 0
.LBB159_744:
	s_delay_alu instid0(SALU_CYCLE_1)
	s_and_b32 vcc_lo, exec_lo, s50
	s_cbranch_vccz .LBB159_748
; %bb.745:
	s_cmp_eq_u32 s30, 11
	s_cbranch_scc0 .LBB159_747
; %bb.746:
	global_load_u8 v3, v[6:7], off
	s_mov_b32 s29, 0
	s_mov_b32 s31, -1
	s_wait_loadcnt 0x0
	v_cmp_ne_u16_e32 vcc_lo, 0, v3
	s_wait_xcnt 0x1
	v_cndmask_b32_e64 v8, 0, 0x3c00, vcc_lo
	s_branch .LBB159_748
.LBB159_747:
	s_mov_b32 s29, -1
                                        ; implicit-def: $vgpr8
.LBB159_748:
	s_mov_b32 s30, 0
.LBB159_749:
	s_delay_alu instid0(SALU_CYCLE_1)
	s_and_b32 vcc_lo, exec_lo, s30
	s_cbranch_vccz .LBB159_798
; %bb.750:
	s_and_b32 s0, 0xffff, s0
	s_delay_alu instid0(SALU_CYCLE_1)
	s_cmp_lt_i32 s0, 5
	s_cbranch_scc1 .LBB159_755
; %bb.751:
	s_cmp_lt_i32 s0, 8
	s_cbranch_scc1 .LBB159_756
; %bb.752:
	;; [unrolled: 3-line block ×3, first 2 shown]
	s_cmp_gt_i32 s0, 9
	s_cbranch_scc0 .LBB159_758
; %bb.754:
	global_load_b64 v[8:9], v[6:7], off
	s_mov_b32 s30, 0
	s_wait_loadcnt 0x0
	v_and_or_b32 v3, 0x1ff, v9, v8
	v_lshrrev_b32_e32 v5, 8, v9
	v_bfe_u32 v8, v9, 20, 11
	s_delay_alu instid0(VALU_DEP_3) | instskip(NEXT) | instid1(VALU_DEP_2)
	v_cmp_ne_u32_e32 vcc_lo, 0, v3
	v_sub_nc_u32_e32 v10, 0x3f1, v8
	v_add_nc_u32_e32 v8, 0xfffffc10, v8
	v_cndmask_b32_e64 v3, 0, 1, vcc_lo
	s_delay_alu instid0(VALU_DEP_1) | instskip(NEXT) | instid1(VALU_DEP_4)
	v_and_or_b32 v3, 0xffe, v5, v3
	v_med3_i32 v5, v10, 0, 13
	s_delay_alu instid0(VALU_DEP_2) | instskip(NEXT) | instid1(VALU_DEP_1)
	v_or_b32_e32 v10, 0x1000, v3
	v_lshrrev_b32_e32 v11, v5, v10
	s_delay_alu instid0(VALU_DEP_1) | instskip(NEXT) | instid1(VALU_DEP_1)
	v_lshlrev_b32_e32 v5, v5, v11
	v_cmp_ne_u32_e32 vcc_lo, v5, v10
	v_lshl_or_b32 v10, v8, 12, v3
	v_cndmask_b32_e64 v5, 0, 1, vcc_lo
	v_cmp_gt_i32_e32 vcc_lo, 1, v8
	s_delay_alu instid0(VALU_DEP_2) | instskip(NEXT) | instid1(VALU_DEP_1)
	v_or_b32_e32 v5, v11, v5
	v_cndmask_b32_e32 v5, v10, v5, vcc_lo
	s_delay_alu instid0(VALU_DEP_1) | instskip(NEXT) | instid1(VALU_DEP_1)
	v_dual_lshrrev_b32 v5, 2, v5 :: v_dual_bitop2_b32 v10, 7, v5 bitop3:0x40
	v_cmp_lt_i32_e32 vcc_lo, 5, v10
	v_cndmask_b32_e64 v11, 0, 1, vcc_lo
	v_cmp_eq_u32_e32 vcc_lo, 3, v10
	v_cndmask_b32_e64 v10, 0, 1, vcc_lo
	v_cmp_ne_u32_e32 vcc_lo, 0, v3
	s_delay_alu instid0(VALU_DEP_2) | instskip(SKIP_1) | instid1(VALU_DEP_2)
	v_or_b32_e32 v10, v10, v11
	v_mov_b32_e32 v11, 0x7e00
	v_add_nc_u32_e32 v5, v5, v10
	s_delay_alu instid0(VALU_DEP_2) | instskip(SKIP_1) | instid1(VALU_DEP_3)
	v_cndmask_b32_e32 v3, 0x7c00, v11, vcc_lo
	v_cmp_gt_i32_e32 vcc_lo, 31, v8
	v_cndmask_b32_e32 v5, 0x7c00, v5, vcc_lo
	v_cmp_eq_u32_e32 vcc_lo, 0x40f, v8
	s_delay_alu instid0(VALU_DEP_2) | instskip(NEXT) | instid1(VALU_DEP_1)
	v_dual_cndmask_b32 v3, v5, v3, vcc_lo :: v_dual_lshrrev_b32 v5, 16, v9
	v_and_or_b32 v8, 0x8000, v5, v3
	s_branch .LBB159_759
.LBB159_755:
	s_mov_b32 s30, -1
                                        ; implicit-def: $vgpr8
	s_branch .LBB159_777
.LBB159_756:
	s_mov_b32 s30, -1
                                        ; implicit-def: $vgpr8
	s_branch .LBB159_765
.LBB159_757:
	s_mov_b32 s30, -1
                                        ; implicit-def: $vgpr8
	s_branch .LBB159_762
.LBB159_758:
	s_mov_b32 s30, -1
                                        ; implicit-def: $vgpr8
.LBB159_759:
	s_delay_alu instid0(SALU_CYCLE_1)
	s_and_not1_b32 vcc_lo, exec_lo, s30
	s_cbranch_vccnz .LBB159_761
; %bb.760:
	global_load_b32 v3, v[6:7], off
	s_wait_loadcnt 0x0
	s_wait_xcnt 0x1
	v_cvt_f16_f32_e32 v8, v3
.LBB159_761:
	s_mov_b32 s30, 0
.LBB159_762:
	s_delay_alu instid0(SALU_CYCLE_1)
	s_and_not1_b32 vcc_lo, exec_lo, s30
	s_cbranch_vccnz .LBB159_764
; %bb.763:
	global_load_b32 v8, v[6:7], off
.LBB159_764:
	s_mov_b32 s30, 0
.LBB159_765:
	s_delay_alu instid0(SALU_CYCLE_1)
	s_and_not1_b32 vcc_lo, exec_lo, s30
	s_cbranch_vccnz .LBB159_776
; %bb.766:
	s_cmp_lt_i32 s0, 6
	s_cbranch_scc1 .LBB159_769
; %bb.767:
	s_cmp_gt_i32 s0, 6
	s_cbranch_scc0 .LBB159_770
; %bb.768:
	s_wait_loadcnt 0x0
	global_load_b64 v[8:9], v[6:7], off
	s_mov_b32 s30, 0
	s_wait_loadcnt 0x0
	v_and_or_b32 v3, 0x1ff, v9, v8
	v_lshrrev_b32_e32 v5, 8, v9
	v_bfe_u32 v8, v9, 20, 11
	s_delay_alu instid0(VALU_DEP_3) | instskip(NEXT) | instid1(VALU_DEP_2)
	v_cmp_ne_u32_e32 vcc_lo, 0, v3
	v_sub_nc_u32_e32 v10, 0x3f1, v8
	v_add_nc_u32_e32 v8, 0xfffffc10, v8
	v_cndmask_b32_e64 v3, 0, 1, vcc_lo
	s_delay_alu instid0(VALU_DEP_1) | instskip(NEXT) | instid1(VALU_DEP_4)
	v_and_or_b32 v3, 0xffe, v5, v3
	v_med3_i32 v5, v10, 0, 13
	s_delay_alu instid0(VALU_DEP_2) | instskip(NEXT) | instid1(VALU_DEP_1)
	v_or_b32_e32 v10, 0x1000, v3
	v_lshrrev_b32_e32 v11, v5, v10
	s_delay_alu instid0(VALU_DEP_1) | instskip(NEXT) | instid1(VALU_DEP_1)
	v_lshlrev_b32_e32 v5, v5, v11
	v_cmp_ne_u32_e32 vcc_lo, v5, v10
	v_lshl_or_b32 v10, v8, 12, v3
	v_cndmask_b32_e64 v5, 0, 1, vcc_lo
	v_cmp_gt_i32_e32 vcc_lo, 1, v8
	s_delay_alu instid0(VALU_DEP_2) | instskip(NEXT) | instid1(VALU_DEP_1)
	v_or_b32_e32 v5, v11, v5
	v_cndmask_b32_e32 v5, v10, v5, vcc_lo
	s_delay_alu instid0(VALU_DEP_1) | instskip(NEXT) | instid1(VALU_DEP_1)
	v_dual_lshrrev_b32 v5, 2, v5 :: v_dual_bitop2_b32 v10, 7, v5 bitop3:0x40
	v_cmp_lt_i32_e32 vcc_lo, 5, v10
	v_cndmask_b32_e64 v11, 0, 1, vcc_lo
	v_cmp_eq_u32_e32 vcc_lo, 3, v10
	v_cndmask_b32_e64 v10, 0, 1, vcc_lo
	v_cmp_ne_u32_e32 vcc_lo, 0, v3
	s_delay_alu instid0(VALU_DEP_2) | instskip(SKIP_1) | instid1(VALU_DEP_2)
	v_or_b32_e32 v10, v10, v11
	v_mov_b32_e32 v11, 0x7e00
	v_add_nc_u32_e32 v5, v5, v10
	s_delay_alu instid0(VALU_DEP_2) | instskip(SKIP_1) | instid1(VALU_DEP_3)
	v_cndmask_b32_e32 v3, 0x7c00, v11, vcc_lo
	v_cmp_gt_i32_e32 vcc_lo, 31, v8
	v_cndmask_b32_e32 v5, 0x7c00, v5, vcc_lo
	v_cmp_eq_u32_e32 vcc_lo, 0x40f, v8
	s_delay_alu instid0(VALU_DEP_2) | instskip(NEXT) | instid1(VALU_DEP_1)
	v_dual_cndmask_b32 v3, v5, v3, vcc_lo :: v_dual_lshrrev_b32 v5, 16, v9
	v_and_or_b32 v8, 0x8000, v5, v3
	s_branch .LBB159_771
.LBB159_769:
	s_mov_b32 s30, -1
                                        ; implicit-def: $vgpr8
	s_branch .LBB159_774
.LBB159_770:
	s_mov_b32 s30, -1
                                        ; implicit-def: $vgpr8
.LBB159_771:
	s_delay_alu instid0(SALU_CYCLE_1)
	s_and_not1_b32 vcc_lo, exec_lo, s30
	s_cbranch_vccnz .LBB159_773
; %bb.772:
	global_load_b32 v3, v[6:7], off
	s_wait_loadcnt 0x0
	s_wait_xcnt 0x1
	v_cvt_f16_f32_e32 v8, v3
.LBB159_773:
	s_mov_b32 s30, 0
.LBB159_774:
	s_delay_alu instid0(SALU_CYCLE_1)
	s_and_not1_b32 vcc_lo, exec_lo, s30
	s_cbranch_vccnz .LBB159_776
; %bb.775:
	s_wait_loadcnt 0x0
	global_load_u16 v8, v[6:7], off
.LBB159_776:
	s_mov_b32 s30, 0
.LBB159_777:
	s_delay_alu instid0(SALU_CYCLE_1)
	s_and_not1_b32 vcc_lo, exec_lo, s30
	s_cbranch_vccnz .LBB159_797
; %bb.778:
	s_cmp_lt_i32 s0, 2
	s_cbranch_scc1 .LBB159_782
; %bb.779:
	s_cmp_lt_i32 s0, 3
	s_cbranch_scc1 .LBB159_783
; %bb.780:
	s_cmp_gt_i32 s0, 3
	s_cbranch_scc0 .LBB159_784
; %bb.781:
	s_wait_loadcnt 0x0
	global_load_b64 v[8:9], v[6:7], off
	s_mov_b32 s30, 0
	s_wait_loadcnt 0x0
	v_xor_b32_e32 v3, v8, v9
	v_cls_i32_e32 v5, v9
	s_delay_alu instid0(VALU_DEP_2) | instskip(NEXT) | instid1(VALU_DEP_1)
	v_ashrrev_i32_e32 v3, 31, v3
	v_add_nc_u32_e32 v3, 32, v3
	s_delay_alu instid0(VALU_DEP_1) | instskip(NEXT) | instid1(VALU_DEP_1)
	v_add_min_u32_e64 v3, v5, -1, v3
	v_lshlrev_b64_e32 v[8:9], v3, v[8:9]
	v_sub_nc_u32_e32 v3, 32, v3
	s_delay_alu instid0(VALU_DEP_2) | instskip(NEXT) | instid1(VALU_DEP_1)
	v_min_u32_e32 v5, 1, v8
	v_or_b32_e32 v5, v9, v5
	s_delay_alu instid0(VALU_DEP_1) | instskip(NEXT) | instid1(VALU_DEP_1)
	v_cvt_f32_i32_e32 v5, v5
	v_ldexp_f32 v3, v5, v3
	s_delay_alu instid0(VALU_DEP_1)
	v_cvt_f16_f32_e32 v8, v3
	s_branch .LBB159_785
.LBB159_782:
	s_mov_b32 s30, -1
                                        ; implicit-def: $vgpr8
	s_branch .LBB159_791
.LBB159_783:
	s_mov_b32 s30, -1
                                        ; implicit-def: $vgpr8
	s_branch .LBB159_788
.LBB159_784:
	s_mov_b32 s30, -1
                                        ; implicit-def: $vgpr8
.LBB159_785:
	s_delay_alu instid0(SALU_CYCLE_1)
	s_and_not1_b32 vcc_lo, exec_lo, s30
	s_cbranch_vccnz .LBB159_787
; %bb.786:
	global_load_b32 v3, v[6:7], off
	s_wait_loadcnt 0x0
	v_cvt_f32_i32_e32 v3, v3
	s_wait_xcnt 0x1
	s_delay_alu instid0(VALU_DEP_1)
	v_cvt_f16_f32_e32 v8, v3
.LBB159_787:
	s_mov_b32 s30, 0
.LBB159_788:
	s_delay_alu instid0(SALU_CYCLE_1)
	s_and_not1_b32 vcc_lo, exec_lo, s30
	s_cbranch_vccnz .LBB159_790
; %bb.789:
	global_load_u16 v3, v[6:7], off
	s_wait_loadcnt 0x0
	s_wait_xcnt 0x1
	v_cvt_f16_i16_e32 v8, v3
.LBB159_790:
	s_mov_b32 s30, 0
.LBB159_791:
	s_delay_alu instid0(SALU_CYCLE_1)
	s_and_not1_b32 vcc_lo, exec_lo, s30
	s_cbranch_vccnz .LBB159_797
; %bb.792:
	s_cmp_gt_i32 s0, 0
	s_mov_b32 s0, 0
	s_cbranch_scc0 .LBB159_794
; %bb.793:
	global_load_i8 v3, v[6:7], off
	s_wait_loadcnt 0x0
	s_wait_xcnt 0x1
	v_cvt_f16_i16_e32 v8, v3
	s_branch .LBB159_795
.LBB159_794:
	s_mov_b32 s0, -1
                                        ; implicit-def: $vgpr8
.LBB159_795:
	s_delay_alu instid0(SALU_CYCLE_1)
	s_and_not1_b32 vcc_lo, exec_lo, s0
	s_cbranch_vccnz .LBB159_797
; %bb.796:
	global_load_u8 v3, v[6:7], off
	s_wait_loadcnt 0x0
	s_wait_xcnt 0x1
	v_cvt_f16_u16_e32 v8, v3
.LBB159_797:
	s_mov_b32 s31, -1
.LBB159_798:
	s_delay_alu instid0(SALU_CYCLE_1)
	s_and_not1_b32 vcc_lo, exec_lo, s31
	s_cbranch_vccnz .LBB159_806
; %bb.799:
	v_mov_b32_e32 v5, 0
	s_and_b32 s0, 0xffff, s21
	s_delay_alu instid0(SALU_CYCLE_1) | instskip(NEXT) | instid1(VALU_DEP_1)
	s_cmp_lt_i32 s0, 11
	v_add_nc_u64_e32 v[4:5], s[10:11], v[4:5]
	s_cbranch_scc1 .LBB159_807
; %bb.800:
	s_cmp_gt_i32 s0, 25
	s_cbranch_scc0 .LBB159_808
; %bb.801:
	s_cmp_gt_i32 s0, 28
	s_cbranch_scc0 .LBB159_809
	;; [unrolled: 3-line block ×4, first 2 shown]
; %bb.804:
	s_cmp_eq_u32 s0, 46
	s_mov_b32 s50, 0
	s_cbranch_scc0 .LBB159_814
; %bb.805:
	global_load_b32 v3, v[4:5], off
	s_mov_b32 s31, -1
	s_mov_b32 s30, 0
	s_wait_loadcnt 0x0
	v_lshlrev_b32_e32 v3, 16, v3
	s_delay_alu instid0(VALU_DEP_1)
	v_cvt_f16_f32_e32 v3, v3
	s_branch .LBB159_816
.LBB159_806:
	s_mov_b32 s31, 0
	s_mov_b32 s0, s43
	;; [unrolled: 1-line block ×3, first 2 shown]
	s_branch .LBB159_1055
.LBB159_807:
	s_mov_b32 s50, -1
	s_mov_b32 s31, 0
	s_mov_b32 s30, s46
                                        ; implicit-def: $vgpr3
	s_branch .LBB159_881
.LBB159_808:
	s_mov_b32 s50, -1
	s_mov_b32 s31, 0
	s_mov_b32 s30, s46
                                        ; implicit-def: $vgpr3
	s_branch .LBB159_845
.LBB159_809:
	s_mov_b32 s50, -1
	s_mov_b32 s31, 0
	s_mov_b32 s30, s46
                                        ; implicit-def: $vgpr3
	s_branch .LBB159_826
.LBB159_810:
	s_mov_b32 s50, -1
	s_mov_b32 s31, 0
	s_mov_b32 s30, s46
                                        ; implicit-def: $vgpr3
	s_branch .LBB159_821
.LBB159_811:
	s_mov_b32 s50, -1
	s_mov_b32 s31, 0
	s_mov_b32 s30, s46
	s_branch .LBB159_815
.LBB159_812:
	s_and_not1_saveexec_b32 s48, s48
	s_cbranch_execz .LBB159_445
.LBB159_813:
	v_add_f32_e64 v5, 0x42800000, |v4|
	s_and_not1_b32 s47, s47, exec_lo
	s_delay_alu instid0(VALU_DEP_1) | instskip(NEXT) | instid1(VALU_DEP_1)
	v_and_b32_e32 v5, 0xff, v5
	v_cmp_ne_u32_e32 vcc_lo, 0, v5
	s_and_b32 s50, vcc_lo, exec_lo
	s_delay_alu instid0(SALU_CYCLE_1)
	s_or_b32 s47, s47, s50
	s_or_b32 exec_lo, exec_lo, s48
	v_mov_b32_e32 v6, 0
	s_and_saveexec_b32 s48, s47
	s_cbranch_execnz .LBB159_446
	s_branch .LBB159_447
.LBB159_814:
	s_mov_b32 s30, -1
	s_mov_b32 s31, 0
.LBB159_815:
                                        ; implicit-def: $vgpr3
.LBB159_816:
	s_and_b32 vcc_lo, exec_lo, s50
	s_cbranch_vccz .LBB159_820
; %bb.817:
	s_cmp_eq_u32 s0, 44
	s_cbranch_scc0 .LBB159_819
; %bb.818:
	global_load_u8 v3, v[4:5], off
	s_mov_b32 s30, 0
	s_mov_b32 s31, -1
	s_wait_loadcnt 0x0
	s_wait_xcnt 0x1
	v_lshlrev_b32_e32 v6, 23, v3
	v_cmp_ne_u32_e32 vcc_lo, 0xff, v3
	s_delay_alu instid0(VALU_DEP_2) | instskip(NEXT) | instid1(VALU_DEP_1)
	v_cvt_f16_f32_e32 v6, v6
	v_cndmask_b32_e32 v6, 0x7e00, v6, vcc_lo
	v_cmp_ne_u32_e32 vcc_lo, 0, v3
	s_delay_alu instid0(VALU_DEP_2)
	v_cndmask_b32_e32 v3, 0, v6, vcc_lo
	s_branch .LBB159_820
.LBB159_819:
	s_mov_b32 s30, -1
                                        ; implicit-def: $vgpr3
.LBB159_820:
	s_mov_b32 s50, 0
.LBB159_821:
	s_delay_alu instid0(SALU_CYCLE_1)
	s_and_b32 vcc_lo, exec_lo, s50
	s_cbranch_vccz .LBB159_825
; %bb.822:
	s_cmp_eq_u32 s0, 29
	s_cbranch_scc0 .LBB159_824
; %bb.823:
	global_load_b64 v[6:7], v[4:5], off
	s_mov_b32 s31, -1
	s_mov_b32 s30, 0
	s_mov_b32 s50, 0
	s_wait_loadcnt 0x0
	v_clz_i32_u32_e32 v3, v7
	s_delay_alu instid0(VALU_DEP_1) | instskip(NEXT) | instid1(VALU_DEP_1)
	v_min_u32_e32 v3, 32, v3
	v_lshlrev_b64_e32 v[6:7], v3, v[6:7]
	v_sub_nc_u32_e32 v3, 32, v3
	s_delay_alu instid0(VALU_DEP_2) | instskip(NEXT) | instid1(VALU_DEP_1)
	v_min_u32_e32 v6, 1, v6
	v_or_b32_e32 v6, v7, v6
	s_delay_alu instid0(VALU_DEP_1) | instskip(NEXT) | instid1(VALU_DEP_1)
	v_cvt_f32_u32_e32 v6, v6
	v_ldexp_f32 v3, v6, v3
	s_delay_alu instid0(VALU_DEP_1)
	v_cvt_f16_f32_e32 v3, v3
	s_branch .LBB159_826
.LBB159_824:
	s_mov_b32 s30, -1
                                        ; implicit-def: $vgpr3
.LBB159_825:
	s_mov_b32 s50, 0
.LBB159_826:
	s_delay_alu instid0(SALU_CYCLE_1)
	s_and_b32 vcc_lo, exec_lo, s50
	s_cbranch_vccz .LBB159_844
; %bb.827:
	s_cmp_lt_i32 s0, 27
	s_cbranch_scc1 .LBB159_830
; %bb.828:
	s_cmp_gt_i32 s0, 27
	s_cbranch_scc0 .LBB159_831
; %bb.829:
	global_load_b32 v3, v[4:5], off
	s_mov_b32 s31, 0
	s_wait_loadcnt 0x0
	v_cvt_f32_u32_e32 v3, v3
	s_delay_alu instid0(VALU_DEP_1)
	v_cvt_f16_f32_e32 v3, v3
	s_branch .LBB159_832
.LBB159_830:
	s_mov_b32 s31, -1
                                        ; implicit-def: $vgpr3
	s_branch .LBB159_835
.LBB159_831:
	s_mov_b32 s31, -1
                                        ; implicit-def: $vgpr3
.LBB159_832:
	s_delay_alu instid0(SALU_CYCLE_1)
	s_and_not1_b32 vcc_lo, exec_lo, s31
	s_cbranch_vccnz .LBB159_834
; %bb.833:
	global_load_u16 v3, v[4:5], off
	s_wait_loadcnt 0x0
	v_cvt_f16_u16_e32 v3, v3
.LBB159_834:
	s_mov_b32 s31, 0
.LBB159_835:
	s_delay_alu instid0(SALU_CYCLE_1)
	s_and_not1_b32 vcc_lo, exec_lo, s31
	s_cbranch_vccnz .LBB159_843
; %bb.836:
	global_load_u8 v6, v[4:5], off
	s_mov_b32 s31, 0
	s_mov_b32 s50, exec_lo
	s_wait_loadcnt 0x0
	v_cmpx_lt_i16_e32 0x7f, v6
	s_xor_b32 s50, exec_lo, s50
	s_cbranch_execz .LBB159_857
; %bb.837:
	s_mov_b32 s31, -1
	s_mov_b32 s51, exec_lo
	v_cmpx_eq_u16_e32 0x80, v6
; %bb.838:
	s_xor_b32 s31, exec_lo, -1
; %bb.839:
	s_or_b32 exec_lo, exec_lo, s51
	s_delay_alu instid0(SALU_CYCLE_1)
	s_and_b32 s31, s31, exec_lo
	s_or_saveexec_b32 s50, s50
	v_mov_b32_e32 v3, 0x7e00
	s_xor_b32 exec_lo, exec_lo, s50
	s_cbranch_execnz .LBB159_858
.LBB159_840:
	s_or_b32 exec_lo, exec_lo, s50
	s_and_saveexec_b32 s50, s31
	s_cbranch_execz .LBB159_842
.LBB159_841:
	v_and_b32_e32 v3, 0xffff, v6
	s_delay_alu instid0(VALU_DEP_1) | instskip(SKIP_1) | instid1(VALU_DEP_2)
	v_and_b32_e32 v7, 7, v3
	v_bfe_u32 v11, v3, 3, 4
	v_clz_i32_u32_e32 v9, v7
	s_delay_alu instid0(VALU_DEP_2) | instskip(NEXT) | instid1(VALU_DEP_2)
	v_cmp_eq_u32_e32 vcc_lo, 0, v11
	v_min_u32_e32 v9, 32, v9
	s_delay_alu instid0(VALU_DEP_1) | instskip(NEXT) | instid1(VALU_DEP_1)
	v_subrev_nc_u32_e32 v10, 28, v9
	v_dual_lshlrev_b32 v3, v10, v3 :: v_dual_sub_nc_u32 v9, 29, v9
	s_delay_alu instid0(VALU_DEP_1) | instskip(NEXT) | instid1(VALU_DEP_2)
	v_dual_lshlrev_b32 v6, 24, v6 :: v_dual_bitop2_b32 v3, 7, v3 bitop3:0x40
	v_cndmask_b32_e32 v9, v11, v9, vcc_lo
	s_delay_alu instid0(VALU_DEP_2) | instskip(NEXT) | instid1(VALU_DEP_3)
	v_cndmask_b32_e32 v3, v7, v3, vcc_lo
	v_and_b32_e32 v6, 0x80000000, v6
	s_delay_alu instid0(VALU_DEP_3) | instskip(NEXT) | instid1(VALU_DEP_3)
	v_lshl_add_u32 v7, v9, 23, 0x3b800000
	v_lshlrev_b32_e32 v3, 20, v3
	s_delay_alu instid0(VALU_DEP_1) | instskip(NEXT) | instid1(VALU_DEP_1)
	v_or3_b32 v3, v6, v7, v3
	v_cvt_f16_f32_e32 v3, v3
.LBB159_842:
	s_or_b32 exec_lo, exec_lo, s50
.LBB159_843:
	s_mov_b32 s31, -1
.LBB159_844:
	s_mov_b32 s50, 0
.LBB159_845:
	s_delay_alu instid0(SALU_CYCLE_1)
	s_and_b32 vcc_lo, exec_lo, s50
	s_cbranch_vccz .LBB159_880
; %bb.846:
	s_cmp_gt_i32 s0, 22
	s_cbranch_scc0 .LBB159_856
; %bb.847:
	s_cmp_lt_i32 s0, 24
	s_cbranch_scc1 .LBB159_859
; %bb.848:
	s_cmp_gt_i32 s0, 24
	s_cbranch_scc0 .LBB159_860
; %bb.849:
	global_load_u8 v6, v[4:5], off
	s_mov_b32 s31, 0
	s_mov_b32 s50, exec_lo
	s_wait_loadcnt 0x0
	v_cmpx_lt_i16_e32 0x7f, v6
	s_xor_b32 s50, exec_lo, s50
	s_cbranch_execz .LBB159_872
; %bb.850:
	s_mov_b32 s31, -1
	s_mov_b32 s51, exec_lo
	v_cmpx_eq_u16_e32 0x80, v6
; %bb.851:
	s_xor_b32 s31, exec_lo, -1
; %bb.852:
	s_or_b32 exec_lo, exec_lo, s51
	s_delay_alu instid0(SALU_CYCLE_1)
	s_and_b32 s31, s31, exec_lo
	s_or_saveexec_b32 s50, s50
	v_mov_b32_e32 v3, 0x7e00
	s_xor_b32 exec_lo, exec_lo, s50
	s_cbranch_execnz .LBB159_873
.LBB159_853:
	s_or_b32 exec_lo, exec_lo, s50
	s_and_saveexec_b32 s50, s31
	s_cbranch_execz .LBB159_855
.LBB159_854:
	v_and_b32_e32 v3, 0xffff, v6
	s_delay_alu instid0(VALU_DEP_1) | instskip(SKIP_1) | instid1(VALU_DEP_2)
	v_and_b32_e32 v7, 3, v3
	v_bfe_u32 v11, v3, 2, 5
	v_clz_i32_u32_e32 v9, v7
	s_delay_alu instid0(VALU_DEP_2) | instskip(NEXT) | instid1(VALU_DEP_2)
	v_cmp_eq_u32_e32 vcc_lo, 0, v11
	v_min_u32_e32 v9, 32, v9
	s_delay_alu instid0(VALU_DEP_1) | instskip(NEXT) | instid1(VALU_DEP_1)
	v_subrev_nc_u32_e32 v10, 29, v9
	v_dual_lshlrev_b32 v3, v10, v3 :: v_dual_sub_nc_u32 v9, 30, v9
	s_delay_alu instid0(VALU_DEP_1) | instskip(NEXT) | instid1(VALU_DEP_2)
	v_dual_lshlrev_b32 v6, 24, v6 :: v_dual_bitop2_b32 v3, 3, v3 bitop3:0x40
	v_cndmask_b32_e32 v9, v11, v9, vcc_lo
	s_delay_alu instid0(VALU_DEP_2) | instskip(NEXT) | instid1(VALU_DEP_3)
	v_cndmask_b32_e32 v3, v7, v3, vcc_lo
	v_and_b32_e32 v6, 0x80000000, v6
	s_delay_alu instid0(VALU_DEP_3) | instskip(NEXT) | instid1(VALU_DEP_3)
	v_lshl_add_u32 v7, v9, 23, 0x37800000
	v_lshlrev_b32_e32 v3, 21, v3
	s_delay_alu instid0(VALU_DEP_1) | instskip(NEXT) | instid1(VALU_DEP_1)
	v_or3_b32 v3, v6, v7, v3
	v_cvt_f16_f32_e32 v3, v3
.LBB159_855:
	s_or_b32 exec_lo, exec_lo, s50
	s_mov_b32 s31, 0
	s_branch .LBB159_861
.LBB159_856:
	s_mov_b32 s50, -1
                                        ; implicit-def: $vgpr3
	s_branch .LBB159_867
.LBB159_857:
	s_or_saveexec_b32 s50, s50
	v_mov_b32_e32 v3, 0x7e00
	s_xor_b32 exec_lo, exec_lo, s50
	s_cbranch_execz .LBB159_840
.LBB159_858:
	v_cmp_ne_u16_e32 vcc_lo, 0, v6
	v_mov_b32_e32 v3, v6
	s_and_not1_b32 s31, s31, exec_lo
	s_and_b32 s51, vcc_lo, exec_lo
	s_delay_alu instid0(SALU_CYCLE_1)
	s_or_b32 s31, s31, s51
	s_or_b32 exec_lo, exec_lo, s50
	s_and_saveexec_b32 s50, s31
	s_cbranch_execnz .LBB159_841
	s_branch .LBB159_842
.LBB159_859:
	s_mov_b32 s31, -1
                                        ; implicit-def: $vgpr3
	s_branch .LBB159_864
.LBB159_860:
	s_mov_b32 s31, -1
                                        ; implicit-def: $vgpr3
.LBB159_861:
	s_delay_alu instid0(SALU_CYCLE_1)
	s_and_b32 vcc_lo, exec_lo, s31
	s_cbranch_vccz .LBB159_863
; %bb.862:
	global_load_u8 v3, v[4:5], off
	s_wait_loadcnt 0x0
	v_lshlrev_b32_e32 v3, 24, v3
	s_wait_xcnt 0x1
	s_delay_alu instid0(VALU_DEP_1) | instskip(NEXT) | instid1(VALU_DEP_1)
	v_and_b32_e32 v6, 0x7f000000, v3
	v_clz_i32_u32_e32 v7, v6
	v_add_nc_u32_e32 v10, 0x1000000, v6
	v_cmp_ne_u32_e32 vcc_lo, 0, v6
	s_delay_alu instid0(VALU_DEP_3) | instskip(NEXT) | instid1(VALU_DEP_1)
	v_min_u32_e32 v7, 32, v7
	v_sub_nc_u32_e64 v7, v7, 4 clamp
	s_delay_alu instid0(VALU_DEP_1) | instskip(NEXT) | instid1(VALU_DEP_1)
	v_dual_lshlrev_b32 v9, v7, v6 :: v_dual_lshlrev_b32 v7, 23, v7
	v_lshrrev_b32_e32 v9, 4, v9
	s_delay_alu instid0(VALU_DEP_1) | instskip(NEXT) | instid1(VALU_DEP_1)
	v_dual_sub_nc_u32 v7, v9, v7 :: v_dual_ashrrev_i32 v9, 8, v10
	v_add_nc_u32_e32 v7, 0x3c000000, v7
	s_delay_alu instid0(VALU_DEP_1) | instskip(NEXT) | instid1(VALU_DEP_1)
	v_and_or_b32 v7, 0x7f800000, v9, v7
	v_cndmask_b32_e32 v6, 0, v7, vcc_lo
	s_delay_alu instid0(VALU_DEP_1) | instskip(NEXT) | instid1(VALU_DEP_1)
	v_and_or_b32 v3, 0x80000000, v3, v6
	v_cvt_f16_f32_e32 v3, v3
.LBB159_863:
	s_mov_b32 s31, 0
.LBB159_864:
	s_delay_alu instid0(SALU_CYCLE_1)
	s_and_not1_b32 vcc_lo, exec_lo, s31
	s_cbranch_vccnz .LBB159_866
; %bb.865:
	global_load_u8 v3, v[4:5], off
	s_wait_loadcnt 0x0
	s_wait_xcnt 0x1
	v_lshlrev_b32_e32 v6, 25, v3
	v_lshlrev_b16 v3, 8, v3
	s_delay_alu instid0(VALU_DEP_1) | instskip(SKIP_1) | instid1(VALU_DEP_2)
	v_and_or_b32 v9, 0x7f00, v3, 0.5
	v_bfe_i32 v3, v3, 0, 16
	v_dual_add_f32 v9, -0.5, v9 :: v_dual_lshrrev_b32 v7, 4, v6
	v_cmp_gt_u32_e32 vcc_lo, 0x8000000, v6
	s_delay_alu instid0(VALU_DEP_2) | instskip(NEXT) | instid1(VALU_DEP_1)
	v_or_b32_e32 v7, 0x70000000, v7
	v_mul_f32_e32 v7, 0x7800000, v7
	s_delay_alu instid0(VALU_DEP_1) | instskip(NEXT) | instid1(VALU_DEP_1)
	v_cndmask_b32_e32 v6, v7, v9, vcc_lo
	v_and_or_b32 v3, 0x80000000, v3, v6
	s_delay_alu instid0(VALU_DEP_1)
	v_cvt_f16_f32_e32 v3, v3
.LBB159_866:
	s_mov_b32 s50, 0
	s_mov_b32 s31, -1
.LBB159_867:
	s_and_not1_b32 vcc_lo, exec_lo, s50
	s_cbranch_vccnz .LBB159_880
; %bb.868:
	s_cmp_gt_i32 s0, 14
	s_cbranch_scc0 .LBB159_871
; %bb.869:
	s_cmp_eq_u32 s0, 15
	s_cbranch_scc0 .LBB159_874
; %bb.870:
	global_load_u16 v3, v[4:5], off
	s_mov_b32 s31, -1
	s_mov_b32 s30, 0
	s_wait_loadcnt 0x0
	v_lshlrev_b32_e32 v3, 16, v3
	s_delay_alu instid0(VALU_DEP_1)
	v_cvt_f16_f32_e32 v3, v3
	s_branch .LBB159_875
.LBB159_871:
	s_mov_b32 s50, -1
                                        ; implicit-def: $vgpr3
	s_branch .LBB159_876
.LBB159_872:
	s_or_saveexec_b32 s50, s50
	v_mov_b32_e32 v3, 0x7e00
	s_xor_b32 exec_lo, exec_lo, s50
	s_cbranch_execz .LBB159_853
.LBB159_873:
	v_cmp_ne_u16_e32 vcc_lo, 0, v6
	v_mov_b32_e32 v3, v6
	s_and_not1_b32 s31, s31, exec_lo
	s_and_b32 s51, vcc_lo, exec_lo
	s_delay_alu instid0(SALU_CYCLE_1)
	s_or_b32 s31, s31, s51
	s_or_b32 exec_lo, exec_lo, s50
	s_and_saveexec_b32 s50, s31
	s_cbranch_execnz .LBB159_854
	s_branch .LBB159_855
.LBB159_874:
	s_mov_b32 s30, -1
                                        ; implicit-def: $vgpr3
.LBB159_875:
	s_mov_b32 s50, 0
.LBB159_876:
	s_delay_alu instid0(SALU_CYCLE_1)
	s_and_b32 vcc_lo, exec_lo, s50
	s_cbranch_vccz .LBB159_880
; %bb.877:
	s_cmp_eq_u32 s0, 11
	s_cbranch_scc0 .LBB159_879
; %bb.878:
	global_load_u8 v3, v[4:5], off
	s_mov_b32 s30, 0
	s_mov_b32 s31, -1
	s_wait_loadcnt 0x0
	v_cmp_ne_u16_e32 vcc_lo, 0, v3
	v_cndmask_b32_e64 v3, 0, 0x3c00, vcc_lo
	s_branch .LBB159_880
.LBB159_879:
	s_mov_b32 s30, -1
                                        ; implicit-def: $vgpr3
.LBB159_880:
	s_mov_b32 s50, 0
.LBB159_881:
	s_delay_alu instid0(SALU_CYCLE_1)
	s_and_b32 vcc_lo, exec_lo, s50
	s_cbranch_vccz .LBB159_930
; %bb.882:
	s_cmp_lt_i32 s0, 5
	s_cbranch_scc1 .LBB159_887
; %bb.883:
	s_cmp_lt_i32 s0, 8
	s_cbranch_scc1 .LBB159_888
	;; [unrolled: 3-line block ×3, first 2 shown]
; %bb.885:
	s_cmp_gt_i32 s0, 9
	s_cbranch_scc0 .LBB159_890
; %bb.886:
	global_load_b64 v[6:7], v[4:5], off
	s_mov_b32 s31, 0
	s_wait_loadcnt 0x0
	v_and_or_b32 v3, 0x1ff, v7, v6
	v_lshrrev_b32_e32 v6, 8, v7
	v_bfe_u32 v9, v7, 20, 11
	s_delay_alu instid0(VALU_DEP_3) | instskip(NEXT) | instid1(VALU_DEP_2)
	v_cmp_ne_u32_e32 vcc_lo, 0, v3
	v_sub_nc_u32_e32 v10, 0x3f1, v9
	v_cndmask_b32_e64 v3, 0, 1, vcc_lo
	s_delay_alu instid0(VALU_DEP_1) | instskip(NEXT) | instid1(VALU_DEP_3)
	v_and_or_b32 v3, 0xffe, v6, v3
	v_med3_i32 v6, v10, 0, 13
	s_delay_alu instid0(VALU_DEP_2) | instskip(NEXT) | instid1(VALU_DEP_1)
	v_or_b32_e32 v10, 0x1000, v3
	v_lshrrev_b32_e32 v11, v6, v10
	s_delay_alu instid0(VALU_DEP_1) | instskip(NEXT) | instid1(VALU_DEP_1)
	v_lshlrev_b32_e32 v6, v6, v11
	v_cmp_ne_u32_e32 vcc_lo, v6, v10
	v_cndmask_b32_e64 v6, 0, 1, vcc_lo
	s_delay_alu instid0(VALU_DEP_1) | instskip(SKIP_1) | instid1(VALU_DEP_1)
	v_or_b32_e32 v6, v11, v6
	v_add_nc_u32_e32 v9, 0xfffffc10, v9
	v_lshl_or_b32 v10, v9, 12, v3
	v_cmp_gt_i32_e32 vcc_lo, 1, v9
	s_delay_alu instid0(VALU_DEP_2) | instskip(NEXT) | instid1(VALU_DEP_1)
	v_cndmask_b32_e32 v6, v10, v6, vcc_lo
	v_dual_lshrrev_b32 v6, 2, v6 :: v_dual_bitop2_b32 v10, 7, v6 bitop3:0x40
	s_delay_alu instid0(VALU_DEP_1) | instskip(SKIP_4) | instid1(VALU_DEP_2)
	v_cmp_lt_i32_e32 vcc_lo, 5, v10
	v_cndmask_b32_e64 v11, 0, 1, vcc_lo
	v_cmp_eq_u32_e32 vcc_lo, 3, v10
	v_cndmask_b32_e64 v10, 0, 1, vcc_lo
	v_cmp_ne_u32_e32 vcc_lo, 0, v3
	v_or_b32_e32 v10, v10, v11
	s_delay_alu instid0(VALU_DEP_1) | instskip(NEXT) | instid1(VALU_DEP_1)
	v_dual_mov_b32 v11, 0x7e00 :: v_dual_add_nc_u32 v6, v6, v10
	v_cndmask_b32_e32 v3, 0x7c00, v11, vcc_lo
	v_cmp_gt_i32_e32 vcc_lo, 31, v9
	s_delay_alu instid0(VALU_DEP_3) | instskip(SKIP_1) | instid1(VALU_DEP_2)
	v_cndmask_b32_e32 v6, 0x7c00, v6, vcc_lo
	v_cmp_eq_u32_e32 vcc_lo, 0x40f, v9
	v_cndmask_b32_e32 v3, v6, v3, vcc_lo
	v_lshrrev_b32_e32 v6, 16, v7
	s_delay_alu instid0(VALU_DEP_1)
	v_and_or_b32 v3, 0x8000, v6, v3
	s_branch .LBB159_891
.LBB159_887:
	s_mov_b32 s31, -1
                                        ; implicit-def: $vgpr3
	s_branch .LBB159_909
.LBB159_888:
	s_mov_b32 s31, -1
                                        ; implicit-def: $vgpr3
	s_branch .LBB159_897
.LBB159_889:
	s_mov_b32 s31, -1
                                        ; implicit-def: $vgpr3
	s_branch .LBB159_894
.LBB159_890:
	s_mov_b32 s31, -1
                                        ; implicit-def: $vgpr3
.LBB159_891:
	s_delay_alu instid0(SALU_CYCLE_1)
	s_and_not1_b32 vcc_lo, exec_lo, s31
	s_cbranch_vccnz .LBB159_893
; %bb.892:
	global_load_b32 v3, v[4:5], off
	s_wait_loadcnt 0x0
	v_cvt_f16_f32_e32 v3, v3
.LBB159_893:
	s_mov_b32 s31, 0
.LBB159_894:
	s_delay_alu instid0(SALU_CYCLE_1)
	s_and_not1_b32 vcc_lo, exec_lo, s31
	s_cbranch_vccnz .LBB159_896
; %bb.895:
	global_load_b32 v3, v[4:5], off
.LBB159_896:
	s_mov_b32 s31, 0
.LBB159_897:
	s_delay_alu instid0(SALU_CYCLE_1)
	s_and_not1_b32 vcc_lo, exec_lo, s31
	s_cbranch_vccnz .LBB159_908
; %bb.898:
	s_cmp_lt_i32 s0, 6
	s_cbranch_scc1 .LBB159_901
; %bb.899:
	s_cmp_gt_i32 s0, 6
	s_cbranch_scc0 .LBB159_902
; %bb.900:
	global_load_b64 v[6:7], v[4:5], off
	s_mov_b32 s31, 0
	s_wait_loadcnt 0x0
	v_and_or_b32 v3, 0x1ff, v7, v6
	v_lshrrev_b32_e32 v6, 8, v7
	v_bfe_u32 v9, v7, 20, 11
	s_delay_alu instid0(VALU_DEP_3) | instskip(NEXT) | instid1(VALU_DEP_2)
	v_cmp_ne_u32_e32 vcc_lo, 0, v3
	v_sub_nc_u32_e32 v10, 0x3f1, v9
	v_cndmask_b32_e64 v3, 0, 1, vcc_lo
	s_delay_alu instid0(VALU_DEP_1) | instskip(NEXT) | instid1(VALU_DEP_3)
	v_and_or_b32 v3, 0xffe, v6, v3
	v_med3_i32 v6, v10, 0, 13
	s_delay_alu instid0(VALU_DEP_2) | instskip(NEXT) | instid1(VALU_DEP_1)
	v_or_b32_e32 v10, 0x1000, v3
	v_lshrrev_b32_e32 v11, v6, v10
	s_delay_alu instid0(VALU_DEP_1) | instskip(NEXT) | instid1(VALU_DEP_1)
	v_lshlrev_b32_e32 v6, v6, v11
	v_cmp_ne_u32_e32 vcc_lo, v6, v10
	v_cndmask_b32_e64 v6, 0, 1, vcc_lo
	s_delay_alu instid0(VALU_DEP_1) | instskip(SKIP_1) | instid1(VALU_DEP_1)
	v_or_b32_e32 v6, v11, v6
	v_add_nc_u32_e32 v9, 0xfffffc10, v9
	v_lshl_or_b32 v10, v9, 12, v3
	v_cmp_gt_i32_e32 vcc_lo, 1, v9
	s_delay_alu instid0(VALU_DEP_2) | instskip(NEXT) | instid1(VALU_DEP_1)
	v_cndmask_b32_e32 v6, v10, v6, vcc_lo
	v_dual_lshrrev_b32 v6, 2, v6 :: v_dual_bitop2_b32 v10, 7, v6 bitop3:0x40
	s_delay_alu instid0(VALU_DEP_1) | instskip(SKIP_4) | instid1(VALU_DEP_2)
	v_cmp_lt_i32_e32 vcc_lo, 5, v10
	v_cndmask_b32_e64 v11, 0, 1, vcc_lo
	v_cmp_eq_u32_e32 vcc_lo, 3, v10
	v_cndmask_b32_e64 v10, 0, 1, vcc_lo
	v_cmp_ne_u32_e32 vcc_lo, 0, v3
	v_or_b32_e32 v10, v10, v11
	s_delay_alu instid0(VALU_DEP_1) | instskip(NEXT) | instid1(VALU_DEP_1)
	v_dual_mov_b32 v11, 0x7e00 :: v_dual_add_nc_u32 v6, v6, v10
	v_cndmask_b32_e32 v3, 0x7c00, v11, vcc_lo
	v_cmp_gt_i32_e32 vcc_lo, 31, v9
	s_delay_alu instid0(VALU_DEP_3) | instskip(SKIP_1) | instid1(VALU_DEP_2)
	v_cndmask_b32_e32 v6, 0x7c00, v6, vcc_lo
	v_cmp_eq_u32_e32 vcc_lo, 0x40f, v9
	v_cndmask_b32_e32 v3, v6, v3, vcc_lo
	v_lshrrev_b32_e32 v6, 16, v7
	s_delay_alu instid0(VALU_DEP_1)
	v_and_or_b32 v3, 0x8000, v6, v3
	s_branch .LBB159_903
.LBB159_901:
	s_mov_b32 s31, -1
                                        ; implicit-def: $vgpr3
	s_branch .LBB159_906
.LBB159_902:
	s_mov_b32 s31, -1
                                        ; implicit-def: $vgpr3
.LBB159_903:
	s_delay_alu instid0(SALU_CYCLE_1)
	s_and_not1_b32 vcc_lo, exec_lo, s31
	s_cbranch_vccnz .LBB159_905
; %bb.904:
	s_wait_loadcnt 0x0
	global_load_b32 v3, v[4:5], off
	s_wait_loadcnt 0x0
	v_cvt_f16_f32_e32 v3, v3
.LBB159_905:
	s_mov_b32 s31, 0
.LBB159_906:
	s_delay_alu instid0(SALU_CYCLE_1)
	s_and_not1_b32 vcc_lo, exec_lo, s31
	s_cbranch_vccnz .LBB159_908
; %bb.907:
	s_wait_loadcnt 0x0
	global_load_u16 v3, v[4:5], off
.LBB159_908:
	s_mov_b32 s31, 0
.LBB159_909:
	s_delay_alu instid0(SALU_CYCLE_1)
	s_and_not1_b32 vcc_lo, exec_lo, s31
	s_cbranch_vccnz .LBB159_929
; %bb.910:
	s_cmp_lt_i32 s0, 2
	s_cbranch_scc1 .LBB159_914
; %bb.911:
	s_cmp_lt_i32 s0, 3
	s_cbranch_scc1 .LBB159_915
; %bb.912:
	s_cmp_gt_i32 s0, 3
	s_cbranch_scc0 .LBB159_916
; %bb.913:
	global_load_b64 v[6:7], v[4:5], off
	s_mov_b32 s31, 0
	s_wait_loadcnt 0x0
	v_xor_b32_e32 v3, v6, v7
	v_cls_i32_e32 v9, v7
	s_delay_alu instid0(VALU_DEP_2) | instskip(NEXT) | instid1(VALU_DEP_1)
	v_ashrrev_i32_e32 v3, 31, v3
	v_add_nc_u32_e32 v3, 32, v3
	s_delay_alu instid0(VALU_DEP_1) | instskip(NEXT) | instid1(VALU_DEP_1)
	v_add_min_u32_e64 v3, v9, -1, v3
	v_lshlrev_b64_e32 v[6:7], v3, v[6:7]
	v_sub_nc_u32_e32 v3, 32, v3
	s_delay_alu instid0(VALU_DEP_2) | instskip(NEXT) | instid1(VALU_DEP_1)
	v_min_u32_e32 v6, 1, v6
	v_or_b32_e32 v6, v7, v6
	s_delay_alu instid0(VALU_DEP_1) | instskip(NEXT) | instid1(VALU_DEP_1)
	v_cvt_f32_i32_e32 v6, v6
	v_ldexp_f32 v3, v6, v3
	s_delay_alu instid0(VALU_DEP_1)
	v_cvt_f16_f32_e32 v3, v3
	s_branch .LBB159_917
.LBB159_914:
	s_mov_b32 s31, -1
                                        ; implicit-def: $vgpr3
	s_branch .LBB159_923
.LBB159_915:
	s_mov_b32 s31, -1
                                        ; implicit-def: $vgpr3
	s_branch .LBB159_920
.LBB159_916:
	s_mov_b32 s31, -1
                                        ; implicit-def: $vgpr3
.LBB159_917:
	s_delay_alu instid0(SALU_CYCLE_1)
	s_and_not1_b32 vcc_lo, exec_lo, s31
	s_cbranch_vccnz .LBB159_919
; %bb.918:
	s_wait_loadcnt 0x0
	global_load_b32 v3, v[4:5], off
	s_wait_loadcnt 0x0
	v_cvt_f32_i32_e32 v3, v3
	s_delay_alu instid0(VALU_DEP_1)
	v_cvt_f16_f32_e32 v3, v3
.LBB159_919:
	s_mov_b32 s31, 0
.LBB159_920:
	s_delay_alu instid0(SALU_CYCLE_1)
	s_and_not1_b32 vcc_lo, exec_lo, s31
	s_cbranch_vccnz .LBB159_922
; %bb.921:
	s_wait_loadcnt 0x0
	global_load_u16 v3, v[4:5], off
	s_wait_loadcnt 0x0
	v_cvt_f16_i16_e32 v3, v3
.LBB159_922:
	s_mov_b32 s31, 0
.LBB159_923:
	s_delay_alu instid0(SALU_CYCLE_1)
	s_and_not1_b32 vcc_lo, exec_lo, s31
	s_cbranch_vccnz .LBB159_929
; %bb.924:
	s_cmp_gt_i32 s0, 0
	s_mov_b32 s0, 0
	s_cbranch_scc0 .LBB159_926
; %bb.925:
	s_wait_loadcnt 0x0
	global_load_i8 v3, v[4:5], off
	s_wait_loadcnt 0x0
	v_cvt_f16_i16_e32 v3, v3
	s_branch .LBB159_927
.LBB159_926:
	s_mov_b32 s0, -1
                                        ; implicit-def: $vgpr3
.LBB159_927:
	s_delay_alu instid0(SALU_CYCLE_1)
	s_and_not1_b32 vcc_lo, exec_lo, s0
	s_cbranch_vccnz .LBB159_929
; %bb.928:
	s_wait_loadcnt 0x0
	global_load_u8 v3, v[4:5], off
	s_wait_loadcnt 0x0
	v_cvt_f16_u16_e32 v3, v3
.LBB159_929:
	s_mov_b32 s31, -1
.LBB159_930:
	s_delay_alu instid0(SALU_CYCLE_1)
	s_and_not1_b32 vcc_lo, exec_lo, s31
	s_cbranch_vccnz .LBB159_938
; %bb.931:
	s_wait_loadcnt 0x0
	v_cmp_gt_f16_e32 vcc_lo, v1, v8
	s_and_b32 s31, s38, 0xff
	s_delay_alu instid0(SALU_CYCLE_1) | instskip(SKIP_2) | instid1(VALU_DEP_1)
	s_cmp_lt_i32 s31, 11
	s_wait_xcnt 0x0
	v_cndmask_b32_e32 v4, v8, v1, vcc_lo
	v_cmp_lt_f16_e32 vcc_lo, v4, v3
	v_cndmask_b32_e32 v4, v3, v4, vcc_lo
	v_cmp_u_f16_e32 vcc_lo, v3, v3
	s_delay_alu instid0(VALU_DEP_2) | instskip(SKIP_1) | instid1(VALU_DEP_2)
	v_cndmask_b32_e32 v4, v4, v3, vcc_lo
	v_cmp_u_f16_e32 vcc_lo, v8, v8
	v_dual_mov_b32 v3, 0 :: v_dual_cndmask_b32 v4, v4, v8
	v_cmp_u_f16_e32 vcc_lo, v1, v1
	s_delay_alu instid0(VALU_DEP_2) | instskip(NEXT) | instid1(VALU_DEP_3)
	v_add_nc_u64_e32 v[2:3], s[4:5], v[2:3]
	v_cndmask_b32_e32 v1, v4, v1, vcc_lo
	s_cbranch_scc1 .LBB159_939
; %bb.932:
	s_and_b32 s50, 0xffff, s31
	s_delay_alu instid0(SALU_CYCLE_1)
	s_cmp_gt_i32 s50, 25
	s_cbranch_scc0 .LBB159_940
; %bb.933:
	s_cmp_gt_i32 s50, 28
	s_cbranch_scc0 .LBB159_941
; %bb.934:
	;; [unrolled: 3-line block ×4, first 2 shown]
	s_mov_b32 s52, 0
	s_mov_b32 s0, -1
	s_cmp_eq_u32 s50, 46
	s_mov_b32 s51, 0
	s_cbranch_scc0 .LBB159_944
; %bb.937:
	v_cvt_f32_f16_e32 v4, v1
	v_cmp_o_f16_e32 vcc_lo, v1, v1
	s_mov_b32 s51, -1
	s_mov_b32 s0, 0
	s_delay_alu instid0(VALU_DEP_2) | instskip(NEXT) | instid1(VALU_DEP_1)
	v_bfe_u32 v5, v4, 16, 1
	v_add3_u32 v4, v4, v5, 0x7fff
	s_delay_alu instid0(VALU_DEP_1) | instskip(NEXT) | instid1(VALU_DEP_1)
	v_lshrrev_b32_e32 v4, 16, v4
	v_cndmask_b32_e32 v4, 0x7fc0, v4, vcc_lo
	global_store_b32 v[2:3], v4, off
	s_branch .LBB159_944
.LBB159_938:
	s_mov_b32 s31, 0
	s_mov_b32 s0, s43
	s_branch .LBB159_1055
.LBB159_939:
	s_mov_b32 s50, -1
	s_mov_b32 s51, 0
	s_mov_b32 s0, s43
	s_branch .LBB159_1013
.LBB159_940:
	s_mov_b32 s52, -1
	s_mov_b32 s51, 0
	s_mov_b32 s0, s43
	s_branch .LBB159_971
.LBB159_941:
	s_mov_b32 s52, -1
	s_mov_b32 s51, 0
	s_mov_b32 s0, s43
	s_branch .LBB159_954
.LBB159_942:
	s_mov_b32 s52, -1
	s_mov_b32 s51, 0
	s_mov_b32 s0, s43
	s_branch .LBB159_950
.LBB159_943:
	s_mov_b32 s52, -1
	s_mov_b32 s51, 0
	s_mov_b32 s0, s43
.LBB159_944:
	s_and_b32 vcc_lo, exec_lo, s52
	s_cbranch_vccz .LBB159_949
; %bb.945:
	s_cmp_eq_u32 s50, 44
	s_mov_b32 s0, -1
	s_cbranch_scc0 .LBB159_949
; %bb.946:
	s_wait_xcnt 0x0
	v_cvt_f32_f16_e32 v4, v1
	v_mov_b32_e32 v5, 0xff
	s_mov_b32 s51, exec_lo
	s_delay_alu instid0(VALU_DEP_2) | instskip(NEXT) | instid1(VALU_DEP_1)
	v_bfe_u32 v6, v4, 23, 8
	v_cmpx_ne_u32_e32 0xff, v6
	s_cbranch_execz .LBB159_948
; %bb.947:
	v_and_b32_e32 v5, 0x400000, v4
	v_and_or_b32 v6, 0x3fffff, v4, v6
	v_lshrrev_b32_e32 v4, 23, v4
	s_delay_alu instid0(VALU_DEP_3) | instskip(NEXT) | instid1(VALU_DEP_3)
	v_cmp_ne_u32_e32 vcc_lo, 0, v5
	v_cmp_ne_u32_e64 s0, 0, v6
	s_and_b32 s0, vcc_lo, s0
	s_delay_alu instid0(SALU_CYCLE_1) | instskip(NEXT) | instid1(VALU_DEP_1)
	v_cndmask_b32_e64 v5, 0, 1, s0
	v_add_nc_u32_e32 v5, v4, v5
.LBB159_948:
	s_or_b32 exec_lo, exec_lo, s51
	s_mov_b32 s51, -1
	s_mov_b32 s0, 0
	global_store_b8 v[2:3], v5, off
.LBB159_949:
	s_mov_b32 s52, 0
.LBB159_950:
	s_delay_alu instid0(SALU_CYCLE_1)
	s_and_b32 vcc_lo, exec_lo, s52
	s_cbranch_vccz .LBB159_953
; %bb.951:
	s_cmp_eq_u32 s50, 29
	s_mov_b32 s0, -1
	s_cbranch_scc0 .LBB159_953
; %bb.952:
	s_wait_xcnt 0x0
	v_cvt_f32_f16_e32 v4, v1
	v_mov_b32_e32 v5, 0
	s_mov_b32 s51, -1
	s_mov_b32 s0, 0
	s_mov_b32 s52, 0
	v_cvt_u32_f32_e32 v4, v4
	global_store_b64 v[2:3], v[4:5], off
	s_branch .LBB159_954
.LBB159_953:
	s_mov_b32 s52, 0
.LBB159_954:
	s_delay_alu instid0(SALU_CYCLE_1)
	s_and_b32 vcc_lo, exec_lo, s52
	s_cbranch_vccz .LBB159_970
; %bb.955:
	s_cmp_lt_i32 s50, 27
	s_mov_b32 s51, -1
	s_cbranch_scc1 .LBB159_961
; %bb.956:
	s_cmp_gt_i32 s50, 27
	s_cbranch_scc0 .LBB159_958
; %bb.957:
	s_wait_xcnt 0x0
	v_cvt_f32_f16_e32 v4, v1
	s_mov_b32 s51, 0
	s_delay_alu instid0(VALU_DEP_1)
	v_cvt_u32_f32_e32 v4, v4
	global_store_b32 v[2:3], v4, off
.LBB159_958:
	s_and_not1_b32 vcc_lo, exec_lo, s51
	s_cbranch_vccnz .LBB159_960
; %bb.959:
	s_wait_xcnt 0x0
	v_cvt_u16_f16_e32 v4, v1
	global_store_b16 v[2:3], v4, off
.LBB159_960:
	s_mov_b32 s51, 0
.LBB159_961:
	s_delay_alu instid0(SALU_CYCLE_1)
	s_and_not1_b32 vcc_lo, exec_lo, s51
	s_cbranch_vccnz .LBB159_969
; %bb.962:
	s_wait_xcnt 0x0
	v_cvt_f32_f16_e32 v4, v1
	v_mov_b32_e32 v6, 0x80
	s_mov_b32 s51, exec_lo
	s_delay_alu instid0(VALU_DEP_2) | instskip(NEXT) | instid1(VALU_DEP_1)
	v_and_b32_e32 v5, 0x7fffffff, v4
	v_cmpx_gt_u32_e32 0x43800000, v5
	s_cbranch_execz .LBB159_968
; %bb.963:
	v_cmp_lt_u32_e32 vcc_lo, 0x3bffffff, v5
	s_mov_b32 s52, 0
                                        ; implicit-def: $vgpr5
	s_and_saveexec_b32 s53, vcc_lo
	s_delay_alu instid0(SALU_CYCLE_1)
	s_xor_b32 s53, exec_lo, s53
	s_cbranch_execz .LBB159_1213
; %bb.964:
	v_bfe_u32 v5, v4, 20, 1
	s_mov_b32 s52, exec_lo
	s_delay_alu instid0(VALU_DEP_1) | instskip(NEXT) | instid1(VALU_DEP_1)
	v_add3_u32 v5, v4, v5, 0x487ffff
	v_lshrrev_b32_e32 v5, 20, v5
	s_and_not1_saveexec_b32 s53, s53
	s_cbranch_execnz .LBB159_1214
.LBB159_965:
	s_or_b32 exec_lo, exec_lo, s53
	v_mov_b32_e32 v6, 0
	s_and_saveexec_b32 s53, s52
.LBB159_966:
	v_lshrrev_b32_e32 v4, 24, v4
	s_delay_alu instid0(VALU_DEP_1)
	v_and_or_b32 v6, 0x80, v4, v5
.LBB159_967:
	s_or_b32 exec_lo, exec_lo, s53
.LBB159_968:
	s_delay_alu instid0(SALU_CYCLE_1)
	s_or_b32 exec_lo, exec_lo, s51
	global_store_b8 v[2:3], v6, off
.LBB159_969:
	s_mov_b32 s51, -1
.LBB159_970:
	s_mov_b32 s52, 0
.LBB159_971:
	s_delay_alu instid0(SALU_CYCLE_1)
	s_and_b32 vcc_lo, exec_lo, s52
	s_cbranch_vccz .LBB159_1012
; %bb.972:
	s_cmp_gt_i32 s50, 22
	s_mov_b32 s52, -1
	s_cbranch_scc0 .LBB159_1004
; %bb.973:
	s_cmp_lt_i32 s50, 24
	s_mov_b32 s51, -1
	s_cbranch_scc1 .LBB159_993
; %bb.974:
	s_cmp_gt_i32 s50, 24
	s_cbranch_scc0 .LBB159_982
; %bb.975:
	s_wait_xcnt 0x0
	v_cvt_f32_f16_e32 v4, v1
	v_mov_b32_e32 v6, 0x80
	s_mov_b32 s51, exec_lo
	s_delay_alu instid0(VALU_DEP_2) | instskip(NEXT) | instid1(VALU_DEP_1)
	v_and_b32_e32 v5, 0x7fffffff, v4
	v_cmpx_gt_u32_e32 0x47800000, v5
	s_cbranch_execz .LBB159_981
; %bb.976:
	v_cmp_lt_u32_e32 vcc_lo, 0x37ffffff, v5
	s_mov_b32 s52, 0
                                        ; implicit-def: $vgpr5
	s_and_saveexec_b32 s53, vcc_lo
	s_delay_alu instid0(SALU_CYCLE_1)
	s_xor_b32 s53, exec_lo, s53
	s_cbranch_execz .LBB159_1345
; %bb.977:
	v_bfe_u32 v5, v4, 21, 1
	s_mov_b32 s52, exec_lo
	s_delay_alu instid0(VALU_DEP_1) | instskip(NEXT) | instid1(VALU_DEP_1)
	v_add3_u32 v5, v4, v5, 0x88fffff
	v_lshrrev_b32_e32 v5, 21, v5
	s_and_not1_saveexec_b32 s53, s53
	s_cbranch_execnz .LBB159_1346
.LBB159_978:
	s_or_b32 exec_lo, exec_lo, s53
	v_mov_b32_e32 v6, 0
	s_and_saveexec_b32 s53, s52
.LBB159_979:
	v_lshrrev_b32_e32 v4, 24, v4
	s_delay_alu instid0(VALU_DEP_1)
	v_and_or_b32 v6, 0x80, v4, v5
.LBB159_980:
	s_or_b32 exec_lo, exec_lo, s53
.LBB159_981:
	s_delay_alu instid0(SALU_CYCLE_1)
	s_or_b32 exec_lo, exec_lo, s51
	s_mov_b32 s51, 0
	global_store_b8 v[2:3], v6, off
.LBB159_982:
	s_and_b32 vcc_lo, exec_lo, s51
	s_cbranch_vccz .LBB159_992
; %bb.983:
	s_wait_xcnt 0x0
	v_cvt_f32_f16_e32 v4, v1
	s_mov_b32 s51, exec_lo
                                        ; implicit-def: $vgpr5
	s_delay_alu instid0(VALU_DEP_1) | instskip(NEXT) | instid1(VALU_DEP_1)
	v_and_b32_e32 v6, 0x7fffffff, v4
	v_cmpx_gt_u32_e32 0x43f00000, v6
	s_xor_b32 s51, exec_lo, s51
	s_cbranch_execz .LBB159_989
; %bb.984:
	s_mov_b32 s52, exec_lo
                                        ; implicit-def: $vgpr5
	v_cmpx_lt_u32_e32 0x3c7fffff, v6
	s_xor_b32 s52, exec_lo, s52
; %bb.985:
	v_bfe_u32 v5, v4, 20, 1
	s_delay_alu instid0(VALU_DEP_1) | instskip(NEXT) | instid1(VALU_DEP_1)
	v_add3_u32 v5, v4, v5, 0x407ffff
	v_and_b32_e32 v6, 0xff00000, v5
	v_lshrrev_b32_e32 v5, 20, v5
	s_delay_alu instid0(VALU_DEP_2) | instskip(NEXT) | instid1(VALU_DEP_2)
	v_cmp_ne_u32_e32 vcc_lo, 0x7f00000, v6
	v_cndmask_b32_e32 v5, 0x7e, v5, vcc_lo
; %bb.986:
	s_and_not1_saveexec_b32 s52, s52
; %bb.987:
	v_add_f32_e64 v5, 0x46800000, |v4|
; %bb.988:
	s_or_b32 exec_lo, exec_lo, s52
                                        ; implicit-def: $vgpr6
.LBB159_989:
	s_and_not1_saveexec_b32 s51, s51
; %bb.990:
	v_mov_b32_e32 v5, 0x7f
	v_cmp_lt_u32_e32 vcc_lo, 0x7f800000, v6
	s_delay_alu instid0(VALU_DEP_2)
	v_cndmask_b32_e32 v5, 0x7e, v5, vcc_lo
; %bb.991:
	s_or_b32 exec_lo, exec_lo, s51
	v_lshrrev_b32_e32 v4, 24, v4
	s_delay_alu instid0(VALU_DEP_1)
	v_and_or_b32 v4, 0x80, v4, v5
	global_store_b8 v[2:3], v4, off
.LBB159_992:
	s_mov_b32 s51, 0
.LBB159_993:
	s_delay_alu instid0(SALU_CYCLE_1)
	s_and_not1_b32 vcc_lo, exec_lo, s51
	s_cbranch_vccnz .LBB159_1003
; %bb.994:
	s_wait_xcnt 0x0
	v_cvt_f32_f16_e32 v4, v1
	s_mov_b32 s51, exec_lo
                                        ; implicit-def: $vgpr5
	s_delay_alu instid0(VALU_DEP_1) | instskip(NEXT) | instid1(VALU_DEP_1)
	v_and_b32_e32 v6, 0x7fffffff, v4
	v_cmpx_gt_u32_e32 0x47800000, v6
	s_xor_b32 s51, exec_lo, s51
	s_cbranch_execz .LBB159_1000
; %bb.995:
	s_mov_b32 s52, exec_lo
                                        ; implicit-def: $vgpr5
	v_cmpx_lt_u32_e32 0x387fffff, v6
	s_xor_b32 s52, exec_lo, s52
; %bb.996:
	v_bfe_u32 v5, v4, 21, 1
	s_delay_alu instid0(VALU_DEP_1) | instskip(NEXT) | instid1(VALU_DEP_1)
	v_add3_u32 v5, v4, v5, 0x80fffff
	v_lshrrev_b32_e32 v5, 21, v5
; %bb.997:
	s_and_not1_saveexec_b32 s52, s52
; %bb.998:
	v_add_f32_e64 v5, 0x43000000, |v4|
; %bb.999:
	s_or_b32 exec_lo, exec_lo, s52
                                        ; implicit-def: $vgpr6
.LBB159_1000:
	s_and_not1_saveexec_b32 s51, s51
; %bb.1001:
	v_mov_b32_e32 v5, 0x7f
	v_cmp_lt_u32_e32 vcc_lo, 0x7f800000, v6
	s_delay_alu instid0(VALU_DEP_2)
	v_cndmask_b32_e32 v5, 0x7c, v5, vcc_lo
; %bb.1002:
	s_or_b32 exec_lo, exec_lo, s51
	v_lshrrev_b32_e32 v4, 24, v4
	s_delay_alu instid0(VALU_DEP_1)
	v_and_or_b32 v4, 0x80, v4, v5
	global_store_b8 v[2:3], v4, off
.LBB159_1003:
	s_mov_b32 s52, 0
	s_mov_b32 s51, -1
.LBB159_1004:
	s_and_not1_b32 vcc_lo, exec_lo, s52
	s_cbranch_vccnz .LBB159_1012
; %bb.1005:
	s_cmp_gt_i32 s50, 14
	s_mov_b32 s52, -1
	s_cbranch_scc0 .LBB159_1009
; %bb.1006:
	s_cmp_eq_u32 s50, 15
	s_mov_b32 s0, -1
	s_cbranch_scc0 .LBB159_1008
; %bb.1007:
	s_wait_xcnt 0x0
	v_cvt_f32_f16_e32 v4, v1
	v_cmp_o_f16_e32 vcc_lo, v1, v1
	s_mov_b32 s51, -1
	s_mov_b32 s0, 0
	s_delay_alu instid0(VALU_DEP_2) | instskip(NEXT) | instid1(VALU_DEP_1)
	v_bfe_u32 v5, v4, 16, 1
	v_add3_u32 v4, v4, v5, 0x7fff
	s_delay_alu instid0(VALU_DEP_1) | instskip(NEXT) | instid1(VALU_DEP_1)
	v_lshrrev_b32_e32 v4, 16, v4
	v_cndmask_b32_e32 v4, 0x7fc0, v4, vcc_lo
	global_store_b16 v[2:3], v4, off
.LBB159_1008:
	s_mov_b32 s52, 0
.LBB159_1009:
	s_delay_alu instid0(SALU_CYCLE_1)
	s_and_b32 vcc_lo, exec_lo, s52
	s_cbranch_vccz .LBB159_1012
; %bb.1010:
	s_cmp_eq_u32 s50, 11
	s_mov_b32 s0, -1
	s_cbranch_scc0 .LBB159_1012
; %bb.1011:
	s_wait_xcnt 0x0
	v_and_b32_e32 v4, 0x7fff, v1
	s_mov_b32 s0, 0
	s_mov_b32 s51, -1
	s_delay_alu instid0(VALU_DEP_1)
	v_cmp_ne_u16_e32 vcc_lo, 0, v4
	v_cndmask_b32_e64 v4, 0, 1, vcc_lo
	global_store_b8 v[2:3], v4, off
.LBB159_1012:
	s_mov_b32 s50, 0
.LBB159_1013:
	s_delay_alu instid0(SALU_CYCLE_1)
	s_and_b32 vcc_lo, exec_lo, s50
	s_cbranch_vccz .LBB159_1052
; %bb.1014:
	s_and_b32 s31, 0xffff, s31
	s_mov_b32 s50, -1
	s_cmp_lt_i32 s31, 5
	s_cbranch_scc1 .LBB159_1035
; %bb.1015:
	s_cmp_lt_i32 s31, 8
	s_cbranch_scc1 .LBB159_1025
; %bb.1016:
	;; [unrolled: 3-line block ×3, first 2 shown]
	s_cmp_gt_i32 s31, 9
	s_cbranch_scc0 .LBB159_1019
; %bb.1018:
	s_wait_xcnt 0x0
	v_cvt_f32_f16_e32 v4, v1
	v_mov_b32_e32 v6, 0
	s_mov_b32 s50, 0
	s_delay_alu instid0(VALU_DEP_2) | instskip(NEXT) | instid1(VALU_DEP_2)
	v_cvt_f64_f32_e32 v[4:5], v4
	v_mov_b32_e32 v7, v6
	global_store_b128 v[2:3], v[4:7], off
.LBB159_1019:
	s_and_not1_b32 vcc_lo, exec_lo, s50
	s_cbranch_vccnz .LBB159_1021
; %bb.1020:
	s_wait_xcnt 0x0
	v_cvt_f32_f16_e32 v4, v1
	v_mov_b32_e32 v5, 0
	global_store_b64 v[2:3], v[4:5], off
.LBB159_1021:
	s_mov_b32 s50, 0
.LBB159_1022:
	s_delay_alu instid0(SALU_CYCLE_1)
	s_and_not1_b32 vcc_lo, exec_lo, s50
	s_cbranch_vccnz .LBB159_1024
; %bb.1023:
	s_wait_xcnt 0x0
	v_and_b32_e32 v4, 0xffff, v1
	global_store_b32 v[2:3], v4, off
.LBB159_1024:
	s_mov_b32 s50, 0
.LBB159_1025:
	s_delay_alu instid0(SALU_CYCLE_1)
	s_and_not1_b32 vcc_lo, exec_lo, s50
	s_cbranch_vccnz .LBB159_1034
; %bb.1026:
	s_cmp_lt_i32 s31, 6
	s_mov_b32 s50, -1
	s_cbranch_scc1 .LBB159_1032
; %bb.1027:
	s_cmp_gt_i32 s31, 6
	s_cbranch_scc0 .LBB159_1029
; %bb.1028:
	s_wait_xcnt 0x0
	v_cvt_f32_f16_e32 v4, v1
	s_mov_b32 s50, 0
	s_delay_alu instid0(VALU_DEP_1)
	v_cvt_f64_f32_e32 v[4:5], v4
	global_store_b64 v[2:3], v[4:5], off
.LBB159_1029:
	s_and_not1_b32 vcc_lo, exec_lo, s50
	s_cbranch_vccnz .LBB159_1031
; %bb.1030:
	s_wait_xcnt 0x0
	v_cvt_f32_f16_e32 v4, v1
	global_store_b32 v[2:3], v4, off
.LBB159_1031:
	s_mov_b32 s50, 0
.LBB159_1032:
	s_delay_alu instid0(SALU_CYCLE_1)
	s_and_not1_b32 vcc_lo, exec_lo, s50
	s_cbranch_vccnz .LBB159_1034
; %bb.1033:
	global_store_b16 v[2:3], v1, off
.LBB159_1034:
	s_mov_b32 s50, 0
.LBB159_1035:
	s_delay_alu instid0(SALU_CYCLE_1)
	s_and_not1_b32 vcc_lo, exec_lo, s50
	s_cbranch_vccnz .LBB159_1051
; %bb.1036:
	s_cmp_lt_i32 s31, 2
	s_mov_b32 s50, -1
	s_cbranch_scc1 .LBB159_1046
; %bb.1037:
	s_cmp_lt_i32 s31, 3
	s_cbranch_scc1 .LBB159_1043
; %bb.1038:
	s_cmp_gt_i32 s31, 3
	s_cbranch_scc0 .LBB159_1040
; %bb.1039:
	s_wait_xcnt 0x0
	v_cvt_f32_f16_e32 v4, v1
	s_mov_b32 s50, 0
	s_delay_alu instid0(VALU_DEP_1) | instskip(NEXT) | instid1(VALU_DEP_1)
	v_cvt_i32_f32_e32 v4, v4
	v_ashrrev_i32_e32 v5, 31, v4
	global_store_b64 v[2:3], v[4:5], off
.LBB159_1040:
	s_and_not1_b32 vcc_lo, exec_lo, s50
	s_cbranch_vccnz .LBB159_1042
; %bb.1041:
	s_wait_xcnt 0x0
	v_cvt_f32_f16_e32 v4, v1
	s_delay_alu instid0(VALU_DEP_1)
	v_cvt_i32_f32_e32 v4, v4
	global_store_b32 v[2:3], v4, off
.LBB159_1042:
	s_mov_b32 s50, 0
.LBB159_1043:
	s_delay_alu instid0(SALU_CYCLE_1)
	s_and_not1_b32 vcc_lo, exec_lo, s50
	s_cbranch_vccnz .LBB159_1045
; %bb.1044:
	s_wait_xcnt 0x0
	v_cvt_i16_f16_e32 v4, v1
	global_store_b16 v[2:3], v4, off
.LBB159_1045:
	s_mov_b32 s50, 0
.LBB159_1046:
	s_delay_alu instid0(SALU_CYCLE_1)
	s_and_not1_b32 vcc_lo, exec_lo, s50
	s_cbranch_vccnz .LBB159_1051
; %bb.1047:
	s_cmp_gt_i32 s31, 0
	s_mov_b32 s31, -1
	s_cbranch_scc0 .LBB159_1049
; %bb.1048:
	s_wait_xcnt 0x0
	v_cvt_i16_f16_e32 v4, v1
	s_mov_b32 s31, 0
	global_store_b8 v[2:3], v4, off
.LBB159_1049:
	s_and_not1_b32 vcc_lo, exec_lo, s31
	s_cbranch_vccnz .LBB159_1051
; %bb.1050:
	s_wait_xcnt 0x0
	v_cvt_f32_f16_e32 v1, v1
	s_delay_alu instid0(VALU_DEP_1)
	v_cvt_i32_f32_e32 v1, v1
	global_store_b8 v[2:3], v1, off
.LBB159_1051:
	s_mov_b32 s51, -1
.LBB159_1052:
	s_delay_alu instid0(SALU_CYCLE_1)
	s_and_not1_b32 vcc_lo, exec_lo, s51
	s_cbranch_vccnz .LBB159_1054
; %bb.1053:
	v_add_nc_u32_e32 v0, 0x80, v0
	s_mov_b32 s31, -1
	s_branch .LBB159_1056
.LBB159_1054:
	s_mov_b32 s31, 0
.LBB159_1055:
                                        ; implicit-def: $vgpr0
.LBB159_1056:
	s_and_not1_b32 s50, s43, exec_lo
	s_and_b32 s0, s0, exec_lo
	s_and_not1_b32 s52, s46, exec_lo
	s_and_b32 s30, s30, exec_lo
	s_or_b32 s51, s50, s0
	s_or_b32 s52, s52, s30
	s_and_not1_b32 s0, s47, exec_lo
	s_and_b32 s29, s29, exec_lo
	s_and_not1_b32 s30, s48, exec_lo
	s_and_b32 s28, s28, exec_lo
	s_or_b32 s53, s0, s29
	s_or_b32 s50, s30, s28
	s_or_not1_b32 s31, s31, exec_lo
.LBB159_1057:
	s_wait_xcnt 0x0
	s_or_b32 exec_lo, exec_lo, s54
	s_mov_b32 s29, 0
	s_mov_b32 s30, 0
	;; [unrolled: 1-line block ×3, first 2 shown]
                                        ; implicit-def: $sgpr0
                                        ; implicit-def: $vgpr8_vgpr9
                                        ; implicit-def: $vgpr2
                                        ; implicit-def: $vgpr4
                                        ; implicit-def: $vgpr6
                                        ; implicit-def: $vgpr10
	s_and_saveexec_b32 s54, s31
	s_cbranch_execz .LBB159_1684
; %bb.1058:
	s_mov_b32 s31, -1
	s_mov_b32 s56, s50
	s_mov_b32 s58, s53
	;; [unrolled: 1-line block ×4, first 2 shown]
	s_mov_b32 s55, exec_lo
	v_cmpx_gt_i32_e64 s44, v0
	s_cbranch_execz .LBB159_1590
; %bb.1059:
	s_and_not1_b32 vcc_lo, exec_lo, s36
	s_cbranch_vccnz .LBB159_1065
; %bb.1060:
	s_and_not1_b32 vcc_lo, exec_lo, s45
	s_cbranch_vccnz .LBB159_1066
; %bb.1061:
	s_wait_loadcnt 0x0
	v_dual_mov_b32 v6, 0 :: v_dual_mov_b32 v1, v0
	v_dual_mov_b32 v4, 0 :: v_dual_mov_b32 v2, 0
	v_mov_b32_e32 v8, 0
	s_add_co_i32 s0, s42, 1
	s_mov_b64 s[28:29], 0xffffffffffffffe0
	s_and_b32 s0, s0, 30
	s_add_nc_u64 s[28:29], s[2:3], s[28:29]
	s_mov_b64 s[30:31], s[2:3]
.LBB159_1062:                           ; =>This Inner Loop Header: Depth=1
	s_clause 0x1
	s_load_b128 s[64:67], s[30:31], 0x4
	s_load_b64 s[68:69], s[30:31], 0x14
	s_load_b256 s[56:63], s[28:29], 0xe4
	s_add_co_i32 s0, s0, -2
	s_wait_xcnt 0x0
	s_add_nc_u64 s[30:31], s[30:31], 24
	s_cmp_eq_u32 s0, 0
	s_add_nc_u64 s[28:29], s[28:29], 32
	s_wait_kmcnt 0x0
	v_mul_hi_u32 v3, s65, v1
	s_delay_alu instid0(VALU_DEP_1) | instskip(NEXT) | instid1(VALU_DEP_1)
	v_add_nc_u32_e32 v3, v1, v3
	v_lshrrev_b32_e32 v3, s66, v3
	s_delay_alu instid0(VALU_DEP_1) | instskip(SKIP_1) | instid1(VALU_DEP_1)
	v_mul_hi_u32 v5, s68, v3
	v_mul_lo_u32 v7, v3, s64
	v_dual_add_nc_u32 v5, v3, v5 :: v_dual_sub_nc_u32 v7, v1, v7
	s_delay_alu instid0(VALU_DEP_1) | instskip(NEXT) | instid1(VALU_DEP_2)
	v_lshrrev_b32_e32 v1, s69, v5
	v_mad_u32 v8, v7, s57, v8
	v_mad_u32 v2, v7, s56, v2
	;; [unrolled: 1-line block ×4, first 2 shown]
	v_mul_lo_u32 v5, v1, s67
	s_delay_alu instid0(VALU_DEP_1) | instskip(NEXT) | instid1(VALU_DEP_1)
	v_sub_nc_u32_e32 v3, v3, v5
	v_mad_u32 v8, v3, s61, v8
	v_mad_u32 v2, v3, s60, v2
	;; [unrolled: 1-line block ×4, first 2 shown]
	s_cbranch_scc0 .LBB159_1062
; %bb.1063:
	s_bitcmp1_b32 s42, 0
	s_cselect_b32 s0, -1, 0
	s_delay_alu instid0(SALU_CYCLE_1)
	s_and_b32 vcc_lo, exec_lo, s0
	s_cbranch_vccnz .LBB159_1067
; %bb.1064:
	s_load_b96 s[60:62], s[30:31], 0x4
	s_load_b128 s[56:59], s[28:29], 0xe4
	s_wait_kmcnt 0x0
	v_mul_hi_u32 v3, s61, v1
	s_delay_alu instid0(VALU_DEP_1) | instskip(NEXT) | instid1(VALU_DEP_1)
	v_add_nc_u32_e32 v3, v1, v3
	v_lshrrev_b32_e32 v3, s62, v3
	s_delay_alu instid0(VALU_DEP_1) | instskip(NEXT) | instid1(VALU_DEP_1)
	v_mul_lo_u32 v3, v3, s60
	v_sub_nc_u32_e32 v1, v1, v3
	s_delay_alu instid0(VALU_DEP_1)
	v_mad_u32 v2, v1, s56, v2
	v_mad_u32 v8, v1, s57, v8
	;; [unrolled: 1-line block ×4, first 2 shown]
	s_branch .LBB159_1067
.LBB159_1065:
	s_mov_b32 s0, -1
                                        ; implicit-def: $vgpr8
                                        ; implicit-def: $vgpr2
                                        ; implicit-def: $vgpr4
                                        ; implicit-def: $vgpr6
	s_branch .LBB159_1068
.LBB159_1066:
	s_wait_loadcnt 0x0
	v_dual_mov_b32 v8, 0 :: v_dual_mov_b32 v2, 0
	v_dual_mov_b32 v4, 0 :: v_dual_mov_b32 v6, 0
.LBB159_1067:
	s_mov_b32 s0, 0
.LBB159_1068:
	s_delay_alu instid0(SALU_CYCLE_1)
	s_and_not1_b32 vcc_lo, exec_lo, s0
	s_cbranch_vccnz .LBB159_1071
; %bb.1069:
	s_wait_loadcnt 0x0
	v_mov_b32_e32 v1, 0
	s_and_not1_b32 vcc_lo, exec_lo, s41
	s_delay_alu instid0(VALU_DEP_1) | instskip(NEXT) | instid1(VALU_DEP_1)
	v_mul_u64_e32 v[2:3], s[24:25], v[0:1]
	v_add_nc_u32_e32 v2, v0, v3
	s_delay_alu instid0(VALU_DEP_1) | instskip(NEXT) | instid1(VALU_DEP_1)
	v_lshrrev_b32_e32 v10, s22, v2
	v_mul_lo_u32 v2, v10, s20
	s_delay_alu instid0(VALU_DEP_1) | instskip(NEXT) | instid1(VALU_DEP_1)
	v_sub_nc_u32_e32 v3, v0, v2
	v_mul_lo_u32 v8, v3, s13
	v_mul_lo_u32 v2, v3, s12
	;; [unrolled: 1-line block ×4, first 2 shown]
	s_cbranch_vccnz .LBB159_1071
; %bb.1070:
	v_mov_b32_e32 v11, v1
	s_delay_alu instid0(VALU_DEP_1) | instskip(NEXT) | instid1(VALU_DEP_1)
	v_mul_u64_e32 v[12:13], s[26:27], v[10:11]
	v_add_nc_u32_e32 v1, v10, v13
	s_delay_alu instid0(VALU_DEP_1) | instskip(NEXT) | instid1(VALU_DEP_1)
	v_lshrrev_b32_e32 v1, s1, v1
	v_mul_lo_u32 v1, v1, s23
	s_delay_alu instid0(VALU_DEP_1) | instskip(NEXT) | instid1(VALU_DEP_1)
	v_sub_nc_u32_e32 v1, v10, v1
	v_mad_u32 v2, v1, s16, v2
	v_mad_u32 v8, v1, s17, v8
	;; [unrolled: 1-line block ×4, first 2 shown]
.LBB159_1071:
	v_mov_b32_e32 v9, 0
	s_and_b32 s0, s40, 0xff
	s_delay_alu instid0(SALU_CYCLE_1) | instskip(SKIP_1) | instid1(VALU_DEP_1)
	s_cmp_lt_i32 s0, 11
	s_wait_loadcnt 0x0
	v_add_nc_u64_e32 v[8:9], s[6:7], v[8:9]
	s_cbranch_scc1 .LBB159_1078
; %bb.1072:
	s_and_b32 s29, 0xffff, s0
	s_delay_alu instid0(SALU_CYCLE_1)
	s_cmp_gt_i32 s29, 25
	s_cbranch_scc0 .LBB159_1079
; %bb.1073:
	s_cmp_gt_i32 s29, 28
	s_cbranch_scc0 .LBB159_1080
; %bb.1074:
	;; [unrolled: 3-line block ×4, first 2 shown]
	s_cmp_eq_u32 s29, 46
	s_mov_b32 s31, 0
	s_cbranch_scc0 .LBB159_1083
; %bb.1077:
	global_load_b32 v1, v[8:9], off
	s_mov_b32 s30, -1
	s_mov_b32 s28, 0
	s_wait_loadcnt 0x0
	v_lshlrev_b32_e32 v1, 16, v1
	s_delay_alu instid0(VALU_DEP_1)
	v_cvt_f16_f32_e32 v1, v1
	s_branch .LBB159_1085
.LBB159_1078:
	s_mov_b32 s29, -1
	s_mov_b32 s30, 0
	s_mov_b32 s28, s50
                                        ; implicit-def: $vgpr1
	s_branch .LBB159_1150
.LBB159_1079:
	s_mov_b32 s31, -1
	s_mov_b32 s30, 0
	s_mov_b32 s28, s50
                                        ; implicit-def: $vgpr1
	s_branch .LBB159_1114
.LBB159_1080:
	s_mov_b32 s31, -1
	s_mov_b32 s30, 0
	s_mov_b32 s28, s50
                                        ; implicit-def: $vgpr1
	s_branch .LBB159_1095
.LBB159_1081:
	s_mov_b32 s31, -1
	s_mov_b32 s30, 0
	s_mov_b32 s28, s50
                                        ; implicit-def: $vgpr1
	s_branch .LBB159_1090
.LBB159_1082:
	s_mov_b32 s31, -1
	s_mov_b32 s30, 0
	s_mov_b32 s28, s50
	s_branch .LBB159_1084
.LBB159_1083:
	s_mov_b32 s28, -1
	s_mov_b32 s30, 0
.LBB159_1084:
                                        ; implicit-def: $vgpr1
.LBB159_1085:
	s_and_b32 vcc_lo, exec_lo, s31
	s_cbranch_vccz .LBB159_1089
; %bb.1086:
	s_cmp_eq_u32 s29, 44
	s_cbranch_scc0 .LBB159_1088
; %bb.1087:
	global_load_u8 v1, v[8:9], off
	s_mov_b32 s28, 0
	s_mov_b32 s30, -1
	s_wait_loadcnt 0x0
	v_lshlrev_b32_e32 v3, 23, v1
	v_cmp_ne_u32_e32 vcc_lo, 0xff, v1
	s_delay_alu instid0(VALU_DEP_2) | instskip(NEXT) | instid1(VALU_DEP_1)
	v_cvt_f16_f32_e32 v3, v3
	v_cndmask_b32_e32 v3, 0x7e00, v3, vcc_lo
	v_cmp_ne_u32_e32 vcc_lo, 0, v1
	s_delay_alu instid0(VALU_DEP_2)
	v_cndmask_b32_e32 v1, 0, v3, vcc_lo
	s_branch .LBB159_1089
.LBB159_1088:
	s_mov_b32 s28, -1
                                        ; implicit-def: $vgpr1
.LBB159_1089:
	s_mov_b32 s31, 0
.LBB159_1090:
	s_delay_alu instid0(SALU_CYCLE_1)
	s_and_b32 vcc_lo, exec_lo, s31
	s_cbranch_vccz .LBB159_1094
; %bb.1091:
	s_cmp_eq_u32 s29, 29
	s_cbranch_scc0 .LBB159_1093
; %bb.1092:
	global_load_b64 v[10:11], v[8:9], off
	s_mov_b32 s30, -1
	s_mov_b32 s28, 0
	s_mov_b32 s31, 0
	s_wait_loadcnt 0x0
	v_clz_i32_u32_e32 v1, v11
	s_delay_alu instid0(VALU_DEP_1) | instskip(NEXT) | instid1(VALU_DEP_1)
	v_min_u32_e32 v1, 32, v1
	v_lshlrev_b64_e32 v[10:11], v1, v[10:11]
	v_sub_nc_u32_e32 v1, 32, v1
	s_delay_alu instid0(VALU_DEP_2) | instskip(NEXT) | instid1(VALU_DEP_1)
	v_min_u32_e32 v3, 1, v10
	v_or_b32_e32 v3, v11, v3
	s_delay_alu instid0(VALU_DEP_1) | instskip(NEXT) | instid1(VALU_DEP_1)
	v_cvt_f32_u32_e32 v3, v3
	v_ldexp_f32 v1, v3, v1
	s_delay_alu instid0(VALU_DEP_1)
	v_cvt_f16_f32_e32 v1, v1
	s_branch .LBB159_1095
.LBB159_1093:
	s_mov_b32 s28, -1
                                        ; implicit-def: $vgpr1
.LBB159_1094:
	s_mov_b32 s31, 0
.LBB159_1095:
	s_delay_alu instid0(SALU_CYCLE_1)
	s_and_b32 vcc_lo, exec_lo, s31
	s_cbranch_vccz .LBB159_1113
; %bb.1096:
	s_cmp_lt_i32 s29, 27
	s_cbranch_scc1 .LBB159_1099
; %bb.1097:
	s_cmp_gt_i32 s29, 27
	s_cbranch_scc0 .LBB159_1100
; %bb.1098:
	global_load_b32 v1, v[8:9], off
	s_mov_b32 s30, 0
	s_wait_loadcnt 0x0
	v_cvt_f32_u32_e32 v1, v1
	s_delay_alu instid0(VALU_DEP_1)
	v_cvt_f16_f32_e32 v1, v1
	s_branch .LBB159_1101
.LBB159_1099:
	s_mov_b32 s30, -1
                                        ; implicit-def: $vgpr1
	s_branch .LBB159_1104
.LBB159_1100:
	s_mov_b32 s30, -1
                                        ; implicit-def: $vgpr1
.LBB159_1101:
	s_delay_alu instid0(SALU_CYCLE_1)
	s_and_not1_b32 vcc_lo, exec_lo, s30
	s_cbranch_vccnz .LBB159_1103
; %bb.1102:
	global_load_u16 v1, v[8:9], off
	s_wait_loadcnt 0x0
	v_cvt_f16_u16_e32 v1, v1
.LBB159_1103:
	s_mov_b32 s30, 0
.LBB159_1104:
	s_delay_alu instid0(SALU_CYCLE_1)
	s_and_not1_b32 vcc_lo, exec_lo, s30
	s_cbranch_vccnz .LBB159_1112
; %bb.1105:
	global_load_u8 v3, v[8:9], off
	s_mov_b32 s30, 0
	s_mov_b32 s31, exec_lo
	s_wait_loadcnt 0x0
	v_cmpx_lt_i16_e32 0x7f, v3
	s_xor_b32 s31, exec_lo, s31
	s_cbranch_execz .LBB159_1126
; %bb.1106:
	s_mov_b32 s30, -1
	s_mov_b32 s56, exec_lo
	v_cmpx_eq_u16_e32 0x80, v3
; %bb.1107:
	s_xor_b32 s30, exec_lo, -1
; %bb.1108:
	s_or_b32 exec_lo, exec_lo, s56
	s_delay_alu instid0(SALU_CYCLE_1)
	s_and_b32 s30, s30, exec_lo
	s_or_saveexec_b32 s31, s31
	v_mov_b32_e32 v1, 0x7e00
	s_xor_b32 exec_lo, exec_lo, s31
	s_cbranch_execnz .LBB159_1127
.LBB159_1109:
	s_or_b32 exec_lo, exec_lo, s31
	s_and_saveexec_b32 s31, s30
	s_cbranch_execz .LBB159_1111
.LBB159_1110:
	v_and_b32_e32 v1, 0xffff, v3
	s_delay_alu instid0(VALU_DEP_1) | instskip(SKIP_1) | instid1(VALU_DEP_2)
	v_and_b32_e32 v5, 7, v1
	v_bfe_u32 v11, v1, 3, 4
	v_clz_i32_u32_e32 v7, v5
	s_delay_alu instid0(VALU_DEP_2) | instskip(NEXT) | instid1(VALU_DEP_2)
	v_cmp_eq_u32_e32 vcc_lo, 0, v11
	v_min_u32_e32 v7, 32, v7
	s_delay_alu instid0(VALU_DEP_1) | instskip(NEXT) | instid1(VALU_DEP_1)
	v_subrev_nc_u32_e32 v10, 28, v7
	v_dual_lshlrev_b32 v1, v10, v1 :: v_dual_sub_nc_u32 v7, 29, v7
	s_delay_alu instid0(VALU_DEP_1) | instskip(NEXT) | instid1(VALU_DEP_1)
	v_dual_lshlrev_b32 v3, 24, v3 :: v_dual_bitop2_b32 v1, 7, v1 bitop3:0x40
	v_dual_cndmask_b32 v1, v5, v1, vcc_lo :: v_dual_cndmask_b32 v7, v11, v7, vcc_lo
	s_delay_alu instid0(VALU_DEP_2) | instskip(NEXT) | instid1(VALU_DEP_2)
	v_and_b32_e32 v3, 0x80000000, v3
	v_lshlrev_b32_e32 v1, 20, v1
	s_delay_alu instid0(VALU_DEP_3) | instskip(NEXT) | instid1(VALU_DEP_1)
	v_lshl_add_u32 v5, v7, 23, 0x3b800000
	v_or3_b32 v1, v3, v5, v1
	s_delay_alu instid0(VALU_DEP_1)
	v_cvt_f16_f32_e32 v1, v1
.LBB159_1111:
	s_or_b32 exec_lo, exec_lo, s31
.LBB159_1112:
	s_mov_b32 s30, -1
.LBB159_1113:
	s_mov_b32 s31, 0
.LBB159_1114:
	s_delay_alu instid0(SALU_CYCLE_1)
	s_and_b32 vcc_lo, exec_lo, s31
	s_cbranch_vccz .LBB159_1149
; %bb.1115:
	s_cmp_gt_i32 s29, 22
	s_cbranch_scc0 .LBB159_1125
; %bb.1116:
	s_cmp_lt_i32 s29, 24
	s_cbranch_scc1 .LBB159_1128
; %bb.1117:
	s_cmp_gt_i32 s29, 24
	s_cbranch_scc0 .LBB159_1129
; %bb.1118:
	global_load_u8 v3, v[8:9], off
	s_mov_b32 s30, 0
	s_mov_b32 s31, exec_lo
	s_wait_loadcnt 0x0
	v_cmpx_lt_i16_e32 0x7f, v3
	s_xor_b32 s31, exec_lo, s31
	s_cbranch_execz .LBB159_1141
; %bb.1119:
	s_mov_b32 s30, -1
	s_mov_b32 s56, exec_lo
	v_cmpx_eq_u16_e32 0x80, v3
; %bb.1120:
	s_xor_b32 s30, exec_lo, -1
; %bb.1121:
	s_or_b32 exec_lo, exec_lo, s56
	s_delay_alu instid0(SALU_CYCLE_1)
	s_and_b32 s30, s30, exec_lo
	s_or_saveexec_b32 s31, s31
	v_mov_b32_e32 v1, 0x7e00
	s_xor_b32 exec_lo, exec_lo, s31
	s_cbranch_execnz .LBB159_1142
.LBB159_1122:
	s_or_b32 exec_lo, exec_lo, s31
	s_and_saveexec_b32 s31, s30
	s_cbranch_execz .LBB159_1124
.LBB159_1123:
	v_and_b32_e32 v1, 0xffff, v3
	s_delay_alu instid0(VALU_DEP_1) | instskip(SKIP_1) | instid1(VALU_DEP_2)
	v_and_b32_e32 v5, 3, v1
	v_bfe_u32 v11, v1, 2, 5
	v_clz_i32_u32_e32 v7, v5
	s_delay_alu instid0(VALU_DEP_2) | instskip(NEXT) | instid1(VALU_DEP_2)
	v_cmp_eq_u32_e32 vcc_lo, 0, v11
	v_min_u32_e32 v7, 32, v7
	s_delay_alu instid0(VALU_DEP_1) | instskip(NEXT) | instid1(VALU_DEP_1)
	v_subrev_nc_u32_e32 v10, 29, v7
	v_dual_lshlrev_b32 v1, v10, v1 :: v_dual_sub_nc_u32 v7, 30, v7
	s_delay_alu instid0(VALU_DEP_1) | instskip(NEXT) | instid1(VALU_DEP_1)
	v_dual_lshlrev_b32 v3, 24, v3 :: v_dual_bitop2_b32 v1, 3, v1 bitop3:0x40
	v_dual_cndmask_b32 v1, v5, v1, vcc_lo :: v_dual_cndmask_b32 v7, v11, v7, vcc_lo
	s_delay_alu instid0(VALU_DEP_2) | instskip(NEXT) | instid1(VALU_DEP_2)
	v_and_b32_e32 v3, 0x80000000, v3
	v_lshlrev_b32_e32 v1, 21, v1
	s_delay_alu instid0(VALU_DEP_3) | instskip(NEXT) | instid1(VALU_DEP_1)
	v_lshl_add_u32 v5, v7, 23, 0x37800000
	v_or3_b32 v1, v3, v5, v1
	s_delay_alu instid0(VALU_DEP_1)
	v_cvt_f16_f32_e32 v1, v1
.LBB159_1124:
	s_or_b32 exec_lo, exec_lo, s31
	s_mov_b32 s30, 0
	s_branch .LBB159_1130
.LBB159_1125:
	s_mov_b32 s31, -1
                                        ; implicit-def: $vgpr1
	s_branch .LBB159_1136
.LBB159_1126:
	s_or_saveexec_b32 s31, s31
	v_mov_b32_e32 v1, 0x7e00
	s_xor_b32 exec_lo, exec_lo, s31
	s_cbranch_execz .LBB159_1109
.LBB159_1127:
	v_cmp_ne_u16_e32 vcc_lo, 0, v3
	v_mov_b32_e32 v1, v3
	s_and_not1_b32 s30, s30, exec_lo
	s_and_b32 s56, vcc_lo, exec_lo
	s_delay_alu instid0(SALU_CYCLE_1)
	s_or_b32 s30, s30, s56
	s_or_b32 exec_lo, exec_lo, s31
	s_and_saveexec_b32 s31, s30
	s_cbranch_execnz .LBB159_1110
	s_branch .LBB159_1111
.LBB159_1128:
	s_mov_b32 s30, -1
                                        ; implicit-def: $vgpr1
	s_branch .LBB159_1133
.LBB159_1129:
	s_mov_b32 s30, -1
                                        ; implicit-def: $vgpr1
.LBB159_1130:
	s_delay_alu instid0(SALU_CYCLE_1)
	s_and_b32 vcc_lo, exec_lo, s30
	s_cbranch_vccz .LBB159_1132
; %bb.1131:
	global_load_u8 v1, v[8:9], off
	s_wait_loadcnt 0x0
	v_lshlrev_b32_e32 v1, 24, v1
	s_delay_alu instid0(VALU_DEP_1) | instskip(NEXT) | instid1(VALU_DEP_1)
	v_and_b32_e32 v3, 0x7f000000, v1
	v_clz_i32_u32_e32 v5, v3
	v_cmp_ne_u32_e32 vcc_lo, 0, v3
	v_add_nc_u32_e32 v10, 0x1000000, v3
	s_delay_alu instid0(VALU_DEP_3) | instskip(NEXT) | instid1(VALU_DEP_1)
	v_min_u32_e32 v5, 32, v5
	v_sub_nc_u32_e64 v5, v5, 4 clamp
	s_delay_alu instid0(VALU_DEP_1) | instskip(NEXT) | instid1(VALU_DEP_1)
	v_dual_lshlrev_b32 v7, v5, v3 :: v_dual_lshlrev_b32 v5, 23, v5
	v_lshrrev_b32_e32 v7, 4, v7
	s_delay_alu instid0(VALU_DEP_1) | instskip(NEXT) | instid1(VALU_DEP_1)
	v_dual_sub_nc_u32 v5, v7, v5 :: v_dual_ashrrev_i32 v7, 8, v10
	v_add_nc_u32_e32 v5, 0x3c000000, v5
	s_delay_alu instid0(VALU_DEP_1) | instskip(NEXT) | instid1(VALU_DEP_1)
	v_and_or_b32 v5, 0x7f800000, v7, v5
	v_cndmask_b32_e32 v3, 0, v5, vcc_lo
	s_delay_alu instid0(VALU_DEP_1) | instskip(NEXT) | instid1(VALU_DEP_1)
	v_and_or_b32 v1, 0x80000000, v1, v3
	v_cvt_f16_f32_e32 v1, v1
.LBB159_1132:
	s_mov_b32 s30, 0
.LBB159_1133:
	s_delay_alu instid0(SALU_CYCLE_1)
	s_and_not1_b32 vcc_lo, exec_lo, s30
	s_cbranch_vccnz .LBB159_1135
; %bb.1134:
	global_load_u8 v1, v[8:9], off
	s_wait_loadcnt 0x0
	v_lshlrev_b32_e32 v3, 25, v1
	v_lshlrev_b16 v1, 8, v1
	s_delay_alu instid0(VALU_DEP_1) | instskip(SKIP_1) | instid1(VALU_DEP_2)
	v_and_or_b32 v7, 0x7f00, v1, 0.5
	v_bfe_i32 v1, v1, 0, 16
	v_add_f32_e32 v7, -0.5, v7
	v_lshrrev_b32_e32 v5, 4, v3
	v_cmp_gt_u32_e32 vcc_lo, 0x8000000, v3
	s_delay_alu instid0(VALU_DEP_2) | instskip(NEXT) | instid1(VALU_DEP_1)
	v_or_b32_e32 v5, 0x70000000, v5
	v_mul_f32_e32 v5, 0x7800000, v5
	s_delay_alu instid0(VALU_DEP_1) | instskip(NEXT) | instid1(VALU_DEP_1)
	v_cndmask_b32_e32 v3, v5, v7, vcc_lo
	v_and_or_b32 v1, 0x80000000, v1, v3
	s_delay_alu instid0(VALU_DEP_1)
	v_cvt_f16_f32_e32 v1, v1
.LBB159_1135:
	s_mov_b32 s31, 0
	s_mov_b32 s30, -1
.LBB159_1136:
	s_and_not1_b32 vcc_lo, exec_lo, s31
	s_cbranch_vccnz .LBB159_1149
; %bb.1137:
	s_cmp_gt_i32 s29, 14
	s_cbranch_scc0 .LBB159_1140
; %bb.1138:
	s_cmp_eq_u32 s29, 15
	s_cbranch_scc0 .LBB159_1143
; %bb.1139:
	global_load_u16 v1, v[8:9], off
	s_mov_b32 s30, -1
	s_mov_b32 s28, 0
	s_wait_loadcnt 0x0
	v_lshlrev_b32_e32 v1, 16, v1
	s_delay_alu instid0(VALU_DEP_1)
	v_cvt_f16_f32_e32 v1, v1
	s_branch .LBB159_1144
.LBB159_1140:
	s_mov_b32 s31, -1
                                        ; implicit-def: $vgpr1
	s_branch .LBB159_1145
.LBB159_1141:
	s_or_saveexec_b32 s31, s31
	v_mov_b32_e32 v1, 0x7e00
	s_xor_b32 exec_lo, exec_lo, s31
	s_cbranch_execz .LBB159_1122
.LBB159_1142:
	v_cmp_ne_u16_e32 vcc_lo, 0, v3
	v_mov_b32_e32 v1, v3
	s_and_not1_b32 s30, s30, exec_lo
	s_and_b32 s56, vcc_lo, exec_lo
	s_delay_alu instid0(SALU_CYCLE_1)
	s_or_b32 s30, s30, s56
	s_or_b32 exec_lo, exec_lo, s31
	s_and_saveexec_b32 s31, s30
	s_cbranch_execnz .LBB159_1123
	s_branch .LBB159_1124
.LBB159_1143:
	s_mov_b32 s28, -1
                                        ; implicit-def: $vgpr1
.LBB159_1144:
	s_mov_b32 s31, 0
.LBB159_1145:
	s_delay_alu instid0(SALU_CYCLE_1)
	s_and_b32 vcc_lo, exec_lo, s31
	s_cbranch_vccz .LBB159_1149
; %bb.1146:
	s_cmp_eq_u32 s29, 11
	s_cbranch_scc0 .LBB159_1148
; %bb.1147:
	global_load_u8 v1, v[8:9], off
	s_mov_b32 s28, 0
	s_mov_b32 s30, -1
	s_wait_loadcnt 0x0
	v_cmp_ne_u16_e32 vcc_lo, 0, v1
	v_cndmask_b32_e64 v1, 0, 0x3c00, vcc_lo
	s_branch .LBB159_1149
.LBB159_1148:
	s_mov_b32 s28, -1
                                        ; implicit-def: $vgpr1
.LBB159_1149:
	s_mov_b32 s29, 0
.LBB159_1150:
	s_delay_alu instid0(SALU_CYCLE_1)
	s_and_b32 vcc_lo, exec_lo, s29
	s_cbranch_vccz .LBB159_1199
; %bb.1151:
	s_and_b32 s0, 0xffff, s0
	s_delay_alu instid0(SALU_CYCLE_1)
	s_cmp_lt_i32 s0, 5
	s_cbranch_scc1 .LBB159_1156
; %bb.1152:
	s_cmp_lt_i32 s0, 8
	s_cbranch_scc1 .LBB159_1157
; %bb.1153:
	;; [unrolled: 3-line block ×3, first 2 shown]
	s_cmp_gt_i32 s0, 9
	s_cbranch_scc0 .LBB159_1159
; %bb.1155:
	global_load_b64 v[10:11], v[8:9], off
	s_mov_b32 s29, 0
	s_wait_loadcnt 0x0
	v_and_or_b32 v1, 0x1ff, v11, v10
	v_lshrrev_b32_e32 v3, 8, v11
	v_bfe_u32 v5, v11, 20, 11
	s_delay_alu instid0(VALU_DEP_3) | instskip(NEXT) | instid1(VALU_DEP_2)
	v_cmp_ne_u32_e32 vcc_lo, 0, v1
	v_sub_nc_u32_e32 v7, 0x3f1, v5
	v_add_nc_u32_e32 v5, 0xfffffc10, v5
	v_cndmask_b32_e64 v1, 0, 1, vcc_lo
	s_delay_alu instid0(VALU_DEP_1) | instskip(NEXT) | instid1(VALU_DEP_4)
	v_and_or_b32 v1, 0xffe, v3, v1
	v_med3_i32 v3, v7, 0, 13
	s_delay_alu instid0(VALU_DEP_2) | instskip(NEXT) | instid1(VALU_DEP_1)
	v_or_b32_e32 v7, 0x1000, v1
	v_lshrrev_b32_e32 v10, v3, v7
	s_delay_alu instid0(VALU_DEP_1) | instskip(NEXT) | instid1(VALU_DEP_1)
	v_lshlrev_b32_e32 v3, v3, v10
	v_cmp_ne_u32_e32 vcc_lo, v3, v7
	v_lshl_or_b32 v7, v5, 12, v1
	v_cndmask_b32_e64 v3, 0, 1, vcc_lo
	v_cmp_gt_i32_e32 vcc_lo, 1, v5
	s_delay_alu instid0(VALU_DEP_2) | instskip(NEXT) | instid1(VALU_DEP_1)
	v_or_b32_e32 v3, v10, v3
	v_cndmask_b32_e32 v3, v7, v3, vcc_lo
	s_delay_alu instid0(VALU_DEP_1) | instskip(NEXT) | instid1(VALU_DEP_1)
	v_dual_lshrrev_b32 v3, 2, v3 :: v_dual_bitop2_b32 v7, 7, v3 bitop3:0x40
	v_cmp_lt_i32_e32 vcc_lo, 5, v7
	v_cndmask_b32_e64 v10, 0, 1, vcc_lo
	v_cmp_eq_u32_e32 vcc_lo, 3, v7
	v_cndmask_b32_e64 v7, 0, 1, vcc_lo
	v_cmp_ne_u32_e32 vcc_lo, 0, v1
	s_delay_alu instid0(VALU_DEP_2) | instskip(NEXT) | instid1(VALU_DEP_1)
	v_or_b32_e32 v7, v7, v10
	v_dual_mov_b32 v10, 0x7e00 :: v_dual_add_nc_u32 v3, v3, v7
	s_delay_alu instid0(VALU_DEP_1) | instskip(SKIP_1) | instid1(VALU_DEP_3)
	v_cndmask_b32_e32 v1, 0x7c00, v10, vcc_lo
	v_cmp_gt_i32_e32 vcc_lo, 31, v5
	v_cndmask_b32_e32 v3, 0x7c00, v3, vcc_lo
	v_cmp_eq_u32_e32 vcc_lo, 0x40f, v5
	s_delay_alu instid0(VALU_DEP_2) | instskip(NEXT) | instid1(VALU_DEP_1)
	v_dual_cndmask_b32 v1, v3, v1, vcc_lo :: v_dual_lshrrev_b32 v3, 16, v11
	v_and_or_b32 v1, 0x8000, v3, v1
	s_branch .LBB159_1160
.LBB159_1156:
	s_mov_b32 s29, -1
                                        ; implicit-def: $vgpr1
	s_branch .LBB159_1178
.LBB159_1157:
	s_mov_b32 s29, -1
                                        ; implicit-def: $vgpr1
	s_branch .LBB159_1166
.LBB159_1158:
	s_mov_b32 s29, -1
                                        ; implicit-def: $vgpr1
	s_branch .LBB159_1163
.LBB159_1159:
	s_mov_b32 s29, -1
                                        ; implicit-def: $vgpr1
.LBB159_1160:
	s_delay_alu instid0(SALU_CYCLE_1)
	s_and_not1_b32 vcc_lo, exec_lo, s29
	s_cbranch_vccnz .LBB159_1162
; %bb.1161:
	global_load_b32 v1, v[8:9], off
	s_wait_loadcnt 0x0
	v_cvt_f16_f32_e32 v1, v1
.LBB159_1162:
	s_mov_b32 s29, 0
.LBB159_1163:
	s_delay_alu instid0(SALU_CYCLE_1)
	s_and_not1_b32 vcc_lo, exec_lo, s29
	s_cbranch_vccnz .LBB159_1165
; %bb.1164:
	global_load_b32 v1, v[8:9], off
.LBB159_1165:
	s_mov_b32 s29, 0
.LBB159_1166:
	s_delay_alu instid0(SALU_CYCLE_1)
	s_and_not1_b32 vcc_lo, exec_lo, s29
	s_cbranch_vccnz .LBB159_1177
; %bb.1167:
	s_cmp_lt_i32 s0, 6
	s_cbranch_scc1 .LBB159_1170
; %bb.1168:
	s_cmp_gt_i32 s0, 6
	s_cbranch_scc0 .LBB159_1171
; %bb.1169:
	global_load_b64 v[10:11], v[8:9], off
	s_mov_b32 s29, 0
	s_wait_loadcnt 0x0
	v_and_or_b32 v1, 0x1ff, v11, v10
	v_lshrrev_b32_e32 v3, 8, v11
	v_bfe_u32 v5, v11, 20, 11
	s_delay_alu instid0(VALU_DEP_3) | instskip(NEXT) | instid1(VALU_DEP_2)
	v_cmp_ne_u32_e32 vcc_lo, 0, v1
	v_sub_nc_u32_e32 v7, 0x3f1, v5
	v_add_nc_u32_e32 v5, 0xfffffc10, v5
	v_cndmask_b32_e64 v1, 0, 1, vcc_lo
	s_delay_alu instid0(VALU_DEP_1) | instskip(NEXT) | instid1(VALU_DEP_4)
	v_and_or_b32 v1, 0xffe, v3, v1
	v_med3_i32 v3, v7, 0, 13
	s_delay_alu instid0(VALU_DEP_2) | instskip(NEXT) | instid1(VALU_DEP_1)
	v_or_b32_e32 v7, 0x1000, v1
	v_lshrrev_b32_e32 v10, v3, v7
	s_delay_alu instid0(VALU_DEP_1) | instskip(NEXT) | instid1(VALU_DEP_1)
	v_lshlrev_b32_e32 v3, v3, v10
	v_cmp_ne_u32_e32 vcc_lo, v3, v7
	v_lshl_or_b32 v7, v5, 12, v1
	v_cndmask_b32_e64 v3, 0, 1, vcc_lo
	v_cmp_gt_i32_e32 vcc_lo, 1, v5
	s_delay_alu instid0(VALU_DEP_2) | instskip(NEXT) | instid1(VALU_DEP_1)
	v_or_b32_e32 v3, v10, v3
	v_cndmask_b32_e32 v3, v7, v3, vcc_lo
	s_delay_alu instid0(VALU_DEP_1) | instskip(NEXT) | instid1(VALU_DEP_1)
	v_dual_lshrrev_b32 v3, 2, v3 :: v_dual_bitop2_b32 v7, 7, v3 bitop3:0x40
	v_cmp_lt_i32_e32 vcc_lo, 5, v7
	v_cndmask_b32_e64 v10, 0, 1, vcc_lo
	v_cmp_eq_u32_e32 vcc_lo, 3, v7
	v_cndmask_b32_e64 v7, 0, 1, vcc_lo
	v_cmp_ne_u32_e32 vcc_lo, 0, v1
	s_delay_alu instid0(VALU_DEP_2) | instskip(NEXT) | instid1(VALU_DEP_1)
	v_or_b32_e32 v7, v7, v10
	v_dual_mov_b32 v10, 0x7e00 :: v_dual_add_nc_u32 v3, v3, v7
	s_delay_alu instid0(VALU_DEP_1) | instskip(SKIP_1) | instid1(VALU_DEP_3)
	v_cndmask_b32_e32 v1, 0x7c00, v10, vcc_lo
	v_cmp_gt_i32_e32 vcc_lo, 31, v5
	v_cndmask_b32_e32 v3, 0x7c00, v3, vcc_lo
	v_cmp_eq_u32_e32 vcc_lo, 0x40f, v5
	s_delay_alu instid0(VALU_DEP_2) | instskip(NEXT) | instid1(VALU_DEP_1)
	v_dual_cndmask_b32 v1, v3, v1, vcc_lo :: v_dual_lshrrev_b32 v3, 16, v11
	v_and_or_b32 v1, 0x8000, v3, v1
	s_branch .LBB159_1172
.LBB159_1170:
	s_mov_b32 s29, -1
                                        ; implicit-def: $vgpr1
	s_branch .LBB159_1175
.LBB159_1171:
	s_mov_b32 s29, -1
                                        ; implicit-def: $vgpr1
.LBB159_1172:
	s_delay_alu instid0(SALU_CYCLE_1)
	s_and_not1_b32 vcc_lo, exec_lo, s29
	s_cbranch_vccnz .LBB159_1174
; %bb.1173:
	s_wait_loadcnt 0x0
	global_load_b32 v1, v[8:9], off
	s_wait_loadcnt 0x0
	v_cvt_f16_f32_e32 v1, v1
.LBB159_1174:
	s_mov_b32 s29, 0
.LBB159_1175:
	s_delay_alu instid0(SALU_CYCLE_1)
	s_and_not1_b32 vcc_lo, exec_lo, s29
	s_cbranch_vccnz .LBB159_1177
; %bb.1176:
	s_wait_loadcnt 0x0
	global_load_u16 v1, v[8:9], off
.LBB159_1177:
	s_mov_b32 s29, 0
.LBB159_1178:
	s_delay_alu instid0(SALU_CYCLE_1)
	s_and_not1_b32 vcc_lo, exec_lo, s29
	s_cbranch_vccnz .LBB159_1198
; %bb.1179:
	s_cmp_lt_i32 s0, 2
	s_cbranch_scc1 .LBB159_1183
; %bb.1180:
	s_cmp_lt_i32 s0, 3
	s_cbranch_scc1 .LBB159_1184
; %bb.1181:
	s_cmp_gt_i32 s0, 3
	s_cbranch_scc0 .LBB159_1185
; %bb.1182:
	global_load_b64 v[10:11], v[8:9], off
	s_mov_b32 s29, 0
	s_wait_loadcnt 0x0
	v_xor_b32_e32 v1, v10, v11
	v_cls_i32_e32 v3, v11
	s_delay_alu instid0(VALU_DEP_2) | instskip(NEXT) | instid1(VALU_DEP_1)
	v_ashrrev_i32_e32 v1, 31, v1
	v_add_nc_u32_e32 v1, 32, v1
	s_delay_alu instid0(VALU_DEP_1) | instskip(NEXT) | instid1(VALU_DEP_1)
	v_add_min_u32_e64 v1, v3, -1, v1
	v_lshlrev_b64_e32 v[10:11], v1, v[10:11]
	v_sub_nc_u32_e32 v1, 32, v1
	s_delay_alu instid0(VALU_DEP_2) | instskip(NEXT) | instid1(VALU_DEP_1)
	v_min_u32_e32 v3, 1, v10
	v_or_b32_e32 v3, v11, v3
	s_delay_alu instid0(VALU_DEP_1) | instskip(NEXT) | instid1(VALU_DEP_1)
	v_cvt_f32_i32_e32 v3, v3
	v_ldexp_f32 v1, v3, v1
	s_delay_alu instid0(VALU_DEP_1)
	v_cvt_f16_f32_e32 v1, v1
	s_branch .LBB159_1186
.LBB159_1183:
	s_mov_b32 s29, -1
                                        ; implicit-def: $vgpr1
	s_branch .LBB159_1192
.LBB159_1184:
	s_mov_b32 s29, -1
                                        ; implicit-def: $vgpr1
	s_branch .LBB159_1189
.LBB159_1185:
	s_mov_b32 s29, -1
                                        ; implicit-def: $vgpr1
.LBB159_1186:
	s_delay_alu instid0(SALU_CYCLE_1)
	s_and_not1_b32 vcc_lo, exec_lo, s29
	s_cbranch_vccnz .LBB159_1188
; %bb.1187:
	s_wait_loadcnt 0x0
	global_load_b32 v1, v[8:9], off
	s_wait_loadcnt 0x0
	v_cvt_f32_i32_e32 v1, v1
	s_delay_alu instid0(VALU_DEP_1)
	v_cvt_f16_f32_e32 v1, v1
.LBB159_1188:
	s_mov_b32 s29, 0
.LBB159_1189:
	s_delay_alu instid0(SALU_CYCLE_1)
	s_and_not1_b32 vcc_lo, exec_lo, s29
	s_cbranch_vccnz .LBB159_1191
; %bb.1190:
	s_wait_loadcnt 0x0
	global_load_u16 v1, v[8:9], off
	s_wait_loadcnt 0x0
	v_cvt_f16_i16_e32 v1, v1
.LBB159_1191:
	s_mov_b32 s29, 0
.LBB159_1192:
	s_delay_alu instid0(SALU_CYCLE_1)
	s_and_not1_b32 vcc_lo, exec_lo, s29
	s_cbranch_vccnz .LBB159_1198
; %bb.1193:
	s_cmp_gt_i32 s0, 0
	s_mov_b32 s0, 0
	s_cbranch_scc0 .LBB159_1195
; %bb.1194:
	s_wait_loadcnt 0x0
	global_load_i8 v1, v[8:9], off
	s_wait_loadcnt 0x0
	v_cvt_f16_i16_e32 v1, v1
	s_branch .LBB159_1196
.LBB159_1195:
	s_mov_b32 s0, -1
                                        ; implicit-def: $vgpr1
.LBB159_1196:
	s_delay_alu instid0(SALU_CYCLE_1)
	s_and_not1_b32 vcc_lo, exec_lo, s0
	s_cbranch_vccnz .LBB159_1198
; %bb.1197:
	s_wait_loadcnt 0x0
	global_load_u8 v1, v[8:9], off
	s_wait_loadcnt 0x0
	v_cvt_f16_u16_e32 v1, v1
.LBB159_1198:
	s_mov_b32 s30, -1
.LBB159_1199:
	s_delay_alu instid0(SALU_CYCLE_1)
	s_and_not1_b32 vcc_lo, exec_lo, s30
	s_cbranch_vccnz .LBB159_1207
; %bb.1200:
	v_mov_b32_e32 v7, 0
	s_and_b32 s0, s39, 0xff
	s_delay_alu instid0(SALU_CYCLE_1) | instskip(NEXT) | instid1(VALU_DEP_1)
	s_cmp_lt_i32 s0, 11
	v_add_nc_u64_e32 v[6:7], s[8:9], v[6:7]
	s_cbranch_scc1 .LBB159_1208
; %bb.1201:
	s_and_b32 s30, 0xffff, s0
	s_delay_alu instid0(SALU_CYCLE_1)
	s_cmp_gt_i32 s30, 25
	s_cbranch_scc0 .LBB159_1209
; %bb.1202:
	s_cmp_gt_i32 s30, 28
	s_cbranch_scc0 .LBB159_1210
; %bb.1203:
	;; [unrolled: 3-line block ×4, first 2 shown]
	s_cmp_eq_u32 s30, 46
	s_mov_b32 s56, 0
	s_cbranch_scc0 .LBB159_1215
; %bb.1206:
	global_load_b32 v3, v[6:7], off
	s_mov_b32 s31, -1
	s_mov_b32 s29, 0
	s_wait_loadcnt 0x0
	v_lshlrev_b32_e32 v3, 16, v3
	s_wait_xcnt 0x1
	s_delay_alu instid0(VALU_DEP_1)
	v_cvt_f16_f32_e32 v8, v3
	s_branch .LBB159_1217
.LBB159_1207:
	s_mov_b32 s31, 0
	s_mov_b32 s0, s51
	;; [unrolled: 1-line block ×4, first 2 shown]
	s_branch .LBB159_1588
.LBB159_1208:
	s_mov_b32 s30, -1
	s_mov_b32 s31, 0
	s_mov_b32 s29, s53
                                        ; implicit-def: $vgpr8
	s_branch .LBB159_1282
.LBB159_1209:
	s_mov_b32 s56, -1
	s_mov_b32 s31, 0
	s_mov_b32 s29, s53
                                        ; implicit-def: $vgpr8
	s_branch .LBB159_1246
.LBB159_1210:
	s_mov_b32 s56, -1
	s_mov_b32 s31, 0
	s_mov_b32 s29, s53
                                        ; implicit-def: $vgpr8
	s_branch .LBB159_1227
.LBB159_1211:
	s_mov_b32 s56, -1
	s_mov_b32 s31, 0
	s_mov_b32 s29, s53
                                        ; implicit-def: $vgpr8
	s_branch .LBB159_1222
.LBB159_1212:
	s_mov_b32 s56, -1
	s_mov_b32 s31, 0
	s_mov_b32 s29, s53
	s_branch .LBB159_1216
.LBB159_1213:
	s_and_not1_saveexec_b32 s53, s53
	s_cbranch_execz .LBB159_965
.LBB159_1214:
	v_add_f32_e64 v5, 0x46000000, |v4|
	s_and_not1_b32 s52, s52, exec_lo
	s_delay_alu instid0(VALU_DEP_1) | instskip(NEXT) | instid1(VALU_DEP_1)
	v_and_b32_e32 v5, 0xff, v5
	v_cmp_ne_u32_e32 vcc_lo, 0, v5
	s_and_b32 s55, vcc_lo, exec_lo
	s_delay_alu instid0(SALU_CYCLE_1)
	s_or_b32 s52, s52, s55
	s_or_b32 exec_lo, exec_lo, s53
	v_mov_b32_e32 v6, 0
	s_and_saveexec_b32 s53, s52
	s_cbranch_execnz .LBB159_966
	s_branch .LBB159_967
.LBB159_1215:
	s_mov_b32 s29, -1
	s_mov_b32 s31, 0
.LBB159_1216:
                                        ; implicit-def: $vgpr8
.LBB159_1217:
	s_and_b32 vcc_lo, exec_lo, s56
	s_cbranch_vccz .LBB159_1221
; %bb.1218:
	s_cmp_eq_u32 s30, 44
	s_cbranch_scc0 .LBB159_1220
; %bb.1219:
	global_load_u8 v3, v[6:7], off
	s_mov_b32 s29, 0
	s_mov_b32 s31, -1
	s_wait_loadcnt 0x0
	v_lshlrev_b32_e32 v5, 23, v3
	v_cmp_ne_u32_e32 vcc_lo, 0xff, v3
	s_delay_alu instid0(VALU_DEP_2) | instskip(NEXT) | instid1(VALU_DEP_1)
	v_cvt_f16_f32_e32 v5, v5
	v_cndmask_b32_e32 v5, 0x7e00, v5, vcc_lo
	v_cmp_ne_u32_e32 vcc_lo, 0, v3
	s_wait_xcnt 0x1
	s_delay_alu instid0(VALU_DEP_2)
	v_cndmask_b32_e32 v8, 0, v5, vcc_lo
	s_branch .LBB159_1221
.LBB159_1220:
	s_mov_b32 s29, -1
                                        ; implicit-def: $vgpr8
.LBB159_1221:
	s_mov_b32 s56, 0
.LBB159_1222:
	s_delay_alu instid0(SALU_CYCLE_1)
	s_and_b32 vcc_lo, exec_lo, s56
	s_cbranch_vccz .LBB159_1226
; %bb.1223:
	s_cmp_eq_u32 s30, 29
	s_cbranch_scc0 .LBB159_1225
; %bb.1224:
	global_load_b64 v[8:9], v[6:7], off
	s_mov_b32 s31, -1
	s_mov_b32 s29, 0
	s_mov_b32 s56, 0
	s_wait_loadcnt 0x0
	v_clz_i32_u32_e32 v3, v9
	s_delay_alu instid0(VALU_DEP_1) | instskip(NEXT) | instid1(VALU_DEP_1)
	v_min_u32_e32 v3, 32, v3
	v_lshlrev_b64_e32 v[8:9], v3, v[8:9]
	v_sub_nc_u32_e32 v3, 32, v3
	s_delay_alu instid0(VALU_DEP_2) | instskip(NEXT) | instid1(VALU_DEP_1)
	v_min_u32_e32 v5, 1, v8
	v_or_b32_e32 v5, v9, v5
	s_delay_alu instid0(VALU_DEP_1) | instskip(NEXT) | instid1(VALU_DEP_1)
	v_cvt_f32_u32_e32 v5, v5
	v_ldexp_f32 v3, v5, v3
	s_delay_alu instid0(VALU_DEP_1)
	v_cvt_f16_f32_e32 v8, v3
	s_branch .LBB159_1227
.LBB159_1225:
	s_mov_b32 s29, -1
                                        ; implicit-def: $vgpr8
.LBB159_1226:
	s_mov_b32 s56, 0
.LBB159_1227:
	s_delay_alu instid0(SALU_CYCLE_1)
	s_and_b32 vcc_lo, exec_lo, s56
	s_cbranch_vccz .LBB159_1245
; %bb.1228:
	s_cmp_lt_i32 s30, 27
	s_cbranch_scc1 .LBB159_1231
; %bb.1229:
	s_cmp_gt_i32 s30, 27
	s_cbranch_scc0 .LBB159_1232
; %bb.1230:
	global_load_b32 v3, v[6:7], off
	s_mov_b32 s31, 0
	s_wait_loadcnt 0x0
	v_cvt_f32_u32_e32 v3, v3
	s_wait_xcnt 0x1
	s_delay_alu instid0(VALU_DEP_1)
	v_cvt_f16_f32_e32 v8, v3
	s_branch .LBB159_1233
.LBB159_1231:
	s_mov_b32 s31, -1
                                        ; implicit-def: $vgpr8
	s_branch .LBB159_1236
.LBB159_1232:
	s_mov_b32 s31, -1
                                        ; implicit-def: $vgpr8
.LBB159_1233:
	s_delay_alu instid0(SALU_CYCLE_1)
	s_and_not1_b32 vcc_lo, exec_lo, s31
	s_cbranch_vccnz .LBB159_1235
; %bb.1234:
	global_load_u16 v3, v[6:7], off
	s_wait_loadcnt 0x0
	s_wait_xcnt 0x1
	v_cvt_f16_u16_e32 v8, v3
.LBB159_1235:
	s_mov_b32 s31, 0
.LBB159_1236:
	s_delay_alu instid0(SALU_CYCLE_1)
	s_and_not1_b32 vcc_lo, exec_lo, s31
	s_cbranch_vccnz .LBB159_1244
; %bb.1237:
	global_load_u8 v3, v[6:7], off
	s_mov_b32 s31, 0
	s_mov_b32 s56, exec_lo
	s_wait_loadcnt 0x0
	v_cmpx_lt_i16_e32 0x7f, v3
	s_xor_b32 s56, exec_lo, s56
	s_cbranch_execz .LBB159_1258
; %bb.1238:
	s_mov_b32 s31, -1
	s_mov_b32 s57, exec_lo
	v_cmpx_eq_u16_e32 0x80, v3
; %bb.1239:
	s_xor_b32 s31, exec_lo, -1
; %bb.1240:
	s_or_b32 exec_lo, exec_lo, s57
	s_delay_alu instid0(SALU_CYCLE_1)
	s_and_b32 s31, s31, exec_lo
	s_or_saveexec_b32 s56, s56
	v_mov_b32_e32 v8, 0x7e00
	s_xor_b32 exec_lo, exec_lo, s56
	s_cbranch_execnz .LBB159_1259
.LBB159_1241:
	s_or_b32 exec_lo, exec_lo, s56
	s_and_saveexec_b32 s56, s31
	s_cbranch_execz .LBB159_1243
.LBB159_1242:
	v_and_b32_e32 v5, 0xffff, v3
	s_delay_alu instid0(VALU_DEP_1) | instskip(SKIP_1) | instid1(VALU_DEP_2)
	v_dual_lshlrev_b32 v3, 24, v3 :: v_dual_bitop2_b32 v8, 7, v5 bitop3:0x40
	v_bfe_u32 v11, v5, 3, 4
	v_and_b32_e32 v3, 0x80000000, v3
	s_delay_alu instid0(VALU_DEP_3) | instskip(NEXT) | instid1(VALU_DEP_3)
	v_clz_i32_u32_e32 v9, v8
	v_cmp_eq_u32_e32 vcc_lo, 0, v11
	s_delay_alu instid0(VALU_DEP_2) | instskip(NEXT) | instid1(VALU_DEP_1)
	v_min_u32_e32 v9, 32, v9
	v_subrev_nc_u32_e32 v10, 28, v9
	v_sub_nc_u32_e32 v9, 29, v9
	s_delay_alu instid0(VALU_DEP_2) | instskip(NEXT) | instid1(VALU_DEP_2)
	v_lshlrev_b32_e32 v5, v10, v5
	v_cndmask_b32_e32 v9, v11, v9, vcc_lo
	s_delay_alu instid0(VALU_DEP_2) | instskip(NEXT) | instid1(VALU_DEP_1)
	v_and_b32_e32 v5, 7, v5
	v_cndmask_b32_e32 v5, v8, v5, vcc_lo
	s_delay_alu instid0(VALU_DEP_3) | instskip(NEXT) | instid1(VALU_DEP_2)
	v_lshl_add_u32 v8, v9, 23, 0x3b800000
	v_lshlrev_b32_e32 v5, 20, v5
	s_delay_alu instid0(VALU_DEP_1) | instskip(NEXT) | instid1(VALU_DEP_1)
	v_or3_b32 v3, v3, v8, v5
	v_cvt_f16_f32_e32 v8, v3
.LBB159_1243:
	s_or_b32 exec_lo, exec_lo, s56
.LBB159_1244:
	s_mov_b32 s31, -1
.LBB159_1245:
	s_mov_b32 s56, 0
.LBB159_1246:
	s_delay_alu instid0(SALU_CYCLE_1)
	s_and_b32 vcc_lo, exec_lo, s56
	s_cbranch_vccz .LBB159_1281
; %bb.1247:
	s_cmp_gt_i32 s30, 22
	s_cbranch_scc0 .LBB159_1257
; %bb.1248:
	s_cmp_lt_i32 s30, 24
	s_cbranch_scc1 .LBB159_1260
; %bb.1249:
	s_cmp_gt_i32 s30, 24
	s_cbranch_scc0 .LBB159_1261
; %bb.1250:
	global_load_u8 v3, v[6:7], off
	s_mov_b32 s31, 0
	s_mov_b32 s56, exec_lo
	s_wait_loadcnt 0x0
	v_cmpx_lt_i16_e32 0x7f, v3
	s_xor_b32 s56, exec_lo, s56
	s_cbranch_execz .LBB159_1273
; %bb.1251:
	s_mov_b32 s31, -1
	s_mov_b32 s57, exec_lo
	v_cmpx_eq_u16_e32 0x80, v3
; %bb.1252:
	s_xor_b32 s31, exec_lo, -1
; %bb.1253:
	s_or_b32 exec_lo, exec_lo, s57
	s_delay_alu instid0(SALU_CYCLE_1)
	s_and_b32 s31, s31, exec_lo
	s_or_saveexec_b32 s56, s56
	v_mov_b32_e32 v8, 0x7e00
	s_xor_b32 exec_lo, exec_lo, s56
	s_cbranch_execnz .LBB159_1274
.LBB159_1254:
	s_or_b32 exec_lo, exec_lo, s56
	s_and_saveexec_b32 s56, s31
	s_cbranch_execz .LBB159_1256
.LBB159_1255:
	v_and_b32_e32 v5, 0xffff, v3
	s_delay_alu instid0(VALU_DEP_1) | instskip(SKIP_1) | instid1(VALU_DEP_2)
	v_dual_lshlrev_b32 v3, 24, v3 :: v_dual_bitop2_b32 v8, 3, v5 bitop3:0x40
	v_bfe_u32 v11, v5, 2, 5
	v_and_b32_e32 v3, 0x80000000, v3
	s_delay_alu instid0(VALU_DEP_3) | instskip(NEXT) | instid1(VALU_DEP_3)
	v_clz_i32_u32_e32 v9, v8
	v_cmp_eq_u32_e32 vcc_lo, 0, v11
	s_delay_alu instid0(VALU_DEP_2) | instskip(NEXT) | instid1(VALU_DEP_1)
	v_min_u32_e32 v9, 32, v9
	v_subrev_nc_u32_e32 v10, 29, v9
	v_sub_nc_u32_e32 v9, 30, v9
	s_delay_alu instid0(VALU_DEP_2) | instskip(NEXT) | instid1(VALU_DEP_2)
	v_lshlrev_b32_e32 v5, v10, v5
	v_cndmask_b32_e32 v9, v11, v9, vcc_lo
	s_delay_alu instid0(VALU_DEP_2) | instskip(NEXT) | instid1(VALU_DEP_1)
	v_and_b32_e32 v5, 3, v5
	v_cndmask_b32_e32 v5, v8, v5, vcc_lo
	s_delay_alu instid0(VALU_DEP_3) | instskip(NEXT) | instid1(VALU_DEP_2)
	v_lshl_add_u32 v8, v9, 23, 0x37800000
	v_lshlrev_b32_e32 v5, 21, v5
	s_delay_alu instid0(VALU_DEP_1) | instskip(NEXT) | instid1(VALU_DEP_1)
	v_or3_b32 v3, v3, v8, v5
	v_cvt_f16_f32_e32 v8, v3
.LBB159_1256:
	s_or_b32 exec_lo, exec_lo, s56
	s_mov_b32 s31, 0
	s_branch .LBB159_1262
.LBB159_1257:
	s_mov_b32 s56, -1
                                        ; implicit-def: $vgpr8
	s_branch .LBB159_1268
.LBB159_1258:
	s_or_saveexec_b32 s56, s56
	v_mov_b32_e32 v8, 0x7e00
	s_xor_b32 exec_lo, exec_lo, s56
	s_cbranch_execz .LBB159_1241
.LBB159_1259:
	v_cmp_ne_u16_e32 vcc_lo, 0, v3
	v_mov_b32_e32 v8, v3
	s_and_not1_b32 s31, s31, exec_lo
	s_and_b32 s57, vcc_lo, exec_lo
	s_delay_alu instid0(SALU_CYCLE_1)
	s_or_b32 s31, s31, s57
	s_or_b32 exec_lo, exec_lo, s56
	s_and_saveexec_b32 s56, s31
	s_cbranch_execnz .LBB159_1242
	s_branch .LBB159_1243
.LBB159_1260:
	s_mov_b32 s31, -1
                                        ; implicit-def: $vgpr8
	s_branch .LBB159_1265
.LBB159_1261:
	s_mov_b32 s31, -1
                                        ; implicit-def: $vgpr8
.LBB159_1262:
	s_delay_alu instid0(SALU_CYCLE_1)
	s_and_b32 vcc_lo, exec_lo, s31
	s_cbranch_vccz .LBB159_1264
; %bb.1263:
	global_load_u8 v3, v[6:7], off
	s_wait_loadcnt 0x0
	v_lshlrev_b32_e32 v3, 24, v3
	s_delay_alu instid0(VALU_DEP_1) | instskip(SKIP_1) | instid1(VALU_DEP_1)
	v_and_b32_e32 v5, 0x7f000000, v3
	s_wait_xcnt 0x1
	v_clz_i32_u32_e32 v8, v5
	v_cmp_ne_u32_e32 vcc_lo, 0, v5
	v_add_nc_u32_e32 v10, 0x1000000, v5
	s_delay_alu instid0(VALU_DEP_3) | instskip(NEXT) | instid1(VALU_DEP_1)
	v_min_u32_e32 v8, 32, v8
	v_sub_nc_u32_e64 v8, v8, 4 clamp
	s_delay_alu instid0(VALU_DEP_1) | instskip(NEXT) | instid1(VALU_DEP_1)
	v_dual_lshlrev_b32 v9, v8, v5 :: v_dual_lshlrev_b32 v8, 23, v8
	v_lshrrev_b32_e32 v9, 4, v9
	s_delay_alu instid0(VALU_DEP_1) | instskip(NEXT) | instid1(VALU_DEP_1)
	v_dual_sub_nc_u32 v8, v9, v8 :: v_dual_ashrrev_i32 v9, 8, v10
	v_add_nc_u32_e32 v8, 0x3c000000, v8
	s_delay_alu instid0(VALU_DEP_1) | instskip(NEXT) | instid1(VALU_DEP_1)
	v_and_or_b32 v8, 0x7f800000, v9, v8
	v_cndmask_b32_e32 v5, 0, v8, vcc_lo
	s_delay_alu instid0(VALU_DEP_1) | instskip(NEXT) | instid1(VALU_DEP_1)
	v_and_or_b32 v3, 0x80000000, v3, v5
	v_cvt_f16_f32_e32 v8, v3
.LBB159_1264:
	s_mov_b32 s31, 0
.LBB159_1265:
	s_delay_alu instid0(SALU_CYCLE_1)
	s_and_not1_b32 vcc_lo, exec_lo, s31
	s_cbranch_vccnz .LBB159_1267
; %bb.1266:
	global_load_u8 v3, v[6:7], off
	s_wait_loadcnt 0x0
	v_lshlrev_b32_e32 v5, 25, v3
	v_lshlrev_b16 v3, 8, v3
	s_wait_xcnt 0x1
	s_delay_alu instid0(VALU_DEP_1) | instskip(SKIP_1) | instid1(VALU_DEP_2)
	v_and_or_b32 v9, 0x7f00, v3, 0.5
	v_bfe_i32 v3, v3, 0, 16
	v_add_f32_e32 v9, -0.5, v9
	v_lshrrev_b32_e32 v8, 4, v5
	v_cmp_gt_u32_e32 vcc_lo, 0x8000000, v5
	s_delay_alu instid0(VALU_DEP_2) | instskip(NEXT) | instid1(VALU_DEP_1)
	v_or_b32_e32 v8, 0x70000000, v8
	v_mul_f32_e32 v8, 0x7800000, v8
	s_delay_alu instid0(VALU_DEP_1) | instskip(NEXT) | instid1(VALU_DEP_1)
	v_cndmask_b32_e32 v5, v8, v9, vcc_lo
	v_and_or_b32 v3, 0x80000000, v3, v5
	s_delay_alu instid0(VALU_DEP_1)
	v_cvt_f16_f32_e32 v8, v3
.LBB159_1267:
	s_mov_b32 s56, 0
	s_mov_b32 s31, -1
.LBB159_1268:
	s_and_not1_b32 vcc_lo, exec_lo, s56
	s_cbranch_vccnz .LBB159_1281
; %bb.1269:
	s_cmp_gt_i32 s30, 14
	s_cbranch_scc0 .LBB159_1272
; %bb.1270:
	s_cmp_eq_u32 s30, 15
	s_cbranch_scc0 .LBB159_1275
; %bb.1271:
	global_load_u16 v3, v[6:7], off
	s_mov_b32 s31, -1
	s_mov_b32 s29, 0
	s_wait_loadcnt 0x0
	v_lshlrev_b32_e32 v3, 16, v3
	s_wait_xcnt 0x1
	s_delay_alu instid0(VALU_DEP_1)
	v_cvt_f16_f32_e32 v8, v3
	s_branch .LBB159_1276
.LBB159_1272:
	s_mov_b32 s56, -1
                                        ; implicit-def: $vgpr8
	s_branch .LBB159_1277
.LBB159_1273:
	s_or_saveexec_b32 s56, s56
	v_mov_b32_e32 v8, 0x7e00
	s_xor_b32 exec_lo, exec_lo, s56
	s_cbranch_execz .LBB159_1254
.LBB159_1274:
	v_cmp_ne_u16_e32 vcc_lo, 0, v3
	v_mov_b32_e32 v8, v3
	s_and_not1_b32 s31, s31, exec_lo
	s_and_b32 s57, vcc_lo, exec_lo
	s_delay_alu instid0(SALU_CYCLE_1)
	s_or_b32 s31, s31, s57
	s_or_b32 exec_lo, exec_lo, s56
	s_and_saveexec_b32 s56, s31
	s_cbranch_execnz .LBB159_1255
	s_branch .LBB159_1256
.LBB159_1275:
	s_mov_b32 s29, -1
                                        ; implicit-def: $vgpr8
.LBB159_1276:
	s_mov_b32 s56, 0
.LBB159_1277:
	s_delay_alu instid0(SALU_CYCLE_1)
	s_and_b32 vcc_lo, exec_lo, s56
	s_cbranch_vccz .LBB159_1281
; %bb.1278:
	s_cmp_eq_u32 s30, 11
	s_cbranch_scc0 .LBB159_1280
; %bb.1279:
	global_load_u8 v3, v[6:7], off
	s_mov_b32 s29, 0
	s_mov_b32 s31, -1
	s_wait_loadcnt 0x0
	v_cmp_ne_u16_e32 vcc_lo, 0, v3
	s_wait_xcnt 0x1
	v_cndmask_b32_e64 v8, 0, 0x3c00, vcc_lo
	s_branch .LBB159_1281
.LBB159_1280:
	s_mov_b32 s29, -1
                                        ; implicit-def: $vgpr8
.LBB159_1281:
	s_mov_b32 s30, 0
.LBB159_1282:
	s_delay_alu instid0(SALU_CYCLE_1)
	s_and_b32 vcc_lo, exec_lo, s30
	s_cbranch_vccz .LBB159_1331
; %bb.1283:
	s_and_b32 s0, 0xffff, s0
	s_delay_alu instid0(SALU_CYCLE_1)
	s_cmp_lt_i32 s0, 5
	s_cbranch_scc1 .LBB159_1288
; %bb.1284:
	s_cmp_lt_i32 s0, 8
	s_cbranch_scc1 .LBB159_1289
; %bb.1285:
	;; [unrolled: 3-line block ×3, first 2 shown]
	s_cmp_gt_i32 s0, 9
	s_cbranch_scc0 .LBB159_1291
; %bb.1287:
	global_load_b64 v[8:9], v[6:7], off
	s_mov_b32 s30, 0
	s_wait_loadcnt 0x0
	v_and_or_b32 v3, 0x1ff, v9, v8
	v_lshrrev_b32_e32 v5, 8, v9
	v_bfe_u32 v8, v9, 20, 11
	s_delay_alu instid0(VALU_DEP_3) | instskip(NEXT) | instid1(VALU_DEP_2)
	v_cmp_ne_u32_e32 vcc_lo, 0, v3
	v_sub_nc_u32_e32 v10, 0x3f1, v8
	v_add_nc_u32_e32 v8, 0xfffffc10, v8
	v_cndmask_b32_e64 v3, 0, 1, vcc_lo
	s_delay_alu instid0(VALU_DEP_1) | instskip(NEXT) | instid1(VALU_DEP_4)
	v_and_or_b32 v3, 0xffe, v5, v3
	v_med3_i32 v5, v10, 0, 13
	s_delay_alu instid0(VALU_DEP_2) | instskip(NEXT) | instid1(VALU_DEP_1)
	v_or_b32_e32 v10, 0x1000, v3
	v_lshrrev_b32_e32 v11, v5, v10
	s_delay_alu instid0(VALU_DEP_1) | instskip(NEXT) | instid1(VALU_DEP_1)
	v_lshlrev_b32_e32 v5, v5, v11
	v_cmp_ne_u32_e32 vcc_lo, v5, v10
	v_lshl_or_b32 v10, v8, 12, v3
	v_cndmask_b32_e64 v5, 0, 1, vcc_lo
	v_cmp_gt_i32_e32 vcc_lo, 1, v8
	s_delay_alu instid0(VALU_DEP_2) | instskip(NEXT) | instid1(VALU_DEP_1)
	v_or_b32_e32 v5, v11, v5
	v_cndmask_b32_e32 v5, v10, v5, vcc_lo
	s_delay_alu instid0(VALU_DEP_1) | instskip(NEXT) | instid1(VALU_DEP_1)
	v_dual_lshrrev_b32 v5, 2, v5 :: v_dual_bitop2_b32 v10, 7, v5 bitop3:0x40
	v_cmp_lt_i32_e32 vcc_lo, 5, v10
	v_cndmask_b32_e64 v11, 0, 1, vcc_lo
	v_cmp_eq_u32_e32 vcc_lo, 3, v10
	v_cndmask_b32_e64 v10, 0, 1, vcc_lo
	v_cmp_ne_u32_e32 vcc_lo, 0, v3
	s_delay_alu instid0(VALU_DEP_2) | instskip(SKIP_1) | instid1(VALU_DEP_2)
	v_or_b32_e32 v10, v10, v11
	v_mov_b32_e32 v11, 0x7e00
	v_add_nc_u32_e32 v5, v5, v10
	s_delay_alu instid0(VALU_DEP_2) | instskip(SKIP_1) | instid1(VALU_DEP_3)
	v_cndmask_b32_e32 v3, 0x7c00, v11, vcc_lo
	v_cmp_gt_i32_e32 vcc_lo, 31, v8
	v_cndmask_b32_e32 v5, 0x7c00, v5, vcc_lo
	v_cmp_eq_u32_e32 vcc_lo, 0x40f, v8
	s_delay_alu instid0(VALU_DEP_2) | instskip(NEXT) | instid1(VALU_DEP_1)
	v_dual_cndmask_b32 v3, v5, v3, vcc_lo :: v_dual_lshrrev_b32 v5, 16, v9
	v_and_or_b32 v8, 0x8000, v5, v3
	s_branch .LBB159_1292
.LBB159_1288:
	s_mov_b32 s30, -1
                                        ; implicit-def: $vgpr8
	s_branch .LBB159_1310
.LBB159_1289:
	s_mov_b32 s30, -1
                                        ; implicit-def: $vgpr8
	s_branch .LBB159_1298
.LBB159_1290:
	s_mov_b32 s30, -1
                                        ; implicit-def: $vgpr8
	s_branch .LBB159_1295
.LBB159_1291:
	s_mov_b32 s30, -1
                                        ; implicit-def: $vgpr8
.LBB159_1292:
	s_delay_alu instid0(SALU_CYCLE_1)
	s_and_not1_b32 vcc_lo, exec_lo, s30
	s_cbranch_vccnz .LBB159_1294
; %bb.1293:
	global_load_b32 v3, v[6:7], off
	s_wait_loadcnt 0x0
	s_wait_xcnt 0x1
	v_cvt_f16_f32_e32 v8, v3
.LBB159_1294:
	s_mov_b32 s30, 0
.LBB159_1295:
	s_delay_alu instid0(SALU_CYCLE_1)
	s_and_not1_b32 vcc_lo, exec_lo, s30
	s_cbranch_vccnz .LBB159_1297
; %bb.1296:
	global_load_b32 v8, v[6:7], off
.LBB159_1297:
	s_mov_b32 s30, 0
.LBB159_1298:
	s_delay_alu instid0(SALU_CYCLE_1)
	s_and_not1_b32 vcc_lo, exec_lo, s30
	s_cbranch_vccnz .LBB159_1309
; %bb.1299:
	s_cmp_lt_i32 s0, 6
	s_cbranch_scc1 .LBB159_1302
; %bb.1300:
	s_cmp_gt_i32 s0, 6
	s_cbranch_scc0 .LBB159_1303
; %bb.1301:
	s_wait_loadcnt 0x0
	global_load_b64 v[8:9], v[6:7], off
	s_mov_b32 s30, 0
	s_wait_loadcnt 0x0
	v_and_or_b32 v3, 0x1ff, v9, v8
	v_lshrrev_b32_e32 v5, 8, v9
	v_bfe_u32 v8, v9, 20, 11
	s_delay_alu instid0(VALU_DEP_3) | instskip(NEXT) | instid1(VALU_DEP_2)
	v_cmp_ne_u32_e32 vcc_lo, 0, v3
	v_sub_nc_u32_e32 v10, 0x3f1, v8
	v_add_nc_u32_e32 v8, 0xfffffc10, v8
	v_cndmask_b32_e64 v3, 0, 1, vcc_lo
	s_delay_alu instid0(VALU_DEP_1) | instskip(NEXT) | instid1(VALU_DEP_4)
	v_and_or_b32 v3, 0xffe, v5, v3
	v_med3_i32 v5, v10, 0, 13
	s_delay_alu instid0(VALU_DEP_2) | instskip(NEXT) | instid1(VALU_DEP_1)
	v_or_b32_e32 v10, 0x1000, v3
	v_lshrrev_b32_e32 v11, v5, v10
	s_delay_alu instid0(VALU_DEP_1) | instskip(NEXT) | instid1(VALU_DEP_1)
	v_lshlrev_b32_e32 v5, v5, v11
	v_cmp_ne_u32_e32 vcc_lo, v5, v10
	v_lshl_or_b32 v10, v8, 12, v3
	v_cndmask_b32_e64 v5, 0, 1, vcc_lo
	v_cmp_gt_i32_e32 vcc_lo, 1, v8
	s_delay_alu instid0(VALU_DEP_2) | instskip(NEXT) | instid1(VALU_DEP_1)
	v_or_b32_e32 v5, v11, v5
	v_cndmask_b32_e32 v5, v10, v5, vcc_lo
	s_delay_alu instid0(VALU_DEP_1) | instskip(NEXT) | instid1(VALU_DEP_1)
	v_dual_lshrrev_b32 v5, 2, v5 :: v_dual_bitop2_b32 v10, 7, v5 bitop3:0x40
	v_cmp_lt_i32_e32 vcc_lo, 5, v10
	v_cndmask_b32_e64 v11, 0, 1, vcc_lo
	v_cmp_eq_u32_e32 vcc_lo, 3, v10
	v_cndmask_b32_e64 v10, 0, 1, vcc_lo
	v_cmp_ne_u32_e32 vcc_lo, 0, v3
	s_delay_alu instid0(VALU_DEP_2) | instskip(SKIP_1) | instid1(VALU_DEP_2)
	v_or_b32_e32 v10, v10, v11
	v_mov_b32_e32 v11, 0x7e00
	v_add_nc_u32_e32 v5, v5, v10
	s_delay_alu instid0(VALU_DEP_2) | instskip(SKIP_1) | instid1(VALU_DEP_3)
	v_cndmask_b32_e32 v3, 0x7c00, v11, vcc_lo
	v_cmp_gt_i32_e32 vcc_lo, 31, v8
	v_cndmask_b32_e32 v5, 0x7c00, v5, vcc_lo
	v_cmp_eq_u32_e32 vcc_lo, 0x40f, v8
	s_delay_alu instid0(VALU_DEP_2) | instskip(NEXT) | instid1(VALU_DEP_1)
	v_dual_cndmask_b32 v3, v5, v3, vcc_lo :: v_dual_lshrrev_b32 v5, 16, v9
	v_and_or_b32 v8, 0x8000, v5, v3
	s_branch .LBB159_1304
.LBB159_1302:
	s_mov_b32 s30, -1
                                        ; implicit-def: $vgpr8
	s_branch .LBB159_1307
.LBB159_1303:
	s_mov_b32 s30, -1
                                        ; implicit-def: $vgpr8
.LBB159_1304:
	s_delay_alu instid0(SALU_CYCLE_1)
	s_and_not1_b32 vcc_lo, exec_lo, s30
	s_cbranch_vccnz .LBB159_1306
; %bb.1305:
	global_load_b32 v3, v[6:7], off
	s_wait_loadcnt 0x0
	s_wait_xcnt 0x1
	v_cvt_f16_f32_e32 v8, v3
.LBB159_1306:
	s_mov_b32 s30, 0
.LBB159_1307:
	s_delay_alu instid0(SALU_CYCLE_1)
	s_and_not1_b32 vcc_lo, exec_lo, s30
	s_cbranch_vccnz .LBB159_1309
; %bb.1308:
	s_wait_loadcnt 0x0
	global_load_u16 v8, v[6:7], off
.LBB159_1309:
	s_mov_b32 s30, 0
.LBB159_1310:
	s_delay_alu instid0(SALU_CYCLE_1)
	s_and_not1_b32 vcc_lo, exec_lo, s30
	s_cbranch_vccnz .LBB159_1330
; %bb.1311:
	s_cmp_lt_i32 s0, 2
	s_cbranch_scc1 .LBB159_1315
; %bb.1312:
	s_cmp_lt_i32 s0, 3
	s_cbranch_scc1 .LBB159_1316
; %bb.1313:
	s_cmp_gt_i32 s0, 3
	s_cbranch_scc0 .LBB159_1317
; %bb.1314:
	s_wait_loadcnt 0x0
	global_load_b64 v[8:9], v[6:7], off
	s_mov_b32 s30, 0
	s_wait_loadcnt 0x0
	v_xor_b32_e32 v3, v8, v9
	v_cls_i32_e32 v5, v9
	s_delay_alu instid0(VALU_DEP_2) | instskip(NEXT) | instid1(VALU_DEP_1)
	v_ashrrev_i32_e32 v3, 31, v3
	v_add_nc_u32_e32 v3, 32, v3
	s_delay_alu instid0(VALU_DEP_1) | instskip(NEXT) | instid1(VALU_DEP_1)
	v_add_min_u32_e64 v3, v5, -1, v3
	v_lshlrev_b64_e32 v[8:9], v3, v[8:9]
	v_sub_nc_u32_e32 v3, 32, v3
	s_delay_alu instid0(VALU_DEP_2) | instskip(NEXT) | instid1(VALU_DEP_1)
	v_min_u32_e32 v5, 1, v8
	v_or_b32_e32 v5, v9, v5
	s_delay_alu instid0(VALU_DEP_1) | instskip(NEXT) | instid1(VALU_DEP_1)
	v_cvt_f32_i32_e32 v5, v5
	v_ldexp_f32 v3, v5, v3
	s_delay_alu instid0(VALU_DEP_1)
	v_cvt_f16_f32_e32 v8, v3
	s_branch .LBB159_1318
.LBB159_1315:
	s_mov_b32 s30, -1
                                        ; implicit-def: $vgpr8
	s_branch .LBB159_1324
.LBB159_1316:
	s_mov_b32 s30, -1
                                        ; implicit-def: $vgpr8
	s_branch .LBB159_1321
.LBB159_1317:
	s_mov_b32 s30, -1
                                        ; implicit-def: $vgpr8
.LBB159_1318:
	s_delay_alu instid0(SALU_CYCLE_1)
	s_and_not1_b32 vcc_lo, exec_lo, s30
	s_cbranch_vccnz .LBB159_1320
; %bb.1319:
	global_load_b32 v3, v[6:7], off
	s_wait_loadcnt 0x0
	v_cvt_f32_i32_e32 v3, v3
	s_wait_xcnt 0x1
	s_delay_alu instid0(VALU_DEP_1)
	v_cvt_f16_f32_e32 v8, v3
.LBB159_1320:
	s_mov_b32 s30, 0
.LBB159_1321:
	s_delay_alu instid0(SALU_CYCLE_1)
	s_and_not1_b32 vcc_lo, exec_lo, s30
	s_cbranch_vccnz .LBB159_1323
; %bb.1322:
	global_load_u16 v3, v[6:7], off
	s_wait_loadcnt 0x0
	s_wait_xcnt 0x1
	v_cvt_f16_i16_e32 v8, v3
.LBB159_1323:
	s_mov_b32 s30, 0
.LBB159_1324:
	s_delay_alu instid0(SALU_CYCLE_1)
	s_and_not1_b32 vcc_lo, exec_lo, s30
	s_cbranch_vccnz .LBB159_1330
; %bb.1325:
	s_cmp_gt_i32 s0, 0
	s_mov_b32 s0, 0
	s_cbranch_scc0 .LBB159_1327
; %bb.1326:
	global_load_i8 v3, v[6:7], off
	s_wait_loadcnt 0x0
	s_wait_xcnt 0x1
	v_cvt_f16_i16_e32 v8, v3
	s_branch .LBB159_1328
.LBB159_1327:
	s_mov_b32 s0, -1
                                        ; implicit-def: $vgpr8
.LBB159_1328:
	s_delay_alu instid0(SALU_CYCLE_1)
	s_and_not1_b32 vcc_lo, exec_lo, s0
	s_cbranch_vccnz .LBB159_1330
; %bb.1329:
	global_load_u8 v3, v[6:7], off
	s_wait_loadcnt 0x0
	s_wait_xcnt 0x1
	v_cvt_f16_u16_e32 v8, v3
.LBB159_1330:
	s_mov_b32 s31, -1
.LBB159_1331:
	s_delay_alu instid0(SALU_CYCLE_1)
	s_and_not1_b32 vcc_lo, exec_lo, s31
	s_cbranch_vccnz .LBB159_1339
; %bb.1332:
	v_mov_b32_e32 v5, 0
	s_and_b32 s0, 0xffff, s21
	s_delay_alu instid0(SALU_CYCLE_1) | instskip(NEXT) | instid1(VALU_DEP_1)
	s_cmp_lt_i32 s0, 11
	v_add_nc_u64_e32 v[4:5], s[10:11], v[4:5]
	s_cbranch_scc1 .LBB159_1340
; %bb.1333:
	s_cmp_gt_i32 s0, 25
	s_cbranch_scc0 .LBB159_1341
; %bb.1334:
	s_cmp_gt_i32 s0, 28
	s_cbranch_scc0 .LBB159_1342
	;; [unrolled: 3-line block ×4, first 2 shown]
; %bb.1337:
	s_cmp_eq_u32 s0, 46
	s_mov_b32 s56, 0
	s_cbranch_scc0 .LBB159_1347
; %bb.1338:
	global_load_b32 v3, v[4:5], off
	s_mov_b32 s31, -1
	s_mov_b32 s30, 0
	s_wait_loadcnt 0x0
	v_lshlrev_b32_e32 v3, 16, v3
	s_delay_alu instid0(VALU_DEP_1)
	v_cvt_f16_f32_e32 v3, v3
	s_branch .LBB159_1349
.LBB159_1339:
	s_mov_b32 s31, 0
	s_mov_b32 s0, s51
	;; [unrolled: 1-line block ×3, first 2 shown]
	s_branch .LBB159_1588
.LBB159_1340:
	s_mov_b32 s56, -1
	s_mov_b32 s31, 0
	s_mov_b32 s30, s52
                                        ; implicit-def: $vgpr3
	s_branch .LBB159_1414
.LBB159_1341:
	s_mov_b32 s56, -1
	s_mov_b32 s31, 0
	s_mov_b32 s30, s52
                                        ; implicit-def: $vgpr3
	s_branch .LBB159_1378
.LBB159_1342:
	s_mov_b32 s56, -1
	s_mov_b32 s31, 0
	s_mov_b32 s30, s52
                                        ; implicit-def: $vgpr3
	s_branch .LBB159_1359
.LBB159_1343:
	s_mov_b32 s56, -1
	s_mov_b32 s31, 0
	s_mov_b32 s30, s52
                                        ; implicit-def: $vgpr3
	s_branch .LBB159_1354
.LBB159_1344:
	s_mov_b32 s56, -1
	s_mov_b32 s31, 0
	s_mov_b32 s30, s52
	s_branch .LBB159_1348
.LBB159_1345:
	s_and_not1_saveexec_b32 s53, s53
	s_cbranch_execz .LBB159_978
.LBB159_1346:
	v_add_f32_e64 v5, 0x42800000, |v4|
	s_and_not1_b32 s52, s52, exec_lo
	s_delay_alu instid0(VALU_DEP_1) | instskip(NEXT) | instid1(VALU_DEP_1)
	v_and_b32_e32 v5, 0xff, v5
	v_cmp_ne_u32_e32 vcc_lo, 0, v5
	s_and_b32 s55, vcc_lo, exec_lo
	s_delay_alu instid0(SALU_CYCLE_1)
	s_or_b32 s52, s52, s55
	s_or_b32 exec_lo, exec_lo, s53
	v_mov_b32_e32 v6, 0
	s_and_saveexec_b32 s53, s52
	s_cbranch_execnz .LBB159_979
	s_branch .LBB159_980
.LBB159_1347:
	s_mov_b32 s30, -1
	s_mov_b32 s31, 0
.LBB159_1348:
                                        ; implicit-def: $vgpr3
.LBB159_1349:
	s_and_b32 vcc_lo, exec_lo, s56
	s_cbranch_vccz .LBB159_1353
; %bb.1350:
	s_cmp_eq_u32 s0, 44
	s_cbranch_scc0 .LBB159_1352
; %bb.1351:
	global_load_u8 v3, v[4:5], off
	s_mov_b32 s30, 0
	s_mov_b32 s31, -1
	s_wait_loadcnt 0x0
	s_wait_xcnt 0x1
	v_lshlrev_b32_e32 v6, 23, v3
	v_cmp_ne_u32_e32 vcc_lo, 0xff, v3
	s_delay_alu instid0(VALU_DEP_2) | instskip(NEXT) | instid1(VALU_DEP_1)
	v_cvt_f16_f32_e32 v6, v6
	v_cndmask_b32_e32 v6, 0x7e00, v6, vcc_lo
	v_cmp_ne_u32_e32 vcc_lo, 0, v3
	s_delay_alu instid0(VALU_DEP_2)
	v_cndmask_b32_e32 v3, 0, v6, vcc_lo
	s_branch .LBB159_1353
.LBB159_1352:
	s_mov_b32 s30, -1
                                        ; implicit-def: $vgpr3
.LBB159_1353:
	s_mov_b32 s56, 0
.LBB159_1354:
	s_delay_alu instid0(SALU_CYCLE_1)
	s_and_b32 vcc_lo, exec_lo, s56
	s_cbranch_vccz .LBB159_1358
; %bb.1355:
	s_cmp_eq_u32 s0, 29
	s_cbranch_scc0 .LBB159_1357
; %bb.1356:
	global_load_b64 v[6:7], v[4:5], off
	s_mov_b32 s31, -1
	s_mov_b32 s30, 0
	s_mov_b32 s56, 0
	s_wait_loadcnt 0x0
	v_clz_i32_u32_e32 v3, v7
	s_delay_alu instid0(VALU_DEP_1) | instskip(NEXT) | instid1(VALU_DEP_1)
	v_min_u32_e32 v3, 32, v3
	v_lshlrev_b64_e32 v[6:7], v3, v[6:7]
	v_sub_nc_u32_e32 v3, 32, v3
	s_delay_alu instid0(VALU_DEP_2) | instskip(NEXT) | instid1(VALU_DEP_1)
	v_min_u32_e32 v6, 1, v6
	v_or_b32_e32 v6, v7, v6
	s_delay_alu instid0(VALU_DEP_1) | instskip(NEXT) | instid1(VALU_DEP_1)
	v_cvt_f32_u32_e32 v6, v6
	v_ldexp_f32 v3, v6, v3
	s_delay_alu instid0(VALU_DEP_1)
	v_cvt_f16_f32_e32 v3, v3
	s_branch .LBB159_1359
.LBB159_1357:
	s_mov_b32 s30, -1
                                        ; implicit-def: $vgpr3
.LBB159_1358:
	s_mov_b32 s56, 0
.LBB159_1359:
	s_delay_alu instid0(SALU_CYCLE_1)
	s_and_b32 vcc_lo, exec_lo, s56
	s_cbranch_vccz .LBB159_1377
; %bb.1360:
	s_cmp_lt_i32 s0, 27
	s_cbranch_scc1 .LBB159_1363
; %bb.1361:
	s_cmp_gt_i32 s0, 27
	s_cbranch_scc0 .LBB159_1364
; %bb.1362:
	global_load_b32 v3, v[4:5], off
	s_mov_b32 s31, 0
	s_wait_loadcnt 0x0
	v_cvt_f32_u32_e32 v3, v3
	s_delay_alu instid0(VALU_DEP_1)
	v_cvt_f16_f32_e32 v3, v3
	s_branch .LBB159_1365
.LBB159_1363:
	s_mov_b32 s31, -1
                                        ; implicit-def: $vgpr3
	s_branch .LBB159_1368
.LBB159_1364:
	s_mov_b32 s31, -1
                                        ; implicit-def: $vgpr3
.LBB159_1365:
	s_delay_alu instid0(SALU_CYCLE_1)
	s_and_not1_b32 vcc_lo, exec_lo, s31
	s_cbranch_vccnz .LBB159_1367
; %bb.1366:
	global_load_u16 v3, v[4:5], off
	s_wait_loadcnt 0x0
	v_cvt_f16_u16_e32 v3, v3
.LBB159_1367:
	s_mov_b32 s31, 0
.LBB159_1368:
	s_delay_alu instid0(SALU_CYCLE_1)
	s_and_not1_b32 vcc_lo, exec_lo, s31
	s_cbranch_vccnz .LBB159_1376
; %bb.1369:
	global_load_u8 v6, v[4:5], off
	s_mov_b32 s31, 0
	s_mov_b32 s56, exec_lo
	s_wait_loadcnt 0x0
	v_cmpx_lt_i16_e32 0x7f, v6
	s_xor_b32 s56, exec_lo, s56
	s_cbranch_execz .LBB159_1390
; %bb.1370:
	s_mov_b32 s31, -1
	s_mov_b32 s57, exec_lo
	v_cmpx_eq_u16_e32 0x80, v6
; %bb.1371:
	s_xor_b32 s31, exec_lo, -1
; %bb.1372:
	s_or_b32 exec_lo, exec_lo, s57
	s_delay_alu instid0(SALU_CYCLE_1)
	s_and_b32 s31, s31, exec_lo
	s_or_saveexec_b32 s56, s56
	v_mov_b32_e32 v3, 0x7e00
	s_xor_b32 exec_lo, exec_lo, s56
	s_cbranch_execnz .LBB159_1391
.LBB159_1373:
	s_or_b32 exec_lo, exec_lo, s56
	s_and_saveexec_b32 s56, s31
	s_cbranch_execz .LBB159_1375
.LBB159_1374:
	v_and_b32_e32 v3, 0xffff, v6
	s_delay_alu instid0(VALU_DEP_1) | instskip(SKIP_1) | instid1(VALU_DEP_2)
	v_and_b32_e32 v7, 7, v3
	v_bfe_u32 v11, v3, 3, 4
	v_clz_i32_u32_e32 v9, v7
	s_delay_alu instid0(VALU_DEP_2) | instskip(NEXT) | instid1(VALU_DEP_2)
	v_cmp_eq_u32_e32 vcc_lo, 0, v11
	v_min_u32_e32 v9, 32, v9
	s_delay_alu instid0(VALU_DEP_1) | instskip(NEXT) | instid1(VALU_DEP_1)
	v_subrev_nc_u32_e32 v10, 28, v9
	v_dual_lshlrev_b32 v3, v10, v3 :: v_dual_sub_nc_u32 v9, 29, v9
	s_delay_alu instid0(VALU_DEP_1) | instskip(NEXT) | instid1(VALU_DEP_2)
	v_dual_lshlrev_b32 v6, 24, v6 :: v_dual_bitop2_b32 v3, 7, v3 bitop3:0x40
	v_cndmask_b32_e32 v9, v11, v9, vcc_lo
	s_delay_alu instid0(VALU_DEP_2) | instskip(NEXT) | instid1(VALU_DEP_3)
	v_cndmask_b32_e32 v3, v7, v3, vcc_lo
	v_and_b32_e32 v6, 0x80000000, v6
	s_delay_alu instid0(VALU_DEP_3) | instskip(NEXT) | instid1(VALU_DEP_3)
	v_lshl_add_u32 v7, v9, 23, 0x3b800000
	v_lshlrev_b32_e32 v3, 20, v3
	s_delay_alu instid0(VALU_DEP_1) | instskip(NEXT) | instid1(VALU_DEP_1)
	v_or3_b32 v3, v6, v7, v3
	v_cvt_f16_f32_e32 v3, v3
.LBB159_1375:
	s_or_b32 exec_lo, exec_lo, s56
.LBB159_1376:
	s_mov_b32 s31, -1
.LBB159_1377:
	s_mov_b32 s56, 0
.LBB159_1378:
	s_delay_alu instid0(SALU_CYCLE_1)
	s_and_b32 vcc_lo, exec_lo, s56
	s_cbranch_vccz .LBB159_1413
; %bb.1379:
	s_cmp_gt_i32 s0, 22
	s_cbranch_scc0 .LBB159_1389
; %bb.1380:
	s_cmp_lt_i32 s0, 24
	s_cbranch_scc1 .LBB159_1392
; %bb.1381:
	s_cmp_gt_i32 s0, 24
	s_cbranch_scc0 .LBB159_1393
; %bb.1382:
	global_load_u8 v6, v[4:5], off
	s_mov_b32 s31, 0
	s_mov_b32 s56, exec_lo
	s_wait_loadcnt 0x0
	v_cmpx_lt_i16_e32 0x7f, v6
	s_xor_b32 s56, exec_lo, s56
	s_cbranch_execz .LBB159_1405
; %bb.1383:
	s_mov_b32 s31, -1
	s_mov_b32 s57, exec_lo
	v_cmpx_eq_u16_e32 0x80, v6
; %bb.1384:
	s_xor_b32 s31, exec_lo, -1
; %bb.1385:
	s_or_b32 exec_lo, exec_lo, s57
	s_delay_alu instid0(SALU_CYCLE_1)
	s_and_b32 s31, s31, exec_lo
	s_or_saveexec_b32 s56, s56
	v_mov_b32_e32 v3, 0x7e00
	s_xor_b32 exec_lo, exec_lo, s56
	s_cbranch_execnz .LBB159_1406
.LBB159_1386:
	s_or_b32 exec_lo, exec_lo, s56
	s_and_saveexec_b32 s56, s31
	s_cbranch_execz .LBB159_1388
.LBB159_1387:
	v_and_b32_e32 v3, 0xffff, v6
	s_delay_alu instid0(VALU_DEP_1) | instskip(SKIP_1) | instid1(VALU_DEP_2)
	v_and_b32_e32 v7, 3, v3
	v_bfe_u32 v11, v3, 2, 5
	v_clz_i32_u32_e32 v9, v7
	s_delay_alu instid0(VALU_DEP_2) | instskip(NEXT) | instid1(VALU_DEP_2)
	v_cmp_eq_u32_e32 vcc_lo, 0, v11
	v_min_u32_e32 v9, 32, v9
	s_delay_alu instid0(VALU_DEP_1) | instskip(NEXT) | instid1(VALU_DEP_1)
	v_subrev_nc_u32_e32 v10, 29, v9
	v_dual_lshlrev_b32 v3, v10, v3 :: v_dual_sub_nc_u32 v9, 30, v9
	s_delay_alu instid0(VALU_DEP_1) | instskip(NEXT) | instid1(VALU_DEP_2)
	v_dual_lshlrev_b32 v6, 24, v6 :: v_dual_bitop2_b32 v3, 3, v3 bitop3:0x40
	v_cndmask_b32_e32 v9, v11, v9, vcc_lo
	s_delay_alu instid0(VALU_DEP_2) | instskip(NEXT) | instid1(VALU_DEP_3)
	v_cndmask_b32_e32 v3, v7, v3, vcc_lo
	v_and_b32_e32 v6, 0x80000000, v6
	s_delay_alu instid0(VALU_DEP_3) | instskip(NEXT) | instid1(VALU_DEP_3)
	v_lshl_add_u32 v7, v9, 23, 0x37800000
	v_lshlrev_b32_e32 v3, 21, v3
	s_delay_alu instid0(VALU_DEP_1) | instskip(NEXT) | instid1(VALU_DEP_1)
	v_or3_b32 v3, v6, v7, v3
	v_cvt_f16_f32_e32 v3, v3
.LBB159_1388:
	s_or_b32 exec_lo, exec_lo, s56
	s_mov_b32 s31, 0
	s_branch .LBB159_1394
.LBB159_1389:
	s_mov_b32 s56, -1
                                        ; implicit-def: $vgpr3
	s_branch .LBB159_1400
.LBB159_1390:
	s_or_saveexec_b32 s56, s56
	v_mov_b32_e32 v3, 0x7e00
	s_xor_b32 exec_lo, exec_lo, s56
	s_cbranch_execz .LBB159_1373
.LBB159_1391:
	v_cmp_ne_u16_e32 vcc_lo, 0, v6
	v_mov_b32_e32 v3, v6
	s_and_not1_b32 s31, s31, exec_lo
	s_and_b32 s57, vcc_lo, exec_lo
	s_delay_alu instid0(SALU_CYCLE_1)
	s_or_b32 s31, s31, s57
	s_or_b32 exec_lo, exec_lo, s56
	s_and_saveexec_b32 s56, s31
	s_cbranch_execnz .LBB159_1374
	s_branch .LBB159_1375
.LBB159_1392:
	s_mov_b32 s31, -1
                                        ; implicit-def: $vgpr3
	s_branch .LBB159_1397
.LBB159_1393:
	s_mov_b32 s31, -1
                                        ; implicit-def: $vgpr3
.LBB159_1394:
	s_delay_alu instid0(SALU_CYCLE_1)
	s_and_b32 vcc_lo, exec_lo, s31
	s_cbranch_vccz .LBB159_1396
; %bb.1395:
	global_load_u8 v3, v[4:5], off
	s_wait_loadcnt 0x0
	v_lshlrev_b32_e32 v3, 24, v3
	s_wait_xcnt 0x1
	s_delay_alu instid0(VALU_DEP_1) | instskip(NEXT) | instid1(VALU_DEP_1)
	v_and_b32_e32 v6, 0x7f000000, v3
	v_clz_i32_u32_e32 v7, v6
	v_add_nc_u32_e32 v10, 0x1000000, v6
	v_cmp_ne_u32_e32 vcc_lo, 0, v6
	s_delay_alu instid0(VALU_DEP_3) | instskip(NEXT) | instid1(VALU_DEP_1)
	v_min_u32_e32 v7, 32, v7
	v_sub_nc_u32_e64 v7, v7, 4 clamp
	s_delay_alu instid0(VALU_DEP_1) | instskip(NEXT) | instid1(VALU_DEP_1)
	v_dual_lshlrev_b32 v9, v7, v6 :: v_dual_lshlrev_b32 v7, 23, v7
	v_lshrrev_b32_e32 v9, 4, v9
	s_delay_alu instid0(VALU_DEP_1) | instskip(NEXT) | instid1(VALU_DEP_1)
	v_dual_sub_nc_u32 v7, v9, v7 :: v_dual_ashrrev_i32 v9, 8, v10
	v_add_nc_u32_e32 v7, 0x3c000000, v7
	s_delay_alu instid0(VALU_DEP_1) | instskip(NEXT) | instid1(VALU_DEP_1)
	v_and_or_b32 v7, 0x7f800000, v9, v7
	v_cndmask_b32_e32 v6, 0, v7, vcc_lo
	s_delay_alu instid0(VALU_DEP_1) | instskip(NEXT) | instid1(VALU_DEP_1)
	v_and_or_b32 v3, 0x80000000, v3, v6
	v_cvt_f16_f32_e32 v3, v3
.LBB159_1396:
	s_mov_b32 s31, 0
.LBB159_1397:
	s_delay_alu instid0(SALU_CYCLE_1)
	s_and_not1_b32 vcc_lo, exec_lo, s31
	s_cbranch_vccnz .LBB159_1399
; %bb.1398:
	global_load_u8 v3, v[4:5], off
	s_wait_loadcnt 0x0
	s_wait_xcnt 0x1
	v_lshlrev_b32_e32 v6, 25, v3
	v_lshlrev_b16 v3, 8, v3
	s_delay_alu instid0(VALU_DEP_1) | instskip(SKIP_1) | instid1(VALU_DEP_2)
	v_and_or_b32 v9, 0x7f00, v3, 0.5
	v_bfe_i32 v3, v3, 0, 16
	v_dual_add_f32 v9, -0.5, v9 :: v_dual_lshrrev_b32 v7, 4, v6
	v_cmp_gt_u32_e32 vcc_lo, 0x8000000, v6
	s_delay_alu instid0(VALU_DEP_2) | instskip(NEXT) | instid1(VALU_DEP_1)
	v_or_b32_e32 v7, 0x70000000, v7
	v_mul_f32_e32 v7, 0x7800000, v7
	s_delay_alu instid0(VALU_DEP_1) | instskip(NEXT) | instid1(VALU_DEP_1)
	v_cndmask_b32_e32 v6, v7, v9, vcc_lo
	v_and_or_b32 v3, 0x80000000, v3, v6
	s_delay_alu instid0(VALU_DEP_1)
	v_cvt_f16_f32_e32 v3, v3
.LBB159_1399:
	s_mov_b32 s56, 0
	s_mov_b32 s31, -1
.LBB159_1400:
	s_and_not1_b32 vcc_lo, exec_lo, s56
	s_cbranch_vccnz .LBB159_1413
; %bb.1401:
	s_cmp_gt_i32 s0, 14
	s_cbranch_scc0 .LBB159_1404
; %bb.1402:
	s_cmp_eq_u32 s0, 15
	s_cbranch_scc0 .LBB159_1407
; %bb.1403:
	global_load_u16 v3, v[4:5], off
	s_mov_b32 s31, -1
	s_mov_b32 s30, 0
	s_wait_loadcnt 0x0
	v_lshlrev_b32_e32 v3, 16, v3
	s_delay_alu instid0(VALU_DEP_1)
	v_cvt_f16_f32_e32 v3, v3
	s_branch .LBB159_1408
.LBB159_1404:
	s_mov_b32 s56, -1
                                        ; implicit-def: $vgpr3
	s_branch .LBB159_1409
.LBB159_1405:
	s_or_saveexec_b32 s56, s56
	v_mov_b32_e32 v3, 0x7e00
	s_xor_b32 exec_lo, exec_lo, s56
	s_cbranch_execz .LBB159_1386
.LBB159_1406:
	v_cmp_ne_u16_e32 vcc_lo, 0, v6
	v_mov_b32_e32 v3, v6
	s_and_not1_b32 s31, s31, exec_lo
	s_and_b32 s57, vcc_lo, exec_lo
	s_delay_alu instid0(SALU_CYCLE_1)
	s_or_b32 s31, s31, s57
	s_or_b32 exec_lo, exec_lo, s56
	s_and_saveexec_b32 s56, s31
	s_cbranch_execnz .LBB159_1387
	s_branch .LBB159_1388
.LBB159_1407:
	s_mov_b32 s30, -1
                                        ; implicit-def: $vgpr3
.LBB159_1408:
	s_mov_b32 s56, 0
.LBB159_1409:
	s_delay_alu instid0(SALU_CYCLE_1)
	s_and_b32 vcc_lo, exec_lo, s56
	s_cbranch_vccz .LBB159_1413
; %bb.1410:
	s_cmp_eq_u32 s0, 11
	s_cbranch_scc0 .LBB159_1412
; %bb.1411:
	global_load_u8 v3, v[4:5], off
	s_mov_b32 s30, 0
	s_mov_b32 s31, -1
	s_wait_loadcnt 0x0
	v_cmp_ne_u16_e32 vcc_lo, 0, v3
	v_cndmask_b32_e64 v3, 0, 0x3c00, vcc_lo
	s_branch .LBB159_1413
.LBB159_1412:
	s_mov_b32 s30, -1
                                        ; implicit-def: $vgpr3
.LBB159_1413:
	s_mov_b32 s56, 0
.LBB159_1414:
	s_delay_alu instid0(SALU_CYCLE_1)
	s_and_b32 vcc_lo, exec_lo, s56
	s_cbranch_vccz .LBB159_1463
; %bb.1415:
	s_cmp_lt_i32 s0, 5
	s_cbranch_scc1 .LBB159_1420
; %bb.1416:
	s_cmp_lt_i32 s0, 8
	s_cbranch_scc1 .LBB159_1421
	;; [unrolled: 3-line block ×3, first 2 shown]
; %bb.1418:
	s_cmp_gt_i32 s0, 9
	s_cbranch_scc0 .LBB159_1423
; %bb.1419:
	global_load_b64 v[6:7], v[4:5], off
	s_mov_b32 s31, 0
	s_wait_loadcnt 0x0
	v_and_or_b32 v3, 0x1ff, v7, v6
	v_lshrrev_b32_e32 v6, 8, v7
	v_bfe_u32 v9, v7, 20, 11
	s_delay_alu instid0(VALU_DEP_3) | instskip(NEXT) | instid1(VALU_DEP_2)
	v_cmp_ne_u32_e32 vcc_lo, 0, v3
	v_sub_nc_u32_e32 v10, 0x3f1, v9
	v_cndmask_b32_e64 v3, 0, 1, vcc_lo
	s_delay_alu instid0(VALU_DEP_1) | instskip(NEXT) | instid1(VALU_DEP_3)
	v_and_or_b32 v3, 0xffe, v6, v3
	v_med3_i32 v6, v10, 0, 13
	s_delay_alu instid0(VALU_DEP_2) | instskip(NEXT) | instid1(VALU_DEP_1)
	v_or_b32_e32 v10, 0x1000, v3
	v_lshrrev_b32_e32 v11, v6, v10
	s_delay_alu instid0(VALU_DEP_1) | instskip(NEXT) | instid1(VALU_DEP_1)
	v_lshlrev_b32_e32 v6, v6, v11
	v_cmp_ne_u32_e32 vcc_lo, v6, v10
	v_cndmask_b32_e64 v6, 0, 1, vcc_lo
	s_delay_alu instid0(VALU_DEP_1) | instskip(SKIP_1) | instid1(VALU_DEP_1)
	v_or_b32_e32 v6, v11, v6
	v_add_nc_u32_e32 v9, 0xfffffc10, v9
	v_lshl_or_b32 v10, v9, 12, v3
	v_cmp_gt_i32_e32 vcc_lo, 1, v9
	s_delay_alu instid0(VALU_DEP_2) | instskip(NEXT) | instid1(VALU_DEP_1)
	v_cndmask_b32_e32 v6, v10, v6, vcc_lo
	v_dual_lshrrev_b32 v6, 2, v6 :: v_dual_bitop2_b32 v10, 7, v6 bitop3:0x40
	s_delay_alu instid0(VALU_DEP_1) | instskip(SKIP_4) | instid1(VALU_DEP_2)
	v_cmp_lt_i32_e32 vcc_lo, 5, v10
	v_cndmask_b32_e64 v11, 0, 1, vcc_lo
	v_cmp_eq_u32_e32 vcc_lo, 3, v10
	v_cndmask_b32_e64 v10, 0, 1, vcc_lo
	v_cmp_ne_u32_e32 vcc_lo, 0, v3
	v_or_b32_e32 v10, v10, v11
	s_delay_alu instid0(VALU_DEP_1) | instskip(NEXT) | instid1(VALU_DEP_1)
	v_dual_mov_b32 v11, 0x7e00 :: v_dual_add_nc_u32 v6, v6, v10
	v_cndmask_b32_e32 v3, 0x7c00, v11, vcc_lo
	v_cmp_gt_i32_e32 vcc_lo, 31, v9
	s_delay_alu instid0(VALU_DEP_3) | instskip(SKIP_1) | instid1(VALU_DEP_2)
	v_cndmask_b32_e32 v6, 0x7c00, v6, vcc_lo
	v_cmp_eq_u32_e32 vcc_lo, 0x40f, v9
	v_cndmask_b32_e32 v3, v6, v3, vcc_lo
	v_lshrrev_b32_e32 v6, 16, v7
	s_delay_alu instid0(VALU_DEP_1)
	v_and_or_b32 v3, 0x8000, v6, v3
	s_branch .LBB159_1424
.LBB159_1420:
	s_mov_b32 s31, -1
                                        ; implicit-def: $vgpr3
	s_branch .LBB159_1442
.LBB159_1421:
	s_mov_b32 s31, -1
                                        ; implicit-def: $vgpr3
	s_branch .LBB159_1430
.LBB159_1422:
	s_mov_b32 s31, -1
                                        ; implicit-def: $vgpr3
	s_branch .LBB159_1427
.LBB159_1423:
	s_mov_b32 s31, -1
                                        ; implicit-def: $vgpr3
.LBB159_1424:
	s_delay_alu instid0(SALU_CYCLE_1)
	s_and_not1_b32 vcc_lo, exec_lo, s31
	s_cbranch_vccnz .LBB159_1426
; %bb.1425:
	global_load_b32 v3, v[4:5], off
	s_wait_loadcnt 0x0
	v_cvt_f16_f32_e32 v3, v3
.LBB159_1426:
	s_mov_b32 s31, 0
.LBB159_1427:
	s_delay_alu instid0(SALU_CYCLE_1)
	s_and_not1_b32 vcc_lo, exec_lo, s31
	s_cbranch_vccnz .LBB159_1429
; %bb.1428:
	global_load_b32 v3, v[4:5], off
.LBB159_1429:
	s_mov_b32 s31, 0
.LBB159_1430:
	s_delay_alu instid0(SALU_CYCLE_1)
	s_and_not1_b32 vcc_lo, exec_lo, s31
	s_cbranch_vccnz .LBB159_1441
; %bb.1431:
	s_cmp_lt_i32 s0, 6
	s_cbranch_scc1 .LBB159_1434
; %bb.1432:
	s_cmp_gt_i32 s0, 6
	s_cbranch_scc0 .LBB159_1435
; %bb.1433:
	global_load_b64 v[6:7], v[4:5], off
	s_mov_b32 s31, 0
	s_wait_loadcnt 0x0
	v_and_or_b32 v3, 0x1ff, v7, v6
	v_lshrrev_b32_e32 v6, 8, v7
	v_bfe_u32 v9, v7, 20, 11
	s_delay_alu instid0(VALU_DEP_3) | instskip(NEXT) | instid1(VALU_DEP_2)
	v_cmp_ne_u32_e32 vcc_lo, 0, v3
	v_sub_nc_u32_e32 v10, 0x3f1, v9
	v_cndmask_b32_e64 v3, 0, 1, vcc_lo
	s_delay_alu instid0(VALU_DEP_1) | instskip(NEXT) | instid1(VALU_DEP_3)
	v_and_or_b32 v3, 0xffe, v6, v3
	v_med3_i32 v6, v10, 0, 13
	s_delay_alu instid0(VALU_DEP_2) | instskip(NEXT) | instid1(VALU_DEP_1)
	v_or_b32_e32 v10, 0x1000, v3
	v_lshrrev_b32_e32 v11, v6, v10
	s_delay_alu instid0(VALU_DEP_1) | instskip(NEXT) | instid1(VALU_DEP_1)
	v_lshlrev_b32_e32 v6, v6, v11
	v_cmp_ne_u32_e32 vcc_lo, v6, v10
	v_cndmask_b32_e64 v6, 0, 1, vcc_lo
	s_delay_alu instid0(VALU_DEP_1) | instskip(SKIP_1) | instid1(VALU_DEP_1)
	v_or_b32_e32 v6, v11, v6
	v_add_nc_u32_e32 v9, 0xfffffc10, v9
	v_lshl_or_b32 v10, v9, 12, v3
	v_cmp_gt_i32_e32 vcc_lo, 1, v9
	s_delay_alu instid0(VALU_DEP_2) | instskip(NEXT) | instid1(VALU_DEP_1)
	v_cndmask_b32_e32 v6, v10, v6, vcc_lo
	v_dual_lshrrev_b32 v6, 2, v6 :: v_dual_bitop2_b32 v10, 7, v6 bitop3:0x40
	s_delay_alu instid0(VALU_DEP_1) | instskip(SKIP_4) | instid1(VALU_DEP_2)
	v_cmp_lt_i32_e32 vcc_lo, 5, v10
	v_cndmask_b32_e64 v11, 0, 1, vcc_lo
	v_cmp_eq_u32_e32 vcc_lo, 3, v10
	v_cndmask_b32_e64 v10, 0, 1, vcc_lo
	v_cmp_ne_u32_e32 vcc_lo, 0, v3
	v_or_b32_e32 v10, v10, v11
	s_delay_alu instid0(VALU_DEP_1) | instskip(NEXT) | instid1(VALU_DEP_1)
	v_dual_mov_b32 v11, 0x7e00 :: v_dual_add_nc_u32 v6, v6, v10
	v_cndmask_b32_e32 v3, 0x7c00, v11, vcc_lo
	v_cmp_gt_i32_e32 vcc_lo, 31, v9
	s_delay_alu instid0(VALU_DEP_3) | instskip(SKIP_1) | instid1(VALU_DEP_2)
	v_cndmask_b32_e32 v6, 0x7c00, v6, vcc_lo
	v_cmp_eq_u32_e32 vcc_lo, 0x40f, v9
	v_cndmask_b32_e32 v3, v6, v3, vcc_lo
	v_lshrrev_b32_e32 v6, 16, v7
	s_delay_alu instid0(VALU_DEP_1)
	v_and_or_b32 v3, 0x8000, v6, v3
	s_branch .LBB159_1436
.LBB159_1434:
	s_mov_b32 s31, -1
                                        ; implicit-def: $vgpr3
	s_branch .LBB159_1439
.LBB159_1435:
	s_mov_b32 s31, -1
                                        ; implicit-def: $vgpr3
.LBB159_1436:
	s_delay_alu instid0(SALU_CYCLE_1)
	s_and_not1_b32 vcc_lo, exec_lo, s31
	s_cbranch_vccnz .LBB159_1438
; %bb.1437:
	s_wait_loadcnt 0x0
	global_load_b32 v3, v[4:5], off
	s_wait_loadcnt 0x0
	v_cvt_f16_f32_e32 v3, v3
.LBB159_1438:
	s_mov_b32 s31, 0
.LBB159_1439:
	s_delay_alu instid0(SALU_CYCLE_1)
	s_and_not1_b32 vcc_lo, exec_lo, s31
	s_cbranch_vccnz .LBB159_1441
; %bb.1440:
	s_wait_loadcnt 0x0
	global_load_u16 v3, v[4:5], off
.LBB159_1441:
	s_mov_b32 s31, 0
.LBB159_1442:
	s_delay_alu instid0(SALU_CYCLE_1)
	s_and_not1_b32 vcc_lo, exec_lo, s31
	s_cbranch_vccnz .LBB159_1462
; %bb.1443:
	s_cmp_lt_i32 s0, 2
	s_cbranch_scc1 .LBB159_1447
; %bb.1444:
	s_cmp_lt_i32 s0, 3
	s_cbranch_scc1 .LBB159_1448
; %bb.1445:
	s_cmp_gt_i32 s0, 3
	s_cbranch_scc0 .LBB159_1449
; %bb.1446:
	global_load_b64 v[6:7], v[4:5], off
	s_mov_b32 s31, 0
	s_wait_loadcnt 0x0
	v_xor_b32_e32 v3, v6, v7
	v_cls_i32_e32 v9, v7
	s_delay_alu instid0(VALU_DEP_2) | instskip(NEXT) | instid1(VALU_DEP_1)
	v_ashrrev_i32_e32 v3, 31, v3
	v_add_nc_u32_e32 v3, 32, v3
	s_delay_alu instid0(VALU_DEP_1) | instskip(NEXT) | instid1(VALU_DEP_1)
	v_add_min_u32_e64 v3, v9, -1, v3
	v_lshlrev_b64_e32 v[6:7], v3, v[6:7]
	v_sub_nc_u32_e32 v3, 32, v3
	s_delay_alu instid0(VALU_DEP_2) | instskip(NEXT) | instid1(VALU_DEP_1)
	v_min_u32_e32 v6, 1, v6
	v_or_b32_e32 v6, v7, v6
	s_delay_alu instid0(VALU_DEP_1) | instskip(NEXT) | instid1(VALU_DEP_1)
	v_cvt_f32_i32_e32 v6, v6
	v_ldexp_f32 v3, v6, v3
	s_delay_alu instid0(VALU_DEP_1)
	v_cvt_f16_f32_e32 v3, v3
	s_branch .LBB159_1450
.LBB159_1447:
	s_mov_b32 s31, -1
                                        ; implicit-def: $vgpr3
	s_branch .LBB159_1456
.LBB159_1448:
	s_mov_b32 s31, -1
                                        ; implicit-def: $vgpr3
	s_branch .LBB159_1453
.LBB159_1449:
	s_mov_b32 s31, -1
                                        ; implicit-def: $vgpr3
.LBB159_1450:
	s_delay_alu instid0(SALU_CYCLE_1)
	s_and_not1_b32 vcc_lo, exec_lo, s31
	s_cbranch_vccnz .LBB159_1452
; %bb.1451:
	s_wait_loadcnt 0x0
	global_load_b32 v3, v[4:5], off
	s_wait_loadcnt 0x0
	v_cvt_f32_i32_e32 v3, v3
	s_delay_alu instid0(VALU_DEP_1)
	v_cvt_f16_f32_e32 v3, v3
.LBB159_1452:
	s_mov_b32 s31, 0
.LBB159_1453:
	s_delay_alu instid0(SALU_CYCLE_1)
	s_and_not1_b32 vcc_lo, exec_lo, s31
	s_cbranch_vccnz .LBB159_1455
; %bb.1454:
	s_wait_loadcnt 0x0
	global_load_u16 v3, v[4:5], off
	s_wait_loadcnt 0x0
	v_cvt_f16_i16_e32 v3, v3
.LBB159_1455:
	s_mov_b32 s31, 0
.LBB159_1456:
	s_delay_alu instid0(SALU_CYCLE_1)
	s_and_not1_b32 vcc_lo, exec_lo, s31
	s_cbranch_vccnz .LBB159_1462
; %bb.1457:
	s_cmp_gt_i32 s0, 0
	s_mov_b32 s0, 0
	s_cbranch_scc0 .LBB159_1459
; %bb.1458:
	s_wait_loadcnt 0x0
	global_load_i8 v3, v[4:5], off
	s_wait_loadcnt 0x0
	v_cvt_f16_i16_e32 v3, v3
	s_branch .LBB159_1460
.LBB159_1459:
	s_mov_b32 s0, -1
                                        ; implicit-def: $vgpr3
.LBB159_1460:
	s_delay_alu instid0(SALU_CYCLE_1)
	s_and_not1_b32 vcc_lo, exec_lo, s0
	s_cbranch_vccnz .LBB159_1462
; %bb.1461:
	s_wait_loadcnt 0x0
	global_load_u8 v3, v[4:5], off
	s_wait_loadcnt 0x0
	v_cvt_f16_u16_e32 v3, v3
.LBB159_1462:
	s_mov_b32 s31, -1
.LBB159_1463:
	s_delay_alu instid0(SALU_CYCLE_1)
	s_and_not1_b32 vcc_lo, exec_lo, s31
	s_cbranch_vccnz .LBB159_1471
; %bb.1464:
	s_wait_loadcnt 0x0
	v_cmp_gt_f16_e32 vcc_lo, v1, v8
	s_and_b32 s31, s38, 0xff
	s_delay_alu instid0(SALU_CYCLE_1) | instskip(SKIP_2) | instid1(VALU_DEP_1)
	s_cmp_lt_i32 s31, 11
	s_wait_xcnt 0x0
	v_cndmask_b32_e32 v4, v8, v1, vcc_lo
	v_cmp_lt_f16_e32 vcc_lo, v4, v3
	v_cndmask_b32_e32 v4, v3, v4, vcc_lo
	v_cmp_u_f16_e32 vcc_lo, v3, v3
	s_delay_alu instid0(VALU_DEP_2) | instskip(SKIP_1) | instid1(VALU_DEP_2)
	v_cndmask_b32_e32 v4, v4, v3, vcc_lo
	v_cmp_u_f16_e32 vcc_lo, v8, v8
	v_dual_mov_b32 v3, 0 :: v_dual_cndmask_b32 v4, v4, v8
	v_cmp_u_f16_e32 vcc_lo, v1, v1
	s_delay_alu instid0(VALU_DEP_2) | instskip(NEXT) | instid1(VALU_DEP_3)
	v_add_nc_u64_e32 v[2:3], s[4:5], v[2:3]
	v_cndmask_b32_e32 v1, v4, v1, vcc_lo
	s_cbranch_scc1 .LBB159_1472
; %bb.1465:
	s_and_b32 s56, 0xffff, s31
	s_delay_alu instid0(SALU_CYCLE_1)
	s_cmp_gt_i32 s56, 25
	s_cbranch_scc0 .LBB159_1473
; %bb.1466:
	s_cmp_gt_i32 s56, 28
	s_cbranch_scc0 .LBB159_1474
; %bb.1467:
	;; [unrolled: 3-line block ×4, first 2 shown]
	s_mov_b32 s58, 0
	s_mov_b32 s0, -1
	s_cmp_eq_u32 s56, 46
	s_mov_b32 s57, 0
	s_cbranch_scc0 .LBB159_1477
; %bb.1470:
	v_cvt_f32_f16_e32 v4, v1
	v_cmp_o_f16_e32 vcc_lo, v1, v1
	s_mov_b32 s57, -1
	s_mov_b32 s0, 0
	s_delay_alu instid0(VALU_DEP_2) | instskip(NEXT) | instid1(VALU_DEP_1)
	v_bfe_u32 v5, v4, 16, 1
	v_add3_u32 v4, v4, v5, 0x7fff
	s_delay_alu instid0(VALU_DEP_1) | instskip(NEXT) | instid1(VALU_DEP_1)
	v_lshrrev_b32_e32 v4, 16, v4
	v_cndmask_b32_e32 v4, 0x7fc0, v4, vcc_lo
	global_store_b32 v[2:3], v4, off
	s_branch .LBB159_1477
.LBB159_1471:
	s_mov_b32 s31, 0
	s_mov_b32 s0, s51
	s_branch .LBB159_1588
.LBB159_1472:
	s_mov_b32 s56, -1
	s_mov_b32 s57, 0
	s_mov_b32 s0, s51
	s_branch .LBB159_1546
.LBB159_1473:
	s_mov_b32 s58, -1
	s_mov_b32 s57, 0
	s_mov_b32 s0, s51
	s_branch .LBB159_1504
.LBB159_1474:
	s_mov_b32 s58, -1
	s_mov_b32 s57, 0
	s_mov_b32 s0, s51
	s_branch .LBB159_1487
.LBB159_1475:
	s_mov_b32 s58, -1
	s_mov_b32 s57, 0
	s_mov_b32 s0, s51
	s_branch .LBB159_1483
.LBB159_1476:
	s_mov_b32 s58, -1
	s_mov_b32 s57, 0
	s_mov_b32 s0, s51
.LBB159_1477:
	s_and_b32 vcc_lo, exec_lo, s58
	s_cbranch_vccz .LBB159_1482
; %bb.1478:
	s_cmp_eq_u32 s56, 44
	s_mov_b32 s0, -1
	s_cbranch_scc0 .LBB159_1482
; %bb.1479:
	s_wait_xcnt 0x0
	v_cvt_f32_f16_e32 v4, v1
	v_mov_b32_e32 v5, 0xff
	s_mov_b32 s57, exec_lo
	s_delay_alu instid0(VALU_DEP_2) | instskip(NEXT) | instid1(VALU_DEP_1)
	v_bfe_u32 v6, v4, 23, 8
	v_cmpx_ne_u32_e32 0xff, v6
	s_cbranch_execz .LBB159_1481
; %bb.1480:
	v_and_b32_e32 v5, 0x400000, v4
	v_and_or_b32 v6, 0x3fffff, v4, v6
	v_lshrrev_b32_e32 v4, 23, v4
	s_delay_alu instid0(VALU_DEP_3) | instskip(NEXT) | instid1(VALU_DEP_3)
	v_cmp_ne_u32_e32 vcc_lo, 0, v5
	v_cmp_ne_u32_e64 s0, 0, v6
	s_and_b32 s0, vcc_lo, s0
	s_delay_alu instid0(SALU_CYCLE_1) | instskip(NEXT) | instid1(VALU_DEP_1)
	v_cndmask_b32_e64 v5, 0, 1, s0
	v_add_nc_u32_e32 v5, v4, v5
.LBB159_1481:
	s_or_b32 exec_lo, exec_lo, s57
	s_mov_b32 s57, -1
	s_mov_b32 s0, 0
	global_store_b8 v[2:3], v5, off
.LBB159_1482:
	s_mov_b32 s58, 0
.LBB159_1483:
	s_delay_alu instid0(SALU_CYCLE_1)
	s_and_b32 vcc_lo, exec_lo, s58
	s_cbranch_vccz .LBB159_1486
; %bb.1484:
	s_cmp_eq_u32 s56, 29
	s_mov_b32 s0, -1
	s_cbranch_scc0 .LBB159_1486
; %bb.1485:
	s_wait_xcnt 0x0
	v_cvt_f32_f16_e32 v4, v1
	v_mov_b32_e32 v5, 0
	s_mov_b32 s57, -1
	s_mov_b32 s0, 0
	s_mov_b32 s58, 0
	v_cvt_u32_f32_e32 v4, v4
	global_store_b64 v[2:3], v[4:5], off
	s_branch .LBB159_1487
.LBB159_1486:
	s_mov_b32 s58, 0
.LBB159_1487:
	s_delay_alu instid0(SALU_CYCLE_1)
	s_and_b32 vcc_lo, exec_lo, s58
	s_cbranch_vccz .LBB159_1503
; %bb.1488:
	s_cmp_lt_i32 s56, 27
	s_mov_b32 s57, -1
	s_cbranch_scc1 .LBB159_1494
; %bb.1489:
	s_cmp_gt_i32 s56, 27
	s_cbranch_scc0 .LBB159_1491
; %bb.1490:
	s_wait_xcnt 0x0
	v_cvt_f32_f16_e32 v4, v1
	s_mov_b32 s57, 0
	s_delay_alu instid0(VALU_DEP_1)
	v_cvt_u32_f32_e32 v4, v4
	global_store_b32 v[2:3], v4, off
.LBB159_1491:
	s_and_not1_b32 vcc_lo, exec_lo, s57
	s_cbranch_vccnz .LBB159_1493
; %bb.1492:
	s_wait_xcnt 0x0
	v_cvt_u16_f16_e32 v4, v1
	global_store_b16 v[2:3], v4, off
.LBB159_1493:
	s_mov_b32 s57, 0
.LBB159_1494:
	s_delay_alu instid0(SALU_CYCLE_1)
	s_and_not1_b32 vcc_lo, exec_lo, s57
	s_cbranch_vccnz .LBB159_1502
; %bb.1495:
	s_wait_xcnt 0x0
	v_cvt_f32_f16_e32 v4, v1
	v_mov_b32_e32 v6, 0x80
	s_mov_b32 s57, exec_lo
	s_delay_alu instid0(VALU_DEP_2) | instskip(NEXT) | instid1(VALU_DEP_1)
	v_and_b32_e32 v5, 0x7fffffff, v4
	v_cmpx_gt_u32_e32 0x43800000, v5
	s_cbranch_execz .LBB159_1501
; %bb.1496:
	v_cmp_lt_u32_e32 vcc_lo, 0x3bffffff, v5
	s_mov_b32 s58, 0
                                        ; implicit-def: $vgpr5
	s_and_saveexec_b32 s59, vcc_lo
	s_delay_alu instid0(SALU_CYCLE_1)
	s_xor_b32 s59, exec_lo, s59
	s_cbranch_execz .LBB159_2814
; %bb.1497:
	v_bfe_u32 v5, v4, 20, 1
	s_mov_b32 s58, exec_lo
	s_delay_alu instid0(VALU_DEP_1) | instskip(NEXT) | instid1(VALU_DEP_1)
	v_add3_u32 v5, v4, v5, 0x487ffff
	v_lshrrev_b32_e32 v5, 20, v5
	s_and_not1_saveexec_b32 s59, s59
	s_cbranch_execnz .LBB159_2815
.LBB159_1498:
	s_or_b32 exec_lo, exec_lo, s59
	v_mov_b32_e32 v6, 0
	s_and_saveexec_b32 s59, s58
.LBB159_1499:
	v_lshrrev_b32_e32 v4, 24, v4
	s_delay_alu instid0(VALU_DEP_1)
	v_and_or_b32 v6, 0x80, v4, v5
.LBB159_1500:
	s_or_b32 exec_lo, exec_lo, s59
.LBB159_1501:
	s_delay_alu instid0(SALU_CYCLE_1)
	s_or_b32 exec_lo, exec_lo, s57
	global_store_b8 v[2:3], v6, off
.LBB159_1502:
	s_mov_b32 s57, -1
.LBB159_1503:
	s_mov_b32 s58, 0
.LBB159_1504:
	s_delay_alu instid0(SALU_CYCLE_1)
	s_and_b32 vcc_lo, exec_lo, s58
	s_cbranch_vccz .LBB159_1545
; %bb.1505:
	s_cmp_gt_i32 s56, 22
	s_mov_b32 s58, -1
	s_cbranch_scc0 .LBB159_1537
; %bb.1506:
	s_cmp_lt_i32 s56, 24
	s_mov_b32 s57, -1
	s_cbranch_scc1 .LBB159_1526
; %bb.1507:
	s_cmp_gt_i32 s56, 24
	s_cbranch_scc0 .LBB159_1515
; %bb.1508:
	s_wait_xcnt 0x0
	v_cvt_f32_f16_e32 v4, v1
	v_mov_b32_e32 v6, 0x80
	s_mov_b32 s57, exec_lo
	s_delay_alu instid0(VALU_DEP_2) | instskip(NEXT) | instid1(VALU_DEP_1)
	v_and_b32_e32 v5, 0x7fffffff, v4
	v_cmpx_gt_u32_e32 0x47800000, v5
	s_cbranch_execz .LBB159_1514
; %bb.1509:
	v_cmp_lt_u32_e32 vcc_lo, 0x37ffffff, v5
	s_mov_b32 s58, 0
                                        ; implicit-def: $vgpr5
	s_and_saveexec_b32 s59, vcc_lo
	s_delay_alu instid0(SALU_CYCLE_1)
	s_xor_b32 s59, exec_lo, s59
	s_cbranch_execz .LBB159_2947
; %bb.1510:
	v_bfe_u32 v5, v4, 21, 1
	s_mov_b32 s58, exec_lo
	s_delay_alu instid0(VALU_DEP_1) | instskip(NEXT) | instid1(VALU_DEP_1)
	v_add3_u32 v5, v4, v5, 0x88fffff
	v_lshrrev_b32_e32 v5, 21, v5
	s_and_not1_saveexec_b32 s59, s59
	s_cbranch_execnz .LBB159_2948
.LBB159_1511:
	s_or_b32 exec_lo, exec_lo, s59
	v_mov_b32_e32 v6, 0
	s_and_saveexec_b32 s59, s58
.LBB159_1512:
	v_lshrrev_b32_e32 v4, 24, v4
	s_delay_alu instid0(VALU_DEP_1)
	v_and_or_b32 v6, 0x80, v4, v5
.LBB159_1513:
	s_or_b32 exec_lo, exec_lo, s59
.LBB159_1514:
	s_delay_alu instid0(SALU_CYCLE_1)
	s_or_b32 exec_lo, exec_lo, s57
	s_mov_b32 s57, 0
	global_store_b8 v[2:3], v6, off
.LBB159_1515:
	s_and_b32 vcc_lo, exec_lo, s57
	s_cbranch_vccz .LBB159_1525
; %bb.1516:
	s_wait_xcnt 0x0
	v_cvt_f32_f16_e32 v4, v1
	s_mov_b32 s57, exec_lo
                                        ; implicit-def: $vgpr5
	s_delay_alu instid0(VALU_DEP_1) | instskip(NEXT) | instid1(VALU_DEP_1)
	v_and_b32_e32 v6, 0x7fffffff, v4
	v_cmpx_gt_u32_e32 0x43f00000, v6
	s_xor_b32 s57, exec_lo, s57
	s_cbranch_execz .LBB159_1522
; %bb.1517:
	s_mov_b32 s58, exec_lo
                                        ; implicit-def: $vgpr5
	v_cmpx_lt_u32_e32 0x3c7fffff, v6
	s_xor_b32 s58, exec_lo, s58
; %bb.1518:
	v_bfe_u32 v5, v4, 20, 1
	s_delay_alu instid0(VALU_DEP_1) | instskip(NEXT) | instid1(VALU_DEP_1)
	v_add3_u32 v5, v4, v5, 0x407ffff
	v_and_b32_e32 v6, 0xff00000, v5
	v_lshrrev_b32_e32 v5, 20, v5
	s_delay_alu instid0(VALU_DEP_2) | instskip(NEXT) | instid1(VALU_DEP_2)
	v_cmp_ne_u32_e32 vcc_lo, 0x7f00000, v6
	v_cndmask_b32_e32 v5, 0x7e, v5, vcc_lo
; %bb.1519:
	s_and_not1_saveexec_b32 s58, s58
; %bb.1520:
	v_add_f32_e64 v5, 0x46800000, |v4|
; %bb.1521:
	s_or_b32 exec_lo, exec_lo, s58
                                        ; implicit-def: $vgpr6
.LBB159_1522:
	s_and_not1_saveexec_b32 s57, s57
; %bb.1523:
	v_mov_b32_e32 v5, 0x7f
	v_cmp_lt_u32_e32 vcc_lo, 0x7f800000, v6
	s_delay_alu instid0(VALU_DEP_2)
	v_cndmask_b32_e32 v5, 0x7e, v5, vcc_lo
; %bb.1524:
	s_or_b32 exec_lo, exec_lo, s57
	v_lshrrev_b32_e32 v4, 24, v4
	s_delay_alu instid0(VALU_DEP_1)
	v_and_or_b32 v4, 0x80, v4, v5
	global_store_b8 v[2:3], v4, off
.LBB159_1525:
	s_mov_b32 s57, 0
.LBB159_1526:
	s_delay_alu instid0(SALU_CYCLE_1)
	s_and_not1_b32 vcc_lo, exec_lo, s57
	s_cbranch_vccnz .LBB159_1536
; %bb.1527:
	s_wait_xcnt 0x0
	v_cvt_f32_f16_e32 v4, v1
	s_mov_b32 s57, exec_lo
                                        ; implicit-def: $vgpr5
	s_delay_alu instid0(VALU_DEP_1) | instskip(NEXT) | instid1(VALU_DEP_1)
	v_and_b32_e32 v6, 0x7fffffff, v4
	v_cmpx_gt_u32_e32 0x47800000, v6
	s_xor_b32 s57, exec_lo, s57
	s_cbranch_execz .LBB159_1533
; %bb.1528:
	s_mov_b32 s58, exec_lo
                                        ; implicit-def: $vgpr5
	v_cmpx_lt_u32_e32 0x387fffff, v6
	s_xor_b32 s58, exec_lo, s58
; %bb.1529:
	v_bfe_u32 v5, v4, 21, 1
	s_delay_alu instid0(VALU_DEP_1) | instskip(NEXT) | instid1(VALU_DEP_1)
	v_add3_u32 v5, v4, v5, 0x80fffff
	v_lshrrev_b32_e32 v5, 21, v5
; %bb.1530:
	s_and_not1_saveexec_b32 s58, s58
; %bb.1531:
	v_add_f32_e64 v5, 0x43000000, |v4|
; %bb.1532:
	s_or_b32 exec_lo, exec_lo, s58
                                        ; implicit-def: $vgpr6
.LBB159_1533:
	s_and_not1_saveexec_b32 s57, s57
; %bb.1534:
	v_mov_b32_e32 v5, 0x7f
	v_cmp_lt_u32_e32 vcc_lo, 0x7f800000, v6
	s_delay_alu instid0(VALU_DEP_2)
	v_cndmask_b32_e32 v5, 0x7c, v5, vcc_lo
; %bb.1535:
	s_or_b32 exec_lo, exec_lo, s57
	v_lshrrev_b32_e32 v4, 24, v4
	s_delay_alu instid0(VALU_DEP_1)
	v_and_or_b32 v4, 0x80, v4, v5
	global_store_b8 v[2:3], v4, off
.LBB159_1536:
	s_mov_b32 s58, 0
	s_mov_b32 s57, -1
.LBB159_1537:
	s_and_not1_b32 vcc_lo, exec_lo, s58
	s_cbranch_vccnz .LBB159_1545
; %bb.1538:
	s_cmp_gt_i32 s56, 14
	s_mov_b32 s58, -1
	s_cbranch_scc0 .LBB159_1542
; %bb.1539:
	s_cmp_eq_u32 s56, 15
	s_mov_b32 s0, -1
	s_cbranch_scc0 .LBB159_1541
; %bb.1540:
	s_wait_xcnt 0x0
	v_cvt_f32_f16_e32 v4, v1
	v_cmp_o_f16_e32 vcc_lo, v1, v1
	s_mov_b32 s57, -1
	s_mov_b32 s0, 0
	s_delay_alu instid0(VALU_DEP_2) | instskip(NEXT) | instid1(VALU_DEP_1)
	v_bfe_u32 v5, v4, 16, 1
	v_add3_u32 v4, v4, v5, 0x7fff
	s_delay_alu instid0(VALU_DEP_1) | instskip(NEXT) | instid1(VALU_DEP_1)
	v_lshrrev_b32_e32 v4, 16, v4
	v_cndmask_b32_e32 v4, 0x7fc0, v4, vcc_lo
	global_store_b16 v[2:3], v4, off
.LBB159_1541:
	s_mov_b32 s58, 0
.LBB159_1542:
	s_delay_alu instid0(SALU_CYCLE_1)
	s_and_b32 vcc_lo, exec_lo, s58
	s_cbranch_vccz .LBB159_1545
; %bb.1543:
	s_cmp_eq_u32 s56, 11
	s_mov_b32 s0, -1
	s_cbranch_scc0 .LBB159_1545
; %bb.1544:
	s_wait_xcnt 0x0
	v_and_b32_e32 v4, 0x7fff, v1
	s_mov_b32 s0, 0
	s_mov_b32 s57, -1
	s_delay_alu instid0(VALU_DEP_1)
	v_cmp_ne_u16_e32 vcc_lo, 0, v4
	v_cndmask_b32_e64 v4, 0, 1, vcc_lo
	global_store_b8 v[2:3], v4, off
.LBB159_1545:
	s_mov_b32 s56, 0
.LBB159_1546:
	s_delay_alu instid0(SALU_CYCLE_1)
	s_and_b32 vcc_lo, exec_lo, s56
	s_cbranch_vccz .LBB159_1585
; %bb.1547:
	s_and_b32 s31, 0xffff, s31
	s_mov_b32 s56, -1
	s_cmp_lt_i32 s31, 5
	s_cbranch_scc1 .LBB159_1568
; %bb.1548:
	s_cmp_lt_i32 s31, 8
	s_cbranch_scc1 .LBB159_1558
; %bb.1549:
	;; [unrolled: 3-line block ×3, first 2 shown]
	s_cmp_gt_i32 s31, 9
	s_cbranch_scc0 .LBB159_1552
; %bb.1551:
	s_wait_xcnt 0x0
	v_cvt_f32_f16_e32 v4, v1
	v_mov_b32_e32 v6, 0
	s_mov_b32 s56, 0
	s_delay_alu instid0(VALU_DEP_2) | instskip(NEXT) | instid1(VALU_DEP_2)
	v_cvt_f64_f32_e32 v[4:5], v4
	v_mov_b32_e32 v7, v6
	global_store_b128 v[2:3], v[4:7], off
.LBB159_1552:
	s_and_not1_b32 vcc_lo, exec_lo, s56
	s_cbranch_vccnz .LBB159_1554
; %bb.1553:
	s_wait_xcnt 0x0
	v_cvt_f32_f16_e32 v4, v1
	v_mov_b32_e32 v5, 0
	global_store_b64 v[2:3], v[4:5], off
.LBB159_1554:
	s_mov_b32 s56, 0
.LBB159_1555:
	s_delay_alu instid0(SALU_CYCLE_1)
	s_and_not1_b32 vcc_lo, exec_lo, s56
	s_cbranch_vccnz .LBB159_1557
; %bb.1556:
	s_wait_xcnt 0x0
	v_and_b32_e32 v4, 0xffff, v1
	global_store_b32 v[2:3], v4, off
.LBB159_1557:
	s_mov_b32 s56, 0
.LBB159_1558:
	s_delay_alu instid0(SALU_CYCLE_1)
	s_and_not1_b32 vcc_lo, exec_lo, s56
	s_cbranch_vccnz .LBB159_1567
; %bb.1559:
	s_cmp_lt_i32 s31, 6
	s_mov_b32 s56, -1
	s_cbranch_scc1 .LBB159_1565
; %bb.1560:
	s_cmp_gt_i32 s31, 6
	s_cbranch_scc0 .LBB159_1562
; %bb.1561:
	s_wait_xcnt 0x0
	v_cvt_f32_f16_e32 v4, v1
	s_mov_b32 s56, 0
	s_delay_alu instid0(VALU_DEP_1)
	v_cvt_f64_f32_e32 v[4:5], v4
	global_store_b64 v[2:3], v[4:5], off
.LBB159_1562:
	s_and_not1_b32 vcc_lo, exec_lo, s56
	s_cbranch_vccnz .LBB159_1564
; %bb.1563:
	s_wait_xcnt 0x0
	v_cvt_f32_f16_e32 v4, v1
	global_store_b32 v[2:3], v4, off
.LBB159_1564:
	s_mov_b32 s56, 0
.LBB159_1565:
	s_delay_alu instid0(SALU_CYCLE_1)
	s_and_not1_b32 vcc_lo, exec_lo, s56
	s_cbranch_vccnz .LBB159_1567
; %bb.1566:
	global_store_b16 v[2:3], v1, off
.LBB159_1567:
	s_mov_b32 s56, 0
.LBB159_1568:
	s_delay_alu instid0(SALU_CYCLE_1)
	s_and_not1_b32 vcc_lo, exec_lo, s56
	s_cbranch_vccnz .LBB159_1584
; %bb.1569:
	s_cmp_lt_i32 s31, 2
	s_mov_b32 s56, -1
	s_cbranch_scc1 .LBB159_1579
; %bb.1570:
	s_cmp_lt_i32 s31, 3
	s_cbranch_scc1 .LBB159_1576
; %bb.1571:
	s_cmp_gt_i32 s31, 3
	s_cbranch_scc0 .LBB159_1573
; %bb.1572:
	s_wait_xcnt 0x0
	v_cvt_f32_f16_e32 v4, v1
	s_mov_b32 s56, 0
	s_delay_alu instid0(VALU_DEP_1) | instskip(NEXT) | instid1(VALU_DEP_1)
	v_cvt_i32_f32_e32 v4, v4
	v_ashrrev_i32_e32 v5, 31, v4
	global_store_b64 v[2:3], v[4:5], off
.LBB159_1573:
	s_and_not1_b32 vcc_lo, exec_lo, s56
	s_cbranch_vccnz .LBB159_1575
; %bb.1574:
	s_wait_xcnt 0x0
	v_cvt_f32_f16_e32 v4, v1
	s_delay_alu instid0(VALU_DEP_1)
	v_cvt_i32_f32_e32 v4, v4
	global_store_b32 v[2:3], v4, off
.LBB159_1575:
	s_mov_b32 s56, 0
.LBB159_1576:
	s_delay_alu instid0(SALU_CYCLE_1)
	s_and_not1_b32 vcc_lo, exec_lo, s56
	s_cbranch_vccnz .LBB159_1578
; %bb.1577:
	s_wait_xcnt 0x0
	v_cvt_i16_f16_e32 v4, v1
	global_store_b16 v[2:3], v4, off
.LBB159_1578:
	s_mov_b32 s56, 0
.LBB159_1579:
	s_delay_alu instid0(SALU_CYCLE_1)
	s_and_not1_b32 vcc_lo, exec_lo, s56
	s_cbranch_vccnz .LBB159_1584
; %bb.1580:
	s_cmp_gt_i32 s31, 0
	s_mov_b32 s31, -1
	s_cbranch_scc0 .LBB159_1582
; %bb.1581:
	s_wait_xcnt 0x0
	v_cvt_i16_f16_e32 v4, v1
	s_mov_b32 s31, 0
	global_store_b8 v[2:3], v4, off
.LBB159_1582:
	s_and_not1_b32 vcc_lo, exec_lo, s31
	s_cbranch_vccnz .LBB159_1584
; %bb.1583:
	s_wait_xcnt 0x0
	v_cvt_f32_f16_e32 v1, v1
	s_delay_alu instid0(VALU_DEP_1)
	v_cvt_i32_f32_e32 v1, v1
	global_store_b8 v[2:3], v1, off
.LBB159_1584:
	s_mov_b32 s57, -1
.LBB159_1585:
	s_delay_alu instid0(SALU_CYCLE_1)
	s_and_not1_b32 vcc_lo, exec_lo, s57
	s_cbranch_vccnz .LBB159_1587
; %bb.1586:
	v_add_nc_u32_e32 v0, 0x80, v0
	s_mov_b32 s31, -1
	s_branch .LBB159_1589
.LBB159_1587:
	s_mov_b32 s31, 0
.LBB159_1588:
                                        ; implicit-def: $vgpr0
.LBB159_1589:
	s_and_not1_b32 s56, s51, exec_lo
	s_and_b32 s0, s0, exec_lo
	s_and_not1_b32 s57, s52, exec_lo
	s_and_b32 s30, s30, exec_lo
	s_or_b32 s59, s56, s0
	s_or_b32 s57, s57, s30
	s_and_not1_b32 s0, s53, exec_lo
	s_and_b32 s29, s29, exec_lo
	s_and_not1_b32 s30, s50, exec_lo
	s_and_b32 s28, s28, exec_lo
	s_or_b32 s58, s0, s29
	s_or_b32 s56, s30, s28
	s_or_not1_b32 s31, s31, exec_lo
.LBB159_1590:
	s_wait_xcnt 0x0
	s_or_b32 exec_lo, exec_lo, s55
	s_mov_b32 s29, 0
	s_mov_b32 s30, 0
	;; [unrolled: 1-line block ×3, first 2 shown]
                                        ; implicit-def: $sgpr0
                                        ; implicit-def: $vgpr8_vgpr9
                                        ; implicit-def: $vgpr2
                                        ; implicit-def: $vgpr4
                                        ; implicit-def: $vgpr6
                                        ; implicit-def: $vgpr10
	s_and_saveexec_b32 s55, s31
	s_cbranch_execz .LBB159_1683
; %bb.1591:
	v_cmp_gt_i32_e32 vcc_lo, s44, v0
	s_mov_b32 s31, s56
                                        ; implicit-def: $sgpr0
                                        ; implicit-def: $vgpr8_vgpr9
                                        ; implicit-def: $vgpr2
                                        ; implicit-def: $vgpr4
                                        ; implicit-def: $vgpr6
                                        ; implicit-def: $vgpr10
	s_and_saveexec_b32 s44, vcc_lo
	s_cbranch_execz .LBB159_1682
; %bb.1592:
	s_and_not1_b32 vcc_lo, exec_lo, s36
	s_cbranch_vccnz .LBB159_1598
; %bb.1593:
	s_and_not1_b32 vcc_lo, exec_lo, s45
	s_cbranch_vccnz .LBB159_1599
; %bb.1594:
	s_wait_loadcnt 0x0
	v_dual_mov_b32 v6, 0 :: v_dual_mov_b32 v1, v0
	v_dual_mov_b32 v4, 0 :: v_dual_mov_b32 v2, 0
	v_mov_b32_e32 v8, 0
	s_add_co_i32 s0, s42, 1
	s_mov_b64 s[28:29], 0xffffffffffffffe0
	s_and_b32 s0, s0, 30
	s_add_nc_u64 s[28:29], s[2:3], s[28:29]
	s_mov_b64 s[30:31], s[2:3]
.LBB159_1595:                           ; =>This Inner Loop Header: Depth=1
	s_clause 0x1
	s_load_b128 s[68:71], s[30:31], 0x4
	s_load_b64 s[72:73], s[30:31], 0x14
	s_load_b256 s[60:67], s[28:29], 0xe4
	s_add_co_i32 s0, s0, -2
	s_wait_xcnt 0x0
	s_add_nc_u64 s[30:31], s[30:31], 24
	s_cmp_eq_u32 s0, 0
	s_add_nc_u64 s[28:29], s[28:29], 32
	s_wait_kmcnt 0x0
	v_mul_hi_u32 v3, s69, v1
	s_delay_alu instid0(VALU_DEP_1) | instskip(NEXT) | instid1(VALU_DEP_1)
	v_add_nc_u32_e32 v3, v1, v3
	v_lshrrev_b32_e32 v3, s70, v3
	s_delay_alu instid0(VALU_DEP_1) | instskip(SKIP_1) | instid1(VALU_DEP_1)
	v_mul_hi_u32 v5, s72, v3
	v_mul_lo_u32 v7, v3, s68
	v_dual_add_nc_u32 v5, v3, v5 :: v_dual_sub_nc_u32 v7, v1, v7
	s_delay_alu instid0(VALU_DEP_1) | instskip(NEXT) | instid1(VALU_DEP_2)
	v_lshrrev_b32_e32 v1, s73, v5
	v_mad_u32 v8, v7, s61, v8
	v_mad_u32 v2, v7, s60, v2
	v_mad_u32 v4, v7, s63, v4
	v_mad_u32 v6, v7, s62, v6
	v_mul_lo_u32 v5, v1, s71
	s_delay_alu instid0(VALU_DEP_1) | instskip(NEXT) | instid1(VALU_DEP_1)
	v_sub_nc_u32_e32 v3, v3, v5
	v_mad_u32 v8, v3, s65, v8
	v_mad_u32 v2, v3, s64, v2
	;; [unrolled: 1-line block ×4, first 2 shown]
	s_cbranch_scc0 .LBB159_1595
; %bb.1596:
	s_bitcmp1_b32 s42, 0
	s_cselect_b32 s0, -1, 0
	s_delay_alu instid0(SALU_CYCLE_1)
	s_and_b32 vcc_lo, exec_lo, s0
	s_cbranch_vccnz .LBB159_1600
; %bb.1597:
	s_load_b96 s[64:66], s[30:31], 0x4
	s_load_b128 s[60:63], s[28:29], 0xe4
	s_wait_kmcnt 0x0
	v_mul_hi_u32 v3, s65, v1
	s_delay_alu instid0(VALU_DEP_1) | instskip(NEXT) | instid1(VALU_DEP_1)
	v_add_nc_u32_e32 v3, v1, v3
	v_lshrrev_b32_e32 v3, s66, v3
	s_delay_alu instid0(VALU_DEP_1) | instskip(NEXT) | instid1(VALU_DEP_1)
	v_mul_lo_u32 v3, v3, s64
	v_sub_nc_u32_e32 v1, v1, v3
	s_delay_alu instid0(VALU_DEP_1)
	v_mad_u32 v2, v1, s60, v2
	v_mad_u32 v8, v1, s61, v8
	;; [unrolled: 1-line block ×4, first 2 shown]
	s_branch .LBB159_1600
.LBB159_1598:
	s_mov_b32 s0, -1
                                        ; implicit-def: $vgpr8
                                        ; implicit-def: $vgpr2
                                        ; implicit-def: $vgpr4
                                        ; implicit-def: $vgpr6
	s_branch .LBB159_1601
.LBB159_1599:
	s_wait_loadcnt 0x0
	v_dual_mov_b32 v8, 0 :: v_dual_mov_b32 v2, 0
	v_dual_mov_b32 v4, 0 :: v_dual_mov_b32 v6, 0
.LBB159_1600:
	s_mov_b32 s0, 0
.LBB159_1601:
	s_delay_alu instid0(SALU_CYCLE_1)
	s_and_not1_b32 vcc_lo, exec_lo, s0
	s_cbranch_vccnz .LBB159_1604
; %bb.1602:
	s_wait_loadcnt 0x0
	v_mov_b32_e32 v1, 0
	s_and_not1_b32 vcc_lo, exec_lo, s41
	s_delay_alu instid0(VALU_DEP_1) | instskip(NEXT) | instid1(VALU_DEP_1)
	v_mul_u64_e32 v[2:3], s[24:25], v[0:1]
	v_add_nc_u32_e32 v2, v0, v3
	s_delay_alu instid0(VALU_DEP_1) | instskip(NEXT) | instid1(VALU_DEP_1)
	v_lshrrev_b32_e32 v10, s22, v2
	v_mul_lo_u32 v2, v10, s20
	s_delay_alu instid0(VALU_DEP_1) | instskip(NEXT) | instid1(VALU_DEP_1)
	v_sub_nc_u32_e32 v0, v0, v2
	v_mul_lo_u32 v8, v0, s13
	v_mul_lo_u32 v2, v0, s12
	;; [unrolled: 1-line block ×4, first 2 shown]
	s_cbranch_vccnz .LBB159_1604
; %bb.1603:
	v_mov_b32_e32 v11, v1
	s_delay_alu instid0(VALU_DEP_1) | instskip(NEXT) | instid1(VALU_DEP_1)
	v_mul_u64_e32 v[0:1], s[26:27], v[10:11]
	v_add_nc_u32_e32 v0, v10, v1
	s_delay_alu instid0(VALU_DEP_1) | instskip(NEXT) | instid1(VALU_DEP_1)
	v_lshrrev_b32_e32 v0, s1, v0
	v_mul_lo_u32 v0, v0, s23
	s_delay_alu instid0(VALU_DEP_1) | instskip(NEXT) | instid1(VALU_DEP_1)
	v_sub_nc_u32_e32 v0, v10, v0
	v_mad_u32 v2, v0, s16, v2
	v_mad_u32 v8, v0, s17, v8
	;; [unrolled: 1-line block ×4, first 2 shown]
.LBB159_1604:
	v_mov_b32_e32 v9, 0
	s_and_b32 s0, s40, 0xff
	s_delay_alu instid0(SALU_CYCLE_1) | instskip(SKIP_1) | instid1(VALU_DEP_1)
	s_cmp_lt_i32 s0, 11
	s_wait_loadcnt 0x0
	v_add_nc_u64_e32 v[8:9], s[6:7], v[8:9]
	s_cbranch_scc1 .LBB159_1611
; %bb.1605:
	s_and_b32 s1, 0xffff, s0
	s_mov_b32 s7, 0
	s_cmp_gt_i32 s1, 25
	s_cbranch_scc0 .LBB159_1612
; %bb.1606:
	s_cmp_gt_i32 s1, 28
	s_cbranch_scc0 .LBB159_1613
; %bb.1607:
	;; [unrolled: 3-line block ×4, first 2 shown]
	s_cmp_eq_u32 s1, 46
	s_mov_b32 s13, 0
	s_cbranch_scc0 .LBB159_1616
; %bb.1610:
	global_load_b32 v0, v[8:9], off
	s_mov_b32 s6, 0
	s_mov_b32 s12, -1
	s_wait_loadcnt 0x0
	v_lshlrev_b32_e32 v0, 16, v0
	s_delay_alu instid0(VALU_DEP_1)
	v_cvt_f16_f32_e32 v10, v0
	s_branch .LBB159_1618
.LBB159_1611:
	s_mov_b32 s1, -1
	s_mov_b32 s12, 0
	s_mov_b32 s7, 0
	;; [unrolled: 1-line block ×3, first 2 shown]
                                        ; implicit-def: $vgpr10
	s_branch .LBB159_1681
.LBB159_1612:
	s_mov_b32 s13, -1
	s_mov_b32 s12, 0
	s_mov_b32 s6, s56
                                        ; implicit-def: $vgpr10
	s_branch .LBB159_1647
.LBB159_1613:
	s_mov_b32 s13, -1
	s_mov_b32 s12, 0
	s_mov_b32 s6, s56
                                        ; implicit-def: $vgpr10
	s_branch .LBB159_1628
.LBB159_1614:
	s_mov_b32 s13, -1
	s_mov_b32 s12, 0
	s_mov_b32 s6, s56
                                        ; implicit-def: $vgpr10
	s_branch .LBB159_1623
.LBB159_1615:
	s_mov_b32 s13, -1
	s_mov_b32 s12, 0
	s_mov_b32 s6, s56
	s_branch .LBB159_1617
.LBB159_1616:
	s_mov_b32 s6, -1
	s_mov_b32 s12, 0
.LBB159_1617:
                                        ; implicit-def: $vgpr10
.LBB159_1618:
	s_and_b32 vcc_lo, exec_lo, s13
	s_cbranch_vccz .LBB159_1622
; %bb.1619:
	s_cmp_eq_u32 s1, 44
	s_cbranch_scc0 .LBB159_1621
; %bb.1620:
	global_load_u8 v0, v[8:9], off
	s_mov_b32 s6, 0
	s_mov_b32 s12, -1
	s_wait_loadcnt 0x0
	v_lshlrev_b32_e32 v1, 23, v0
	v_cmp_ne_u32_e32 vcc_lo, 0xff, v0
	s_delay_alu instid0(VALU_DEP_2) | instskip(NEXT) | instid1(VALU_DEP_1)
	v_cvt_f16_f32_e32 v1, v1
	v_cndmask_b32_e32 v1, 0x7e00, v1, vcc_lo
	v_cmp_ne_u32_e32 vcc_lo, 0, v0
	s_delay_alu instid0(VALU_DEP_2)
	v_cndmask_b32_e32 v10, 0, v1, vcc_lo
	s_branch .LBB159_1622
.LBB159_1621:
	s_mov_b32 s6, -1
                                        ; implicit-def: $vgpr10
.LBB159_1622:
	s_mov_b32 s13, 0
.LBB159_1623:
	s_delay_alu instid0(SALU_CYCLE_1)
	s_and_b32 vcc_lo, exec_lo, s13
	s_cbranch_vccz .LBB159_1627
; %bb.1624:
	s_cmp_eq_u32 s1, 29
	s_cbranch_scc0 .LBB159_1626
; %bb.1625:
	global_load_b64 v[0:1], v[8:9], off
	s_mov_b32 s6, 0
	s_mov_b32 s12, -1
	s_mov_b32 s13, 0
	s_wait_loadcnt 0x0
	v_clz_i32_u32_e32 v3, v1
	s_delay_alu instid0(VALU_DEP_1) | instskip(NEXT) | instid1(VALU_DEP_1)
	v_min_u32_e32 v3, 32, v3
	v_lshlrev_b64_e32 v[0:1], v3, v[0:1]
	s_delay_alu instid0(VALU_DEP_1) | instskip(NEXT) | instid1(VALU_DEP_1)
	v_min_u32_e32 v0, 1, v0
	v_dual_sub_nc_u32 v1, 32, v3 :: v_dual_bitop2_b32 v0, v1, v0 bitop3:0x54
	s_delay_alu instid0(VALU_DEP_1) | instskip(NEXT) | instid1(VALU_DEP_1)
	v_cvt_f32_u32_e32 v0, v0
	v_ldexp_f32 v0, v0, v1
	s_delay_alu instid0(VALU_DEP_1)
	v_cvt_f16_f32_e32 v10, v0
	s_branch .LBB159_1628
.LBB159_1626:
	s_mov_b32 s6, -1
                                        ; implicit-def: $vgpr10
.LBB159_1627:
	s_mov_b32 s13, 0
.LBB159_1628:
	s_delay_alu instid0(SALU_CYCLE_1)
	s_and_b32 vcc_lo, exec_lo, s13
	s_cbranch_vccz .LBB159_1646
; %bb.1629:
	s_cmp_lt_i32 s1, 27
	s_cbranch_scc1 .LBB159_1632
; %bb.1630:
	s_cmp_gt_i32 s1, 27
	s_cbranch_scc0 .LBB159_1633
; %bb.1631:
	global_load_b32 v0, v[8:9], off
	s_mov_b32 s12, 0
	s_wait_loadcnt 0x0
	v_cvt_f32_u32_e32 v0, v0
	s_delay_alu instid0(VALU_DEP_1)
	v_cvt_f16_f32_e32 v10, v0
	s_branch .LBB159_1634
.LBB159_1632:
	s_mov_b32 s12, -1
                                        ; implicit-def: $vgpr10
	s_branch .LBB159_1637
.LBB159_1633:
	s_mov_b32 s12, -1
                                        ; implicit-def: $vgpr10
.LBB159_1634:
	s_delay_alu instid0(SALU_CYCLE_1)
	s_and_not1_b32 vcc_lo, exec_lo, s12
	s_cbranch_vccnz .LBB159_1636
; %bb.1635:
	global_load_u16 v0, v[8:9], off
	s_wait_loadcnt 0x0
	v_cvt_f16_u16_e32 v10, v0
.LBB159_1636:
	s_mov_b32 s12, 0
.LBB159_1637:
	s_delay_alu instid0(SALU_CYCLE_1)
	s_and_not1_b32 vcc_lo, exec_lo, s12
	s_cbranch_vccnz .LBB159_1645
; %bb.1638:
	global_load_u8 v0, v[8:9], off
	s_mov_b32 s12, 0
	s_mov_b32 s13, exec_lo
	s_wait_loadcnt 0x0
	v_cmpx_lt_i16_e32 0x7f, v0
	s_xor_b32 s13, exec_lo, s13
	s_cbranch_execz .LBB159_1659
; %bb.1639:
	s_mov_b32 s12, -1
	s_mov_b32 s14, exec_lo
	v_cmpx_eq_u16_e32 0x80, v0
; %bb.1640:
	s_xor_b32 s12, exec_lo, -1
; %bb.1641:
	s_or_b32 exec_lo, exec_lo, s14
	s_delay_alu instid0(SALU_CYCLE_1)
	s_and_b32 s12, s12, exec_lo
	s_or_saveexec_b32 s13, s13
	v_mov_b32_e32 v10, 0x7e00
	s_xor_b32 exec_lo, exec_lo, s13
	s_cbranch_execnz .LBB159_1660
.LBB159_1642:
	s_or_b32 exec_lo, exec_lo, s13
	s_and_saveexec_b32 s13, s12
	s_cbranch_execz .LBB159_1644
.LBB159_1643:
	v_and_b32_e32 v1, 0xffff, v0
	s_delay_alu instid0(VALU_DEP_1) | instskip(SKIP_1) | instid1(VALU_DEP_2)
	v_dual_lshlrev_b32 v0, 24, v0 :: v_dual_bitop2_b32 v3, 7, v1 bitop3:0x40
	v_bfe_u32 v10, v1, 3, 4
	v_and_b32_e32 v0, 0x80000000, v0
	s_delay_alu instid0(VALU_DEP_3) | instskip(NEXT) | instid1(VALU_DEP_3)
	v_clz_i32_u32_e32 v5, v3
	v_cmp_eq_u32_e32 vcc_lo, 0, v10
	s_delay_alu instid0(VALU_DEP_2) | instskip(NEXT) | instid1(VALU_DEP_1)
	v_min_u32_e32 v5, 32, v5
	v_subrev_nc_u32_e32 v7, 28, v5
	v_sub_nc_u32_e32 v5, 29, v5
	s_delay_alu instid0(VALU_DEP_2) | instskip(NEXT) | instid1(VALU_DEP_2)
	v_lshlrev_b32_e32 v1, v7, v1
	v_cndmask_b32_e32 v5, v10, v5, vcc_lo
	s_delay_alu instid0(VALU_DEP_2) | instskip(NEXT) | instid1(VALU_DEP_1)
	v_and_b32_e32 v1, 7, v1
	v_cndmask_b32_e32 v1, v3, v1, vcc_lo
	s_delay_alu instid0(VALU_DEP_3) | instskip(NEXT) | instid1(VALU_DEP_2)
	v_lshl_add_u32 v3, v5, 23, 0x3b800000
	v_lshlrev_b32_e32 v1, 20, v1
	s_delay_alu instid0(VALU_DEP_1) | instskip(NEXT) | instid1(VALU_DEP_1)
	v_or3_b32 v0, v0, v3, v1
	v_cvt_f16_f32_e32 v10, v0
.LBB159_1644:
	s_or_b32 exec_lo, exec_lo, s13
.LBB159_1645:
	s_mov_b32 s12, -1
.LBB159_1646:
	s_mov_b32 s13, 0
.LBB159_1647:
	s_delay_alu instid0(SALU_CYCLE_1)
	s_and_b32 vcc_lo, exec_lo, s13
	s_cbranch_vccz .LBB159_1680
; %bb.1648:
	s_cmp_gt_i32 s1, 22
	s_cbranch_scc0 .LBB159_1658
; %bb.1649:
	s_cmp_lt_i32 s1, 24
	s_cbranch_scc1 .LBB159_1661
; %bb.1650:
	s_cmp_gt_i32 s1, 24
	s_cbranch_scc0 .LBB159_1662
; %bb.1651:
	global_load_u8 v0, v[8:9], off
	s_mov_b32 s12, exec_lo
	s_wait_loadcnt 0x0
	v_cmpx_lt_i16_e32 0x7f, v0
	s_xor_b32 s12, exec_lo, s12
	s_cbranch_execz .LBB159_1674
; %bb.1652:
	s_mov_b32 s7, -1
	s_mov_b32 s13, exec_lo
	v_cmpx_eq_u16_e32 0x80, v0
; %bb.1653:
	s_xor_b32 s7, exec_lo, -1
; %bb.1654:
	s_or_b32 exec_lo, exec_lo, s13
	s_delay_alu instid0(SALU_CYCLE_1)
	s_and_b32 s7, s7, exec_lo
	s_or_saveexec_b32 s12, s12
	v_mov_b32_e32 v10, 0x7e00
	s_xor_b32 exec_lo, exec_lo, s12
	s_cbranch_execnz .LBB159_1675
.LBB159_1655:
	s_or_b32 exec_lo, exec_lo, s12
	s_and_saveexec_b32 s12, s7
	s_cbranch_execz .LBB159_1657
.LBB159_1656:
	v_and_b32_e32 v1, 0xffff, v0
	s_delay_alu instid0(VALU_DEP_1) | instskip(SKIP_1) | instid1(VALU_DEP_2)
	v_dual_lshlrev_b32 v0, 24, v0 :: v_dual_bitop2_b32 v3, 3, v1 bitop3:0x40
	v_bfe_u32 v10, v1, 2, 5
	v_and_b32_e32 v0, 0x80000000, v0
	s_delay_alu instid0(VALU_DEP_3) | instskip(NEXT) | instid1(VALU_DEP_3)
	v_clz_i32_u32_e32 v5, v3
	v_cmp_eq_u32_e32 vcc_lo, 0, v10
	s_delay_alu instid0(VALU_DEP_2) | instskip(NEXT) | instid1(VALU_DEP_1)
	v_min_u32_e32 v5, 32, v5
	v_subrev_nc_u32_e32 v7, 29, v5
	v_sub_nc_u32_e32 v5, 30, v5
	s_delay_alu instid0(VALU_DEP_2) | instskip(NEXT) | instid1(VALU_DEP_2)
	v_lshlrev_b32_e32 v1, v7, v1
	v_cndmask_b32_e32 v5, v10, v5, vcc_lo
	s_delay_alu instid0(VALU_DEP_2) | instskip(NEXT) | instid1(VALU_DEP_1)
	v_and_b32_e32 v1, 3, v1
	v_cndmask_b32_e32 v1, v3, v1, vcc_lo
	s_delay_alu instid0(VALU_DEP_3) | instskip(NEXT) | instid1(VALU_DEP_2)
	v_lshl_add_u32 v3, v5, 23, 0x37800000
	v_lshlrev_b32_e32 v1, 21, v1
	s_delay_alu instid0(VALU_DEP_1) | instskip(NEXT) | instid1(VALU_DEP_1)
	v_or3_b32 v0, v0, v3, v1
	v_cvt_f16_f32_e32 v10, v0
.LBB159_1657:
	s_or_b32 exec_lo, exec_lo, s12
	s_mov_b32 s7, 0
	s_branch .LBB159_1663
.LBB159_1658:
	s_mov_b32 s7, -1
                                        ; implicit-def: $vgpr10
	s_branch .LBB159_1669
.LBB159_1659:
	s_or_saveexec_b32 s13, s13
	v_mov_b32_e32 v10, 0x7e00
	s_xor_b32 exec_lo, exec_lo, s13
	s_cbranch_execz .LBB159_1642
.LBB159_1660:
	v_cmp_ne_u16_e32 vcc_lo, 0, v0
	v_mov_b32_e32 v10, v0
	s_and_not1_b32 s12, s12, exec_lo
	s_and_b32 s14, vcc_lo, exec_lo
	s_delay_alu instid0(SALU_CYCLE_1)
	s_or_b32 s12, s12, s14
	s_or_b32 exec_lo, exec_lo, s13
	s_and_saveexec_b32 s13, s12
	s_cbranch_execnz .LBB159_1643
	s_branch .LBB159_1644
.LBB159_1661:
	s_mov_b32 s7, -1
                                        ; implicit-def: $vgpr10
	s_branch .LBB159_1666
.LBB159_1662:
	s_mov_b32 s7, -1
                                        ; implicit-def: $vgpr10
.LBB159_1663:
	s_delay_alu instid0(SALU_CYCLE_1)
	s_and_b32 vcc_lo, exec_lo, s7
	s_cbranch_vccz .LBB159_1665
; %bb.1664:
	global_load_u8 v0, v[8:9], off
	s_wait_loadcnt 0x0
	v_lshlrev_b32_e32 v0, 24, v0
	s_delay_alu instid0(VALU_DEP_1) | instskip(NEXT) | instid1(VALU_DEP_1)
	v_and_b32_e32 v1, 0x7f000000, v0
	v_clz_i32_u32_e32 v3, v1
	v_add_nc_u32_e32 v7, 0x1000000, v1
	v_cmp_ne_u32_e32 vcc_lo, 0, v1
	s_delay_alu instid0(VALU_DEP_3) | instskip(NEXT) | instid1(VALU_DEP_1)
	v_min_u32_e32 v3, 32, v3
	v_sub_nc_u32_e64 v3, v3, 4 clamp
	s_delay_alu instid0(VALU_DEP_1) | instskip(NEXT) | instid1(VALU_DEP_1)
	v_dual_lshlrev_b32 v5, v3, v1 :: v_dual_lshlrev_b32 v3, 23, v3
	v_lshrrev_b32_e32 v5, 4, v5
	s_delay_alu instid0(VALU_DEP_1) | instskip(SKIP_1) | instid1(VALU_DEP_2)
	v_sub_nc_u32_e32 v3, v5, v3
	v_ashrrev_i32_e32 v5, 8, v7
	v_add_nc_u32_e32 v3, 0x3c000000, v3
	s_delay_alu instid0(VALU_DEP_1) | instskip(NEXT) | instid1(VALU_DEP_1)
	v_and_or_b32 v3, 0x7f800000, v5, v3
	v_cndmask_b32_e32 v1, 0, v3, vcc_lo
	s_delay_alu instid0(VALU_DEP_1) | instskip(NEXT) | instid1(VALU_DEP_1)
	v_and_or_b32 v0, 0x80000000, v0, v1
	v_cvt_f16_f32_e32 v10, v0
.LBB159_1665:
	s_mov_b32 s7, 0
.LBB159_1666:
	s_delay_alu instid0(SALU_CYCLE_1)
	s_and_not1_b32 vcc_lo, exec_lo, s7
	s_cbranch_vccnz .LBB159_1668
; %bb.1667:
	global_load_u8 v0, v[8:9], off
	s_wait_loadcnt 0x0
	v_lshlrev_b32_e32 v1, 25, v0
	v_lshlrev_b16 v0, 8, v0
	s_delay_alu instid0(VALU_DEP_1) | instskip(SKIP_1) | instid1(VALU_DEP_2)
	v_and_or_b32 v5, 0x7f00, v0, 0.5
	v_bfe_i32 v0, v0, 0, 16
	v_add_f32_e32 v5, -0.5, v5
	v_lshrrev_b32_e32 v3, 4, v1
	v_cmp_gt_u32_e32 vcc_lo, 0x8000000, v1
	s_delay_alu instid0(VALU_DEP_2) | instskip(NEXT) | instid1(VALU_DEP_1)
	v_or_b32_e32 v3, 0x70000000, v3
	v_mul_f32_e32 v3, 0x7800000, v3
	s_delay_alu instid0(VALU_DEP_1) | instskip(NEXT) | instid1(VALU_DEP_1)
	v_cndmask_b32_e32 v1, v3, v5, vcc_lo
	v_and_or_b32 v0, 0x80000000, v0, v1
	s_delay_alu instid0(VALU_DEP_1)
	v_cvt_f16_f32_e32 v10, v0
.LBB159_1668:
	s_mov_b32 s7, 0
	s_mov_b32 s12, -1
.LBB159_1669:
	s_and_not1_b32 vcc_lo, exec_lo, s7
	s_mov_b32 s7, 0
	s_cbranch_vccnz .LBB159_1680
; %bb.1670:
	s_cmp_gt_i32 s1, 14
	s_cbranch_scc0 .LBB159_1673
; %bb.1671:
	s_cmp_eq_u32 s1, 15
	s_cbranch_scc0 .LBB159_1676
; %bb.1672:
	global_load_u16 v0, v[8:9], off
	s_mov_b32 s6, 0
	s_mov_b32 s12, -1
	s_wait_loadcnt 0x0
	v_lshlrev_b32_e32 v0, 16, v0
	s_delay_alu instid0(VALU_DEP_1)
	v_cvt_f16_f32_e32 v10, v0
	s_branch .LBB159_1678
.LBB159_1673:
	s_mov_b32 s7, -1
	s_branch .LBB159_1677
.LBB159_1674:
	s_or_saveexec_b32 s12, s12
	v_mov_b32_e32 v10, 0x7e00
	s_xor_b32 exec_lo, exec_lo, s12
	s_cbranch_execz .LBB159_1655
.LBB159_1675:
	v_cmp_ne_u16_e32 vcc_lo, 0, v0
	v_mov_b32_e32 v10, v0
	s_and_not1_b32 s7, s7, exec_lo
	s_and_b32 s13, vcc_lo, exec_lo
	s_delay_alu instid0(SALU_CYCLE_1)
	s_or_b32 s7, s7, s13
	s_or_b32 exec_lo, exec_lo, s12
	s_and_saveexec_b32 s12, s7
	s_cbranch_execnz .LBB159_1656
	s_branch .LBB159_1657
.LBB159_1676:
	s_mov_b32 s6, -1
.LBB159_1677:
                                        ; implicit-def: $vgpr10
.LBB159_1678:
	s_and_b32 vcc_lo, exec_lo, s7
	s_mov_b32 s7, 0
	s_cbranch_vccz .LBB159_1680
; %bb.1679:
	s_cmp_lg_u32 s1, 11
	s_mov_b32 s7, -1
	s_cselect_b32 s1, -1, 0
	s_and_not1_b32 s6, s6, exec_lo
	s_and_b32 s1, s1, exec_lo
	s_delay_alu instid0(SALU_CYCLE_1)
	s_or_b32 s6, s6, s1
.LBB159_1680:
	s_mov_b32 s1, 0
.LBB159_1681:
	s_delay_alu instid0(SALU_CYCLE_1)
	s_and_b32 s30, s1, exec_lo
	s_and_not1_b32 s1, s56, exec_lo
	s_and_b32 s6, s6, exec_lo
	s_and_b32 s28, s12, exec_lo
	;; [unrolled: 1-line block ×3, first 2 shown]
	s_or_b32 s31, s1, s6
.LBB159_1682:
	s_wait_xcnt 0x0
	s_or_b32 exec_lo, exec_lo, s44
	s_delay_alu instid0(SALU_CYCLE_1)
	s_and_not1_b32 s1, s56, exec_lo
	s_and_b32 s6, s31, exec_lo
	s_and_b32 s28, s28, exec_lo
	;; [unrolled: 1-line block ×4, first 2 shown]
	s_or_b32 s56, s1, s6
.LBB159_1683:
	s_or_b32 exec_lo, exec_lo, s55
	s_delay_alu instid0(SALU_CYCLE_1)
	s_and_not1_b32 s1, s51, exec_lo
	s_and_b32 s6, s59, exec_lo
	s_and_not1_b32 s7, s53, exec_lo
	s_or_b32 s51, s1, s6
	s_and_not1_b32 s1, s52, exec_lo
	s_and_b32 s6, s57, exec_lo
	s_and_b32 s12, s58, exec_lo
	s_or_b32 s52, s1, s6
	s_and_not1_b32 s1, s50, exec_lo
	s_and_b32 s6, s56, exec_lo
	s_or_b32 s53, s7, s12
	s_and_b32 s28, s28, exec_lo
	s_and_b32 s30, s30, exec_lo
	;; [unrolled: 1-line block ×3, first 2 shown]
	s_or_b32 s50, s1, s6
.LBB159_1684:
	s_or_b32 exec_lo, exec_lo, s54
	s_delay_alu instid0(SALU_CYCLE_1)
	s_and_not1_b32 s1, s43, exec_lo
	s_and_b32 s6, s51, exec_lo
	s_and_not1_b32 s7, s47, exec_lo
	s_or_b32 s43, s1, s6
	s_and_not1_b32 s1, s46, exec_lo
	s_and_b32 s6, s52, exec_lo
	s_and_b32 s12, s53, exec_lo
	s_or_b32 s46, s1, s6
	s_and_not1_b32 s1, s48, exec_lo
	s_and_b32 s6, s50, exec_lo
	s_or_b32 s47, s7, s12
	s_and_b32 s28, s28, exec_lo
	s_and_b32 s30, s30, exec_lo
	;; [unrolled: 1-line block ×3, first 2 shown]
	s_or_b32 s48, s1, s6
	s_or_b32 exec_lo, exec_lo, s49
	s_mov_b32 s1, 0
	s_and_saveexec_b32 s6, s48
	s_cbranch_execz .LBB159_532
.LBB159_1685:
	s_mov_b32 s1, exec_lo
	s_and_not1_b32 s25, s25, exec_lo
	s_trap 2
	s_or_b32 exec_lo, exec_lo, s6
	s_and_saveexec_b32 s6, s25
	s_delay_alu instid0(SALU_CYCLE_1)
	s_xor_b32 s6, exec_lo, s6
	s_cbranch_execnz .LBB159_533
.LBB159_1686:
	s_or_b32 exec_lo, exec_lo, s6
	s_and_saveexec_b32 s6, s30
	s_cbranch_execz .LBB159_1732
.LBB159_1687:
	s_sext_i32_i16 s7, s0
	s_delay_alu instid0(SALU_CYCLE_1)
	s_cmp_lt_i32 s7, 5
	s_cbranch_scc1 .LBB159_1692
; %bb.1688:
	s_cmp_lt_i32 s7, 8
	s_cbranch_scc1 .LBB159_1693
; %bb.1689:
	;; [unrolled: 3-line block ×3, first 2 shown]
	s_cmp_gt_i32 s7, 9
	s_cbranch_scc0 .LBB159_1695
; %bb.1691:
	s_wait_loadcnt 0x0
	global_load_b64 v[0:1], v[8:9], off
	s_mov_b32 s7, 0
	s_wait_loadcnt 0x0
	v_and_or_b32 v0, 0x1ff, v1, v0
	v_lshrrev_b32_e32 v3, 8, v1
	v_bfe_u32 v5, v1, 20, 11
	v_lshrrev_b32_e32 v1, 16, v1
	s_delay_alu instid0(VALU_DEP_4) | instskip(NEXT) | instid1(VALU_DEP_3)
	v_cmp_ne_u32_e32 vcc_lo, 0, v0
	v_sub_nc_u32_e32 v7, 0x3f1, v5
	v_add_nc_u32_e32 v5, 0xfffffc10, v5
	v_cndmask_b32_e64 v0, 0, 1, vcc_lo
	s_delay_alu instid0(VALU_DEP_1) | instskip(NEXT) | instid1(VALU_DEP_4)
	v_and_or_b32 v0, 0xffe, v3, v0
	v_med3_i32 v3, v7, 0, 13
	s_delay_alu instid0(VALU_DEP_2) | instskip(NEXT) | instid1(VALU_DEP_1)
	v_or_b32_e32 v7, 0x1000, v0
	v_lshrrev_b32_e32 v10, v3, v7
	s_delay_alu instid0(VALU_DEP_1) | instskip(NEXT) | instid1(VALU_DEP_1)
	v_lshlrev_b32_e32 v3, v3, v10
	v_cmp_ne_u32_e32 vcc_lo, v3, v7
	v_lshl_or_b32 v7, v5, 12, v0
	v_cndmask_b32_e64 v3, 0, 1, vcc_lo
	v_cmp_gt_i32_e32 vcc_lo, 1, v5
	s_delay_alu instid0(VALU_DEP_2) | instskip(NEXT) | instid1(VALU_DEP_1)
	v_or_b32_e32 v3, v10, v3
	v_cndmask_b32_e32 v3, v7, v3, vcc_lo
	s_delay_alu instid0(VALU_DEP_1) | instskip(NEXT) | instid1(VALU_DEP_1)
	v_dual_lshrrev_b32 v3, 2, v3 :: v_dual_bitop2_b32 v7, 7, v3 bitop3:0x40
	v_cmp_lt_i32_e32 vcc_lo, 5, v7
	v_cndmask_b32_e64 v10, 0, 1, vcc_lo
	v_cmp_eq_u32_e32 vcc_lo, 3, v7
	v_cndmask_b32_e64 v7, 0, 1, vcc_lo
	v_cmp_ne_u32_e32 vcc_lo, 0, v0
	s_delay_alu instid0(VALU_DEP_2) | instskip(NEXT) | instid1(VALU_DEP_1)
	v_or_b32_e32 v7, v7, v10
	v_dual_mov_b32 v10, 0x7e00 :: v_dual_add_nc_u32 v3, v3, v7
	s_delay_alu instid0(VALU_DEP_1) | instskip(SKIP_1) | instid1(VALU_DEP_3)
	v_cndmask_b32_e32 v0, 0x7c00, v10, vcc_lo
	v_cmp_gt_i32_e32 vcc_lo, 31, v5
	v_cndmask_b32_e32 v3, 0x7c00, v3, vcc_lo
	v_cmp_eq_u32_e32 vcc_lo, 0x40f, v5
	s_delay_alu instid0(VALU_DEP_2) | instskip(NEXT) | instid1(VALU_DEP_1)
	v_cndmask_b32_e32 v0, v3, v0, vcc_lo
	v_and_or_b32 v10, 0x8000, v1, v0
	s_branch .LBB159_1696
.LBB159_1692:
                                        ; implicit-def: $vgpr10
	s_branch .LBB159_1713
.LBB159_1693:
                                        ; implicit-def: $vgpr10
	s_branch .LBB159_1702
.LBB159_1694:
	s_mov_b32 s7, -1
                                        ; implicit-def: $vgpr10
	s_branch .LBB159_1699
.LBB159_1695:
	s_mov_b32 s7, -1
                                        ; implicit-def: $vgpr10
.LBB159_1696:
	s_delay_alu instid0(SALU_CYCLE_1)
	s_and_not1_b32 vcc_lo, exec_lo, s7
	s_cbranch_vccnz .LBB159_1698
; %bb.1697:
	s_wait_loadcnt 0x0
	global_load_b32 v0, v[8:9], off
	s_wait_loadcnt 0x0
	v_cvt_f16_f32_e32 v10, v0
.LBB159_1698:
	s_mov_b32 s7, 0
.LBB159_1699:
	s_delay_alu instid0(SALU_CYCLE_1)
	s_and_not1_b32 vcc_lo, exec_lo, s7
	s_cbranch_vccnz .LBB159_1701
; %bb.1700:
	s_wait_loadcnt 0x0
	global_load_b32 v10, v[8:9], off
.LBB159_1701:
	s_cbranch_execnz .LBB159_1712
.LBB159_1702:
	s_sext_i32_i16 s7, s0
	s_delay_alu instid0(SALU_CYCLE_1)
	s_cmp_lt_i32 s7, 6
	s_cbranch_scc1 .LBB159_1705
; %bb.1703:
	s_cmp_gt_i32 s7, 6
	s_cbranch_scc0 .LBB159_1706
; %bb.1704:
	s_wait_loadcnt 0x0
	global_load_b64 v[0:1], v[8:9], off
	s_mov_b32 s7, 0
	s_wait_loadcnt 0x0
	v_and_or_b32 v0, 0x1ff, v1, v0
	v_lshrrev_b32_e32 v3, 8, v1
	v_bfe_u32 v5, v1, 20, 11
	v_lshrrev_b32_e32 v1, 16, v1
	s_delay_alu instid0(VALU_DEP_4) | instskip(NEXT) | instid1(VALU_DEP_3)
	v_cmp_ne_u32_e32 vcc_lo, 0, v0
	v_sub_nc_u32_e32 v7, 0x3f1, v5
	v_add_nc_u32_e32 v5, 0xfffffc10, v5
	v_cndmask_b32_e64 v0, 0, 1, vcc_lo
	s_delay_alu instid0(VALU_DEP_1) | instskip(NEXT) | instid1(VALU_DEP_4)
	v_and_or_b32 v0, 0xffe, v3, v0
	v_med3_i32 v3, v7, 0, 13
	s_delay_alu instid0(VALU_DEP_2) | instskip(NEXT) | instid1(VALU_DEP_1)
	v_or_b32_e32 v7, 0x1000, v0
	v_lshrrev_b32_e32 v10, v3, v7
	s_delay_alu instid0(VALU_DEP_1) | instskip(NEXT) | instid1(VALU_DEP_1)
	v_lshlrev_b32_e32 v3, v3, v10
	v_cmp_ne_u32_e32 vcc_lo, v3, v7
	v_lshl_or_b32 v7, v5, 12, v0
	v_cndmask_b32_e64 v3, 0, 1, vcc_lo
	v_cmp_gt_i32_e32 vcc_lo, 1, v5
	s_delay_alu instid0(VALU_DEP_2) | instskip(NEXT) | instid1(VALU_DEP_1)
	v_or_b32_e32 v3, v10, v3
	v_cndmask_b32_e32 v3, v7, v3, vcc_lo
	s_delay_alu instid0(VALU_DEP_1) | instskip(NEXT) | instid1(VALU_DEP_1)
	v_dual_lshrrev_b32 v3, 2, v3 :: v_dual_bitop2_b32 v7, 7, v3 bitop3:0x40
	v_cmp_lt_i32_e32 vcc_lo, 5, v7
	v_cndmask_b32_e64 v10, 0, 1, vcc_lo
	v_cmp_eq_u32_e32 vcc_lo, 3, v7
	v_cndmask_b32_e64 v7, 0, 1, vcc_lo
	v_cmp_ne_u32_e32 vcc_lo, 0, v0
	s_delay_alu instid0(VALU_DEP_2) | instskip(NEXT) | instid1(VALU_DEP_1)
	v_or_b32_e32 v7, v7, v10
	v_dual_mov_b32 v10, 0x7e00 :: v_dual_add_nc_u32 v3, v3, v7
	s_delay_alu instid0(VALU_DEP_1) | instskip(SKIP_1) | instid1(VALU_DEP_3)
	v_cndmask_b32_e32 v0, 0x7c00, v10, vcc_lo
	v_cmp_gt_i32_e32 vcc_lo, 31, v5
	v_cndmask_b32_e32 v3, 0x7c00, v3, vcc_lo
	v_cmp_eq_u32_e32 vcc_lo, 0x40f, v5
	s_delay_alu instid0(VALU_DEP_2) | instskip(NEXT) | instid1(VALU_DEP_1)
	v_cndmask_b32_e32 v0, v3, v0, vcc_lo
	v_and_or_b32 v10, 0x8000, v1, v0
	s_branch .LBB159_1707
.LBB159_1705:
	s_mov_b32 s7, -1
                                        ; implicit-def: $vgpr10
	s_branch .LBB159_1710
.LBB159_1706:
	s_mov_b32 s7, -1
                                        ; implicit-def: $vgpr10
.LBB159_1707:
	s_delay_alu instid0(SALU_CYCLE_1)
	s_and_not1_b32 vcc_lo, exec_lo, s7
	s_cbranch_vccnz .LBB159_1709
; %bb.1708:
	s_wait_loadcnt 0x0
	global_load_b32 v0, v[8:9], off
	s_wait_loadcnt 0x0
	v_cvt_f16_f32_e32 v10, v0
.LBB159_1709:
	s_mov_b32 s7, 0
.LBB159_1710:
	s_delay_alu instid0(SALU_CYCLE_1)
	s_and_not1_b32 vcc_lo, exec_lo, s7
	s_cbranch_vccnz .LBB159_1712
; %bb.1711:
	s_wait_loadcnt 0x0
	global_load_u16 v10, v[8:9], off
.LBB159_1712:
	s_cbranch_execnz .LBB159_1731
.LBB159_1713:
	s_sext_i32_i16 s7, s0
	s_delay_alu instid0(SALU_CYCLE_1)
	s_cmp_lt_i32 s7, 2
	s_cbranch_scc1 .LBB159_1717
; %bb.1714:
	s_cmp_lt_i32 s7, 3
	s_cbranch_scc1 .LBB159_1718
; %bb.1715:
	s_cmp_gt_i32 s7, 3
	s_cbranch_scc0 .LBB159_1719
; %bb.1716:
	s_wait_loadcnt 0x0
	global_load_b64 v[0:1], v[8:9], off
	s_mov_b32 s7, 0
	s_wait_loadcnt 0x0
	v_xor_b32_e32 v3, v0, v1
	v_cls_i32_e32 v5, v1
	s_delay_alu instid0(VALU_DEP_2) | instskip(NEXT) | instid1(VALU_DEP_1)
	v_ashrrev_i32_e32 v3, 31, v3
	v_add_nc_u32_e32 v3, 32, v3
	s_delay_alu instid0(VALU_DEP_1) | instskip(NEXT) | instid1(VALU_DEP_1)
	v_add_min_u32_e64 v3, v5, -1, v3
	v_lshlrev_b64_e32 v[0:1], v3, v[0:1]
	s_delay_alu instid0(VALU_DEP_1) | instskip(NEXT) | instid1(VALU_DEP_1)
	v_min_u32_e32 v0, 1, v0
	v_dual_sub_nc_u32 v1, 32, v3 :: v_dual_bitop2_b32 v0, v1, v0 bitop3:0x54
	s_delay_alu instid0(VALU_DEP_1) | instskip(NEXT) | instid1(VALU_DEP_1)
	v_cvt_f32_i32_e32 v0, v0
	v_ldexp_f32 v0, v0, v1
	s_delay_alu instid0(VALU_DEP_1)
	v_cvt_f16_f32_e32 v10, v0
	s_branch .LBB159_1720
.LBB159_1717:
                                        ; implicit-def: $vgpr10
	s_branch .LBB159_1726
.LBB159_1718:
	s_mov_b32 s7, -1
                                        ; implicit-def: $vgpr10
	s_branch .LBB159_1723
.LBB159_1719:
	s_mov_b32 s7, -1
                                        ; implicit-def: $vgpr10
.LBB159_1720:
	s_delay_alu instid0(SALU_CYCLE_1)
	s_and_not1_b32 vcc_lo, exec_lo, s7
	s_cbranch_vccnz .LBB159_1722
; %bb.1721:
	s_wait_loadcnt 0x0
	global_load_b32 v0, v[8:9], off
	s_wait_loadcnt 0x0
	v_cvt_f32_i32_e32 v0, v0
	s_delay_alu instid0(VALU_DEP_1)
	v_cvt_f16_f32_e32 v10, v0
.LBB159_1722:
	s_mov_b32 s7, 0
.LBB159_1723:
	s_delay_alu instid0(SALU_CYCLE_1)
	s_and_not1_b32 vcc_lo, exec_lo, s7
	s_cbranch_vccnz .LBB159_1725
; %bb.1724:
	s_wait_loadcnt 0x0
	global_load_u16 v0, v[8:9], off
	s_wait_loadcnt 0x0
	v_cvt_f16_i16_e32 v10, v0
.LBB159_1725:
	s_cbranch_execnz .LBB159_1731
.LBB159_1726:
	s_sext_i32_i16 s0, s0
	s_delay_alu instid0(SALU_CYCLE_1)
	s_cmp_gt_i32 s0, 0
	s_mov_b32 s0, 0
	s_cbranch_scc0 .LBB159_1728
; %bb.1727:
	s_wait_loadcnt 0x0
	global_load_i8 v0, v[8:9], off
	s_wait_loadcnt 0x0
	v_cvt_f16_i16_e32 v10, v0
	s_branch .LBB159_1729
.LBB159_1728:
	s_mov_b32 s0, -1
                                        ; implicit-def: $vgpr10
.LBB159_1729:
	s_delay_alu instid0(SALU_CYCLE_1)
	s_and_not1_b32 vcc_lo, exec_lo, s0
	s_cbranch_vccnz .LBB159_1731
; %bb.1730:
	s_wait_loadcnt 0x0
	global_load_u8 v0, v[8:9], off
	s_wait_loadcnt 0x0
	v_cvt_f16_u16_e32 v10, v0
.LBB159_1731:
	s_or_b32 s28, s28, exec_lo
.LBB159_1732:
	s_wait_xcnt 0x0
	s_or_b32 exec_lo, exec_lo, s6
	s_mov_b32 s13, 0
	s_mov_b32 s12, 0
	;; [unrolled: 1-line block ×3, first 2 shown]
                                        ; implicit-def: $sgpr0
                                        ; implicit-def: $vgpr0_vgpr1
                                        ; implicit-def: $vgpr7
	s_and_saveexec_b32 s6, s28
	s_cbranch_execz .LBB159_1740
; %bb.1733:
	v_mov_b32_e32 v7, 0
	s_and_b32 s0, s39, 0xff
	s_delay_alu instid0(SALU_CYCLE_1) | instskip(SKIP_1) | instid1(VALU_DEP_1)
	s_cmp_lt_i32 s0, 11
	s_wait_loadcnt 0x0
	v_add_nc_u64_e32 v[0:1], s[8:9], v[6:7]
	s_cbranch_scc1 .LBB159_1743
; %bb.1734:
	s_and_b32 s7, 0xffff, s0
	s_mov_b32 s9, 0
	s_cmp_gt_i32 s7, 25
	s_cbranch_scc0 .LBB159_1744
; %bb.1735:
	s_cmp_gt_i32 s7, 28
	s_cbranch_scc0 .LBB159_1745
; %bb.1736:
	;; [unrolled: 3-line block ×4, first 2 shown]
	s_cmp_eq_u32 s7, 46
	s_cbranch_scc0 .LBB159_1748
; %bb.1739:
	global_load_b32 v3, v[0:1], off
	s_mov_b32 s8, 0
	s_mov_b32 s12, -1
	s_wait_loadcnt 0x0
	v_lshlrev_b32_e32 v3, 16, v3
	s_delay_alu instid0(VALU_DEP_1)
	v_cvt_f16_f32_e32 v7, v3
	s_branch .LBB159_1750
.LBB159_1740:
	s_or_b32 exec_lo, exec_lo, s6
	s_and_saveexec_b32 s6, s47
	s_cbranch_execnz .LBB159_1813
.LBB159_1741:
	s_or_b32 exec_lo, exec_lo, s6
	s_and_saveexec_b32 s6, s13
	s_delay_alu instid0(SALU_CYCLE_1)
	s_xor_b32 s6, exec_lo, s6
	s_cbranch_execz .LBB159_1814
.LBB159_1742:
	s_wait_loadcnt 0x0
	global_load_u8 v3, v[0:1], off
	s_or_b32 s7, s7, exec_lo
	s_wait_loadcnt 0x0
	v_cmp_ne_u16_e32 vcc_lo, 0, v3
	v_cndmask_b32_e64 v7, 0, 0x3c00, vcc_lo
	s_wait_xcnt 0x0
	s_or_b32 exec_lo, exec_lo, s6
	s_and_saveexec_b32 s6, s12
	s_cbranch_execz .LBB159_1860
	s_branch .LBB159_1815
.LBB159_1743:
	s_mov_b32 s13, -1
	s_mov_b32 s9, 0
	s_mov_b32 s8, s47
                                        ; implicit-def: $vgpr7
	s_branch .LBB159_1812
.LBB159_1744:
	s_mov_b32 s8, s47
                                        ; implicit-def: $vgpr7
	s_cbranch_execnz .LBB159_1779
	s_branch .LBB159_1811
.LBB159_1745:
	s_mov_b32 s13, -1
	s_mov_b32 s8, s47
                                        ; implicit-def: $vgpr7
	s_branch .LBB159_1760
.LBB159_1746:
	s_mov_b32 s13, -1
	s_mov_b32 s8, s47
                                        ; implicit-def: $vgpr7
	s_branch .LBB159_1755
.LBB159_1747:
	s_mov_b32 s13, -1
	s_mov_b32 s8, s47
	s_branch .LBB159_1749
.LBB159_1748:
	s_mov_b32 s8, -1
.LBB159_1749:
                                        ; implicit-def: $vgpr7
.LBB159_1750:
	s_and_b32 vcc_lo, exec_lo, s13
	s_cbranch_vccz .LBB159_1754
; %bb.1751:
	s_cmp_eq_u32 s7, 44
	s_cbranch_scc0 .LBB159_1753
; %bb.1752:
	global_load_u8 v3, v[0:1], off
	s_mov_b32 s8, 0
	s_mov_b32 s12, -1
	s_wait_loadcnt 0x0
	v_lshlrev_b32_e32 v5, 23, v3
	v_cmp_ne_u32_e32 vcc_lo, 0xff, v3
	s_delay_alu instid0(VALU_DEP_2) | instskip(NEXT) | instid1(VALU_DEP_1)
	v_cvt_f16_f32_e32 v5, v5
	v_cndmask_b32_e32 v5, 0x7e00, v5, vcc_lo
	v_cmp_ne_u32_e32 vcc_lo, 0, v3
	s_delay_alu instid0(VALU_DEP_2)
	v_cndmask_b32_e32 v7, 0, v5, vcc_lo
	s_branch .LBB159_1754
.LBB159_1753:
	s_mov_b32 s8, -1
                                        ; implicit-def: $vgpr7
.LBB159_1754:
	s_mov_b32 s13, 0
.LBB159_1755:
	s_delay_alu instid0(SALU_CYCLE_1)
	s_and_b32 vcc_lo, exec_lo, s13
	s_cbranch_vccz .LBB159_1759
; %bb.1756:
	s_cmp_eq_u32 s7, 29
	s_cbranch_scc0 .LBB159_1758
; %bb.1757:
	global_load_b64 v[6:7], v[0:1], off
	s_mov_b32 s8, 0
	s_mov_b32 s12, -1
	s_mov_b32 s13, 0
	s_wait_loadcnt 0x0
	v_clz_i32_u32_e32 v3, v7
	s_delay_alu instid0(VALU_DEP_1) | instskip(NEXT) | instid1(VALU_DEP_1)
	v_min_u32_e32 v3, 32, v3
	v_lshlrev_b64_e32 v[6:7], v3, v[6:7]
	v_sub_nc_u32_e32 v3, 32, v3
	s_delay_alu instid0(VALU_DEP_2) | instskip(NEXT) | instid1(VALU_DEP_1)
	v_min_u32_e32 v5, 1, v6
	v_or_b32_e32 v5, v7, v5
	s_delay_alu instid0(VALU_DEP_1) | instskip(NEXT) | instid1(VALU_DEP_1)
	v_cvt_f32_u32_e32 v5, v5
	v_ldexp_f32 v3, v5, v3
	s_delay_alu instid0(VALU_DEP_1)
	v_cvt_f16_f32_e32 v7, v3
	s_branch .LBB159_1760
.LBB159_1758:
	s_mov_b32 s8, -1
                                        ; implicit-def: $vgpr7
.LBB159_1759:
	s_mov_b32 s13, 0
.LBB159_1760:
	s_delay_alu instid0(SALU_CYCLE_1)
	s_and_b32 vcc_lo, exec_lo, s13
	s_cbranch_vccz .LBB159_1778
; %bb.1761:
	s_cmp_lt_i32 s7, 27
	s_cbranch_scc1 .LBB159_1764
; %bb.1762:
	s_cmp_gt_i32 s7, 27
	s_cbranch_scc0 .LBB159_1765
; %bb.1763:
	global_load_b32 v3, v[0:1], off
	s_mov_b32 s12, 0
	s_wait_loadcnt 0x0
	v_cvt_f32_u32_e32 v3, v3
	s_delay_alu instid0(VALU_DEP_1)
	v_cvt_f16_f32_e32 v7, v3
	s_branch .LBB159_1766
.LBB159_1764:
	s_mov_b32 s12, -1
                                        ; implicit-def: $vgpr7
	s_branch .LBB159_1769
.LBB159_1765:
	s_mov_b32 s12, -1
                                        ; implicit-def: $vgpr7
.LBB159_1766:
	s_delay_alu instid0(SALU_CYCLE_1)
	s_and_not1_b32 vcc_lo, exec_lo, s12
	s_cbranch_vccnz .LBB159_1768
; %bb.1767:
	global_load_u16 v3, v[0:1], off
	s_wait_loadcnt 0x0
	v_cvt_f16_u16_e32 v7, v3
.LBB159_1768:
	s_mov_b32 s12, 0
.LBB159_1769:
	s_delay_alu instid0(SALU_CYCLE_1)
	s_and_not1_b32 vcc_lo, exec_lo, s12
	s_cbranch_vccnz .LBB159_1777
; %bb.1770:
	global_load_u8 v3, v[0:1], off
	s_mov_b32 s12, 0
	s_mov_b32 s13, exec_lo
	s_wait_loadcnt 0x0
	v_cmpx_lt_i16_e32 0x7f, v3
	s_xor_b32 s13, exec_lo, s13
	s_cbranch_execz .LBB159_1790
; %bb.1771:
	s_mov_b32 s12, -1
	s_mov_b32 s14, exec_lo
	v_cmpx_eq_u16_e32 0x80, v3
; %bb.1772:
	s_xor_b32 s12, exec_lo, -1
; %bb.1773:
	s_or_b32 exec_lo, exec_lo, s14
	s_delay_alu instid0(SALU_CYCLE_1)
	s_and_b32 s12, s12, exec_lo
	s_or_saveexec_b32 s13, s13
	v_mov_b32_e32 v7, 0x7e00
	s_xor_b32 exec_lo, exec_lo, s13
	s_cbranch_execnz .LBB159_1791
.LBB159_1774:
	s_or_b32 exec_lo, exec_lo, s13
	s_and_saveexec_b32 s13, s12
	s_cbranch_execz .LBB159_1776
.LBB159_1775:
	v_and_b32_e32 v5, 0xffff, v3
	s_delay_alu instid0(VALU_DEP_1) | instskip(SKIP_1) | instid1(VALU_DEP_2)
	v_and_b32_e32 v6, 7, v5
	v_bfe_u32 v9, v5, 3, 4
	v_clz_i32_u32_e32 v7, v6
	s_delay_alu instid0(VALU_DEP_2) | instskip(NEXT) | instid1(VALU_DEP_2)
	v_cmp_eq_u32_e32 vcc_lo, 0, v9
	v_min_u32_e32 v7, 32, v7
	s_delay_alu instid0(VALU_DEP_1) | instskip(NEXT) | instid1(VALU_DEP_1)
	v_subrev_nc_u32_e32 v8, 28, v7
	v_dual_lshlrev_b32 v5, v8, v5 :: v_dual_sub_nc_u32 v7, 29, v7
	s_delay_alu instid0(VALU_DEP_1) | instskip(NEXT) | instid1(VALU_DEP_1)
	v_dual_lshlrev_b32 v3, 24, v3 :: v_dual_bitop2_b32 v5, 7, v5 bitop3:0x40
	v_dual_cndmask_b32 v5, v6, v5, vcc_lo :: v_dual_cndmask_b32 v7, v9, v7, vcc_lo
	s_delay_alu instid0(VALU_DEP_2) | instskip(NEXT) | instid1(VALU_DEP_2)
	v_and_b32_e32 v3, 0x80000000, v3
	v_lshlrev_b32_e32 v5, 20, v5
	s_delay_alu instid0(VALU_DEP_3) | instskip(NEXT) | instid1(VALU_DEP_1)
	v_lshl_add_u32 v6, v7, 23, 0x3b800000
	v_or3_b32 v3, v3, v6, v5
	s_delay_alu instid0(VALU_DEP_1)
	v_cvt_f16_f32_e32 v7, v3
.LBB159_1776:
	s_or_b32 exec_lo, exec_lo, s13
.LBB159_1777:
	s_mov_b32 s12, -1
.LBB159_1778:
	s_branch .LBB159_1811
.LBB159_1779:
	s_cmp_gt_i32 s7, 22
	s_cbranch_scc0 .LBB159_1789
; %bb.1780:
	s_cmp_lt_i32 s7, 24
	s_cbranch_scc1 .LBB159_1792
; %bb.1781:
	s_cmp_gt_i32 s7, 24
	s_cbranch_scc0 .LBB159_1793
; %bb.1782:
	global_load_u8 v3, v[0:1], off
	s_mov_b32 s12, exec_lo
	s_wait_loadcnt 0x0
	v_cmpx_lt_i16_e32 0x7f, v3
	s_xor_b32 s12, exec_lo, s12
	s_cbranch_execz .LBB159_1805
; %bb.1783:
	s_mov_b32 s9, -1
	s_mov_b32 s13, exec_lo
	v_cmpx_eq_u16_e32 0x80, v3
; %bb.1784:
	s_xor_b32 s9, exec_lo, -1
; %bb.1785:
	s_or_b32 exec_lo, exec_lo, s13
	s_delay_alu instid0(SALU_CYCLE_1)
	s_and_b32 s9, s9, exec_lo
	s_or_saveexec_b32 s12, s12
	v_mov_b32_e32 v7, 0x7e00
	s_xor_b32 exec_lo, exec_lo, s12
	s_cbranch_execnz .LBB159_1806
.LBB159_1786:
	s_or_b32 exec_lo, exec_lo, s12
	s_and_saveexec_b32 s12, s9
	s_cbranch_execz .LBB159_1788
.LBB159_1787:
	v_and_b32_e32 v5, 0xffff, v3
	s_delay_alu instid0(VALU_DEP_1) | instskip(SKIP_1) | instid1(VALU_DEP_2)
	v_and_b32_e32 v6, 3, v5
	v_bfe_u32 v9, v5, 2, 5
	v_clz_i32_u32_e32 v7, v6
	s_delay_alu instid0(VALU_DEP_2) | instskip(NEXT) | instid1(VALU_DEP_2)
	v_cmp_eq_u32_e32 vcc_lo, 0, v9
	v_min_u32_e32 v7, 32, v7
	s_delay_alu instid0(VALU_DEP_1) | instskip(NEXT) | instid1(VALU_DEP_1)
	v_subrev_nc_u32_e32 v8, 29, v7
	v_dual_lshlrev_b32 v5, v8, v5 :: v_dual_sub_nc_u32 v7, 30, v7
	s_delay_alu instid0(VALU_DEP_1) | instskip(NEXT) | instid1(VALU_DEP_1)
	v_dual_lshlrev_b32 v3, 24, v3 :: v_dual_bitop2_b32 v5, 3, v5 bitop3:0x40
	v_dual_cndmask_b32 v5, v6, v5, vcc_lo :: v_dual_cndmask_b32 v7, v9, v7, vcc_lo
	s_delay_alu instid0(VALU_DEP_2) | instskip(NEXT) | instid1(VALU_DEP_2)
	v_and_b32_e32 v3, 0x80000000, v3
	v_lshlrev_b32_e32 v5, 21, v5
	s_delay_alu instid0(VALU_DEP_3) | instskip(NEXT) | instid1(VALU_DEP_1)
	v_lshl_add_u32 v6, v7, 23, 0x37800000
	v_or3_b32 v3, v3, v6, v5
	s_delay_alu instid0(VALU_DEP_1)
	v_cvt_f16_f32_e32 v7, v3
.LBB159_1788:
	s_or_b32 exec_lo, exec_lo, s12
	s_mov_b32 s9, 0
	s_branch .LBB159_1794
.LBB159_1789:
	s_mov_b32 s9, -1
                                        ; implicit-def: $vgpr7
	s_branch .LBB159_1800
.LBB159_1790:
	s_or_saveexec_b32 s13, s13
	v_mov_b32_e32 v7, 0x7e00
	s_xor_b32 exec_lo, exec_lo, s13
	s_cbranch_execz .LBB159_1774
.LBB159_1791:
	v_cmp_ne_u16_e32 vcc_lo, 0, v3
	v_mov_b32_e32 v7, v3
	s_and_not1_b32 s12, s12, exec_lo
	s_and_b32 s14, vcc_lo, exec_lo
	s_delay_alu instid0(SALU_CYCLE_1)
	s_or_b32 s12, s12, s14
	s_or_b32 exec_lo, exec_lo, s13
	s_and_saveexec_b32 s13, s12
	s_cbranch_execnz .LBB159_1775
	s_branch .LBB159_1776
.LBB159_1792:
	s_mov_b32 s9, -1
                                        ; implicit-def: $vgpr7
	s_branch .LBB159_1797
.LBB159_1793:
	s_mov_b32 s9, -1
                                        ; implicit-def: $vgpr7
.LBB159_1794:
	s_delay_alu instid0(SALU_CYCLE_1)
	s_and_b32 vcc_lo, exec_lo, s9
	s_cbranch_vccz .LBB159_1796
; %bb.1795:
	global_load_u8 v3, v[0:1], off
	s_wait_loadcnt 0x0
	v_lshlrev_b32_e32 v3, 24, v3
	s_delay_alu instid0(VALU_DEP_1) | instskip(NEXT) | instid1(VALU_DEP_1)
	v_and_b32_e32 v5, 0x7f000000, v3
	v_clz_i32_u32_e32 v6, v5
	v_cmp_ne_u32_e32 vcc_lo, 0, v5
	v_add_nc_u32_e32 v8, 0x1000000, v5
	s_delay_alu instid0(VALU_DEP_3) | instskip(NEXT) | instid1(VALU_DEP_1)
	v_min_u32_e32 v6, 32, v6
	v_sub_nc_u32_e64 v6, v6, 4 clamp
	s_delay_alu instid0(VALU_DEP_1) | instskip(NEXT) | instid1(VALU_DEP_1)
	v_dual_lshlrev_b32 v7, v6, v5 :: v_dual_lshlrev_b32 v6, 23, v6
	v_lshrrev_b32_e32 v7, 4, v7
	s_delay_alu instid0(VALU_DEP_1) | instskip(NEXT) | instid1(VALU_DEP_1)
	v_dual_sub_nc_u32 v6, v7, v6 :: v_dual_ashrrev_i32 v7, 8, v8
	v_add_nc_u32_e32 v6, 0x3c000000, v6
	s_delay_alu instid0(VALU_DEP_1) | instskip(NEXT) | instid1(VALU_DEP_1)
	v_and_or_b32 v6, 0x7f800000, v7, v6
	v_cndmask_b32_e32 v5, 0, v6, vcc_lo
	s_delay_alu instid0(VALU_DEP_1) | instskip(NEXT) | instid1(VALU_DEP_1)
	v_and_or_b32 v3, 0x80000000, v3, v5
	v_cvt_f16_f32_e32 v7, v3
.LBB159_1796:
	s_mov_b32 s9, 0
.LBB159_1797:
	s_delay_alu instid0(SALU_CYCLE_1)
	s_and_not1_b32 vcc_lo, exec_lo, s9
	s_cbranch_vccnz .LBB159_1799
; %bb.1798:
	global_load_u8 v3, v[0:1], off
	s_wait_loadcnt 0x0
	v_lshlrev_b32_e32 v5, 25, v3
	v_lshlrev_b16 v3, 8, v3
	s_delay_alu instid0(VALU_DEP_1) | instskip(NEXT) | instid1(VALU_DEP_3)
	v_and_or_b32 v7, 0x7f00, v3, 0.5
	v_lshrrev_b32_e32 v6, 4, v5
	v_bfe_i32 v3, v3, 0, 16
	s_delay_alu instid0(VALU_DEP_3) | instskip(NEXT) | instid1(VALU_DEP_3)
	v_add_f32_e32 v7, -0.5, v7
	v_or_b32_e32 v6, 0x70000000, v6
	s_delay_alu instid0(VALU_DEP_1) | instskip(SKIP_1) | instid1(VALU_DEP_2)
	v_mul_f32_e32 v6, 0x7800000, v6
	v_cmp_gt_u32_e32 vcc_lo, 0x8000000, v5
	v_cndmask_b32_e32 v5, v6, v7, vcc_lo
	s_delay_alu instid0(VALU_DEP_1) | instskip(NEXT) | instid1(VALU_DEP_1)
	v_and_or_b32 v3, 0x80000000, v3, v5
	v_cvt_f16_f32_e32 v7, v3
.LBB159_1799:
	s_mov_b32 s9, 0
	s_mov_b32 s12, -1
.LBB159_1800:
	s_and_not1_b32 vcc_lo, exec_lo, s9
	s_mov_b32 s9, 0
	s_cbranch_vccnz .LBB159_1811
; %bb.1801:
	s_cmp_gt_i32 s7, 14
	s_cbranch_scc0 .LBB159_1804
; %bb.1802:
	s_cmp_eq_u32 s7, 15
	s_cbranch_scc0 .LBB159_1807
; %bb.1803:
	global_load_u16 v3, v[0:1], off
	s_mov_b32 s8, 0
	s_mov_b32 s12, -1
	s_wait_loadcnt 0x0
	v_lshlrev_b32_e32 v3, 16, v3
	s_delay_alu instid0(VALU_DEP_1)
	v_cvt_f16_f32_e32 v7, v3
	s_branch .LBB159_1809
.LBB159_1804:
	s_mov_b32 s9, -1
	s_branch .LBB159_1808
.LBB159_1805:
	s_or_saveexec_b32 s12, s12
	v_mov_b32_e32 v7, 0x7e00
	s_xor_b32 exec_lo, exec_lo, s12
	s_cbranch_execz .LBB159_1786
.LBB159_1806:
	v_cmp_ne_u16_e32 vcc_lo, 0, v3
	v_mov_b32_e32 v7, v3
	s_and_not1_b32 s9, s9, exec_lo
	s_and_b32 s13, vcc_lo, exec_lo
	s_delay_alu instid0(SALU_CYCLE_1)
	s_or_b32 s9, s9, s13
	s_or_b32 exec_lo, exec_lo, s12
	s_and_saveexec_b32 s12, s9
	s_cbranch_execnz .LBB159_1787
	s_branch .LBB159_1788
.LBB159_1807:
	s_mov_b32 s8, -1
.LBB159_1808:
                                        ; implicit-def: $vgpr7
.LBB159_1809:
	s_and_b32 vcc_lo, exec_lo, s9
	s_mov_b32 s9, 0
	s_cbranch_vccz .LBB159_1811
; %bb.1810:
	s_cmp_lg_u32 s7, 11
	s_mov_b32 s9, -1
	s_cselect_b32 s7, -1, 0
	s_and_not1_b32 s8, s8, exec_lo
	s_and_b32 s7, s7, exec_lo
	s_delay_alu instid0(SALU_CYCLE_1)
	s_or_b32 s8, s8, s7
.LBB159_1811:
	s_mov_b32 s13, 0
.LBB159_1812:
	s_and_not1_b32 s14, s47, exec_lo
	s_and_b32 s8, s8, exec_lo
	s_and_b32 s7, s12, exec_lo
	;; [unrolled: 1-line block ×4, first 2 shown]
	s_or_b32 s47, s14, s8
	s_wait_xcnt 0x0
	s_or_b32 exec_lo, exec_lo, s6
	s_and_saveexec_b32 s6, s47
	s_cbranch_execz .LBB159_1741
.LBB159_1813:
	s_or_b32 s1, s1, exec_lo
	s_and_not1_b32 s13, s13, exec_lo
	s_trap 2
	s_or_b32 exec_lo, exec_lo, s6
	s_and_saveexec_b32 s6, s13
	s_delay_alu instid0(SALU_CYCLE_1)
	s_xor_b32 s6, exec_lo, s6
	s_cbranch_execnz .LBB159_1742
.LBB159_1814:
	s_or_b32 exec_lo, exec_lo, s6
	s_and_saveexec_b32 s6, s12
	s_cbranch_execz .LBB159_1860
.LBB159_1815:
	s_sext_i32_i16 s8, s0
	s_delay_alu instid0(SALU_CYCLE_1)
	s_cmp_lt_i32 s8, 5
	s_cbranch_scc1 .LBB159_1820
; %bb.1816:
	s_cmp_lt_i32 s8, 8
	s_cbranch_scc1 .LBB159_1821
; %bb.1817:
	;; [unrolled: 3-line block ×3, first 2 shown]
	s_cmp_gt_i32 s8, 9
	s_cbranch_scc0 .LBB159_1823
; %bb.1819:
	s_wait_loadcnt 0x0
	global_load_b64 v[6:7], v[0:1], off
	s_mov_b32 s8, 0
	s_wait_loadcnt 0x0
	v_and_or_b32 v3, 0x1ff, v7, v6
	v_lshrrev_b32_e32 v5, 8, v7
	v_bfe_u32 v6, v7, 20, 11
	s_delay_alu instid0(VALU_DEP_3) | instskip(NEXT) | instid1(VALU_DEP_2)
	v_cmp_ne_u32_e32 vcc_lo, 0, v3
	v_sub_nc_u32_e32 v8, 0x3f1, v6
	v_add_nc_u32_e32 v6, 0xfffffc10, v6
	v_cndmask_b32_e64 v3, 0, 1, vcc_lo
	s_delay_alu instid0(VALU_DEP_1) | instskip(NEXT) | instid1(VALU_DEP_4)
	v_and_or_b32 v3, 0xffe, v5, v3
	v_med3_i32 v5, v8, 0, 13
	s_delay_alu instid0(VALU_DEP_2) | instskip(NEXT) | instid1(VALU_DEP_1)
	v_or_b32_e32 v8, 0x1000, v3
	v_lshrrev_b32_e32 v9, v5, v8
	s_delay_alu instid0(VALU_DEP_1) | instskip(NEXT) | instid1(VALU_DEP_1)
	v_lshlrev_b32_e32 v5, v5, v9
	v_cmp_ne_u32_e32 vcc_lo, v5, v8
	v_lshl_or_b32 v8, v6, 12, v3
	v_cndmask_b32_e64 v5, 0, 1, vcc_lo
	v_cmp_gt_i32_e32 vcc_lo, 1, v6
	s_delay_alu instid0(VALU_DEP_2) | instskip(NEXT) | instid1(VALU_DEP_1)
	v_or_b32_e32 v5, v9, v5
	v_cndmask_b32_e32 v5, v8, v5, vcc_lo
	s_delay_alu instid0(VALU_DEP_1) | instskip(NEXT) | instid1(VALU_DEP_1)
	v_dual_lshrrev_b32 v5, 2, v5 :: v_dual_bitop2_b32 v8, 7, v5 bitop3:0x40
	v_cmp_lt_i32_e32 vcc_lo, 5, v8
	v_cndmask_b32_e64 v9, 0, 1, vcc_lo
	v_cmp_eq_u32_e32 vcc_lo, 3, v8
	v_cndmask_b32_e64 v8, 0, 1, vcc_lo
	v_cmp_ne_u32_e32 vcc_lo, 0, v3
	s_delay_alu instid0(VALU_DEP_2) | instskip(SKIP_1) | instid1(VALU_DEP_2)
	v_or_b32_e32 v8, v8, v9
	v_mov_b32_e32 v9, 0x7e00
	v_add_nc_u32_e32 v5, v5, v8
	s_delay_alu instid0(VALU_DEP_2) | instskip(SKIP_1) | instid1(VALU_DEP_3)
	v_cndmask_b32_e32 v3, 0x7c00, v9, vcc_lo
	v_cmp_gt_i32_e32 vcc_lo, 31, v6
	v_cndmask_b32_e32 v5, 0x7c00, v5, vcc_lo
	v_cmp_eq_u32_e32 vcc_lo, 0x40f, v6
	s_delay_alu instid0(VALU_DEP_2) | instskip(SKIP_1) | instid1(VALU_DEP_1)
	v_cndmask_b32_e32 v3, v5, v3, vcc_lo
	v_lshrrev_b32_e32 v5, 16, v7
	v_and_or_b32 v7, 0x8000, v5, v3
	s_branch .LBB159_1824
.LBB159_1820:
                                        ; implicit-def: $vgpr7
	s_branch .LBB159_1841
.LBB159_1821:
                                        ; implicit-def: $vgpr7
	s_branch .LBB159_1830
.LBB159_1822:
	s_mov_b32 s8, -1
                                        ; implicit-def: $vgpr7
	s_branch .LBB159_1827
.LBB159_1823:
	s_mov_b32 s8, -1
                                        ; implicit-def: $vgpr7
.LBB159_1824:
	s_delay_alu instid0(SALU_CYCLE_1)
	s_and_not1_b32 vcc_lo, exec_lo, s8
	s_cbranch_vccnz .LBB159_1826
; %bb.1825:
	s_wait_loadcnt 0x0
	global_load_b32 v3, v[0:1], off
	s_wait_loadcnt 0x0
	v_cvt_f16_f32_e32 v7, v3
.LBB159_1826:
	s_mov_b32 s8, 0
.LBB159_1827:
	s_delay_alu instid0(SALU_CYCLE_1)
	s_and_not1_b32 vcc_lo, exec_lo, s8
	s_cbranch_vccnz .LBB159_1829
; %bb.1828:
	s_wait_loadcnt 0x0
	global_load_b32 v7, v[0:1], off
.LBB159_1829:
	s_cbranch_execnz .LBB159_1840
.LBB159_1830:
	s_sext_i32_i16 s8, s0
	s_delay_alu instid0(SALU_CYCLE_1)
	s_cmp_lt_i32 s8, 6
	s_cbranch_scc1 .LBB159_1833
; %bb.1831:
	s_cmp_gt_i32 s8, 6
	s_cbranch_scc0 .LBB159_1834
; %bb.1832:
	s_wait_loadcnt 0x0
	global_load_b64 v[6:7], v[0:1], off
	s_mov_b32 s8, 0
	s_wait_loadcnt 0x0
	v_and_or_b32 v3, 0x1ff, v7, v6
	v_lshrrev_b32_e32 v5, 8, v7
	v_bfe_u32 v6, v7, 20, 11
	s_delay_alu instid0(VALU_DEP_3) | instskip(NEXT) | instid1(VALU_DEP_2)
	v_cmp_ne_u32_e32 vcc_lo, 0, v3
	v_sub_nc_u32_e32 v8, 0x3f1, v6
	v_add_nc_u32_e32 v6, 0xfffffc10, v6
	v_cndmask_b32_e64 v3, 0, 1, vcc_lo
	s_delay_alu instid0(VALU_DEP_1) | instskip(NEXT) | instid1(VALU_DEP_4)
	v_and_or_b32 v3, 0xffe, v5, v3
	v_med3_i32 v5, v8, 0, 13
	s_delay_alu instid0(VALU_DEP_2) | instskip(NEXT) | instid1(VALU_DEP_1)
	v_or_b32_e32 v8, 0x1000, v3
	v_lshrrev_b32_e32 v9, v5, v8
	s_delay_alu instid0(VALU_DEP_1) | instskip(NEXT) | instid1(VALU_DEP_1)
	v_lshlrev_b32_e32 v5, v5, v9
	v_cmp_ne_u32_e32 vcc_lo, v5, v8
	v_lshl_or_b32 v8, v6, 12, v3
	v_cndmask_b32_e64 v5, 0, 1, vcc_lo
	v_cmp_gt_i32_e32 vcc_lo, 1, v6
	s_delay_alu instid0(VALU_DEP_2) | instskip(NEXT) | instid1(VALU_DEP_1)
	v_or_b32_e32 v5, v9, v5
	v_cndmask_b32_e32 v5, v8, v5, vcc_lo
	s_delay_alu instid0(VALU_DEP_1) | instskip(NEXT) | instid1(VALU_DEP_1)
	v_dual_lshrrev_b32 v5, 2, v5 :: v_dual_bitop2_b32 v8, 7, v5 bitop3:0x40
	v_cmp_lt_i32_e32 vcc_lo, 5, v8
	v_cndmask_b32_e64 v9, 0, 1, vcc_lo
	v_cmp_eq_u32_e32 vcc_lo, 3, v8
	v_cndmask_b32_e64 v8, 0, 1, vcc_lo
	v_cmp_ne_u32_e32 vcc_lo, 0, v3
	s_delay_alu instid0(VALU_DEP_2) | instskip(SKIP_1) | instid1(VALU_DEP_2)
	v_or_b32_e32 v8, v8, v9
	v_mov_b32_e32 v9, 0x7e00
	v_add_nc_u32_e32 v5, v5, v8
	s_delay_alu instid0(VALU_DEP_2) | instskip(SKIP_1) | instid1(VALU_DEP_3)
	v_cndmask_b32_e32 v3, 0x7c00, v9, vcc_lo
	v_cmp_gt_i32_e32 vcc_lo, 31, v6
	v_cndmask_b32_e32 v5, 0x7c00, v5, vcc_lo
	v_cmp_eq_u32_e32 vcc_lo, 0x40f, v6
	s_delay_alu instid0(VALU_DEP_2) | instskip(SKIP_1) | instid1(VALU_DEP_1)
	v_cndmask_b32_e32 v3, v5, v3, vcc_lo
	v_lshrrev_b32_e32 v5, 16, v7
	v_and_or_b32 v7, 0x8000, v5, v3
	s_branch .LBB159_1835
.LBB159_1833:
	s_mov_b32 s8, -1
                                        ; implicit-def: $vgpr7
	s_branch .LBB159_1838
.LBB159_1834:
	s_mov_b32 s8, -1
                                        ; implicit-def: $vgpr7
.LBB159_1835:
	s_delay_alu instid0(SALU_CYCLE_1)
	s_and_not1_b32 vcc_lo, exec_lo, s8
	s_cbranch_vccnz .LBB159_1837
; %bb.1836:
	s_wait_loadcnt 0x0
	global_load_b32 v3, v[0:1], off
	s_wait_loadcnt 0x0
	v_cvt_f16_f32_e32 v7, v3
.LBB159_1837:
	s_mov_b32 s8, 0
.LBB159_1838:
	s_delay_alu instid0(SALU_CYCLE_1)
	s_and_not1_b32 vcc_lo, exec_lo, s8
	s_cbranch_vccnz .LBB159_1840
; %bb.1839:
	s_wait_loadcnt 0x0
	global_load_u16 v7, v[0:1], off
.LBB159_1840:
	s_cbranch_execnz .LBB159_1859
.LBB159_1841:
	s_sext_i32_i16 s8, s0
	s_delay_alu instid0(SALU_CYCLE_1)
	s_cmp_lt_i32 s8, 2
	s_cbranch_scc1 .LBB159_1845
; %bb.1842:
	s_cmp_lt_i32 s8, 3
	s_cbranch_scc1 .LBB159_1846
; %bb.1843:
	s_cmp_gt_i32 s8, 3
	s_cbranch_scc0 .LBB159_1847
; %bb.1844:
	s_wait_loadcnt 0x0
	global_load_b64 v[6:7], v[0:1], off
	s_mov_b32 s8, 0
	s_wait_loadcnt 0x0
	v_xor_b32_e32 v3, v6, v7
	v_cls_i32_e32 v5, v7
	s_delay_alu instid0(VALU_DEP_2) | instskip(NEXT) | instid1(VALU_DEP_1)
	v_ashrrev_i32_e32 v3, 31, v3
	v_add_nc_u32_e32 v3, 32, v3
	s_delay_alu instid0(VALU_DEP_1) | instskip(NEXT) | instid1(VALU_DEP_1)
	v_add_min_u32_e64 v3, v5, -1, v3
	v_lshlrev_b64_e32 v[6:7], v3, v[6:7]
	v_sub_nc_u32_e32 v3, 32, v3
	s_delay_alu instid0(VALU_DEP_2) | instskip(NEXT) | instid1(VALU_DEP_1)
	v_min_u32_e32 v5, 1, v6
	v_or_b32_e32 v5, v7, v5
	s_delay_alu instid0(VALU_DEP_1) | instskip(NEXT) | instid1(VALU_DEP_1)
	v_cvt_f32_i32_e32 v5, v5
	v_ldexp_f32 v3, v5, v3
	s_delay_alu instid0(VALU_DEP_1)
	v_cvt_f16_f32_e32 v7, v3
	s_branch .LBB159_1848
.LBB159_1845:
                                        ; implicit-def: $vgpr7
	s_branch .LBB159_1854
.LBB159_1846:
	s_mov_b32 s8, -1
                                        ; implicit-def: $vgpr7
	s_branch .LBB159_1851
.LBB159_1847:
	s_mov_b32 s8, -1
                                        ; implicit-def: $vgpr7
.LBB159_1848:
	s_delay_alu instid0(SALU_CYCLE_1)
	s_and_not1_b32 vcc_lo, exec_lo, s8
	s_cbranch_vccnz .LBB159_1850
; %bb.1849:
	s_wait_loadcnt 0x0
	global_load_b32 v3, v[0:1], off
	s_wait_loadcnt 0x0
	v_cvt_f32_i32_e32 v3, v3
	s_delay_alu instid0(VALU_DEP_1)
	v_cvt_f16_f32_e32 v7, v3
.LBB159_1850:
	s_mov_b32 s8, 0
.LBB159_1851:
	s_delay_alu instid0(SALU_CYCLE_1)
	s_and_not1_b32 vcc_lo, exec_lo, s8
	s_cbranch_vccnz .LBB159_1853
; %bb.1852:
	s_wait_loadcnt 0x0
	global_load_u16 v3, v[0:1], off
	s_wait_loadcnt 0x0
	v_cvt_f16_i16_e32 v7, v3
.LBB159_1853:
	s_cbranch_execnz .LBB159_1859
.LBB159_1854:
	s_sext_i32_i16 s0, s0
	s_delay_alu instid0(SALU_CYCLE_1)
	s_cmp_gt_i32 s0, 0
	s_mov_b32 s0, 0
	s_cbranch_scc0 .LBB159_1856
; %bb.1855:
	s_wait_loadcnt 0x0
	global_load_i8 v3, v[0:1], off
	s_wait_loadcnt 0x0
	v_cvt_f16_i16_e32 v7, v3
	s_branch .LBB159_1857
.LBB159_1856:
	s_mov_b32 s0, -1
                                        ; implicit-def: $vgpr7
.LBB159_1857:
	s_delay_alu instid0(SALU_CYCLE_1)
	s_and_not1_b32 vcc_lo, exec_lo, s0
	s_cbranch_vccnz .LBB159_1859
; %bb.1858:
	s_wait_loadcnt 0x0
	global_load_u8 v0, v[0:1], off
	s_wait_loadcnt 0x0
	v_cvt_f16_u16_e32 v7, v0
.LBB159_1859:
	s_or_b32 s7, s7, exec_lo
.LBB159_1860:
	s_wait_xcnt 0x0
	s_or_b32 exec_lo, exec_lo, s6
	s_mov_b32 s9, 0
	s_mov_b32 s6, 0
	s_mov_b32 s8, 0
                                        ; implicit-def: $vgpr0_vgpr1
                                        ; implicit-def: $vgpr5
	s_and_saveexec_b32 s0, s7
	s_cbranch_execz .LBB159_1868
; %bb.1861:
	v_mov_b32_e32 v5, 0
	s_and_b32 s6, 0xffff, s21
	s_delay_alu instid0(SALU_CYCLE_1) | instskip(SKIP_1) | instid1(VALU_DEP_1)
	s_cmp_lt_i32 s6, 11
	s_wait_loadcnt 0x0
	v_add_nc_u64_e32 v[0:1], s[10:11], v[4:5]
	s_cbranch_scc1 .LBB159_1871
; %bb.1862:
	s_cmp_gt_i32 s6, 25
	s_cbranch_scc0 .LBB159_1872
; %bb.1863:
	s_cmp_gt_i32 s6, 28
	s_cbranch_scc0 .LBB159_1873
	;; [unrolled: 3-line block ×4, first 2 shown]
; %bb.1866:
	s_cmp_eq_u32 s6, 46
	s_mov_b32 s10, 0
	s_cbranch_scc0 .LBB159_1876
; %bb.1867:
	global_load_b32 v3, v[0:1], off
	s_mov_b32 s7, 0
	s_mov_b32 s8, -1
	s_wait_loadcnt 0x0
	v_lshlrev_b32_e32 v3, 16, v3
	s_delay_alu instid0(VALU_DEP_1)
	v_cvt_f16_f32_e32 v5, v3
	s_branch .LBB159_1878
.LBB159_1868:
	s_or_b32 exec_lo, exec_lo, s0
	s_and_saveexec_b32 s0, s46
	s_cbranch_execnz .LBB159_1941
.LBB159_1869:
	s_or_b32 exec_lo, exec_lo, s0
	s_and_saveexec_b32 s0, s9
	s_delay_alu instid0(SALU_CYCLE_1)
	s_xor_b32 s0, exec_lo, s0
	s_cbranch_execz .LBB159_1942
.LBB159_1870:
	s_wait_loadcnt 0x0
	global_load_u8 v3, v[0:1], off
	s_or_b32 s8, s8, exec_lo
	s_wait_loadcnt 0x0
	v_cmp_ne_u16_e32 vcc_lo, 0, v3
	v_cndmask_b32_e64 v5, 0, 0x3c00, vcc_lo
	s_wait_xcnt 0x0
	s_or_b32 exec_lo, exec_lo, s0
	s_and_saveexec_b32 s0, s6
	s_cbranch_execz .LBB159_1988
	s_branch .LBB159_1943
.LBB159_1871:
	s_mov_b32 s6, -1
	s_mov_b32 s7, s46
                                        ; implicit-def: $vgpr5
	s_branch .LBB159_1940
.LBB159_1872:
	s_mov_b32 s7, s46
                                        ; implicit-def: $vgpr5
	s_cbranch_execnz .LBB159_1907
	s_branch .LBB159_1939
.LBB159_1873:
	s_mov_b32 s10, -1
	s_mov_b32 s7, s46
                                        ; implicit-def: $vgpr5
	s_branch .LBB159_1888
.LBB159_1874:
	s_mov_b32 s10, -1
	s_mov_b32 s7, s46
                                        ; implicit-def: $vgpr5
	s_branch .LBB159_1883
.LBB159_1875:
	s_mov_b32 s10, -1
	s_mov_b32 s7, s46
	s_branch .LBB159_1877
.LBB159_1876:
	s_mov_b32 s7, -1
.LBB159_1877:
                                        ; implicit-def: $vgpr5
.LBB159_1878:
	s_and_b32 vcc_lo, exec_lo, s10
	s_cbranch_vccz .LBB159_1882
; %bb.1879:
	s_cmp_eq_u32 s6, 44
	s_cbranch_scc0 .LBB159_1881
; %bb.1880:
	global_load_u8 v3, v[0:1], off
	s_mov_b32 s7, 0
	s_mov_b32 s8, -1
	s_wait_loadcnt 0x0
	v_lshlrev_b32_e32 v4, 23, v3
	v_cmp_ne_u32_e32 vcc_lo, 0xff, v3
	s_delay_alu instid0(VALU_DEP_2) | instskip(NEXT) | instid1(VALU_DEP_1)
	v_cvt_f16_f32_e32 v4, v4
	v_cndmask_b32_e32 v4, 0x7e00, v4, vcc_lo
	v_cmp_ne_u32_e32 vcc_lo, 0, v3
	s_delay_alu instid0(VALU_DEP_2)
	v_cndmask_b32_e32 v5, 0, v4, vcc_lo
	s_branch .LBB159_1882
.LBB159_1881:
	s_mov_b32 s7, -1
                                        ; implicit-def: $vgpr5
.LBB159_1882:
	s_mov_b32 s10, 0
.LBB159_1883:
	s_delay_alu instid0(SALU_CYCLE_1)
	s_and_b32 vcc_lo, exec_lo, s10
	s_cbranch_vccz .LBB159_1887
; %bb.1884:
	s_cmp_eq_u32 s6, 29
	s_cbranch_scc0 .LBB159_1886
; %bb.1885:
	global_load_b64 v[4:5], v[0:1], off
	s_mov_b32 s7, 0
	s_mov_b32 s8, -1
	s_mov_b32 s10, 0
	s_wait_loadcnt 0x0
	v_clz_i32_u32_e32 v3, v5
	s_delay_alu instid0(VALU_DEP_1) | instskip(NEXT) | instid1(VALU_DEP_1)
	v_min_u32_e32 v3, 32, v3
	v_lshlrev_b64_e32 v[4:5], v3, v[4:5]
	v_sub_nc_u32_e32 v3, 32, v3
	s_delay_alu instid0(VALU_DEP_2) | instskip(NEXT) | instid1(VALU_DEP_1)
	v_min_u32_e32 v4, 1, v4
	v_or_b32_e32 v4, v5, v4
	s_delay_alu instid0(VALU_DEP_1) | instskip(NEXT) | instid1(VALU_DEP_1)
	v_cvt_f32_u32_e32 v4, v4
	v_ldexp_f32 v3, v4, v3
	s_delay_alu instid0(VALU_DEP_1)
	v_cvt_f16_f32_e32 v5, v3
	s_branch .LBB159_1888
.LBB159_1886:
	s_mov_b32 s7, -1
                                        ; implicit-def: $vgpr5
.LBB159_1887:
	s_mov_b32 s10, 0
.LBB159_1888:
	s_delay_alu instid0(SALU_CYCLE_1)
	s_and_b32 vcc_lo, exec_lo, s10
	s_cbranch_vccz .LBB159_1906
; %bb.1889:
	s_cmp_lt_i32 s6, 27
	s_cbranch_scc1 .LBB159_1892
; %bb.1890:
	s_cmp_gt_i32 s6, 27
	s_cbranch_scc0 .LBB159_1893
; %bb.1891:
	global_load_b32 v3, v[0:1], off
	s_mov_b32 s8, 0
	s_wait_loadcnt 0x0
	v_cvt_f32_u32_e32 v3, v3
	s_delay_alu instid0(VALU_DEP_1)
	v_cvt_f16_f32_e32 v5, v3
	s_branch .LBB159_1894
.LBB159_1892:
	s_mov_b32 s8, -1
                                        ; implicit-def: $vgpr5
	s_branch .LBB159_1897
.LBB159_1893:
	s_mov_b32 s8, -1
                                        ; implicit-def: $vgpr5
.LBB159_1894:
	s_delay_alu instid0(SALU_CYCLE_1)
	s_and_not1_b32 vcc_lo, exec_lo, s8
	s_cbranch_vccnz .LBB159_1896
; %bb.1895:
	global_load_u16 v3, v[0:1], off
	s_wait_loadcnt 0x0
	v_cvt_f16_u16_e32 v5, v3
.LBB159_1896:
	s_mov_b32 s8, 0
.LBB159_1897:
	s_delay_alu instid0(SALU_CYCLE_1)
	s_and_not1_b32 vcc_lo, exec_lo, s8
	s_cbranch_vccnz .LBB159_1905
; %bb.1898:
	global_load_u8 v3, v[0:1], off
	s_mov_b32 s8, 0
	s_mov_b32 s10, exec_lo
	s_wait_loadcnt 0x0
	v_cmpx_lt_i16_e32 0x7f, v3
	s_xor_b32 s10, exec_lo, s10
	s_cbranch_execz .LBB159_1918
; %bb.1899:
	s_mov_b32 s8, -1
	s_mov_b32 s11, exec_lo
	v_cmpx_eq_u16_e32 0x80, v3
; %bb.1900:
	s_xor_b32 s8, exec_lo, -1
; %bb.1901:
	s_or_b32 exec_lo, exec_lo, s11
	s_delay_alu instid0(SALU_CYCLE_1)
	s_and_b32 s8, s8, exec_lo
	s_or_saveexec_b32 s10, s10
	v_mov_b32_e32 v5, 0x7e00
	s_xor_b32 exec_lo, exec_lo, s10
	s_cbranch_execnz .LBB159_1919
.LBB159_1902:
	s_or_b32 exec_lo, exec_lo, s10
	s_and_saveexec_b32 s10, s8
	s_cbranch_execz .LBB159_1904
.LBB159_1903:
	v_and_b32_e32 v4, 0xffff, v3
	s_delay_alu instid0(VALU_DEP_1) | instskip(SKIP_1) | instid1(VALU_DEP_2)
	v_and_b32_e32 v5, 7, v4
	v_bfe_u32 v9, v4, 3, 4
	v_clz_i32_u32_e32 v6, v5
	s_delay_alu instid0(VALU_DEP_2) | instskip(NEXT) | instid1(VALU_DEP_2)
	v_cmp_eq_u32_e32 vcc_lo, 0, v9
	v_min_u32_e32 v6, 32, v6
	s_delay_alu instid0(VALU_DEP_1) | instskip(NEXT) | instid1(VALU_DEP_1)
	v_subrev_nc_u32_e32 v8, 28, v6
	v_dual_lshlrev_b32 v4, v8, v4 :: v_dual_sub_nc_u32 v6, 29, v6
	s_delay_alu instid0(VALU_DEP_1) | instskip(NEXT) | instid1(VALU_DEP_2)
	v_dual_lshlrev_b32 v3, 24, v3 :: v_dual_bitop2_b32 v4, 7, v4 bitop3:0x40
	v_cndmask_b32_e32 v6, v9, v6, vcc_lo
	s_delay_alu instid0(VALU_DEP_2) | instskip(NEXT) | instid1(VALU_DEP_3)
	v_cndmask_b32_e32 v4, v5, v4, vcc_lo
	v_and_b32_e32 v3, 0x80000000, v3
	s_delay_alu instid0(VALU_DEP_3) | instskip(NEXT) | instid1(VALU_DEP_3)
	v_lshl_add_u32 v5, v6, 23, 0x3b800000
	v_lshlrev_b32_e32 v4, 20, v4
	s_delay_alu instid0(VALU_DEP_1) | instskip(NEXT) | instid1(VALU_DEP_1)
	v_or3_b32 v3, v3, v5, v4
	v_cvt_f16_f32_e32 v5, v3
.LBB159_1904:
	s_or_b32 exec_lo, exec_lo, s10
.LBB159_1905:
	s_mov_b32 s8, -1
.LBB159_1906:
	s_branch .LBB159_1939
.LBB159_1907:
	s_cmp_gt_i32 s6, 22
	s_cbranch_scc0 .LBB159_1917
; %bb.1908:
	s_cmp_lt_i32 s6, 24
	s_cbranch_scc1 .LBB159_1920
; %bb.1909:
	s_cmp_gt_i32 s6, 24
	s_cbranch_scc0 .LBB159_1921
; %bb.1910:
	global_load_u8 v3, v[0:1], off
	s_mov_b32 s8, 0
	s_mov_b32 s9, exec_lo
	s_wait_loadcnt 0x0
	v_cmpx_lt_i16_e32 0x7f, v3
	s_xor_b32 s9, exec_lo, s9
	s_cbranch_execz .LBB159_1933
; %bb.1911:
	s_mov_b32 s8, -1
	s_mov_b32 s10, exec_lo
	v_cmpx_eq_u16_e32 0x80, v3
; %bb.1912:
	s_xor_b32 s8, exec_lo, -1
; %bb.1913:
	s_or_b32 exec_lo, exec_lo, s10
	s_delay_alu instid0(SALU_CYCLE_1)
	s_and_b32 s8, s8, exec_lo
	s_or_saveexec_b32 s9, s9
	v_mov_b32_e32 v5, 0x7e00
	s_xor_b32 exec_lo, exec_lo, s9
	s_cbranch_execnz .LBB159_1934
.LBB159_1914:
	s_or_b32 exec_lo, exec_lo, s9
	s_and_saveexec_b32 s9, s8
	s_cbranch_execz .LBB159_1916
.LBB159_1915:
	v_and_b32_e32 v4, 0xffff, v3
	s_delay_alu instid0(VALU_DEP_1) | instskip(SKIP_1) | instid1(VALU_DEP_2)
	v_and_b32_e32 v5, 3, v4
	v_bfe_u32 v9, v4, 2, 5
	v_clz_i32_u32_e32 v6, v5
	s_delay_alu instid0(VALU_DEP_2) | instskip(NEXT) | instid1(VALU_DEP_2)
	v_cmp_eq_u32_e32 vcc_lo, 0, v9
	v_min_u32_e32 v6, 32, v6
	s_delay_alu instid0(VALU_DEP_1) | instskip(NEXT) | instid1(VALU_DEP_1)
	v_subrev_nc_u32_e32 v8, 29, v6
	v_dual_lshlrev_b32 v4, v8, v4 :: v_dual_sub_nc_u32 v6, 30, v6
	s_delay_alu instid0(VALU_DEP_1) | instskip(NEXT) | instid1(VALU_DEP_2)
	v_dual_lshlrev_b32 v3, 24, v3 :: v_dual_bitop2_b32 v4, 3, v4 bitop3:0x40
	v_cndmask_b32_e32 v6, v9, v6, vcc_lo
	s_delay_alu instid0(VALU_DEP_2) | instskip(NEXT) | instid1(VALU_DEP_3)
	v_cndmask_b32_e32 v4, v5, v4, vcc_lo
	v_and_b32_e32 v3, 0x80000000, v3
	s_delay_alu instid0(VALU_DEP_3) | instskip(NEXT) | instid1(VALU_DEP_3)
	v_lshl_add_u32 v5, v6, 23, 0x37800000
	v_lshlrev_b32_e32 v4, 21, v4
	s_delay_alu instid0(VALU_DEP_1) | instskip(NEXT) | instid1(VALU_DEP_1)
	v_or3_b32 v3, v3, v5, v4
	v_cvt_f16_f32_e32 v5, v3
.LBB159_1916:
	s_or_b32 exec_lo, exec_lo, s9
	s_mov_b32 s8, 0
	s_branch .LBB159_1922
.LBB159_1917:
	s_mov_b32 s9, -1
                                        ; implicit-def: $vgpr5
	s_branch .LBB159_1928
.LBB159_1918:
	s_or_saveexec_b32 s10, s10
	v_mov_b32_e32 v5, 0x7e00
	s_xor_b32 exec_lo, exec_lo, s10
	s_cbranch_execz .LBB159_1902
.LBB159_1919:
	v_cmp_ne_u16_e32 vcc_lo, 0, v3
	v_mov_b32_e32 v5, v3
	s_and_not1_b32 s8, s8, exec_lo
	s_and_b32 s11, vcc_lo, exec_lo
	s_delay_alu instid0(SALU_CYCLE_1)
	s_or_b32 s8, s8, s11
	s_or_b32 exec_lo, exec_lo, s10
	s_and_saveexec_b32 s10, s8
	s_cbranch_execnz .LBB159_1903
	s_branch .LBB159_1904
.LBB159_1920:
	s_mov_b32 s8, -1
                                        ; implicit-def: $vgpr5
	s_branch .LBB159_1925
.LBB159_1921:
	s_mov_b32 s8, -1
                                        ; implicit-def: $vgpr5
.LBB159_1922:
	s_delay_alu instid0(SALU_CYCLE_1)
	s_and_b32 vcc_lo, exec_lo, s8
	s_cbranch_vccz .LBB159_1924
; %bb.1923:
	global_load_u8 v3, v[0:1], off
	s_wait_loadcnt 0x0
	v_lshlrev_b32_e32 v3, 24, v3
	s_delay_alu instid0(VALU_DEP_1) | instskip(NEXT) | instid1(VALU_DEP_1)
	v_and_b32_e32 v4, 0x7f000000, v3
	v_clz_i32_u32_e32 v5, v4
	v_add_nc_u32_e32 v8, 0x1000000, v4
	v_cmp_ne_u32_e32 vcc_lo, 0, v4
	s_delay_alu instid0(VALU_DEP_3) | instskip(NEXT) | instid1(VALU_DEP_1)
	v_min_u32_e32 v5, 32, v5
	v_sub_nc_u32_e64 v5, v5, 4 clamp
	s_delay_alu instid0(VALU_DEP_1) | instskip(NEXT) | instid1(VALU_DEP_1)
	v_dual_lshlrev_b32 v6, v5, v4 :: v_dual_lshlrev_b32 v5, 23, v5
	v_lshrrev_b32_e32 v6, 4, v6
	s_delay_alu instid0(VALU_DEP_1) | instskip(NEXT) | instid1(VALU_DEP_1)
	v_dual_sub_nc_u32 v5, v6, v5 :: v_dual_ashrrev_i32 v6, 8, v8
	v_add_nc_u32_e32 v5, 0x3c000000, v5
	s_delay_alu instid0(VALU_DEP_1) | instskip(NEXT) | instid1(VALU_DEP_1)
	v_and_or_b32 v5, 0x7f800000, v6, v5
	v_cndmask_b32_e32 v4, 0, v5, vcc_lo
	s_delay_alu instid0(VALU_DEP_1) | instskip(NEXT) | instid1(VALU_DEP_1)
	v_and_or_b32 v3, 0x80000000, v3, v4
	v_cvt_f16_f32_e32 v5, v3
.LBB159_1924:
	s_mov_b32 s8, 0
.LBB159_1925:
	s_delay_alu instid0(SALU_CYCLE_1)
	s_and_not1_b32 vcc_lo, exec_lo, s8
	s_cbranch_vccnz .LBB159_1927
; %bb.1926:
	global_load_u8 v3, v[0:1], off
	s_wait_loadcnt 0x0
	v_lshlrev_b32_e32 v4, 25, v3
	v_lshlrev_b16 v3, 8, v3
	s_delay_alu instid0(VALU_DEP_1) | instskip(SKIP_1) | instid1(VALU_DEP_2)
	v_and_or_b32 v6, 0x7f00, v3, 0.5
	v_bfe_i32 v3, v3, 0, 16
	v_dual_add_f32 v6, -0.5, v6 :: v_dual_lshrrev_b32 v5, 4, v4
	v_cmp_gt_u32_e32 vcc_lo, 0x8000000, v4
	s_delay_alu instid0(VALU_DEP_2) | instskip(NEXT) | instid1(VALU_DEP_1)
	v_or_b32_e32 v5, 0x70000000, v5
	v_mul_f32_e32 v5, 0x7800000, v5
	s_delay_alu instid0(VALU_DEP_1) | instskip(NEXT) | instid1(VALU_DEP_1)
	v_cndmask_b32_e32 v4, v5, v6, vcc_lo
	v_and_or_b32 v3, 0x80000000, v3, v4
	s_delay_alu instid0(VALU_DEP_1)
	v_cvt_f16_f32_e32 v5, v3
.LBB159_1927:
	s_mov_b32 s9, 0
	s_mov_b32 s8, -1
.LBB159_1928:
	s_and_not1_b32 vcc_lo, exec_lo, s9
	s_mov_b32 s9, 0
	s_cbranch_vccnz .LBB159_1939
; %bb.1929:
	s_cmp_gt_i32 s6, 14
	s_cbranch_scc0 .LBB159_1932
; %bb.1930:
	s_cmp_eq_u32 s6, 15
	s_cbranch_scc0 .LBB159_1935
; %bb.1931:
	global_load_u16 v3, v[0:1], off
	s_mov_b32 s7, 0
	s_mov_b32 s8, -1
	s_wait_loadcnt 0x0
	v_lshlrev_b32_e32 v3, 16, v3
	s_delay_alu instid0(VALU_DEP_1)
	v_cvt_f16_f32_e32 v5, v3
	s_branch .LBB159_1937
.LBB159_1932:
	s_mov_b32 s9, -1
	s_branch .LBB159_1936
.LBB159_1933:
	s_or_saveexec_b32 s9, s9
	v_mov_b32_e32 v5, 0x7e00
	s_xor_b32 exec_lo, exec_lo, s9
	s_cbranch_execz .LBB159_1914
.LBB159_1934:
	v_cmp_ne_u16_e32 vcc_lo, 0, v3
	v_mov_b32_e32 v5, v3
	s_and_not1_b32 s8, s8, exec_lo
	s_and_b32 s10, vcc_lo, exec_lo
	s_delay_alu instid0(SALU_CYCLE_1)
	s_or_b32 s8, s8, s10
	s_or_b32 exec_lo, exec_lo, s9
	s_and_saveexec_b32 s9, s8
	s_cbranch_execnz .LBB159_1915
	s_branch .LBB159_1916
.LBB159_1935:
	s_mov_b32 s7, -1
.LBB159_1936:
                                        ; implicit-def: $vgpr5
.LBB159_1937:
	s_and_b32 vcc_lo, exec_lo, s9
	s_mov_b32 s9, 0
	s_cbranch_vccz .LBB159_1939
; %bb.1938:
	s_cmp_lg_u32 s6, 11
	s_mov_b32 s9, -1
	s_cselect_b32 s6, -1, 0
	s_and_not1_b32 s7, s7, exec_lo
	s_and_b32 s6, s6, exec_lo
	s_delay_alu instid0(SALU_CYCLE_1)
	s_or_b32 s7, s7, s6
.LBB159_1939:
	s_mov_b32 s6, 0
.LBB159_1940:
	s_and_not1_b32 s10, s46, exec_lo
	s_and_b32 s7, s7, exec_lo
	s_and_b32 s8, s8, exec_lo
	s_and_b32 s6, s6, exec_lo
	s_and_b32 s9, s9, exec_lo
	s_or_b32 s46, s10, s7
	s_wait_xcnt 0x0
	s_or_b32 exec_lo, exec_lo, s0
	s_and_saveexec_b32 s0, s46
	s_cbranch_execz .LBB159_1869
.LBB159_1941:
	s_or_b32 s1, s1, exec_lo
	s_and_not1_b32 s9, s9, exec_lo
	s_trap 2
	s_or_b32 exec_lo, exec_lo, s0
	s_and_saveexec_b32 s0, s9
	s_delay_alu instid0(SALU_CYCLE_1)
	s_xor_b32 s0, exec_lo, s0
	s_cbranch_execnz .LBB159_1870
.LBB159_1942:
	s_or_b32 exec_lo, exec_lo, s0
	s_and_saveexec_b32 s0, s6
	s_cbranch_execz .LBB159_1988
.LBB159_1943:
	s_sext_i32_i16 s6, s21
	s_delay_alu instid0(SALU_CYCLE_1)
	s_cmp_lt_i32 s6, 5
	s_cbranch_scc1 .LBB159_1948
; %bb.1944:
	s_cmp_lt_i32 s6, 8
	s_cbranch_scc1 .LBB159_1949
; %bb.1945:
	;; [unrolled: 3-line block ×3, first 2 shown]
	s_cmp_gt_i32 s6, 9
	s_cbranch_scc0 .LBB159_1951
; %bb.1947:
	s_wait_loadcnt 0x0
	global_load_b64 v[4:5], v[0:1], off
	s_mov_b32 s6, 0
	s_wait_loadcnt 0x0
	v_and_or_b32 v3, 0x1ff, v5, v4
	v_lshrrev_b32_e32 v4, 8, v5
	v_bfe_u32 v6, v5, 20, 11
	s_delay_alu instid0(VALU_DEP_3) | instskip(NEXT) | instid1(VALU_DEP_2)
	v_cmp_ne_u32_e32 vcc_lo, 0, v3
	v_sub_nc_u32_e32 v8, 0x3f1, v6
	v_add_nc_u32_e32 v6, 0xfffffc10, v6
	v_cndmask_b32_e64 v3, 0, 1, vcc_lo
	s_delay_alu instid0(VALU_DEP_1) | instskip(NEXT) | instid1(VALU_DEP_4)
	v_and_or_b32 v3, 0xffe, v4, v3
	v_med3_i32 v4, v8, 0, 13
	s_delay_alu instid0(VALU_DEP_2) | instskip(NEXT) | instid1(VALU_DEP_1)
	v_or_b32_e32 v8, 0x1000, v3
	v_lshrrev_b32_e32 v9, v4, v8
	s_delay_alu instid0(VALU_DEP_1) | instskip(NEXT) | instid1(VALU_DEP_1)
	v_lshlrev_b32_e32 v4, v4, v9
	v_cmp_ne_u32_e32 vcc_lo, v4, v8
	v_lshl_or_b32 v8, v6, 12, v3
	v_cndmask_b32_e64 v4, 0, 1, vcc_lo
	v_cmp_gt_i32_e32 vcc_lo, 1, v6
	s_delay_alu instid0(VALU_DEP_2) | instskip(NEXT) | instid1(VALU_DEP_1)
	v_or_b32_e32 v4, v9, v4
	v_cndmask_b32_e32 v4, v8, v4, vcc_lo
	s_delay_alu instid0(VALU_DEP_1) | instskip(NEXT) | instid1(VALU_DEP_1)
	v_and_b32_e32 v8, 7, v4
	v_cmp_lt_i32_e32 vcc_lo, 5, v8
	v_cndmask_b32_e64 v9, 0, 1, vcc_lo
	v_cmp_eq_u32_e32 vcc_lo, 3, v8
	v_cndmask_b32_e64 v8, 0, 1, vcc_lo
	v_cmp_ne_u32_e32 vcc_lo, 0, v3
	s_delay_alu instid0(VALU_DEP_2) | instskip(NEXT) | instid1(VALU_DEP_1)
	v_dual_lshrrev_b32 v4, 2, v4 :: v_dual_bitop2_b32 v8, v8, v9 bitop3:0x54
	v_dual_mov_b32 v9, 0x7e00 :: v_dual_add_nc_u32 v4, v4, v8
	s_delay_alu instid0(VALU_DEP_1) | instskip(SKIP_1) | instid1(VALU_DEP_3)
	v_cndmask_b32_e32 v3, 0x7c00, v9, vcc_lo
	v_cmp_gt_i32_e32 vcc_lo, 31, v6
	v_cndmask_b32_e32 v4, 0x7c00, v4, vcc_lo
	v_cmp_eq_u32_e32 vcc_lo, 0x40f, v6
	s_delay_alu instid0(VALU_DEP_2) | instskip(NEXT) | instid1(VALU_DEP_1)
	v_dual_cndmask_b32 v3, v4, v3 :: v_dual_lshrrev_b32 v4, 16, v5
	v_and_or_b32 v5, 0x8000, v4, v3
	s_branch .LBB159_1952
.LBB159_1948:
                                        ; implicit-def: $vgpr5
	s_branch .LBB159_1969
.LBB159_1949:
                                        ; implicit-def: $vgpr5
	s_branch .LBB159_1958
.LBB159_1950:
	s_mov_b32 s6, -1
                                        ; implicit-def: $vgpr5
	s_branch .LBB159_1955
.LBB159_1951:
	s_mov_b32 s6, -1
                                        ; implicit-def: $vgpr5
.LBB159_1952:
	s_delay_alu instid0(SALU_CYCLE_1)
	s_and_not1_b32 vcc_lo, exec_lo, s6
	s_cbranch_vccnz .LBB159_1954
; %bb.1953:
	s_wait_loadcnt 0x0
	global_load_b32 v3, v[0:1], off
	s_wait_loadcnt 0x0
	v_cvt_f16_f32_e32 v5, v3
.LBB159_1954:
	s_mov_b32 s6, 0
.LBB159_1955:
	s_delay_alu instid0(SALU_CYCLE_1)
	s_and_not1_b32 vcc_lo, exec_lo, s6
	s_cbranch_vccnz .LBB159_1957
; %bb.1956:
	s_wait_loadcnt 0x0
	global_load_b32 v5, v[0:1], off
.LBB159_1957:
	s_cbranch_execnz .LBB159_1968
.LBB159_1958:
	s_sext_i32_i16 s6, s21
	s_delay_alu instid0(SALU_CYCLE_1)
	s_cmp_lt_i32 s6, 6
	s_cbranch_scc1 .LBB159_1961
; %bb.1959:
	s_cmp_gt_i32 s6, 6
	s_cbranch_scc0 .LBB159_1962
; %bb.1960:
	s_wait_loadcnt 0x0
	global_load_b64 v[4:5], v[0:1], off
	s_mov_b32 s6, 0
	s_wait_loadcnt 0x0
	v_and_or_b32 v3, 0x1ff, v5, v4
	v_lshrrev_b32_e32 v4, 8, v5
	v_bfe_u32 v6, v5, 20, 11
	s_delay_alu instid0(VALU_DEP_3) | instskip(NEXT) | instid1(VALU_DEP_2)
	v_cmp_ne_u32_e32 vcc_lo, 0, v3
	v_sub_nc_u32_e32 v8, 0x3f1, v6
	v_add_nc_u32_e32 v6, 0xfffffc10, v6
	v_cndmask_b32_e64 v3, 0, 1, vcc_lo
	s_delay_alu instid0(VALU_DEP_1) | instskip(NEXT) | instid1(VALU_DEP_4)
	v_and_or_b32 v3, 0xffe, v4, v3
	v_med3_i32 v4, v8, 0, 13
	s_delay_alu instid0(VALU_DEP_2) | instskip(NEXT) | instid1(VALU_DEP_1)
	v_or_b32_e32 v8, 0x1000, v3
	v_lshrrev_b32_e32 v9, v4, v8
	s_delay_alu instid0(VALU_DEP_1) | instskip(NEXT) | instid1(VALU_DEP_1)
	v_lshlrev_b32_e32 v4, v4, v9
	v_cmp_ne_u32_e32 vcc_lo, v4, v8
	v_lshl_or_b32 v8, v6, 12, v3
	v_cndmask_b32_e64 v4, 0, 1, vcc_lo
	v_cmp_gt_i32_e32 vcc_lo, 1, v6
	s_delay_alu instid0(VALU_DEP_2) | instskip(NEXT) | instid1(VALU_DEP_1)
	v_or_b32_e32 v4, v9, v4
	v_cndmask_b32_e32 v4, v8, v4, vcc_lo
	s_delay_alu instid0(VALU_DEP_1) | instskip(NEXT) | instid1(VALU_DEP_1)
	v_and_b32_e32 v8, 7, v4
	v_cmp_lt_i32_e32 vcc_lo, 5, v8
	v_cndmask_b32_e64 v9, 0, 1, vcc_lo
	v_cmp_eq_u32_e32 vcc_lo, 3, v8
	v_cndmask_b32_e64 v8, 0, 1, vcc_lo
	v_cmp_ne_u32_e32 vcc_lo, 0, v3
	s_delay_alu instid0(VALU_DEP_2) | instskip(NEXT) | instid1(VALU_DEP_1)
	v_dual_lshrrev_b32 v4, 2, v4 :: v_dual_bitop2_b32 v8, v8, v9 bitop3:0x54
	v_dual_mov_b32 v9, 0x7e00 :: v_dual_add_nc_u32 v4, v4, v8
	s_delay_alu instid0(VALU_DEP_1) | instskip(SKIP_1) | instid1(VALU_DEP_3)
	v_cndmask_b32_e32 v3, 0x7c00, v9, vcc_lo
	v_cmp_gt_i32_e32 vcc_lo, 31, v6
	v_cndmask_b32_e32 v4, 0x7c00, v4, vcc_lo
	v_cmp_eq_u32_e32 vcc_lo, 0x40f, v6
	s_delay_alu instid0(VALU_DEP_2) | instskip(NEXT) | instid1(VALU_DEP_1)
	v_dual_cndmask_b32 v3, v4, v3 :: v_dual_lshrrev_b32 v4, 16, v5
	v_and_or_b32 v5, 0x8000, v4, v3
	s_branch .LBB159_1963
.LBB159_1961:
	s_mov_b32 s6, -1
                                        ; implicit-def: $vgpr5
	s_branch .LBB159_1966
.LBB159_1962:
	s_mov_b32 s6, -1
                                        ; implicit-def: $vgpr5
.LBB159_1963:
	s_delay_alu instid0(SALU_CYCLE_1)
	s_and_not1_b32 vcc_lo, exec_lo, s6
	s_cbranch_vccnz .LBB159_1965
; %bb.1964:
	s_wait_loadcnt 0x0
	global_load_b32 v3, v[0:1], off
	s_wait_loadcnt 0x0
	v_cvt_f16_f32_e32 v5, v3
.LBB159_1965:
	s_mov_b32 s6, 0
.LBB159_1966:
	s_delay_alu instid0(SALU_CYCLE_1)
	s_and_not1_b32 vcc_lo, exec_lo, s6
	s_cbranch_vccnz .LBB159_1968
; %bb.1967:
	s_wait_loadcnt 0x0
	global_load_u16 v5, v[0:1], off
.LBB159_1968:
	s_cbranch_execnz .LBB159_1987
.LBB159_1969:
	s_sext_i32_i16 s6, s21
	s_delay_alu instid0(SALU_CYCLE_1)
	s_cmp_lt_i32 s6, 2
	s_cbranch_scc1 .LBB159_1973
; %bb.1970:
	s_cmp_lt_i32 s6, 3
	s_cbranch_scc1 .LBB159_1974
; %bb.1971:
	s_cmp_gt_i32 s6, 3
	s_cbranch_scc0 .LBB159_1975
; %bb.1972:
	s_wait_loadcnt 0x0
	global_load_b64 v[4:5], v[0:1], off
	s_mov_b32 s6, 0
	s_wait_loadcnt 0x0
	v_xor_b32_e32 v3, v4, v5
	v_cls_i32_e32 v6, v5
	s_delay_alu instid0(VALU_DEP_2) | instskip(NEXT) | instid1(VALU_DEP_1)
	v_ashrrev_i32_e32 v3, 31, v3
	v_add_nc_u32_e32 v3, 32, v3
	s_delay_alu instid0(VALU_DEP_1) | instskip(NEXT) | instid1(VALU_DEP_1)
	v_add_min_u32_e64 v3, v6, -1, v3
	v_lshlrev_b64_e32 v[4:5], v3, v[4:5]
	v_sub_nc_u32_e32 v3, 32, v3
	s_delay_alu instid0(VALU_DEP_2) | instskip(NEXT) | instid1(VALU_DEP_1)
	v_min_u32_e32 v4, 1, v4
	v_or_b32_e32 v4, v5, v4
	s_delay_alu instid0(VALU_DEP_1) | instskip(NEXT) | instid1(VALU_DEP_1)
	v_cvt_f32_i32_e32 v4, v4
	v_ldexp_f32 v3, v4, v3
	s_delay_alu instid0(VALU_DEP_1)
	v_cvt_f16_f32_e32 v5, v3
	s_branch .LBB159_1976
.LBB159_1973:
                                        ; implicit-def: $vgpr5
	s_branch .LBB159_1982
.LBB159_1974:
	s_mov_b32 s6, -1
                                        ; implicit-def: $vgpr5
	s_branch .LBB159_1979
.LBB159_1975:
	s_mov_b32 s6, -1
                                        ; implicit-def: $vgpr5
.LBB159_1976:
	s_delay_alu instid0(SALU_CYCLE_1)
	s_and_not1_b32 vcc_lo, exec_lo, s6
	s_cbranch_vccnz .LBB159_1978
; %bb.1977:
	s_wait_loadcnt 0x0
	global_load_b32 v3, v[0:1], off
	s_wait_loadcnt 0x0
	v_cvt_f32_i32_e32 v3, v3
	s_delay_alu instid0(VALU_DEP_1)
	v_cvt_f16_f32_e32 v5, v3
.LBB159_1978:
	s_mov_b32 s6, 0
.LBB159_1979:
	s_delay_alu instid0(SALU_CYCLE_1)
	s_and_not1_b32 vcc_lo, exec_lo, s6
	s_cbranch_vccnz .LBB159_1981
; %bb.1980:
	s_wait_loadcnt 0x0
	global_load_u16 v3, v[0:1], off
	s_wait_loadcnt 0x0
	v_cvt_f16_i16_e32 v5, v3
.LBB159_1981:
	s_cbranch_execnz .LBB159_1987
.LBB159_1982:
	s_sext_i32_i16 s6, s21
	s_delay_alu instid0(SALU_CYCLE_1)
	s_cmp_gt_i32 s6, 0
	s_mov_b32 s6, 0
	s_cbranch_scc0 .LBB159_1984
; %bb.1983:
	s_wait_loadcnt 0x0
	global_load_i8 v3, v[0:1], off
	s_wait_loadcnt 0x0
	v_cvt_f16_i16_e32 v5, v3
	s_branch .LBB159_1985
.LBB159_1984:
	s_mov_b32 s6, -1
                                        ; implicit-def: $vgpr5
.LBB159_1985:
	s_delay_alu instid0(SALU_CYCLE_1)
	s_and_not1_b32 vcc_lo, exec_lo, s6
	s_cbranch_vccnz .LBB159_1987
; %bb.1986:
	s_wait_loadcnt 0x0
	global_load_u8 v0, v[0:1], off
	s_wait_loadcnt 0x0
	v_cvt_f16_u16_e32 v5, v0
.LBB159_1987:
	s_or_b32 s8, s8, exec_lo
.LBB159_1988:
	s_wait_xcnt 0x0
	s_or_b32 exec_lo, exec_lo, s0
	s_mov_b32 s0, 0
	s_mov_b32 s9, 0
                                        ; implicit-def: $sgpr6
                                        ; implicit-def: $vgpr0_vgpr1
                                        ; implicit-def: $vgpr3
	s_and_saveexec_b32 s7, s8
	s_cbranch_execz .LBB159_1996
; %bb.1989:
	s_wait_loadcnt 0x0
	v_cmp_gt_f16_e32 vcc_lo, v10, v7
	s_and_b32 s6, s38, 0xff
	v_mov_b32_e32 v3, 0
	s_cmp_lt_i32 s6, 11
	v_cndmask_b32_e32 v0, v7, v10, vcc_lo
	s_delay_alu instid0(VALU_DEP_1) | instskip(SKIP_2) | instid1(VALU_DEP_2)
	v_cmp_lt_f16_e32 vcc_lo, v0, v5
	v_cndmask_b32_e32 v0, v5, v0, vcc_lo
	v_cmp_u_f16_e32 vcc_lo, v5, v5
	v_cndmask_b32_e32 v0, v0, v5, vcc_lo
	v_cmp_u_f16_e32 vcc_lo, v7, v7
	s_delay_alu instid0(VALU_DEP_2) | instskip(SKIP_2) | instid1(VALU_DEP_3)
	v_cndmask_b32_e32 v4, v0, v7, vcc_lo
	v_cmp_u_f16_e32 vcc_lo, v10, v10
	v_add_nc_u64_e32 v[0:1], s[4:5], v[2:3]
	v_cndmask_b32_e32 v3, v4, v10, vcc_lo
	s_cbranch_scc1 .LBB159_1999
; %bb.1990:
	s_and_b32 s4, 0xffff, s6
	s_mov_b32 s5, -1
	s_cmp_gt_i32 s4, 25
	s_mov_b32 s0, s43
	s_cbranch_scc0 .LBB159_2027
; %bb.1991:
	s_cmp_gt_i32 s4, 28
	s_mov_b32 s0, s43
	s_cbranch_scc0 .LBB159_2011
; %bb.1992:
	;; [unrolled: 4-line block ×4, first 2 shown]
	s_cmp_eq_u32 s4, 46
	s_mov_b32 s0, -1
	s_cbranch_scc0 .LBB159_2000
; %bb.1995:
	v_cvt_f32_f16_e32 v2, v3
	v_cmp_o_f16_e32 vcc_lo, v3, v3
	s_mov_b32 s0, 0
	s_mov_b32 s5, 0
	s_delay_alu instid0(VALU_DEP_2) | instskip(NEXT) | instid1(VALU_DEP_1)
	v_bfe_u32 v4, v2, 16, 1
	v_add3_u32 v2, v2, v4, 0x7fff
	s_delay_alu instid0(VALU_DEP_1) | instskip(NEXT) | instid1(VALU_DEP_1)
	v_lshrrev_b32_e32 v2, 16, v2
	v_cndmask_b32_e32 v2, 0x7fc0, v2, vcc_lo
	global_store_b32 v[0:1], v2, off
	s_branch .LBB159_2001
.LBB159_1996:
	s_or_b32 exec_lo, exec_lo, s7
	s_and_saveexec_b32 s4, s43
	s_cbranch_execnz .LBB159_2069
.LBB159_1997:
	s_or_b32 exec_lo, exec_lo, s4
	s_and_saveexec_b32 s4, s0
	s_delay_alu instid0(SALU_CYCLE_1)
	s_xor_b32 s0, exec_lo, s4
	s_cbranch_execz .LBB159_2070
.LBB159_1998:
	s_wait_loadcnt 0x0
	v_and_b32_e32 v2, 0x7fff, v3
	s_delay_alu instid0(VALU_DEP_1)
	v_cmp_ne_u16_e32 vcc_lo, 0, v2
	v_cndmask_b32_e64 v2, 0, 1, vcc_lo
	global_store_b8 v[0:1], v2, off
	s_wait_xcnt 0x0
	s_or_b32 exec_lo, exec_lo, s0
	s_and_saveexec_b32 s0, s9
	s_delay_alu instid0(SALU_CYCLE_1)
	s_xor_b32 s0, exec_lo, s0
	s_cbranch_execz .LBB159_2108
	s_branch .LBB159_2071
.LBB159_1999:
	s_mov_b32 s8, 0
	s_mov_b32 s5, -1
	s_mov_b32 s0, s43
	s_branch .LBB159_2068
.LBB159_2000:
	s_mov_b32 s5, 0
.LBB159_2001:
	s_delay_alu instid0(SALU_CYCLE_1)
	s_and_b32 vcc_lo, exec_lo, s5
	s_cbranch_vccz .LBB159_2006
; %bb.2002:
	s_cmp_eq_u32 s4, 44
	s_mov_b32 s0, -1
	s_cbranch_scc0 .LBB159_2006
; %bb.2003:
	s_wait_xcnt 0x0
	v_cvt_f32_f16_e32 v2, v3
	v_mov_b32_e32 v4, 0xff
	s_mov_b32 s5, exec_lo
	s_delay_alu instid0(VALU_DEP_2) | instskip(NEXT) | instid1(VALU_DEP_1)
	v_bfe_u32 v5, v2, 23, 8
	v_cmpx_ne_u32_e32 0xff, v5
	s_cbranch_execz .LBB159_2005
; %bb.2004:
	v_and_b32_e32 v4, 0x400000, v2
	v_and_or_b32 v5, 0x3fffff, v2, v5
	v_lshrrev_b32_e32 v2, 23, v2
	s_delay_alu instid0(VALU_DEP_3) | instskip(NEXT) | instid1(VALU_DEP_3)
	v_cmp_ne_u32_e32 vcc_lo, 0, v4
	v_cmp_ne_u32_e64 s0, 0, v5
	s_and_b32 s0, vcc_lo, s0
	s_delay_alu instid0(SALU_CYCLE_1) | instskip(NEXT) | instid1(VALU_DEP_1)
	v_cndmask_b32_e64 v4, 0, 1, s0
	v_add_nc_u32_e32 v4, v2, v4
.LBB159_2005:
	s_or_b32 exec_lo, exec_lo, s5
	s_mov_b32 s0, 0
	global_store_b8 v[0:1], v4, off
.LBB159_2006:
	s_mov_b32 s5, 0
.LBB159_2007:
	s_delay_alu instid0(SALU_CYCLE_1)
	s_and_b32 vcc_lo, exec_lo, s5
	s_cbranch_vccz .LBB159_2010
; %bb.2008:
	s_cmp_eq_u32 s4, 29
	s_mov_b32 s0, -1
	s_cbranch_scc0 .LBB159_2010
; %bb.2009:
	s_wait_xcnt 0x0
	v_cvt_f32_f16_e32 v2, v3
	v_mov_b32_e32 v5, 0
	s_mov_b32 s0, 0
	s_mov_b32 s5, 0
	s_delay_alu instid0(VALU_DEP_2)
	v_cvt_u32_f32_e32 v4, v2
	global_store_b64 v[0:1], v[4:5], off
	s_branch .LBB159_2011
.LBB159_2010:
	s_mov_b32 s5, 0
.LBB159_2011:
	s_delay_alu instid0(SALU_CYCLE_1)
	s_and_b32 vcc_lo, exec_lo, s5
	s_cbranch_vccz .LBB159_2026
; %bb.2012:
	s_cmp_lt_i32 s4, 27
	s_mov_b32 s5, -1
	s_cbranch_scc1 .LBB159_2018
; %bb.2013:
	s_cmp_gt_i32 s4, 27
	s_cbranch_scc0 .LBB159_2015
; %bb.2014:
	s_wait_xcnt 0x0
	v_cvt_f32_f16_e32 v2, v3
	s_mov_b32 s5, 0
	s_delay_alu instid0(VALU_DEP_1)
	v_cvt_u32_f32_e32 v2, v2
	global_store_b32 v[0:1], v2, off
.LBB159_2015:
	s_and_not1_b32 vcc_lo, exec_lo, s5
	s_cbranch_vccnz .LBB159_2017
; %bb.2016:
	s_wait_xcnt 0x0
	v_cvt_u16_f16_e32 v2, v3
	global_store_b16 v[0:1], v2, off
.LBB159_2017:
	s_mov_b32 s5, 0
.LBB159_2018:
	s_delay_alu instid0(SALU_CYCLE_1)
	s_and_not1_b32 vcc_lo, exec_lo, s5
	s_cbranch_vccnz .LBB159_2026
; %bb.2019:
	s_wait_xcnt 0x0
	v_cvt_f32_f16_e32 v2, v3
	v_mov_b32_e32 v5, 0x80
	s_mov_b32 s5, exec_lo
	s_delay_alu instid0(VALU_DEP_2) | instskip(NEXT) | instid1(VALU_DEP_1)
	v_and_b32_e32 v4, 0x7fffffff, v2
	v_cmpx_gt_u32_e32 0x43800000, v4
	s_cbranch_execz .LBB159_2025
; %bb.2020:
	v_cmp_lt_u32_e32 vcc_lo, 0x3bffffff, v4
	s_mov_b32 s8, 0
                                        ; implicit-def: $vgpr4
	s_and_saveexec_b32 s9, vcc_lo
	s_delay_alu instid0(SALU_CYCLE_1)
	s_xor_b32 s9, exec_lo, s9
	s_cbranch_execz .LBB159_2167
; %bb.2021:
	v_bfe_u32 v4, v2, 20, 1
	s_mov_b32 s8, exec_lo
	s_delay_alu instid0(VALU_DEP_1) | instskip(NEXT) | instid1(VALU_DEP_1)
	v_add3_u32 v4, v2, v4, 0x487ffff
	v_lshrrev_b32_e32 v4, 20, v4
	s_and_not1_saveexec_b32 s9, s9
	s_cbranch_execnz .LBB159_2168
.LBB159_2022:
	s_or_b32 exec_lo, exec_lo, s9
	v_mov_b32_e32 v5, 0
	s_and_saveexec_b32 s9, s8
.LBB159_2023:
	v_lshrrev_b32_e32 v2, 24, v2
	s_delay_alu instid0(VALU_DEP_1)
	v_and_or_b32 v5, 0x80, v2, v4
.LBB159_2024:
	s_or_b32 exec_lo, exec_lo, s9
.LBB159_2025:
	s_delay_alu instid0(SALU_CYCLE_1)
	s_or_b32 exec_lo, exec_lo, s5
	global_store_b8 v[0:1], v5, off
.LBB159_2026:
	s_mov_b32 s5, 0
.LBB159_2027:
	s_delay_alu instid0(SALU_CYCLE_1)
	s_and_b32 vcc_lo, exec_lo, s5
	s_mov_b32 s5, 0
	s_cbranch_vccz .LBB159_2067
; %bb.2028:
	s_cmp_gt_i32 s4, 22
	s_mov_b32 s8, -1
	s_cbranch_scc0 .LBB159_2060
; %bb.2029:
	s_cmp_lt_i32 s4, 24
	s_cbranch_scc1 .LBB159_2049
; %bb.2030:
	s_cmp_gt_i32 s4, 24
	s_cbranch_scc0 .LBB159_2038
; %bb.2031:
	s_wait_xcnt 0x0
	v_cvt_f32_f16_e32 v2, v3
	v_mov_b32_e32 v5, 0x80
	s_mov_b32 s8, exec_lo
	s_delay_alu instid0(VALU_DEP_2) | instskip(NEXT) | instid1(VALU_DEP_1)
	v_and_b32_e32 v4, 0x7fffffff, v2
	v_cmpx_gt_u32_e32 0x47800000, v4
	s_cbranch_execz .LBB159_2037
; %bb.2032:
	v_cmp_lt_u32_e32 vcc_lo, 0x37ffffff, v4
	s_mov_b32 s9, 0
                                        ; implicit-def: $vgpr4
	s_and_saveexec_b32 s10, vcc_lo
	s_delay_alu instid0(SALU_CYCLE_1)
	s_xor_b32 s10, exec_lo, s10
	s_cbranch_execz .LBB159_2293
; %bb.2033:
	v_bfe_u32 v4, v2, 21, 1
	s_mov_b32 s9, exec_lo
	s_delay_alu instid0(VALU_DEP_1) | instskip(NEXT) | instid1(VALU_DEP_1)
	v_add3_u32 v4, v2, v4, 0x88fffff
	v_lshrrev_b32_e32 v4, 21, v4
	s_and_not1_saveexec_b32 s10, s10
	s_cbranch_execnz .LBB159_2294
.LBB159_2034:
	s_or_b32 exec_lo, exec_lo, s10
	v_mov_b32_e32 v5, 0
	s_and_saveexec_b32 s10, s9
.LBB159_2035:
	v_lshrrev_b32_e32 v2, 24, v2
	s_delay_alu instid0(VALU_DEP_1)
	v_and_or_b32 v5, 0x80, v2, v4
.LBB159_2036:
	s_or_b32 exec_lo, exec_lo, s10
.LBB159_2037:
	s_delay_alu instid0(SALU_CYCLE_1)
	s_or_b32 exec_lo, exec_lo, s8
	s_mov_b32 s8, 0
	global_store_b8 v[0:1], v5, off
.LBB159_2038:
	s_and_b32 vcc_lo, exec_lo, s8
	s_cbranch_vccz .LBB159_2048
; %bb.2039:
	s_wait_xcnt 0x0
	v_cvt_f32_f16_e32 v2, v3
	s_mov_b32 s8, exec_lo
                                        ; implicit-def: $vgpr4
	s_delay_alu instid0(VALU_DEP_1) | instskip(NEXT) | instid1(VALU_DEP_1)
	v_and_b32_e32 v5, 0x7fffffff, v2
	v_cmpx_gt_u32_e32 0x43f00000, v5
	s_xor_b32 s8, exec_lo, s8
	s_cbranch_execz .LBB159_2045
; %bb.2040:
	s_mov_b32 s9, exec_lo
                                        ; implicit-def: $vgpr4
	v_cmpx_lt_u32_e32 0x3c7fffff, v5
	s_xor_b32 s9, exec_lo, s9
; %bb.2041:
	v_bfe_u32 v4, v2, 20, 1
	s_delay_alu instid0(VALU_DEP_1) | instskip(NEXT) | instid1(VALU_DEP_1)
	v_add3_u32 v4, v2, v4, 0x407ffff
	v_and_b32_e32 v5, 0xff00000, v4
	v_lshrrev_b32_e32 v4, 20, v4
	s_delay_alu instid0(VALU_DEP_2) | instskip(NEXT) | instid1(VALU_DEP_2)
	v_cmp_ne_u32_e32 vcc_lo, 0x7f00000, v5
	v_cndmask_b32_e32 v4, 0x7e, v4, vcc_lo
; %bb.2042:
	s_and_not1_saveexec_b32 s9, s9
; %bb.2043:
	v_add_f32_e64 v4, 0x46800000, |v2|
; %bb.2044:
	s_or_b32 exec_lo, exec_lo, s9
                                        ; implicit-def: $vgpr5
.LBB159_2045:
	s_and_not1_saveexec_b32 s8, s8
; %bb.2046:
	v_mov_b32_e32 v4, 0x7f
	v_cmp_lt_u32_e32 vcc_lo, 0x7f800000, v5
	s_delay_alu instid0(VALU_DEP_2)
	v_cndmask_b32_e32 v4, 0x7e, v4, vcc_lo
; %bb.2047:
	s_or_b32 exec_lo, exec_lo, s8
	v_lshrrev_b32_e32 v2, 24, v2
	s_delay_alu instid0(VALU_DEP_1)
	v_and_or_b32 v2, 0x80, v2, v4
	global_store_b8 v[0:1], v2, off
.LBB159_2048:
	s_mov_b32 s8, 0
.LBB159_2049:
	s_delay_alu instid0(SALU_CYCLE_1)
	s_and_not1_b32 vcc_lo, exec_lo, s8
	s_cbranch_vccnz .LBB159_2059
; %bb.2050:
	s_wait_xcnt 0x0
	v_cvt_f32_f16_e32 v2, v3
	s_mov_b32 s8, exec_lo
                                        ; implicit-def: $vgpr4
	s_delay_alu instid0(VALU_DEP_1) | instskip(NEXT) | instid1(VALU_DEP_1)
	v_and_b32_e32 v5, 0x7fffffff, v2
	v_cmpx_gt_u32_e32 0x47800000, v5
	s_xor_b32 s8, exec_lo, s8
	s_cbranch_execz .LBB159_2056
; %bb.2051:
	s_mov_b32 s9, exec_lo
                                        ; implicit-def: $vgpr4
	v_cmpx_lt_u32_e32 0x387fffff, v5
	s_xor_b32 s9, exec_lo, s9
; %bb.2052:
	v_bfe_u32 v4, v2, 21, 1
	s_delay_alu instid0(VALU_DEP_1) | instskip(NEXT) | instid1(VALU_DEP_1)
	v_add3_u32 v4, v2, v4, 0x80fffff
	v_lshrrev_b32_e32 v4, 21, v4
; %bb.2053:
	s_and_not1_saveexec_b32 s9, s9
; %bb.2054:
	v_add_f32_e64 v4, 0x43000000, |v2|
; %bb.2055:
	s_or_b32 exec_lo, exec_lo, s9
                                        ; implicit-def: $vgpr5
.LBB159_2056:
	s_and_not1_saveexec_b32 s8, s8
; %bb.2057:
	v_mov_b32_e32 v4, 0x7f
	v_cmp_lt_u32_e32 vcc_lo, 0x7f800000, v5
	s_delay_alu instid0(VALU_DEP_2)
	v_cndmask_b32_e32 v4, 0x7c, v4, vcc_lo
; %bb.2058:
	s_or_b32 exec_lo, exec_lo, s8
	v_lshrrev_b32_e32 v2, 24, v2
	s_delay_alu instid0(VALU_DEP_1)
	v_and_or_b32 v2, 0x80, v2, v4
	global_store_b8 v[0:1], v2, off
.LBB159_2059:
	s_mov_b32 s8, 0
.LBB159_2060:
	s_delay_alu instid0(SALU_CYCLE_1)
	s_and_not1_b32 vcc_lo, exec_lo, s8
	s_mov_b32 s8, 0
	s_cbranch_vccnz .LBB159_2068
; %bb.2061:
	s_cmp_gt_i32 s4, 14
	s_mov_b32 s8, -1
	s_cbranch_scc0 .LBB159_2065
; %bb.2062:
	s_cmp_eq_u32 s4, 15
	s_mov_b32 s0, -1
	s_cbranch_scc0 .LBB159_2064
; %bb.2063:
	s_wait_xcnt 0x0
	v_cvt_f32_f16_e32 v2, v3
	v_cmp_o_f16_e32 vcc_lo, v3, v3
	s_mov_b32 s0, 0
	s_delay_alu instid0(VALU_DEP_2) | instskip(NEXT) | instid1(VALU_DEP_1)
	v_bfe_u32 v4, v2, 16, 1
	v_add3_u32 v2, v2, v4, 0x7fff
	s_delay_alu instid0(VALU_DEP_1) | instskip(NEXT) | instid1(VALU_DEP_1)
	v_lshrrev_b32_e32 v2, 16, v2
	v_cndmask_b32_e32 v2, 0x7fc0, v2, vcc_lo
	global_store_b16 v[0:1], v2, off
.LBB159_2064:
	s_mov_b32 s8, 0
.LBB159_2065:
	s_delay_alu instid0(SALU_CYCLE_1)
	s_and_b32 vcc_lo, exec_lo, s8
	s_mov_b32 s8, 0
	s_cbranch_vccz .LBB159_2068
; %bb.2066:
	s_cmp_lg_u32 s4, 11
	s_mov_b32 s8, -1
	s_cselect_b32 s4, -1, 0
	s_and_not1_b32 s0, s0, exec_lo
	s_and_b32 s4, s4, exec_lo
	s_delay_alu instid0(SALU_CYCLE_1)
	s_or_b32 s0, s0, s4
	s_branch .LBB159_2068
.LBB159_2067:
	s_mov_b32 s8, 0
.LBB159_2068:
	s_and_b32 s9, s5, exec_lo
	s_and_not1_b32 s4, s43, exec_lo
	s_and_b32 s5, s0, exec_lo
	s_and_b32 s0, s8, exec_lo
	s_or_b32 s43, s4, s5
	s_wait_xcnt 0x0
	s_or_b32 exec_lo, exec_lo, s7
	s_and_saveexec_b32 s4, s43
	s_cbranch_execz .LBB159_1997
.LBB159_2069:
	s_or_b32 s1, s1, exec_lo
	s_and_not1_b32 s0, s0, exec_lo
	s_trap 2
	s_or_b32 exec_lo, exec_lo, s4
	s_and_saveexec_b32 s4, s0
	s_delay_alu instid0(SALU_CYCLE_1)
	s_xor_b32 s0, exec_lo, s4
	s_cbranch_execnz .LBB159_1998
.LBB159_2070:
	s_or_b32 exec_lo, exec_lo, s0
	s_and_saveexec_b32 s0, s9
	s_delay_alu instid0(SALU_CYCLE_1)
	s_xor_b32 s0, exec_lo, s0
	s_cbranch_execz .LBB159_2108
.LBB159_2071:
	s_sext_i32_i16 s5, s6
	s_mov_b32 s4, -1
	s_cmp_lt_i32 s5, 5
	s_cbranch_scc1 .LBB159_2092
; %bb.2072:
	s_cmp_lt_i32 s5, 8
	s_cbranch_scc1 .LBB159_2082
; %bb.2073:
	;; [unrolled: 3-line block ×3, first 2 shown]
	s_cmp_gt_i32 s5, 9
	s_cbranch_scc0 .LBB159_2076
; %bb.2075:
	s_wait_loadcnt 0x0
	v_cvt_f32_f16_e32 v2, v3
	v_mov_b32_e32 v6, 0
	s_mov_b32 s4, 0
	s_delay_alu instid0(VALU_DEP_2) | instskip(NEXT) | instid1(VALU_DEP_2)
	v_cvt_f64_f32_e32 v[4:5], v2
	v_mov_b32_e32 v7, v6
	global_store_b128 v[0:1], v[4:7], off
.LBB159_2076:
	s_and_not1_b32 vcc_lo, exec_lo, s4
	s_cbranch_vccnz .LBB159_2078
; %bb.2077:
	s_wait_loadcnt 0x0
	v_cvt_f32_f16_e32 v4, v3
	v_mov_b32_e32 v5, 0
	global_store_b64 v[0:1], v[4:5], off
.LBB159_2078:
	s_mov_b32 s4, 0
.LBB159_2079:
	s_delay_alu instid0(SALU_CYCLE_1)
	s_and_not1_b32 vcc_lo, exec_lo, s4
	s_cbranch_vccnz .LBB159_2081
; %bb.2080:
	s_wait_loadcnt 0x0
	v_and_b32_e32 v2, 0xffff, v3
	global_store_b32 v[0:1], v2, off
.LBB159_2081:
	s_mov_b32 s4, 0
.LBB159_2082:
	s_delay_alu instid0(SALU_CYCLE_1)
	s_and_not1_b32 vcc_lo, exec_lo, s4
	s_cbranch_vccnz .LBB159_2091
; %bb.2083:
	s_sext_i32_i16 s5, s6
	s_mov_b32 s4, -1
	s_cmp_lt_i32 s5, 6
	s_cbranch_scc1 .LBB159_2089
; %bb.2084:
	s_cmp_gt_i32 s5, 6
	s_cbranch_scc0 .LBB159_2086
; %bb.2085:
	s_wait_loadcnt 0x0
	v_cvt_f32_f16_e32 v2, v3
	s_mov_b32 s4, 0
	s_delay_alu instid0(VALU_DEP_1)
	v_cvt_f64_f32_e32 v[4:5], v2
	global_store_b64 v[0:1], v[4:5], off
.LBB159_2086:
	s_and_not1_b32 vcc_lo, exec_lo, s4
	s_cbranch_vccnz .LBB159_2088
; %bb.2087:
	s_wait_loadcnt 0x0
	v_cvt_f32_f16_e32 v2, v3
	global_store_b32 v[0:1], v2, off
.LBB159_2088:
	s_mov_b32 s4, 0
.LBB159_2089:
	s_delay_alu instid0(SALU_CYCLE_1)
	s_and_not1_b32 vcc_lo, exec_lo, s4
	s_cbranch_vccnz .LBB159_2091
; %bb.2090:
	s_wait_loadcnt 0x0
	global_store_b16 v[0:1], v3, off
.LBB159_2091:
	s_mov_b32 s4, 0
.LBB159_2092:
	s_delay_alu instid0(SALU_CYCLE_1)
	s_and_not1_b32 vcc_lo, exec_lo, s4
	s_cbranch_vccnz .LBB159_2108
; %bb.2093:
	s_sext_i32_i16 s5, s6
	s_mov_b32 s4, -1
	s_cmp_lt_i32 s5, 2
	s_cbranch_scc1 .LBB159_2103
; %bb.2094:
	s_cmp_lt_i32 s5, 3
	s_cbranch_scc1 .LBB159_2100
; %bb.2095:
	s_cmp_gt_i32 s5, 3
	s_cbranch_scc0 .LBB159_2097
; %bb.2096:
	s_wait_loadcnt 0x0
	v_cvt_f32_f16_e32 v2, v3
	s_mov_b32 s4, 0
	s_delay_alu instid0(VALU_DEP_1) | instskip(NEXT) | instid1(VALU_DEP_1)
	v_cvt_i32_f32_e32 v4, v2
	v_ashrrev_i32_e32 v5, 31, v4
	global_store_b64 v[0:1], v[4:5], off
.LBB159_2097:
	s_and_not1_b32 vcc_lo, exec_lo, s4
	s_cbranch_vccnz .LBB159_2099
; %bb.2098:
	s_wait_loadcnt 0x0
	v_cvt_f32_f16_e32 v2, v3
	s_delay_alu instid0(VALU_DEP_1)
	v_cvt_i32_f32_e32 v2, v2
	global_store_b32 v[0:1], v2, off
.LBB159_2099:
	s_mov_b32 s4, 0
.LBB159_2100:
	s_delay_alu instid0(SALU_CYCLE_1)
	s_and_not1_b32 vcc_lo, exec_lo, s4
	s_cbranch_vccnz .LBB159_2102
; %bb.2101:
	s_wait_loadcnt 0x0
	v_cvt_i16_f16_e32 v2, v3
	global_store_b16 v[0:1], v2, off
.LBB159_2102:
	s_mov_b32 s4, 0
.LBB159_2103:
	s_delay_alu instid0(SALU_CYCLE_1)
	s_and_not1_b32 vcc_lo, exec_lo, s4
	s_cbranch_vccnz .LBB159_2108
; %bb.2104:
	s_sext_i32_i16 s4, s6
	s_delay_alu instid0(SALU_CYCLE_1)
	s_cmp_gt_i32 s4, 0
	s_mov_b32 s4, -1
	s_cbranch_scc0 .LBB159_2106
; %bb.2105:
	s_wait_loadcnt 0x0
	v_cvt_i16_f16_e32 v2, v3
	s_mov_b32 s4, 0
	global_store_b8 v[0:1], v2, off
.LBB159_2106:
	s_and_not1_b32 vcc_lo, exec_lo, s4
	s_cbranch_vccnz .LBB159_2108
; %bb.2107:
	s_wait_loadcnt 0x0
	v_cvt_f32_f16_e32 v2, v3
	s_delay_alu instid0(VALU_DEP_1)
	v_cvt_i32_f32_e32 v2, v2
	global_store_b8 v[0:1], v2, off
.LBB159_2108:
	s_wait_xcnt 0x0
	s_or_b32 exec_lo, exec_lo, s0
	s_delay_alu instid0(SALU_CYCLE_1)
	s_and_b32 s10, s1, exec_lo
                                        ; implicit-def: $vgpr5
                                        ; implicit-def: $vgpr0
.LBB159_2109:
	s_or_saveexec_b32 s11, s37
	s_mov_b32 s0, 0
                                        ; implicit-def: $vgpr2_vgpr3
                                        ; implicit-def: $sgpr1
                                        ; implicit-def: $vgpr1
	s_xor_b32 exec_lo, exec_lo, s11
	s_cbranch_execz .LBB159_4157
; %bb.2110:
	s_wait_loadcnt 0x0
	v_cndmask_b32_e64 v1, 0, 1, s36
	s_and_not1_b32 vcc_lo, exec_lo, s36
	s_cbranch_vccnz .LBB159_2116
; %bb.2111:
	s_cmp_lg_u32 s33, 0
	s_mov_b32 s6, 0
	s_cbranch_scc0 .LBB159_2120
; %bb.2112:
	s_min_u32 s7, s34, 15
	v_dual_mov_b32 v28, 0 :: v_dual_mov_b32 v2, v0
	v_dual_mov_b32 v26, 0 :: v_dual_mov_b32 v6, 0
	v_mov_b32_e32 v30, 0
	s_add_co_i32 s4, s7, 1
	s_mov_b64 s[0:1], 0xffffffffffffffe0
	s_and_b32 s8, s4, 30
	s_add_nc_u64 s[0:1], s[2:3], s[0:1]
	s_mov_b64 s[4:5], s[2:3]
.LBB159_2113:                           ; =>This Inner Loop Header: Depth=1
	s_clause 0x1
	s_load_b128 s[20:23], s[4:5], 0x4
	s_load_b64 s[24:25], s[4:5], 0x14
	s_load_b256 s[12:19], s[0:1], 0xe4
	s_add_co_i32 s8, s8, -2
	s_wait_xcnt 0x0
	s_add_nc_u64 s[4:5], s[4:5], 24
	s_cmp_lg_u32 s8, 0
	s_add_nc_u64 s[0:1], s[0:1], 32
	s_wait_kmcnt 0x0
	v_mul_hi_u32 v3, s21, v2
	s_delay_alu instid0(VALU_DEP_1) | instskip(NEXT) | instid1(VALU_DEP_1)
	v_add_nc_u32_e32 v3, v2, v3
	v_lshrrev_b32_e32 v3, s22, v3
	s_delay_alu instid0(VALU_DEP_1) | instskip(SKIP_1) | instid1(VALU_DEP_1)
	v_mul_hi_u32 v4, s24, v3
	v_mul_lo_u32 v7, v3, s20
	v_dual_add_nc_u32 v4, v3, v4 :: v_dual_sub_nc_u32 v7, v2, v7
	s_delay_alu instid0(VALU_DEP_1) | instskip(NEXT) | instid1(VALU_DEP_2)
	v_lshrrev_b32_e32 v2, s25, v4
	v_mad_u32 v8, v7, s13, v30
	v_mad_u32 v6, v7, s12, v6
	;; [unrolled: 1-line block ×4, first 2 shown]
	v_mul_lo_u32 v4, v2, s23
	s_delay_alu instid0(VALU_DEP_1) | instskip(NEXT) | instid1(VALU_DEP_1)
	v_sub_nc_u32_e32 v3, v3, v4
	v_mad_u32 v30, v3, s17, v8
	v_mad_u32 v6, v3, s16, v6
	;; [unrolled: 1-line block ×4, first 2 shown]
	s_cbranch_scc1 .LBB159_2113
; %bb.2114:
	s_bitcmp1_b32 s7, 0
	s_cselect_b32 s7, -1, 0
	s_delay_alu instid0(SALU_CYCLE_1)
	s_and_b32 vcc_lo, exec_lo, s7
	s_cbranch_vccnz .LBB159_2117
; %bb.2115:
	s_load_b96 s[16:18], s[4:5], 0x4
	s_load_b128 s[12:15], s[0:1], 0xe4
	s_wait_kmcnt 0x0
	v_mul_hi_u32 v3, s17, v2
	s_delay_alu instid0(VALU_DEP_1) | instskip(NEXT) | instid1(VALU_DEP_1)
	v_add_nc_u32_e32 v3, v2, v3
	v_lshrrev_b32_e32 v3, s18, v3
	s_delay_alu instid0(VALU_DEP_1) | instskip(NEXT) | instid1(VALU_DEP_1)
	v_mul_lo_u32 v3, v3, s16
	v_sub_nc_u32_e32 v2, v2, v3
	s_delay_alu instid0(VALU_DEP_1)
	v_mad_u32 v6, v2, s12, v6
	v_mad_u32 v30, v2, s13, v30
	;; [unrolled: 1-line block ×4, first 2 shown]
	s_and_not1_b32 vcc_lo, exec_lo, s6
	s_cbranch_vccz .LBB159_2118
	s_branch .LBB159_2121
.LBB159_2116:
	s_mov_b32 s6, -1
                                        ; implicit-def: $vgpr30
                                        ; implicit-def: $vgpr6
                                        ; implicit-def: $vgpr26
                                        ; implicit-def: $vgpr28
.LBB159_2117:
	s_delay_alu instid0(SALU_CYCLE_1)
	s_and_not1_b32 vcc_lo, exec_lo, s6
	s_cbranch_vccnz .LBB159_2121
.LBB159_2118:
	s_clause 0x1
	s_load_b96 s[12:14], s[2:3], 0x4
	s_load_b128 s[4:7], s[2:3], 0xc4
	s_cmp_lt_u32 s33, 2
	s_wait_kmcnt 0x0
	v_mul_hi_u32 v2, s13, v0
	s_delay_alu instid0(VALU_DEP_1) | instskip(NEXT) | instid1(VALU_DEP_1)
	v_add_nc_u32_e32 v2, v0, v2
	v_lshrrev_b32_e32 v2, s14, v2
	s_delay_alu instid0(VALU_DEP_1) | instskip(NEXT) | instid1(VALU_DEP_1)
	v_mul_lo_u32 v3, v2, s12
	v_sub_nc_u32_e32 v3, v0, v3
	s_delay_alu instid0(VALU_DEP_1)
	v_mul_lo_u32 v30, v3, s5
	v_mul_lo_u32 v6, v3, s4
	;; [unrolled: 1-line block ×4, first 2 shown]
	s_cbranch_scc1 .LBB159_2121
; %bb.2119:
	s_clause 0x1
	s_load_b96 s[12:14], s[2:3], 0x10
	s_load_b128 s[4:7], s[2:3], 0xd4
	s_wait_kmcnt 0x0
	v_mul_hi_u32 v3, s13, v2
	s_delay_alu instid0(VALU_DEP_1) | instskip(NEXT) | instid1(VALU_DEP_1)
	v_add_nc_u32_e32 v3, v2, v3
	v_lshrrev_b32_e32 v3, s14, v3
	s_delay_alu instid0(VALU_DEP_1) | instskip(NEXT) | instid1(VALU_DEP_1)
	v_mul_lo_u32 v3, v3, s12
	v_sub_nc_u32_e32 v2, v2, v3
	s_delay_alu instid0(VALU_DEP_1)
	v_mad_u32 v6, v2, s4, v6
	v_mad_u32 v30, v2, s5, v30
	;; [unrolled: 1-line block ×4, first 2 shown]
	s_branch .LBB159_2121
.LBB159_2120:
	v_dual_mov_b32 v30, 0 :: v_dual_mov_b32 v6, 0
	v_dual_mov_b32 v26, 0 :: v_dual_mov_b32 v28, 0
	s_and_not1_b32 vcc_lo, exec_lo, s6
	s_cbranch_vccz .LBB159_2118
.LBB159_2121:
	v_cmp_ne_u32_e32 vcc_lo, 1, v1
	v_add_nc_u32_e32 v2, 0x80, v0
	s_cbranch_vccnz .LBB159_2127
; %bb.2122:
	s_cmp_lg_u32 s33, 0
	s_mov_b32 s6, 0
	s_cbranch_scc0 .LBB159_2131
; %bb.2123:
	s_min_u32 s7, s34, 15
	v_dual_mov_b32 v22, 0 :: v_dual_mov_b32 v3, v2
	v_dual_mov_b32 v20, 0 :: v_dual_mov_b32 v4, 0
	v_mov_b32_e32 v24, 0
	s_add_co_i32 s4, s7, 1
	s_mov_b64 s[0:1], 0xffffffffffffffe0
	s_and_b32 s8, s4, 30
	s_add_nc_u64 s[0:1], s[2:3], s[0:1]
	s_mov_b64 s[4:5], s[2:3]
.LBB159_2124:                           ; =>This Inner Loop Header: Depth=1
	s_clause 0x1
	s_load_b128 s[20:23], s[4:5], 0x4
	s_load_b64 s[24:25], s[4:5], 0x14
	s_load_b256 s[12:19], s[0:1], 0xe4
	s_add_co_i32 s8, s8, -2
	s_wait_xcnt 0x0
	s_add_nc_u64 s[4:5], s[4:5], 24
	s_cmp_lg_u32 s8, 0
	s_add_nc_u64 s[0:1], s[0:1], 32
	s_wait_kmcnt 0x0
	v_mul_hi_u32 v7, s21, v3
	s_delay_alu instid0(VALU_DEP_1) | instskip(NEXT) | instid1(VALU_DEP_1)
	v_add_nc_u32_e32 v7, v3, v7
	v_lshrrev_b32_e32 v7, s22, v7
	s_delay_alu instid0(VALU_DEP_1) | instskip(SKIP_1) | instid1(VALU_DEP_2)
	v_mul_hi_u32 v8, s24, v7
	v_mul_lo_u32 v9, v7, s20
	v_add_nc_u32_e32 v8, v7, v8
	s_delay_alu instid0(VALU_DEP_1) | instskip(NEXT) | instid1(VALU_DEP_1)
	v_dual_sub_nc_u32 v9, v3, v9 :: v_dual_lshrrev_b32 v3, s25, v8
	v_mad_u32 v10, v9, s13, v24
	v_mad_u32 v4, v9, s12, v4
	;; [unrolled: 1-line block ×4, first 2 shown]
	v_mul_lo_u32 v8, v3, s23
	s_delay_alu instid0(VALU_DEP_1) | instskip(NEXT) | instid1(VALU_DEP_1)
	v_sub_nc_u32_e32 v7, v7, v8
	v_mad_u32 v24, v7, s17, v10
	v_mad_u32 v4, v7, s16, v4
	;; [unrolled: 1-line block ×4, first 2 shown]
	s_cbranch_scc1 .LBB159_2124
; %bb.2125:
	s_bitcmp1_b32 s7, 0
	s_cselect_b32 s7, -1, 0
	s_delay_alu instid0(SALU_CYCLE_1)
	s_and_b32 vcc_lo, exec_lo, s7
	s_cbranch_vccnz .LBB159_2128
; %bb.2126:
	s_load_b96 s[16:18], s[4:5], 0x4
	s_load_b128 s[12:15], s[0:1], 0xe4
	s_wait_kmcnt 0x0
	v_mul_hi_u32 v7, s17, v3
	s_delay_alu instid0(VALU_DEP_1) | instskip(NEXT) | instid1(VALU_DEP_1)
	v_add_nc_u32_e32 v7, v3, v7
	v_lshrrev_b32_e32 v7, s18, v7
	s_delay_alu instid0(VALU_DEP_1) | instskip(NEXT) | instid1(VALU_DEP_1)
	v_mul_lo_u32 v7, v7, s16
	v_sub_nc_u32_e32 v3, v3, v7
	s_delay_alu instid0(VALU_DEP_1)
	v_mad_u32 v4, v3, s12, v4
	v_mad_u32 v24, v3, s13, v24
	;; [unrolled: 1-line block ×4, first 2 shown]
	s_and_not1_b32 vcc_lo, exec_lo, s6
	s_cbranch_vccz .LBB159_2129
	s_branch .LBB159_2132
.LBB159_2127:
	s_mov_b32 s6, -1
                                        ; implicit-def: $vgpr24
                                        ; implicit-def: $vgpr4
                                        ; implicit-def: $vgpr20
                                        ; implicit-def: $vgpr22
.LBB159_2128:
	s_delay_alu instid0(SALU_CYCLE_1)
	s_and_not1_b32 vcc_lo, exec_lo, s6
	s_cbranch_vccnz .LBB159_2132
.LBB159_2129:
	s_clause 0x1
	s_load_b96 s[12:14], s[2:3], 0x4
	s_load_b128 s[4:7], s[2:3], 0xc4
	s_cmp_lt_u32 s33, 2
	s_wait_kmcnt 0x0
	v_mul_hi_u32 v3, s13, v2
	s_delay_alu instid0(VALU_DEP_1) | instskip(NEXT) | instid1(VALU_DEP_1)
	v_add_nc_u32_e32 v3, v2, v3
	v_lshrrev_b32_e32 v3, s14, v3
	s_delay_alu instid0(VALU_DEP_1) | instskip(NEXT) | instid1(VALU_DEP_1)
	v_mul_lo_u32 v4, v3, s12
	v_sub_nc_u32_e32 v2, v2, v4
	s_delay_alu instid0(VALU_DEP_1)
	v_mul_lo_u32 v24, v2, s5
	v_mul_lo_u32 v4, v2, s4
	;; [unrolled: 1-line block ×4, first 2 shown]
	s_cbranch_scc1 .LBB159_2132
; %bb.2130:
	s_clause 0x1
	s_load_b96 s[12:14], s[2:3], 0x10
	s_load_b128 s[4:7], s[2:3], 0xd4
	s_wait_kmcnt 0x0
	v_mul_hi_u32 v2, s13, v3
	s_delay_alu instid0(VALU_DEP_1) | instskip(NEXT) | instid1(VALU_DEP_1)
	v_add_nc_u32_e32 v2, v3, v2
	v_lshrrev_b32_e32 v2, s14, v2
	s_delay_alu instid0(VALU_DEP_1) | instskip(NEXT) | instid1(VALU_DEP_1)
	v_mul_lo_u32 v2, v2, s12
	v_sub_nc_u32_e32 v2, v3, v2
	s_delay_alu instid0(VALU_DEP_1)
	v_mad_u32 v4, v2, s4, v4
	v_mad_u32 v24, v2, s5, v24
	;; [unrolled: 1-line block ×4, first 2 shown]
	s_branch .LBB159_2132
.LBB159_2131:
	v_dual_mov_b32 v24, 0 :: v_dual_mov_b32 v4, 0
	v_dual_mov_b32 v20, 0 :: v_dual_mov_b32 v22, 0
	s_and_not1_b32 vcc_lo, exec_lo, s6
	s_cbranch_vccz .LBB159_2129
.LBB159_2132:
	v_cmp_ne_u32_e32 vcc_lo, 1, v1
	v_add_nc_u32_e32 v0, 0x100, v0
	s_cbranch_vccnz .LBB159_2138
; %bb.2133:
	s_cmp_lg_u32 s33, 0
	s_mov_b32 s6, 0
	s_cbranch_scc0 .LBB159_2142
; %bb.2134:
	s_min_u32 s7, s34, 15
	v_dual_mov_b32 v16, 0 :: v_dual_mov_b32 v3, v0
	v_dual_mov_b32 v14, 0 :: v_dual_mov_b32 v2, 0
	v_mov_b32_e32 v18, 0
	s_add_co_i32 s4, s7, 1
	s_mov_b64 s[0:1], 0xffffffffffffffe0
	s_and_b32 s8, s4, 30
	s_add_nc_u64 s[0:1], s[2:3], s[0:1]
	s_mov_b64 s[4:5], s[2:3]
.LBB159_2135:                           ; =>This Inner Loop Header: Depth=1
	s_clause 0x1
	s_load_b128 s[20:23], s[4:5], 0x4
	s_load_b64 s[24:25], s[4:5], 0x14
	s_load_b256 s[12:19], s[0:1], 0xe4
	s_add_co_i32 s8, s8, -2
	s_wait_xcnt 0x0
	s_add_nc_u64 s[4:5], s[4:5], 24
	s_cmp_lg_u32 s8, 0
	s_add_nc_u64 s[0:1], s[0:1], 32
	s_wait_kmcnt 0x0
	v_mul_hi_u32 v7, s21, v3
	s_delay_alu instid0(VALU_DEP_1) | instskip(NEXT) | instid1(VALU_DEP_1)
	v_add_nc_u32_e32 v7, v3, v7
	v_lshrrev_b32_e32 v7, s22, v7
	s_delay_alu instid0(VALU_DEP_1) | instskip(SKIP_1) | instid1(VALU_DEP_2)
	v_mul_hi_u32 v8, s24, v7
	v_mul_lo_u32 v9, v7, s20
	v_add_nc_u32_e32 v8, v7, v8
	s_delay_alu instid0(VALU_DEP_1) | instskip(NEXT) | instid1(VALU_DEP_1)
	v_dual_sub_nc_u32 v9, v3, v9 :: v_dual_lshrrev_b32 v3, s25, v8
	v_mad_u32 v10, v9, s13, v18
	v_mad_u32 v2, v9, s12, v2
	;; [unrolled: 1-line block ×4, first 2 shown]
	v_mul_lo_u32 v8, v3, s23
	s_delay_alu instid0(VALU_DEP_1) | instskip(NEXT) | instid1(VALU_DEP_1)
	v_sub_nc_u32_e32 v7, v7, v8
	v_mad_u32 v18, v7, s17, v10
	v_mad_u32 v2, v7, s16, v2
	;; [unrolled: 1-line block ×4, first 2 shown]
	s_cbranch_scc1 .LBB159_2135
; %bb.2136:
	s_bitcmp1_b32 s7, 0
	s_cselect_b32 s7, -1, 0
	s_delay_alu instid0(SALU_CYCLE_1)
	s_and_b32 vcc_lo, exec_lo, s7
	s_cbranch_vccnz .LBB159_2139
; %bb.2137:
	s_load_b96 s[16:18], s[4:5], 0x4
	s_load_b128 s[12:15], s[0:1], 0xe4
	s_wait_kmcnt 0x0
	v_mul_hi_u32 v7, s17, v3
	s_delay_alu instid0(VALU_DEP_1) | instskip(NEXT) | instid1(VALU_DEP_1)
	v_add_nc_u32_e32 v7, v3, v7
	v_lshrrev_b32_e32 v7, s18, v7
	s_delay_alu instid0(VALU_DEP_1) | instskip(NEXT) | instid1(VALU_DEP_1)
	v_mul_lo_u32 v7, v7, s16
	v_sub_nc_u32_e32 v3, v3, v7
	s_delay_alu instid0(VALU_DEP_1)
	v_mad_u32 v2, v3, s12, v2
	v_mad_u32 v18, v3, s13, v18
	;; [unrolled: 1-line block ×4, first 2 shown]
	s_and_not1_b32 vcc_lo, exec_lo, s6
	s_cbranch_vccz .LBB159_2140
	s_branch .LBB159_2143
.LBB159_2138:
	s_mov_b32 s6, -1
                                        ; implicit-def: $vgpr18
                                        ; implicit-def: $vgpr2
                                        ; implicit-def: $vgpr14
                                        ; implicit-def: $vgpr16
.LBB159_2139:
	s_delay_alu instid0(SALU_CYCLE_1)
	s_and_not1_b32 vcc_lo, exec_lo, s6
	s_cbranch_vccnz .LBB159_2143
.LBB159_2140:
	s_clause 0x1
	s_load_b96 s[12:14], s[2:3], 0x4
	s_load_b128 s[4:7], s[2:3], 0xc4
	s_cmp_lt_u32 s33, 2
	s_wait_kmcnt 0x0
	v_mul_hi_u32 v2, s13, v0
	s_delay_alu instid0(VALU_DEP_1) | instskip(NEXT) | instid1(VALU_DEP_1)
	v_add_nc_u32_e32 v2, v0, v2
	v_lshrrev_b32_e32 v3, s14, v2
	s_delay_alu instid0(VALU_DEP_1) | instskip(NEXT) | instid1(VALU_DEP_1)
	v_mul_lo_u32 v2, v3, s12
	v_sub_nc_u32_e32 v0, v0, v2
	s_delay_alu instid0(VALU_DEP_1)
	v_mul_lo_u32 v18, v0, s5
	v_mul_lo_u32 v2, v0, s4
	v_mul_lo_u32 v14, v0, s7
	v_mul_lo_u32 v16, v0, s6
	s_cbranch_scc1 .LBB159_2143
; %bb.2141:
	s_clause 0x1
	s_load_b96 s[12:14], s[2:3], 0x10
	s_load_b128 s[4:7], s[2:3], 0xd4
	s_wait_kmcnt 0x0
	v_mul_hi_u32 v0, s13, v3
	s_delay_alu instid0(VALU_DEP_1) | instskip(NEXT) | instid1(VALU_DEP_1)
	v_add_nc_u32_e32 v0, v3, v0
	v_lshrrev_b32_e32 v0, s14, v0
	s_delay_alu instid0(VALU_DEP_1) | instskip(NEXT) | instid1(VALU_DEP_1)
	v_mul_lo_u32 v0, v0, s12
	v_sub_nc_u32_e32 v0, v3, v0
	s_delay_alu instid0(VALU_DEP_1)
	v_mad_u32 v2, v0, s4, v2
	v_mad_u32 v18, v0, s5, v18
	;; [unrolled: 1-line block ×4, first 2 shown]
	s_branch .LBB159_2143
.LBB159_2142:
	v_dual_mov_b32 v18, 0 :: v_dual_mov_b32 v2, 0
	v_dual_mov_b32 v14, 0 :: v_dual_mov_b32 v16, 0
	s_and_not1_b32 vcc_lo, exec_lo, s6
	s_cbranch_vccz .LBB159_2140
.LBB159_2143:
	v_cmp_ne_u32_e32 vcc_lo, 1, v1
	s_cbranch_vccnz .LBB159_2149
; %bb.2144:
	s_cmp_lg_u32 s33, 0
	s_mov_b32 s6, 0
	s_cbranch_scc0 .LBB159_2153
; %bb.2145:
	s_min_u32 s7, s34, 15
	v_dual_mov_b32 v10, 0 :: v_dual_mov_b32 v1, v5
	v_dual_mov_b32 v8, 0 :: v_dual_mov_b32 v0, 0
	v_mov_b32_e32 v12, 0
	s_add_co_i32 s4, s7, 1
	s_mov_b64 s[0:1], 0xffffffffffffffe0
	s_and_b32 s8, s4, 30
	s_add_nc_u64 s[0:1], s[2:3], s[0:1]
	s_mov_b64 s[4:5], s[2:3]
.LBB159_2146:                           ; =>This Inner Loop Header: Depth=1
	s_clause 0x1
	s_load_b128 s[20:23], s[4:5], 0x4
	s_load_b64 s[24:25], s[4:5], 0x14
	s_load_b256 s[12:19], s[0:1], 0xe4
	s_add_co_i32 s8, s8, -2
	s_wait_xcnt 0x0
	s_add_nc_u64 s[4:5], s[4:5], 24
	s_cmp_lg_u32 s8, 0
	s_add_nc_u64 s[0:1], s[0:1], 32
	s_wait_kmcnt 0x0
	v_mul_hi_u32 v3, s21, v1
	s_delay_alu instid0(VALU_DEP_1) | instskip(NEXT) | instid1(VALU_DEP_1)
	v_add_nc_u32_e32 v3, v1, v3
	v_lshrrev_b32_e32 v3, s22, v3
	s_delay_alu instid0(VALU_DEP_1) | instskip(SKIP_1) | instid1(VALU_DEP_1)
	v_mul_hi_u32 v7, s24, v3
	v_mul_lo_u32 v9, v3, s20
	v_dual_add_nc_u32 v7, v3, v7 :: v_dual_sub_nc_u32 v9, v1, v9
	s_delay_alu instid0(VALU_DEP_1) | instskip(NEXT) | instid1(VALU_DEP_2)
	v_lshrrev_b32_e32 v1, s25, v7
	v_mad_u32 v11, v9, s13, v12
	v_mad_u32 v0, v9, s12, v0
	;; [unrolled: 1-line block ×4, first 2 shown]
	v_mul_lo_u32 v7, v1, s23
	s_delay_alu instid0(VALU_DEP_1) | instskip(NEXT) | instid1(VALU_DEP_1)
	v_sub_nc_u32_e32 v3, v3, v7
	v_mad_u32 v12, v3, s17, v11
	v_mad_u32 v0, v3, s16, v0
	;; [unrolled: 1-line block ×4, first 2 shown]
	s_cbranch_scc1 .LBB159_2146
; %bb.2147:
	s_bitcmp1_b32 s7, 0
	s_cselect_b32 s7, -1, 0
	s_delay_alu instid0(SALU_CYCLE_1)
	s_and_b32 vcc_lo, exec_lo, s7
	s_cbranch_vccnz .LBB159_2150
; %bb.2148:
	s_load_b96 s[16:18], s[4:5], 0x4
	s_load_b128 s[12:15], s[0:1], 0xe4
	s_wait_kmcnt 0x0
	v_mul_hi_u32 v3, s17, v1
	s_delay_alu instid0(VALU_DEP_1) | instskip(NEXT) | instid1(VALU_DEP_1)
	v_add_nc_u32_e32 v3, v1, v3
	v_lshrrev_b32_e32 v3, s18, v3
	s_delay_alu instid0(VALU_DEP_1) | instskip(NEXT) | instid1(VALU_DEP_1)
	v_mul_lo_u32 v3, v3, s16
	v_sub_nc_u32_e32 v1, v1, v3
	s_delay_alu instid0(VALU_DEP_1)
	v_mad_u32 v0, v1, s12, v0
	v_mad_u32 v12, v1, s13, v12
	;; [unrolled: 1-line block ×4, first 2 shown]
	s_and_not1_b32 vcc_lo, exec_lo, s6
	s_cbranch_vccz .LBB159_2151
	s_branch .LBB159_2154
.LBB159_2149:
	s_mov_b32 s6, -1
                                        ; implicit-def: $vgpr12
                                        ; implicit-def: $vgpr0
                                        ; implicit-def: $vgpr8
                                        ; implicit-def: $vgpr10
.LBB159_2150:
	s_delay_alu instid0(SALU_CYCLE_1)
	s_and_not1_b32 vcc_lo, exec_lo, s6
	s_cbranch_vccnz .LBB159_2154
.LBB159_2151:
	s_clause 0x1
	s_load_b96 s[12:14], s[2:3], 0x4
	s_load_b128 s[4:7], s[2:3], 0xc4
	s_cmp_lt_u32 s33, 2
	s_wait_kmcnt 0x0
	v_mul_hi_u32 v0, s13, v5
	s_delay_alu instid0(VALU_DEP_1) | instskip(NEXT) | instid1(VALU_DEP_1)
	v_add_nc_u32_e32 v0, v5, v0
	v_lshrrev_b32_e32 v1, s14, v0
	s_delay_alu instid0(VALU_DEP_1) | instskip(NEXT) | instid1(VALU_DEP_1)
	v_mul_lo_u32 v0, v1, s12
	v_sub_nc_u32_e32 v3, v5, v0
	s_delay_alu instid0(VALU_DEP_1)
	v_mul_lo_u32 v12, v3, s5
	v_mul_lo_u32 v0, v3, s4
	;; [unrolled: 1-line block ×4, first 2 shown]
	s_cbranch_scc1 .LBB159_2154
; %bb.2152:
	s_clause 0x1
	s_load_b96 s[12:14], s[2:3], 0x10
	s_load_b128 s[4:7], s[2:3], 0xd4
	s_wait_kmcnt 0x0
	v_mul_hi_u32 v3, s13, v1
	s_delay_alu instid0(VALU_DEP_1) | instskip(NEXT) | instid1(VALU_DEP_1)
	v_add_nc_u32_e32 v3, v1, v3
	v_lshrrev_b32_e32 v3, s14, v3
	s_delay_alu instid0(VALU_DEP_1) | instskip(NEXT) | instid1(VALU_DEP_1)
	v_mul_lo_u32 v3, v3, s12
	v_sub_nc_u32_e32 v1, v1, v3
	s_delay_alu instid0(VALU_DEP_1)
	v_mad_u32 v0, v1, s4, v0
	v_mad_u32 v12, v1, s5, v12
	;; [unrolled: 1-line block ×4, first 2 shown]
	s_branch .LBB159_2154
.LBB159_2153:
	v_dual_mov_b32 v12, 0 :: v_dual_mov_b32 v0, 0
	v_dual_mov_b32 v8, 0 :: v_dual_mov_b32 v10, 0
	s_and_not1_b32 vcc_lo, exec_lo, s6
	s_cbranch_vccz .LBB159_2151
.LBB159_2154:
	v_mov_b32_e32 v31, 0
	s_load_b128 s[4:7], s[2:3], 0x1c8
	global_load_u8 v1, v31, s[2:3] offset:490
	s_wait_kmcnt 0x0
	v_add_nc_u64_e32 v[30:31], s[6:7], v[30:31]
	s_wait_loadcnt 0x0
	v_and_b32_e32 v3, 0xffff, v1
	v_readfirstlane_b32 s13, v1
	s_delay_alu instid0(VALU_DEP_2)
	v_cmp_gt_i32_e32 vcc_lo, 11, v3
	s_cbranch_vccnz .LBB159_2161
; %bb.2155:
	s_and_b32 s0, 0xffff, s13
	s_mov_b32 s8, 0
	s_cmp_gt_i32 s0, 25
	s_cbranch_scc0 .LBB159_2163
; %bb.2156:
	s_cmp_gt_i32 s0, 28
	s_cbranch_scc0 .LBB159_2164
; %bb.2157:
	s_cmp_gt_i32 s0, 43
	s_cbranch_scc0 .LBB159_2165
; %bb.2158:
	s_cmp_gt_i32 s0, 45
	s_cbranch_scc0 .LBB159_2166
; %bb.2159:
	s_cmp_eq_u32 s0, 46
	s_mov_b32 s12, 0
	s_cbranch_scc0 .LBB159_2169
; %bb.2160:
	global_load_b32 v1, v[30:31], off
	s_mov_b32 s1, 0
	s_mov_b32 s9, -1
	s_wait_loadcnt 0x0
	v_lshlrev_b32_e32 v1, 16, v1
	s_delay_alu instid0(VALU_DEP_1)
	v_cvt_f16_f32_e32 v1, v1
	s_branch .LBB159_2171
.LBB159_2161:
	s_mov_b32 s9, 0
	s_mov_b32 s12, s10
                                        ; implicit-def: $vgpr1
	s_cbranch_execnz .LBB159_2234
.LBB159_2162:
	s_and_not1_b32 vcc_lo, exec_lo, s9
	s_cbranch_vccz .LBB159_2279
	s_branch .LBB159_4155
.LBB159_2163:
	s_mov_b32 s9, 0
	s_mov_b32 s1, 0
                                        ; implicit-def: $vgpr1
	s_cbranch_execnz .LBB159_2199
	s_branch .LBB159_2230
.LBB159_2164:
	s_mov_b32 s12, -1
	s_mov_b32 s9, 0
	s_mov_b32 s1, 0
                                        ; implicit-def: $vgpr1
	s_branch .LBB159_2180
.LBB159_2165:
	s_mov_b32 s9, 0
	s_mov_b32 s1, 0
                                        ; implicit-def: $vgpr1
	s_cbranch_execnz .LBB159_2176
	s_branch .LBB159_2179
.LBB159_2166:
	s_mov_b32 s12, -1
	s_mov_b32 s9, 0
	s_mov_b32 s1, 0
	s_branch .LBB159_2170
.LBB159_2167:
	s_and_not1_saveexec_b32 s9, s9
	s_cbranch_execz .LBB159_2022
.LBB159_2168:
	v_add_f32_e64 v4, 0x46000000, |v2|
	s_and_not1_b32 s8, s8, exec_lo
	s_delay_alu instid0(VALU_DEP_1) | instskip(NEXT) | instid1(VALU_DEP_1)
	v_and_b32_e32 v4, 0xff, v4
	v_cmp_ne_u32_e32 vcc_lo, 0, v4
	s_and_b32 s10, vcc_lo, exec_lo
	s_delay_alu instid0(SALU_CYCLE_1)
	s_or_b32 s8, s8, s10
	s_or_b32 exec_lo, exec_lo, s9
	v_mov_b32_e32 v5, 0
	s_and_saveexec_b32 s9, s8
	s_cbranch_execnz .LBB159_2023
	s_branch .LBB159_2024
.LBB159_2169:
	s_mov_b32 s1, -1
	s_mov_b32 s9, 0
.LBB159_2170:
                                        ; implicit-def: $vgpr1
.LBB159_2171:
	s_and_b32 vcc_lo, exec_lo, s12
	s_cbranch_vccz .LBB159_2174
; %bb.2172:
	s_cmp_eq_u32 s0, 44
	s_cbranch_scc0 .LBB159_2175
; %bb.2173:
	global_load_u8 v1, v[30:31], off
	s_mov_b32 s1, 0
	s_mov_b32 s9, -1
	s_wait_loadcnt 0x0
	v_lshlrev_b32_e32 v3, 23, v1
	v_cmp_ne_u32_e32 vcc_lo, 0xff, v1
	s_delay_alu instid0(VALU_DEP_2) | instskip(NEXT) | instid1(VALU_DEP_1)
	v_cvt_f16_f32_e32 v3, v3
	v_cndmask_b32_e32 v3, 0x7e00, v3, vcc_lo
	v_cmp_ne_u32_e32 vcc_lo, 0, v1
	s_delay_alu instid0(VALU_DEP_2)
	v_cndmask_b32_e32 v1, 0, v3, vcc_lo
.LBB159_2174:
	s_branch .LBB159_2179
.LBB159_2175:
	s_mov_b32 s1, -1
                                        ; implicit-def: $vgpr1
	s_branch .LBB159_2179
.LBB159_2176:
	s_cmp_eq_u32 s0, 29
	s_cbranch_scc0 .LBB159_2178
; %bb.2177:
	global_load_b64 v[32:33], v[30:31], off
	s_mov_b32 s1, 0
	s_mov_b32 s9, -1
	s_mov_b32 s12, 0
	s_wait_loadcnt 0x0
	v_clz_i32_u32_e32 v1, v33
	s_delay_alu instid0(VALU_DEP_1) | instskip(NEXT) | instid1(VALU_DEP_1)
	v_min_u32_e32 v1, 32, v1
	v_lshlrev_b64_e32 v[32:33], v1, v[32:33]
	v_sub_nc_u32_e32 v1, 32, v1
	s_delay_alu instid0(VALU_DEP_2) | instskip(NEXT) | instid1(VALU_DEP_1)
	v_min_u32_e32 v3, 1, v32
	v_or_b32_e32 v3, v33, v3
	s_delay_alu instid0(VALU_DEP_1) | instskip(NEXT) | instid1(VALU_DEP_1)
	v_cvt_f32_u32_e32 v3, v3
	v_ldexp_f32 v1, v3, v1
	s_delay_alu instid0(VALU_DEP_1)
	v_cvt_f16_f32_e32 v1, v1
	s_branch .LBB159_2180
.LBB159_2178:
	s_mov_b32 s1, -1
                                        ; implicit-def: $vgpr1
.LBB159_2179:
	s_mov_b32 s12, 0
.LBB159_2180:
	s_delay_alu instid0(SALU_CYCLE_1)
	s_and_b32 vcc_lo, exec_lo, s12
	s_cbranch_vccz .LBB159_2198
; %bb.2181:
	s_cmp_lt_i32 s0, 27
	s_cbranch_scc1 .LBB159_2184
; %bb.2182:
	s_cmp_gt_i32 s0, 27
	s_cbranch_scc0 .LBB159_2185
; %bb.2183:
	global_load_b32 v1, v[30:31], off
	s_mov_b32 s9, 0
	s_wait_loadcnt 0x0
	v_cvt_f32_u32_e32 v1, v1
	s_delay_alu instid0(VALU_DEP_1)
	v_cvt_f16_f32_e32 v1, v1
	s_branch .LBB159_2186
.LBB159_2184:
	s_mov_b32 s9, -1
                                        ; implicit-def: $vgpr1
	s_branch .LBB159_2189
.LBB159_2185:
	s_mov_b32 s9, -1
                                        ; implicit-def: $vgpr1
.LBB159_2186:
	s_delay_alu instid0(SALU_CYCLE_1)
	s_and_not1_b32 vcc_lo, exec_lo, s9
	s_cbranch_vccnz .LBB159_2188
; %bb.2187:
	global_load_u16 v1, v[30:31], off
	s_wait_loadcnt 0x0
	v_cvt_f16_u16_e32 v1, v1
.LBB159_2188:
	s_mov_b32 s9, 0
.LBB159_2189:
	s_delay_alu instid0(SALU_CYCLE_1)
	s_and_not1_b32 vcc_lo, exec_lo, s9
	s_cbranch_vccnz .LBB159_2197
; %bb.2190:
	global_load_u8 v3, v[30:31], off
	s_mov_b32 s9, 0
	s_mov_b32 s12, exec_lo
	s_wait_loadcnt 0x0
	v_cmpx_lt_i16_e32 0x7f, v3
	s_xor_b32 s12, exec_lo, s12
	s_cbranch_execz .LBB159_2210
; %bb.2191:
	s_mov_b32 s9, -1
	s_mov_b32 s14, exec_lo
	v_cmpx_eq_u16_e32 0x80, v3
; %bb.2192:
	s_xor_b32 s9, exec_lo, -1
; %bb.2193:
	s_or_b32 exec_lo, exec_lo, s14
	s_delay_alu instid0(SALU_CYCLE_1)
	s_and_b32 s9, s9, exec_lo
	s_or_saveexec_b32 s12, s12
	v_mov_b32_e32 v1, 0x7e00
	s_xor_b32 exec_lo, exec_lo, s12
	s_cbranch_execnz .LBB159_2211
.LBB159_2194:
	s_or_b32 exec_lo, exec_lo, s12
	s_and_saveexec_b32 s12, s9
	s_cbranch_execz .LBB159_2196
.LBB159_2195:
	v_and_b32_e32 v1, 0xffff, v3
	s_delay_alu instid0(VALU_DEP_1) | instskip(SKIP_1) | instid1(VALU_DEP_2)
	v_and_b32_e32 v5, 7, v1
	v_bfe_u32 v11, v1, 3, 4
	v_clz_i32_u32_e32 v7, v5
	s_delay_alu instid0(VALU_DEP_2) | instskip(NEXT) | instid1(VALU_DEP_2)
	v_cmp_eq_u32_e32 vcc_lo, 0, v11
	v_min_u32_e32 v7, 32, v7
	s_delay_alu instid0(VALU_DEP_1) | instskip(NEXT) | instid1(VALU_DEP_1)
	v_subrev_nc_u32_e32 v9, 28, v7
	v_dual_lshlrev_b32 v1, v9, v1 :: v_dual_sub_nc_u32 v7, 29, v7
	s_delay_alu instid0(VALU_DEP_1) | instskip(NEXT) | instid1(VALU_DEP_1)
	v_dual_lshlrev_b32 v3, 24, v3 :: v_dual_bitop2_b32 v1, 7, v1 bitop3:0x40
	v_dual_cndmask_b32 v1, v5, v1, vcc_lo :: v_dual_cndmask_b32 v7, v11, v7, vcc_lo
	s_delay_alu instid0(VALU_DEP_2) | instskip(NEXT) | instid1(VALU_DEP_2)
	v_and_b32_e32 v3, 0x80000000, v3
	v_lshlrev_b32_e32 v1, 20, v1
	s_delay_alu instid0(VALU_DEP_3) | instskip(NEXT) | instid1(VALU_DEP_1)
	v_lshl_add_u32 v5, v7, 23, 0x3b800000
	v_or3_b32 v1, v3, v5, v1
	s_delay_alu instid0(VALU_DEP_1)
	v_cvt_f16_f32_e32 v1, v1
.LBB159_2196:
	s_or_b32 exec_lo, exec_lo, s12
.LBB159_2197:
	s_mov_b32 s9, -1
.LBB159_2198:
	s_branch .LBB159_2230
.LBB159_2199:
	s_cmp_gt_i32 s0, 22
	s_cbranch_scc0 .LBB159_2209
; %bb.2200:
	s_cmp_lt_i32 s0, 24
	s_cbranch_scc1 .LBB159_2212
; %bb.2201:
	s_cmp_gt_i32 s0, 24
	s_cbranch_scc0 .LBB159_2213
; %bb.2202:
	global_load_u8 v3, v[30:31], off
	s_mov_b32 s9, exec_lo
	s_wait_loadcnt 0x0
	v_cmpx_lt_i16_e32 0x7f, v3
	s_xor_b32 s9, exec_lo, s9
	s_cbranch_execz .LBB159_2224
; %bb.2203:
	s_mov_b32 s8, -1
	s_mov_b32 s12, exec_lo
	v_cmpx_eq_u16_e32 0x80, v3
; %bb.2204:
	s_xor_b32 s8, exec_lo, -1
; %bb.2205:
	s_or_b32 exec_lo, exec_lo, s12
	s_delay_alu instid0(SALU_CYCLE_1)
	s_and_b32 s8, s8, exec_lo
	s_or_saveexec_b32 s9, s9
	v_mov_b32_e32 v1, 0x7e00
	s_xor_b32 exec_lo, exec_lo, s9
	s_cbranch_execnz .LBB159_2225
.LBB159_2206:
	s_or_b32 exec_lo, exec_lo, s9
	s_and_saveexec_b32 s9, s8
	s_cbranch_execz .LBB159_2208
.LBB159_2207:
	v_and_b32_e32 v1, 0xffff, v3
	s_delay_alu instid0(VALU_DEP_1) | instskip(SKIP_1) | instid1(VALU_DEP_2)
	v_and_b32_e32 v5, 3, v1
	v_bfe_u32 v11, v1, 2, 5
	v_clz_i32_u32_e32 v7, v5
	s_delay_alu instid0(VALU_DEP_2) | instskip(NEXT) | instid1(VALU_DEP_2)
	v_cmp_eq_u32_e32 vcc_lo, 0, v11
	v_min_u32_e32 v7, 32, v7
	s_delay_alu instid0(VALU_DEP_1) | instskip(NEXT) | instid1(VALU_DEP_1)
	v_subrev_nc_u32_e32 v9, 29, v7
	v_dual_lshlrev_b32 v1, v9, v1 :: v_dual_sub_nc_u32 v7, 30, v7
	s_delay_alu instid0(VALU_DEP_1) | instskip(NEXT) | instid1(VALU_DEP_1)
	v_dual_lshlrev_b32 v3, 24, v3 :: v_dual_bitop2_b32 v1, 3, v1 bitop3:0x40
	v_dual_cndmask_b32 v1, v5, v1, vcc_lo :: v_dual_cndmask_b32 v7, v11, v7, vcc_lo
	s_delay_alu instid0(VALU_DEP_2) | instskip(NEXT) | instid1(VALU_DEP_2)
	v_and_b32_e32 v3, 0x80000000, v3
	v_lshlrev_b32_e32 v1, 21, v1
	s_delay_alu instid0(VALU_DEP_3) | instskip(NEXT) | instid1(VALU_DEP_1)
	v_lshl_add_u32 v5, v7, 23, 0x37800000
	v_or3_b32 v1, v3, v5, v1
	s_delay_alu instid0(VALU_DEP_1)
	v_cvt_f16_f32_e32 v1, v1
.LBB159_2208:
	s_or_b32 exec_lo, exec_lo, s9
	s_mov_b32 s8, 0
	s_branch .LBB159_2214
.LBB159_2209:
                                        ; implicit-def: $vgpr1
	s_mov_b32 s8, 0
	s_branch .LBB159_2220
.LBB159_2210:
	s_or_saveexec_b32 s12, s12
	v_mov_b32_e32 v1, 0x7e00
	s_xor_b32 exec_lo, exec_lo, s12
	s_cbranch_execz .LBB159_2194
.LBB159_2211:
	v_cmp_ne_u16_e32 vcc_lo, 0, v3
	v_mov_b32_e32 v1, v3
	s_and_not1_b32 s9, s9, exec_lo
	s_and_b32 s14, vcc_lo, exec_lo
	s_delay_alu instid0(SALU_CYCLE_1)
	s_or_b32 s9, s9, s14
	s_or_b32 exec_lo, exec_lo, s12
	s_and_saveexec_b32 s12, s9
	s_cbranch_execnz .LBB159_2195
	s_branch .LBB159_2196
.LBB159_2212:
	s_mov_b32 s8, -1
                                        ; implicit-def: $vgpr1
	s_branch .LBB159_2217
.LBB159_2213:
	s_mov_b32 s8, -1
                                        ; implicit-def: $vgpr1
.LBB159_2214:
	s_delay_alu instid0(SALU_CYCLE_1)
	s_and_b32 vcc_lo, exec_lo, s8
	s_cbranch_vccz .LBB159_2216
; %bb.2215:
	global_load_u8 v1, v[30:31], off
	s_wait_loadcnt 0x0
	v_lshlrev_b32_e32 v1, 24, v1
	s_delay_alu instid0(VALU_DEP_1) | instskip(NEXT) | instid1(VALU_DEP_1)
	v_and_b32_e32 v3, 0x7f000000, v1
	v_clz_i32_u32_e32 v5, v3
	v_add_nc_u32_e32 v9, 0x1000000, v3
	v_cmp_ne_u32_e32 vcc_lo, 0, v3
	s_delay_alu instid0(VALU_DEP_3) | instskip(NEXT) | instid1(VALU_DEP_1)
	v_min_u32_e32 v5, 32, v5
	v_sub_nc_u32_e64 v5, v5, 4 clamp
	s_delay_alu instid0(VALU_DEP_1) | instskip(NEXT) | instid1(VALU_DEP_1)
	v_dual_lshlrev_b32 v7, v5, v3 :: v_dual_lshlrev_b32 v5, 23, v5
	v_lshrrev_b32_e32 v7, 4, v7
	s_delay_alu instid0(VALU_DEP_1) | instskip(SKIP_1) | instid1(VALU_DEP_2)
	v_sub_nc_u32_e32 v5, v7, v5
	v_ashrrev_i32_e32 v7, 8, v9
	v_add_nc_u32_e32 v5, 0x3c000000, v5
	s_delay_alu instid0(VALU_DEP_1) | instskip(NEXT) | instid1(VALU_DEP_1)
	v_and_or_b32 v5, 0x7f800000, v7, v5
	v_cndmask_b32_e32 v3, 0, v5, vcc_lo
	s_delay_alu instid0(VALU_DEP_1) | instskip(NEXT) | instid1(VALU_DEP_1)
	v_and_or_b32 v1, 0x80000000, v1, v3
	v_cvt_f16_f32_e32 v1, v1
.LBB159_2216:
	s_mov_b32 s8, 0
.LBB159_2217:
	s_delay_alu instid0(SALU_CYCLE_1)
	s_and_not1_b32 vcc_lo, exec_lo, s8
	s_cbranch_vccnz .LBB159_2219
; %bb.2218:
	global_load_u8 v1, v[30:31], off
	s_wait_loadcnt 0x0
	v_lshlrev_b32_e32 v3, 25, v1
	v_lshlrev_b16 v1, 8, v1
	s_delay_alu instid0(VALU_DEP_1) | instskip(SKIP_1) | instid1(VALU_DEP_2)
	v_and_or_b32 v7, 0x7f00, v1, 0.5
	v_bfe_i32 v1, v1, 0, 16
	v_add_f32_e32 v7, -0.5, v7
	v_lshrrev_b32_e32 v5, 4, v3
	v_cmp_gt_u32_e32 vcc_lo, 0x8000000, v3
	s_delay_alu instid0(VALU_DEP_2) | instskip(NEXT) | instid1(VALU_DEP_1)
	v_or_b32_e32 v5, 0x70000000, v5
	v_mul_f32_e32 v5, 0x7800000, v5
	s_delay_alu instid0(VALU_DEP_1) | instskip(NEXT) | instid1(VALU_DEP_1)
	v_cndmask_b32_e32 v3, v5, v7, vcc_lo
	v_and_or_b32 v1, 0x80000000, v1, v3
	s_delay_alu instid0(VALU_DEP_1)
	v_cvt_f16_f32_e32 v1, v1
.LBB159_2219:
	s_mov_b32 s9, -1
	s_mov_b32 s8, 0
	s_cbranch_execnz .LBB159_2230
.LBB159_2220:
	s_cmp_gt_i32 s0, 14
	s_cbranch_scc0 .LBB159_2223
; %bb.2221:
	s_cmp_eq_u32 s0, 15
	s_cbranch_scc0 .LBB159_2226
; %bb.2222:
	global_load_u16 v1, v[30:31], off
	s_mov_b32 s1, 0
	s_mov_b32 s9, -1
	s_wait_loadcnt 0x0
	v_lshlrev_b32_e32 v1, 16, v1
	s_delay_alu instid0(VALU_DEP_1)
	v_cvt_f16_f32_e32 v1, v1
	s_branch .LBB159_2228
.LBB159_2223:
	s_mov_b32 s8, -1
	s_branch .LBB159_2227
.LBB159_2224:
	s_or_saveexec_b32 s9, s9
	v_mov_b32_e32 v1, 0x7e00
	s_xor_b32 exec_lo, exec_lo, s9
	s_cbranch_execz .LBB159_2206
.LBB159_2225:
	v_cmp_ne_u16_e32 vcc_lo, 0, v3
	v_mov_b32_e32 v1, v3
	s_and_not1_b32 s8, s8, exec_lo
	s_and_b32 s12, vcc_lo, exec_lo
	s_delay_alu instid0(SALU_CYCLE_1)
	s_or_b32 s8, s8, s12
	s_or_b32 exec_lo, exec_lo, s9
	s_and_saveexec_b32 s9, s8
	s_cbranch_execnz .LBB159_2207
	s_branch .LBB159_2208
.LBB159_2226:
	s_mov_b32 s1, -1
.LBB159_2227:
                                        ; implicit-def: $vgpr1
.LBB159_2228:
	s_and_b32 vcc_lo, exec_lo, s8
	s_mov_b32 s8, 0
	s_cbranch_vccz .LBB159_2230
; %bb.2229:
	s_cmp_lg_u32 s0, 11
	s_mov_b32 s8, -1
	s_cselect_b32 s1, -1, 0
.LBB159_2230:
	s_delay_alu instid0(SALU_CYCLE_1)
	s_and_b32 vcc_lo, exec_lo, s1
	s_mov_b32 s12, s10
	s_cbranch_vccnz .LBB159_2291
; %bb.2231:
	s_and_not1_b32 vcc_lo, exec_lo, s8
	s_cbranch_vccnz .LBB159_2233
.LBB159_2232:
	global_load_u8 v1, v[30:31], off
	s_mov_b32 s9, -1
	s_wait_loadcnt 0x0
	v_cmp_ne_u16_e32 vcc_lo, 0, v1
	v_cndmask_b32_e64 v1, 0, 0x3c00, vcc_lo
.LBB159_2233:
	s_branch .LBB159_2162
.LBB159_2234:
	s_and_b32 s0, 0xffff, s13
	s_delay_alu instid0(SALU_CYCLE_1)
	s_cmp_lt_i32 s0, 5
	s_cbranch_scc1 .LBB159_2239
; %bb.2235:
	s_cmp_lt_i32 s0, 8
	s_cbranch_scc1 .LBB159_2240
; %bb.2236:
	;; [unrolled: 3-line block ×3, first 2 shown]
	s_cmp_gt_i32 s0, 9
	s_cbranch_scc0 .LBB159_2242
; %bb.2238:
	global_load_b64 v[32:33], v[30:31], off
	s_mov_b32 s1, 0
	s_wait_loadcnt 0x0
	v_and_or_b32 v1, 0x1ff, v33, v32
	v_lshrrev_b32_e32 v3, 8, v33
	v_bfe_u32 v5, v33, 20, 11
	s_delay_alu instid0(VALU_DEP_3) | instskip(NEXT) | instid1(VALU_DEP_2)
	v_cmp_ne_u32_e32 vcc_lo, 0, v1
	v_sub_nc_u32_e32 v7, 0x3f1, v5
	v_add_nc_u32_e32 v5, 0xfffffc10, v5
	v_cndmask_b32_e64 v1, 0, 1, vcc_lo
	s_delay_alu instid0(VALU_DEP_1) | instskip(NEXT) | instid1(VALU_DEP_4)
	v_and_or_b32 v1, 0xffe, v3, v1
	v_med3_i32 v3, v7, 0, 13
	s_delay_alu instid0(VALU_DEP_2) | instskip(NEXT) | instid1(VALU_DEP_1)
	v_or_b32_e32 v7, 0x1000, v1
	v_lshrrev_b32_e32 v9, v3, v7
	s_delay_alu instid0(VALU_DEP_1) | instskip(NEXT) | instid1(VALU_DEP_1)
	v_lshlrev_b32_e32 v3, v3, v9
	v_cmp_ne_u32_e32 vcc_lo, v3, v7
	v_lshl_or_b32 v7, v5, 12, v1
	v_cndmask_b32_e64 v3, 0, 1, vcc_lo
	v_cmp_gt_i32_e32 vcc_lo, 1, v5
	s_delay_alu instid0(VALU_DEP_2) | instskip(NEXT) | instid1(VALU_DEP_1)
	v_or_b32_e32 v3, v9, v3
	v_cndmask_b32_e32 v3, v7, v3, vcc_lo
	s_delay_alu instid0(VALU_DEP_1) | instskip(NEXT) | instid1(VALU_DEP_1)
	v_and_b32_e32 v7, 7, v3
	v_cmp_lt_i32_e32 vcc_lo, 5, v7
	v_cndmask_b32_e64 v9, 0, 1, vcc_lo
	v_cmp_eq_u32_e32 vcc_lo, 3, v7
	v_cndmask_b32_e64 v7, 0, 1, vcc_lo
	v_cmp_ne_u32_e32 vcc_lo, 0, v1
	s_delay_alu instid0(VALU_DEP_2) | instskip(SKIP_1) | instid1(VALU_DEP_2)
	v_dual_lshrrev_b32 v3, 2, v3 :: v_dual_bitop2_b32 v7, v7, v9 bitop3:0x54
	v_mov_b32_e32 v9, 0x7e00
	v_add_nc_u32_e32 v3, v3, v7
	s_delay_alu instid0(VALU_DEP_2) | instskip(SKIP_1) | instid1(VALU_DEP_3)
	v_cndmask_b32_e32 v1, 0x7c00, v9, vcc_lo
	v_cmp_gt_i32_e32 vcc_lo, 31, v5
	v_cndmask_b32_e32 v3, 0x7c00, v3, vcc_lo
	v_cmp_eq_u32_e32 vcc_lo, 0x40f, v5
	s_delay_alu instid0(VALU_DEP_2) | instskip(SKIP_1) | instid1(VALU_DEP_1)
	v_cndmask_b32_e32 v1, v3, v1, vcc_lo
	v_lshrrev_b32_e32 v3, 16, v33
	v_and_or_b32 v1, 0x8000, v3, v1
	s_branch .LBB159_2243
.LBB159_2239:
                                        ; implicit-def: $vgpr1
	s_branch .LBB159_2260
.LBB159_2240:
                                        ; implicit-def: $vgpr1
	s_branch .LBB159_2249
.LBB159_2241:
	s_mov_b32 s1, -1
                                        ; implicit-def: $vgpr1
	s_branch .LBB159_2246
.LBB159_2242:
	s_mov_b32 s1, -1
                                        ; implicit-def: $vgpr1
.LBB159_2243:
	s_delay_alu instid0(SALU_CYCLE_1)
	s_and_not1_b32 vcc_lo, exec_lo, s1
	s_cbranch_vccnz .LBB159_2245
; %bb.2244:
	global_load_b32 v1, v[30:31], off
	s_wait_loadcnt 0x0
	v_cvt_f16_f32_e32 v1, v1
.LBB159_2245:
	s_mov_b32 s1, 0
.LBB159_2246:
	s_delay_alu instid0(SALU_CYCLE_1)
	s_and_not1_b32 vcc_lo, exec_lo, s1
	s_cbranch_vccnz .LBB159_2248
; %bb.2247:
	global_load_b32 v1, v[30:31], off
.LBB159_2248:
	s_cbranch_execnz .LBB159_2259
.LBB159_2249:
	s_cmp_lt_i32 s0, 6
	s_cbranch_scc1 .LBB159_2252
; %bb.2250:
	s_cmp_gt_i32 s0, 6
	s_cbranch_scc0 .LBB159_2253
; %bb.2251:
	global_load_b64 v[32:33], v[30:31], off
	s_mov_b32 s1, 0
	s_wait_loadcnt 0x0
	v_and_or_b32 v1, 0x1ff, v33, v32
	v_lshrrev_b32_e32 v3, 8, v33
	v_bfe_u32 v5, v33, 20, 11
	s_delay_alu instid0(VALU_DEP_3) | instskip(NEXT) | instid1(VALU_DEP_2)
	v_cmp_ne_u32_e32 vcc_lo, 0, v1
	v_sub_nc_u32_e32 v7, 0x3f1, v5
	v_add_nc_u32_e32 v5, 0xfffffc10, v5
	v_cndmask_b32_e64 v1, 0, 1, vcc_lo
	s_delay_alu instid0(VALU_DEP_1) | instskip(NEXT) | instid1(VALU_DEP_4)
	v_and_or_b32 v1, 0xffe, v3, v1
	v_med3_i32 v3, v7, 0, 13
	s_delay_alu instid0(VALU_DEP_2) | instskip(NEXT) | instid1(VALU_DEP_1)
	v_or_b32_e32 v7, 0x1000, v1
	v_lshrrev_b32_e32 v9, v3, v7
	s_delay_alu instid0(VALU_DEP_1) | instskip(NEXT) | instid1(VALU_DEP_1)
	v_lshlrev_b32_e32 v3, v3, v9
	v_cmp_ne_u32_e32 vcc_lo, v3, v7
	v_lshl_or_b32 v7, v5, 12, v1
	v_cndmask_b32_e64 v3, 0, 1, vcc_lo
	v_cmp_gt_i32_e32 vcc_lo, 1, v5
	s_delay_alu instid0(VALU_DEP_2) | instskip(NEXT) | instid1(VALU_DEP_1)
	v_or_b32_e32 v3, v9, v3
	v_cndmask_b32_e32 v3, v7, v3, vcc_lo
	s_delay_alu instid0(VALU_DEP_1) | instskip(NEXT) | instid1(VALU_DEP_1)
	v_and_b32_e32 v7, 7, v3
	v_cmp_lt_i32_e32 vcc_lo, 5, v7
	v_cndmask_b32_e64 v9, 0, 1, vcc_lo
	v_cmp_eq_u32_e32 vcc_lo, 3, v7
	v_cndmask_b32_e64 v7, 0, 1, vcc_lo
	v_cmp_ne_u32_e32 vcc_lo, 0, v1
	s_delay_alu instid0(VALU_DEP_2) | instskip(SKIP_1) | instid1(VALU_DEP_2)
	v_dual_lshrrev_b32 v3, 2, v3 :: v_dual_bitop2_b32 v7, v7, v9 bitop3:0x54
	v_mov_b32_e32 v9, 0x7e00
	v_add_nc_u32_e32 v3, v3, v7
	s_delay_alu instid0(VALU_DEP_2) | instskip(SKIP_1) | instid1(VALU_DEP_3)
	v_cndmask_b32_e32 v1, 0x7c00, v9, vcc_lo
	v_cmp_gt_i32_e32 vcc_lo, 31, v5
	v_cndmask_b32_e32 v3, 0x7c00, v3, vcc_lo
	v_cmp_eq_u32_e32 vcc_lo, 0x40f, v5
	s_delay_alu instid0(VALU_DEP_2) | instskip(SKIP_1) | instid1(VALU_DEP_1)
	v_cndmask_b32_e32 v1, v3, v1, vcc_lo
	v_lshrrev_b32_e32 v3, 16, v33
	v_and_or_b32 v1, 0x8000, v3, v1
	s_branch .LBB159_2254
.LBB159_2252:
	s_mov_b32 s1, -1
                                        ; implicit-def: $vgpr1
	s_branch .LBB159_2257
.LBB159_2253:
	s_mov_b32 s1, -1
                                        ; implicit-def: $vgpr1
.LBB159_2254:
	s_delay_alu instid0(SALU_CYCLE_1)
	s_and_not1_b32 vcc_lo, exec_lo, s1
	s_cbranch_vccnz .LBB159_2256
; %bb.2255:
	s_wait_loadcnt 0x0
	global_load_b32 v1, v[30:31], off
	s_wait_loadcnt 0x0
	v_cvt_f16_f32_e32 v1, v1
.LBB159_2256:
	s_mov_b32 s1, 0
.LBB159_2257:
	s_delay_alu instid0(SALU_CYCLE_1)
	s_and_not1_b32 vcc_lo, exec_lo, s1
	s_cbranch_vccnz .LBB159_2259
; %bb.2258:
	s_wait_loadcnt 0x0
	global_load_u16 v1, v[30:31], off
.LBB159_2259:
	s_cbranch_execnz .LBB159_2278
.LBB159_2260:
	s_cmp_lt_i32 s0, 2
	s_cbranch_scc1 .LBB159_2264
; %bb.2261:
	s_cmp_lt_i32 s0, 3
	s_cbranch_scc1 .LBB159_2265
; %bb.2262:
	s_cmp_gt_i32 s0, 3
	s_cbranch_scc0 .LBB159_2266
; %bb.2263:
	global_load_b64 v[32:33], v[30:31], off
	s_mov_b32 s1, 0
	s_wait_loadcnt 0x0
	v_xor_b32_e32 v1, v32, v33
	v_cls_i32_e32 v3, v33
	s_delay_alu instid0(VALU_DEP_2) | instskip(NEXT) | instid1(VALU_DEP_1)
	v_ashrrev_i32_e32 v1, 31, v1
	v_add_nc_u32_e32 v1, 32, v1
	s_delay_alu instid0(VALU_DEP_1) | instskip(NEXT) | instid1(VALU_DEP_1)
	v_add_min_u32_e64 v1, v3, -1, v1
	v_lshlrev_b64_e32 v[32:33], v1, v[32:33]
	v_sub_nc_u32_e32 v1, 32, v1
	s_delay_alu instid0(VALU_DEP_2) | instskip(NEXT) | instid1(VALU_DEP_1)
	v_min_u32_e32 v3, 1, v32
	v_or_b32_e32 v3, v33, v3
	s_delay_alu instid0(VALU_DEP_1) | instskip(NEXT) | instid1(VALU_DEP_1)
	v_cvt_f32_i32_e32 v3, v3
	v_ldexp_f32 v1, v3, v1
	s_delay_alu instid0(VALU_DEP_1)
	v_cvt_f16_f32_e32 v1, v1
	s_branch .LBB159_2267
.LBB159_2264:
                                        ; implicit-def: $vgpr1
	s_branch .LBB159_2273
.LBB159_2265:
	s_mov_b32 s1, -1
                                        ; implicit-def: $vgpr1
	s_branch .LBB159_2270
.LBB159_2266:
	s_mov_b32 s1, -1
                                        ; implicit-def: $vgpr1
.LBB159_2267:
	s_delay_alu instid0(SALU_CYCLE_1)
	s_and_not1_b32 vcc_lo, exec_lo, s1
	s_cbranch_vccnz .LBB159_2269
; %bb.2268:
	s_wait_loadcnt 0x0
	global_load_b32 v1, v[30:31], off
	s_wait_loadcnt 0x0
	v_cvt_f32_i32_e32 v1, v1
	s_delay_alu instid0(VALU_DEP_1)
	v_cvt_f16_f32_e32 v1, v1
.LBB159_2269:
	s_mov_b32 s1, 0
.LBB159_2270:
	s_delay_alu instid0(SALU_CYCLE_1)
	s_and_not1_b32 vcc_lo, exec_lo, s1
	s_cbranch_vccnz .LBB159_2272
; %bb.2271:
	s_wait_loadcnt 0x0
	global_load_u16 v1, v[30:31], off
	s_wait_loadcnt 0x0
	v_cvt_f16_i16_e32 v1, v1
.LBB159_2272:
	s_cbranch_execnz .LBB159_2278
.LBB159_2273:
	s_cmp_gt_i32 s0, 0
	s_mov_b32 s0, 0
	s_cbranch_scc0 .LBB159_2275
; %bb.2274:
	s_wait_loadcnt 0x0
	global_load_i8 v1, v[30:31], off
	s_wait_loadcnt 0x0
	v_cvt_f16_i16_e32 v1, v1
	s_branch .LBB159_2276
.LBB159_2275:
	s_mov_b32 s0, -1
                                        ; implicit-def: $vgpr1
.LBB159_2276:
	s_delay_alu instid0(SALU_CYCLE_1)
	s_and_not1_b32 vcc_lo, exec_lo, s0
	s_cbranch_vccnz .LBB159_2278
; %bb.2277:
	s_wait_loadcnt 0x0
	global_load_u8 v1, v[30:31], off
	s_wait_loadcnt 0x0
	v_cvt_f16_u16_e32 v1, v1
.LBB159_2278:
.LBB159_2279:
	v_mov_b32_e32 v29, 0
	s_load_b64 s[0:1], s[2:3], 0x1d8
	global_load_u8 v3, v29, s[2:3] offset:491
	s_wait_kmcnt 0x0
	v_add_nc_u64_e32 v[28:29], s[0:1], v[28:29]
	s_wait_loadcnt 0x0
	v_and_b32_e32 v5, 0xffff, v3
	v_readfirstlane_b32 s14, v3
	s_delay_alu instid0(VALU_DEP_2)
	v_cmp_gt_i32_e32 vcc_lo, 11, v5
	s_cbranch_vccnz .LBB159_2286
; %bb.2280:
	s_and_b32 s8, 0xffff, s14
	s_mov_b32 s15, 0
	s_cmp_gt_i32 s8, 25
	s_cbranch_scc0 .LBB159_2288
; %bb.2281:
	s_cmp_gt_i32 s8, 28
	s_cbranch_scc0 .LBB159_2289
; %bb.2282:
	;; [unrolled: 3-line block ×4, first 2 shown]
	s_cmp_eq_u32 s8, 46
	s_mov_b32 s17, 0
	s_cbranch_scc0 .LBB159_2295
; %bb.2285:
	global_load_b32 v3, v[28:29], off
	s_mov_b32 s9, 0
	s_mov_b32 s16, -1
	s_wait_loadcnt 0x0
	v_lshlrev_b32_e32 v3, 16, v3
	s_delay_alu instid0(VALU_DEP_1)
	v_cvt_f16_f32_e32 v3, v3
	s_branch .LBB159_2297
.LBB159_2286:
	s_mov_b32 s16, 0
                                        ; implicit-def: $vgpr3
	s_cbranch_execnz .LBB159_2362
.LBB159_2287:
	s_and_not1_b32 vcc_lo, exec_lo, s16
	s_cbranch_vccnz .LBB159_4155
	s_branch .LBB159_2409
.LBB159_2288:
	s_mov_b32 s16, 0
	s_mov_b32 s9, 0
                                        ; implicit-def: $vgpr3
	s_cbranch_execnz .LBB159_2326
	s_branch .LBB159_2358
.LBB159_2289:
	s_mov_b32 s17, -1
	s_mov_b32 s16, 0
	s_mov_b32 s9, 0
                                        ; implicit-def: $vgpr3
	s_branch .LBB159_2307
.LBB159_2290:
	s_mov_b32 s17, -1
	s_mov_b32 s16, 0
	s_mov_b32 s9, 0
                                        ; implicit-def: $vgpr3
	s_branch .LBB159_2302
.LBB159_2291:
	s_or_b32 s12, s10, exec_lo
	s_trap 2
	s_cbranch_execz .LBB159_2232
	s_branch .LBB159_2233
.LBB159_2292:
	s_mov_b32 s17, -1
	s_mov_b32 s16, 0
	s_mov_b32 s9, 0
	s_branch .LBB159_2296
.LBB159_2293:
	s_and_not1_saveexec_b32 s10, s10
	s_cbranch_execz .LBB159_2034
.LBB159_2294:
	v_add_f32_e64 v4, 0x42800000, |v2|
	s_and_not1_b32 s9, s9, exec_lo
	s_delay_alu instid0(VALU_DEP_1) | instskip(NEXT) | instid1(VALU_DEP_1)
	v_and_b32_e32 v4, 0xff, v4
	v_cmp_ne_u32_e32 vcc_lo, 0, v4
	s_and_b32 s11, vcc_lo, exec_lo
	s_delay_alu instid0(SALU_CYCLE_1)
	s_or_b32 s9, s9, s11
	s_or_b32 exec_lo, exec_lo, s10
	v_mov_b32_e32 v5, 0
	s_and_saveexec_b32 s10, s9
	s_cbranch_execnz .LBB159_2035
	s_branch .LBB159_2036
.LBB159_2295:
	s_mov_b32 s9, -1
	s_mov_b32 s16, 0
.LBB159_2296:
                                        ; implicit-def: $vgpr3
.LBB159_2297:
	s_and_b32 vcc_lo, exec_lo, s17
	s_cbranch_vccz .LBB159_2301
; %bb.2298:
	s_cmp_eq_u32 s8, 44
	s_cbranch_scc0 .LBB159_2300
; %bb.2299:
	global_load_u8 v3, v[28:29], off
	s_mov_b32 s9, 0
	s_mov_b32 s16, -1
	s_wait_loadcnt 0x0
	v_lshlrev_b32_e32 v5, 23, v3
	v_cmp_ne_u32_e32 vcc_lo, 0xff, v3
	s_delay_alu instid0(VALU_DEP_2) | instskip(NEXT) | instid1(VALU_DEP_1)
	v_cvt_f16_f32_e32 v5, v5
	v_cndmask_b32_e32 v5, 0x7e00, v5, vcc_lo
	v_cmp_ne_u32_e32 vcc_lo, 0, v3
	s_delay_alu instid0(VALU_DEP_2)
	v_cndmask_b32_e32 v3, 0, v5, vcc_lo
	s_branch .LBB159_2301
.LBB159_2300:
	s_mov_b32 s9, -1
                                        ; implicit-def: $vgpr3
.LBB159_2301:
	s_mov_b32 s17, 0
.LBB159_2302:
	s_delay_alu instid0(SALU_CYCLE_1)
	s_and_b32 vcc_lo, exec_lo, s17
	s_cbranch_vccz .LBB159_2306
; %bb.2303:
	s_cmp_eq_u32 s8, 29
	s_cbranch_scc0 .LBB159_2305
; %bb.2304:
	global_load_b64 v[30:31], v[28:29], off
	s_mov_b32 s9, 0
	s_mov_b32 s16, -1
	s_mov_b32 s17, 0
	s_wait_loadcnt 0x0
	v_clz_i32_u32_e32 v3, v31
	s_delay_alu instid0(VALU_DEP_1) | instskip(NEXT) | instid1(VALU_DEP_1)
	v_min_u32_e32 v3, 32, v3
	v_lshlrev_b64_e32 v[30:31], v3, v[30:31]
	v_sub_nc_u32_e32 v3, 32, v3
	s_delay_alu instid0(VALU_DEP_2) | instskip(NEXT) | instid1(VALU_DEP_1)
	v_min_u32_e32 v5, 1, v30
	v_or_b32_e32 v5, v31, v5
	s_delay_alu instid0(VALU_DEP_1) | instskip(NEXT) | instid1(VALU_DEP_1)
	v_cvt_f32_u32_e32 v5, v5
	v_ldexp_f32 v3, v5, v3
	s_delay_alu instid0(VALU_DEP_1)
	v_cvt_f16_f32_e32 v3, v3
	s_branch .LBB159_2307
.LBB159_2305:
	s_mov_b32 s9, -1
                                        ; implicit-def: $vgpr3
.LBB159_2306:
	s_mov_b32 s17, 0
.LBB159_2307:
	s_delay_alu instid0(SALU_CYCLE_1)
	s_and_b32 vcc_lo, exec_lo, s17
	s_cbranch_vccz .LBB159_2325
; %bb.2308:
	s_cmp_lt_i32 s8, 27
	s_cbranch_scc1 .LBB159_2311
; %bb.2309:
	s_cmp_gt_i32 s8, 27
	s_cbranch_scc0 .LBB159_2312
; %bb.2310:
	global_load_b32 v3, v[28:29], off
	s_mov_b32 s16, 0
	s_wait_loadcnt 0x0
	v_cvt_f32_u32_e32 v3, v3
	s_delay_alu instid0(VALU_DEP_1)
	v_cvt_f16_f32_e32 v3, v3
	s_branch .LBB159_2313
.LBB159_2311:
	s_mov_b32 s16, -1
                                        ; implicit-def: $vgpr3
	s_branch .LBB159_2316
.LBB159_2312:
	s_mov_b32 s16, -1
                                        ; implicit-def: $vgpr3
.LBB159_2313:
	s_delay_alu instid0(SALU_CYCLE_1)
	s_and_not1_b32 vcc_lo, exec_lo, s16
	s_cbranch_vccnz .LBB159_2315
; %bb.2314:
	global_load_u16 v3, v[28:29], off
	s_wait_loadcnt 0x0
	v_cvt_f16_u16_e32 v3, v3
.LBB159_2315:
	s_mov_b32 s16, 0
.LBB159_2316:
	s_delay_alu instid0(SALU_CYCLE_1)
	s_and_not1_b32 vcc_lo, exec_lo, s16
	s_cbranch_vccnz .LBB159_2324
; %bb.2317:
	global_load_u8 v5, v[28:29], off
	s_mov_b32 s16, 0
	s_mov_b32 s17, exec_lo
	s_wait_loadcnt 0x0
	v_cmpx_lt_i16_e32 0x7f, v5
	s_xor_b32 s17, exec_lo, s17
	s_cbranch_execz .LBB159_2337
; %bb.2318:
	s_mov_b32 s16, -1
	s_mov_b32 s18, exec_lo
	v_cmpx_eq_u16_e32 0x80, v5
; %bb.2319:
	s_xor_b32 s16, exec_lo, -1
; %bb.2320:
	s_or_b32 exec_lo, exec_lo, s18
	s_delay_alu instid0(SALU_CYCLE_1)
	s_and_b32 s16, s16, exec_lo
	s_or_saveexec_b32 s17, s17
	v_mov_b32_e32 v3, 0x7e00
	s_xor_b32 exec_lo, exec_lo, s17
	s_cbranch_execnz .LBB159_2338
.LBB159_2321:
	s_or_b32 exec_lo, exec_lo, s17
	s_and_saveexec_b32 s17, s16
	s_cbranch_execz .LBB159_2323
.LBB159_2322:
	v_and_b32_e32 v3, 0xffff, v5
	s_delay_alu instid0(VALU_DEP_1) | instskip(SKIP_1) | instid1(VALU_DEP_2)
	v_and_b32_e32 v7, 7, v3
	v_bfe_u32 v13, v3, 3, 4
	v_clz_i32_u32_e32 v9, v7
	s_delay_alu instid0(VALU_DEP_2) | instskip(NEXT) | instid1(VALU_DEP_2)
	v_cmp_eq_u32_e32 vcc_lo, 0, v13
	v_min_u32_e32 v9, 32, v9
	s_delay_alu instid0(VALU_DEP_1) | instskip(NEXT) | instid1(VALU_DEP_1)
	v_subrev_nc_u32_e32 v11, 28, v9
	v_dual_lshlrev_b32 v3, v11, v3 :: v_dual_sub_nc_u32 v9, 29, v9
	s_delay_alu instid0(VALU_DEP_1) | instskip(NEXT) | instid1(VALU_DEP_1)
	v_dual_lshlrev_b32 v5, 24, v5 :: v_dual_bitop2_b32 v3, 7, v3 bitop3:0x40
	v_dual_cndmask_b32 v3, v7, v3, vcc_lo :: v_dual_cndmask_b32 v9, v13, v9, vcc_lo
	s_delay_alu instid0(VALU_DEP_2) | instskip(NEXT) | instid1(VALU_DEP_2)
	v_and_b32_e32 v5, 0x80000000, v5
	v_lshlrev_b32_e32 v3, 20, v3
	s_delay_alu instid0(VALU_DEP_3) | instskip(NEXT) | instid1(VALU_DEP_1)
	v_lshl_add_u32 v7, v9, 23, 0x3b800000
	v_or3_b32 v3, v5, v7, v3
	s_delay_alu instid0(VALU_DEP_1)
	v_cvt_f16_f32_e32 v3, v3
.LBB159_2323:
	s_or_b32 exec_lo, exec_lo, s17
.LBB159_2324:
	s_mov_b32 s16, -1
.LBB159_2325:
	s_branch .LBB159_2358
.LBB159_2326:
	s_cmp_gt_i32 s8, 22
	s_cbranch_scc0 .LBB159_2336
; %bb.2327:
	s_cmp_lt_i32 s8, 24
	s_cbranch_scc1 .LBB159_2339
; %bb.2328:
	s_cmp_gt_i32 s8, 24
	s_cbranch_scc0 .LBB159_2340
; %bb.2329:
	global_load_u8 v5, v[28:29], off
	s_mov_b32 s16, exec_lo
	s_wait_loadcnt 0x0
	v_cmpx_lt_i16_e32 0x7f, v5
	s_xor_b32 s16, exec_lo, s16
	s_cbranch_execz .LBB159_2352
; %bb.2330:
	s_mov_b32 s15, -1
	s_mov_b32 s17, exec_lo
	v_cmpx_eq_u16_e32 0x80, v5
; %bb.2331:
	s_xor_b32 s15, exec_lo, -1
; %bb.2332:
	s_or_b32 exec_lo, exec_lo, s17
	s_delay_alu instid0(SALU_CYCLE_1)
	s_and_b32 s15, s15, exec_lo
	s_or_saveexec_b32 s16, s16
	v_mov_b32_e32 v3, 0x7e00
	s_xor_b32 exec_lo, exec_lo, s16
	s_cbranch_execnz .LBB159_2353
.LBB159_2333:
	s_or_b32 exec_lo, exec_lo, s16
	s_and_saveexec_b32 s16, s15
	s_cbranch_execz .LBB159_2335
.LBB159_2334:
	v_and_b32_e32 v3, 0xffff, v5
	s_delay_alu instid0(VALU_DEP_1) | instskip(SKIP_1) | instid1(VALU_DEP_2)
	v_and_b32_e32 v7, 3, v3
	v_bfe_u32 v13, v3, 2, 5
	v_clz_i32_u32_e32 v9, v7
	s_delay_alu instid0(VALU_DEP_2) | instskip(NEXT) | instid1(VALU_DEP_2)
	v_cmp_eq_u32_e32 vcc_lo, 0, v13
	v_min_u32_e32 v9, 32, v9
	s_delay_alu instid0(VALU_DEP_1) | instskip(NEXT) | instid1(VALU_DEP_1)
	v_subrev_nc_u32_e32 v11, 29, v9
	v_dual_lshlrev_b32 v3, v11, v3 :: v_dual_sub_nc_u32 v9, 30, v9
	s_delay_alu instid0(VALU_DEP_1) | instskip(NEXT) | instid1(VALU_DEP_1)
	v_dual_lshlrev_b32 v5, 24, v5 :: v_dual_bitop2_b32 v3, 3, v3 bitop3:0x40
	v_dual_cndmask_b32 v3, v7, v3, vcc_lo :: v_dual_cndmask_b32 v9, v13, v9, vcc_lo
	s_delay_alu instid0(VALU_DEP_2) | instskip(NEXT) | instid1(VALU_DEP_2)
	v_and_b32_e32 v5, 0x80000000, v5
	v_lshlrev_b32_e32 v3, 21, v3
	s_delay_alu instid0(VALU_DEP_3) | instskip(NEXT) | instid1(VALU_DEP_1)
	v_lshl_add_u32 v7, v9, 23, 0x37800000
	v_or3_b32 v3, v5, v7, v3
	s_delay_alu instid0(VALU_DEP_1)
	v_cvt_f16_f32_e32 v3, v3
.LBB159_2335:
	s_or_b32 exec_lo, exec_lo, s16
	s_mov_b32 s15, 0
	s_branch .LBB159_2341
.LBB159_2336:
	s_mov_b32 s15, -1
                                        ; implicit-def: $vgpr3
	s_branch .LBB159_2347
.LBB159_2337:
	s_or_saveexec_b32 s17, s17
	v_mov_b32_e32 v3, 0x7e00
	s_xor_b32 exec_lo, exec_lo, s17
	s_cbranch_execz .LBB159_2321
.LBB159_2338:
	v_cmp_ne_u16_e32 vcc_lo, 0, v5
	v_mov_b32_e32 v3, v5
	s_and_not1_b32 s16, s16, exec_lo
	s_and_b32 s18, vcc_lo, exec_lo
	s_delay_alu instid0(SALU_CYCLE_1)
	s_or_b32 s16, s16, s18
	s_or_b32 exec_lo, exec_lo, s17
	s_and_saveexec_b32 s17, s16
	s_cbranch_execnz .LBB159_2322
	s_branch .LBB159_2323
.LBB159_2339:
	s_mov_b32 s15, -1
                                        ; implicit-def: $vgpr3
	s_branch .LBB159_2344
.LBB159_2340:
	s_mov_b32 s15, -1
                                        ; implicit-def: $vgpr3
.LBB159_2341:
	s_delay_alu instid0(SALU_CYCLE_1)
	s_and_b32 vcc_lo, exec_lo, s15
	s_cbranch_vccz .LBB159_2343
; %bb.2342:
	global_load_u8 v3, v[28:29], off
	s_wait_loadcnt 0x0
	v_lshlrev_b32_e32 v3, 24, v3
	s_delay_alu instid0(VALU_DEP_1) | instskip(NEXT) | instid1(VALU_DEP_1)
	v_and_b32_e32 v5, 0x7f000000, v3
	v_clz_i32_u32_e32 v7, v5
	v_add_nc_u32_e32 v11, 0x1000000, v5
	v_cmp_ne_u32_e32 vcc_lo, 0, v5
	s_delay_alu instid0(VALU_DEP_3) | instskip(NEXT) | instid1(VALU_DEP_1)
	v_min_u32_e32 v7, 32, v7
	v_sub_nc_u32_e64 v7, v7, 4 clamp
	s_delay_alu instid0(VALU_DEP_1) | instskip(NEXT) | instid1(VALU_DEP_1)
	v_dual_lshlrev_b32 v9, v7, v5 :: v_dual_lshlrev_b32 v7, 23, v7
	v_lshrrev_b32_e32 v9, 4, v9
	s_delay_alu instid0(VALU_DEP_1) | instskip(SKIP_1) | instid1(VALU_DEP_2)
	v_sub_nc_u32_e32 v7, v9, v7
	v_ashrrev_i32_e32 v9, 8, v11
	v_add_nc_u32_e32 v7, 0x3c000000, v7
	s_delay_alu instid0(VALU_DEP_1) | instskip(NEXT) | instid1(VALU_DEP_1)
	v_and_or_b32 v7, 0x7f800000, v9, v7
	v_cndmask_b32_e32 v5, 0, v7, vcc_lo
	s_delay_alu instid0(VALU_DEP_1) | instskip(NEXT) | instid1(VALU_DEP_1)
	v_and_or_b32 v3, 0x80000000, v3, v5
	v_cvt_f16_f32_e32 v3, v3
.LBB159_2343:
	s_mov_b32 s15, 0
.LBB159_2344:
	s_delay_alu instid0(SALU_CYCLE_1)
	s_and_not1_b32 vcc_lo, exec_lo, s15
	s_cbranch_vccnz .LBB159_2346
; %bb.2345:
	global_load_u8 v3, v[28:29], off
	s_wait_loadcnt 0x0
	v_lshlrev_b32_e32 v5, 25, v3
	v_lshlrev_b16 v3, 8, v3
	s_delay_alu instid0(VALU_DEP_1) | instskip(SKIP_1) | instid1(VALU_DEP_2)
	v_and_or_b32 v9, 0x7f00, v3, 0.5
	v_bfe_i32 v3, v3, 0, 16
	v_add_f32_e32 v9, -0.5, v9
	v_lshrrev_b32_e32 v7, 4, v5
	v_cmp_gt_u32_e32 vcc_lo, 0x8000000, v5
	s_delay_alu instid0(VALU_DEP_2) | instskip(NEXT) | instid1(VALU_DEP_1)
	v_or_b32_e32 v7, 0x70000000, v7
	v_mul_f32_e32 v7, 0x7800000, v7
	s_delay_alu instid0(VALU_DEP_1) | instskip(NEXT) | instid1(VALU_DEP_1)
	v_cndmask_b32_e32 v5, v7, v9, vcc_lo
	v_and_or_b32 v3, 0x80000000, v3, v5
	s_delay_alu instid0(VALU_DEP_1)
	v_cvt_f16_f32_e32 v3, v3
.LBB159_2346:
	s_mov_b32 s15, 0
	s_mov_b32 s16, -1
.LBB159_2347:
	s_and_not1_b32 vcc_lo, exec_lo, s15
	s_mov_b32 s15, 0
	s_cbranch_vccnz .LBB159_2358
; %bb.2348:
	s_cmp_gt_i32 s8, 14
	s_cbranch_scc0 .LBB159_2351
; %bb.2349:
	s_cmp_eq_u32 s8, 15
	s_cbranch_scc0 .LBB159_2354
; %bb.2350:
	global_load_u16 v3, v[28:29], off
	s_mov_b32 s9, 0
	s_mov_b32 s16, -1
	s_wait_loadcnt 0x0
	v_lshlrev_b32_e32 v3, 16, v3
	s_delay_alu instid0(VALU_DEP_1)
	v_cvt_f16_f32_e32 v3, v3
	s_branch .LBB159_2356
.LBB159_2351:
	s_mov_b32 s15, -1
	s_branch .LBB159_2355
.LBB159_2352:
	s_or_saveexec_b32 s16, s16
	v_mov_b32_e32 v3, 0x7e00
	s_xor_b32 exec_lo, exec_lo, s16
	s_cbranch_execz .LBB159_2333
.LBB159_2353:
	v_cmp_ne_u16_e32 vcc_lo, 0, v5
	v_mov_b32_e32 v3, v5
	s_and_not1_b32 s15, s15, exec_lo
	s_and_b32 s17, vcc_lo, exec_lo
	s_delay_alu instid0(SALU_CYCLE_1)
	s_or_b32 s15, s15, s17
	s_or_b32 exec_lo, exec_lo, s16
	s_and_saveexec_b32 s16, s15
	s_cbranch_execnz .LBB159_2334
	s_branch .LBB159_2335
.LBB159_2354:
	s_mov_b32 s9, -1
.LBB159_2355:
                                        ; implicit-def: $vgpr3
.LBB159_2356:
	s_and_b32 vcc_lo, exec_lo, s15
	s_mov_b32 s15, 0
	s_cbranch_vccz .LBB159_2358
; %bb.2357:
	s_cmp_lg_u32 s8, 11
	s_mov_b32 s15, -1
	s_cselect_b32 s9, -1, 0
.LBB159_2358:
	s_delay_alu instid0(SALU_CYCLE_1)
	s_and_b32 vcc_lo, exec_lo, s9
	s_cbranch_vccnz .LBB159_2421
; %bb.2359:
	s_and_not1_b32 vcc_lo, exec_lo, s15
	s_cbranch_vccnz .LBB159_2361
.LBB159_2360:
	global_load_u8 v3, v[28:29], off
	s_mov_b32 s16, -1
	s_wait_loadcnt 0x0
	v_cmp_ne_u16_e32 vcc_lo, 0, v3
	v_cndmask_b32_e64 v3, 0, 0x3c00, vcc_lo
.LBB159_2361:
	s_branch .LBB159_2287
.LBB159_2362:
	s_and_b32 s8, 0xffff, s14
	s_delay_alu instid0(SALU_CYCLE_1)
	s_cmp_lt_i32 s8, 5
	s_cbranch_scc1 .LBB159_2367
; %bb.2363:
	s_cmp_lt_i32 s8, 8
	s_cbranch_scc1 .LBB159_2368
; %bb.2364:
	;; [unrolled: 3-line block ×3, first 2 shown]
	s_cmp_gt_i32 s8, 9
	s_cbranch_scc0 .LBB159_2370
; %bb.2366:
	global_load_b64 v[30:31], v[28:29], off
	s_mov_b32 s9, 0
	s_wait_loadcnt 0x0
	v_and_or_b32 v3, 0x1ff, v31, v30
	v_lshrrev_b32_e32 v5, 8, v31
	v_bfe_u32 v7, v31, 20, 11
	s_delay_alu instid0(VALU_DEP_3) | instskip(NEXT) | instid1(VALU_DEP_2)
	v_cmp_ne_u32_e32 vcc_lo, 0, v3
	v_sub_nc_u32_e32 v9, 0x3f1, v7
	v_add_nc_u32_e32 v7, 0xfffffc10, v7
	v_cndmask_b32_e64 v3, 0, 1, vcc_lo
	s_delay_alu instid0(VALU_DEP_1) | instskip(NEXT) | instid1(VALU_DEP_4)
	v_and_or_b32 v3, 0xffe, v5, v3
	v_med3_i32 v5, v9, 0, 13
	s_delay_alu instid0(VALU_DEP_2) | instskip(NEXT) | instid1(VALU_DEP_1)
	v_or_b32_e32 v9, 0x1000, v3
	v_lshrrev_b32_e32 v11, v5, v9
	s_delay_alu instid0(VALU_DEP_1) | instskip(NEXT) | instid1(VALU_DEP_1)
	v_lshlrev_b32_e32 v5, v5, v11
	v_cmp_ne_u32_e32 vcc_lo, v5, v9
	v_lshl_or_b32 v9, v7, 12, v3
	v_cndmask_b32_e64 v5, 0, 1, vcc_lo
	v_cmp_gt_i32_e32 vcc_lo, 1, v7
	s_delay_alu instid0(VALU_DEP_2) | instskip(NEXT) | instid1(VALU_DEP_1)
	v_or_b32_e32 v5, v11, v5
	v_cndmask_b32_e32 v5, v9, v5, vcc_lo
	s_delay_alu instid0(VALU_DEP_1) | instskip(NEXT) | instid1(VALU_DEP_1)
	v_and_b32_e32 v9, 7, v5
	v_cmp_lt_i32_e32 vcc_lo, 5, v9
	v_cndmask_b32_e64 v11, 0, 1, vcc_lo
	v_cmp_eq_u32_e32 vcc_lo, 3, v9
	v_cndmask_b32_e64 v9, 0, 1, vcc_lo
	v_cmp_ne_u32_e32 vcc_lo, 0, v3
	s_delay_alu instid0(VALU_DEP_2) | instskip(SKIP_1) | instid1(VALU_DEP_2)
	v_dual_lshrrev_b32 v5, 2, v5 :: v_dual_bitop2_b32 v9, v9, v11 bitop3:0x54
	v_mov_b32_e32 v11, 0x7e00
	v_add_nc_u32_e32 v5, v5, v9
	s_delay_alu instid0(VALU_DEP_2) | instskip(SKIP_1) | instid1(VALU_DEP_3)
	v_cndmask_b32_e32 v3, 0x7c00, v11, vcc_lo
	v_cmp_gt_i32_e32 vcc_lo, 31, v7
	v_cndmask_b32_e32 v5, 0x7c00, v5, vcc_lo
	v_cmp_eq_u32_e32 vcc_lo, 0x40f, v7
	s_delay_alu instid0(VALU_DEP_2) | instskip(SKIP_1) | instid1(VALU_DEP_1)
	v_cndmask_b32_e32 v3, v5, v3, vcc_lo
	v_lshrrev_b32_e32 v5, 16, v31
	v_and_or_b32 v3, 0x8000, v5, v3
	s_branch .LBB159_2371
.LBB159_2367:
                                        ; implicit-def: $vgpr3
	s_branch .LBB159_2389
.LBB159_2368:
	s_mov_b32 s9, -1
                                        ; implicit-def: $vgpr3
	s_branch .LBB159_2377
.LBB159_2369:
	s_mov_b32 s9, -1
                                        ; implicit-def: $vgpr3
	s_branch .LBB159_2374
.LBB159_2370:
	s_mov_b32 s9, -1
                                        ; implicit-def: $vgpr3
.LBB159_2371:
	s_delay_alu instid0(SALU_CYCLE_1)
	s_and_not1_b32 vcc_lo, exec_lo, s9
	s_cbranch_vccnz .LBB159_2373
; %bb.2372:
	global_load_b32 v3, v[28:29], off
	s_wait_loadcnt 0x0
	v_cvt_f16_f32_e32 v3, v3
.LBB159_2373:
	s_mov_b32 s9, 0
.LBB159_2374:
	s_delay_alu instid0(SALU_CYCLE_1)
	s_and_not1_b32 vcc_lo, exec_lo, s9
	s_cbranch_vccnz .LBB159_2376
; %bb.2375:
	global_load_b32 v3, v[28:29], off
.LBB159_2376:
	s_mov_b32 s9, 0
.LBB159_2377:
	s_delay_alu instid0(SALU_CYCLE_1)
	s_and_not1_b32 vcc_lo, exec_lo, s9
	s_cbranch_vccnz .LBB159_2388
; %bb.2378:
	s_cmp_lt_i32 s8, 6
	s_cbranch_scc1 .LBB159_2381
; %bb.2379:
	s_cmp_gt_i32 s8, 6
	s_cbranch_scc0 .LBB159_2382
; %bb.2380:
	global_load_b64 v[30:31], v[28:29], off
	s_mov_b32 s9, 0
	s_wait_loadcnt 0x0
	v_and_or_b32 v3, 0x1ff, v31, v30
	v_lshrrev_b32_e32 v5, 8, v31
	v_bfe_u32 v7, v31, 20, 11
	s_delay_alu instid0(VALU_DEP_3) | instskip(NEXT) | instid1(VALU_DEP_2)
	v_cmp_ne_u32_e32 vcc_lo, 0, v3
	v_sub_nc_u32_e32 v9, 0x3f1, v7
	v_add_nc_u32_e32 v7, 0xfffffc10, v7
	v_cndmask_b32_e64 v3, 0, 1, vcc_lo
	s_delay_alu instid0(VALU_DEP_1) | instskip(NEXT) | instid1(VALU_DEP_4)
	v_and_or_b32 v3, 0xffe, v5, v3
	v_med3_i32 v5, v9, 0, 13
	s_delay_alu instid0(VALU_DEP_2) | instskip(NEXT) | instid1(VALU_DEP_1)
	v_or_b32_e32 v9, 0x1000, v3
	v_lshrrev_b32_e32 v11, v5, v9
	s_delay_alu instid0(VALU_DEP_1) | instskip(NEXT) | instid1(VALU_DEP_1)
	v_lshlrev_b32_e32 v5, v5, v11
	v_cmp_ne_u32_e32 vcc_lo, v5, v9
	v_lshl_or_b32 v9, v7, 12, v3
	v_cndmask_b32_e64 v5, 0, 1, vcc_lo
	v_cmp_gt_i32_e32 vcc_lo, 1, v7
	s_delay_alu instid0(VALU_DEP_2) | instskip(NEXT) | instid1(VALU_DEP_1)
	v_or_b32_e32 v5, v11, v5
	v_cndmask_b32_e32 v5, v9, v5, vcc_lo
	s_delay_alu instid0(VALU_DEP_1) | instskip(NEXT) | instid1(VALU_DEP_1)
	v_and_b32_e32 v9, 7, v5
	v_cmp_lt_i32_e32 vcc_lo, 5, v9
	v_cndmask_b32_e64 v11, 0, 1, vcc_lo
	v_cmp_eq_u32_e32 vcc_lo, 3, v9
	v_cndmask_b32_e64 v9, 0, 1, vcc_lo
	v_cmp_ne_u32_e32 vcc_lo, 0, v3
	s_delay_alu instid0(VALU_DEP_2) | instskip(SKIP_1) | instid1(VALU_DEP_2)
	v_dual_lshrrev_b32 v5, 2, v5 :: v_dual_bitop2_b32 v9, v9, v11 bitop3:0x54
	v_mov_b32_e32 v11, 0x7e00
	v_add_nc_u32_e32 v5, v5, v9
	s_delay_alu instid0(VALU_DEP_2) | instskip(SKIP_1) | instid1(VALU_DEP_3)
	v_cndmask_b32_e32 v3, 0x7c00, v11, vcc_lo
	v_cmp_gt_i32_e32 vcc_lo, 31, v7
	v_cndmask_b32_e32 v5, 0x7c00, v5, vcc_lo
	v_cmp_eq_u32_e32 vcc_lo, 0x40f, v7
	s_delay_alu instid0(VALU_DEP_2) | instskip(SKIP_1) | instid1(VALU_DEP_1)
	v_cndmask_b32_e32 v3, v5, v3, vcc_lo
	v_lshrrev_b32_e32 v5, 16, v31
	v_and_or_b32 v3, 0x8000, v5, v3
	s_branch .LBB159_2383
.LBB159_2381:
	s_mov_b32 s9, -1
                                        ; implicit-def: $vgpr3
	s_branch .LBB159_2386
.LBB159_2382:
	s_mov_b32 s9, -1
                                        ; implicit-def: $vgpr3
.LBB159_2383:
	s_delay_alu instid0(SALU_CYCLE_1)
	s_and_not1_b32 vcc_lo, exec_lo, s9
	s_cbranch_vccnz .LBB159_2385
; %bb.2384:
	s_wait_loadcnt 0x0
	global_load_b32 v3, v[28:29], off
	s_wait_loadcnt 0x0
	v_cvt_f16_f32_e32 v3, v3
.LBB159_2385:
	s_mov_b32 s9, 0
.LBB159_2386:
	s_delay_alu instid0(SALU_CYCLE_1)
	s_and_not1_b32 vcc_lo, exec_lo, s9
	s_cbranch_vccnz .LBB159_2388
; %bb.2387:
	s_wait_loadcnt 0x0
	global_load_u16 v3, v[28:29], off
.LBB159_2388:
	s_cbranch_execnz .LBB159_2408
.LBB159_2389:
	s_cmp_lt_i32 s8, 2
	s_cbranch_scc1 .LBB159_2393
; %bb.2390:
	s_cmp_lt_i32 s8, 3
	s_cbranch_scc1 .LBB159_2394
; %bb.2391:
	s_cmp_gt_i32 s8, 3
	s_cbranch_scc0 .LBB159_2395
; %bb.2392:
	global_load_b64 v[30:31], v[28:29], off
	s_mov_b32 s9, 0
	s_wait_loadcnt 0x0
	v_xor_b32_e32 v3, v30, v31
	v_cls_i32_e32 v5, v31
	s_delay_alu instid0(VALU_DEP_2) | instskip(NEXT) | instid1(VALU_DEP_1)
	v_ashrrev_i32_e32 v3, 31, v3
	v_add_nc_u32_e32 v3, 32, v3
	s_delay_alu instid0(VALU_DEP_1) | instskip(NEXT) | instid1(VALU_DEP_1)
	v_add_min_u32_e64 v3, v5, -1, v3
	v_lshlrev_b64_e32 v[30:31], v3, v[30:31]
	v_sub_nc_u32_e32 v3, 32, v3
	s_delay_alu instid0(VALU_DEP_2) | instskip(NEXT) | instid1(VALU_DEP_1)
	v_min_u32_e32 v5, 1, v30
	v_or_b32_e32 v5, v31, v5
	s_delay_alu instid0(VALU_DEP_1) | instskip(NEXT) | instid1(VALU_DEP_1)
	v_cvt_f32_i32_e32 v5, v5
	v_ldexp_f32 v3, v5, v3
	s_delay_alu instid0(VALU_DEP_1)
	v_cvt_f16_f32_e32 v3, v3
	s_branch .LBB159_2396
.LBB159_2393:
	s_mov_b32 s9, -1
                                        ; implicit-def: $vgpr3
	s_branch .LBB159_2402
.LBB159_2394:
	s_mov_b32 s9, -1
                                        ; implicit-def: $vgpr3
	s_branch .LBB159_2399
.LBB159_2395:
	s_mov_b32 s9, -1
                                        ; implicit-def: $vgpr3
.LBB159_2396:
	s_delay_alu instid0(SALU_CYCLE_1)
	s_and_not1_b32 vcc_lo, exec_lo, s9
	s_cbranch_vccnz .LBB159_2398
; %bb.2397:
	s_wait_loadcnt 0x0
	global_load_b32 v3, v[28:29], off
	s_wait_loadcnt 0x0
	v_cvt_f32_i32_e32 v3, v3
	s_delay_alu instid0(VALU_DEP_1)
	v_cvt_f16_f32_e32 v3, v3
.LBB159_2398:
	s_mov_b32 s9, 0
.LBB159_2399:
	s_delay_alu instid0(SALU_CYCLE_1)
	s_and_not1_b32 vcc_lo, exec_lo, s9
	s_cbranch_vccnz .LBB159_2401
; %bb.2400:
	s_wait_loadcnt 0x0
	global_load_u16 v3, v[28:29], off
	s_wait_loadcnt 0x0
	v_cvt_f16_i16_e32 v3, v3
.LBB159_2401:
	s_mov_b32 s9, 0
.LBB159_2402:
	s_delay_alu instid0(SALU_CYCLE_1)
	s_and_not1_b32 vcc_lo, exec_lo, s9
	s_cbranch_vccnz .LBB159_2408
; %bb.2403:
	s_cmp_gt_i32 s8, 0
	s_mov_b32 s8, 0
	s_cbranch_scc0 .LBB159_2405
; %bb.2404:
	s_wait_loadcnt 0x0
	global_load_i8 v3, v[28:29], off
	s_wait_loadcnt 0x0
	v_cvt_f16_i16_e32 v3, v3
	s_branch .LBB159_2406
.LBB159_2405:
	s_mov_b32 s8, -1
                                        ; implicit-def: $vgpr3
.LBB159_2406:
	s_delay_alu instid0(SALU_CYCLE_1)
	s_and_not1_b32 vcc_lo, exec_lo, s8
	s_cbranch_vccnz .LBB159_2408
; %bb.2407:
	s_wait_loadcnt 0x0
	global_load_u8 v3, v[28:29], off
	s_wait_loadcnt 0x0
	v_cvt_f16_u16_e32 v3, v3
.LBB159_2408:
.LBB159_2409:
	s_clause 0x1
	s_load_b64 s[8:9], s[2:3], 0x1e0
	s_load_b32 s15, s[2:3], 0x1ec
	v_mov_b32_e32 v27, 0
	s_wait_kmcnt 0x0
	s_delay_alu instid0(VALU_DEP_1) | instskip(SKIP_1) | instid1(SALU_CYCLE_1)
	v_add_nc_u64_e32 v[26:27], s[8:9], v[26:27]
	s_and_b32 s15, s15, 0xff
	s_cmp_lt_i32 s15, 11
	s_cbranch_scc1 .LBB159_2416
; %bb.2410:
	s_and_b32 s16, 0xffff, s15
	s_mov_b32 s18, 0
	s_cmp_gt_i32 s16, 25
	s_cbranch_scc0 .LBB159_2418
; %bb.2411:
	s_cmp_gt_i32 s16, 28
	s_cbranch_scc0 .LBB159_2419
; %bb.2412:
	;; [unrolled: 3-line block ×4, first 2 shown]
	s_cmp_eq_u32 s16, 46
	s_mov_b32 s20, 0
	s_cbranch_scc0 .LBB159_2423
; %bb.2415:
	global_load_b32 v5, v[26:27], off
	s_mov_b32 s17, 0
	s_mov_b32 s19, -1
	s_wait_loadcnt 0x0
	v_lshlrev_b32_e32 v5, 16, v5
	s_delay_alu instid0(VALU_DEP_1)
	v_cvt_f16_f32_e32 v5, v5
	s_branch .LBB159_2425
.LBB159_2416:
	s_mov_b32 s19, 0
                                        ; implicit-def: $vgpr5
	s_cbranch_execnz .LBB159_2491
.LBB159_2417:
	s_and_not1_b32 vcc_lo, exec_lo, s19
	s_cbranch_vccnz .LBB159_4155
	s_branch .LBB159_2539
.LBB159_2418:
	s_mov_b32 s20, -1
	s_mov_b32 s19, 0
	s_mov_b32 s17, 0
                                        ; implicit-def: $vgpr5
	s_branch .LBB159_2454
.LBB159_2419:
	s_mov_b32 s20, -1
	s_mov_b32 s19, 0
	s_mov_b32 s17, 0
                                        ; implicit-def: $vgpr5
	s_branch .LBB159_2435
.LBB159_2420:
	s_mov_b32 s20, -1
	s_mov_b32 s19, 0
	s_mov_b32 s17, 0
                                        ; implicit-def: $vgpr5
	s_branch .LBB159_2430
.LBB159_2421:
	s_or_b32 s12, s12, exec_lo
	s_trap 2
	s_cbranch_execz .LBB159_2360
	s_branch .LBB159_2361
.LBB159_2422:
	s_mov_b32 s20, -1
	s_mov_b32 s19, 0
	s_mov_b32 s17, 0
	s_branch .LBB159_2424
.LBB159_2423:
	s_mov_b32 s17, -1
	s_mov_b32 s19, 0
.LBB159_2424:
                                        ; implicit-def: $vgpr5
.LBB159_2425:
	s_and_b32 vcc_lo, exec_lo, s20
	s_cbranch_vccz .LBB159_2429
; %bb.2426:
	s_cmp_eq_u32 s16, 44
	s_cbranch_scc0 .LBB159_2428
; %bb.2427:
	global_load_u8 v5, v[26:27], off
	s_mov_b32 s17, 0
	s_mov_b32 s19, -1
	s_wait_loadcnt 0x0
	v_lshlrev_b32_e32 v7, 23, v5
	v_cmp_ne_u32_e32 vcc_lo, 0xff, v5
	s_delay_alu instid0(VALU_DEP_2) | instskip(NEXT) | instid1(VALU_DEP_1)
	v_cvt_f16_f32_e32 v7, v7
	v_cndmask_b32_e32 v7, 0x7e00, v7, vcc_lo
	v_cmp_ne_u32_e32 vcc_lo, 0, v5
	s_delay_alu instid0(VALU_DEP_2)
	v_cndmask_b32_e32 v5, 0, v7, vcc_lo
	s_branch .LBB159_2429
.LBB159_2428:
	s_mov_b32 s17, -1
                                        ; implicit-def: $vgpr5
.LBB159_2429:
	s_mov_b32 s20, 0
.LBB159_2430:
	s_delay_alu instid0(SALU_CYCLE_1)
	s_and_b32 vcc_lo, exec_lo, s20
	s_cbranch_vccz .LBB159_2434
; %bb.2431:
	s_cmp_eq_u32 s16, 29
	s_cbranch_scc0 .LBB159_2433
; %bb.2432:
	global_load_b64 v[28:29], v[26:27], off
	s_mov_b32 s17, 0
	s_mov_b32 s19, -1
	s_mov_b32 s20, 0
	s_wait_loadcnt 0x0
	v_clz_i32_u32_e32 v5, v29
	s_delay_alu instid0(VALU_DEP_1) | instskip(NEXT) | instid1(VALU_DEP_1)
	v_min_u32_e32 v5, 32, v5
	v_lshlrev_b64_e32 v[28:29], v5, v[28:29]
	v_sub_nc_u32_e32 v5, 32, v5
	s_delay_alu instid0(VALU_DEP_2) | instskip(NEXT) | instid1(VALU_DEP_1)
	v_min_u32_e32 v7, 1, v28
	v_or_b32_e32 v7, v29, v7
	s_delay_alu instid0(VALU_DEP_1) | instskip(NEXT) | instid1(VALU_DEP_1)
	v_cvt_f32_u32_e32 v7, v7
	v_ldexp_f32 v5, v7, v5
	s_delay_alu instid0(VALU_DEP_1)
	v_cvt_f16_f32_e32 v5, v5
	s_branch .LBB159_2435
.LBB159_2433:
	s_mov_b32 s17, -1
                                        ; implicit-def: $vgpr5
.LBB159_2434:
	s_mov_b32 s20, 0
.LBB159_2435:
	s_delay_alu instid0(SALU_CYCLE_1)
	s_and_b32 vcc_lo, exec_lo, s20
	s_cbranch_vccz .LBB159_2453
; %bb.2436:
	s_cmp_lt_i32 s16, 27
	s_cbranch_scc1 .LBB159_2439
; %bb.2437:
	s_cmp_gt_i32 s16, 27
	s_cbranch_scc0 .LBB159_2440
; %bb.2438:
	global_load_b32 v5, v[26:27], off
	s_mov_b32 s19, 0
	s_wait_loadcnt 0x0
	v_cvt_f32_u32_e32 v5, v5
	s_delay_alu instid0(VALU_DEP_1)
	v_cvt_f16_f32_e32 v5, v5
	s_branch .LBB159_2441
.LBB159_2439:
	s_mov_b32 s19, -1
                                        ; implicit-def: $vgpr5
	s_branch .LBB159_2444
.LBB159_2440:
	s_mov_b32 s19, -1
                                        ; implicit-def: $vgpr5
.LBB159_2441:
	s_delay_alu instid0(SALU_CYCLE_1)
	s_and_not1_b32 vcc_lo, exec_lo, s19
	s_cbranch_vccnz .LBB159_2443
; %bb.2442:
	global_load_u16 v5, v[26:27], off
	s_wait_loadcnt 0x0
	v_cvt_f16_u16_e32 v5, v5
.LBB159_2443:
	s_mov_b32 s19, 0
.LBB159_2444:
	s_delay_alu instid0(SALU_CYCLE_1)
	s_and_not1_b32 vcc_lo, exec_lo, s19
	s_cbranch_vccnz .LBB159_2452
; %bb.2445:
	global_load_u8 v7, v[26:27], off
	s_mov_b32 s19, 0
	s_mov_b32 s20, exec_lo
	s_wait_loadcnt 0x0
	v_cmpx_lt_i16_e32 0x7f, v7
	s_xor_b32 s20, exec_lo, s20
	s_cbranch_execz .LBB159_2466
; %bb.2446:
	s_mov_b32 s19, -1
	s_mov_b32 s21, exec_lo
	v_cmpx_eq_u16_e32 0x80, v7
; %bb.2447:
	s_xor_b32 s19, exec_lo, -1
; %bb.2448:
	s_or_b32 exec_lo, exec_lo, s21
	s_delay_alu instid0(SALU_CYCLE_1)
	s_and_b32 s19, s19, exec_lo
	s_or_saveexec_b32 s20, s20
	v_mov_b32_e32 v5, 0x7e00
	s_xor_b32 exec_lo, exec_lo, s20
	s_cbranch_execnz .LBB159_2467
.LBB159_2449:
	s_or_b32 exec_lo, exec_lo, s20
	s_and_saveexec_b32 s20, s19
	s_cbranch_execz .LBB159_2451
.LBB159_2450:
	v_and_b32_e32 v5, 0xffff, v7
	s_delay_alu instid0(VALU_DEP_1) | instskip(SKIP_1) | instid1(VALU_DEP_2)
	v_and_b32_e32 v9, 7, v5
	v_bfe_u32 v15, v5, 3, 4
	v_clz_i32_u32_e32 v11, v9
	s_delay_alu instid0(VALU_DEP_2) | instskip(NEXT) | instid1(VALU_DEP_2)
	v_cmp_eq_u32_e32 vcc_lo, 0, v15
	v_min_u32_e32 v11, 32, v11
	s_delay_alu instid0(VALU_DEP_1) | instskip(NEXT) | instid1(VALU_DEP_1)
	v_subrev_nc_u32_e32 v13, 28, v11
	v_dual_lshlrev_b32 v5, v13, v5 :: v_dual_sub_nc_u32 v11, 29, v11
	s_delay_alu instid0(VALU_DEP_1) | instskip(NEXT) | instid1(VALU_DEP_1)
	v_dual_lshlrev_b32 v7, 24, v7 :: v_dual_bitop2_b32 v5, 7, v5 bitop3:0x40
	v_dual_cndmask_b32 v5, v9, v5, vcc_lo :: v_dual_cndmask_b32 v11, v15, v11, vcc_lo
	s_delay_alu instid0(VALU_DEP_2) | instskip(NEXT) | instid1(VALU_DEP_2)
	v_and_b32_e32 v7, 0x80000000, v7
	v_lshlrev_b32_e32 v5, 20, v5
	s_delay_alu instid0(VALU_DEP_3) | instskip(NEXT) | instid1(VALU_DEP_1)
	v_lshl_add_u32 v9, v11, 23, 0x3b800000
	v_or3_b32 v5, v7, v9, v5
	s_delay_alu instid0(VALU_DEP_1)
	v_cvt_f16_f32_e32 v5, v5
.LBB159_2451:
	s_or_b32 exec_lo, exec_lo, s20
.LBB159_2452:
	s_mov_b32 s19, -1
.LBB159_2453:
	s_mov_b32 s20, 0
.LBB159_2454:
	s_delay_alu instid0(SALU_CYCLE_1)
	s_and_b32 vcc_lo, exec_lo, s20
	s_cbranch_vccz .LBB159_2487
; %bb.2455:
	s_cmp_gt_i32 s16, 22
	s_cbranch_scc0 .LBB159_2465
; %bb.2456:
	s_cmp_lt_i32 s16, 24
	s_cbranch_scc1 .LBB159_2468
; %bb.2457:
	s_cmp_gt_i32 s16, 24
	s_cbranch_scc0 .LBB159_2469
; %bb.2458:
	global_load_u8 v7, v[26:27], off
	s_mov_b32 s19, exec_lo
	s_wait_loadcnt 0x0
	v_cmpx_lt_i16_e32 0x7f, v7
	s_xor_b32 s19, exec_lo, s19
	s_cbranch_execz .LBB159_2481
; %bb.2459:
	s_mov_b32 s18, -1
	s_mov_b32 s20, exec_lo
	v_cmpx_eq_u16_e32 0x80, v7
; %bb.2460:
	s_xor_b32 s18, exec_lo, -1
; %bb.2461:
	s_or_b32 exec_lo, exec_lo, s20
	s_delay_alu instid0(SALU_CYCLE_1)
	s_and_b32 s18, s18, exec_lo
	s_or_saveexec_b32 s19, s19
	v_mov_b32_e32 v5, 0x7e00
	s_xor_b32 exec_lo, exec_lo, s19
	s_cbranch_execnz .LBB159_2482
.LBB159_2462:
	s_or_b32 exec_lo, exec_lo, s19
	s_and_saveexec_b32 s19, s18
	s_cbranch_execz .LBB159_2464
.LBB159_2463:
	v_and_b32_e32 v5, 0xffff, v7
	s_delay_alu instid0(VALU_DEP_1) | instskip(SKIP_1) | instid1(VALU_DEP_2)
	v_and_b32_e32 v9, 3, v5
	v_bfe_u32 v15, v5, 2, 5
	v_clz_i32_u32_e32 v11, v9
	s_delay_alu instid0(VALU_DEP_2) | instskip(NEXT) | instid1(VALU_DEP_2)
	v_cmp_eq_u32_e32 vcc_lo, 0, v15
	v_min_u32_e32 v11, 32, v11
	s_delay_alu instid0(VALU_DEP_1) | instskip(NEXT) | instid1(VALU_DEP_1)
	v_subrev_nc_u32_e32 v13, 29, v11
	v_dual_lshlrev_b32 v5, v13, v5 :: v_dual_sub_nc_u32 v11, 30, v11
	s_delay_alu instid0(VALU_DEP_1) | instskip(NEXT) | instid1(VALU_DEP_1)
	v_dual_lshlrev_b32 v7, 24, v7 :: v_dual_bitop2_b32 v5, 3, v5 bitop3:0x40
	v_dual_cndmask_b32 v5, v9, v5, vcc_lo :: v_dual_cndmask_b32 v11, v15, v11, vcc_lo
	s_delay_alu instid0(VALU_DEP_2) | instskip(NEXT) | instid1(VALU_DEP_2)
	v_and_b32_e32 v7, 0x80000000, v7
	v_lshlrev_b32_e32 v5, 21, v5
	s_delay_alu instid0(VALU_DEP_3) | instskip(NEXT) | instid1(VALU_DEP_1)
	v_lshl_add_u32 v9, v11, 23, 0x37800000
	v_or3_b32 v5, v7, v9, v5
	s_delay_alu instid0(VALU_DEP_1)
	v_cvt_f16_f32_e32 v5, v5
.LBB159_2464:
	s_or_b32 exec_lo, exec_lo, s19
	s_mov_b32 s18, 0
	s_branch .LBB159_2470
.LBB159_2465:
	s_mov_b32 s18, -1
                                        ; implicit-def: $vgpr5
	s_branch .LBB159_2476
.LBB159_2466:
	s_or_saveexec_b32 s20, s20
	v_mov_b32_e32 v5, 0x7e00
	s_xor_b32 exec_lo, exec_lo, s20
	s_cbranch_execz .LBB159_2449
.LBB159_2467:
	v_cmp_ne_u16_e32 vcc_lo, 0, v7
	v_mov_b32_e32 v5, v7
	s_and_not1_b32 s19, s19, exec_lo
	s_and_b32 s21, vcc_lo, exec_lo
	s_delay_alu instid0(SALU_CYCLE_1)
	s_or_b32 s19, s19, s21
	s_or_b32 exec_lo, exec_lo, s20
	s_and_saveexec_b32 s20, s19
	s_cbranch_execnz .LBB159_2450
	s_branch .LBB159_2451
.LBB159_2468:
	s_mov_b32 s18, -1
                                        ; implicit-def: $vgpr5
	s_branch .LBB159_2473
.LBB159_2469:
	s_mov_b32 s18, -1
                                        ; implicit-def: $vgpr5
.LBB159_2470:
	s_delay_alu instid0(SALU_CYCLE_1)
	s_and_b32 vcc_lo, exec_lo, s18
	s_cbranch_vccz .LBB159_2472
; %bb.2471:
	global_load_u8 v5, v[26:27], off
	s_wait_loadcnt 0x0
	v_lshlrev_b32_e32 v5, 24, v5
	s_delay_alu instid0(VALU_DEP_1) | instskip(NEXT) | instid1(VALU_DEP_1)
	v_and_b32_e32 v7, 0x7f000000, v5
	v_clz_i32_u32_e32 v9, v7
	v_add_nc_u32_e32 v13, 0x1000000, v7
	v_cmp_ne_u32_e32 vcc_lo, 0, v7
	s_delay_alu instid0(VALU_DEP_3) | instskip(NEXT) | instid1(VALU_DEP_1)
	v_min_u32_e32 v9, 32, v9
	v_sub_nc_u32_e64 v9, v9, 4 clamp
	s_delay_alu instid0(VALU_DEP_1) | instskip(NEXT) | instid1(VALU_DEP_1)
	v_dual_lshlrev_b32 v11, v9, v7 :: v_dual_lshlrev_b32 v9, 23, v9
	v_lshrrev_b32_e32 v11, 4, v11
	s_delay_alu instid0(VALU_DEP_1) | instskip(SKIP_1) | instid1(VALU_DEP_2)
	v_sub_nc_u32_e32 v9, v11, v9
	v_ashrrev_i32_e32 v11, 8, v13
	v_add_nc_u32_e32 v9, 0x3c000000, v9
	s_delay_alu instid0(VALU_DEP_1) | instskip(NEXT) | instid1(VALU_DEP_1)
	v_and_or_b32 v9, 0x7f800000, v11, v9
	v_cndmask_b32_e32 v7, 0, v9, vcc_lo
	s_delay_alu instid0(VALU_DEP_1) | instskip(NEXT) | instid1(VALU_DEP_1)
	v_and_or_b32 v5, 0x80000000, v5, v7
	v_cvt_f16_f32_e32 v5, v5
.LBB159_2472:
	s_mov_b32 s18, 0
.LBB159_2473:
	s_delay_alu instid0(SALU_CYCLE_1)
	s_and_not1_b32 vcc_lo, exec_lo, s18
	s_cbranch_vccnz .LBB159_2475
; %bb.2474:
	global_load_u8 v5, v[26:27], off
	s_wait_loadcnt 0x0
	v_lshlrev_b32_e32 v7, 25, v5
	v_lshlrev_b16 v5, 8, v5
	s_delay_alu instid0(VALU_DEP_1) | instskip(SKIP_1) | instid1(VALU_DEP_2)
	v_and_or_b32 v11, 0x7f00, v5, 0.5
	v_bfe_i32 v5, v5, 0, 16
	v_add_f32_e32 v11, -0.5, v11
	v_lshrrev_b32_e32 v9, 4, v7
	v_cmp_gt_u32_e32 vcc_lo, 0x8000000, v7
	s_delay_alu instid0(VALU_DEP_2) | instskip(NEXT) | instid1(VALU_DEP_1)
	v_or_b32_e32 v9, 0x70000000, v9
	v_mul_f32_e32 v9, 0x7800000, v9
	s_delay_alu instid0(VALU_DEP_1) | instskip(NEXT) | instid1(VALU_DEP_1)
	v_cndmask_b32_e32 v7, v9, v11, vcc_lo
	v_and_or_b32 v5, 0x80000000, v5, v7
	s_delay_alu instid0(VALU_DEP_1)
	v_cvt_f16_f32_e32 v5, v5
.LBB159_2475:
	s_mov_b32 s18, 0
	s_mov_b32 s19, -1
.LBB159_2476:
	s_and_not1_b32 vcc_lo, exec_lo, s18
	s_mov_b32 s18, 0
	s_cbranch_vccnz .LBB159_2487
; %bb.2477:
	s_cmp_gt_i32 s16, 14
	s_cbranch_scc0 .LBB159_2480
; %bb.2478:
	s_cmp_eq_u32 s16, 15
	s_cbranch_scc0 .LBB159_2483
; %bb.2479:
	global_load_u16 v5, v[26:27], off
	s_mov_b32 s17, 0
	s_mov_b32 s19, -1
	s_wait_loadcnt 0x0
	v_lshlrev_b32_e32 v5, 16, v5
	s_delay_alu instid0(VALU_DEP_1)
	v_cvt_f16_f32_e32 v5, v5
	s_branch .LBB159_2485
.LBB159_2480:
	s_mov_b32 s18, -1
	s_branch .LBB159_2484
.LBB159_2481:
	s_or_saveexec_b32 s19, s19
	v_mov_b32_e32 v5, 0x7e00
	s_xor_b32 exec_lo, exec_lo, s19
	s_cbranch_execz .LBB159_2462
.LBB159_2482:
	v_cmp_ne_u16_e32 vcc_lo, 0, v7
	v_mov_b32_e32 v5, v7
	s_and_not1_b32 s18, s18, exec_lo
	s_and_b32 s20, vcc_lo, exec_lo
	s_delay_alu instid0(SALU_CYCLE_1)
	s_or_b32 s18, s18, s20
	s_or_b32 exec_lo, exec_lo, s19
	s_and_saveexec_b32 s19, s18
	s_cbranch_execnz .LBB159_2463
	s_branch .LBB159_2464
.LBB159_2483:
	s_mov_b32 s17, -1
.LBB159_2484:
                                        ; implicit-def: $vgpr5
.LBB159_2485:
	s_and_b32 vcc_lo, exec_lo, s18
	s_mov_b32 s18, 0
	s_cbranch_vccz .LBB159_2487
; %bb.2486:
	s_cmp_lg_u32 s16, 11
	s_mov_b32 s18, -1
	s_cselect_b32 s17, -1, 0
.LBB159_2487:
	s_delay_alu instid0(SALU_CYCLE_1)
	s_and_b32 vcc_lo, exec_lo, s17
	s_cbranch_vccnz .LBB159_2550
; %bb.2488:
	s_and_not1_b32 vcc_lo, exec_lo, s18
	s_cbranch_vccnz .LBB159_2490
.LBB159_2489:
	global_load_u8 v5, v[26:27], off
	s_mov_b32 s19, -1
	s_wait_loadcnt 0x0
	v_cmp_ne_u16_e32 vcc_lo, 0, v5
	v_cndmask_b32_e64 v5, 0, 0x3c00, vcc_lo
.LBB159_2490:
	s_branch .LBB159_2417
.LBB159_2491:
	s_and_b32 s16, 0xffff, s15
	s_delay_alu instid0(SALU_CYCLE_1)
	s_cmp_lt_i32 s16, 5
	s_cbranch_scc1 .LBB159_2496
; %bb.2492:
	s_cmp_lt_i32 s16, 8
	s_cbranch_scc1 .LBB159_2497
; %bb.2493:
	;; [unrolled: 3-line block ×3, first 2 shown]
	s_cmp_gt_i32 s16, 9
	s_cbranch_scc0 .LBB159_2499
; %bb.2495:
	global_load_b64 v[28:29], v[26:27], off
	s_mov_b32 s17, 0
	s_wait_loadcnt 0x0
	v_and_or_b32 v5, 0x1ff, v29, v28
	v_lshrrev_b32_e32 v7, 8, v29
	v_bfe_u32 v9, v29, 20, 11
	s_delay_alu instid0(VALU_DEP_3) | instskip(NEXT) | instid1(VALU_DEP_2)
	v_cmp_ne_u32_e32 vcc_lo, 0, v5
	v_sub_nc_u32_e32 v11, 0x3f1, v9
	v_add_nc_u32_e32 v9, 0xfffffc10, v9
	v_cndmask_b32_e64 v5, 0, 1, vcc_lo
	s_delay_alu instid0(VALU_DEP_1) | instskip(NEXT) | instid1(VALU_DEP_4)
	v_and_or_b32 v5, 0xffe, v7, v5
	v_med3_i32 v7, v11, 0, 13
	s_delay_alu instid0(VALU_DEP_2) | instskip(NEXT) | instid1(VALU_DEP_1)
	v_or_b32_e32 v11, 0x1000, v5
	v_lshrrev_b32_e32 v13, v7, v11
	s_delay_alu instid0(VALU_DEP_1) | instskip(NEXT) | instid1(VALU_DEP_1)
	v_lshlrev_b32_e32 v7, v7, v13
	v_cmp_ne_u32_e32 vcc_lo, v7, v11
	v_lshl_or_b32 v11, v9, 12, v5
	v_cndmask_b32_e64 v7, 0, 1, vcc_lo
	v_cmp_gt_i32_e32 vcc_lo, 1, v9
	s_delay_alu instid0(VALU_DEP_2) | instskip(NEXT) | instid1(VALU_DEP_1)
	v_or_b32_e32 v7, v13, v7
	v_cndmask_b32_e32 v7, v11, v7, vcc_lo
	s_delay_alu instid0(VALU_DEP_1) | instskip(NEXT) | instid1(VALU_DEP_1)
	v_and_b32_e32 v11, 7, v7
	v_cmp_lt_i32_e32 vcc_lo, 5, v11
	v_cndmask_b32_e64 v13, 0, 1, vcc_lo
	v_cmp_eq_u32_e32 vcc_lo, 3, v11
	v_cndmask_b32_e64 v11, 0, 1, vcc_lo
	v_cmp_ne_u32_e32 vcc_lo, 0, v5
	s_delay_alu instid0(VALU_DEP_2) | instskip(SKIP_1) | instid1(VALU_DEP_2)
	v_dual_lshrrev_b32 v7, 2, v7 :: v_dual_bitop2_b32 v11, v11, v13 bitop3:0x54
	v_mov_b32_e32 v13, 0x7e00
	v_add_nc_u32_e32 v7, v7, v11
	s_delay_alu instid0(VALU_DEP_2) | instskip(SKIP_1) | instid1(VALU_DEP_3)
	v_cndmask_b32_e32 v5, 0x7c00, v13, vcc_lo
	v_cmp_gt_i32_e32 vcc_lo, 31, v9
	v_cndmask_b32_e32 v7, 0x7c00, v7, vcc_lo
	v_cmp_eq_u32_e32 vcc_lo, 0x40f, v9
	s_delay_alu instid0(VALU_DEP_2) | instskip(SKIP_1) | instid1(VALU_DEP_1)
	v_cndmask_b32_e32 v5, v7, v5, vcc_lo
	v_lshrrev_b32_e32 v7, 16, v29
	v_and_or_b32 v5, 0x8000, v7, v5
	s_branch .LBB159_2500
.LBB159_2496:
	s_mov_b32 s17, -1
                                        ; implicit-def: $vgpr5
	s_branch .LBB159_2518
.LBB159_2497:
	s_mov_b32 s17, -1
                                        ; implicit-def: $vgpr5
	s_branch .LBB159_2506
.LBB159_2498:
	s_mov_b32 s17, -1
                                        ; implicit-def: $vgpr5
	s_branch .LBB159_2503
.LBB159_2499:
	s_mov_b32 s17, -1
                                        ; implicit-def: $vgpr5
.LBB159_2500:
	s_delay_alu instid0(SALU_CYCLE_1)
	s_and_not1_b32 vcc_lo, exec_lo, s17
	s_cbranch_vccnz .LBB159_2502
; %bb.2501:
	global_load_b32 v5, v[26:27], off
	s_wait_loadcnt 0x0
	v_cvt_f16_f32_e32 v5, v5
.LBB159_2502:
	s_mov_b32 s17, 0
.LBB159_2503:
	s_delay_alu instid0(SALU_CYCLE_1)
	s_and_not1_b32 vcc_lo, exec_lo, s17
	s_cbranch_vccnz .LBB159_2505
; %bb.2504:
	global_load_b32 v5, v[26:27], off
.LBB159_2505:
	s_mov_b32 s17, 0
.LBB159_2506:
	s_delay_alu instid0(SALU_CYCLE_1)
	s_and_not1_b32 vcc_lo, exec_lo, s17
	s_cbranch_vccnz .LBB159_2517
; %bb.2507:
	s_cmp_lt_i32 s16, 6
	s_cbranch_scc1 .LBB159_2510
; %bb.2508:
	s_cmp_gt_i32 s16, 6
	s_cbranch_scc0 .LBB159_2511
; %bb.2509:
	global_load_b64 v[28:29], v[26:27], off
	s_mov_b32 s17, 0
	s_wait_loadcnt 0x0
	v_and_or_b32 v5, 0x1ff, v29, v28
	v_lshrrev_b32_e32 v7, 8, v29
	v_bfe_u32 v9, v29, 20, 11
	s_delay_alu instid0(VALU_DEP_3) | instskip(NEXT) | instid1(VALU_DEP_2)
	v_cmp_ne_u32_e32 vcc_lo, 0, v5
	v_sub_nc_u32_e32 v11, 0x3f1, v9
	v_add_nc_u32_e32 v9, 0xfffffc10, v9
	v_cndmask_b32_e64 v5, 0, 1, vcc_lo
	s_delay_alu instid0(VALU_DEP_1) | instskip(NEXT) | instid1(VALU_DEP_4)
	v_and_or_b32 v5, 0xffe, v7, v5
	v_med3_i32 v7, v11, 0, 13
	s_delay_alu instid0(VALU_DEP_2) | instskip(NEXT) | instid1(VALU_DEP_1)
	v_or_b32_e32 v11, 0x1000, v5
	v_lshrrev_b32_e32 v13, v7, v11
	s_delay_alu instid0(VALU_DEP_1) | instskip(NEXT) | instid1(VALU_DEP_1)
	v_lshlrev_b32_e32 v7, v7, v13
	v_cmp_ne_u32_e32 vcc_lo, v7, v11
	v_lshl_or_b32 v11, v9, 12, v5
	v_cndmask_b32_e64 v7, 0, 1, vcc_lo
	v_cmp_gt_i32_e32 vcc_lo, 1, v9
	s_delay_alu instid0(VALU_DEP_2) | instskip(NEXT) | instid1(VALU_DEP_1)
	v_or_b32_e32 v7, v13, v7
	v_cndmask_b32_e32 v7, v11, v7, vcc_lo
	s_delay_alu instid0(VALU_DEP_1) | instskip(NEXT) | instid1(VALU_DEP_1)
	v_and_b32_e32 v11, 7, v7
	v_cmp_lt_i32_e32 vcc_lo, 5, v11
	v_cndmask_b32_e64 v13, 0, 1, vcc_lo
	v_cmp_eq_u32_e32 vcc_lo, 3, v11
	v_cndmask_b32_e64 v11, 0, 1, vcc_lo
	v_cmp_ne_u32_e32 vcc_lo, 0, v5
	s_delay_alu instid0(VALU_DEP_2) | instskip(SKIP_1) | instid1(VALU_DEP_2)
	v_dual_lshrrev_b32 v7, 2, v7 :: v_dual_bitop2_b32 v11, v11, v13 bitop3:0x54
	v_mov_b32_e32 v13, 0x7e00
	v_add_nc_u32_e32 v7, v7, v11
	s_delay_alu instid0(VALU_DEP_2) | instskip(SKIP_1) | instid1(VALU_DEP_3)
	v_cndmask_b32_e32 v5, 0x7c00, v13, vcc_lo
	v_cmp_gt_i32_e32 vcc_lo, 31, v9
	v_cndmask_b32_e32 v7, 0x7c00, v7, vcc_lo
	v_cmp_eq_u32_e32 vcc_lo, 0x40f, v9
	s_delay_alu instid0(VALU_DEP_2) | instskip(SKIP_1) | instid1(VALU_DEP_1)
	v_cndmask_b32_e32 v5, v7, v5, vcc_lo
	v_lshrrev_b32_e32 v7, 16, v29
	v_and_or_b32 v5, 0x8000, v7, v5
	s_branch .LBB159_2512
.LBB159_2510:
	s_mov_b32 s17, -1
                                        ; implicit-def: $vgpr5
	s_branch .LBB159_2515
.LBB159_2511:
	s_mov_b32 s17, -1
                                        ; implicit-def: $vgpr5
.LBB159_2512:
	s_delay_alu instid0(SALU_CYCLE_1)
	s_and_not1_b32 vcc_lo, exec_lo, s17
	s_cbranch_vccnz .LBB159_2514
; %bb.2513:
	s_wait_loadcnt 0x0
	global_load_b32 v5, v[26:27], off
	s_wait_loadcnt 0x0
	v_cvt_f16_f32_e32 v5, v5
.LBB159_2514:
	s_mov_b32 s17, 0
.LBB159_2515:
	s_delay_alu instid0(SALU_CYCLE_1)
	s_and_not1_b32 vcc_lo, exec_lo, s17
	s_cbranch_vccnz .LBB159_2517
; %bb.2516:
	s_wait_loadcnt 0x0
	global_load_u16 v5, v[26:27], off
.LBB159_2517:
	s_mov_b32 s17, 0
.LBB159_2518:
	s_delay_alu instid0(SALU_CYCLE_1)
	s_and_not1_b32 vcc_lo, exec_lo, s17
	s_cbranch_vccnz .LBB159_2538
; %bb.2519:
	s_cmp_lt_i32 s16, 2
	s_cbranch_scc1 .LBB159_2523
; %bb.2520:
	s_cmp_lt_i32 s16, 3
	s_cbranch_scc1 .LBB159_2524
; %bb.2521:
	s_cmp_gt_i32 s16, 3
	s_cbranch_scc0 .LBB159_2525
; %bb.2522:
	global_load_b64 v[28:29], v[26:27], off
	s_mov_b32 s17, 0
	s_wait_loadcnt 0x0
	v_xor_b32_e32 v5, v28, v29
	v_cls_i32_e32 v7, v29
	s_delay_alu instid0(VALU_DEP_2) | instskip(NEXT) | instid1(VALU_DEP_1)
	v_ashrrev_i32_e32 v5, 31, v5
	v_add_nc_u32_e32 v5, 32, v5
	s_delay_alu instid0(VALU_DEP_1) | instskip(NEXT) | instid1(VALU_DEP_1)
	v_add_min_u32_e64 v5, v7, -1, v5
	v_lshlrev_b64_e32 v[28:29], v5, v[28:29]
	v_sub_nc_u32_e32 v5, 32, v5
	s_delay_alu instid0(VALU_DEP_2) | instskip(NEXT) | instid1(VALU_DEP_1)
	v_min_u32_e32 v7, 1, v28
	v_or_b32_e32 v7, v29, v7
	s_delay_alu instid0(VALU_DEP_1) | instskip(NEXT) | instid1(VALU_DEP_1)
	v_cvt_f32_i32_e32 v7, v7
	v_ldexp_f32 v5, v7, v5
	s_delay_alu instid0(VALU_DEP_1)
	v_cvt_f16_f32_e32 v5, v5
	s_branch .LBB159_2526
.LBB159_2523:
	s_mov_b32 s17, -1
                                        ; implicit-def: $vgpr5
	s_branch .LBB159_2532
.LBB159_2524:
	s_mov_b32 s17, -1
                                        ; implicit-def: $vgpr5
	s_branch .LBB159_2529
.LBB159_2525:
	s_mov_b32 s17, -1
                                        ; implicit-def: $vgpr5
.LBB159_2526:
	s_delay_alu instid0(SALU_CYCLE_1)
	s_and_not1_b32 vcc_lo, exec_lo, s17
	s_cbranch_vccnz .LBB159_2528
; %bb.2527:
	s_wait_loadcnt 0x0
	global_load_b32 v5, v[26:27], off
	s_wait_loadcnt 0x0
	v_cvt_f32_i32_e32 v5, v5
	s_delay_alu instid0(VALU_DEP_1)
	v_cvt_f16_f32_e32 v5, v5
.LBB159_2528:
	s_mov_b32 s17, 0
.LBB159_2529:
	s_delay_alu instid0(SALU_CYCLE_1)
	s_and_not1_b32 vcc_lo, exec_lo, s17
	s_cbranch_vccnz .LBB159_2531
; %bb.2530:
	s_wait_loadcnt 0x0
	global_load_u16 v5, v[26:27], off
	s_wait_loadcnt 0x0
	v_cvt_f16_i16_e32 v5, v5
.LBB159_2531:
	s_mov_b32 s17, 0
.LBB159_2532:
	s_delay_alu instid0(SALU_CYCLE_1)
	s_and_not1_b32 vcc_lo, exec_lo, s17
	s_cbranch_vccnz .LBB159_2538
; %bb.2533:
	s_cmp_gt_i32 s16, 0
	s_mov_b32 s16, 0
	s_cbranch_scc0 .LBB159_2535
; %bb.2534:
	s_wait_loadcnt 0x0
	global_load_i8 v5, v[26:27], off
	s_wait_loadcnt 0x0
	v_cvt_f16_i16_e32 v5, v5
	s_branch .LBB159_2536
.LBB159_2535:
	s_mov_b32 s16, -1
                                        ; implicit-def: $vgpr5
.LBB159_2536:
	s_delay_alu instid0(SALU_CYCLE_1)
	s_and_not1_b32 vcc_lo, exec_lo, s16
	s_cbranch_vccnz .LBB159_2538
; %bb.2537:
	s_wait_loadcnt 0x0
	global_load_u8 v5, v[26:27], off
	s_wait_loadcnt 0x0
	v_cvt_f16_u16_e32 v5, v5
.LBB159_2538:
.LBB159_2539:
	v_mov_b32_e32 v25, 0
	s_and_b32 s13, 0xffff, s13
	s_delay_alu instid0(SALU_CYCLE_1) | instskip(NEXT) | instid1(VALU_DEP_1)
	s_cmp_lt_i32 s13, 11
	v_add_nc_u64_e32 v[24:25], s[6:7], v[24:25]
	s_cbranch_scc1 .LBB159_2546
; %bb.2540:
	s_cmp_gt_i32 s13, 25
	s_mov_b32 s17, 0
	s_cbranch_scc0 .LBB159_2547
; %bb.2541:
	s_cmp_gt_i32 s13, 28
	s_cbranch_scc0 .LBB159_2548
; %bb.2542:
	s_cmp_gt_i32 s13, 43
	;; [unrolled: 3-line block ×3, first 2 shown]
	s_cbranch_scc0 .LBB159_2551
; %bb.2544:
	s_cmp_eq_u32 s13, 46
	s_mov_b32 s19, 0
	s_cbranch_scc0 .LBB159_2552
; %bb.2545:
	global_load_b32 v7, v[24:25], off
	s_mov_b32 s16, 0
	s_mov_b32 s18, -1
	s_wait_loadcnt 0x0
	v_lshlrev_b32_e32 v7, 16, v7
	s_wait_xcnt 0x1
	s_delay_alu instid0(VALU_DEP_1)
	v_cvt_f16_f32_e32 v26, v7
	s_branch .LBB159_2554
.LBB159_2546:
	s_mov_b32 s16, -1
	s_mov_b32 s18, 0
                                        ; implicit-def: $vgpr26
	s_branch .LBB159_2620
.LBB159_2547:
	s_mov_b32 s19, -1
	s_mov_b32 s18, 0
	s_mov_b32 s16, 0
                                        ; implicit-def: $vgpr26
	s_branch .LBB159_2583
.LBB159_2548:
	s_mov_b32 s19, -1
	s_mov_b32 s18, 0
	s_mov_b32 s16, 0
                                        ; implicit-def: $vgpr26
	s_branch .LBB159_2564
.LBB159_2549:
	s_mov_b32 s19, -1
	s_mov_b32 s18, 0
	s_mov_b32 s16, 0
                                        ; implicit-def: $vgpr26
	s_branch .LBB159_2559
.LBB159_2550:
	s_or_b32 s12, s12, exec_lo
	s_trap 2
	s_cbranch_execz .LBB159_2489
	s_branch .LBB159_2490
.LBB159_2551:
	s_mov_b32 s19, -1
	s_mov_b32 s18, 0
	s_mov_b32 s16, 0
	s_branch .LBB159_2553
.LBB159_2552:
	s_mov_b32 s16, -1
	s_mov_b32 s18, 0
.LBB159_2553:
                                        ; implicit-def: $vgpr26
.LBB159_2554:
	s_and_b32 vcc_lo, exec_lo, s19
	s_cbranch_vccz .LBB159_2558
; %bb.2555:
	s_cmp_eq_u32 s13, 44
	s_cbranch_scc0 .LBB159_2557
; %bb.2556:
	global_load_u8 v7, v[24:25], off
	s_mov_b32 s16, 0
	s_mov_b32 s18, -1
	s_wait_loadcnt 0x0
	v_lshlrev_b32_e32 v9, 23, v7
	v_cmp_ne_u32_e32 vcc_lo, 0xff, v7
	s_delay_alu instid0(VALU_DEP_2) | instskip(NEXT) | instid1(VALU_DEP_1)
	v_cvt_f16_f32_e32 v9, v9
	v_cndmask_b32_e32 v9, 0x7e00, v9, vcc_lo
	v_cmp_ne_u32_e32 vcc_lo, 0, v7
	s_wait_xcnt 0x1
	s_delay_alu instid0(VALU_DEP_2)
	v_cndmask_b32_e32 v26, 0, v9, vcc_lo
	s_branch .LBB159_2558
.LBB159_2557:
	s_mov_b32 s16, -1
                                        ; implicit-def: $vgpr26
.LBB159_2558:
	s_mov_b32 s19, 0
.LBB159_2559:
	s_delay_alu instid0(SALU_CYCLE_1)
	s_and_b32 vcc_lo, exec_lo, s19
	s_cbranch_vccz .LBB159_2563
; %bb.2560:
	s_cmp_eq_u32 s13, 29
	s_cbranch_scc0 .LBB159_2562
; %bb.2561:
	global_load_b64 v[26:27], v[24:25], off
	s_mov_b32 s16, 0
	s_mov_b32 s18, -1
	s_mov_b32 s19, 0
	s_wait_loadcnt 0x0
	v_clz_i32_u32_e32 v7, v27
	s_delay_alu instid0(VALU_DEP_1) | instskip(NEXT) | instid1(VALU_DEP_1)
	v_min_u32_e32 v7, 32, v7
	v_lshlrev_b64_e32 v[26:27], v7, v[26:27]
	v_sub_nc_u32_e32 v7, 32, v7
	s_delay_alu instid0(VALU_DEP_2) | instskip(NEXT) | instid1(VALU_DEP_1)
	v_min_u32_e32 v9, 1, v26
	v_or_b32_e32 v9, v27, v9
	s_delay_alu instid0(VALU_DEP_1) | instskip(NEXT) | instid1(VALU_DEP_1)
	v_cvt_f32_u32_e32 v9, v9
	v_ldexp_f32 v7, v9, v7
	s_delay_alu instid0(VALU_DEP_1)
	v_cvt_f16_f32_e32 v26, v7
	s_branch .LBB159_2564
.LBB159_2562:
	s_mov_b32 s16, -1
                                        ; implicit-def: $vgpr26
.LBB159_2563:
	s_mov_b32 s19, 0
.LBB159_2564:
	s_delay_alu instid0(SALU_CYCLE_1)
	s_and_b32 vcc_lo, exec_lo, s19
	s_cbranch_vccz .LBB159_2582
; %bb.2565:
	s_cmp_lt_i32 s13, 27
	s_cbranch_scc1 .LBB159_2568
; %bb.2566:
	s_cmp_gt_i32 s13, 27
	s_cbranch_scc0 .LBB159_2569
; %bb.2567:
	global_load_b32 v7, v[24:25], off
	s_mov_b32 s18, 0
	s_wait_loadcnt 0x0
	v_cvt_f32_u32_e32 v7, v7
	s_wait_xcnt 0x1
	s_delay_alu instid0(VALU_DEP_1)
	v_cvt_f16_f32_e32 v26, v7
	s_branch .LBB159_2570
.LBB159_2568:
	s_mov_b32 s18, -1
                                        ; implicit-def: $vgpr26
	s_branch .LBB159_2573
.LBB159_2569:
	s_mov_b32 s18, -1
                                        ; implicit-def: $vgpr26
.LBB159_2570:
	s_delay_alu instid0(SALU_CYCLE_1)
	s_and_not1_b32 vcc_lo, exec_lo, s18
	s_cbranch_vccnz .LBB159_2572
; %bb.2571:
	global_load_u16 v7, v[24:25], off
	s_wait_loadcnt 0x0
	s_wait_xcnt 0x1
	v_cvt_f16_u16_e32 v26, v7
.LBB159_2572:
	s_mov_b32 s18, 0
.LBB159_2573:
	s_delay_alu instid0(SALU_CYCLE_1)
	s_and_not1_b32 vcc_lo, exec_lo, s18
	s_cbranch_vccnz .LBB159_2581
; %bb.2574:
	global_load_u8 v7, v[24:25], off
	s_mov_b32 s18, 0
	s_mov_b32 s19, exec_lo
	s_wait_loadcnt 0x0
	v_cmpx_lt_i16_e32 0x7f, v7
	s_xor_b32 s19, exec_lo, s19
	s_cbranch_execz .LBB159_2595
; %bb.2575:
	s_mov_b32 s18, -1
	s_mov_b32 s20, exec_lo
	v_cmpx_eq_u16_e32 0x80, v7
; %bb.2576:
	s_xor_b32 s18, exec_lo, -1
; %bb.2577:
	s_or_b32 exec_lo, exec_lo, s20
	s_delay_alu instid0(SALU_CYCLE_1)
	s_and_b32 s18, s18, exec_lo
	s_or_saveexec_b32 s19, s19
	v_mov_b32_e32 v26, 0x7e00
	s_xor_b32 exec_lo, exec_lo, s19
	s_cbranch_execnz .LBB159_2596
.LBB159_2578:
	s_or_b32 exec_lo, exec_lo, s19
	s_and_saveexec_b32 s19, s18
	s_cbranch_execz .LBB159_2580
.LBB159_2579:
	v_and_b32_e32 v9, 0xffff, v7
	s_delay_alu instid0(VALU_DEP_1) | instskip(SKIP_1) | instid1(VALU_DEP_2)
	v_dual_lshlrev_b32 v7, 24, v7 :: v_dual_bitop2_b32 v11, 7, v9 bitop3:0x40
	v_bfe_u32 v17, v9, 3, 4
	v_and_b32_e32 v7, 0x80000000, v7
	s_delay_alu instid0(VALU_DEP_3) | instskip(NEXT) | instid1(VALU_DEP_3)
	v_clz_i32_u32_e32 v13, v11
	v_cmp_eq_u32_e32 vcc_lo, 0, v17
	s_delay_alu instid0(VALU_DEP_2) | instskip(NEXT) | instid1(VALU_DEP_1)
	v_min_u32_e32 v13, 32, v13
	v_subrev_nc_u32_e32 v15, 28, v13
	v_sub_nc_u32_e32 v13, 29, v13
	s_delay_alu instid0(VALU_DEP_2) | instskip(NEXT) | instid1(VALU_DEP_2)
	v_lshlrev_b32_e32 v9, v15, v9
	v_cndmask_b32_e32 v13, v17, v13, vcc_lo
	s_delay_alu instid0(VALU_DEP_2) | instskip(NEXT) | instid1(VALU_DEP_1)
	v_and_b32_e32 v9, 7, v9
	v_cndmask_b32_e32 v9, v11, v9, vcc_lo
	s_delay_alu instid0(VALU_DEP_3) | instskip(NEXT) | instid1(VALU_DEP_2)
	v_lshl_add_u32 v11, v13, 23, 0x3b800000
	v_lshlrev_b32_e32 v9, 20, v9
	s_delay_alu instid0(VALU_DEP_1) | instskip(NEXT) | instid1(VALU_DEP_1)
	v_or3_b32 v7, v7, v11, v9
	v_cvt_f16_f32_e32 v26, v7
.LBB159_2580:
	s_or_b32 exec_lo, exec_lo, s19
.LBB159_2581:
	s_mov_b32 s18, -1
.LBB159_2582:
	s_mov_b32 s19, 0
.LBB159_2583:
	s_delay_alu instid0(SALU_CYCLE_1)
	s_and_b32 vcc_lo, exec_lo, s19
	s_cbranch_vccz .LBB159_2616
; %bb.2584:
	s_cmp_gt_i32 s13, 22
	s_cbranch_scc0 .LBB159_2594
; %bb.2585:
	s_cmp_lt_i32 s13, 24
	s_cbranch_scc1 .LBB159_2597
; %bb.2586:
	s_cmp_gt_i32 s13, 24
	s_cbranch_scc0 .LBB159_2598
; %bb.2587:
	global_load_u8 v7, v[24:25], off
	s_mov_b32 s18, exec_lo
	s_wait_loadcnt 0x0
	v_cmpx_lt_i16_e32 0x7f, v7
	s_xor_b32 s18, exec_lo, s18
	s_cbranch_execz .LBB159_2610
; %bb.2588:
	s_mov_b32 s17, -1
	s_mov_b32 s19, exec_lo
	v_cmpx_eq_u16_e32 0x80, v7
; %bb.2589:
	s_xor_b32 s17, exec_lo, -1
; %bb.2590:
	s_or_b32 exec_lo, exec_lo, s19
	s_delay_alu instid0(SALU_CYCLE_1)
	s_and_b32 s17, s17, exec_lo
	s_or_saveexec_b32 s18, s18
	v_mov_b32_e32 v26, 0x7e00
	s_xor_b32 exec_lo, exec_lo, s18
	s_cbranch_execnz .LBB159_2611
.LBB159_2591:
	s_or_b32 exec_lo, exec_lo, s18
	s_and_saveexec_b32 s18, s17
	s_cbranch_execz .LBB159_2593
.LBB159_2592:
	v_and_b32_e32 v9, 0xffff, v7
	s_delay_alu instid0(VALU_DEP_1) | instskip(SKIP_1) | instid1(VALU_DEP_2)
	v_dual_lshlrev_b32 v7, 24, v7 :: v_dual_bitop2_b32 v11, 3, v9 bitop3:0x40
	v_bfe_u32 v17, v9, 2, 5
	v_and_b32_e32 v7, 0x80000000, v7
	s_delay_alu instid0(VALU_DEP_3) | instskip(NEXT) | instid1(VALU_DEP_3)
	v_clz_i32_u32_e32 v13, v11
	v_cmp_eq_u32_e32 vcc_lo, 0, v17
	s_delay_alu instid0(VALU_DEP_2) | instskip(NEXT) | instid1(VALU_DEP_1)
	v_min_u32_e32 v13, 32, v13
	v_subrev_nc_u32_e32 v15, 29, v13
	v_sub_nc_u32_e32 v13, 30, v13
	s_delay_alu instid0(VALU_DEP_2) | instskip(NEXT) | instid1(VALU_DEP_2)
	v_lshlrev_b32_e32 v9, v15, v9
	v_cndmask_b32_e32 v13, v17, v13, vcc_lo
	s_delay_alu instid0(VALU_DEP_2) | instskip(NEXT) | instid1(VALU_DEP_1)
	v_and_b32_e32 v9, 3, v9
	v_cndmask_b32_e32 v9, v11, v9, vcc_lo
	s_delay_alu instid0(VALU_DEP_3) | instskip(NEXT) | instid1(VALU_DEP_2)
	v_lshl_add_u32 v11, v13, 23, 0x37800000
	v_lshlrev_b32_e32 v9, 21, v9
	s_delay_alu instid0(VALU_DEP_1) | instskip(NEXT) | instid1(VALU_DEP_1)
	v_or3_b32 v7, v7, v11, v9
	v_cvt_f16_f32_e32 v26, v7
.LBB159_2593:
	s_or_b32 exec_lo, exec_lo, s18
	s_mov_b32 s17, 0
	s_branch .LBB159_2599
.LBB159_2594:
	s_mov_b32 s17, -1
                                        ; implicit-def: $vgpr26
	s_branch .LBB159_2605
.LBB159_2595:
	s_or_saveexec_b32 s19, s19
	v_mov_b32_e32 v26, 0x7e00
	s_xor_b32 exec_lo, exec_lo, s19
	s_cbranch_execz .LBB159_2578
.LBB159_2596:
	v_cmp_ne_u16_e32 vcc_lo, 0, v7
	v_mov_b32_e32 v26, v7
	s_and_not1_b32 s18, s18, exec_lo
	s_and_b32 s20, vcc_lo, exec_lo
	s_delay_alu instid0(SALU_CYCLE_1)
	s_or_b32 s18, s18, s20
	s_or_b32 exec_lo, exec_lo, s19
	s_and_saveexec_b32 s19, s18
	s_cbranch_execnz .LBB159_2579
	s_branch .LBB159_2580
.LBB159_2597:
	s_mov_b32 s17, -1
                                        ; implicit-def: $vgpr26
	s_branch .LBB159_2602
.LBB159_2598:
	s_mov_b32 s17, -1
                                        ; implicit-def: $vgpr26
.LBB159_2599:
	s_delay_alu instid0(SALU_CYCLE_1)
	s_and_b32 vcc_lo, exec_lo, s17
	s_cbranch_vccz .LBB159_2601
; %bb.2600:
	global_load_u8 v7, v[24:25], off
	s_wait_loadcnt 0x0
	v_lshlrev_b32_e32 v7, 24, v7
	s_delay_alu instid0(VALU_DEP_1) | instskip(NEXT) | instid1(VALU_DEP_1)
	v_and_b32_e32 v9, 0x7f000000, v7
	v_clz_i32_u32_e32 v11, v9
	v_add_nc_u32_e32 v15, 0x1000000, v9
	v_cmp_ne_u32_e32 vcc_lo, 0, v9
	s_delay_alu instid0(VALU_DEP_3) | instskip(NEXT) | instid1(VALU_DEP_1)
	v_min_u32_e32 v11, 32, v11
	v_sub_nc_u32_e64 v11, v11, 4 clamp
	s_delay_alu instid0(VALU_DEP_1) | instskip(NEXT) | instid1(VALU_DEP_1)
	v_dual_lshlrev_b32 v13, v11, v9 :: v_dual_lshlrev_b32 v11, 23, v11
	v_lshrrev_b32_e32 v13, 4, v13
	s_delay_alu instid0(VALU_DEP_1) | instskip(SKIP_1) | instid1(VALU_DEP_2)
	v_sub_nc_u32_e32 v11, v13, v11
	v_ashrrev_i32_e32 v13, 8, v15
	v_add_nc_u32_e32 v11, 0x3c000000, v11
	s_delay_alu instid0(VALU_DEP_1) | instskip(NEXT) | instid1(VALU_DEP_1)
	v_and_or_b32 v11, 0x7f800000, v13, v11
	v_cndmask_b32_e32 v9, 0, v11, vcc_lo
	s_delay_alu instid0(VALU_DEP_1) | instskip(SKIP_1) | instid1(VALU_DEP_1)
	v_and_or_b32 v7, 0x80000000, v7, v9
	s_wait_xcnt 0x1
	v_cvt_f16_f32_e32 v26, v7
.LBB159_2601:
	s_mov_b32 s17, 0
.LBB159_2602:
	s_delay_alu instid0(SALU_CYCLE_1)
	s_and_not1_b32 vcc_lo, exec_lo, s17
	s_cbranch_vccnz .LBB159_2604
; %bb.2603:
	global_load_u8 v7, v[24:25], off
	s_wait_loadcnt 0x0
	v_lshlrev_b32_e32 v9, 25, v7
	v_lshlrev_b16 v7, 8, v7
	s_delay_alu instid0(VALU_DEP_1) | instskip(SKIP_1) | instid1(VALU_DEP_2)
	v_and_or_b32 v13, 0x7f00, v7, 0.5
	v_bfe_i32 v7, v7, 0, 16
	v_add_f32_e32 v13, -0.5, v13
	v_lshrrev_b32_e32 v11, 4, v9
	v_cmp_gt_u32_e32 vcc_lo, 0x8000000, v9
	s_delay_alu instid0(VALU_DEP_2) | instskip(NEXT) | instid1(VALU_DEP_1)
	v_or_b32_e32 v11, 0x70000000, v11
	v_mul_f32_e32 v11, 0x7800000, v11
	s_delay_alu instid0(VALU_DEP_1) | instskip(NEXT) | instid1(VALU_DEP_1)
	v_cndmask_b32_e32 v9, v11, v13, vcc_lo
	v_and_or_b32 v7, 0x80000000, v7, v9
	s_wait_xcnt 0x1
	s_delay_alu instid0(VALU_DEP_1)
	v_cvt_f16_f32_e32 v26, v7
.LBB159_2604:
	s_mov_b32 s17, 0
	s_mov_b32 s18, -1
.LBB159_2605:
	s_and_not1_b32 vcc_lo, exec_lo, s17
	s_mov_b32 s17, 0
	s_cbranch_vccnz .LBB159_2616
; %bb.2606:
	s_cmp_gt_i32 s13, 14
	s_cbranch_scc0 .LBB159_2609
; %bb.2607:
	s_cmp_eq_u32 s13, 15
	s_cbranch_scc0 .LBB159_2612
; %bb.2608:
	global_load_u16 v7, v[24:25], off
	s_mov_b32 s16, 0
	s_mov_b32 s18, -1
	s_wait_loadcnt 0x0
	v_lshlrev_b32_e32 v7, 16, v7
	s_wait_xcnt 0x1
	s_delay_alu instid0(VALU_DEP_1)
	v_cvt_f16_f32_e32 v26, v7
	s_branch .LBB159_2614
.LBB159_2609:
	s_mov_b32 s17, -1
	s_branch .LBB159_2613
.LBB159_2610:
	s_or_saveexec_b32 s18, s18
	v_mov_b32_e32 v26, 0x7e00
	s_xor_b32 exec_lo, exec_lo, s18
	s_cbranch_execz .LBB159_2591
.LBB159_2611:
	v_cmp_ne_u16_e32 vcc_lo, 0, v7
	v_mov_b32_e32 v26, v7
	s_and_not1_b32 s17, s17, exec_lo
	s_and_b32 s19, vcc_lo, exec_lo
	s_delay_alu instid0(SALU_CYCLE_1)
	s_or_b32 s17, s17, s19
	s_or_b32 exec_lo, exec_lo, s18
	s_and_saveexec_b32 s18, s17
	s_cbranch_execnz .LBB159_2592
	s_branch .LBB159_2593
.LBB159_2612:
	s_mov_b32 s16, -1
.LBB159_2613:
                                        ; implicit-def: $vgpr26
.LBB159_2614:
	s_and_b32 vcc_lo, exec_lo, s17
	s_mov_b32 s17, 0
	s_cbranch_vccz .LBB159_2616
; %bb.2615:
	s_cmp_lg_u32 s13, 11
	s_mov_b32 s17, -1
	s_cselect_b32 s16, -1, 0
.LBB159_2616:
	s_delay_alu instid0(SALU_CYCLE_1)
	s_and_b32 vcc_lo, exec_lo, s16
	s_cbranch_vccnz .LBB159_2681
; %bb.2617:
	s_and_not1_b32 vcc_lo, exec_lo, s17
	s_cbranch_vccnz .LBB159_2619
.LBB159_2618:
	global_load_u8 v7, v[24:25], off
	s_mov_b32 s18, -1
	s_wait_loadcnt 0x0
	v_cmp_ne_u16_e32 vcc_lo, 0, v7
	s_wait_xcnt 0x1
	v_cndmask_b32_e64 v26, 0, 0x3c00, vcc_lo
.LBB159_2619:
	s_mov_b32 s16, 0
.LBB159_2620:
	s_delay_alu instid0(SALU_CYCLE_1)
	s_and_b32 vcc_lo, exec_lo, s16
	s_cbranch_vccz .LBB159_2669
; %bb.2621:
	s_cmp_lt_i32 s13, 5
	s_cbranch_scc1 .LBB159_2626
; %bb.2622:
	s_cmp_lt_i32 s13, 8
	s_cbranch_scc1 .LBB159_2627
	;; [unrolled: 3-line block ×3, first 2 shown]
; %bb.2624:
	s_cmp_gt_i32 s13, 9
	s_cbranch_scc0 .LBB159_2629
; %bb.2625:
	global_load_b64 v[26:27], v[24:25], off
	s_mov_b32 s16, 0
	s_wait_loadcnt 0x0
	v_and_or_b32 v7, 0x1ff, v27, v26
	v_lshrrev_b32_e32 v9, 8, v27
	v_bfe_u32 v11, v27, 20, 11
	s_delay_alu instid0(VALU_DEP_3) | instskip(NEXT) | instid1(VALU_DEP_2)
	v_cmp_ne_u32_e32 vcc_lo, 0, v7
	v_sub_nc_u32_e32 v13, 0x3f1, v11
	v_add_nc_u32_e32 v11, 0xfffffc10, v11
	v_cndmask_b32_e64 v7, 0, 1, vcc_lo
	s_delay_alu instid0(VALU_DEP_1) | instskip(NEXT) | instid1(VALU_DEP_4)
	v_and_or_b32 v7, 0xffe, v9, v7
	v_med3_i32 v9, v13, 0, 13
	s_delay_alu instid0(VALU_DEP_2) | instskip(NEXT) | instid1(VALU_DEP_1)
	v_or_b32_e32 v13, 0x1000, v7
	v_lshrrev_b32_e32 v15, v9, v13
	s_delay_alu instid0(VALU_DEP_1) | instskip(NEXT) | instid1(VALU_DEP_1)
	v_lshlrev_b32_e32 v9, v9, v15
	v_cmp_ne_u32_e32 vcc_lo, v9, v13
	v_lshl_or_b32 v13, v11, 12, v7
	v_cndmask_b32_e64 v9, 0, 1, vcc_lo
	v_cmp_gt_i32_e32 vcc_lo, 1, v11
	s_delay_alu instid0(VALU_DEP_2) | instskip(NEXT) | instid1(VALU_DEP_1)
	v_or_b32_e32 v9, v15, v9
	v_cndmask_b32_e32 v9, v13, v9, vcc_lo
	s_delay_alu instid0(VALU_DEP_1) | instskip(NEXT) | instid1(VALU_DEP_1)
	v_and_b32_e32 v13, 7, v9
	v_cmp_lt_i32_e32 vcc_lo, 5, v13
	v_cndmask_b32_e64 v15, 0, 1, vcc_lo
	v_cmp_eq_u32_e32 vcc_lo, 3, v13
	v_cndmask_b32_e64 v13, 0, 1, vcc_lo
	v_cmp_ne_u32_e32 vcc_lo, 0, v7
	s_delay_alu instid0(VALU_DEP_2) | instskip(SKIP_1) | instid1(VALU_DEP_2)
	v_dual_lshrrev_b32 v9, 2, v9 :: v_dual_bitop2_b32 v13, v13, v15 bitop3:0x54
	v_mov_b32_e32 v15, 0x7e00
	v_add_nc_u32_e32 v9, v9, v13
	s_delay_alu instid0(VALU_DEP_2) | instskip(SKIP_1) | instid1(VALU_DEP_3)
	v_cndmask_b32_e32 v7, 0x7c00, v15, vcc_lo
	v_cmp_gt_i32_e32 vcc_lo, 31, v11
	v_cndmask_b32_e32 v9, 0x7c00, v9, vcc_lo
	v_cmp_eq_u32_e32 vcc_lo, 0x40f, v11
	s_delay_alu instid0(VALU_DEP_2) | instskip(SKIP_1) | instid1(VALU_DEP_1)
	v_cndmask_b32_e32 v7, v9, v7, vcc_lo
	v_lshrrev_b32_e32 v9, 16, v27
	v_and_or_b32 v26, 0x8000, v9, v7
	s_branch .LBB159_2630
.LBB159_2626:
	s_mov_b32 s16, -1
                                        ; implicit-def: $vgpr26
	s_branch .LBB159_2648
.LBB159_2627:
	s_mov_b32 s16, -1
                                        ; implicit-def: $vgpr26
	s_branch .LBB159_2636
.LBB159_2628:
	s_mov_b32 s16, -1
                                        ; implicit-def: $vgpr26
	s_branch .LBB159_2633
.LBB159_2629:
	s_mov_b32 s16, -1
                                        ; implicit-def: $vgpr26
.LBB159_2630:
	s_delay_alu instid0(SALU_CYCLE_1)
	s_and_not1_b32 vcc_lo, exec_lo, s16
	s_cbranch_vccnz .LBB159_2632
; %bb.2631:
	global_load_b32 v7, v[24:25], off
	s_wait_loadcnt 0x0
	s_wait_xcnt 0x1
	v_cvt_f16_f32_e32 v26, v7
.LBB159_2632:
	s_mov_b32 s16, 0
.LBB159_2633:
	s_delay_alu instid0(SALU_CYCLE_1)
	s_and_not1_b32 vcc_lo, exec_lo, s16
	s_cbranch_vccnz .LBB159_2635
; %bb.2634:
	global_load_b32 v26, v[24:25], off
.LBB159_2635:
	s_mov_b32 s16, 0
.LBB159_2636:
	s_delay_alu instid0(SALU_CYCLE_1)
	s_and_not1_b32 vcc_lo, exec_lo, s16
	s_cbranch_vccnz .LBB159_2647
; %bb.2637:
	s_cmp_lt_i32 s13, 6
	s_cbranch_scc1 .LBB159_2640
; %bb.2638:
	s_cmp_gt_i32 s13, 6
	s_cbranch_scc0 .LBB159_2641
; %bb.2639:
	s_wait_loadcnt 0x0
	global_load_b64 v[26:27], v[24:25], off
	s_mov_b32 s16, 0
	s_wait_loadcnt 0x0
	v_and_or_b32 v7, 0x1ff, v27, v26
	v_lshrrev_b32_e32 v9, 8, v27
	v_bfe_u32 v11, v27, 20, 11
	s_delay_alu instid0(VALU_DEP_3) | instskip(NEXT) | instid1(VALU_DEP_2)
	v_cmp_ne_u32_e32 vcc_lo, 0, v7
	v_sub_nc_u32_e32 v13, 0x3f1, v11
	v_add_nc_u32_e32 v11, 0xfffffc10, v11
	v_cndmask_b32_e64 v7, 0, 1, vcc_lo
	s_delay_alu instid0(VALU_DEP_1) | instskip(NEXT) | instid1(VALU_DEP_4)
	v_and_or_b32 v7, 0xffe, v9, v7
	v_med3_i32 v9, v13, 0, 13
	s_delay_alu instid0(VALU_DEP_2) | instskip(NEXT) | instid1(VALU_DEP_1)
	v_or_b32_e32 v13, 0x1000, v7
	v_lshrrev_b32_e32 v15, v9, v13
	s_delay_alu instid0(VALU_DEP_1) | instskip(NEXT) | instid1(VALU_DEP_1)
	v_lshlrev_b32_e32 v9, v9, v15
	v_cmp_ne_u32_e32 vcc_lo, v9, v13
	v_lshl_or_b32 v13, v11, 12, v7
	v_cndmask_b32_e64 v9, 0, 1, vcc_lo
	v_cmp_gt_i32_e32 vcc_lo, 1, v11
	s_delay_alu instid0(VALU_DEP_2) | instskip(NEXT) | instid1(VALU_DEP_1)
	v_or_b32_e32 v9, v15, v9
	v_cndmask_b32_e32 v9, v13, v9, vcc_lo
	s_delay_alu instid0(VALU_DEP_1) | instskip(NEXT) | instid1(VALU_DEP_1)
	v_and_b32_e32 v13, 7, v9
	v_cmp_lt_i32_e32 vcc_lo, 5, v13
	v_cndmask_b32_e64 v15, 0, 1, vcc_lo
	v_cmp_eq_u32_e32 vcc_lo, 3, v13
	v_cndmask_b32_e64 v13, 0, 1, vcc_lo
	v_cmp_ne_u32_e32 vcc_lo, 0, v7
	s_delay_alu instid0(VALU_DEP_2) | instskip(SKIP_1) | instid1(VALU_DEP_2)
	v_dual_lshrrev_b32 v9, 2, v9 :: v_dual_bitop2_b32 v13, v13, v15 bitop3:0x54
	v_mov_b32_e32 v15, 0x7e00
	v_add_nc_u32_e32 v9, v9, v13
	s_delay_alu instid0(VALU_DEP_2) | instskip(SKIP_1) | instid1(VALU_DEP_3)
	v_cndmask_b32_e32 v7, 0x7c00, v15, vcc_lo
	v_cmp_gt_i32_e32 vcc_lo, 31, v11
	v_cndmask_b32_e32 v9, 0x7c00, v9, vcc_lo
	v_cmp_eq_u32_e32 vcc_lo, 0x40f, v11
	s_delay_alu instid0(VALU_DEP_2) | instskip(SKIP_1) | instid1(VALU_DEP_1)
	v_cndmask_b32_e32 v7, v9, v7, vcc_lo
	v_lshrrev_b32_e32 v9, 16, v27
	v_and_or_b32 v26, 0x8000, v9, v7
	s_branch .LBB159_2642
.LBB159_2640:
	s_mov_b32 s16, -1
                                        ; implicit-def: $vgpr26
	s_branch .LBB159_2645
.LBB159_2641:
	s_mov_b32 s16, -1
                                        ; implicit-def: $vgpr26
.LBB159_2642:
	s_delay_alu instid0(SALU_CYCLE_1)
	s_and_not1_b32 vcc_lo, exec_lo, s16
	s_cbranch_vccnz .LBB159_2644
; %bb.2643:
	global_load_b32 v7, v[24:25], off
	s_wait_loadcnt 0x0
	s_wait_xcnt 0x1
	v_cvt_f16_f32_e32 v26, v7
.LBB159_2644:
	s_mov_b32 s16, 0
.LBB159_2645:
	s_delay_alu instid0(SALU_CYCLE_1)
	s_and_not1_b32 vcc_lo, exec_lo, s16
	s_cbranch_vccnz .LBB159_2647
; %bb.2646:
	s_wait_loadcnt 0x0
	global_load_u16 v26, v[24:25], off
.LBB159_2647:
	s_mov_b32 s16, 0
.LBB159_2648:
	s_delay_alu instid0(SALU_CYCLE_1)
	s_and_not1_b32 vcc_lo, exec_lo, s16
	s_cbranch_vccnz .LBB159_2668
; %bb.2649:
	s_cmp_lt_i32 s13, 2
	s_cbranch_scc1 .LBB159_2653
; %bb.2650:
	s_cmp_lt_i32 s13, 3
	s_cbranch_scc1 .LBB159_2654
; %bb.2651:
	s_cmp_gt_i32 s13, 3
	s_cbranch_scc0 .LBB159_2655
; %bb.2652:
	s_wait_loadcnt 0x0
	global_load_b64 v[26:27], v[24:25], off
	s_mov_b32 s16, 0
	s_wait_loadcnt 0x0
	v_xor_b32_e32 v7, v26, v27
	v_cls_i32_e32 v9, v27
	s_delay_alu instid0(VALU_DEP_2) | instskip(NEXT) | instid1(VALU_DEP_1)
	v_ashrrev_i32_e32 v7, 31, v7
	v_add_nc_u32_e32 v7, 32, v7
	s_delay_alu instid0(VALU_DEP_1) | instskip(NEXT) | instid1(VALU_DEP_1)
	v_add_min_u32_e64 v7, v9, -1, v7
	v_lshlrev_b64_e32 v[26:27], v7, v[26:27]
	v_sub_nc_u32_e32 v7, 32, v7
	s_delay_alu instid0(VALU_DEP_2) | instskip(NEXT) | instid1(VALU_DEP_1)
	v_min_u32_e32 v9, 1, v26
	v_or_b32_e32 v9, v27, v9
	s_delay_alu instid0(VALU_DEP_1) | instskip(NEXT) | instid1(VALU_DEP_1)
	v_cvt_f32_i32_e32 v9, v9
	v_ldexp_f32 v7, v9, v7
	s_delay_alu instid0(VALU_DEP_1)
	v_cvt_f16_f32_e32 v26, v7
	s_branch .LBB159_2656
.LBB159_2653:
	s_mov_b32 s16, -1
                                        ; implicit-def: $vgpr26
	s_branch .LBB159_2662
.LBB159_2654:
	s_mov_b32 s16, -1
                                        ; implicit-def: $vgpr26
	s_branch .LBB159_2659
.LBB159_2655:
	s_mov_b32 s16, -1
                                        ; implicit-def: $vgpr26
.LBB159_2656:
	s_delay_alu instid0(SALU_CYCLE_1)
	s_and_not1_b32 vcc_lo, exec_lo, s16
	s_cbranch_vccnz .LBB159_2658
; %bb.2657:
	global_load_b32 v7, v[24:25], off
	s_wait_loadcnt 0x0
	v_cvt_f32_i32_e32 v7, v7
	s_wait_xcnt 0x1
	s_delay_alu instid0(VALU_DEP_1)
	v_cvt_f16_f32_e32 v26, v7
.LBB159_2658:
	s_mov_b32 s16, 0
.LBB159_2659:
	s_delay_alu instid0(SALU_CYCLE_1)
	s_and_not1_b32 vcc_lo, exec_lo, s16
	s_cbranch_vccnz .LBB159_2661
; %bb.2660:
	global_load_u16 v7, v[24:25], off
	s_wait_loadcnt 0x0
	s_wait_xcnt 0x1
	v_cvt_f16_i16_e32 v26, v7
.LBB159_2661:
	s_mov_b32 s16, 0
.LBB159_2662:
	s_delay_alu instid0(SALU_CYCLE_1)
	s_and_not1_b32 vcc_lo, exec_lo, s16
	s_cbranch_vccnz .LBB159_2668
; %bb.2663:
	s_cmp_gt_i32 s13, 0
	s_mov_b32 s16, 0
	s_cbranch_scc0 .LBB159_2665
; %bb.2664:
	global_load_i8 v7, v[24:25], off
	s_wait_loadcnt 0x0
	s_wait_xcnt 0x1
	v_cvt_f16_i16_e32 v26, v7
	s_branch .LBB159_2666
.LBB159_2665:
	s_mov_b32 s16, -1
                                        ; implicit-def: $vgpr26
.LBB159_2666:
	s_delay_alu instid0(SALU_CYCLE_1)
	s_and_not1_b32 vcc_lo, exec_lo, s16
	s_cbranch_vccnz .LBB159_2668
; %bb.2667:
	global_load_u8 v7, v[24:25], off
	s_wait_loadcnt 0x0
	s_wait_xcnt 0x1
	v_cvt_f16_u16_e32 v26, v7
.LBB159_2668:
	s_mov_b32 s18, -1
.LBB159_2669:
	s_delay_alu instid0(SALU_CYCLE_1)
	s_and_not1_b32 vcc_lo, exec_lo, s18
	s_cbranch_vccnz .LBB159_4155
; %bb.2670:
	v_mov_b32_e32 v23, 0
	s_and_b32 s14, 0xffff, s14
	s_delay_alu instid0(SALU_CYCLE_1) | instskip(NEXT) | instid1(VALU_DEP_1)
	s_cmp_lt_i32 s14, 11
	v_add_nc_u64_e32 v[22:23], s[0:1], v[22:23]
	s_cbranch_scc1 .LBB159_2677
; %bb.2671:
	s_cmp_gt_i32 s14, 25
	s_mov_b32 s17, 0
	s_cbranch_scc0 .LBB159_2678
; %bb.2672:
	s_cmp_gt_i32 s14, 28
	s_cbranch_scc0 .LBB159_2679
; %bb.2673:
	s_cmp_gt_i32 s14, 43
	;; [unrolled: 3-line block ×3, first 2 shown]
	s_cbranch_scc0 .LBB159_2682
; %bb.2675:
	s_cmp_eq_u32 s14, 46
	s_mov_b32 s19, 0
	s_cbranch_scc0 .LBB159_2683
; %bb.2676:
	global_load_b32 v7, v[22:23], off
	s_mov_b32 s16, 0
	s_mov_b32 s18, -1
	s_wait_loadcnt 0x0
	v_lshlrev_b32_e32 v7, 16, v7
	s_wait_xcnt 0x1
	s_delay_alu instid0(VALU_DEP_1)
	v_cvt_f16_f32_e32 v24, v7
	s_branch .LBB159_2685
.LBB159_2677:
	s_mov_b32 s16, -1
	s_mov_b32 s18, 0
                                        ; implicit-def: $vgpr24
	s_branch .LBB159_2751
.LBB159_2678:
	s_mov_b32 s19, -1
	s_mov_b32 s18, 0
	s_mov_b32 s16, 0
                                        ; implicit-def: $vgpr24
	s_branch .LBB159_2714
.LBB159_2679:
	s_mov_b32 s19, -1
	s_mov_b32 s18, 0
	s_mov_b32 s16, 0
                                        ; implicit-def: $vgpr24
	s_branch .LBB159_2695
.LBB159_2680:
	s_mov_b32 s19, -1
	s_mov_b32 s18, 0
	s_mov_b32 s16, 0
                                        ; implicit-def: $vgpr24
	s_branch .LBB159_2690
.LBB159_2681:
	s_or_b32 s12, s12, exec_lo
	s_trap 2
	s_cbranch_execz .LBB159_2618
	s_branch .LBB159_2619
.LBB159_2682:
	s_mov_b32 s19, -1
	s_mov_b32 s18, 0
	s_mov_b32 s16, 0
	s_branch .LBB159_2684
.LBB159_2683:
	s_mov_b32 s16, -1
	s_mov_b32 s18, 0
.LBB159_2684:
                                        ; implicit-def: $vgpr24
.LBB159_2685:
	s_and_b32 vcc_lo, exec_lo, s19
	s_cbranch_vccz .LBB159_2689
; %bb.2686:
	s_cmp_eq_u32 s14, 44
	s_cbranch_scc0 .LBB159_2688
; %bb.2687:
	global_load_u8 v7, v[22:23], off
	s_mov_b32 s16, 0
	s_mov_b32 s18, -1
	s_wait_loadcnt 0x0
	v_lshlrev_b32_e32 v9, 23, v7
	v_cmp_ne_u32_e32 vcc_lo, 0xff, v7
	s_delay_alu instid0(VALU_DEP_2) | instskip(NEXT) | instid1(VALU_DEP_1)
	v_cvt_f16_f32_e32 v9, v9
	v_cndmask_b32_e32 v9, 0x7e00, v9, vcc_lo
	v_cmp_ne_u32_e32 vcc_lo, 0, v7
	s_wait_xcnt 0x1
	s_delay_alu instid0(VALU_DEP_2)
	v_cndmask_b32_e32 v24, 0, v9, vcc_lo
	s_branch .LBB159_2689
.LBB159_2688:
	s_mov_b32 s16, -1
                                        ; implicit-def: $vgpr24
.LBB159_2689:
	s_mov_b32 s19, 0
.LBB159_2690:
	s_delay_alu instid0(SALU_CYCLE_1)
	s_and_b32 vcc_lo, exec_lo, s19
	s_cbranch_vccz .LBB159_2694
; %bb.2691:
	s_cmp_eq_u32 s14, 29
	s_cbranch_scc0 .LBB159_2693
; %bb.2692:
	global_load_b64 v[24:25], v[22:23], off
	s_mov_b32 s16, 0
	s_mov_b32 s18, -1
	s_mov_b32 s19, 0
	s_wait_loadcnt 0x0
	v_clz_i32_u32_e32 v7, v25
	s_delay_alu instid0(VALU_DEP_1) | instskip(NEXT) | instid1(VALU_DEP_1)
	v_min_u32_e32 v7, 32, v7
	v_lshlrev_b64_e32 v[24:25], v7, v[24:25]
	v_sub_nc_u32_e32 v7, 32, v7
	s_delay_alu instid0(VALU_DEP_2) | instskip(NEXT) | instid1(VALU_DEP_1)
	v_min_u32_e32 v9, 1, v24
	v_or_b32_e32 v9, v25, v9
	s_delay_alu instid0(VALU_DEP_1) | instskip(NEXT) | instid1(VALU_DEP_1)
	v_cvt_f32_u32_e32 v9, v9
	v_ldexp_f32 v7, v9, v7
	s_delay_alu instid0(VALU_DEP_1)
	v_cvt_f16_f32_e32 v24, v7
	s_branch .LBB159_2695
.LBB159_2693:
	s_mov_b32 s16, -1
                                        ; implicit-def: $vgpr24
.LBB159_2694:
	s_mov_b32 s19, 0
.LBB159_2695:
	s_delay_alu instid0(SALU_CYCLE_1)
	s_and_b32 vcc_lo, exec_lo, s19
	s_cbranch_vccz .LBB159_2713
; %bb.2696:
	s_cmp_lt_i32 s14, 27
	s_cbranch_scc1 .LBB159_2699
; %bb.2697:
	s_cmp_gt_i32 s14, 27
	s_cbranch_scc0 .LBB159_2700
; %bb.2698:
	global_load_b32 v7, v[22:23], off
	s_mov_b32 s18, 0
	s_wait_loadcnt 0x0
	v_cvt_f32_u32_e32 v7, v7
	s_wait_xcnt 0x1
	s_delay_alu instid0(VALU_DEP_1)
	v_cvt_f16_f32_e32 v24, v7
	s_branch .LBB159_2701
.LBB159_2699:
	s_mov_b32 s18, -1
                                        ; implicit-def: $vgpr24
	s_branch .LBB159_2704
.LBB159_2700:
	s_mov_b32 s18, -1
                                        ; implicit-def: $vgpr24
.LBB159_2701:
	s_delay_alu instid0(SALU_CYCLE_1)
	s_and_not1_b32 vcc_lo, exec_lo, s18
	s_cbranch_vccnz .LBB159_2703
; %bb.2702:
	global_load_u16 v7, v[22:23], off
	s_wait_loadcnt 0x0
	s_wait_xcnt 0x1
	v_cvt_f16_u16_e32 v24, v7
.LBB159_2703:
	s_mov_b32 s18, 0
.LBB159_2704:
	s_delay_alu instid0(SALU_CYCLE_1)
	s_and_not1_b32 vcc_lo, exec_lo, s18
	s_cbranch_vccnz .LBB159_2712
; %bb.2705:
	global_load_u8 v7, v[22:23], off
	s_mov_b32 s18, 0
	s_mov_b32 s19, exec_lo
	s_wait_loadcnt 0x0
	v_cmpx_lt_i16_e32 0x7f, v7
	s_xor_b32 s19, exec_lo, s19
	s_cbranch_execz .LBB159_2726
; %bb.2706:
	s_mov_b32 s18, -1
	s_mov_b32 s20, exec_lo
	v_cmpx_eq_u16_e32 0x80, v7
; %bb.2707:
	s_xor_b32 s18, exec_lo, -1
; %bb.2708:
	s_or_b32 exec_lo, exec_lo, s20
	s_delay_alu instid0(SALU_CYCLE_1)
	s_and_b32 s18, s18, exec_lo
	s_or_saveexec_b32 s19, s19
	v_mov_b32_e32 v24, 0x7e00
	s_xor_b32 exec_lo, exec_lo, s19
	s_cbranch_execnz .LBB159_2727
.LBB159_2709:
	s_or_b32 exec_lo, exec_lo, s19
	s_and_saveexec_b32 s19, s18
	s_cbranch_execz .LBB159_2711
.LBB159_2710:
	v_and_b32_e32 v9, 0xffff, v7
	s_delay_alu instid0(VALU_DEP_1) | instskip(SKIP_1) | instid1(VALU_DEP_2)
	v_dual_lshlrev_b32 v7, 24, v7 :: v_dual_bitop2_b32 v11, 7, v9 bitop3:0x40
	v_bfe_u32 v17, v9, 3, 4
	v_and_b32_e32 v7, 0x80000000, v7
	s_delay_alu instid0(VALU_DEP_3) | instskip(NEXT) | instid1(VALU_DEP_3)
	v_clz_i32_u32_e32 v13, v11
	v_cmp_eq_u32_e32 vcc_lo, 0, v17
	s_delay_alu instid0(VALU_DEP_2) | instskip(NEXT) | instid1(VALU_DEP_1)
	v_min_u32_e32 v13, 32, v13
	v_subrev_nc_u32_e32 v15, 28, v13
	v_sub_nc_u32_e32 v13, 29, v13
	s_delay_alu instid0(VALU_DEP_2) | instskip(NEXT) | instid1(VALU_DEP_2)
	v_lshlrev_b32_e32 v9, v15, v9
	v_cndmask_b32_e32 v13, v17, v13, vcc_lo
	s_delay_alu instid0(VALU_DEP_2) | instskip(NEXT) | instid1(VALU_DEP_1)
	v_and_b32_e32 v9, 7, v9
	v_cndmask_b32_e32 v9, v11, v9, vcc_lo
	s_delay_alu instid0(VALU_DEP_3) | instskip(NEXT) | instid1(VALU_DEP_2)
	v_lshl_add_u32 v11, v13, 23, 0x3b800000
	v_lshlrev_b32_e32 v9, 20, v9
	s_delay_alu instid0(VALU_DEP_1) | instskip(NEXT) | instid1(VALU_DEP_1)
	v_or3_b32 v7, v7, v11, v9
	v_cvt_f16_f32_e32 v24, v7
.LBB159_2711:
	s_or_b32 exec_lo, exec_lo, s19
.LBB159_2712:
	s_mov_b32 s18, -1
.LBB159_2713:
	s_mov_b32 s19, 0
.LBB159_2714:
	s_delay_alu instid0(SALU_CYCLE_1)
	s_and_b32 vcc_lo, exec_lo, s19
	s_cbranch_vccz .LBB159_2747
; %bb.2715:
	s_cmp_gt_i32 s14, 22
	s_cbranch_scc0 .LBB159_2725
; %bb.2716:
	s_cmp_lt_i32 s14, 24
	s_cbranch_scc1 .LBB159_2728
; %bb.2717:
	s_cmp_gt_i32 s14, 24
	s_cbranch_scc0 .LBB159_2729
; %bb.2718:
	global_load_u8 v7, v[22:23], off
	s_mov_b32 s18, exec_lo
	s_wait_loadcnt 0x0
	v_cmpx_lt_i16_e32 0x7f, v7
	s_xor_b32 s18, exec_lo, s18
	s_cbranch_execz .LBB159_2741
; %bb.2719:
	s_mov_b32 s17, -1
	s_mov_b32 s19, exec_lo
	v_cmpx_eq_u16_e32 0x80, v7
; %bb.2720:
	s_xor_b32 s17, exec_lo, -1
; %bb.2721:
	s_or_b32 exec_lo, exec_lo, s19
	s_delay_alu instid0(SALU_CYCLE_1)
	s_and_b32 s17, s17, exec_lo
	s_or_saveexec_b32 s18, s18
	v_mov_b32_e32 v24, 0x7e00
	s_xor_b32 exec_lo, exec_lo, s18
	s_cbranch_execnz .LBB159_2742
.LBB159_2722:
	s_or_b32 exec_lo, exec_lo, s18
	s_and_saveexec_b32 s18, s17
	s_cbranch_execz .LBB159_2724
.LBB159_2723:
	v_and_b32_e32 v9, 0xffff, v7
	s_delay_alu instid0(VALU_DEP_1) | instskip(SKIP_1) | instid1(VALU_DEP_2)
	v_dual_lshlrev_b32 v7, 24, v7 :: v_dual_bitop2_b32 v11, 3, v9 bitop3:0x40
	v_bfe_u32 v17, v9, 2, 5
	v_and_b32_e32 v7, 0x80000000, v7
	s_delay_alu instid0(VALU_DEP_3) | instskip(NEXT) | instid1(VALU_DEP_3)
	v_clz_i32_u32_e32 v13, v11
	v_cmp_eq_u32_e32 vcc_lo, 0, v17
	s_delay_alu instid0(VALU_DEP_2) | instskip(NEXT) | instid1(VALU_DEP_1)
	v_min_u32_e32 v13, 32, v13
	v_subrev_nc_u32_e32 v15, 29, v13
	v_sub_nc_u32_e32 v13, 30, v13
	s_delay_alu instid0(VALU_DEP_2) | instskip(NEXT) | instid1(VALU_DEP_2)
	v_lshlrev_b32_e32 v9, v15, v9
	v_cndmask_b32_e32 v13, v17, v13, vcc_lo
	s_delay_alu instid0(VALU_DEP_2) | instskip(NEXT) | instid1(VALU_DEP_1)
	v_and_b32_e32 v9, 3, v9
	v_cndmask_b32_e32 v9, v11, v9, vcc_lo
	s_delay_alu instid0(VALU_DEP_3) | instskip(NEXT) | instid1(VALU_DEP_2)
	v_lshl_add_u32 v11, v13, 23, 0x37800000
	v_lshlrev_b32_e32 v9, 21, v9
	s_delay_alu instid0(VALU_DEP_1) | instskip(NEXT) | instid1(VALU_DEP_1)
	v_or3_b32 v7, v7, v11, v9
	v_cvt_f16_f32_e32 v24, v7
.LBB159_2724:
	s_or_b32 exec_lo, exec_lo, s18
	s_mov_b32 s17, 0
	s_branch .LBB159_2730
.LBB159_2725:
	s_mov_b32 s17, -1
                                        ; implicit-def: $vgpr24
	s_branch .LBB159_2736
.LBB159_2726:
	s_or_saveexec_b32 s19, s19
	v_mov_b32_e32 v24, 0x7e00
	s_xor_b32 exec_lo, exec_lo, s19
	s_cbranch_execz .LBB159_2709
.LBB159_2727:
	v_cmp_ne_u16_e32 vcc_lo, 0, v7
	v_mov_b32_e32 v24, v7
	s_and_not1_b32 s18, s18, exec_lo
	s_and_b32 s20, vcc_lo, exec_lo
	s_delay_alu instid0(SALU_CYCLE_1)
	s_or_b32 s18, s18, s20
	s_or_b32 exec_lo, exec_lo, s19
	s_and_saveexec_b32 s19, s18
	s_cbranch_execnz .LBB159_2710
	s_branch .LBB159_2711
.LBB159_2728:
	s_mov_b32 s17, -1
                                        ; implicit-def: $vgpr24
	s_branch .LBB159_2733
.LBB159_2729:
	s_mov_b32 s17, -1
                                        ; implicit-def: $vgpr24
.LBB159_2730:
	s_delay_alu instid0(SALU_CYCLE_1)
	s_and_b32 vcc_lo, exec_lo, s17
	s_cbranch_vccz .LBB159_2732
; %bb.2731:
	global_load_u8 v7, v[22:23], off
	s_wait_loadcnt 0x0
	v_lshlrev_b32_e32 v7, 24, v7
	s_delay_alu instid0(VALU_DEP_1) | instskip(NEXT) | instid1(VALU_DEP_1)
	v_and_b32_e32 v9, 0x7f000000, v7
	v_clz_i32_u32_e32 v11, v9
	v_add_nc_u32_e32 v15, 0x1000000, v9
	v_cmp_ne_u32_e32 vcc_lo, 0, v9
	s_delay_alu instid0(VALU_DEP_3) | instskip(NEXT) | instid1(VALU_DEP_1)
	v_min_u32_e32 v11, 32, v11
	v_sub_nc_u32_e64 v11, v11, 4 clamp
	s_delay_alu instid0(VALU_DEP_1) | instskip(NEXT) | instid1(VALU_DEP_1)
	v_dual_lshlrev_b32 v13, v11, v9 :: v_dual_lshlrev_b32 v11, 23, v11
	v_lshrrev_b32_e32 v13, 4, v13
	s_delay_alu instid0(VALU_DEP_1) | instskip(SKIP_1) | instid1(VALU_DEP_2)
	v_sub_nc_u32_e32 v11, v13, v11
	v_ashrrev_i32_e32 v13, 8, v15
	v_add_nc_u32_e32 v11, 0x3c000000, v11
	s_delay_alu instid0(VALU_DEP_1) | instskip(NEXT) | instid1(VALU_DEP_1)
	v_and_or_b32 v11, 0x7f800000, v13, v11
	v_cndmask_b32_e32 v9, 0, v11, vcc_lo
	s_delay_alu instid0(VALU_DEP_1) | instskip(SKIP_1) | instid1(VALU_DEP_1)
	v_and_or_b32 v7, 0x80000000, v7, v9
	s_wait_xcnt 0x1
	v_cvt_f16_f32_e32 v24, v7
.LBB159_2732:
	s_mov_b32 s17, 0
.LBB159_2733:
	s_delay_alu instid0(SALU_CYCLE_1)
	s_and_not1_b32 vcc_lo, exec_lo, s17
	s_cbranch_vccnz .LBB159_2735
; %bb.2734:
	global_load_u8 v7, v[22:23], off
	s_wait_loadcnt 0x0
	v_lshlrev_b32_e32 v9, 25, v7
	v_lshlrev_b16 v7, 8, v7
	s_delay_alu instid0(VALU_DEP_1) | instskip(SKIP_1) | instid1(VALU_DEP_2)
	v_and_or_b32 v13, 0x7f00, v7, 0.5
	v_bfe_i32 v7, v7, 0, 16
	v_add_f32_e32 v13, -0.5, v13
	v_lshrrev_b32_e32 v11, 4, v9
	v_cmp_gt_u32_e32 vcc_lo, 0x8000000, v9
	s_delay_alu instid0(VALU_DEP_2) | instskip(NEXT) | instid1(VALU_DEP_1)
	v_or_b32_e32 v11, 0x70000000, v11
	v_mul_f32_e32 v11, 0x7800000, v11
	s_delay_alu instid0(VALU_DEP_1) | instskip(NEXT) | instid1(VALU_DEP_1)
	v_cndmask_b32_e32 v9, v11, v13, vcc_lo
	v_and_or_b32 v7, 0x80000000, v7, v9
	s_wait_xcnt 0x1
	s_delay_alu instid0(VALU_DEP_1)
	v_cvt_f16_f32_e32 v24, v7
.LBB159_2735:
	s_mov_b32 s17, 0
	s_mov_b32 s18, -1
.LBB159_2736:
	s_and_not1_b32 vcc_lo, exec_lo, s17
	s_mov_b32 s17, 0
	s_cbranch_vccnz .LBB159_2747
; %bb.2737:
	s_cmp_gt_i32 s14, 14
	s_cbranch_scc0 .LBB159_2740
; %bb.2738:
	s_cmp_eq_u32 s14, 15
	s_cbranch_scc0 .LBB159_2743
; %bb.2739:
	global_load_u16 v7, v[22:23], off
	s_mov_b32 s16, 0
	s_mov_b32 s18, -1
	s_wait_loadcnt 0x0
	v_lshlrev_b32_e32 v7, 16, v7
	s_wait_xcnt 0x1
	s_delay_alu instid0(VALU_DEP_1)
	v_cvt_f16_f32_e32 v24, v7
	s_branch .LBB159_2745
.LBB159_2740:
	s_mov_b32 s17, -1
	s_branch .LBB159_2744
.LBB159_2741:
	s_or_saveexec_b32 s18, s18
	v_mov_b32_e32 v24, 0x7e00
	s_xor_b32 exec_lo, exec_lo, s18
	s_cbranch_execz .LBB159_2722
.LBB159_2742:
	v_cmp_ne_u16_e32 vcc_lo, 0, v7
	v_mov_b32_e32 v24, v7
	s_and_not1_b32 s17, s17, exec_lo
	s_and_b32 s19, vcc_lo, exec_lo
	s_delay_alu instid0(SALU_CYCLE_1)
	s_or_b32 s17, s17, s19
	s_or_b32 exec_lo, exec_lo, s18
	s_and_saveexec_b32 s18, s17
	s_cbranch_execnz .LBB159_2723
	s_branch .LBB159_2724
.LBB159_2743:
	s_mov_b32 s16, -1
.LBB159_2744:
                                        ; implicit-def: $vgpr24
.LBB159_2745:
	s_and_b32 vcc_lo, exec_lo, s17
	s_mov_b32 s17, 0
	s_cbranch_vccz .LBB159_2747
; %bb.2746:
	s_cmp_lg_u32 s14, 11
	s_mov_b32 s17, -1
	s_cselect_b32 s16, -1, 0
.LBB159_2747:
	s_delay_alu instid0(SALU_CYCLE_1)
	s_and_b32 vcc_lo, exec_lo, s16
	s_cbranch_vccnz .LBB159_2812
; %bb.2748:
	s_and_not1_b32 vcc_lo, exec_lo, s17
	s_cbranch_vccnz .LBB159_2750
.LBB159_2749:
	global_load_u8 v7, v[22:23], off
	s_mov_b32 s18, -1
	s_wait_loadcnt 0x0
	v_cmp_ne_u16_e32 vcc_lo, 0, v7
	s_wait_xcnt 0x1
	v_cndmask_b32_e64 v24, 0, 0x3c00, vcc_lo
.LBB159_2750:
	s_mov_b32 s16, 0
.LBB159_2751:
	s_delay_alu instid0(SALU_CYCLE_1)
	s_and_b32 vcc_lo, exec_lo, s16
	s_cbranch_vccz .LBB159_2800
; %bb.2752:
	s_cmp_lt_i32 s14, 5
	s_cbranch_scc1 .LBB159_2757
; %bb.2753:
	s_cmp_lt_i32 s14, 8
	s_cbranch_scc1 .LBB159_2758
	;; [unrolled: 3-line block ×3, first 2 shown]
; %bb.2755:
	s_cmp_gt_i32 s14, 9
	s_cbranch_scc0 .LBB159_2760
; %bb.2756:
	global_load_b64 v[24:25], v[22:23], off
	s_mov_b32 s16, 0
	s_wait_loadcnt 0x0
	v_and_or_b32 v7, 0x1ff, v25, v24
	v_lshrrev_b32_e32 v9, 8, v25
	v_bfe_u32 v11, v25, 20, 11
	s_delay_alu instid0(VALU_DEP_3) | instskip(NEXT) | instid1(VALU_DEP_2)
	v_cmp_ne_u32_e32 vcc_lo, 0, v7
	v_sub_nc_u32_e32 v13, 0x3f1, v11
	v_add_nc_u32_e32 v11, 0xfffffc10, v11
	v_cndmask_b32_e64 v7, 0, 1, vcc_lo
	s_delay_alu instid0(VALU_DEP_1) | instskip(NEXT) | instid1(VALU_DEP_4)
	v_and_or_b32 v7, 0xffe, v9, v7
	v_med3_i32 v9, v13, 0, 13
	s_delay_alu instid0(VALU_DEP_2) | instskip(NEXT) | instid1(VALU_DEP_1)
	v_or_b32_e32 v13, 0x1000, v7
	v_lshrrev_b32_e32 v15, v9, v13
	s_delay_alu instid0(VALU_DEP_1) | instskip(NEXT) | instid1(VALU_DEP_1)
	v_lshlrev_b32_e32 v9, v9, v15
	v_cmp_ne_u32_e32 vcc_lo, v9, v13
	v_lshl_or_b32 v13, v11, 12, v7
	v_cndmask_b32_e64 v9, 0, 1, vcc_lo
	v_cmp_gt_i32_e32 vcc_lo, 1, v11
	s_delay_alu instid0(VALU_DEP_2) | instskip(NEXT) | instid1(VALU_DEP_1)
	v_or_b32_e32 v9, v15, v9
	v_cndmask_b32_e32 v9, v13, v9, vcc_lo
	s_delay_alu instid0(VALU_DEP_1) | instskip(NEXT) | instid1(VALU_DEP_1)
	v_dual_lshrrev_b32 v9, 2, v9 :: v_dual_bitop2_b32 v13, 7, v9 bitop3:0x40
	v_cmp_lt_i32_e32 vcc_lo, 5, v13
	v_cndmask_b32_e64 v15, 0, 1, vcc_lo
	v_cmp_eq_u32_e32 vcc_lo, 3, v13
	v_cndmask_b32_e64 v13, 0, 1, vcc_lo
	v_cmp_ne_u32_e32 vcc_lo, 0, v7
	s_delay_alu instid0(VALU_DEP_2) | instskip(SKIP_1) | instid1(VALU_DEP_2)
	v_or_b32_e32 v13, v13, v15
	v_mov_b32_e32 v15, 0x7e00
	v_add_nc_u32_e32 v9, v9, v13
	s_delay_alu instid0(VALU_DEP_2) | instskip(SKIP_1) | instid1(VALU_DEP_3)
	v_cndmask_b32_e32 v7, 0x7c00, v15, vcc_lo
	v_cmp_gt_i32_e32 vcc_lo, 31, v11
	v_cndmask_b32_e32 v9, 0x7c00, v9, vcc_lo
	v_cmp_eq_u32_e32 vcc_lo, 0x40f, v11
	s_delay_alu instid0(VALU_DEP_2) | instskip(NEXT) | instid1(VALU_DEP_1)
	v_dual_cndmask_b32 v7, v9, v7, vcc_lo :: v_dual_lshrrev_b32 v9, 16, v25
	v_and_or_b32 v24, 0x8000, v9, v7
	s_branch .LBB159_2761
.LBB159_2757:
	s_mov_b32 s16, -1
                                        ; implicit-def: $vgpr24
	s_branch .LBB159_2779
.LBB159_2758:
	s_mov_b32 s16, -1
                                        ; implicit-def: $vgpr24
	s_branch .LBB159_2767
.LBB159_2759:
	s_mov_b32 s16, -1
                                        ; implicit-def: $vgpr24
	s_branch .LBB159_2764
.LBB159_2760:
	s_mov_b32 s16, -1
                                        ; implicit-def: $vgpr24
.LBB159_2761:
	s_delay_alu instid0(SALU_CYCLE_1)
	s_and_not1_b32 vcc_lo, exec_lo, s16
	s_cbranch_vccnz .LBB159_2763
; %bb.2762:
	global_load_b32 v7, v[22:23], off
	s_wait_loadcnt 0x0
	s_wait_xcnt 0x1
	v_cvt_f16_f32_e32 v24, v7
.LBB159_2763:
	s_mov_b32 s16, 0
.LBB159_2764:
	s_delay_alu instid0(SALU_CYCLE_1)
	s_and_not1_b32 vcc_lo, exec_lo, s16
	s_cbranch_vccnz .LBB159_2766
; %bb.2765:
	global_load_b32 v24, v[22:23], off
.LBB159_2766:
	s_mov_b32 s16, 0
.LBB159_2767:
	s_delay_alu instid0(SALU_CYCLE_1)
	s_and_not1_b32 vcc_lo, exec_lo, s16
	s_cbranch_vccnz .LBB159_2778
; %bb.2768:
	s_cmp_lt_i32 s14, 6
	s_cbranch_scc1 .LBB159_2771
; %bb.2769:
	s_cmp_gt_i32 s14, 6
	s_cbranch_scc0 .LBB159_2772
; %bb.2770:
	s_wait_loadcnt 0x0
	global_load_b64 v[24:25], v[22:23], off
	s_mov_b32 s16, 0
	s_wait_loadcnt 0x0
	v_and_or_b32 v7, 0x1ff, v25, v24
	v_lshrrev_b32_e32 v9, 8, v25
	v_bfe_u32 v11, v25, 20, 11
	s_delay_alu instid0(VALU_DEP_3) | instskip(NEXT) | instid1(VALU_DEP_2)
	v_cmp_ne_u32_e32 vcc_lo, 0, v7
	v_sub_nc_u32_e32 v13, 0x3f1, v11
	v_add_nc_u32_e32 v11, 0xfffffc10, v11
	v_cndmask_b32_e64 v7, 0, 1, vcc_lo
	s_delay_alu instid0(VALU_DEP_1) | instskip(NEXT) | instid1(VALU_DEP_4)
	v_and_or_b32 v7, 0xffe, v9, v7
	v_med3_i32 v9, v13, 0, 13
	s_delay_alu instid0(VALU_DEP_2) | instskip(NEXT) | instid1(VALU_DEP_1)
	v_or_b32_e32 v13, 0x1000, v7
	v_lshrrev_b32_e32 v15, v9, v13
	s_delay_alu instid0(VALU_DEP_1) | instskip(NEXT) | instid1(VALU_DEP_1)
	v_lshlrev_b32_e32 v9, v9, v15
	v_cmp_ne_u32_e32 vcc_lo, v9, v13
	v_lshl_or_b32 v13, v11, 12, v7
	v_cndmask_b32_e64 v9, 0, 1, vcc_lo
	v_cmp_gt_i32_e32 vcc_lo, 1, v11
	s_delay_alu instid0(VALU_DEP_2) | instskip(NEXT) | instid1(VALU_DEP_1)
	v_or_b32_e32 v9, v15, v9
	v_cndmask_b32_e32 v9, v13, v9, vcc_lo
	s_delay_alu instid0(VALU_DEP_1) | instskip(NEXT) | instid1(VALU_DEP_1)
	v_dual_lshrrev_b32 v9, 2, v9 :: v_dual_bitop2_b32 v13, 7, v9 bitop3:0x40
	v_cmp_lt_i32_e32 vcc_lo, 5, v13
	v_cndmask_b32_e64 v15, 0, 1, vcc_lo
	v_cmp_eq_u32_e32 vcc_lo, 3, v13
	v_cndmask_b32_e64 v13, 0, 1, vcc_lo
	v_cmp_ne_u32_e32 vcc_lo, 0, v7
	s_delay_alu instid0(VALU_DEP_2) | instskip(SKIP_1) | instid1(VALU_DEP_2)
	v_or_b32_e32 v13, v13, v15
	v_mov_b32_e32 v15, 0x7e00
	v_add_nc_u32_e32 v9, v9, v13
	s_delay_alu instid0(VALU_DEP_2) | instskip(SKIP_1) | instid1(VALU_DEP_3)
	v_cndmask_b32_e32 v7, 0x7c00, v15, vcc_lo
	v_cmp_gt_i32_e32 vcc_lo, 31, v11
	v_cndmask_b32_e32 v9, 0x7c00, v9, vcc_lo
	v_cmp_eq_u32_e32 vcc_lo, 0x40f, v11
	s_delay_alu instid0(VALU_DEP_2) | instskip(NEXT) | instid1(VALU_DEP_1)
	v_dual_cndmask_b32 v7, v9, v7, vcc_lo :: v_dual_lshrrev_b32 v9, 16, v25
	v_and_or_b32 v24, 0x8000, v9, v7
	s_branch .LBB159_2773
.LBB159_2771:
	s_mov_b32 s16, -1
                                        ; implicit-def: $vgpr24
	s_branch .LBB159_2776
.LBB159_2772:
	s_mov_b32 s16, -1
                                        ; implicit-def: $vgpr24
.LBB159_2773:
	s_delay_alu instid0(SALU_CYCLE_1)
	s_and_not1_b32 vcc_lo, exec_lo, s16
	s_cbranch_vccnz .LBB159_2775
; %bb.2774:
	global_load_b32 v7, v[22:23], off
	s_wait_loadcnt 0x0
	s_wait_xcnt 0x1
	v_cvt_f16_f32_e32 v24, v7
.LBB159_2775:
	s_mov_b32 s16, 0
.LBB159_2776:
	s_delay_alu instid0(SALU_CYCLE_1)
	s_and_not1_b32 vcc_lo, exec_lo, s16
	s_cbranch_vccnz .LBB159_2778
; %bb.2777:
	s_wait_loadcnt 0x0
	global_load_u16 v24, v[22:23], off
.LBB159_2778:
	s_mov_b32 s16, 0
.LBB159_2779:
	s_delay_alu instid0(SALU_CYCLE_1)
	s_and_not1_b32 vcc_lo, exec_lo, s16
	s_cbranch_vccnz .LBB159_2799
; %bb.2780:
	s_cmp_lt_i32 s14, 2
	s_cbranch_scc1 .LBB159_2784
; %bb.2781:
	s_cmp_lt_i32 s14, 3
	s_cbranch_scc1 .LBB159_2785
; %bb.2782:
	s_cmp_gt_i32 s14, 3
	s_cbranch_scc0 .LBB159_2786
; %bb.2783:
	s_wait_loadcnt 0x0
	global_load_b64 v[24:25], v[22:23], off
	s_mov_b32 s16, 0
	s_wait_loadcnt 0x0
	v_xor_b32_e32 v7, v24, v25
	v_cls_i32_e32 v9, v25
	s_delay_alu instid0(VALU_DEP_2) | instskip(NEXT) | instid1(VALU_DEP_1)
	v_ashrrev_i32_e32 v7, 31, v7
	v_add_nc_u32_e32 v7, 32, v7
	s_delay_alu instid0(VALU_DEP_1) | instskip(NEXT) | instid1(VALU_DEP_1)
	v_add_min_u32_e64 v7, v9, -1, v7
	v_lshlrev_b64_e32 v[24:25], v7, v[24:25]
	v_sub_nc_u32_e32 v7, 32, v7
	s_delay_alu instid0(VALU_DEP_2) | instskip(NEXT) | instid1(VALU_DEP_1)
	v_min_u32_e32 v9, 1, v24
	v_or_b32_e32 v9, v25, v9
	s_delay_alu instid0(VALU_DEP_1) | instskip(NEXT) | instid1(VALU_DEP_1)
	v_cvt_f32_i32_e32 v9, v9
	v_ldexp_f32 v7, v9, v7
	s_delay_alu instid0(VALU_DEP_1)
	v_cvt_f16_f32_e32 v24, v7
	s_branch .LBB159_2787
.LBB159_2784:
	s_mov_b32 s16, -1
                                        ; implicit-def: $vgpr24
	s_branch .LBB159_2793
.LBB159_2785:
	s_mov_b32 s16, -1
                                        ; implicit-def: $vgpr24
	s_branch .LBB159_2790
.LBB159_2786:
	s_mov_b32 s16, -1
                                        ; implicit-def: $vgpr24
.LBB159_2787:
	s_delay_alu instid0(SALU_CYCLE_1)
	s_and_not1_b32 vcc_lo, exec_lo, s16
	s_cbranch_vccnz .LBB159_2789
; %bb.2788:
	global_load_b32 v7, v[22:23], off
	s_wait_loadcnt 0x0
	v_cvt_f32_i32_e32 v7, v7
	s_wait_xcnt 0x1
	s_delay_alu instid0(VALU_DEP_1)
	v_cvt_f16_f32_e32 v24, v7
.LBB159_2789:
	s_mov_b32 s16, 0
.LBB159_2790:
	s_delay_alu instid0(SALU_CYCLE_1)
	s_and_not1_b32 vcc_lo, exec_lo, s16
	s_cbranch_vccnz .LBB159_2792
; %bb.2791:
	global_load_u16 v7, v[22:23], off
	s_wait_loadcnt 0x0
	s_wait_xcnt 0x1
	v_cvt_f16_i16_e32 v24, v7
.LBB159_2792:
	s_mov_b32 s16, 0
.LBB159_2793:
	s_delay_alu instid0(SALU_CYCLE_1)
	s_and_not1_b32 vcc_lo, exec_lo, s16
	s_cbranch_vccnz .LBB159_2799
; %bb.2794:
	s_cmp_gt_i32 s14, 0
	s_mov_b32 s16, 0
	s_cbranch_scc0 .LBB159_2796
; %bb.2795:
	global_load_i8 v7, v[22:23], off
	s_wait_loadcnt 0x0
	s_wait_xcnt 0x1
	v_cvt_f16_i16_e32 v24, v7
	s_branch .LBB159_2797
.LBB159_2796:
	s_mov_b32 s16, -1
                                        ; implicit-def: $vgpr24
.LBB159_2797:
	s_delay_alu instid0(SALU_CYCLE_1)
	s_and_not1_b32 vcc_lo, exec_lo, s16
	s_cbranch_vccnz .LBB159_2799
; %bb.2798:
	global_load_u8 v7, v[22:23], off
	s_wait_loadcnt 0x0
	s_wait_xcnt 0x1
	v_cvt_f16_u16_e32 v24, v7
.LBB159_2799:
	s_mov_b32 s18, -1
.LBB159_2800:
	s_delay_alu instid0(SALU_CYCLE_1)
	s_and_not1_b32 vcc_lo, exec_lo, s18
	s_cbranch_vccnz .LBB159_4155
; %bb.2801:
	v_mov_b32_e32 v21, 0
	s_and_b32 s15, 0xffff, s15
	s_delay_alu instid0(SALU_CYCLE_1) | instskip(NEXT) | instid1(VALU_DEP_1)
	s_cmp_lt_i32 s15, 11
	v_add_nc_u64_e32 v[20:21], s[8:9], v[20:21]
	s_cbranch_scc1 .LBB159_2808
; %bb.2802:
	s_cmp_gt_i32 s15, 25
	s_mov_b32 s17, 0
	s_cbranch_scc0 .LBB159_2809
; %bb.2803:
	s_cmp_gt_i32 s15, 28
	s_cbranch_scc0 .LBB159_2810
; %bb.2804:
	s_cmp_gt_i32 s15, 43
	;; [unrolled: 3-line block ×3, first 2 shown]
	s_cbranch_scc0 .LBB159_2813
; %bb.2806:
	s_cmp_eq_u32 s15, 46
	s_mov_b32 s19, 0
	s_cbranch_scc0 .LBB159_2816
; %bb.2807:
	global_load_b32 v7, v[20:21], off
	s_mov_b32 s16, 0
	s_mov_b32 s18, -1
	s_wait_loadcnt 0x0
	v_lshlrev_b32_e32 v7, 16, v7
	s_wait_xcnt 0x1
	s_delay_alu instid0(VALU_DEP_1)
	v_cvt_f16_f32_e32 v22, v7
	s_branch .LBB159_2818
.LBB159_2808:
	s_mov_b32 s16, -1
	s_mov_b32 s18, 0
                                        ; implicit-def: $vgpr22
	s_branch .LBB159_2884
.LBB159_2809:
	s_mov_b32 s19, -1
	s_mov_b32 s18, 0
	s_mov_b32 s16, 0
                                        ; implicit-def: $vgpr22
	s_branch .LBB159_2847
.LBB159_2810:
	s_mov_b32 s19, -1
	s_mov_b32 s18, 0
	s_mov_b32 s16, 0
                                        ; implicit-def: $vgpr22
	s_branch .LBB159_2828
.LBB159_2811:
	s_mov_b32 s19, -1
	s_mov_b32 s18, 0
	s_mov_b32 s16, 0
                                        ; implicit-def: $vgpr22
	s_branch .LBB159_2823
.LBB159_2812:
	s_or_b32 s12, s12, exec_lo
	s_trap 2
	s_cbranch_execz .LBB159_2749
	s_branch .LBB159_2750
.LBB159_2813:
	s_mov_b32 s19, -1
	s_mov_b32 s18, 0
	s_mov_b32 s16, 0
	s_branch .LBB159_2817
.LBB159_2814:
	s_and_not1_saveexec_b32 s59, s59
	s_cbranch_execz .LBB159_1498
.LBB159_2815:
	v_add_f32_e64 v5, 0x46000000, |v4|
	s_and_not1_b32 s58, s58, exec_lo
	s_delay_alu instid0(VALU_DEP_1) | instskip(NEXT) | instid1(VALU_DEP_1)
	v_and_b32_e32 v5, 0xff, v5
	v_cmp_ne_u32_e32 vcc_lo, 0, v5
	s_and_b32 s60, vcc_lo, exec_lo
	s_delay_alu instid0(SALU_CYCLE_1)
	s_or_b32 s58, s58, s60
	s_or_b32 exec_lo, exec_lo, s59
	v_mov_b32_e32 v6, 0
	s_and_saveexec_b32 s59, s58
	s_cbranch_execnz .LBB159_1499
	s_branch .LBB159_1500
.LBB159_2816:
	s_mov_b32 s16, -1
	s_mov_b32 s18, 0
.LBB159_2817:
                                        ; implicit-def: $vgpr22
.LBB159_2818:
	s_and_b32 vcc_lo, exec_lo, s19
	s_cbranch_vccz .LBB159_2822
; %bb.2819:
	s_cmp_eq_u32 s15, 44
	s_cbranch_scc0 .LBB159_2821
; %bb.2820:
	global_load_u8 v7, v[20:21], off
	s_mov_b32 s16, 0
	s_mov_b32 s18, -1
	s_wait_loadcnt 0x0
	v_lshlrev_b32_e32 v9, 23, v7
	v_cmp_ne_u32_e32 vcc_lo, 0xff, v7
	s_delay_alu instid0(VALU_DEP_2) | instskip(NEXT) | instid1(VALU_DEP_1)
	v_cvt_f16_f32_e32 v9, v9
	v_cndmask_b32_e32 v9, 0x7e00, v9, vcc_lo
	v_cmp_ne_u32_e32 vcc_lo, 0, v7
	s_wait_xcnt 0x1
	s_delay_alu instid0(VALU_DEP_2)
	v_cndmask_b32_e32 v22, 0, v9, vcc_lo
	s_branch .LBB159_2822
.LBB159_2821:
	s_mov_b32 s16, -1
                                        ; implicit-def: $vgpr22
.LBB159_2822:
	s_mov_b32 s19, 0
.LBB159_2823:
	s_delay_alu instid0(SALU_CYCLE_1)
	s_and_b32 vcc_lo, exec_lo, s19
	s_cbranch_vccz .LBB159_2827
; %bb.2824:
	s_cmp_eq_u32 s15, 29
	s_cbranch_scc0 .LBB159_2826
; %bb.2825:
	global_load_b64 v[22:23], v[20:21], off
	s_mov_b32 s16, 0
	s_mov_b32 s18, -1
	s_mov_b32 s19, 0
	s_wait_loadcnt 0x0
	v_clz_i32_u32_e32 v7, v23
	s_delay_alu instid0(VALU_DEP_1) | instskip(NEXT) | instid1(VALU_DEP_1)
	v_min_u32_e32 v7, 32, v7
	v_lshlrev_b64_e32 v[22:23], v7, v[22:23]
	v_sub_nc_u32_e32 v7, 32, v7
	s_delay_alu instid0(VALU_DEP_2) | instskip(NEXT) | instid1(VALU_DEP_1)
	v_min_u32_e32 v9, 1, v22
	v_or_b32_e32 v9, v23, v9
	s_delay_alu instid0(VALU_DEP_1) | instskip(NEXT) | instid1(VALU_DEP_1)
	v_cvt_f32_u32_e32 v9, v9
	v_ldexp_f32 v7, v9, v7
	s_delay_alu instid0(VALU_DEP_1)
	v_cvt_f16_f32_e32 v22, v7
	s_branch .LBB159_2828
.LBB159_2826:
	s_mov_b32 s16, -1
                                        ; implicit-def: $vgpr22
.LBB159_2827:
	s_mov_b32 s19, 0
.LBB159_2828:
	s_delay_alu instid0(SALU_CYCLE_1)
	s_and_b32 vcc_lo, exec_lo, s19
	s_cbranch_vccz .LBB159_2846
; %bb.2829:
	s_cmp_lt_i32 s15, 27
	s_cbranch_scc1 .LBB159_2832
; %bb.2830:
	s_cmp_gt_i32 s15, 27
	s_cbranch_scc0 .LBB159_2833
; %bb.2831:
	global_load_b32 v7, v[20:21], off
	s_mov_b32 s18, 0
	s_wait_loadcnt 0x0
	v_cvt_f32_u32_e32 v7, v7
	s_wait_xcnt 0x1
	s_delay_alu instid0(VALU_DEP_1)
	v_cvt_f16_f32_e32 v22, v7
	s_branch .LBB159_2834
.LBB159_2832:
	s_mov_b32 s18, -1
                                        ; implicit-def: $vgpr22
	s_branch .LBB159_2837
.LBB159_2833:
	s_mov_b32 s18, -1
                                        ; implicit-def: $vgpr22
.LBB159_2834:
	s_delay_alu instid0(SALU_CYCLE_1)
	s_and_not1_b32 vcc_lo, exec_lo, s18
	s_cbranch_vccnz .LBB159_2836
; %bb.2835:
	global_load_u16 v7, v[20:21], off
	s_wait_loadcnt 0x0
	s_wait_xcnt 0x1
	v_cvt_f16_u16_e32 v22, v7
.LBB159_2836:
	s_mov_b32 s18, 0
.LBB159_2837:
	s_delay_alu instid0(SALU_CYCLE_1)
	s_and_not1_b32 vcc_lo, exec_lo, s18
	s_cbranch_vccnz .LBB159_2845
; %bb.2838:
	global_load_u8 v7, v[20:21], off
	s_mov_b32 s18, 0
	s_mov_b32 s19, exec_lo
	s_wait_loadcnt 0x0
	v_cmpx_lt_i16_e32 0x7f, v7
	s_xor_b32 s19, exec_lo, s19
	s_cbranch_execz .LBB159_2859
; %bb.2839:
	s_mov_b32 s18, -1
	s_mov_b32 s20, exec_lo
	v_cmpx_eq_u16_e32 0x80, v7
; %bb.2840:
	s_xor_b32 s18, exec_lo, -1
; %bb.2841:
	s_or_b32 exec_lo, exec_lo, s20
	s_delay_alu instid0(SALU_CYCLE_1)
	s_and_b32 s18, s18, exec_lo
	s_or_saveexec_b32 s19, s19
	v_mov_b32_e32 v22, 0x7e00
	s_xor_b32 exec_lo, exec_lo, s19
	s_cbranch_execnz .LBB159_2860
.LBB159_2842:
	s_or_b32 exec_lo, exec_lo, s19
	s_and_saveexec_b32 s19, s18
	s_cbranch_execz .LBB159_2844
.LBB159_2843:
	v_and_b32_e32 v9, 0xffff, v7
	s_delay_alu instid0(VALU_DEP_1) | instskip(SKIP_1) | instid1(VALU_DEP_2)
	v_dual_lshlrev_b32 v7, 24, v7 :: v_dual_bitop2_b32 v11, 7, v9 bitop3:0x40
	v_bfe_u32 v17, v9, 3, 4
	v_and_b32_e32 v7, 0x80000000, v7
	s_delay_alu instid0(VALU_DEP_3) | instskip(NEXT) | instid1(VALU_DEP_3)
	v_clz_i32_u32_e32 v13, v11
	v_cmp_eq_u32_e32 vcc_lo, 0, v17
	s_delay_alu instid0(VALU_DEP_2) | instskip(NEXT) | instid1(VALU_DEP_1)
	v_min_u32_e32 v13, 32, v13
	v_subrev_nc_u32_e32 v15, 28, v13
	v_sub_nc_u32_e32 v13, 29, v13
	s_delay_alu instid0(VALU_DEP_2) | instskip(NEXT) | instid1(VALU_DEP_2)
	v_lshlrev_b32_e32 v9, v15, v9
	v_cndmask_b32_e32 v13, v17, v13, vcc_lo
	s_delay_alu instid0(VALU_DEP_2) | instskip(NEXT) | instid1(VALU_DEP_1)
	v_and_b32_e32 v9, 7, v9
	v_cndmask_b32_e32 v9, v11, v9, vcc_lo
	s_delay_alu instid0(VALU_DEP_3) | instskip(NEXT) | instid1(VALU_DEP_2)
	v_lshl_add_u32 v11, v13, 23, 0x3b800000
	v_lshlrev_b32_e32 v9, 20, v9
	s_delay_alu instid0(VALU_DEP_1) | instskip(NEXT) | instid1(VALU_DEP_1)
	v_or3_b32 v7, v7, v11, v9
	v_cvt_f16_f32_e32 v22, v7
.LBB159_2844:
	s_or_b32 exec_lo, exec_lo, s19
.LBB159_2845:
	s_mov_b32 s18, -1
.LBB159_2846:
	s_mov_b32 s19, 0
.LBB159_2847:
	s_delay_alu instid0(SALU_CYCLE_1)
	s_and_b32 vcc_lo, exec_lo, s19
	s_cbranch_vccz .LBB159_2880
; %bb.2848:
	s_cmp_gt_i32 s15, 22
	s_cbranch_scc0 .LBB159_2858
; %bb.2849:
	s_cmp_lt_i32 s15, 24
	s_cbranch_scc1 .LBB159_2861
; %bb.2850:
	s_cmp_gt_i32 s15, 24
	s_cbranch_scc0 .LBB159_2862
; %bb.2851:
	global_load_u8 v7, v[20:21], off
	s_mov_b32 s18, exec_lo
	s_wait_loadcnt 0x0
	v_cmpx_lt_i16_e32 0x7f, v7
	s_xor_b32 s18, exec_lo, s18
	s_cbranch_execz .LBB159_2874
; %bb.2852:
	s_mov_b32 s17, -1
	s_mov_b32 s19, exec_lo
	v_cmpx_eq_u16_e32 0x80, v7
; %bb.2853:
	s_xor_b32 s17, exec_lo, -1
; %bb.2854:
	s_or_b32 exec_lo, exec_lo, s19
	s_delay_alu instid0(SALU_CYCLE_1)
	s_and_b32 s17, s17, exec_lo
	s_or_saveexec_b32 s18, s18
	v_mov_b32_e32 v22, 0x7e00
	s_xor_b32 exec_lo, exec_lo, s18
	s_cbranch_execnz .LBB159_2875
.LBB159_2855:
	s_or_b32 exec_lo, exec_lo, s18
	s_and_saveexec_b32 s18, s17
	s_cbranch_execz .LBB159_2857
.LBB159_2856:
	v_and_b32_e32 v9, 0xffff, v7
	s_delay_alu instid0(VALU_DEP_1) | instskip(SKIP_1) | instid1(VALU_DEP_2)
	v_dual_lshlrev_b32 v7, 24, v7 :: v_dual_bitop2_b32 v11, 3, v9 bitop3:0x40
	v_bfe_u32 v17, v9, 2, 5
	v_and_b32_e32 v7, 0x80000000, v7
	s_delay_alu instid0(VALU_DEP_3) | instskip(NEXT) | instid1(VALU_DEP_3)
	v_clz_i32_u32_e32 v13, v11
	v_cmp_eq_u32_e32 vcc_lo, 0, v17
	s_delay_alu instid0(VALU_DEP_2) | instskip(NEXT) | instid1(VALU_DEP_1)
	v_min_u32_e32 v13, 32, v13
	v_subrev_nc_u32_e32 v15, 29, v13
	v_sub_nc_u32_e32 v13, 30, v13
	s_delay_alu instid0(VALU_DEP_2) | instskip(NEXT) | instid1(VALU_DEP_2)
	v_lshlrev_b32_e32 v9, v15, v9
	v_cndmask_b32_e32 v13, v17, v13, vcc_lo
	s_delay_alu instid0(VALU_DEP_2) | instskip(NEXT) | instid1(VALU_DEP_1)
	v_and_b32_e32 v9, 3, v9
	v_cndmask_b32_e32 v9, v11, v9, vcc_lo
	s_delay_alu instid0(VALU_DEP_3) | instskip(NEXT) | instid1(VALU_DEP_2)
	v_lshl_add_u32 v11, v13, 23, 0x37800000
	v_lshlrev_b32_e32 v9, 21, v9
	s_delay_alu instid0(VALU_DEP_1) | instskip(NEXT) | instid1(VALU_DEP_1)
	v_or3_b32 v7, v7, v11, v9
	v_cvt_f16_f32_e32 v22, v7
.LBB159_2857:
	s_or_b32 exec_lo, exec_lo, s18
	s_mov_b32 s17, 0
	s_branch .LBB159_2863
.LBB159_2858:
	s_mov_b32 s17, -1
                                        ; implicit-def: $vgpr22
	s_branch .LBB159_2869
.LBB159_2859:
	s_or_saveexec_b32 s19, s19
	v_mov_b32_e32 v22, 0x7e00
	s_xor_b32 exec_lo, exec_lo, s19
	s_cbranch_execz .LBB159_2842
.LBB159_2860:
	v_cmp_ne_u16_e32 vcc_lo, 0, v7
	v_mov_b32_e32 v22, v7
	s_and_not1_b32 s18, s18, exec_lo
	s_and_b32 s20, vcc_lo, exec_lo
	s_delay_alu instid0(SALU_CYCLE_1)
	s_or_b32 s18, s18, s20
	s_or_b32 exec_lo, exec_lo, s19
	s_and_saveexec_b32 s19, s18
	s_cbranch_execnz .LBB159_2843
	s_branch .LBB159_2844
.LBB159_2861:
	s_mov_b32 s17, -1
                                        ; implicit-def: $vgpr22
	s_branch .LBB159_2866
.LBB159_2862:
	s_mov_b32 s17, -1
                                        ; implicit-def: $vgpr22
.LBB159_2863:
	s_delay_alu instid0(SALU_CYCLE_1)
	s_and_b32 vcc_lo, exec_lo, s17
	s_cbranch_vccz .LBB159_2865
; %bb.2864:
	global_load_u8 v7, v[20:21], off
	s_wait_loadcnt 0x0
	v_lshlrev_b32_e32 v7, 24, v7
	s_delay_alu instid0(VALU_DEP_1) | instskip(NEXT) | instid1(VALU_DEP_1)
	v_and_b32_e32 v9, 0x7f000000, v7
	v_clz_i32_u32_e32 v11, v9
	v_add_nc_u32_e32 v15, 0x1000000, v9
	v_cmp_ne_u32_e32 vcc_lo, 0, v9
	s_delay_alu instid0(VALU_DEP_3) | instskip(NEXT) | instid1(VALU_DEP_1)
	v_min_u32_e32 v11, 32, v11
	v_sub_nc_u32_e64 v11, v11, 4 clamp
	s_delay_alu instid0(VALU_DEP_1) | instskip(NEXT) | instid1(VALU_DEP_1)
	v_dual_lshlrev_b32 v13, v11, v9 :: v_dual_lshlrev_b32 v11, 23, v11
	v_lshrrev_b32_e32 v13, 4, v13
	s_delay_alu instid0(VALU_DEP_1) | instskip(SKIP_1) | instid1(VALU_DEP_2)
	v_sub_nc_u32_e32 v11, v13, v11
	v_ashrrev_i32_e32 v13, 8, v15
	v_add_nc_u32_e32 v11, 0x3c000000, v11
	s_delay_alu instid0(VALU_DEP_1) | instskip(NEXT) | instid1(VALU_DEP_1)
	v_and_or_b32 v11, 0x7f800000, v13, v11
	v_cndmask_b32_e32 v9, 0, v11, vcc_lo
	s_delay_alu instid0(VALU_DEP_1) | instskip(SKIP_1) | instid1(VALU_DEP_1)
	v_and_or_b32 v7, 0x80000000, v7, v9
	s_wait_xcnt 0x1
	v_cvt_f16_f32_e32 v22, v7
.LBB159_2865:
	s_mov_b32 s17, 0
.LBB159_2866:
	s_delay_alu instid0(SALU_CYCLE_1)
	s_and_not1_b32 vcc_lo, exec_lo, s17
	s_cbranch_vccnz .LBB159_2868
; %bb.2867:
	global_load_u8 v7, v[20:21], off
	s_wait_loadcnt 0x0
	v_lshlrev_b32_e32 v9, 25, v7
	v_lshlrev_b16 v7, 8, v7
	s_delay_alu instid0(VALU_DEP_1) | instskip(SKIP_1) | instid1(VALU_DEP_2)
	v_and_or_b32 v13, 0x7f00, v7, 0.5
	v_bfe_i32 v7, v7, 0, 16
	v_add_f32_e32 v13, -0.5, v13
	v_lshrrev_b32_e32 v11, 4, v9
	v_cmp_gt_u32_e32 vcc_lo, 0x8000000, v9
	s_delay_alu instid0(VALU_DEP_2) | instskip(NEXT) | instid1(VALU_DEP_1)
	v_or_b32_e32 v11, 0x70000000, v11
	v_mul_f32_e32 v11, 0x7800000, v11
	s_delay_alu instid0(VALU_DEP_1) | instskip(NEXT) | instid1(VALU_DEP_1)
	v_cndmask_b32_e32 v9, v11, v13, vcc_lo
	v_and_or_b32 v7, 0x80000000, v7, v9
	s_wait_xcnt 0x1
	s_delay_alu instid0(VALU_DEP_1)
	v_cvt_f16_f32_e32 v22, v7
.LBB159_2868:
	s_mov_b32 s17, 0
	s_mov_b32 s18, -1
.LBB159_2869:
	s_and_not1_b32 vcc_lo, exec_lo, s17
	s_mov_b32 s17, 0
	s_cbranch_vccnz .LBB159_2880
; %bb.2870:
	s_cmp_gt_i32 s15, 14
	s_cbranch_scc0 .LBB159_2873
; %bb.2871:
	s_cmp_eq_u32 s15, 15
	s_cbranch_scc0 .LBB159_2876
; %bb.2872:
	global_load_u16 v7, v[20:21], off
	s_mov_b32 s16, 0
	s_mov_b32 s18, -1
	s_wait_loadcnt 0x0
	v_lshlrev_b32_e32 v7, 16, v7
	s_wait_xcnt 0x1
	s_delay_alu instid0(VALU_DEP_1)
	v_cvt_f16_f32_e32 v22, v7
	s_branch .LBB159_2878
.LBB159_2873:
	s_mov_b32 s17, -1
	s_branch .LBB159_2877
.LBB159_2874:
	s_or_saveexec_b32 s18, s18
	v_mov_b32_e32 v22, 0x7e00
	s_xor_b32 exec_lo, exec_lo, s18
	s_cbranch_execz .LBB159_2855
.LBB159_2875:
	v_cmp_ne_u16_e32 vcc_lo, 0, v7
	v_mov_b32_e32 v22, v7
	s_and_not1_b32 s17, s17, exec_lo
	s_and_b32 s19, vcc_lo, exec_lo
	s_delay_alu instid0(SALU_CYCLE_1)
	s_or_b32 s17, s17, s19
	s_or_b32 exec_lo, exec_lo, s18
	s_and_saveexec_b32 s18, s17
	s_cbranch_execnz .LBB159_2856
	s_branch .LBB159_2857
.LBB159_2876:
	s_mov_b32 s16, -1
.LBB159_2877:
                                        ; implicit-def: $vgpr22
.LBB159_2878:
	s_and_b32 vcc_lo, exec_lo, s17
	s_mov_b32 s17, 0
	s_cbranch_vccz .LBB159_2880
; %bb.2879:
	s_cmp_lg_u32 s15, 11
	s_mov_b32 s17, -1
	s_cselect_b32 s16, -1, 0
.LBB159_2880:
	s_delay_alu instid0(SALU_CYCLE_1)
	s_and_b32 vcc_lo, exec_lo, s16
	s_cbranch_vccnz .LBB159_2945
; %bb.2881:
	s_and_not1_b32 vcc_lo, exec_lo, s17
	s_cbranch_vccnz .LBB159_2883
.LBB159_2882:
	global_load_u8 v7, v[20:21], off
	s_mov_b32 s18, -1
	s_wait_loadcnt 0x0
	v_cmp_ne_u16_e32 vcc_lo, 0, v7
	s_wait_xcnt 0x1
	v_cndmask_b32_e64 v22, 0, 0x3c00, vcc_lo
.LBB159_2883:
	s_mov_b32 s16, 0
.LBB159_2884:
	s_delay_alu instid0(SALU_CYCLE_1)
	s_and_b32 vcc_lo, exec_lo, s16
	s_cbranch_vccz .LBB159_2933
; %bb.2885:
	s_cmp_lt_i32 s15, 5
	s_cbranch_scc1 .LBB159_2890
; %bb.2886:
	s_cmp_lt_i32 s15, 8
	s_cbranch_scc1 .LBB159_2891
	;; [unrolled: 3-line block ×3, first 2 shown]
; %bb.2888:
	s_cmp_gt_i32 s15, 9
	s_cbranch_scc0 .LBB159_2893
; %bb.2889:
	global_load_b64 v[22:23], v[20:21], off
	s_mov_b32 s16, 0
	s_wait_loadcnt 0x0
	v_and_or_b32 v7, 0x1ff, v23, v22
	v_lshrrev_b32_e32 v9, 8, v23
	v_bfe_u32 v11, v23, 20, 11
	s_delay_alu instid0(VALU_DEP_3) | instskip(NEXT) | instid1(VALU_DEP_2)
	v_cmp_ne_u32_e32 vcc_lo, 0, v7
	v_sub_nc_u32_e32 v13, 0x3f1, v11
	v_add_nc_u32_e32 v11, 0xfffffc10, v11
	v_cndmask_b32_e64 v7, 0, 1, vcc_lo
	s_delay_alu instid0(VALU_DEP_1) | instskip(NEXT) | instid1(VALU_DEP_4)
	v_and_or_b32 v7, 0xffe, v9, v7
	v_med3_i32 v9, v13, 0, 13
	s_delay_alu instid0(VALU_DEP_2) | instskip(NEXT) | instid1(VALU_DEP_1)
	v_or_b32_e32 v13, 0x1000, v7
	v_lshrrev_b32_e32 v15, v9, v13
	s_delay_alu instid0(VALU_DEP_1) | instskip(NEXT) | instid1(VALU_DEP_1)
	v_lshlrev_b32_e32 v9, v9, v15
	v_cmp_ne_u32_e32 vcc_lo, v9, v13
	v_lshl_or_b32 v13, v11, 12, v7
	v_cndmask_b32_e64 v9, 0, 1, vcc_lo
	v_cmp_gt_i32_e32 vcc_lo, 1, v11
	s_delay_alu instid0(VALU_DEP_2) | instskip(NEXT) | instid1(VALU_DEP_1)
	v_or_b32_e32 v9, v15, v9
	v_cndmask_b32_e32 v9, v13, v9, vcc_lo
	s_delay_alu instid0(VALU_DEP_1) | instskip(NEXT) | instid1(VALU_DEP_1)
	v_and_b32_e32 v13, 7, v9
	v_cmp_lt_i32_e32 vcc_lo, 5, v13
	v_cndmask_b32_e64 v15, 0, 1, vcc_lo
	v_cmp_eq_u32_e32 vcc_lo, 3, v13
	v_cndmask_b32_e64 v13, 0, 1, vcc_lo
	v_cmp_ne_u32_e32 vcc_lo, 0, v7
	s_delay_alu instid0(VALU_DEP_2) | instskip(SKIP_1) | instid1(VALU_DEP_2)
	v_dual_lshrrev_b32 v9, 2, v9 :: v_dual_bitop2_b32 v13, v13, v15 bitop3:0x54
	v_mov_b32_e32 v15, 0x7e00
	v_add_nc_u32_e32 v9, v9, v13
	s_delay_alu instid0(VALU_DEP_2) | instskip(SKIP_1) | instid1(VALU_DEP_3)
	v_cndmask_b32_e32 v7, 0x7c00, v15, vcc_lo
	v_cmp_gt_i32_e32 vcc_lo, 31, v11
	v_cndmask_b32_e32 v9, 0x7c00, v9, vcc_lo
	v_cmp_eq_u32_e32 vcc_lo, 0x40f, v11
	s_delay_alu instid0(VALU_DEP_2) | instskip(SKIP_1) | instid1(VALU_DEP_1)
	v_cndmask_b32_e32 v7, v9, v7, vcc_lo
	v_lshrrev_b32_e32 v9, 16, v23
	v_and_or_b32 v22, 0x8000, v9, v7
	s_branch .LBB159_2894
.LBB159_2890:
	s_mov_b32 s16, -1
                                        ; implicit-def: $vgpr22
	s_branch .LBB159_2912
.LBB159_2891:
	s_mov_b32 s16, -1
                                        ; implicit-def: $vgpr22
	s_branch .LBB159_2900
.LBB159_2892:
	s_mov_b32 s16, -1
                                        ; implicit-def: $vgpr22
	s_branch .LBB159_2897
.LBB159_2893:
	s_mov_b32 s16, -1
                                        ; implicit-def: $vgpr22
.LBB159_2894:
	s_delay_alu instid0(SALU_CYCLE_1)
	s_and_not1_b32 vcc_lo, exec_lo, s16
	s_cbranch_vccnz .LBB159_2896
; %bb.2895:
	global_load_b32 v7, v[20:21], off
	s_wait_loadcnt 0x0
	s_wait_xcnt 0x1
	v_cvt_f16_f32_e32 v22, v7
.LBB159_2896:
	s_mov_b32 s16, 0
.LBB159_2897:
	s_delay_alu instid0(SALU_CYCLE_1)
	s_and_not1_b32 vcc_lo, exec_lo, s16
	s_cbranch_vccnz .LBB159_2899
; %bb.2898:
	global_load_b32 v22, v[20:21], off
.LBB159_2899:
	s_mov_b32 s16, 0
.LBB159_2900:
	s_delay_alu instid0(SALU_CYCLE_1)
	s_and_not1_b32 vcc_lo, exec_lo, s16
	s_cbranch_vccnz .LBB159_2911
; %bb.2901:
	s_cmp_lt_i32 s15, 6
	s_cbranch_scc1 .LBB159_2904
; %bb.2902:
	s_cmp_gt_i32 s15, 6
	s_cbranch_scc0 .LBB159_2905
; %bb.2903:
	s_wait_loadcnt 0x0
	global_load_b64 v[22:23], v[20:21], off
	s_mov_b32 s16, 0
	s_wait_loadcnt 0x0
	v_and_or_b32 v7, 0x1ff, v23, v22
	v_lshrrev_b32_e32 v9, 8, v23
	v_bfe_u32 v11, v23, 20, 11
	s_delay_alu instid0(VALU_DEP_3) | instskip(NEXT) | instid1(VALU_DEP_2)
	v_cmp_ne_u32_e32 vcc_lo, 0, v7
	v_sub_nc_u32_e32 v13, 0x3f1, v11
	v_add_nc_u32_e32 v11, 0xfffffc10, v11
	v_cndmask_b32_e64 v7, 0, 1, vcc_lo
	s_delay_alu instid0(VALU_DEP_1) | instskip(NEXT) | instid1(VALU_DEP_4)
	v_and_or_b32 v7, 0xffe, v9, v7
	v_med3_i32 v9, v13, 0, 13
	s_delay_alu instid0(VALU_DEP_2) | instskip(NEXT) | instid1(VALU_DEP_1)
	v_or_b32_e32 v13, 0x1000, v7
	v_lshrrev_b32_e32 v15, v9, v13
	s_delay_alu instid0(VALU_DEP_1) | instskip(NEXT) | instid1(VALU_DEP_1)
	v_lshlrev_b32_e32 v9, v9, v15
	v_cmp_ne_u32_e32 vcc_lo, v9, v13
	v_lshl_or_b32 v13, v11, 12, v7
	v_cndmask_b32_e64 v9, 0, 1, vcc_lo
	v_cmp_gt_i32_e32 vcc_lo, 1, v11
	s_delay_alu instid0(VALU_DEP_2) | instskip(NEXT) | instid1(VALU_DEP_1)
	v_or_b32_e32 v9, v15, v9
	v_cndmask_b32_e32 v9, v13, v9, vcc_lo
	s_delay_alu instid0(VALU_DEP_1) | instskip(NEXT) | instid1(VALU_DEP_1)
	v_and_b32_e32 v13, 7, v9
	v_cmp_lt_i32_e32 vcc_lo, 5, v13
	v_cndmask_b32_e64 v15, 0, 1, vcc_lo
	v_cmp_eq_u32_e32 vcc_lo, 3, v13
	v_cndmask_b32_e64 v13, 0, 1, vcc_lo
	v_cmp_ne_u32_e32 vcc_lo, 0, v7
	s_delay_alu instid0(VALU_DEP_2) | instskip(SKIP_1) | instid1(VALU_DEP_2)
	v_dual_lshrrev_b32 v9, 2, v9 :: v_dual_bitop2_b32 v13, v13, v15 bitop3:0x54
	v_mov_b32_e32 v15, 0x7e00
	v_add_nc_u32_e32 v9, v9, v13
	s_delay_alu instid0(VALU_DEP_2) | instskip(SKIP_1) | instid1(VALU_DEP_3)
	v_cndmask_b32_e32 v7, 0x7c00, v15, vcc_lo
	v_cmp_gt_i32_e32 vcc_lo, 31, v11
	v_cndmask_b32_e32 v9, 0x7c00, v9, vcc_lo
	v_cmp_eq_u32_e32 vcc_lo, 0x40f, v11
	s_delay_alu instid0(VALU_DEP_2) | instskip(SKIP_1) | instid1(VALU_DEP_1)
	v_cndmask_b32_e32 v7, v9, v7, vcc_lo
	v_lshrrev_b32_e32 v9, 16, v23
	v_and_or_b32 v22, 0x8000, v9, v7
	s_branch .LBB159_2906
.LBB159_2904:
	s_mov_b32 s16, -1
                                        ; implicit-def: $vgpr22
	s_branch .LBB159_2909
.LBB159_2905:
	s_mov_b32 s16, -1
                                        ; implicit-def: $vgpr22
.LBB159_2906:
	s_delay_alu instid0(SALU_CYCLE_1)
	s_and_not1_b32 vcc_lo, exec_lo, s16
	s_cbranch_vccnz .LBB159_2908
; %bb.2907:
	global_load_b32 v7, v[20:21], off
	s_wait_loadcnt 0x0
	s_wait_xcnt 0x1
	v_cvt_f16_f32_e32 v22, v7
.LBB159_2908:
	s_mov_b32 s16, 0
.LBB159_2909:
	s_delay_alu instid0(SALU_CYCLE_1)
	s_and_not1_b32 vcc_lo, exec_lo, s16
	s_cbranch_vccnz .LBB159_2911
; %bb.2910:
	s_wait_loadcnt 0x0
	global_load_u16 v22, v[20:21], off
.LBB159_2911:
	s_mov_b32 s16, 0
.LBB159_2912:
	s_delay_alu instid0(SALU_CYCLE_1)
	s_and_not1_b32 vcc_lo, exec_lo, s16
	s_cbranch_vccnz .LBB159_2932
; %bb.2913:
	s_cmp_lt_i32 s15, 2
	s_cbranch_scc1 .LBB159_2917
; %bb.2914:
	s_cmp_lt_i32 s15, 3
	s_cbranch_scc1 .LBB159_2918
; %bb.2915:
	s_cmp_gt_i32 s15, 3
	s_cbranch_scc0 .LBB159_2919
; %bb.2916:
	s_wait_loadcnt 0x0
	global_load_b64 v[22:23], v[20:21], off
	s_mov_b32 s16, 0
	s_wait_loadcnt 0x0
	v_xor_b32_e32 v7, v22, v23
	v_cls_i32_e32 v9, v23
	s_delay_alu instid0(VALU_DEP_2) | instskip(NEXT) | instid1(VALU_DEP_1)
	v_ashrrev_i32_e32 v7, 31, v7
	v_add_nc_u32_e32 v7, 32, v7
	s_delay_alu instid0(VALU_DEP_1) | instskip(NEXT) | instid1(VALU_DEP_1)
	v_add_min_u32_e64 v7, v9, -1, v7
	v_lshlrev_b64_e32 v[22:23], v7, v[22:23]
	v_sub_nc_u32_e32 v7, 32, v7
	s_delay_alu instid0(VALU_DEP_2) | instskip(NEXT) | instid1(VALU_DEP_1)
	v_min_u32_e32 v9, 1, v22
	v_or_b32_e32 v9, v23, v9
	s_delay_alu instid0(VALU_DEP_1) | instskip(NEXT) | instid1(VALU_DEP_1)
	v_cvt_f32_i32_e32 v9, v9
	v_ldexp_f32 v7, v9, v7
	s_delay_alu instid0(VALU_DEP_1)
	v_cvt_f16_f32_e32 v22, v7
	s_branch .LBB159_2920
.LBB159_2917:
	s_mov_b32 s16, -1
                                        ; implicit-def: $vgpr22
	s_branch .LBB159_2926
.LBB159_2918:
	s_mov_b32 s16, -1
                                        ; implicit-def: $vgpr22
	s_branch .LBB159_2923
.LBB159_2919:
	s_mov_b32 s16, -1
                                        ; implicit-def: $vgpr22
.LBB159_2920:
	s_delay_alu instid0(SALU_CYCLE_1)
	s_and_not1_b32 vcc_lo, exec_lo, s16
	s_cbranch_vccnz .LBB159_2922
; %bb.2921:
	global_load_b32 v7, v[20:21], off
	s_wait_loadcnt 0x0
	v_cvt_f32_i32_e32 v7, v7
	s_wait_xcnt 0x1
	s_delay_alu instid0(VALU_DEP_1)
	v_cvt_f16_f32_e32 v22, v7
.LBB159_2922:
	s_mov_b32 s16, 0
.LBB159_2923:
	s_delay_alu instid0(SALU_CYCLE_1)
	s_and_not1_b32 vcc_lo, exec_lo, s16
	s_cbranch_vccnz .LBB159_2925
; %bb.2924:
	global_load_u16 v7, v[20:21], off
	s_wait_loadcnt 0x0
	s_wait_xcnt 0x1
	v_cvt_f16_i16_e32 v22, v7
.LBB159_2925:
	s_mov_b32 s16, 0
.LBB159_2926:
	s_delay_alu instid0(SALU_CYCLE_1)
	s_and_not1_b32 vcc_lo, exec_lo, s16
	s_cbranch_vccnz .LBB159_2932
; %bb.2927:
	s_cmp_gt_i32 s15, 0
	s_mov_b32 s16, 0
	s_cbranch_scc0 .LBB159_2929
; %bb.2928:
	global_load_i8 v7, v[20:21], off
	s_wait_loadcnt 0x0
	s_wait_xcnt 0x1
	v_cvt_f16_i16_e32 v22, v7
	s_branch .LBB159_2930
.LBB159_2929:
	s_mov_b32 s16, -1
                                        ; implicit-def: $vgpr22
.LBB159_2930:
	s_delay_alu instid0(SALU_CYCLE_1)
	s_and_not1_b32 vcc_lo, exec_lo, s16
	s_cbranch_vccnz .LBB159_2932
; %bb.2931:
	global_load_u8 v7, v[20:21], off
	s_wait_loadcnt 0x0
	s_wait_xcnt 0x1
	v_cvt_f16_u16_e32 v22, v7
.LBB159_2932:
	s_mov_b32 s18, -1
.LBB159_2933:
	s_delay_alu instid0(SALU_CYCLE_1)
	s_and_not1_b32 vcc_lo, exec_lo, s18
	s_cbranch_vccnz .LBB159_4155
; %bb.2934:
	v_mov_b32_e32 v19, 0
	s_cmp_lt_i32 s13, 11
	s_delay_alu instid0(VALU_DEP_1)
	v_add_nc_u64_e32 v[18:19], s[6:7], v[18:19]
	s_cbranch_scc1 .LBB159_2941
; %bb.2935:
	s_cmp_gt_i32 s13, 25
	s_mov_b32 s17, 0
	s_cbranch_scc0 .LBB159_2942
; %bb.2936:
	s_cmp_gt_i32 s13, 28
	s_cbranch_scc0 .LBB159_2943
; %bb.2937:
	s_cmp_gt_i32 s13, 43
	;; [unrolled: 3-line block ×3, first 2 shown]
	s_cbranch_scc0 .LBB159_2946
; %bb.2939:
	s_cmp_eq_u32 s13, 46
	s_mov_b32 s19, 0
	s_cbranch_scc0 .LBB159_2949
; %bb.2940:
	global_load_b32 v7, v[18:19], off
	s_mov_b32 s16, 0
	s_mov_b32 s18, -1
	s_wait_loadcnt 0x0
	v_lshlrev_b32_e32 v7, 16, v7
	s_wait_xcnt 0x1
	s_delay_alu instid0(VALU_DEP_1)
	v_cvt_f16_f32_e32 v20, v7
	s_branch .LBB159_2951
.LBB159_2941:
	s_mov_b32 s16, -1
	s_mov_b32 s18, 0
                                        ; implicit-def: $vgpr20
	s_branch .LBB159_3017
.LBB159_2942:
	s_mov_b32 s19, -1
	s_mov_b32 s18, 0
	s_mov_b32 s16, 0
                                        ; implicit-def: $vgpr20
	s_branch .LBB159_2980
.LBB159_2943:
	s_mov_b32 s19, -1
	s_mov_b32 s18, 0
	s_mov_b32 s16, 0
                                        ; implicit-def: $vgpr20
	s_branch .LBB159_2961
.LBB159_2944:
	s_mov_b32 s19, -1
	s_mov_b32 s18, 0
	s_mov_b32 s16, 0
                                        ; implicit-def: $vgpr20
	s_branch .LBB159_2956
.LBB159_2945:
	s_or_b32 s12, s12, exec_lo
	s_trap 2
	s_cbranch_execz .LBB159_2882
	s_branch .LBB159_2883
.LBB159_2946:
	s_mov_b32 s19, -1
	s_mov_b32 s18, 0
	s_mov_b32 s16, 0
	s_branch .LBB159_2950
.LBB159_2947:
	s_and_not1_saveexec_b32 s59, s59
	s_cbranch_execz .LBB159_1511
.LBB159_2948:
	v_add_f32_e64 v5, 0x42800000, |v4|
	s_and_not1_b32 s58, s58, exec_lo
	s_delay_alu instid0(VALU_DEP_1) | instskip(NEXT) | instid1(VALU_DEP_1)
	v_and_b32_e32 v5, 0xff, v5
	v_cmp_ne_u32_e32 vcc_lo, 0, v5
	s_and_b32 s60, vcc_lo, exec_lo
	s_delay_alu instid0(SALU_CYCLE_1)
	s_or_b32 s58, s58, s60
	s_or_b32 exec_lo, exec_lo, s59
	v_mov_b32_e32 v6, 0
	s_and_saveexec_b32 s59, s58
	s_cbranch_execnz .LBB159_1512
	s_branch .LBB159_1513
.LBB159_2949:
	s_mov_b32 s16, -1
	s_mov_b32 s18, 0
.LBB159_2950:
                                        ; implicit-def: $vgpr20
.LBB159_2951:
	s_and_b32 vcc_lo, exec_lo, s19
	s_cbranch_vccz .LBB159_2955
; %bb.2952:
	s_cmp_eq_u32 s13, 44
	s_cbranch_scc0 .LBB159_2954
; %bb.2953:
	global_load_u8 v7, v[18:19], off
	s_mov_b32 s16, 0
	s_mov_b32 s18, -1
	s_wait_loadcnt 0x0
	v_lshlrev_b32_e32 v9, 23, v7
	v_cmp_ne_u32_e32 vcc_lo, 0xff, v7
	s_delay_alu instid0(VALU_DEP_2) | instskip(NEXT) | instid1(VALU_DEP_1)
	v_cvt_f16_f32_e32 v9, v9
	v_cndmask_b32_e32 v9, 0x7e00, v9, vcc_lo
	v_cmp_ne_u32_e32 vcc_lo, 0, v7
	s_wait_xcnt 0x1
	s_delay_alu instid0(VALU_DEP_2)
	v_cndmask_b32_e32 v20, 0, v9, vcc_lo
	s_branch .LBB159_2955
.LBB159_2954:
	s_mov_b32 s16, -1
                                        ; implicit-def: $vgpr20
.LBB159_2955:
	s_mov_b32 s19, 0
.LBB159_2956:
	s_delay_alu instid0(SALU_CYCLE_1)
	s_and_b32 vcc_lo, exec_lo, s19
	s_cbranch_vccz .LBB159_2960
; %bb.2957:
	s_cmp_eq_u32 s13, 29
	s_cbranch_scc0 .LBB159_2959
; %bb.2958:
	global_load_b64 v[20:21], v[18:19], off
	s_mov_b32 s16, 0
	s_mov_b32 s18, -1
	s_mov_b32 s19, 0
	s_wait_loadcnt 0x0
	v_clz_i32_u32_e32 v7, v21
	s_delay_alu instid0(VALU_DEP_1) | instskip(NEXT) | instid1(VALU_DEP_1)
	v_min_u32_e32 v7, 32, v7
	v_lshlrev_b64_e32 v[20:21], v7, v[20:21]
	v_sub_nc_u32_e32 v7, 32, v7
	s_delay_alu instid0(VALU_DEP_2) | instskip(NEXT) | instid1(VALU_DEP_1)
	v_min_u32_e32 v9, 1, v20
	v_or_b32_e32 v9, v21, v9
	s_delay_alu instid0(VALU_DEP_1) | instskip(NEXT) | instid1(VALU_DEP_1)
	v_cvt_f32_u32_e32 v9, v9
	v_ldexp_f32 v7, v9, v7
	s_delay_alu instid0(VALU_DEP_1)
	v_cvt_f16_f32_e32 v20, v7
	s_branch .LBB159_2961
.LBB159_2959:
	s_mov_b32 s16, -1
                                        ; implicit-def: $vgpr20
.LBB159_2960:
	s_mov_b32 s19, 0
.LBB159_2961:
	s_delay_alu instid0(SALU_CYCLE_1)
	s_and_b32 vcc_lo, exec_lo, s19
	s_cbranch_vccz .LBB159_2979
; %bb.2962:
	s_cmp_lt_i32 s13, 27
	s_cbranch_scc1 .LBB159_2965
; %bb.2963:
	s_cmp_gt_i32 s13, 27
	s_cbranch_scc0 .LBB159_2966
; %bb.2964:
	global_load_b32 v7, v[18:19], off
	s_mov_b32 s18, 0
	s_wait_loadcnt 0x0
	v_cvt_f32_u32_e32 v7, v7
	s_wait_xcnt 0x1
	s_delay_alu instid0(VALU_DEP_1)
	v_cvt_f16_f32_e32 v20, v7
	s_branch .LBB159_2967
.LBB159_2965:
	s_mov_b32 s18, -1
                                        ; implicit-def: $vgpr20
	s_branch .LBB159_2970
.LBB159_2966:
	s_mov_b32 s18, -1
                                        ; implicit-def: $vgpr20
.LBB159_2967:
	s_delay_alu instid0(SALU_CYCLE_1)
	s_and_not1_b32 vcc_lo, exec_lo, s18
	s_cbranch_vccnz .LBB159_2969
; %bb.2968:
	global_load_u16 v7, v[18:19], off
	s_wait_loadcnt 0x0
	s_wait_xcnt 0x1
	v_cvt_f16_u16_e32 v20, v7
.LBB159_2969:
	s_mov_b32 s18, 0
.LBB159_2970:
	s_delay_alu instid0(SALU_CYCLE_1)
	s_and_not1_b32 vcc_lo, exec_lo, s18
	s_cbranch_vccnz .LBB159_2978
; %bb.2971:
	global_load_u8 v7, v[18:19], off
	s_mov_b32 s18, 0
	s_mov_b32 s19, exec_lo
	s_wait_loadcnt 0x0
	v_cmpx_lt_i16_e32 0x7f, v7
	s_xor_b32 s19, exec_lo, s19
	s_cbranch_execz .LBB159_2992
; %bb.2972:
	s_mov_b32 s18, -1
	s_mov_b32 s20, exec_lo
	v_cmpx_eq_u16_e32 0x80, v7
; %bb.2973:
	s_xor_b32 s18, exec_lo, -1
; %bb.2974:
	s_or_b32 exec_lo, exec_lo, s20
	s_delay_alu instid0(SALU_CYCLE_1)
	s_and_b32 s18, s18, exec_lo
	s_or_saveexec_b32 s19, s19
	v_mov_b32_e32 v20, 0x7e00
	s_xor_b32 exec_lo, exec_lo, s19
	s_cbranch_execnz .LBB159_2993
.LBB159_2975:
	s_or_b32 exec_lo, exec_lo, s19
	s_and_saveexec_b32 s19, s18
	s_cbranch_execz .LBB159_2977
.LBB159_2976:
	v_and_b32_e32 v9, 0xffff, v7
	s_delay_alu instid0(VALU_DEP_1) | instskip(SKIP_1) | instid1(VALU_DEP_2)
	v_dual_lshlrev_b32 v7, 24, v7 :: v_dual_bitop2_b32 v11, 7, v9 bitop3:0x40
	v_bfe_u32 v17, v9, 3, 4
	v_and_b32_e32 v7, 0x80000000, v7
	s_delay_alu instid0(VALU_DEP_3) | instskip(NEXT) | instid1(VALU_DEP_3)
	v_clz_i32_u32_e32 v13, v11
	v_cmp_eq_u32_e32 vcc_lo, 0, v17
	s_delay_alu instid0(VALU_DEP_2) | instskip(NEXT) | instid1(VALU_DEP_1)
	v_min_u32_e32 v13, 32, v13
	v_subrev_nc_u32_e32 v15, 28, v13
	v_sub_nc_u32_e32 v13, 29, v13
	s_delay_alu instid0(VALU_DEP_2) | instskip(NEXT) | instid1(VALU_DEP_2)
	v_lshlrev_b32_e32 v9, v15, v9
	v_cndmask_b32_e32 v13, v17, v13, vcc_lo
	s_delay_alu instid0(VALU_DEP_2) | instskip(NEXT) | instid1(VALU_DEP_1)
	v_and_b32_e32 v9, 7, v9
	v_cndmask_b32_e32 v9, v11, v9, vcc_lo
	s_delay_alu instid0(VALU_DEP_3) | instskip(NEXT) | instid1(VALU_DEP_2)
	v_lshl_add_u32 v11, v13, 23, 0x3b800000
	v_lshlrev_b32_e32 v9, 20, v9
	s_delay_alu instid0(VALU_DEP_1) | instskip(NEXT) | instid1(VALU_DEP_1)
	v_or3_b32 v7, v7, v11, v9
	v_cvt_f16_f32_e32 v20, v7
.LBB159_2977:
	s_or_b32 exec_lo, exec_lo, s19
.LBB159_2978:
	s_mov_b32 s18, -1
.LBB159_2979:
	s_mov_b32 s19, 0
.LBB159_2980:
	s_delay_alu instid0(SALU_CYCLE_1)
	s_and_b32 vcc_lo, exec_lo, s19
	s_cbranch_vccz .LBB159_3013
; %bb.2981:
	s_cmp_gt_i32 s13, 22
	s_cbranch_scc0 .LBB159_2991
; %bb.2982:
	s_cmp_lt_i32 s13, 24
	s_cbranch_scc1 .LBB159_2994
; %bb.2983:
	s_cmp_gt_i32 s13, 24
	s_cbranch_scc0 .LBB159_2995
; %bb.2984:
	global_load_u8 v7, v[18:19], off
	s_mov_b32 s18, exec_lo
	s_wait_loadcnt 0x0
	v_cmpx_lt_i16_e32 0x7f, v7
	s_xor_b32 s18, exec_lo, s18
	s_cbranch_execz .LBB159_3007
; %bb.2985:
	s_mov_b32 s17, -1
	s_mov_b32 s19, exec_lo
	v_cmpx_eq_u16_e32 0x80, v7
; %bb.2986:
	s_xor_b32 s17, exec_lo, -1
; %bb.2987:
	s_or_b32 exec_lo, exec_lo, s19
	s_delay_alu instid0(SALU_CYCLE_1)
	s_and_b32 s17, s17, exec_lo
	s_or_saveexec_b32 s18, s18
	v_mov_b32_e32 v20, 0x7e00
	s_xor_b32 exec_lo, exec_lo, s18
	s_cbranch_execnz .LBB159_3008
.LBB159_2988:
	s_or_b32 exec_lo, exec_lo, s18
	s_and_saveexec_b32 s18, s17
	s_cbranch_execz .LBB159_2990
.LBB159_2989:
	v_and_b32_e32 v9, 0xffff, v7
	s_delay_alu instid0(VALU_DEP_1) | instskip(SKIP_1) | instid1(VALU_DEP_2)
	v_dual_lshlrev_b32 v7, 24, v7 :: v_dual_bitop2_b32 v11, 3, v9 bitop3:0x40
	v_bfe_u32 v17, v9, 2, 5
	v_and_b32_e32 v7, 0x80000000, v7
	s_delay_alu instid0(VALU_DEP_3) | instskip(NEXT) | instid1(VALU_DEP_3)
	v_clz_i32_u32_e32 v13, v11
	v_cmp_eq_u32_e32 vcc_lo, 0, v17
	s_delay_alu instid0(VALU_DEP_2) | instskip(NEXT) | instid1(VALU_DEP_1)
	v_min_u32_e32 v13, 32, v13
	v_subrev_nc_u32_e32 v15, 29, v13
	v_sub_nc_u32_e32 v13, 30, v13
	s_delay_alu instid0(VALU_DEP_2) | instskip(NEXT) | instid1(VALU_DEP_2)
	v_lshlrev_b32_e32 v9, v15, v9
	v_cndmask_b32_e32 v13, v17, v13, vcc_lo
	s_delay_alu instid0(VALU_DEP_2) | instskip(NEXT) | instid1(VALU_DEP_1)
	v_and_b32_e32 v9, 3, v9
	v_cndmask_b32_e32 v9, v11, v9, vcc_lo
	s_delay_alu instid0(VALU_DEP_3) | instskip(NEXT) | instid1(VALU_DEP_2)
	v_lshl_add_u32 v11, v13, 23, 0x37800000
	v_lshlrev_b32_e32 v9, 21, v9
	s_delay_alu instid0(VALU_DEP_1) | instskip(NEXT) | instid1(VALU_DEP_1)
	v_or3_b32 v7, v7, v11, v9
	v_cvt_f16_f32_e32 v20, v7
.LBB159_2990:
	s_or_b32 exec_lo, exec_lo, s18
	s_mov_b32 s17, 0
	s_branch .LBB159_2996
.LBB159_2991:
	s_mov_b32 s17, -1
                                        ; implicit-def: $vgpr20
	s_branch .LBB159_3002
.LBB159_2992:
	s_or_saveexec_b32 s19, s19
	v_mov_b32_e32 v20, 0x7e00
	s_xor_b32 exec_lo, exec_lo, s19
	s_cbranch_execz .LBB159_2975
.LBB159_2993:
	v_cmp_ne_u16_e32 vcc_lo, 0, v7
	v_mov_b32_e32 v20, v7
	s_and_not1_b32 s18, s18, exec_lo
	s_and_b32 s20, vcc_lo, exec_lo
	s_delay_alu instid0(SALU_CYCLE_1)
	s_or_b32 s18, s18, s20
	s_or_b32 exec_lo, exec_lo, s19
	s_and_saveexec_b32 s19, s18
	s_cbranch_execnz .LBB159_2976
	s_branch .LBB159_2977
.LBB159_2994:
	s_mov_b32 s17, -1
                                        ; implicit-def: $vgpr20
	s_branch .LBB159_2999
.LBB159_2995:
	s_mov_b32 s17, -1
                                        ; implicit-def: $vgpr20
.LBB159_2996:
	s_delay_alu instid0(SALU_CYCLE_1)
	s_and_b32 vcc_lo, exec_lo, s17
	s_cbranch_vccz .LBB159_2998
; %bb.2997:
	global_load_u8 v7, v[18:19], off
	s_wait_loadcnt 0x0
	v_lshlrev_b32_e32 v7, 24, v7
	s_delay_alu instid0(VALU_DEP_1) | instskip(NEXT) | instid1(VALU_DEP_1)
	v_and_b32_e32 v9, 0x7f000000, v7
	v_clz_i32_u32_e32 v11, v9
	v_add_nc_u32_e32 v15, 0x1000000, v9
	v_cmp_ne_u32_e32 vcc_lo, 0, v9
	s_delay_alu instid0(VALU_DEP_3) | instskip(NEXT) | instid1(VALU_DEP_1)
	v_min_u32_e32 v11, 32, v11
	v_sub_nc_u32_e64 v11, v11, 4 clamp
	s_delay_alu instid0(VALU_DEP_1) | instskip(NEXT) | instid1(VALU_DEP_1)
	v_dual_lshlrev_b32 v13, v11, v9 :: v_dual_lshlrev_b32 v11, 23, v11
	v_lshrrev_b32_e32 v13, 4, v13
	s_delay_alu instid0(VALU_DEP_1) | instskip(SKIP_1) | instid1(VALU_DEP_2)
	v_sub_nc_u32_e32 v11, v13, v11
	v_ashrrev_i32_e32 v13, 8, v15
	v_add_nc_u32_e32 v11, 0x3c000000, v11
	s_delay_alu instid0(VALU_DEP_1) | instskip(NEXT) | instid1(VALU_DEP_1)
	v_and_or_b32 v11, 0x7f800000, v13, v11
	v_cndmask_b32_e32 v9, 0, v11, vcc_lo
	s_delay_alu instid0(VALU_DEP_1) | instskip(SKIP_1) | instid1(VALU_DEP_1)
	v_and_or_b32 v7, 0x80000000, v7, v9
	s_wait_xcnt 0x1
	v_cvt_f16_f32_e32 v20, v7
.LBB159_2998:
	s_mov_b32 s17, 0
.LBB159_2999:
	s_delay_alu instid0(SALU_CYCLE_1)
	s_and_not1_b32 vcc_lo, exec_lo, s17
	s_cbranch_vccnz .LBB159_3001
; %bb.3000:
	global_load_u8 v7, v[18:19], off
	s_wait_loadcnt 0x0
	v_lshlrev_b32_e32 v9, 25, v7
	v_lshlrev_b16 v7, 8, v7
	s_delay_alu instid0(VALU_DEP_1) | instskip(SKIP_1) | instid1(VALU_DEP_2)
	v_and_or_b32 v13, 0x7f00, v7, 0.5
	v_bfe_i32 v7, v7, 0, 16
	v_add_f32_e32 v13, -0.5, v13
	v_lshrrev_b32_e32 v11, 4, v9
	v_cmp_gt_u32_e32 vcc_lo, 0x8000000, v9
	s_delay_alu instid0(VALU_DEP_2) | instskip(NEXT) | instid1(VALU_DEP_1)
	v_or_b32_e32 v11, 0x70000000, v11
	v_mul_f32_e32 v11, 0x7800000, v11
	s_delay_alu instid0(VALU_DEP_1) | instskip(NEXT) | instid1(VALU_DEP_1)
	v_cndmask_b32_e32 v9, v11, v13, vcc_lo
	v_and_or_b32 v7, 0x80000000, v7, v9
	s_wait_xcnt 0x1
	s_delay_alu instid0(VALU_DEP_1)
	v_cvt_f16_f32_e32 v20, v7
.LBB159_3001:
	s_mov_b32 s17, 0
	s_mov_b32 s18, -1
.LBB159_3002:
	s_and_not1_b32 vcc_lo, exec_lo, s17
	s_mov_b32 s17, 0
	s_cbranch_vccnz .LBB159_3013
; %bb.3003:
	s_cmp_gt_i32 s13, 14
	s_cbranch_scc0 .LBB159_3006
; %bb.3004:
	s_cmp_eq_u32 s13, 15
	s_cbranch_scc0 .LBB159_3009
; %bb.3005:
	global_load_u16 v7, v[18:19], off
	s_mov_b32 s16, 0
	s_mov_b32 s18, -1
	s_wait_loadcnt 0x0
	v_lshlrev_b32_e32 v7, 16, v7
	s_wait_xcnt 0x1
	s_delay_alu instid0(VALU_DEP_1)
	v_cvt_f16_f32_e32 v20, v7
	s_branch .LBB159_3011
.LBB159_3006:
	s_mov_b32 s17, -1
	s_branch .LBB159_3010
.LBB159_3007:
	s_or_saveexec_b32 s18, s18
	v_mov_b32_e32 v20, 0x7e00
	s_xor_b32 exec_lo, exec_lo, s18
	s_cbranch_execz .LBB159_2988
.LBB159_3008:
	v_cmp_ne_u16_e32 vcc_lo, 0, v7
	v_mov_b32_e32 v20, v7
	s_and_not1_b32 s17, s17, exec_lo
	s_and_b32 s19, vcc_lo, exec_lo
	s_delay_alu instid0(SALU_CYCLE_1)
	s_or_b32 s17, s17, s19
	s_or_b32 exec_lo, exec_lo, s18
	s_and_saveexec_b32 s18, s17
	s_cbranch_execnz .LBB159_2989
	s_branch .LBB159_2990
.LBB159_3009:
	s_mov_b32 s16, -1
.LBB159_3010:
                                        ; implicit-def: $vgpr20
.LBB159_3011:
	s_and_b32 vcc_lo, exec_lo, s17
	s_mov_b32 s17, 0
	s_cbranch_vccz .LBB159_3013
; %bb.3012:
	s_cmp_lg_u32 s13, 11
	s_mov_b32 s17, -1
	s_cselect_b32 s16, -1, 0
.LBB159_3013:
	s_delay_alu instid0(SALU_CYCLE_1)
	s_and_b32 vcc_lo, exec_lo, s16
	s_cbranch_vccnz .LBB159_3078
; %bb.3014:
	s_and_not1_b32 vcc_lo, exec_lo, s17
	s_cbranch_vccnz .LBB159_3016
.LBB159_3015:
	global_load_u8 v7, v[18:19], off
	s_mov_b32 s18, -1
	s_wait_loadcnt 0x0
	v_cmp_ne_u16_e32 vcc_lo, 0, v7
	s_wait_xcnt 0x1
	v_cndmask_b32_e64 v20, 0, 0x3c00, vcc_lo
.LBB159_3016:
	s_mov_b32 s16, 0
.LBB159_3017:
	s_delay_alu instid0(SALU_CYCLE_1)
	s_and_b32 vcc_lo, exec_lo, s16
	s_cbranch_vccz .LBB159_3066
; %bb.3018:
	s_cmp_lt_i32 s13, 5
	s_cbranch_scc1 .LBB159_3023
; %bb.3019:
	s_cmp_lt_i32 s13, 8
	s_cbranch_scc1 .LBB159_3024
	;; [unrolled: 3-line block ×3, first 2 shown]
; %bb.3021:
	s_cmp_gt_i32 s13, 9
	s_cbranch_scc0 .LBB159_3026
; %bb.3022:
	global_load_b64 v[20:21], v[18:19], off
	s_mov_b32 s16, 0
	s_wait_loadcnt 0x0
	v_and_or_b32 v7, 0x1ff, v21, v20
	v_lshrrev_b32_e32 v9, 8, v21
	v_bfe_u32 v11, v21, 20, 11
	s_delay_alu instid0(VALU_DEP_3) | instskip(NEXT) | instid1(VALU_DEP_2)
	v_cmp_ne_u32_e32 vcc_lo, 0, v7
	v_sub_nc_u32_e32 v13, 0x3f1, v11
	v_add_nc_u32_e32 v11, 0xfffffc10, v11
	v_cndmask_b32_e64 v7, 0, 1, vcc_lo
	s_delay_alu instid0(VALU_DEP_1) | instskip(NEXT) | instid1(VALU_DEP_4)
	v_and_or_b32 v7, 0xffe, v9, v7
	v_med3_i32 v9, v13, 0, 13
	s_delay_alu instid0(VALU_DEP_2) | instskip(NEXT) | instid1(VALU_DEP_1)
	v_or_b32_e32 v13, 0x1000, v7
	v_lshrrev_b32_e32 v15, v9, v13
	s_delay_alu instid0(VALU_DEP_1) | instskip(NEXT) | instid1(VALU_DEP_1)
	v_lshlrev_b32_e32 v9, v9, v15
	v_cmp_ne_u32_e32 vcc_lo, v9, v13
	v_lshl_or_b32 v13, v11, 12, v7
	v_cndmask_b32_e64 v9, 0, 1, vcc_lo
	v_cmp_gt_i32_e32 vcc_lo, 1, v11
	s_delay_alu instid0(VALU_DEP_2) | instskip(NEXT) | instid1(VALU_DEP_1)
	v_or_b32_e32 v9, v15, v9
	v_cndmask_b32_e32 v9, v13, v9, vcc_lo
	s_delay_alu instid0(VALU_DEP_1) | instskip(NEXT) | instid1(VALU_DEP_1)
	v_dual_lshrrev_b32 v9, 2, v9 :: v_dual_bitop2_b32 v13, 7, v9 bitop3:0x40
	v_cmp_lt_i32_e32 vcc_lo, 5, v13
	v_cndmask_b32_e64 v15, 0, 1, vcc_lo
	v_cmp_eq_u32_e32 vcc_lo, 3, v13
	v_cndmask_b32_e64 v13, 0, 1, vcc_lo
	v_cmp_ne_u32_e32 vcc_lo, 0, v7
	s_delay_alu instid0(VALU_DEP_2) | instskip(SKIP_1) | instid1(VALU_DEP_2)
	v_or_b32_e32 v13, v13, v15
	v_mov_b32_e32 v15, 0x7e00
	v_add_nc_u32_e32 v9, v9, v13
	s_delay_alu instid0(VALU_DEP_2) | instskip(SKIP_1) | instid1(VALU_DEP_3)
	v_cndmask_b32_e32 v7, 0x7c00, v15, vcc_lo
	v_cmp_gt_i32_e32 vcc_lo, 31, v11
	v_cndmask_b32_e32 v9, 0x7c00, v9, vcc_lo
	v_cmp_eq_u32_e32 vcc_lo, 0x40f, v11
	s_delay_alu instid0(VALU_DEP_2) | instskip(NEXT) | instid1(VALU_DEP_1)
	v_dual_cndmask_b32 v7, v9, v7, vcc_lo :: v_dual_lshrrev_b32 v9, 16, v21
	v_and_or_b32 v20, 0x8000, v9, v7
	s_branch .LBB159_3027
.LBB159_3023:
	s_mov_b32 s16, -1
                                        ; implicit-def: $vgpr20
	s_branch .LBB159_3045
.LBB159_3024:
	s_mov_b32 s16, -1
                                        ; implicit-def: $vgpr20
	s_branch .LBB159_3033
.LBB159_3025:
	s_mov_b32 s16, -1
                                        ; implicit-def: $vgpr20
	s_branch .LBB159_3030
.LBB159_3026:
	s_mov_b32 s16, -1
                                        ; implicit-def: $vgpr20
.LBB159_3027:
	s_delay_alu instid0(SALU_CYCLE_1)
	s_and_not1_b32 vcc_lo, exec_lo, s16
	s_cbranch_vccnz .LBB159_3029
; %bb.3028:
	global_load_b32 v7, v[18:19], off
	s_wait_loadcnt 0x0
	s_wait_xcnt 0x1
	v_cvt_f16_f32_e32 v20, v7
.LBB159_3029:
	s_mov_b32 s16, 0
.LBB159_3030:
	s_delay_alu instid0(SALU_CYCLE_1)
	s_and_not1_b32 vcc_lo, exec_lo, s16
	s_cbranch_vccnz .LBB159_3032
; %bb.3031:
	global_load_b32 v20, v[18:19], off
.LBB159_3032:
	s_mov_b32 s16, 0
.LBB159_3033:
	s_delay_alu instid0(SALU_CYCLE_1)
	s_and_not1_b32 vcc_lo, exec_lo, s16
	s_cbranch_vccnz .LBB159_3044
; %bb.3034:
	s_cmp_lt_i32 s13, 6
	s_cbranch_scc1 .LBB159_3037
; %bb.3035:
	s_cmp_gt_i32 s13, 6
	s_cbranch_scc0 .LBB159_3038
; %bb.3036:
	s_wait_loadcnt 0x0
	global_load_b64 v[20:21], v[18:19], off
	s_mov_b32 s16, 0
	s_wait_loadcnt 0x0
	v_and_or_b32 v7, 0x1ff, v21, v20
	v_lshrrev_b32_e32 v9, 8, v21
	v_bfe_u32 v11, v21, 20, 11
	s_delay_alu instid0(VALU_DEP_3) | instskip(NEXT) | instid1(VALU_DEP_2)
	v_cmp_ne_u32_e32 vcc_lo, 0, v7
	v_sub_nc_u32_e32 v13, 0x3f1, v11
	v_add_nc_u32_e32 v11, 0xfffffc10, v11
	v_cndmask_b32_e64 v7, 0, 1, vcc_lo
	s_delay_alu instid0(VALU_DEP_1) | instskip(NEXT) | instid1(VALU_DEP_4)
	v_and_or_b32 v7, 0xffe, v9, v7
	v_med3_i32 v9, v13, 0, 13
	s_delay_alu instid0(VALU_DEP_2) | instskip(NEXT) | instid1(VALU_DEP_1)
	v_or_b32_e32 v13, 0x1000, v7
	v_lshrrev_b32_e32 v15, v9, v13
	s_delay_alu instid0(VALU_DEP_1) | instskip(NEXT) | instid1(VALU_DEP_1)
	v_lshlrev_b32_e32 v9, v9, v15
	v_cmp_ne_u32_e32 vcc_lo, v9, v13
	v_lshl_or_b32 v13, v11, 12, v7
	v_cndmask_b32_e64 v9, 0, 1, vcc_lo
	v_cmp_gt_i32_e32 vcc_lo, 1, v11
	s_delay_alu instid0(VALU_DEP_2) | instskip(NEXT) | instid1(VALU_DEP_1)
	v_or_b32_e32 v9, v15, v9
	v_cndmask_b32_e32 v9, v13, v9, vcc_lo
	s_delay_alu instid0(VALU_DEP_1) | instskip(NEXT) | instid1(VALU_DEP_1)
	v_dual_lshrrev_b32 v9, 2, v9 :: v_dual_bitop2_b32 v13, 7, v9 bitop3:0x40
	v_cmp_lt_i32_e32 vcc_lo, 5, v13
	v_cndmask_b32_e64 v15, 0, 1, vcc_lo
	v_cmp_eq_u32_e32 vcc_lo, 3, v13
	v_cndmask_b32_e64 v13, 0, 1, vcc_lo
	v_cmp_ne_u32_e32 vcc_lo, 0, v7
	s_delay_alu instid0(VALU_DEP_2) | instskip(SKIP_1) | instid1(VALU_DEP_2)
	v_or_b32_e32 v13, v13, v15
	v_mov_b32_e32 v15, 0x7e00
	v_add_nc_u32_e32 v9, v9, v13
	s_delay_alu instid0(VALU_DEP_2) | instskip(SKIP_1) | instid1(VALU_DEP_3)
	v_cndmask_b32_e32 v7, 0x7c00, v15, vcc_lo
	v_cmp_gt_i32_e32 vcc_lo, 31, v11
	v_cndmask_b32_e32 v9, 0x7c00, v9, vcc_lo
	v_cmp_eq_u32_e32 vcc_lo, 0x40f, v11
	s_delay_alu instid0(VALU_DEP_2) | instskip(NEXT) | instid1(VALU_DEP_1)
	v_dual_cndmask_b32 v7, v9, v7, vcc_lo :: v_dual_lshrrev_b32 v9, 16, v21
	v_and_or_b32 v20, 0x8000, v9, v7
	s_branch .LBB159_3039
.LBB159_3037:
	s_mov_b32 s16, -1
                                        ; implicit-def: $vgpr20
	s_branch .LBB159_3042
.LBB159_3038:
	s_mov_b32 s16, -1
                                        ; implicit-def: $vgpr20
.LBB159_3039:
	s_delay_alu instid0(SALU_CYCLE_1)
	s_and_not1_b32 vcc_lo, exec_lo, s16
	s_cbranch_vccnz .LBB159_3041
; %bb.3040:
	global_load_b32 v7, v[18:19], off
	s_wait_loadcnt 0x0
	s_wait_xcnt 0x1
	v_cvt_f16_f32_e32 v20, v7
.LBB159_3041:
	s_mov_b32 s16, 0
.LBB159_3042:
	s_delay_alu instid0(SALU_CYCLE_1)
	s_and_not1_b32 vcc_lo, exec_lo, s16
	s_cbranch_vccnz .LBB159_3044
; %bb.3043:
	s_wait_loadcnt 0x0
	global_load_u16 v20, v[18:19], off
.LBB159_3044:
	s_mov_b32 s16, 0
.LBB159_3045:
	s_delay_alu instid0(SALU_CYCLE_1)
	s_and_not1_b32 vcc_lo, exec_lo, s16
	s_cbranch_vccnz .LBB159_3065
; %bb.3046:
	s_cmp_lt_i32 s13, 2
	s_cbranch_scc1 .LBB159_3050
; %bb.3047:
	s_cmp_lt_i32 s13, 3
	s_cbranch_scc1 .LBB159_3051
; %bb.3048:
	s_cmp_gt_i32 s13, 3
	s_cbranch_scc0 .LBB159_3052
; %bb.3049:
	s_wait_loadcnt 0x0
	global_load_b64 v[20:21], v[18:19], off
	s_mov_b32 s16, 0
	s_wait_loadcnt 0x0
	v_xor_b32_e32 v7, v20, v21
	v_cls_i32_e32 v9, v21
	s_delay_alu instid0(VALU_DEP_2) | instskip(NEXT) | instid1(VALU_DEP_1)
	v_ashrrev_i32_e32 v7, 31, v7
	v_add_nc_u32_e32 v7, 32, v7
	s_delay_alu instid0(VALU_DEP_1) | instskip(NEXT) | instid1(VALU_DEP_1)
	v_add_min_u32_e64 v7, v9, -1, v7
	v_lshlrev_b64_e32 v[20:21], v7, v[20:21]
	v_sub_nc_u32_e32 v7, 32, v7
	s_delay_alu instid0(VALU_DEP_2) | instskip(NEXT) | instid1(VALU_DEP_1)
	v_min_u32_e32 v9, 1, v20
	v_or_b32_e32 v9, v21, v9
	s_delay_alu instid0(VALU_DEP_1) | instskip(NEXT) | instid1(VALU_DEP_1)
	v_cvt_f32_i32_e32 v9, v9
	v_ldexp_f32 v7, v9, v7
	s_delay_alu instid0(VALU_DEP_1)
	v_cvt_f16_f32_e32 v20, v7
	s_branch .LBB159_3053
.LBB159_3050:
	s_mov_b32 s16, -1
                                        ; implicit-def: $vgpr20
	s_branch .LBB159_3059
.LBB159_3051:
	s_mov_b32 s16, -1
                                        ; implicit-def: $vgpr20
	s_branch .LBB159_3056
.LBB159_3052:
	s_mov_b32 s16, -1
                                        ; implicit-def: $vgpr20
.LBB159_3053:
	s_delay_alu instid0(SALU_CYCLE_1)
	s_and_not1_b32 vcc_lo, exec_lo, s16
	s_cbranch_vccnz .LBB159_3055
; %bb.3054:
	global_load_b32 v7, v[18:19], off
	s_wait_loadcnt 0x0
	v_cvt_f32_i32_e32 v7, v7
	s_wait_xcnt 0x1
	s_delay_alu instid0(VALU_DEP_1)
	v_cvt_f16_f32_e32 v20, v7
.LBB159_3055:
	s_mov_b32 s16, 0
.LBB159_3056:
	s_delay_alu instid0(SALU_CYCLE_1)
	s_and_not1_b32 vcc_lo, exec_lo, s16
	s_cbranch_vccnz .LBB159_3058
; %bb.3057:
	global_load_u16 v7, v[18:19], off
	s_wait_loadcnt 0x0
	s_wait_xcnt 0x1
	v_cvt_f16_i16_e32 v20, v7
.LBB159_3058:
	s_mov_b32 s16, 0
.LBB159_3059:
	s_delay_alu instid0(SALU_CYCLE_1)
	s_and_not1_b32 vcc_lo, exec_lo, s16
	s_cbranch_vccnz .LBB159_3065
; %bb.3060:
	s_cmp_gt_i32 s13, 0
	s_mov_b32 s16, 0
	s_cbranch_scc0 .LBB159_3062
; %bb.3061:
	global_load_i8 v7, v[18:19], off
	s_wait_loadcnt 0x0
	s_wait_xcnt 0x1
	v_cvt_f16_i16_e32 v20, v7
	s_branch .LBB159_3063
.LBB159_3062:
	s_mov_b32 s16, -1
                                        ; implicit-def: $vgpr20
.LBB159_3063:
	s_delay_alu instid0(SALU_CYCLE_1)
	s_and_not1_b32 vcc_lo, exec_lo, s16
	s_cbranch_vccnz .LBB159_3065
; %bb.3064:
	global_load_u8 v7, v[18:19], off
	s_wait_loadcnt 0x0
	s_wait_xcnt 0x1
	v_cvt_f16_u16_e32 v20, v7
.LBB159_3065:
	s_mov_b32 s18, -1
.LBB159_3066:
	s_delay_alu instid0(SALU_CYCLE_1)
	s_and_not1_b32 vcc_lo, exec_lo, s18
	s_cbranch_vccnz .LBB159_4155
; %bb.3067:
	v_mov_b32_e32 v17, 0
	s_cmp_lt_i32 s14, 11
	s_delay_alu instid0(VALU_DEP_1)
	v_add_nc_u64_e32 v[16:17], s[0:1], v[16:17]
	s_cbranch_scc1 .LBB159_3074
; %bb.3068:
	s_cmp_gt_i32 s14, 25
	s_mov_b32 s17, 0
	s_cbranch_scc0 .LBB159_3075
; %bb.3069:
	s_cmp_gt_i32 s14, 28
	s_cbranch_scc0 .LBB159_3076
; %bb.3070:
	s_cmp_gt_i32 s14, 43
	;; [unrolled: 3-line block ×3, first 2 shown]
	s_cbranch_scc0 .LBB159_3079
; %bb.3072:
	s_cmp_eq_u32 s14, 46
	s_mov_b32 s19, 0
	s_cbranch_scc0 .LBB159_3080
; %bb.3073:
	global_load_b32 v7, v[16:17], off
	s_mov_b32 s16, 0
	s_mov_b32 s18, -1
	s_wait_loadcnt 0x0
	v_lshlrev_b32_e32 v7, 16, v7
	s_wait_xcnt 0x1
	s_delay_alu instid0(VALU_DEP_1)
	v_cvt_f16_f32_e32 v18, v7
	s_branch .LBB159_3082
.LBB159_3074:
	s_mov_b32 s16, -1
	s_mov_b32 s18, 0
                                        ; implicit-def: $vgpr18
	s_branch .LBB159_3148
.LBB159_3075:
	s_mov_b32 s19, -1
	s_mov_b32 s18, 0
	s_mov_b32 s16, 0
                                        ; implicit-def: $vgpr18
	s_branch .LBB159_3111
.LBB159_3076:
	s_mov_b32 s19, -1
	s_mov_b32 s18, 0
	s_mov_b32 s16, 0
                                        ; implicit-def: $vgpr18
	s_branch .LBB159_3092
.LBB159_3077:
	s_mov_b32 s19, -1
	s_mov_b32 s18, 0
	s_mov_b32 s16, 0
                                        ; implicit-def: $vgpr18
	s_branch .LBB159_3087
.LBB159_3078:
	s_or_b32 s12, s12, exec_lo
	s_trap 2
	s_cbranch_execz .LBB159_3015
	s_branch .LBB159_3016
.LBB159_3079:
	s_mov_b32 s19, -1
	s_mov_b32 s18, 0
	s_mov_b32 s16, 0
	s_branch .LBB159_3081
.LBB159_3080:
	s_mov_b32 s16, -1
	s_mov_b32 s18, 0
.LBB159_3081:
                                        ; implicit-def: $vgpr18
.LBB159_3082:
	s_and_b32 vcc_lo, exec_lo, s19
	s_cbranch_vccz .LBB159_3086
; %bb.3083:
	s_cmp_eq_u32 s14, 44
	s_cbranch_scc0 .LBB159_3085
; %bb.3084:
	global_load_u8 v7, v[16:17], off
	s_mov_b32 s16, 0
	s_mov_b32 s18, -1
	s_wait_loadcnt 0x0
	v_lshlrev_b32_e32 v9, 23, v7
	v_cmp_ne_u32_e32 vcc_lo, 0xff, v7
	s_delay_alu instid0(VALU_DEP_2) | instskip(NEXT) | instid1(VALU_DEP_1)
	v_cvt_f16_f32_e32 v9, v9
	v_cndmask_b32_e32 v9, 0x7e00, v9, vcc_lo
	v_cmp_ne_u32_e32 vcc_lo, 0, v7
	s_wait_xcnt 0x1
	s_delay_alu instid0(VALU_DEP_2)
	v_cndmask_b32_e32 v18, 0, v9, vcc_lo
	s_branch .LBB159_3086
.LBB159_3085:
	s_mov_b32 s16, -1
                                        ; implicit-def: $vgpr18
.LBB159_3086:
	s_mov_b32 s19, 0
.LBB159_3087:
	s_delay_alu instid0(SALU_CYCLE_1)
	s_and_b32 vcc_lo, exec_lo, s19
	s_cbranch_vccz .LBB159_3091
; %bb.3088:
	s_cmp_eq_u32 s14, 29
	s_cbranch_scc0 .LBB159_3090
; %bb.3089:
	global_load_b64 v[18:19], v[16:17], off
	s_mov_b32 s16, 0
	s_mov_b32 s18, -1
	s_mov_b32 s19, 0
	s_wait_loadcnt 0x0
	v_clz_i32_u32_e32 v7, v19
	s_delay_alu instid0(VALU_DEP_1) | instskip(NEXT) | instid1(VALU_DEP_1)
	v_min_u32_e32 v7, 32, v7
	v_lshlrev_b64_e32 v[18:19], v7, v[18:19]
	v_sub_nc_u32_e32 v7, 32, v7
	s_delay_alu instid0(VALU_DEP_2) | instskip(NEXT) | instid1(VALU_DEP_1)
	v_min_u32_e32 v9, 1, v18
	v_or_b32_e32 v9, v19, v9
	s_delay_alu instid0(VALU_DEP_1) | instskip(NEXT) | instid1(VALU_DEP_1)
	v_cvt_f32_u32_e32 v9, v9
	v_ldexp_f32 v7, v9, v7
	s_delay_alu instid0(VALU_DEP_1)
	v_cvt_f16_f32_e32 v18, v7
	s_branch .LBB159_3092
.LBB159_3090:
	s_mov_b32 s16, -1
                                        ; implicit-def: $vgpr18
.LBB159_3091:
	s_mov_b32 s19, 0
.LBB159_3092:
	s_delay_alu instid0(SALU_CYCLE_1)
	s_and_b32 vcc_lo, exec_lo, s19
	s_cbranch_vccz .LBB159_3110
; %bb.3093:
	s_cmp_lt_i32 s14, 27
	s_cbranch_scc1 .LBB159_3096
; %bb.3094:
	s_cmp_gt_i32 s14, 27
	s_cbranch_scc0 .LBB159_3097
; %bb.3095:
	global_load_b32 v7, v[16:17], off
	s_mov_b32 s18, 0
	s_wait_loadcnt 0x0
	v_cvt_f32_u32_e32 v7, v7
	s_wait_xcnt 0x1
	s_delay_alu instid0(VALU_DEP_1)
	v_cvt_f16_f32_e32 v18, v7
	s_branch .LBB159_3098
.LBB159_3096:
	s_mov_b32 s18, -1
                                        ; implicit-def: $vgpr18
	s_branch .LBB159_3101
.LBB159_3097:
	s_mov_b32 s18, -1
                                        ; implicit-def: $vgpr18
.LBB159_3098:
	s_delay_alu instid0(SALU_CYCLE_1)
	s_and_not1_b32 vcc_lo, exec_lo, s18
	s_cbranch_vccnz .LBB159_3100
; %bb.3099:
	global_load_u16 v7, v[16:17], off
	s_wait_loadcnt 0x0
	s_wait_xcnt 0x1
	v_cvt_f16_u16_e32 v18, v7
.LBB159_3100:
	s_mov_b32 s18, 0
.LBB159_3101:
	s_delay_alu instid0(SALU_CYCLE_1)
	s_and_not1_b32 vcc_lo, exec_lo, s18
	s_cbranch_vccnz .LBB159_3109
; %bb.3102:
	global_load_u8 v7, v[16:17], off
	s_mov_b32 s18, 0
	s_mov_b32 s19, exec_lo
	s_wait_loadcnt 0x0
	v_cmpx_lt_i16_e32 0x7f, v7
	s_xor_b32 s19, exec_lo, s19
	s_cbranch_execz .LBB159_3123
; %bb.3103:
	s_mov_b32 s18, -1
	s_mov_b32 s20, exec_lo
	v_cmpx_eq_u16_e32 0x80, v7
; %bb.3104:
	s_xor_b32 s18, exec_lo, -1
; %bb.3105:
	s_or_b32 exec_lo, exec_lo, s20
	s_delay_alu instid0(SALU_CYCLE_1)
	s_and_b32 s18, s18, exec_lo
	s_or_saveexec_b32 s19, s19
	v_mov_b32_e32 v18, 0x7e00
	s_xor_b32 exec_lo, exec_lo, s19
	s_cbranch_execnz .LBB159_3124
.LBB159_3106:
	s_or_b32 exec_lo, exec_lo, s19
	s_and_saveexec_b32 s19, s18
	s_cbranch_execz .LBB159_3108
.LBB159_3107:
	v_and_b32_e32 v9, 0xffff, v7
	s_delay_alu instid0(VALU_DEP_1) | instskip(SKIP_1) | instid1(VALU_DEP_2)
	v_dual_lshlrev_b32 v7, 24, v7 :: v_dual_bitop2_b32 v11, 7, v9 bitop3:0x40
	v_bfe_u32 v18, v9, 3, 4
	v_and_b32_e32 v7, 0x80000000, v7
	s_delay_alu instid0(VALU_DEP_3) | instskip(NEXT) | instid1(VALU_DEP_3)
	v_clz_i32_u32_e32 v13, v11
	v_cmp_eq_u32_e32 vcc_lo, 0, v18
	s_delay_alu instid0(VALU_DEP_2) | instskip(NEXT) | instid1(VALU_DEP_1)
	v_min_u32_e32 v13, 32, v13
	v_subrev_nc_u32_e32 v15, 28, v13
	v_sub_nc_u32_e32 v13, 29, v13
	s_delay_alu instid0(VALU_DEP_2) | instskip(NEXT) | instid1(VALU_DEP_2)
	v_lshlrev_b32_e32 v9, v15, v9
	v_cndmask_b32_e32 v13, v18, v13, vcc_lo
	s_delay_alu instid0(VALU_DEP_2) | instskip(NEXT) | instid1(VALU_DEP_1)
	v_and_b32_e32 v9, 7, v9
	v_cndmask_b32_e32 v9, v11, v9, vcc_lo
	s_delay_alu instid0(VALU_DEP_3) | instskip(NEXT) | instid1(VALU_DEP_2)
	v_lshl_add_u32 v11, v13, 23, 0x3b800000
	v_lshlrev_b32_e32 v9, 20, v9
	s_delay_alu instid0(VALU_DEP_1) | instskip(NEXT) | instid1(VALU_DEP_1)
	v_or3_b32 v7, v7, v11, v9
	v_cvt_f16_f32_e32 v18, v7
.LBB159_3108:
	s_or_b32 exec_lo, exec_lo, s19
.LBB159_3109:
	s_mov_b32 s18, -1
.LBB159_3110:
	s_mov_b32 s19, 0
.LBB159_3111:
	s_delay_alu instid0(SALU_CYCLE_1)
	s_and_b32 vcc_lo, exec_lo, s19
	s_cbranch_vccz .LBB159_3144
; %bb.3112:
	s_cmp_gt_i32 s14, 22
	s_cbranch_scc0 .LBB159_3122
; %bb.3113:
	s_cmp_lt_i32 s14, 24
	s_cbranch_scc1 .LBB159_3125
; %bb.3114:
	s_cmp_gt_i32 s14, 24
	s_cbranch_scc0 .LBB159_3126
; %bb.3115:
	global_load_u8 v7, v[16:17], off
	s_mov_b32 s18, exec_lo
	s_wait_loadcnt 0x0
	v_cmpx_lt_i16_e32 0x7f, v7
	s_xor_b32 s18, exec_lo, s18
	s_cbranch_execz .LBB159_3138
; %bb.3116:
	s_mov_b32 s17, -1
	s_mov_b32 s19, exec_lo
	v_cmpx_eq_u16_e32 0x80, v7
; %bb.3117:
	s_xor_b32 s17, exec_lo, -1
; %bb.3118:
	s_or_b32 exec_lo, exec_lo, s19
	s_delay_alu instid0(SALU_CYCLE_1)
	s_and_b32 s17, s17, exec_lo
	s_or_saveexec_b32 s18, s18
	v_mov_b32_e32 v18, 0x7e00
	s_xor_b32 exec_lo, exec_lo, s18
	s_cbranch_execnz .LBB159_3139
.LBB159_3119:
	s_or_b32 exec_lo, exec_lo, s18
	s_and_saveexec_b32 s18, s17
	s_cbranch_execz .LBB159_3121
.LBB159_3120:
	v_and_b32_e32 v9, 0xffff, v7
	s_delay_alu instid0(VALU_DEP_1) | instskip(SKIP_1) | instid1(VALU_DEP_2)
	v_dual_lshlrev_b32 v7, 24, v7 :: v_dual_bitop2_b32 v11, 3, v9 bitop3:0x40
	v_bfe_u32 v18, v9, 2, 5
	v_and_b32_e32 v7, 0x80000000, v7
	s_delay_alu instid0(VALU_DEP_3) | instskip(NEXT) | instid1(VALU_DEP_3)
	v_clz_i32_u32_e32 v13, v11
	v_cmp_eq_u32_e32 vcc_lo, 0, v18
	s_delay_alu instid0(VALU_DEP_2) | instskip(NEXT) | instid1(VALU_DEP_1)
	v_min_u32_e32 v13, 32, v13
	v_subrev_nc_u32_e32 v15, 29, v13
	v_sub_nc_u32_e32 v13, 30, v13
	s_delay_alu instid0(VALU_DEP_2) | instskip(NEXT) | instid1(VALU_DEP_2)
	v_lshlrev_b32_e32 v9, v15, v9
	v_cndmask_b32_e32 v13, v18, v13, vcc_lo
	s_delay_alu instid0(VALU_DEP_2) | instskip(NEXT) | instid1(VALU_DEP_1)
	v_and_b32_e32 v9, 3, v9
	v_cndmask_b32_e32 v9, v11, v9, vcc_lo
	s_delay_alu instid0(VALU_DEP_3) | instskip(NEXT) | instid1(VALU_DEP_2)
	v_lshl_add_u32 v11, v13, 23, 0x37800000
	v_lshlrev_b32_e32 v9, 21, v9
	s_delay_alu instid0(VALU_DEP_1) | instskip(NEXT) | instid1(VALU_DEP_1)
	v_or3_b32 v7, v7, v11, v9
	v_cvt_f16_f32_e32 v18, v7
.LBB159_3121:
	s_or_b32 exec_lo, exec_lo, s18
	s_mov_b32 s17, 0
	s_branch .LBB159_3127
.LBB159_3122:
	s_mov_b32 s17, -1
                                        ; implicit-def: $vgpr18
	s_branch .LBB159_3133
.LBB159_3123:
	s_or_saveexec_b32 s19, s19
	v_mov_b32_e32 v18, 0x7e00
	s_xor_b32 exec_lo, exec_lo, s19
	s_cbranch_execz .LBB159_3106
.LBB159_3124:
	v_cmp_ne_u16_e32 vcc_lo, 0, v7
	v_mov_b32_e32 v18, v7
	s_and_not1_b32 s18, s18, exec_lo
	s_and_b32 s20, vcc_lo, exec_lo
	s_delay_alu instid0(SALU_CYCLE_1)
	s_or_b32 s18, s18, s20
	s_or_b32 exec_lo, exec_lo, s19
	s_and_saveexec_b32 s19, s18
	s_cbranch_execnz .LBB159_3107
	s_branch .LBB159_3108
.LBB159_3125:
	s_mov_b32 s17, -1
                                        ; implicit-def: $vgpr18
	s_branch .LBB159_3130
.LBB159_3126:
	s_mov_b32 s17, -1
                                        ; implicit-def: $vgpr18
.LBB159_3127:
	s_delay_alu instid0(SALU_CYCLE_1)
	s_and_b32 vcc_lo, exec_lo, s17
	s_cbranch_vccz .LBB159_3129
; %bb.3128:
	global_load_u8 v7, v[16:17], off
	s_wait_loadcnt 0x0
	v_lshlrev_b32_e32 v7, 24, v7
	s_delay_alu instid0(VALU_DEP_1) | instskip(NEXT) | instid1(VALU_DEP_1)
	v_and_b32_e32 v9, 0x7f000000, v7
	v_clz_i32_u32_e32 v11, v9
	v_add_nc_u32_e32 v15, 0x1000000, v9
	v_cmp_ne_u32_e32 vcc_lo, 0, v9
	s_delay_alu instid0(VALU_DEP_3) | instskip(NEXT) | instid1(VALU_DEP_1)
	v_min_u32_e32 v11, 32, v11
	v_sub_nc_u32_e64 v11, v11, 4 clamp
	s_delay_alu instid0(VALU_DEP_1) | instskip(NEXT) | instid1(VALU_DEP_1)
	v_dual_lshlrev_b32 v13, v11, v9 :: v_dual_lshlrev_b32 v11, 23, v11
	v_lshrrev_b32_e32 v13, 4, v13
	s_delay_alu instid0(VALU_DEP_1) | instskip(SKIP_1) | instid1(VALU_DEP_2)
	v_sub_nc_u32_e32 v11, v13, v11
	v_ashrrev_i32_e32 v13, 8, v15
	v_add_nc_u32_e32 v11, 0x3c000000, v11
	s_delay_alu instid0(VALU_DEP_1) | instskip(NEXT) | instid1(VALU_DEP_1)
	v_and_or_b32 v11, 0x7f800000, v13, v11
	v_cndmask_b32_e32 v9, 0, v11, vcc_lo
	s_delay_alu instid0(VALU_DEP_1) | instskip(SKIP_1) | instid1(VALU_DEP_1)
	v_and_or_b32 v7, 0x80000000, v7, v9
	s_wait_xcnt 0x1
	v_cvt_f16_f32_e32 v18, v7
.LBB159_3129:
	s_mov_b32 s17, 0
.LBB159_3130:
	s_delay_alu instid0(SALU_CYCLE_1)
	s_and_not1_b32 vcc_lo, exec_lo, s17
	s_cbranch_vccnz .LBB159_3132
; %bb.3131:
	global_load_u8 v7, v[16:17], off
	s_wait_loadcnt 0x0
	v_lshlrev_b32_e32 v9, 25, v7
	v_lshlrev_b16 v7, 8, v7
	s_delay_alu instid0(VALU_DEP_1) | instskip(SKIP_1) | instid1(VALU_DEP_2)
	v_and_or_b32 v13, 0x7f00, v7, 0.5
	v_bfe_i32 v7, v7, 0, 16
	v_add_f32_e32 v13, -0.5, v13
	v_lshrrev_b32_e32 v11, 4, v9
	v_cmp_gt_u32_e32 vcc_lo, 0x8000000, v9
	s_delay_alu instid0(VALU_DEP_2) | instskip(NEXT) | instid1(VALU_DEP_1)
	v_or_b32_e32 v11, 0x70000000, v11
	v_mul_f32_e32 v11, 0x7800000, v11
	s_delay_alu instid0(VALU_DEP_1) | instskip(NEXT) | instid1(VALU_DEP_1)
	v_cndmask_b32_e32 v9, v11, v13, vcc_lo
	v_and_or_b32 v7, 0x80000000, v7, v9
	s_wait_xcnt 0x1
	s_delay_alu instid0(VALU_DEP_1)
	v_cvt_f16_f32_e32 v18, v7
.LBB159_3132:
	s_mov_b32 s17, 0
	s_mov_b32 s18, -1
.LBB159_3133:
	s_and_not1_b32 vcc_lo, exec_lo, s17
	s_mov_b32 s17, 0
	s_cbranch_vccnz .LBB159_3144
; %bb.3134:
	s_cmp_gt_i32 s14, 14
	s_cbranch_scc0 .LBB159_3137
; %bb.3135:
	s_cmp_eq_u32 s14, 15
	s_cbranch_scc0 .LBB159_3140
; %bb.3136:
	global_load_u16 v7, v[16:17], off
	s_mov_b32 s16, 0
	s_mov_b32 s18, -1
	s_wait_loadcnt 0x0
	v_lshlrev_b32_e32 v7, 16, v7
	s_wait_xcnt 0x1
	s_delay_alu instid0(VALU_DEP_1)
	v_cvt_f16_f32_e32 v18, v7
	s_branch .LBB159_3142
.LBB159_3137:
	s_mov_b32 s17, -1
	s_branch .LBB159_3141
.LBB159_3138:
	s_or_saveexec_b32 s18, s18
	v_mov_b32_e32 v18, 0x7e00
	s_xor_b32 exec_lo, exec_lo, s18
	s_cbranch_execz .LBB159_3119
.LBB159_3139:
	v_cmp_ne_u16_e32 vcc_lo, 0, v7
	v_mov_b32_e32 v18, v7
	s_and_not1_b32 s17, s17, exec_lo
	s_and_b32 s19, vcc_lo, exec_lo
	s_delay_alu instid0(SALU_CYCLE_1)
	s_or_b32 s17, s17, s19
	s_or_b32 exec_lo, exec_lo, s18
	s_and_saveexec_b32 s18, s17
	s_cbranch_execnz .LBB159_3120
	s_branch .LBB159_3121
.LBB159_3140:
	s_mov_b32 s16, -1
.LBB159_3141:
                                        ; implicit-def: $vgpr18
.LBB159_3142:
	s_and_b32 vcc_lo, exec_lo, s17
	s_mov_b32 s17, 0
	s_cbranch_vccz .LBB159_3144
; %bb.3143:
	s_cmp_lg_u32 s14, 11
	s_mov_b32 s17, -1
	s_cselect_b32 s16, -1, 0
.LBB159_3144:
	s_delay_alu instid0(SALU_CYCLE_1)
	s_and_b32 vcc_lo, exec_lo, s16
	s_cbranch_vccnz .LBB159_3209
; %bb.3145:
	s_and_not1_b32 vcc_lo, exec_lo, s17
	s_cbranch_vccnz .LBB159_3147
.LBB159_3146:
	global_load_u8 v7, v[16:17], off
	s_mov_b32 s18, -1
	s_wait_loadcnt 0x0
	v_cmp_ne_u16_e32 vcc_lo, 0, v7
	s_wait_xcnt 0x1
	v_cndmask_b32_e64 v18, 0, 0x3c00, vcc_lo
.LBB159_3147:
	s_mov_b32 s16, 0
.LBB159_3148:
	s_delay_alu instid0(SALU_CYCLE_1)
	s_and_b32 vcc_lo, exec_lo, s16
	s_cbranch_vccz .LBB159_3197
; %bb.3149:
	s_cmp_lt_i32 s14, 5
	s_cbranch_scc1 .LBB159_3154
; %bb.3150:
	s_cmp_lt_i32 s14, 8
	s_cbranch_scc1 .LBB159_3155
	;; [unrolled: 3-line block ×3, first 2 shown]
; %bb.3152:
	s_cmp_gt_i32 s14, 9
	s_cbranch_scc0 .LBB159_3157
; %bb.3153:
	global_load_b64 v[18:19], v[16:17], off
	s_mov_b32 s16, 0
	s_wait_loadcnt 0x0
	v_and_or_b32 v7, 0x1ff, v19, v18
	v_lshrrev_b32_e32 v9, 8, v19
	v_bfe_u32 v11, v19, 20, 11
	s_delay_alu instid0(VALU_DEP_3) | instskip(NEXT) | instid1(VALU_DEP_2)
	v_cmp_ne_u32_e32 vcc_lo, 0, v7
	v_sub_nc_u32_e32 v13, 0x3f1, v11
	v_add_nc_u32_e32 v11, 0xfffffc10, v11
	v_cndmask_b32_e64 v7, 0, 1, vcc_lo
	s_delay_alu instid0(VALU_DEP_1) | instskip(NEXT) | instid1(VALU_DEP_4)
	v_and_or_b32 v7, 0xffe, v9, v7
	v_med3_i32 v9, v13, 0, 13
	s_delay_alu instid0(VALU_DEP_2) | instskip(NEXT) | instid1(VALU_DEP_1)
	v_or_b32_e32 v13, 0x1000, v7
	v_lshrrev_b32_e32 v15, v9, v13
	s_delay_alu instid0(VALU_DEP_1) | instskip(NEXT) | instid1(VALU_DEP_1)
	v_lshlrev_b32_e32 v9, v9, v15
	v_cmp_ne_u32_e32 vcc_lo, v9, v13
	v_lshl_or_b32 v13, v11, 12, v7
	v_cndmask_b32_e64 v9, 0, 1, vcc_lo
	v_cmp_gt_i32_e32 vcc_lo, 1, v11
	s_delay_alu instid0(VALU_DEP_2) | instskip(NEXT) | instid1(VALU_DEP_1)
	v_or_b32_e32 v9, v15, v9
	v_cndmask_b32_e32 v9, v13, v9, vcc_lo
	s_delay_alu instid0(VALU_DEP_1) | instskip(NEXT) | instid1(VALU_DEP_1)
	v_and_b32_e32 v13, 7, v9
	v_cmp_lt_i32_e32 vcc_lo, 5, v13
	v_cndmask_b32_e64 v15, 0, 1, vcc_lo
	v_cmp_eq_u32_e32 vcc_lo, 3, v13
	v_cndmask_b32_e64 v13, 0, 1, vcc_lo
	v_cmp_ne_u32_e32 vcc_lo, 0, v7
	s_delay_alu instid0(VALU_DEP_2) | instskip(SKIP_1) | instid1(VALU_DEP_2)
	v_dual_lshrrev_b32 v9, 2, v9 :: v_dual_bitop2_b32 v13, v13, v15 bitop3:0x54
	v_mov_b32_e32 v15, 0x7e00
	v_add_nc_u32_e32 v9, v9, v13
	s_delay_alu instid0(VALU_DEP_2) | instskip(SKIP_1) | instid1(VALU_DEP_3)
	v_cndmask_b32_e32 v7, 0x7c00, v15, vcc_lo
	v_cmp_gt_i32_e32 vcc_lo, 31, v11
	v_cndmask_b32_e32 v9, 0x7c00, v9, vcc_lo
	v_cmp_eq_u32_e32 vcc_lo, 0x40f, v11
	s_delay_alu instid0(VALU_DEP_2) | instskip(SKIP_1) | instid1(VALU_DEP_1)
	v_cndmask_b32_e32 v7, v9, v7, vcc_lo
	v_lshrrev_b32_e32 v9, 16, v19
	v_and_or_b32 v18, 0x8000, v9, v7
	s_branch .LBB159_3158
.LBB159_3154:
	s_mov_b32 s16, -1
                                        ; implicit-def: $vgpr18
	s_branch .LBB159_3176
.LBB159_3155:
	s_mov_b32 s16, -1
                                        ; implicit-def: $vgpr18
	s_branch .LBB159_3164
.LBB159_3156:
	s_mov_b32 s16, -1
                                        ; implicit-def: $vgpr18
	s_branch .LBB159_3161
.LBB159_3157:
	s_mov_b32 s16, -1
                                        ; implicit-def: $vgpr18
.LBB159_3158:
	s_delay_alu instid0(SALU_CYCLE_1)
	s_and_not1_b32 vcc_lo, exec_lo, s16
	s_cbranch_vccnz .LBB159_3160
; %bb.3159:
	global_load_b32 v7, v[16:17], off
	s_wait_loadcnt 0x0
	s_wait_xcnt 0x1
	v_cvt_f16_f32_e32 v18, v7
.LBB159_3160:
	s_mov_b32 s16, 0
.LBB159_3161:
	s_delay_alu instid0(SALU_CYCLE_1)
	s_and_not1_b32 vcc_lo, exec_lo, s16
	s_cbranch_vccnz .LBB159_3163
; %bb.3162:
	global_load_b32 v18, v[16:17], off
.LBB159_3163:
	s_mov_b32 s16, 0
.LBB159_3164:
	s_delay_alu instid0(SALU_CYCLE_1)
	s_and_not1_b32 vcc_lo, exec_lo, s16
	s_cbranch_vccnz .LBB159_3175
; %bb.3165:
	s_cmp_lt_i32 s14, 6
	s_cbranch_scc1 .LBB159_3168
; %bb.3166:
	s_cmp_gt_i32 s14, 6
	s_cbranch_scc0 .LBB159_3169
; %bb.3167:
	s_wait_loadcnt 0x0
	global_load_b64 v[18:19], v[16:17], off
	s_mov_b32 s16, 0
	s_wait_loadcnt 0x0
	v_and_or_b32 v7, 0x1ff, v19, v18
	v_lshrrev_b32_e32 v9, 8, v19
	v_bfe_u32 v11, v19, 20, 11
	s_delay_alu instid0(VALU_DEP_3) | instskip(NEXT) | instid1(VALU_DEP_2)
	v_cmp_ne_u32_e32 vcc_lo, 0, v7
	v_sub_nc_u32_e32 v13, 0x3f1, v11
	v_add_nc_u32_e32 v11, 0xfffffc10, v11
	v_cndmask_b32_e64 v7, 0, 1, vcc_lo
	s_delay_alu instid0(VALU_DEP_1) | instskip(NEXT) | instid1(VALU_DEP_4)
	v_and_or_b32 v7, 0xffe, v9, v7
	v_med3_i32 v9, v13, 0, 13
	s_delay_alu instid0(VALU_DEP_2) | instskip(NEXT) | instid1(VALU_DEP_1)
	v_or_b32_e32 v13, 0x1000, v7
	v_lshrrev_b32_e32 v15, v9, v13
	s_delay_alu instid0(VALU_DEP_1) | instskip(NEXT) | instid1(VALU_DEP_1)
	v_lshlrev_b32_e32 v9, v9, v15
	v_cmp_ne_u32_e32 vcc_lo, v9, v13
	v_lshl_or_b32 v13, v11, 12, v7
	v_cndmask_b32_e64 v9, 0, 1, vcc_lo
	v_cmp_gt_i32_e32 vcc_lo, 1, v11
	s_delay_alu instid0(VALU_DEP_2) | instskip(NEXT) | instid1(VALU_DEP_1)
	v_or_b32_e32 v9, v15, v9
	v_cndmask_b32_e32 v9, v13, v9, vcc_lo
	s_delay_alu instid0(VALU_DEP_1) | instskip(NEXT) | instid1(VALU_DEP_1)
	v_and_b32_e32 v13, 7, v9
	v_cmp_lt_i32_e32 vcc_lo, 5, v13
	v_cndmask_b32_e64 v15, 0, 1, vcc_lo
	v_cmp_eq_u32_e32 vcc_lo, 3, v13
	v_cndmask_b32_e64 v13, 0, 1, vcc_lo
	v_cmp_ne_u32_e32 vcc_lo, 0, v7
	s_delay_alu instid0(VALU_DEP_2) | instskip(SKIP_1) | instid1(VALU_DEP_2)
	v_dual_lshrrev_b32 v9, 2, v9 :: v_dual_bitop2_b32 v13, v13, v15 bitop3:0x54
	v_mov_b32_e32 v15, 0x7e00
	v_add_nc_u32_e32 v9, v9, v13
	s_delay_alu instid0(VALU_DEP_2) | instskip(SKIP_1) | instid1(VALU_DEP_3)
	v_cndmask_b32_e32 v7, 0x7c00, v15, vcc_lo
	v_cmp_gt_i32_e32 vcc_lo, 31, v11
	v_cndmask_b32_e32 v9, 0x7c00, v9, vcc_lo
	v_cmp_eq_u32_e32 vcc_lo, 0x40f, v11
	s_delay_alu instid0(VALU_DEP_2) | instskip(SKIP_1) | instid1(VALU_DEP_1)
	v_cndmask_b32_e32 v7, v9, v7, vcc_lo
	v_lshrrev_b32_e32 v9, 16, v19
	v_and_or_b32 v18, 0x8000, v9, v7
	s_branch .LBB159_3170
.LBB159_3168:
	s_mov_b32 s16, -1
                                        ; implicit-def: $vgpr18
	s_branch .LBB159_3173
.LBB159_3169:
	s_mov_b32 s16, -1
                                        ; implicit-def: $vgpr18
.LBB159_3170:
	s_delay_alu instid0(SALU_CYCLE_1)
	s_and_not1_b32 vcc_lo, exec_lo, s16
	s_cbranch_vccnz .LBB159_3172
; %bb.3171:
	global_load_b32 v7, v[16:17], off
	s_wait_loadcnt 0x0
	s_wait_xcnt 0x1
	v_cvt_f16_f32_e32 v18, v7
.LBB159_3172:
	s_mov_b32 s16, 0
.LBB159_3173:
	s_delay_alu instid0(SALU_CYCLE_1)
	s_and_not1_b32 vcc_lo, exec_lo, s16
	s_cbranch_vccnz .LBB159_3175
; %bb.3174:
	s_wait_loadcnt 0x0
	global_load_u16 v18, v[16:17], off
.LBB159_3175:
	s_mov_b32 s16, 0
.LBB159_3176:
	s_delay_alu instid0(SALU_CYCLE_1)
	s_and_not1_b32 vcc_lo, exec_lo, s16
	s_cbranch_vccnz .LBB159_3196
; %bb.3177:
	s_cmp_lt_i32 s14, 2
	s_cbranch_scc1 .LBB159_3181
; %bb.3178:
	s_cmp_lt_i32 s14, 3
	s_cbranch_scc1 .LBB159_3182
; %bb.3179:
	s_cmp_gt_i32 s14, 3
	s_cbranch_scc0 .LBB159_3183
; %bb.3180:
	s_wait_loadcnt 0x0
	global_load_b64 v[18:19], v[16:17], off
	s_mov_b32 s16, 0
	s_wait_loadcnt 0x0
	v_xor_b32_e32 v7, v18, v19
	v_cls_i32_e32 v9, v19
	s_delay_alu instid0(VALU_DEP_2) | instskip(NEXT) | instid1(VALU_DEP_1)
	v_ashrrev_i32_e32 v7, 31, v7
	v_add_nc_u32_e32 v7, 32, v7
	s_delay_alu instid0(VALU_DEP_1) | instskip(NEXT) | instid1(VALU_DEP_1)
	v_add_min_u32_e64 v7, v9, -1, v7
	v_lshlrev_b64_e32 v[18:19], v7, v[18:19]
	v_sub_nc_u32_e32 v7, 32, v7
	s_delay_alu instid0(VALU_DEP_2) | instskip(NEXT) | instid1(VALU_DEP_1)
	v_min_u32_e32 v9, 1, v18
	v_or_b32_e32 v9, v19, v9
	s_delay_alu instid0(VALU_DEP_1) | instskip(NEXT) | instid1(VALU_DEP_1)
	v_cvt_f32_i32_e32 v9, v9
	v_ldexp_f32 v7, v9, v7
	s_delay_alu instid0(VALU_DEP_1)
	v_cvt_f16_f32_e32 v18, v7
	s_branch .LBB159_3184
.LBB159_3181:
	s_mov_b32 s16, -1
                                        ; implicit-def: $vgpr18
	s_branch .LBB159_3190
.LBB159_3182:
	s_mov_b32 s16, -1
                                        ; implicit-def: $vgpr18
	s_branch .LBB159_3187
.LBB159_3183:
	s_mov_b32 s16, -1
                                        ; implicit-def: $vgpr18
.LBB159_3184:
	s_delay_alu instid0(SALU_CYCLE_1)
	s_and_not1_b32 vcc_lo, exec_lo, s16
	s_cbranch_vccnz .LBB159_3186
; %bb.3185:
	global_load_b32 v7, v[16:17], off
	s_wait_loadcnt 0x0
	v_cvt_f32_i32_e32 v7, v7
	s_wait_xcnt 0x1
	s_delay_alu instid0(VALU_DEP_1)
	v_cvt_f16_f32_e32 v18, v7
.LBB159_3186:
	s_mov_b32 s16, 0
.LBB159_3187:
	s_delay_alu instid0(SALU_CYCLE_1)
	s_and_not1_b32 vcc_lo, exec_lo, s16
	s_cbranch_vccnz .LBB159_3189
; %bb.3188:
	global_load_u16 v7, v[16:17], off
	s_wait_loadcnt 0x0
	s_wait_xcnt 0x1
	v_cvt_f16_i16_e32 v18, v7
.LBB159_3189:
	s_mov_b32 s16, 0
.LBB159_3190:
	s_delay_alu instid0(SALU_CYCLE_1)
	s_and_not1_b32 vcc_lo, exec_lo, s16
	s_cbranch_vccnz .LBB159_3196
; %bb.3191:
	s_cmp_gt_i32 s14, 0
	s_mov_b32 s16, 0
	s_cbranch_scc0 .LBB159_3193
; %bb.3192:
	global_load_i8 v7, v[16:17], off
	s_wait_loadcnt 0x0
	s_wait_xcnt 0x1
	v_cvt_f16_i16_e32 v18, v7
	s_branch .LBB159_3194
.LBB159_3193:
	s_mov_b32 s16, -1
                                        ; implicit-def: $vgpr18
.LBB159_3194:
	s_delay_alu instid0(SALU_CYCLE_1)
	s_and_not1_b32 vcc_lo, exec_lo, s16
	s_cbranch_vccnz .LBB159_3196
; %bb.3195:
	global_load_u8 v7, v[16:17], off
	s_wait_loadcnt 0x0
	s_wait_xcnt 0x1
	v_cvt_f16_u16_e32 v18, v7
.LBB159_3196:
	s_mov_b32 s18, -1
.LBB159_3197:
	s_delay_alu instid0(SALU_CYCLE_1)
	s_and_not1_b32 vcc_lo, exec_lo, s18
	s_cbranch_vccnz .LBB159_4155
; %bb.3198:
	v_mov_b32_e32 v15, 0
	s_cmp_lt_i32 s15, 11
	s_delay_alu instid0(VALU_DEP_1)
	v_add_nc_u64_e32 v[14:15], s[8:9], v[14:15]
	s_cbranch_scc1 .LBB159_3205
; %bb.3199:
	s_cmp_gt_i32 s15, 25
	s_mov_b32 s17, 0
	s_cbranch_scc0 .LBB159_3206
; %bb.3200:
	s_cmp_gt_i32 s15, 28
	s_cbranch_scc0 .LBB159_3207
; %bb.3201:
	s_cmp_gt_i32 s15, 43
	;; [unrolled: 3-line block ×3, first 2 shown]
	s_cbranch_scc0 .LBB159_3210
; %bb.3203:
	s_cmp_eq_u32 s15, 46
	s_mov_b32 s19, 0
	s_cbranch_scc0 .LBB159_3211
; %bb.3204:
	global_load_b32 v7, v[14:15], off
	s_mov_b32 s16, 0
	s_mov_b32 s18, -1
	s_wait_loadcnt 0x0
	v_lshlrev_b32_e32 v7, 16, v7
	s_wait_xcnt 0x1
	s_delay_alu instid0(VALU_DEP_1)
	v_cvt_f16_f32_e32 v16, v7
	s_branch .LBB159_3213
.LBB159_3205:
	s_mov_b32 s16, -1
	s_mov_b32 s18, 0
                                        ; implicit-def: $vgpr16
	s_branch .LBB159_3279
.LBB159_3206:
	s_mov_b32 s19, -1
	s_mov_b32 s18, 0
	s_mov_b32 s16, 0
                                        ; implicit-def: $vgpr16
	s_branch .LBB159_3242
.LBB159_3207:
	s_mov_b32 s19, -1
	s_mov_b32 s18, 0
	s_mov_b32 s16, 0
                                        ; implicit-def: $vgpr16
	s_branch .LBB159_3223
.LBB159_3208:
	s_mov_b32 s19, -1
	s_mov_b32 s18, 0
	s_mov_b32 s16, 0
                                        ; implicit-def: $vgpr16
	s_branch .LBB159_3218
.LBB159_3209:
	s_or_b32 s12, s12, exec_lo
	s_trap 2
	s_cbranch_execz .LBB159_3146
	s_branch .LBB159_3147
.LBB159_3210:
	s_mov_b32 s19, -1
	s_mov_b32 s18, 0
	s_mov_b32 s16, 0
	s_branch .LBB159_3212
.LBB159_3211:
	s_mov_b32 s16, -1
	s_mov_b32 s18, 0
.LBB159_3212:
                                        ; implicit-def: $vgpr16
.LBB159_3213:
	s_and_b32 vcc_lo, exec_lo, s19
	s_cbranch_vccz .LBB159_3217
; %bb.3214:
	s_cmp_eq_u32 s15, 44
	s_cbranch_scc0 .LBB159_3216
; %bb.3215:
	global_load_u8 v7, v[14:15], off
	s_mov_b32 s16, 0
	s_mov_b32 s18, -1
	s_wait_loadcnt 0x0
	v_lshlrev_b32_e32 v9, 23, v7
	v_cmp_ne_u32_e32 vcc_lo, 0xff, v7
	s_delay_alu instid0(VALU_DEP_2) | instskip(NEXT) | instid1(VALU_DEP_1)
	v_cvt_f16_f32_e32 v9, v9
	v_cndmask_b32_e32 v9, 0x7e00, v9, vcc_lo
	v_cmp_ne_u32_e32 vcc_lo, 0, v7
	s_wait_xcnt 0x1
	s_delay_alu instid0(VALU_DEP_2)
	v_cndmask_b32_e32 v16, 0, v9, vcc_lo
	s_branch .LBB159_3217
.LBB159_3216:
	s_mov_b32 s16, -1
                                        ; implicit-def: $vgpr16
.LBB159_3217:
	s_mov_b32 s19, 0
.LBB159_3218:
	s_delay_alu instid0(SALU_CYCLE_1)
	s_and_b32 vcc_lo, exec_lo, s19
	s_cbranch_vccz .LBB159_3222
; %bb.3219:
	s_cmp_eq_u32 s15, 29
	s_cbranch_scc0 .LBB159_3221
; %bb.3220:
	global_load_b64 v[16:17], v[14:15], off
	s_mov_b32 s16, 0
	s_mov_b32 s18, -1
	s_mov_b32 s19, 0
	s_wait_loadcnt 0x0
	v_clz_i32_u32_e32 v7, v17
	s_delay_alu instid0(VALU_DEP_1) | instskip(NEXT) | instid1(VALU_DEP_1)
	v_min_u32_e32 v7, 32, v7
	v_lshlrev_b64_e32 v[16:17], v7, v[16:17]
	v_sub_nc_u32_e32 v7, 32, v7
	s_delay_alu instid0(VALU_DEP_2) | instskip(NEXT) | instid1(VALU_DEP_1)
	v_min_u32_e32 v9, 1, v16
	v_or_b32_e32 v9, v17, v9
	s_delay_alu instid0(VALU_DEP_1) | instskip(NEXT) | instid1(VALU_DEP_1)
	v_cvt_f32_u32_e32 v9, v9
	v_ldexp_f32 v7, v9, v7
	s_delay_alu instid0(VALU_DEP_1)
	v_cvt_f16_f32_e32 v16, v7
	s_branch .LBB159_3223
.LBB159_3221:
	s_mov_b32 s16, -1
                                        ; implicit-def: $vgpr16
.LBB159_3222:
	s_mov_b32 s19, 0
.LBB159_3223:
	s_delay_alu instid0(SALU_CYCLE_1)
	s_and_b32 vcc_lo, exec_lo, s19
	s_cbranch_vccz .LBB159_3241
; %bb.3224:
	s_cmp_lt_i32 s15, 27
	s_cbranch_scc1 .LBB159_3227
; %bb.3225:
	s_cmp_gt_i32 s15, 27
	s_cbranch_scc0 .LBB159_3228
; %bb.3226:
	global_load_b32 v7, v[14:15], off
	s_mov_b32 s18, 0
	s_wait_loadcnt 0x0
	v_cvt_f32_u32_e32 v7, v7
	s_wait_xcnt 0x1
	s_delay_alu instid0(VALU_DEP_1)
	v_cvt_f16_f32_e32 v16, v7
	s_branch .LBB159_3229
.LBB159_3227:
	s_mov_b32 s18, -1
                                        ; implicit-def: $vgpr16
	s_branch .LBB159_3232
.LBB159_3228:
	s_mov_b32 s18, -1
                                        ; implicit-def: $vgpr16
.LBB159_3229:
	s_delay_alu instid0(SALU_CYCLE_1)
	s_and_not1_b32 vcc_lo, exec_lo, s18
	s_cbranch_vccnz .LBB159_3231
; %bb.3230:
	global_load_u16 v7, v[14:15], off
	s_wait_loadcnt 0x0
	s_wait_xcnt 0x1
	v_cvt_f16_u16_e32 v16, v7
.LBB159_3231:
	s_mov_b32 s18, 0
.LBB159_3232:
	s_delay_alu instid0(SALU_CYCLE_1)
	s_and_not1_b32 vcc_lo, exec_lo, s18
	s_cbranch_vccnz .LBB159_3240
; %bb.3233:
	global_load_u8 v7, v[14:15], off
	s_mov_b32 s18, 0
	s_mov_b32 s19, exec_lo
	s_wait_loadcnt 0x0
	v_cmpx_lt_i16_e32 0x7f, v7
	s_xor_b32 s19, exec_lo, s19
	s_cbranch_execz .LBB159_3254
; %bb.3234:
	s_mov_b32 s18, -1
	s_mov_b32 s20, exec_lo
	v_cmpx_eq_u16_e32 0x80, v7
; %bb.3235:
	s_xor_b32 s18, exec_lo, -1
; %bb.3236:
	s_or_b32 exec_lo, exec_lo, s20
	s_delay_alu instid0(SALU_CYCLE_1)
	s_and_b32 s18, s18, exec_lo
	s_or_saveexec_b32 s19, s19
	v_mov_b32_e32 v16, 0x7e00
	s_xor_b32 exec_lo, exec_lo, s19
	s_cbranch_execnz .LBB159_3255
.LBB159_3237:
	s_or_b32 exec_lo, exec_lo, s19
	s_and_saveexec_b32 s19, s18
	s_cbranch_execz .LBB159_3239
.LBB159_3238:
	v_and_b32_e32 v9, 0xffff, v7
	s_delay_alu instid0(VALU_DEP_1) | instskip(SKIP_1) | instid1(VALU_DEP_2)
	v_dual_lshlrev_b32 v7, 24, v7 :: v_dual_bitop2_b32 v11, 7, v9 bitop3:0x40
	v_bfe_u32 v17, v9, 3, 4
	v_and_b32_e32 v7, 0x80000000, v7
	s_delay_alu instid0(VALU_DEP_3) | instskip(NEXT) | instid1(VALU_DEP_3)
	v_clz_i32_u32_e32 v13, v11
	v_cmp_eq_u32_e32 vcc_lo, 0, v17
	s_delay_alu instid0(VALU_DEP_2) | instskip(NEXT) | instid1(VALU_DEP_1)
	v_min_u32_e32 v13, 32, v13
	v_subrev_nc_u32_e32 v16, 28, v13
	v_sub_nc_u32_e32 v13, 29, v13
	s_delay_alu instid0(VALU_DEP_2) | instskip(NEXT) | instid1(VALU_DEP_2)
	v_lshlrev_b32_e32 v9, v16, v9
	v_cndmask_b32_e32 v13, v17, v13, vcc_lo
	s_delay_alu instid0(VALU_DEP_2) | instskip(NEXT) | instid1(VALU_DEP_1)
	v_and_b32_e32 v9, 7, v9
	v_cndmask_b32_e32 v9, v11, v9, vcc_lo
	s_delay_alu instid0(VALU_DEP_3) | instskip(NEXT) | instid1(VALU_DEP_2)
	v_lshl_add_u32 v11, v13, 23, 0x3b800000
	v_lshlrev_b32_e32 v9, 20, v9
	s_delay_alu instid0(VALU_DEP_1) | instskip(NEXT) | instid1(VALU_DEP_1)
	v_or3_b32 v7, v7, v11, v9
	v_cvt_f16_f32_e32 v16, v7
.LBB159_3239:
	s_or_b32 exec_lo, exec_lo, s19
.LBB159_3240:
	s_mov_b32 s18, -1
.LBB159_3241:
	s_mov_b32 s19, 0
.LBB159_3242:
	s_delay_alu instid0(SALU_CYCLE_1)
	s_and_b32 vcc_lo, exec_lo, s19
	s_cbranch_vccz .LBB159_3275
; %bb.3243:
	s_cmp_gt_i32 s15, 22
	s_cbranch_scc0 .LBB159_3253
; %bb.3244:
	s_cmp_lt_i32 s15, 24
	s_cbranch_scc1 .LBB159_3256
; %bb.3245:
	s_cmp_gt_i32 s15, 24
	s_cbranch_scc0 .LBB159_3257
; %bb.3246:
	global_load_u8 v7, v[14:15], off
	s_mov_b32 s18, exec_lo
	s_wait_loadcnt 0x0
	v_cmpx_lt_i16_e32 0x7f, v7
	s_xor_b32 s18, exec_lo, s18
	s_cbranch_execz .LBB159_3269
; %bb.3247:
	s_mov_b32 s17, -1
	s_mov_b32 s19, exec_lo
	v_cmpx_eq_u16_e32 0x80, v7
; %bb.3248:
	s_xor_b32 s17, exec_lo, -1
; %bb.3249:
	s_or_b32 exec_lo, exec_lo, s19
	s_delay_alu instid0(SALU_CYCLE_1)
	s_and_b32 s17, s17, exec_lo
	s_or_saveexec_b32 s18, s18
	v_mov_b32_e32 v16, 0x7e00
	s_xor_b32 exec_lo, exec_lo, s18
	s_cbranch_execnz .LBB159_3270
.LBB159_3250:
	s_or_b32 exec_lo, exec_lo, s18
	s_and_saveexec_b32 s18, s17
	s_cbranch_execz .LBB159_3252
.LBB159_3251:
	v_and_b32_e32 v9, 0xffff, v7
	s_delay_alu instid0(VALU_DEP_1) | instskip(SKIP_1) | instid1(VALU_DEP_2)
	v_dual_lshlrev_b32 v7, 24, v7 :: v_dual_bitop2_b32 v11, 3, v9 bitop3:0x40
	v_bfe_u32 v17, v9, 2, 5
	v_and_b32_e32 v7, 0x80000000, v7
	s_delay_alu instid0(VALU_DEP_3) | instskip(NEXT) | instid1(VALU_DEP_3)
	v_clz_i32_u32_e32 v13, v11
	v_cmp_eq_u32_e32 vcc_lo, 0, v17
	s_delay_alu instid0(VALU_DEP_2) | instskip(NEXT) | instid1(VALU_DEP_1)
	v_min_u32_e32 v13, 32, v13
	v_subrev_nc_u32_e32 v16, 29, v13
	v_sub_nc_u32_e32 v13, 30, v13
	s_delay_alu instid0(VALU_DEP_2) | instskip(NEXT) | instid1(VALU_DEP_2)
	v_lshlrev_b32_e32 v9, v16, v9
	v_cndmask_b32_e32 v13, v17, v13, vcc_lo
	s_delay_alu instid0(VALU_DEP_2) | instskip(NEXT) | instid1(VALU_DEP_1)
	v_and_b32_e32 v9, 3, v9
	v_cndmask_b32_e32 v9, v11, v9, vcc_lo
	s_delay_alu instid0(VALU_DEP_3) | instskip(NEXT) | instid1(VALU_DEP_2)
	v_lshl_add_u32 v11, v13, 23, 0x37800000
	v_lshlrev_b32_e32 v9, 21, v9
	s_delay_alu instid0(VALU_DEP_1) | instskip(NEXT) | instid1(VALU_DEP_1)
	v_or3_b32 v7, v7, v11, v9
	v_cvt_f16_f32_e32 v16, v7
.LBB159_3252:
	s_or_b32 exec_lo, exec_lo, s18
	s_mov_b32 s17, 0
	s_branch .LBB159_3258
.LBB159_3253:
	s_mov_b32 s17, -1
                                        ; implicit-def: $vgpr16
	s_branch .LBB159_3264
.LBB159_3254:
	s_or_saveexec_b32 s19, s19
	v_mov_b32_e32 v16, 0x7e00
	s_xor_b32 exec_lo, exec_lo, s19
	s_cbranch_execz .LBB159_3237
.LBB159_3255:
	v_cmp_ne_u16_e32 vcc_lo, 0, v7
	v_mov_b32_e32 v16, v7
	s_and_not1_b32 s18, s18, exec_lo
	s_and_b32 s20, vcc_lo, exec_lo
	s_delay_alu instid0(SALU_CYCLE_1)
	s_or_b32 s18, s18, s20
	s_or_b32 exec_lo, exec_lo, s19
	s_and_saveexec_b32 s19, s18
	s_cbranch_execnz .LBB159_3238
	s_branch .LBB159_3239
.LBB159_3256:
	s_mov_b32 s17, -1
                                        ; implicit-def: $vgpr16
	s_branch .LBB159_3261
.LBB159_3257:
	s_mov_b32 s17, -1
                                        ; implicit-def: $vgpr16
.LBB159_3258:
	s_delay_alu instid0(SALU_CYCLE_1)
	s_and_b32 vcc_lo, exec_lo, s17
	s_cbranch_vccz .LBB159_3260
; %bb.3259:
	global_load_u8 v7, v[14:15], off
	s_wait_loadcnt 0x0
	v_lshlrev_b32_e32 v7, 24, v7
	s_delay_alu instid0(VALU_DEP_1) | instskip(NEXT) | instid1(VALU_DEP_1)
	v_and_b32_e32 v9, 0x7f000000, v7
	v_clz_i32_u32_e32 v11, v9
	v_cmp_ne_u32_e32 vcc_lo, 0, v9
	s_wait_xcnt 0x1
	v_add_nc_u32_e32 v16, 0x1000000, v9
	s_delay_alu instid0(VALU_DEP_3) | instskip(NEXT) | instid1(VALU_DEP_1)
	v_min_u32_e32 v11, 32, v11
	v_sub_nc_u32_e64 v11, v11, 4 clamp
	s_delay_alu instid0(VALU_DEP_1) | instskip(NEXT) | instid1(VALU_DEP_1)
	v_dual_lshlrev_b32 v13, v11, v9 :: v_dual_lshlrev_b32 v11, 23, v11
	v_lshrrev_b32_e32 v13, 4, v13
	s_delay_alu instid0(VALU_DEP_1) | instskip(NEXT) | instid1(VALU_DEP_1)
	v_dual_sub_nc_u32 v11, v13, v11 :: v_dual_ashrrev_i32 v13, 8, v16
	v_add_nc_u32_e32 v11, 0x3c000000, v11
	s_delay_alu instid0(VALU_DEP_1) | instskip(NEXT) | instid1(VALU_DEP_1)
	v_and_or_b32 v11, 0x7f800000, v13, v11
	v_cndmask_b32_e32 v9, 0, v11, vcc_lo
	s_delay_alu instid0(VALU_DEP_1) | instskip(NEXT) | instid1(VALU_DEP_1)
	v_and_or_b32 v7, 0x80000000, v7, v9
	v_cvt_f16_f32_e32 v16, v7
.LBB159_3260:
	s_mov_b32 s17, 0
.LBB159_3261:
	s_delay_alu instid0(SALU_CYCLE_1)
	s_and_not1_b32 vcc_lo, exec_lo, s17
	s_cbranch_vccnz .LBB159_3263
; %bb.3262:
	global_load_u8 v7, v[14:15], off
	s_wait_loadcnt 0x0
	v_lshlrev_b32_e32 v9, 25, v7
	v_lshlrev_b16 v7, 8, v7
	s_delay_alu instid0(VALU_DEP_1) | instskip(SKIP_1) | instid1(VALU_DEP_2)
	v_and_or_b32 v13, 0x7f00, v7, 0.5
	v_bfe_i32 v7, v7, 0, 16
	v_add_f32_e32 v13, -0.5, v13
	v_lshrrev_b32_e32 v11, 4, v9
	v_cmp_gt_u32_e32 vcc_lo, 0x8000000, v9
	s_delay_alu instid0(VALU_DEP_2) | instskip(NEXT) | instid1(VALU_DEP_1)
	v_or_b32_e32 v11, 0x70000000, v11
	v_mul_f32_e32 v11, 0x7800000, v11
	s_delay_alu instid0(VALU_DEP_1) | instskip(NEXT) | instid1(VALU_DEP_1)
	v_cndmask_b32_e32 v9, v11, v13, vcc_lo
	v_and_or_b32 v7, 0x80000000, v7, v9
	s_wait_xcnt 0x1
	s_delay_alu instid0(VALU_DEP_1)
	v_cvt_f16_f32_e32 v16, v7
.LBB159_3263:
	s_mov_b32 s17, 0
	s_mov_b32 s18, -1
.LBB159_3264:
	s_and_not1_b32 vcc_lo, exec_lo, s17
	s_mov_b32 s17, 0
	s_cbranch_vccnz .LBB159_3275
; %bb.3265:
	s_cmp_gt_i32 s15, 14
	s_cbranch_scc0 .LBB159_3268
; %bb.3266:
	s_cmp_eq_u32 s15, 15
	s_cbranch_scc0 .LBB159_3271
; %bb.3267:
	global_load_u16 v7, v[14:15], off
	s_mov_b32 s16, 0
	s_mov_b32 s18, -1
	s_wait_loadcnt 0x0
	v_lshlrev_b32_e32 v7, 16, v7
	s_wait_xcnt 0x1
	s_delay_alu instid0(VALU_DEP_1)
	v_cvt_f16_f32_e32 v16, v7
	s_branch .LBB159_3273
.LBB159_3268:
	s_mov_b32 s17, -1
	s_branch .LBB159_3272
.LBB159_3269:
	s_or_saveexec_b32 s18, s18
	v_mov_b32_e32 v16, 0x7e00
	s_xor_b32 exec_lo, exec_lo, s18
	s_cbranch_execz .LBB159_3250
.LBB159_3270:
	v_cmp_ne_u16_e32 vcc_lo, 0, v7
	v_mov_b32_e32 v16, v7
	s_and_not1_b32 s17, s17, exec_lo
	s_and_b32 s19, vcc_lo, exec_lo
	s_delay_alu instid0(SALU_CYCLE_1)
	s_or_b32 s17, s17, s19
	s_or_b32 exec_lo, exec_lo, s18
	s_and_saveexec_b32 s18, s17
	s_cbranch_execnz .LBB159_3251
	s_branch .LBB159_3252
.LBB159_3271:
	s_mov_b32 s16, -1
.LBB159_3272:
                                        ; implicit-def: $vgpr16
.LBB159_3273:
	s_and_b32 vcc_lo, exec_lo, s17
	s_mov_b32 s17, 0
	s_cbranch_vccz .LBB159_3275
; %bb.3274:
	s_cmp_lg_u32 s15, 11
	s_mov_b32 s17, -1
	s_cselect_b32 s16, -1, 0
.LBB159_3275:
	s_delay_alu instid0(SALU_CYCLE_1)
	s_and_b32 vcc_lo, exec_lo, s16
	s_cbranch_vccnz .LBB159_3340
; %bb.3276:
	s_and_not1_b32 vcc_lo, exec_lo, s17
	s_cbranch_vccnz .LBB159_3278
.LBB159_3277:
	global_load_u8 v7, v[14:15], off
	s_mov_b32 s18, -1
	s_wait_loadcnt 0x0
	v_cmp_ne_u16_e32 vcc_lo, 0, v7
	s_wait_xcnt 0x1
	v_cndmask_b32_e64 v16, 0, 0x3c00, vcc_lo
.LBB159_3278:
	s_mov_b32 s16, 0
.LBB159_3279:
	s_delay_alu instid0(SALU_CYCLE_1)
	s_and_b32 vcc_lo, exec_lo, s16
	s_cbranch_vccz .LBB159_3328
; %bb.3280:
	s_cmp_lt_i32 s15, 5
	s_cbranch_scc1 .LBB159_3285
; %bb.3281:
	s_cmp_lt_i32 s15, 8
	s_cbranch_scc1 .LBB159_3286
	;; [unrolled: 3-line block ×3, first 2 shown]
; %bb.3283:
	s_cmp_gt_i32 s15, 9
	s_cbranch_scc0 .LBB159_3288
; %bb.3284:
	global_load_b64 v[16:17], v[14:15], off
	s_mov_b32 s16, 0
	s_wait_loadcnt 0x0
	v_and_or_b32 v7, 0x1ff, v17, v16
	v_lshrrev_b32_e32 v9, 8, v17
	v_bfe_u32 v11, v17, 20, 11
	s_delay_alu instid0(VALU_DEP_3) | instskip(NEXT) | instid1(VALU_DEP_2)
	v_cmp_ne_u32_e32 vcc_lo, 0, v7
	v_sub_nc_u32_e32 v13, 0x3f1, v11
	v_add_nc_u32_e32 v11, 0xfffffc10, v11
	v_cndmask_b32_e64 v7, 0, 1, vcc_lo
	s_delay_alu instid0(VALU_DEP_1) | instskip(NEXT) | instid1(VALU_DEP_4)
	v_and_or_b32 v7, 0xffe, v9, v7
	v_med3_i32 v9, v13, 0, 13
	s_delay_alu instid0(VALU_DEP_2) | instskip(NEXT) | instid1(VALU_DEP_1)
	v_or_b32_e32 v13, 0x1000, v7
	v_lshrrev_b32_e32 v16, v9, v13
	s_delay_alu instid0(VALU_DEP_1) | instskip(NEXT) | instid1(VALU_DEP_1)
	v_lshlrev_b32_e32 v9, v9, v16
	v_cmp_ne_u32_e32 vcc_lo, v9, v13
	v_lshl_or_b32 v13, v11, 12, v7
	v_cndmask_b32_e64 v9, 0, 1, vcc_lo
	v_cmp_gt_i32_e32 vcc_lo, 1, v11
	s_delay_alu instid0(VALU_DEP_2) | instskip(NEXT) | instid1(VALU_DEP_1)
	v_or_b32_e32 v9, v16, v9
	v_cndmask_b32_e32 v9, v13, v9, vcc_lo
	s_delay_alu instid0(VALU_DEP_1) | instskip(NEXT) | instid1(VALU_DEP_1)
	v_dual_lshrrev_b32 v9, 2, v9 :: v_dual_bitop2_b32 v13, 7, v9 bitop3:0x40
	v_cmp_lt_i32_e32 vcc_lo, 5, v13
	v_cndmask_b32_e64 v16, 0, 1, vcc_lo
	v_cmp_eq_u32_e32 vcc_lo, 3, v13
	v_cndmask_b32_e64 v13, 0, 1, vcc_lo
	v_cmp_ne_u32_e32 vcc_lo, 0, v7
	s_delay_alu instid0(VALU_DEP_2) | instskip(NEXT) | instid1(VALU_DEP_1)
	v_or_b32_e32 v13, v13, v16
	v_dual_mov_b32 v16, 0x7e00 :: v_dual_add_nc_u32 v9, v9, v13
	s_delay_alu instid0(VALU_DEP_1) | instskip(SKIP_1) | instid1(VALU_DEP_3)
	v_cndmask_b32_e32 v7, 0x7c00, v16, vcc_lo
	v_cmp_gt_i32_e32 vcc_lo, 31, v11
	v_cndmask_b32_e32 v9, 0x7c00, v9, vcc_lo
	v_cmp_eq_u32_e32 vcc_lo, 0x40f, v11
	s_delay_alu instid0(VALU_DEP_2) | instskip(NEXT) | instid1(VALU_DEP_1)
	v_dual_cndmask_b32 v7, v9, v7, vcc_lo :: v_dual_lshrrev_b32 v9, 16, v17
	v_and_or_b32 v16, 0x8000, v9, v7
	s_branch .LBB159_3289
.LBB159_3285:
	s_mov_b32 s16, -1
                                        ; implicit-def: $vgpr16
	s_branch .LBB159_3307
.LBB159_3286:
	s_mov_b32 s16, -1
                                        ; implicit-def: $vgpr16
	s_branch .LBB159_3295
.LBB159_3287:
	s_mov_b32 s16, -1
                                        ; implicit-def: $vgpr16
	s_branch .LBB159_3292
.LBB159_3288:
	s_mov_b32 s16, -1
                                        ; implicit-def: $vgpr16
.LBB159_3289:
	s_delay_alu instid0(SALU_CYCLE_1)
	s_and_not1_b32 vcc_lo, exec_lo, s16
	s_cbranch_vccnz .LBB159_3291
; %bb.3290:
	global_load_b32 v7, v[14:15], off
	s_wait_loadcnt 0x0
	s_wait_xcnt 0x1
	v_cvt_f16_f32_e32 v16, v7
.LBB159_3291:
	s_mov_b32 s16, 0
.LBB159_3292:
	s_delay_alu instid0(SALU_CYCLE_1)
	s_and_not1_b32 vcc_lo, exec_lo, s16
	s_cbranch_vccnz .LBB159_3294
; %bb.3293:
	global_load_b32 v16, v[14:15], off
.LBB159_3294:
	s_mov_b32 s16, 0
.LBB159_3295:
	s_delay_alu instid0(SALU_CYCLE_1)
	s_and_not1_b32 vcc_lo, exec_lo, s16
	s_cbranch_vccnz .LBB159_3306
; %bb.3296:
	s_cmp_lt_i32 s15, 6
	s_cbranch_scc1 .LBB159_3299
; %bb.3297:
	s_cmp_gt_i32 s15, 6
	s_cbranch_scc0 .LBB159_3300
; %bb.3298:
	s_wait_loadcnt 0x0
	global_load_b64 v[16:17], v[14:15], off
	s_mov_b32 s16, 0
	s_wait_loadcnt 0x0
	v_and_or_b32 v7, 0x1ff, v17, v16
	v_lshrrev_b32_e32 v9, 8, v17
	v_bfe_u32 v11, v17, 20, 11
	s_delay_alu instid0(VALU_DEP_3) | instskip(NEXT) | instid1(VALU_DEP_2)
	v_cmp_ne_u32_e32 vcc_lo, 0, v7
	v_sub_nc_u32_e32 v13, 0x3f1, v11
	v_add_nc_u32_e32 v11, 0xfffffc10, v11
	v_cndmask_b32_e64 v7, 0, 1, vcc_lo
	s_delay_alu instid0(VALU_DEP_1) | instskip(NEXT) | instid1(VALU_DEP_4)
	v_and_or_b32 v7, 0xffe, v9, v7
	v_med3_i32 v9, v13, 0, 13
	s_delay_alu instid0(VALU_DEP_2) | instskip(NEXT) | instid1(VALU_DEP_1)
	v_or_b32_e32 v13, 0x1000, v7
	v_lshrrev_b32_e32 v16, v9, v13
	s_delay_alu instid0(VALU_DEP_1) | instskip(NEXT) | instid1(VALU_DEP_1)
	v_lshlrev_b32_e32 v9, v9, v16
	v_cmp_ne_u32_e32 vcc_lo, v9, v13
	v_lshl_or_b32 v13, v11, 12, v7
	v_cndmask_b32_e64 v9, 0, 1, vcc_lo
	v_cmp_gt_i32_e32 vcc_lo, 1, v11
	s_delay_alu instid0(VALU_DEP_2) | instskip(NEXT) | instid1(VALU_DEP_1)
	v_or_b32_e32 v9, v16, v9
	v_cndmask_b32_e32 v9, v13, v9, vcc_lo
	s_delay_alu instid0(VALU_DEP_1) | instskip(NEXT) | instid1(VALU_DEP_1)
	v_dual_lshrrev_b32 v9, 2, v9 :: v_dual_bitop2_b32 v13, 7, v9 bitop3:0x40
	v_cmp_lt_i32_e32 vcc_lo, 5, v13
	v_cndmask_b32_e64 v16, 0, 1, vcc_lo
	v_cmp_eq_u32_e32 vcc_lo, 3, v13
	v_cndmask_b32_e64 v13, 0, 1, vcc_lo
	v_cmp_ne_u32_e32 vcc_lo, 0, v7
	s_delay_alu instid0(VALU_DEP_2) | instskip(NEXT) | instid1(VALU_DEP_1)
	v_or_b32_e32 v13, v13, v16
	v_dual_mov_b32 v16, 0x7e00 :: v_dual_add_nc_u32 v9, v9, v13
	s_delay_alu instid0(VALU_DEP_1) | instskip(SKIP_1) | instid1(VALU_DEP_3)
	v_cndmask_b32_e32 v7, 0x7c00, v16, vcc_lo
	v_cmp_gt_i32_e32 vcc_lo, 31, v11
	v_cndmask_b32_e32 v9, 0x7c00, v9, vcc_lo
	v_cmp_eq_u32_e32 vcc_lo, 0x40f, v11
	s_delay_alu instid0(VALU_DEP_2) | instskip(NEXT) | instid1(VALU_DEP_1)
	v_dual_cndmask_b32 v7, v9, v7, vcc_lo :: v_dual_lshrrev_b32 v9, 16, v17
	v_and_or_b32 v16, 0x8000, v9, v7
	s_branch .LBB159_3301
.LBB159_3299:
	s_mov_b32 s16, -1
                                        ; implicit-def: $vgpr16
	s_branch .LBB159_3304
.LBB159_3300:
	s_mov_b32 s16, -1
                                        ; implicit-def: $vgpr16
.LBB159_3301:
	s_delay_alu instid0(SALU_CYCLE_1)
	s_and_not1_b32 vcc_lo, exec_lo, s16
	s_cbranch_vccnz .LBB159_3303
; %bb.3302:
	global_load_b32 v7, v[14:15], off
	s_wait_loadcnt 0x0
	s_wait_xcnt 0x1
	v_cvt_f16_f32_e32 v16, v7
.LBB159_3303:
	s_mov_b32 s16, 0
.LBB159_3304:
	s_delay_alu instid0(SALU_CYCLE_1)
	s_and_not1_b32 vcc_lo, exec_lo, s16
	s_cbranch_vccnz .LBB159_3306
; %bb.3305:
	s_wait_loadcnt 0x0
	global_load_u16 v16, v[14:15], off
.LBB159_3306:
	s_mov_b32 s16, 0
.LBB159_3307:
	s_delay_alu instid0(SALU_CYCLE_1)
	s_and_not1_b32 vcc_lo, exec_lo, s16
	s_cbranch_vccnz .LBB159_3327
; %bb.3308:
	s_cmp_lt_i32 s15, 2
	s_cbranch_scc1 .LBB159_3312
; %bb.3309:
	s_cmp_lt_i32 s15, 3
	s_cbranch_scc1 .LBB159_3313
; %bb.3310:
	s_cmp_gt_i32 s15, 3
	s_cbranch_scc0 .LBB159_3314
; %bb.3311:
	s_wait_loadcnt 0x0
	global_load_b64 v[16:17], v[14:15], off
	s_mov_b32 s16, 0
	s_wait_loadcnt 0x0
	v_xor_b32_e32 v7, v16, v17
	v_cls_i32_e32 v9, v17
	s_delay_alu instid0(VALU_DEP_2) | instskip(NEXT) | instid1(VALU_DEP_1)
	v_ashrrev_i32_e32 v7, 31, v7
	v_add_nc_u32_e32 v7, 32, v7
	s_delay_alu instid0(VALU_DEP_1) | instskip(NEXT) | instid1(VALU_DEP_1)
	v_add_min_u32_e64 v7, v9, -1, v7
	v_lshlrev_b64_e32 v[16:17], v7, v[16:17]
	v_sub_nc_u32_e32 v7, 32, v7
	s_delay_alu instid0(VALU_DEP_2) | instskip(NEXT) | instid1(VALU_DEP_1)
	v_min_u32_e32 v9, 1, v16
	v_or_b32_e32 v9, v17, v9
	s_delay_alu instid0(VALU_DEP_1) | instskip(NEXT) | instid1(VALU_DEP_1)
	v_cvt_f32_i32_e32 v9, v9
	v_ldexp_f32 v7, v9, v7
	s_delay_alu instid0(VALU_DEP_1)
	v_cvt_f16_f32_e32 v16, v7
	s_branch .LBB159_3315
.LBB159_3312:
	s_mov_b32 s16, -1
                                        ; implicit-def: $vgpr16
	s_branch .LBB159_3321
.LBB159_3313:
	s_mov_b32 s16, -1
                                        ; implicit-def: $vgpr16
	s_branch .LBB159_3318
.LBB159_3314:
	s_mov_b32 s16, -1
                                        ; implicit-def: $vgpr16
.LBB159_3315:
	s_delay_alu instid0(SALU_CYCLE_1)
	s_and_not1_b32 vcc_lo, exec_lo, s16
	s_cbranch_vccnz .LBB159_3317
; %bb.3316:
	global_load_b32 v7, v[14:15], off
	s_wait_loadcnt 0x0
	v_cvt_f32_i32_e32 v7, v7
	s_wait_xcnt 0x1
	s_delay_alu instid0(VALU_DEP_1)
	v_cvt_f16_f32_e32 v16, v7
.LBB159_3317:
	s_mov_b32 s16, 0
.LBB159_3318:
	s_delay_alu instid0(SALU_CYCLE_1)
	s_and_not1_b32 vcc_lo, exec_lo, s16
	s_cbranch_vccnz .LBB159_3320
; %bb.3319:
	global_load_u16 v7, v[14:15], off
	s_wait_loadcnt 0x0
	s_wait_xcnt 0x1
	v_cvt_f16_i16_e32 v16, v7
.LBB159_3320:
	s_mov_b32 s16, 0
.LBB159_3321:
	s_delay_alu instid0(SALU_CYCLE_1)
	s_and_not1_b32 vcc_lo, exec_lo, s16
	s_cbranch_vccnz .LBB159_3327
; %bb.3322:
	s_cmp_gt_i32 s15, 0
	s_mov_b32 s16, 0
	s_cbranch_scc0 .LBB159_3324
; %bb.3323:
	global_load_i8 v7, v[14:15], off
	s_wait_loadcnt 0x0
	s_wait_xcnt 0x1
	v_cvt_f16_i16_e32 v16, v7
	s_branch .LBB159_3325
.LBB159_3324:
	s_mov_b32 s16, -1
                                        ; implicit-def: $vgpr16
.LBB159_3325:
	s_delay_alu instid0(SALU_CYCLE_1)
	s_and_not1_b32 vcc_lo, exec_lo, s16
	s_cbranch_vccnz .LBB159_3327
; %bb.3326:
	global_load_u8 v7, v[14:15], off
	s_wait_loadcnt 0x0
	s_wait_xcnt 0x1
	v_cvt_f16_u16_e32 v16, v7
.LBB159_3327:
	s_mov_b32 s18, -1
.LBB159_3328:
	s_delay_alu instid0(SALU_CYCLE_1)
	s_and_not1_b32 vcc_lo, exec_lo, s18
	s_cbranch_vccnz .LBB159_4155
; %bb.3329:
	v_mov_b32_e32 v13, 0
	s_cmp_lt_i32 s13, 11
	s_delay_alu instid0(VALU_DEP_1)
	v_add_nc_u64_e32 v[12:13], s[6:7], v[12:13]
	s_cbranch_scc1 .LBB159_3336
; %bb.3330:
	s_cmp_gt_i32 s13, 25
	s_mov_b32 s7, 0
	s_cbranch_scc0 .LBB159_3337
; %bb.3331:
	s_cmp_gt_i32 s13, 28
	s_cbranch_scc0 .LBB159_3338
; %bb.3332:
	s_cmp_gt_i32 s13, 43
	;; [unrolled: 3-line block ×3, first 2 shown]
	s_cbranch_scc0 .LBB159_3341
; %bb.3334:
	s_cmp_eq_u32 s13, 46
	s_mov_b32 s17, 0
	s_cbranch_scc0 .LBB159_3342
; %bb.3335:
	global_load_b32 v7, v[12:13], off
	s_mov_b32 s6, 0
	s_mov_b32 s16, -1
	s_wait_loadcnt 0x0
	v_lshlrev_b32_e32 v7, 16, v7
	s_wait_xcnt 0x1
	s_delay_alu instid0(VALU_DEP_1)
	v_cvt_f16_f32_e32 v14, v7
	s_branch .LBB159_3344
.LBB159_3336:
	s_mov_b32 s6, -1
	s_mov_b32 s16, 0
                                        ; implicit-def: $vgpr14
	s_branch .LBB159_3410
.LBB159_3337:
	s_mov_b32 s17, -1
	s_mov_b32 s16, 0
	s_mov_b32 s6, 0
                                        ; implicit-def: $vgpr14
	s_branch .LBB159_3373
.LBB159_3338:
	s_mov_b32 s17, -1
	s_mov_b32 s16, 0
	s_mov_b32 s6, 0
                                        ; implicit-def: $vgpr14
	s_branch .LBB159_3354
.LBB159_3339:
	s_mov_b32 s17, -1
	s_mov_b32 s16, 0
	s_mov_b32 s6, 0
                                        ; implicit-def: $vgpr14
	s_branch .LBB159_3349
.LBB159_3340:
	s_or_b32 s12, s12, exec_lo
	s_trap 2
	s_cbranch_execz .LBB159_3277
	s_branch .LBB159_3278
.LBB159_3341:
	s_mov_b32 s17, -1
	s_mov_b32 s16, 0
	s_mov_b32 s6, 0
	s_branch .LBB159_3343
.LBB159_3342:
	s_mov_b32 s6, -1
	s_mov_b32 s16, 0
.LBB159_3343:
                                        ; implicit-def: $vgpr14
.LBB159_3344:
	s_and_b32 vcc_lo, exec_lo, s17
	s_cbranch_vccz .LBB159_3348
; %bb.3345:
	s_cmp_eq_u32 s13, 44
	s_cbranch_scc0 .LBB159_3347
; %bb.3346:
	global_load_u8 v7, v[12:13], off
	s_mov_b32 s6, 0
	s_mov_b32 s16, -1
	s_wait_loadcnt 0x0
	v_lshlrev_b32_e32 v9, 23, v7
	v_cmp_ne_u32_e32 vcc_lo, 0xff, v7
	s_delay_alu instid0(VALU_DEP_2) | instskip(NEXT) | instid1(VALU_DEP_1)
	v_cvt_f16_f32_e32 v9, v9
	v_cndmask_b32_e32 v9, 0x7e00, v9, vcc_lo
	v_cmp_ne_u32_e32 vcc_lo, 0, v7
	s_wait_xcnt 0x1
	s_delay_alu instid0(VALU_DEP_2)
	v_cndmask_b32_e32 v14, 0, v9, vcc_lo
	s_branch .LBB159_3348
.LBB159_3347:
	s_mov_b32 s6, -1
                                        ; implicit-def: $vgpr14
.LBB159_3348:
	s_mov_b32 s17, 0
.LBB159_3349:
	s_delay_alu instid0(SALU_CYCLE_1)
	s_and_b32 vcc_lo, exec_lo, s17
	s_cbranch_vccz .LBB159_3353
; %bb.3350:
	s_cmp_eq_u32 s13, 29
	s_cbranch_scc0 .LBB159_3352
; %bb.3351:
	global_load_b64 v[14:15], v[12:13], off
	s_mov_b32 s6, 0
	s_mov_b32 s16, -1
	s_mov_b32 s17, 0
	s_wait_loadcnt 0x0
	v_clz_i32_u32_e32 v7, v15
	s_delay_alu instid0(VALU_DEP_1) | instskip(NEXT) | instid1(VALU_DEP_1)
	v_min_u32_e32 v7, 32, v7
	v_lshlrev_b64_e32 v[14:15], v7, v[14:15]
	v_sub_nc_u32_e32 v7, 32, v7
	s_delay_alu instid0(VALU_DEP_2) | instskip(NEXT) | instid1(VALU_DEP_1)
	v_min_u32_e32 v9, 1, v14
	v_or_b32_e32 v9, v15, v9
	s_delay_alu instid0(VALU_DEP_1) | instskip(NEXT) | instid1(VALU_DEP_1)
	v_cvt_f32_u32_e32 v9, v9
	v_ldexp_f32 v7, v9, v7
	s_delay_alu instid0(VALU_DEP_1)
	v_cvt_f16_f32_e32 v14, v7
	s_branch .LBB159_3354
.LBB159_3352:
	s_mov_b32 s6, -1
                                        ; implicit-def: $vgpr14
.LBB159_3353:
	s_mov_b32 s17, 0
.LBB159_3354:
	s_delay_alu instid0(SALU_CYCLE_1)
	s_and_b32 vcc_lo, exec_lo, s17
	s_cbranch_vccz .LBB159_3372
; %bb.3355:
	s_cmp_lt_i32 s13, 27
	s_cbranch_scc1 .LBB159_3358
; %bb.3356:
	s_cmp_gt_i32 s13, 27
	s_cbranch_scc0 .LBB159_3359
; %bb.3357:
	global_load_b32 v7, v[12:13], off
	s_mov_b32 s16, 0
	s_wait_loadcnt 0x0
	v_cvt_f32_u32_e32 v7, v7
	s_wait_xcnt 0x1
	s_delay_alu instid0(VALU_DEP_1)
	v_cvt_f16_f32_e32 v14, v7
	s_branch .LBB159_3360
.LBB159_3358:
	s_mov_b32 s16, -1
                                        ; implicit-def: $vgpr14
	s_branch .LBB159_3363
.LBB159_3359:
	s_mov_b32 s16, -1
                                        ; implicit-def: $vgpr14
.LBB159_3360:
	s_delay_alu instid0(SALU_CYCLE_1)
	s_and_not1_b32 vcc_lo, exec_lo, s16
	s_cbranch_vccnz .LBB159_3362
; %bb.3361:
	global_load_u16 v7, v[12:13], off
	s_wait_loadcnt 0x0
	s_wait_xcnt 0x1
	v_cvt_f16_u16_e32 v14, v7
.LBB159_3362:
	s_mov_b32 s16, 0
.LBB159_3363:
	s_delay_alu instid0(SALU_CYCLE_1)
	s_and_not1_b32 vcc_lo, exec_lo, s16
	s_cbranch_vccnz .LBB159_3371
; %bb.3364:
	global_load_u8 v7, v[12:13], off
	s_mov_b32 s16, 0
	s_mov_b32 s17, exec_lo
	s_wait_loadcnt 0x0
	v_cmpx_lt_i16_e32 0x7f, v7
	s_xor_b32 s17, exec_lo, s17
	s_cbranch_execz .LBB159_3385
; %bb.3365:
	s_mov_b32 s16, -1
	s_mov_b32 s18, exec_lo
	v_cmpx_eq_u16_e32 0x80, v7
; %bb.3366:
	s_xor_b32 s16, exec_lo, -1
; %bb.3367:
	s_or_b32 exec_lo, exec_lo, s18
	s_delay_alu instid0(SALU_CYCLE_1)
	s_and_b32 s16, s16, exec_lo
	s_or_saveexec_b32 s17, s17
	v_mov_b32_e32 v14, 0x7e00
	s_xor_b32 exec_lo, exec_lo, s17
	s_cbranch_execnz .LBB159_3386
.LBB159_3368:
	s_or_b32 exec_lo, exec_lo, s17
	s_and_saveexec_b32 s17, s16
	s_cbranch_execz .LBB159_3370
.LBB159_3369:
	v_and_b32_e32 v9, 0xffff, v7
	s_delay_alu instid0(VALU_DEP_1) | instskip(SKIP_1) | instid1(VALU_DEP_2)
	v_and_b32_e32 v11, 7, v9
	v_bfe_u32 v17, v9, 3, 4
	v_clz_i32_u32_e32 v14, v11
	s_delay_alu instid0(VALU_DEP_2) | instskip(NEXT) | instid1(VALU_DEP_2)
	v_cmp_eq_u32_e32 vcc_lo, 0, v17
	v_min_u32_e32 v14, 32, v14
	s_delay_alu instid0(VALU_DEP_1) | instskip(NEXT) | instid1(VALU_DEP_1)
	v_subrev_nc_u32_e32 v15, 28, v14
	v_dual_lshlrev_b32 v9, v15, v9 :: v_dual_sub_nc_u32 v14, 29, v14
	s_delay_alu instid0(VALU_DEP_1) | instskip(NEXT) | instid1(VALU_DEP_1)
	v_dual_lshlrev_b32 v7, 24, v7 :: v_dual_bitop2_b32 v9, 7, v9 bitop3:0x40
	v_dual_cndmask_b32 v14, v17, v14 :: v_dual_cndmask_b32 v9, v11, v9
	s_delay_alu instid0(VALU_DEP_2) | instskip(NEXT) | instid1(VALU_DEP_2)
	v_and_b32_e32 v7, 0x80000000, v7
	v_lshl_add_u32 v11, v14, 23, 0x3b800000
	s_delay_alu instid0(VALU_DEP_3) | instskip(NEXT) | instid1(VALU_DEP_1)
	v_lshlrev_b32_e32 v9, 20, v9
	v_or3_b32 v7, v7, v11, v9
	s_delay_alu instid0(VALU_DEP_1)
	v_cvt_f16_f32_e32 v14, v7
.LBB159_3370:
	s_or_b32 exec_lo, exec_lo, s17
.LBB159_3371:
	s_mov_b32 s16, -1
.LBB159_3372:
	s_mov_b32 s17, 0
.LBB159_3373:
	s_delay_alu instid0(SALU_CYCLE_1)
	s_and_b32 vcc_lo, exec_lo, s17
	s_cbranch_vccz .LBB159_3406
; %bb.3374:
	s_cmp_gt_i32 s13, 22
	s_cbranch_scc0 .LBB159_3384
; %bb.3375:
	s_cmp_lt_i32 s13, 24
	s_cbranch_scc1 .LBB159_3387
; %bb.3376:
	s_cmp_gt_i32 s13, 24
	s_cbranch_scc0 .LBB159_3388
; %bb.3377:
	global_load_u8 v7, v[12:13], off
	s_mov_b32 s16, exec_lo
	s_wait_loadcnt 0x0
	v_cmpx_lt_i16_e32 0x7f, v7
	s_xor_b32 s16, exec_lo, s16
	s_cbranch_execz .LBB159_3400
; %bb.3378:
	s_mov_b32 s7, -1
	s_mov_b32 s17, exec_lo
	v_cmpx_eq_u16_e32 0x80, v7
; %bb.3379:
	s_xor_b32 s7, exec_lo, -1
; %bb.3380:
	s_or_b32 exec_lo, exec_lo, s17
	s_delay_alu instid0(SALU_CYCLE_1)
	s_and_b32 s7, s7, exec_lo
	s_or_saveexec_b32 s16, s16
	v_mov_b32_e32 v14, 0x7e00
	s_xor_b32 exec_lo, exec_lo, s16
	s_cbranch_execnz .LBB159_3401
.LBB159_3381:
	s_or_b32 exec_lo, exec_lo, s16
	s_and_saveexec_b32 s16, s7
	s_cbranch_execz .LBB159_3383
.LBB159_3382:
	v_and_b32_e32 v9, 0xffff, v7
	s_delay_alu instid0(VALU_DEP_1) | instskip(SKIP_1) | instid1(VALU_DEP_2)
	v_and_b32_e32 v11, 3, v9
	v_bfe_u32 v17, v9, 2, 5
	v_clz_i32_u32_e32 v14, v11
	s_delay_alu instid0(VALU_DEP_2) | instskip(NEXT) | instid1(VALU_DEP_2)
	v_cmp_eq_u32_e32 vcc_lo, 0, v17
	v_min_u32_e32 v14, 32, v14
	s_delay_alu instid0(VALU_DEP_1) | instskip(NEXT) | instid1(VALU_DEP_1)
	v_subrev_nc_u32_e32 v15, 29, v14
	v_dual_lshlrev_b32 v9, v15, v9 :: v_dual_sub_nc_u32 v14, 30, v14
	s_delay_alu instid0(VALU_DEP_1) | instskip(NEXT) | instid1(VALU_DEP_1)
	v_dual_lshlrev_b32 v7, 24, v7 :: v_dual_bitop2_b32 v9, 3, v9 bitop3:0x40
	v_dual_cndmask_b32 v14, v17, v14 :: v_dual_cndmask_b32 v9, v11, v9
	s_delay_alu instid0(VALU_DEP_2) | instskip(NEXT) | instid1(VALU_DEP_2)
	v_and_b32_e32 v7, 0x80000000, v7
	v_lshl_add_u32 v11, v14, 23, 0x37800000
	s_delay_alu instid0(VALU_DEP_3) | instskip(NEXT) | instid1(VALU_DEP_1)
	v_lshlrev_b32_e32 v9, 21, v9
	v_or3_b32 v7, v7, v11, v9
	s_delay_alu instid0(VALU_DEP_1)
	v_cvt_f16_f32_e32 v14, v7
.LBB159_3383:
	s_or_b32 exec_lo, exec_lo, s16
	s_mov_b32 s7, 0
	s_branch .LBB159_3389
.LBB159_3384:
	s_mov_b32 s7, -1
                                        ; implicit-def: $vgpr14
	s_branch .LBB159_3395
.LBB159_3385:
	s_or_saveexec_b32 s17, s17
	v_mov_b32_e32 v14, 0x7e00
	s_xor_b32 exec_lo, exec_lo, s17
	s_cbranch_execz .LBB159_3368
.LBB159_3386:
	v_cmp_ne_u16_e32 vcc_lo, 0, v7
	v_mov_b32_e32 v14, v7
	s_and_not1_b32 s16, s16, exec_lo
	s_and_b32 s18, vcc_lo, exec_lo
	s_delay_alu instid0(SALU_CYCLE_1)
	s_or_b32 s16, s16, s18
	s_or_b32 exec_lo, exec_lo, s17
	s_and_saveexec_b32 s17, s16
	s_cbranch_execnz .LBB159_3369
	s_branch .LBB159_3370
.LBB159_3387:
	s_mov_b32 s7, -1
                                        ; implicit-def: $vgpr14
	s_branch .LBB159_3392
.LBB159_3388:
	s_mov_b32 s7, -1
                                        ; implicit-def: $vgpr14
.LBB159_3389:
	s_delay_alu instid0(SALU_CYCLE_1)
	s_and_b32 vcc_lo, exec_lo, s7
	s_cbranch_vccz .LBB159_3391
; %bb.3390:
	global_load_u8 v7, v[12:13], off
	s_wait_loadcnt 0x0
	v_lshlrev_b32_e32 v7, 24, v7
	s_delay_alu instid0(VALU_DEP_1) | instskip(NEXT) | instid1(VALU_DEP_1)
	v_and_b32_e32 v9, 0x7f000000, v7
	v_clz_i32_u32_e32 v11, v9
	s_wait_xcnt 0x1
	v_add_nc_u32_e32 v15, 0x1000000, v9
	v_cmp_ne_u32_e32 vcc_lo, 0, v9
	s_delay_alu instid0(VALU_DEP_3) | instskip(NEXT) | instid1(VALU_DEP_1)
	v_min_u32_e32 v11, 32, v11
	v_sub_nc_u32_e64 v11, v11, 4 clamp
	s_delay_alu instid0(VALU_DEP_1) | instskip(NEXT) | instid1(VALU_DEP_1)
	v_dual_lshlrev_b32 v14, v11, v9 :: v_dual_lshlrev_b32 v11, 23, v11
	v_lshrrev_b32_e32 v14, 4, v14
	s_delay_alu instid0(VALU_DEP_1) | instskip(SKIP_1) | instid1(VALU_DEP_2)
	v_sub_nc_u32_e32 v11, v14, v11
	v_ashrrev_i32_e32 v14, 8, v15
	v_add_nc_u32_e32 v11, 0x3c000000, v11
	s_delay_alu instid0(VALU_DEP_1) | instskip(NEXT) | instid1(VALU_DEP_1)
	v_and_or_b32 v11, 0x7f800000, v14, v11
	v_cndmask_b32_e32 v9, 0, v11, vcc_lo
	s_delay_alu instid0(VALU_DEP_1) | instskip(NEXT) | instid1(VALU_DEP_1)
	v_and_or_b32 v7, 0x80000000, v7, v9
	v_cvt_f16_f32_e32 v14, v7
.LBB159_3391:
	s_mov_b32 s7, 0
.LBB159_3392:
	s_delay_alu instid0(SALU_CYCLE_1)
	s_and_not1_b32 vcc_lo, exec_lo, s7
	s_cbranch_vccnz .LBB159_3394
; %bb.3393:
	global_load_u8 v7, v[12:13], off
	s_wait_loadcnt 0x0
	v_lshlrev_b32_e32 v9, 25, v7
	v_lshlrev_b16 v7, 8, v7
	s_wait_xcnt 0x1
	s_delay_alu instid0(VALU_DEP_1) | instskip(SKIP_1) | instid1(VALU_DEP_2)
	v_and_or_b32 v14, 0x7f00, v7, 0.5
	v_bfe_i32 v7, v7, 0, 16
	v_dual_add_f32 v14, -0.5, v14 :: v_dual_lshrrev_b32 v11, 4, v9
	v_cmp_gt_u32_e32 vcc_lo, 0x8000000, v9
	s_delay_alu instid0(VALU_DEP_2) | instskip(NEXT) | instid1(VALU_DEP_1)
	v_or_b32_e32 v11, 0x70000000, v11
	v_mul_f32_e32 v11, 0x7800000, v11
	s_delay_alu instid0(VALU_DEP_1) | instskip(NEXT) | instid1(VALU_DEP_1)
	v_cndmask_b32_e32 v9, v11, v14, vcc_lo
	v_and_or_b32 v7, 0x80000000, v7, v9
	s_delay_alu instid0(VALU_DEP_1)
	v_cvt_f16_f32_e32 v14, v7
.LBB159_3394:
	s_mov_b32 s7, 0
	s_mov_b32 s16, -1
.LBB159_3395:
	s_and_not1_b32 vcc_lo, exec_lo, s7
	s_mov_b32 s7, 0
	s_cbranch_vccnz .LBB159_3406
; %bb.3396:
	s_cmp_gt_i32 s13, 14
	s_cbranch_scc0 .LBB159_3399
; %bb.3397:
	s_cmp_eq_u32 s13, 15
	s_cbranch_scc0 .LBB159_3402
; %bb.3398:
	global_load_u16 v7, v[12:13], off
	s_mov_b32 s6, 0
	s_mov_b32 s16, -1
	s_wait_loadcnt 0x0
	v_lshlrev_b32_e32 v7, 16, v7
	s_wait_xcnt 0x1
	s_delay_alu instid0(VALU_DEP_1)
	v_cvt_f16_f32_e32 v14, v7
	s_branch .LBB159_3404
.LBB159_3399:
	s_mov_b32 s7, -1
	s_branch .LBB159_3403
.LBB159_3400:
	s_or_saveexec_b32 s16, s16
	v_mov_b32_e32 v14, 0x7e00
	s_xor_b32 exec_lo, exec_lo, s16
	s_cbranch_execz .LBB159_3381
.LBB159_3401:
	v_cmp_ne_u16_e32 vcc_lo, 0, v7
	v_mov_b32_e32 v14, v7
	s_and_not1_b32 s7, s7, exec_lo
	s_and_b32 s17, vcc_lo, exec_lo
	s_delay_alu instid0(SALU_CYCLE_1)
	s_or_b32 s7, s7, s17
	s_or_b32 exec_lo, exec_lo, s16
	s_and_saveexec_b32 s16, s7
	s_cbranch_execnz .LBB159_3382
	s_branch .LBB159_3383
.LBB159_3402:
	s_mov_b32 s6, -1
.LBB159_3403:
                                        ; implicit-def: $vgpr14
.LBB159_3404:
	s_and_b32 vcc_lo, exec_lo, s7
	s_mov_b32 s7, 0
	s_cbranch_vccz .LBB159_3406
; %bb.3405:
	s_cmp_lg_u32 s13, 11
	s_mov_b32 s7, -1
	s_cselect_b32 s6, -1, 0
.LBB159_3406:
	s_delay_alu instid0(SALU_CYCLE_1)
	s_and_b32 vcc_lo, exec_lo, s6
	s_cbranch_vccnz .LBB159_3471
; %bb.3407:
	s_and_not1_b32 vcc_lo, exec_lo, s7
	s_cbranch_vccnz .LBB159_3409
.LBB159_3408:
	global_load_u8 v7, v[12:13], off
	s_mov_b32 s16, -1
	s_wait_loadcnt 0x0
	v_cmp_ne_u16_e32 vcc_lo, 0, v7
	s_wait_xcnt 0x1
	v_cndmask_b32_e64 v14, 0, 0x3c00, vcc_lo
.LBB159_3409:
	s_mov_b32 s6, 0
.LBB159_3410:
	s_delay_alu instid0(SALU_CYCLE_1)
	s_and_b32 vcc_lo, exec_lo, s6
	s_cbranch_vccz .LBB159_3459
; %bb.3411:
	s_cmp_lt_i32 s13, 5
	s_cbranch_scc1 .LBB159_3416
; %bb.3412:
	s_cmp_lt_i32 s13, 8
	s_cbranch_scc1 .LBB159_3417
	;; [unrolled: 3-line block ×3, first 2 shown]
; %bb.3414:
	s_cmp_gt_i32 s13, 9
	s_cbranch_scc0 .LBB159_3419
; %bb.3415:
	global_load_b64 v[14:15], v[12:13], off
	s_mov_b32 s6, 0
	s_wait_loadcnt 0x0
	v_and_or_b32 v7, 0x1ff, v15, v14
	v_lshrrev_b32_e32 v9, 8, v15
	v_bfe_u32 v11, v15, 20, 11
	s_delay_alu instid0(VALU_DEP_3) | instskip(NEXT) | instid1(VALU_DEP_2)
	v_cmp_ne_u32_e32 vcc_lo, 0, v7
	v_sub_nc_u32_e32 v14, 0x3f1, v11
	v_add_nc_u32_e32 v11, 0xfffffc10, v11
	v_cndmask_b32_e64 v7, 0, 1, vcc_lo
	s_delay_alu instid0(VALU_DEP_1) | instskip(NEXT) | instid1(VALU_DEP_4)
	v_and_or_b32 v7, 0xffe, v9, v7
	v_med3_i32 v9, v14, 0, 13
	s_delay_alu instid0(VALU_DEP_2) | instskip(NEXT) | instid1(VALU_DEP_1)
	v_or_b32_e32 v14, 0x1000, v7
	v_lshrrev_b32_e32 v17, v9, v14
	s_delay_alu instid0(VALU_DEP_1) | instskip(NEXT) | instid1(VALU_DEP_1)
	v_lshlrev_b32_e32 v9, v9, v17
	v_cmp_ne_u32_e32 vcc_lo, v9, v14
	v_lshl_or_b32 v14, v11, 12, v7
	v_cndmask_b32_e64 v9, 0, 1, vcc_lo
	v_cmp_gt_i32_e32 vcc_lo, 1, v11
	s_delay_alu instid0(VALU_DEP_2) | instskip(NEXT) | instid1(VALU_DEP_1)
	v_or_b32_e32 v9, v17, v9
	v_cndmask_b32_e32 v9, v14, v9, vcc_lo
	s_delay_alu instid0(VALU_DEP_1) | instskip(NEXT) | instid1(VALU_DEP_1)
	v_dual_lshrrev_b32 v9, 2, v9 :: v_dual_bitop2_b32 v14, 7, v9 bitop3:0x40
	v_cmp_lt_i32_e32 vcc_lo, 5, v14
	v_cndmask_b32_e64 v17, 0, 1, vcc_lo
	v_cmp_eq_u32_e32 vcc_lo, 3, v14
	v_cndmask_b32_e64 v14, 0, 1, vcc_lo
	v_cmp_ne_u32_e32 vcc_lo, 0, v7
	s_delay_alu instid0(VALU_DEP_2) | instskip(SKIP_1) | instid1(VALU_DEP_2)
	v_or_b32_e32 v14, v14, v17
	v_mov_b32_e32 v17, 0x7e00
	v_add_nc_u32_e32 v9, v9, v14
	s_delay_alu instid0(VALU_DEP_2) | instskip(SKIP_1) | instid1(VALU_DEP_3)
	v_cndmask_b32_e32 v7, 0x7c00, v17, vcc_lo
	v_cmp_gt_i32_e32 vcc_lo, 31, v11
	v_cndmask_b32_e32 v9, 0x7c00, v9, vcc_lo
	v_cmp_eq_u32_e32 vcc_lo, 0x40f, v11
	s_delay_alu instid0(VALU_DEP_2) | instskip(SKIP_1) | instid1(VALU_DEP_1)
	v_cndmask_b32_e32 v7, v9, v7, vcc_lo
	v_lshrrev_b32_e32 v9, 16, v15
	v_and_or_b32 v14, 0x8000, v9, v7
	s_branch .LBB159_3420
.LBB159_3416:
	s_mov_b32 s6, -1
                                        ; implicit-def: $vgpr14
	s_branch .LBB159_3438
.LBB159_3417:
	s_mov_b32 s6, -1
                                        ; implicit-def: $vgpr14
	s_branch .LBB159_3426
.LBB159_3418:
	s_mov_b32 s6, -1
                                        ; implicit-def: $vgpr14
	s_branch .LBB159_3423
.LBB159_3419:
	s_mov_b32 s6, -1
                                        ; implicit-def: $vgpr14
.LBB159_3420:
	s_delay_alu instid0(SALU_CYCLE_1)
	s_and_not1_b32 vcc_lo, exec_lo, s6
	s_cbranch_vccnz .LBB159_3422
; %bb.3421:
	global_load_b32 v7, v[12:13], off
	s_wait_loadcnt 0x0
	s_wait_xcnt 0x1
	v_cvt_f16_f32_e32 v14, v7
.LBB159_3422:
	s_mov_b32 s6, 0
.LBB159_3423:
	s_delay_alu instid0(SALU_CYCLE_1)
	s_and_not1_b32 vcc_lo, exec_lo, s6
	s_cbranch_vccnz .LBB159_3425
; %bb.3424:
	global_load_b32 v14, v[12:13], off
.LBB159_3425:
	s_mov_b32 s6, 0
.LBB159_3426:
	s_delay_alu instid0(SALU_CYCLE_1)
	s_and_not1_b32 vcc_lo, exec_lo, s6
	s_cbranch_vccnz .LBB159_3437
; %bb.3427:
	s_cmp_lt_i32 s13, 6
	s_cbranch_scc1 .LBB159_3430
; %bb.3428:
	s_cmp_gt_i32 s13, 6
	s_cbranch_scc0 .LBB159_3431
; %bb.3429:
	s_wait_loadcnt 0x0
	global_load_b64 v[14:15], v[12:13], off
	s_mov_b32 s6, 0
	s_wait_loadcnt 0x0
	v_and_or_b32 v7, 0x1ff, v15, v14
	v_lshrrev_b32_e32 v9, 8, v15
	v_bfe_u32 v11, v15, 20, 11
	s_delay_alu instid0(VALU_DEP_3) | instskip(NEXT) | instid1(VALU_DEP_2)
	v_cmp_ne_u32_e32 vcc_lo, 0, v7
	v_sub_nc_u32_e32 v14, 0x3f1, v11
	v_add_nc_u32_e32 v11, 0xfffffc10, v11
	v_cndmask_b32_e64 v7, 0, 1, vcc_lo
	s_delay_alu instid0(VALU_DEP_1) | instskip(NEXT) | instid1(VALU_DEP_4)
	v_and_or_b32 v7, 0xffe, v9, v7
	v_med3_i32 v9, v14, 0, 13
	s_delay_alu instid0(VALU_DEP_2) | instskip(NEXT) | instid1(VALU_DEP_1)
	v_or_b32_e32 v14, 0x1000, v7
	v_lshrrev_b32_e32 v17, v9, v14
	s_delay_alu instid0(VALU_DEP_1) | instskip(NEXT) | instid1(VALU_DEP_1)
	v_lshlrev_b32_e32 v9, v9, v17
	v_cmp_ne_u32_e32 vcc_lo, v9, v14
	v_lshl_or_b32 v14, v11, 12, v7
	v_cndmask_b32_e64 v9, 0, 1, vcc_lo
	v_cmp_gt_i32_e32 vcc_lo, 1, v11
	s_delay_alu instid0(VALU_DEP_2) | instskip(NEXT) | instid1(VALU_DEP_1)
	v_or_b32_e32 v9, v17, v9
	v_cndmask_b32_e32 v9, v14, v9, vcc_lo
	s_delay_alu instid0(VALU_DEP_1) | instskip(NEXT) | instid1(VALU_DEP_1)
	v_dual_lshrrev_b32 v9, 2, v9 :: v_dual_bitop2_b32 v14, 7, v9 bitop3:0x40
	v_cmp_lt_i32_e32 vcc_lo, 5, v14
	v_cndmask_b32_e64 v17, 0, 1, vcc_lo
	v_cmp_eq_u32_e32 vcc_lo, 3, v14
	v_cndmask_b32_e64 v14, 0, 1, vcc_lo
	v_cmp_ne_u32_e32 vcc_lo, 0, v7
	s_delay_alu instid0(VALU_DEP_2) | instskip(SKIP_1) | instid1(VALU_DEP_2)
	v_or_b32_e32 v14, v14, v17
	v_mov_b32_e32 v17, 0x7e00
	v_add_nc_u32_e32 v9, v9, v14
	s_delay_alu instid0(VALU_DEP_2) | instskip(SKIP_1) | instid1(VALU_DEP_3)
	v_cndmask_b32_e32 v7, 0x7c00, v17, vcc_lo
	v_cmp_gt_i32_e32 vcc_lo, 31, v11
	v_cndmask_b32_e32 v9, 0x7c00, v9, vcc_lo
	v_cmp_eq_u32_e32 vcc_lo, 0x40f, v11
	s_delay_alu instid0(VALU_DEP_2) | instskip(SKIP_1) | instid1(VALU_DEP_1)
	v_cndmask_b32_e32 v7, v9, v7, vcc_lo
	v_lshrrev_b32_e32 v9, 16, v15
	v_and_or_b32 v14, 0x8000, v9, v7
	s_branch .LBB159_3432
.LBB159_3430:
	s_mov_b32 s6, -1
                                        ; implicit-def: $vgpr14
	s_branch .LBB159_3435
.LBB159_3431:
	s_mov_b32 s6, -1
                                        ; implicit-def: $vgpr14
.LBB159_3432:
	s_delay_alu instid0(SALU_CYCLE_1)
	s_and_not1_b32 vcc_lo, exec_lo, s6
	s_cbranch_vccnz .LBB159_3434
; %bb.3433:
	global_load_b32 v7, v[12:13], off
	s_wait_loadcnt 0x0
	s_wait_xcnt 0x1
	v_cvt_f16_f32_e32 v14, v7
.LBB159_3434:
	s_mov_b32 s6, 0
.LBB159_3435:
	s_delay_alu instid0(SALU_CYCLE_1)
	s_and_not1_b32 vcc_lo, exec_lo, s6
	s_cbranch_vccnz .LBB159_3437
; %bb.3436:
	s_wait_loadcnt 0x0
	global_load_u16 v14, v[12:13], off
.LBB159_3437:
	s_mov_b32 s6, 0
.LBB159_3438:
	s_delay_alu instid0(SALU_CYCLE_1)
	s_and_not1_b32 vcc_lo, exec_lo, s6
	s_cbranch_vccnz .LBB159_3458
; %bb.3439:
	s_cmp_lt_i32 s13, 2
	s_cbranch_scc1 .LBB159_3443
; %bb.3440:
	s_cmp_lt_i32 s13, 3
	s_cbranch_scc1 .LBB159_3444
; %bb.3441:
	s_cmp_gt_i32 s13, 3
	s_cbranch_scc0 .LBB159_3445
; %bb.3442:
	s_wait_loadcnt 0x0
	global_load_b64 v[14:15], v[12:13], off
	s_mov_b32 s6, 0
	s_wait_loadcnt 0x0
	v_xor_b32_e32 v7, v14, v15
	v_cls_i32_e32 v9, v15
	s_delay_alu instid0(VALU_DEP_2) | instskip(NEXT) | instid1(VALU_DEP_1)
	v_ashrrev_i32_e32 v7, 31, v7
	v_add_nc_u32_e32 v7, 32, v7
	s_delay_alu instid0(VALU_DEP_1) | instskip(NEXT) | instid1(VALU_DEP_1)
	v_add_min_u32_e64 v7, v9, -1, v7
	v_lshlrev_b64_e32 v[14:15], v7, v[14:15]
	v_sub_nc_u32_e32 v7, 32, v7
	s_delay_alu instid0(VALU_DEP_2) | instskip(NEXT) | instid1(VALU_DEP_1)
	v_min_u32_e32 v9, 1, v14
	v_or_b32_e32 v9, v15, v9
	s_delay_alu instid0(VALU_DEP_1) | instskip(NEXT) | instid1(VALU_DEP_1)
	v_cvt_f32_i32_e32 v9, v9
	v_ldexp_f32 v7, v9, v7
	s_delay_alu instid0(VALU_DEP_1)
	v_cvt_f16_f32_e32 v14, v7
	s_branch .LBB159_3446
.LBB159_3443:
	s_mov_b32 s6, -1
                                        ; implicit-def: $vgpr14
	s_branch .LBB159_3452
.LBB159_3444:
	s_mov_b32 s6, -1
                                        ; implicit-def: $vgpr14
	s_branch .LBB159_3449
.LBB159_3445:
	s_mov_b32 s6, -1
                                        ; implicit-def: $vgpr14
.LBB159_3446:
	s_delay_alu instid0(SALU_CYCLE_1)
	s_and_not1_b32 vcc_lo, exec_lo, s6
	s_cbranch_vccnz .LBB159_3448
; %bb.3447:
	global_load_b32 v7, v[12:13], off
	s_wait_loadcnt 0x0
	v_cvt_f32_i32_e32 v7, v7
	s_wait_xcnt 0x1
	s_delay_alu instid0(VALU_DEP_1)
	v_cvt_f16_f32_e32 v14, v7
.LBB159_3448:
	s_mov_b32 s6, 0
.LBB159_3449:
	s_delay_alu instid0(SALU_CYCLE_1)
	s_and_not1_b32 vcc_lo, exec_lo, s6
	s_cbranch_vccnz .LBB159_3451
; %bb.3450:
	global_load_u16 v7, v[12:13], off
	s_wait_loadcnt 0x0
	s_wait_xcnt 0x1
	v_cvt_f16_i16_e32 v14, v7
.LBB159_3451:
	s_mov_b32 s6, 0
.LBB159_3452:
	s_delay_alu instid0(SALU_CYCLE_1)
	s_and_not1_b32 vcc_lo, exec_lo, s6
	s_cbranch_vccnz .LBB159_3458
; %bb.3453:
	s_cmp_gt_i32 s13, 0
	s_mov_b32 s6, 0
	s_cbranch_scc0 .LBB159_3455
; %bb.3454:
	global_load_i8 v7, v[12:13], off
	s_wait_loadcnt 0x0
	s_wait_xcnt 0x1
	v_cvt_f16_i16_e32 v14, v7
	s_branch .LBB159_3456
.LBB159_3455:
	s_mov_b32 s6, -1
                                        ; implicit-def: $vgpr14
.LBB159_3456:
	s_delay_alu instid0(SALU_CYCLE_1)
	s_and_not1_b32 vcc_lo, exec_lo, s6
	s_cbranch_vccnz .LBB159_3458
; %bb.3457:
	global_load_u8 v7, v[12:13], off
	s_wait_loadcnt 0x0
	s_wait_xcnt 0x1
	v_cvt_f16_u16_e32 v14, v7
.LBB159_3458:
	s_mov_b32 s16, -1
.LBB159_3459:
	s_delay_alu instid0(SALU_CYCLE_1)
	s_and_not1_b32 vcc_lo, exec_lo, s16
	s_cbranch_vccnz .LBB159_4155
; %bb.3460:
	v_mov_b32_e32 v11, 0
	s_cmp_lt_i32 s14, 11
	s_delay_alu instid0(VALU_DEP_1)
	v_add_nc_u64_e32 v[10:11], s[0:1], v[10:11]
	s_cbranch_scc1 .LBB159_3467
; %bb.3461:
	s_cmp_gt_i32 s14, 25
	s_mov_b32 s1, 0
	s_cbranch_scc0 .LBB159_3468
; %bb.3462:
	s_cmp_gt_i32 s14, 28
	s_cbranch_scc0 .LBB159_3469
; %bb.3463:
	s_cmp_gt_i32 s14, 43
	;; [unrolled: 3-line block ×3, first 2 shown]
	s_cbranch_scc0 .LBB159_3472
; %bb.3465:
	s_cmp_eq_u32 s14, 46
	s_mov_b32 s7, 0
	s_cbranch_scc0 .LBB159_3473
; %bb.3466:
	global_load_b32 v7, v[10:11], off
	s_mov_b32 s0, 0
	s_mov_b32 s6, -1
	s_wait_loadcnt 0x0
	v_lshlrev_b32_e32 v7, 16, v7
	s_wait_xcnt 0x1
	s_delay_alu instid0(VALU_DEP_1)
	v_cvt_f16_f32_e32 v12, v7
	s_branch .LBB159_3475
.LBB159_3467:
	s_mov_b32 s0, -1
	s_mov_b32 s6, 0
                                        ; implicit-def: $vgpr12
	s_branch .LBB159_3541
.LBB159_3468:
	s_mov_b32 s7, -1
	s_mov_b32 s6, 0
	s_mov_b32 s0, 0
                                        ; implicit-def: $vgpr12
	s_branch .LBB159_3504
.LBB159_3469:
	s_mov_b32 s7, -1
	s_mov_b32 s6, 0
	s_mov_b32 s0, 0
                                        ; implicit-def: $vgpr12
	s_branch .LBB159_3485
.LBB159_3470:
	s_mov_b32 s7, -1
	s_mov_b32 s6, 0
	s_mov_b32 s0, 0
                                        ; implicit-def: $vgpr12
	s_branch .LBB159_3480
.LBB159_3471:
	s_or_b32 s12, s12, exec_lo
	s_trap 2
	s_cbranch_execz .LBB159_3408
	s_branch .LBB159_3409
.LBB159_3472:
	s_mov_b32 s7, -1
	s_mov_b32 s6, 0
	s_mov_b32 s0, 0
	s_branch .LBB159_3474
.LBB159_3473:
	s_mov_b32 s0, -1
	s_mov_b32 s6, 0
.LBB159_3474:
                                        ; implicit-def: $vgpr12
.LBB159_3475:
	s_and_b32 vcc_lo, exec_lo, s7
	s_cbranch_vccz .LBB159_3479
; %bb.3476:
	s_cmp_eq_u32 s14, 44
	s_cbranch_scc0 .LBB159_3478
; %bb.3477:
	global_load_u8 v7, v[10:11], off
	s_mov_b32 s0, 0
	s_mov_b32 s6, -1
	s_wait_loadcnt 0x0
	v_lshlrev_b32_e32 v9, 23, v7
	v_cmp_ne_u32_e32 vcc_lo, 0xff, v7
	s_delay_alu instid0(VALU_DEP_2) | instskip(NEXT) | instid1(VALU_DEP_1)
	v_cvt_f16_f32_e32 v9, v9
	v_cndmask_b32_e32 v9, 0x7e00, v9, vcc_lo
	v_cmp_ne_u32_e32 vcc_lo, 0, v7
	s_wait_xcnt 0x1
	s_delay_alu instid0(VALU_DEP_2)
	v_cndmask_b32_e32 v12, 0, v9, vcc_lo
	s_branch .LBB159_3479
.LBB159_3478:
	s_mov_b32 s0, -1
                                        ; implicit-def: $vgpr12
.LBB159_3479:
	s_mov_b32 s7, 0
.LBB159_3480:
	s_delay_alu instid0(SALU_CYCLE_1)
	s_and_b32 vcc_lo, exec_lo, s7
	s_cbranch_vccz .LBB159_3484
; %bb.3481:
	s_cmp_eq_u32 s14, 29
	s_cbranch_scc0 .LBB159_3483
; %bb.3482:
	global_load_b64 v[12:13], v[10:11], off
	s_mov_b32 s0, 0
	s_mov_b32 s6, -1
	s_mov_b32 s7, 0
	s_wait_loadcnt 0x0
	v_clz_i32_u32_e32 v7, v13
	s_delay_alu instid0(VALU_DEP_1) | instskip(NEXT) | instid1(VALU_DEP_1)
	v_min_u32_e32 v7, 32, v7
	v_lshlrev_b64_e32 v[12:13], v7, v[12:13]
	v_sub_nc_u32_e32 v7, 32, v7
	s_delay_alu instid0(VALU_DEP_2) | instskip(NEXT) | instid1(VALU_DEP_1)
	v_min_u32_e32 v9, 1, v12
	v_or_b32_e32 v9, v13, v9
	s_delay_alu instid0(VALU_DEP_1) | instskip(NEXT) | instid1(VALU_DEP_1)
	v_cvt_f32_u32_e32 v9, v9
	v_ldexp_f32 v7, v9, v7
	s_delay_alu instid0(VALU_DEP_1)
	v_cvt_f16_f32_e32 v12, v7
	s_branch .LBB159_3485
.LBB159_3483:
	s_mov_b32 s0, -1
                                        ; implicit-def: $vgpr12
.LBB159_3484:
	s_mov_b32 s7, 0
.LBB159_3485:
	s_delay_alu instid0(SALU_CYCLE_1)
	s_and_b32 vcc_lo, exec_lo, s7
	s_cbranch_vccz .LBB159_3503
; %bb.3486:
	s_cmp_lt_i32 s14, 27
	s_cbranch_scc1 .LBB159_3489
; %bb.3487:
	s_cmp_gt_i32 s14, 27
	s_cbranch_scc0 .LBB159_3490
; %bb.3488:
	global_load_b32 v7, v[10:11], off
	s_mov_b32 s6, 0
	s_wait_loadcnt 0x0
	v_cvt_f32_u32_e32 v7, v7
	s_wait_xcnt 0x1
	s_delay_alu instid0(VALU_DEP_1)
	v_cvt_f16_f32_e32 v12, v7
	s_branch .LBB159_3491
.LBB159_3489:
	s_mov_b32 s6, -1
                                        ; implicit-def: $vgpr12
	s_branch .LBB159_3494
.LBB159_3490:
	s_mov_b32 s6, -1
                                        ; implicit-def: $vgpr12
.LBB159_3491:
	s_delay_alu instid0(SALU_CYCLE_1)
	s_and_not1_b32 vcc_lo, exec_lo, s6
	s_cbranch_vccnz .LBB159_3493
; %bb.3492:
	global_load_u16 v7, v[10:11], off
	s_wait_loadcnt 0x0
	s_wait_xcnt 0x1
	v_cvt_f16_u16_e32 v12, v7
.LBB159_3493:
	s_mov_b32 s6, 0
.LBB159_3494:
	s_delay_alu instid0(SALU_CYCLE_1)
	s_and_not1_b32 vcc_lo, exec_lo, s6
	s_cbranch_vccnz .LBB159_3502
; %bb.3495:
	global_load_u8 v7, v[10:11], off
	s_mov_b32 s6, 0
	s_mov_b32 s7, exec_lo
	s_wait_loadcnt 0x0
	v_cmpx_lt_i16_e32 0x7f, v7
	s_xor_b32 s7, exec_lo, s7
	s_cbranch_execz .LBB159_3516
; %bb.3496:
	s_mov_b32 s6, -1
	s_mov_b32 s13, exec_lo
	v_cmpx_eq_u16_e32 0x80, v7
; %bb.3497:
	s_xor_b32 s6, exec_lo, -1
; %bb.3498:
	s_or_b32 exec_lo, exec_lo, s13
	s_delay_alu instid0(SALU_CYCLE_1)
	s_and_b32 s6, s6, exec_lo
	s_or_saveexec_b32 s7, s7
	v_mov_b32_e32 v12, 0x7e00
	s_xor_b32 exec_lo, exec_lo, s7
	s_cbranch_execnz .LBB159_3517
.LBB159_3499:
	s_or_b32 exec_lo, exec_lo, s7
	s_and_saveexec_b32 s7, s6
	s_cbranch_execz .LBB159_3501
.LBB159_3500:
	v_and_b32_e32 v9, 0xffff, v7
	s_delay_alu instid0(VALU_DEP_1) | instskip(SKIP_1) | instid1(VALU_DEP_2)
	v_dual_lshlrev_b32 v7, 24, v7 :: v_dual_bitop2_b32 v12, 7, v9 bitop3:0x40
	v_bfe_u32 v17, v9, 3, 4
	v_and_b32_e32 v7, 0x80000000, v7
	s_delay_alu instid0(VALU_DEP_3) | instskip(NEXT) | instid1(VALU_DEP_3)
	v_clz_i32_u32_e32 v13, v12
	v_cmp_eq_u32_e32 vcc_lo, 0, v17
	s_delay_alu instid0(VALU_DEP_2) | instskip(NEXT) | instid1(VALU_DEP_1)
	v_min_u32_e32 v13, 32, v13
	v_subrev_nc_u32_e32 v15, 28, v13
	v_sub_nc_u32_e32 v13, 29, v13
	s_delay_alu instid0(VALU_DEP_2) | instskip(NEXT) | instid1(VALU_DEP_2)
	v_lshlrev_b32_e32 v9, v15, v9
	v_cndmask_b32_e32 v13, v17, v13, vcc_lo
	s_delay_alu instid0(VALU_DEP_2) | instskip(NEXT) | instid1(VALU_DEP_1)
	v_and_b32_e32 v9, 7, v9
	v_cndmask_b32_e32 v9, v12, v9, vcc_lo
	s_delay_alu instid0(VALU_DEP_3) | instskip(NEXT) | instid1(VALU_DEP_2)
	v_lshl_add_u32 v12, v13, 23, 0x3b800000
	v_lshlrev_b32_e32 v9, 20, v9
	s_delay_alu instid0(VALU_DEP_1) | instskip(NEXT) | instid1(VALU_DEP_1)
	v_or3_b32 v7, v7, v12, v9
	v_cvt_f16_f32_e32 v12, v7
.LBB159_3501:
	s_or_b32 exec_lo, exec_lo, s7
.LBB159_3502:
	s_mov_b32 s6, -1
.LBB159_3503:
	s_mov_b32 s7, 0
.LBB159_3504:
	s_delay_alu instid0(SALU_CYCLE_1)
	s_and_b32 vcc_lo, exec_lo, s7
	s_cbranch_vccz .LBB159_3537
; %bb.3505:
	s_cmp_gt_i32 s14, 22
	s_cbranch_scc0 .LBB159_3515
; %bb.3506:
	s_cmp_lt_i32 s14, 24
	s_cbranch_scc1 .LBB159_3518
; %bb.3507:
	s_cmp_gt_i32 s14, 24
	s_cbranch_scc0 .LBB159_3519
; %bb.3508:
	global_load_u8 v7, v[10:11], off
	s_mov_b32 s6, exec_lo
	s_wait_loadcnt 0x0
	v_cmpx_lt_i16_e32 0x7f, v7
	s_xor_b32 s6, exec_lo, s6
	s_cbranch_execz .LBB159_3531
; %bb.3509:
	s_mov_b32 s1, -1
	s_mov_b32 s7, exec_lo
	v_cmpx_eq_u16_e32 0x80, v7
; %bb.3510:
	s_xor_b32 s1, exec_lo, -1
; %bb.3511:
	s_or_b32 exec_lo, exec_lo, s7
	s_delay_alu instid0(SALU_CYCLE_1)
	s_and_b32 s1, s1, exec_lo
	s_or_saveexec_b32 s6, s6
	v_mov_b32_e32 v12, 0x7e00
	s_xor_b32 exec_lo, exec_lo, s6
	s_cbranch_execnz .LBB159_3532
.LBB159_3512:
	s_or_b32 exec_lo, exec_lo, s6
	s_and_saveexec_b32 s6, s1
	s_cbranch_execz .LBB159_3514
.LBB159_3513:
	v_and_b32_e32 v9, 0xffff, v7
	s_delay_alu instid0(VALU_DEP_1) | instskip(SKIP_1) | instid1(VALU_DEP_2)
	v_dual_lshlrev_b32 v7, 24, v7 :: v_dual_bitop2_b32 v12, 3, v9 bitop3:0x40
	v_bfe_u32 v17, v9, 2, 5
	v_and_b32_e32 v7, 0x80000000, v7
	s_delay_alu instid0(VALU_DEP_3) | instskip(NEXT) | instid1(VALU_DEP_3)
	v_clz_i32_u32_e32 v13, v12
	v_cmp_eq_u32_e32 vcc_lo, 0, v17
	s_delay_alu instid0(VALU_DEP_2) | instskip(NEXT) | instid1(VALU_DEP_1)
	v_min_u32_e32 v13, 32, v13
	v_subrev_nc_u32_e32 v15, 29, v13
	v_sub_nc_u32_e32 v13, 30, v13
	s_delay_alu instid0(VALU_DEP_2) | instskip(NEXT) | instid1(VALU_DEP_2)
	v_lshlrev_b32_e32 v9, v15, v9
	v_cndmask_b32_e32 v13, v17, v13, vcc_lo
	s_delay_alu instid0(VALU_DEP_2) | instskip(NEXT) | instid1(VALU_DEP_1)
	v_and_b32_e32 v9, 3, v9
	v_cndmask_b32_e32 v9, v12, v9, vcc_lo
	s_delay_alu instid0(VALU_DEP_3) | instskip(NEXT) | instid1(VALU_DEP_2)
	v_lshl_add_u32 v12, v13, 23, 0x37800000
	v_lshlrev_b32_e32 v9, 21, v9
	s_delay_alu instid0(VALU_DEP_1) | instskip(NEXT) | instid1(VALU_DEP_1)
	v_or3_b32 v7, v7, v12, v9
	v_cvt_f16_f32_e32 v12, v7
.LBB159_3514:
	s_or_b32 exec_lo, exec_lo, s6
	s_mov_b32 s1, 0
	s_branch .LBB159_3520
.LBB159_3515:
	s_mov_b32 s1, -1
                                        ; implicit-def: $vgpr12
	s_branch .LBB159_3526
.LBB159_3516:
	s_or_saveexec_b32 s7, s7
	v_mov_b32_e32 v12, 0x7e00
	s_xor_b32 exec_lo, exec_lo, s7
	s_cbranch_execz .LBB159_3499
.LBB159_3517:
	v_cmp_ne_u16_e32 vcc_lo, 0, v7
	v_mov_b32_e32 v12, v7
	s_and_not1_b32 s6, s6, exec_lo
	s_and_b32 s13, vcc_lo, exec_lo
	s_delay_alu instid0(SALU_CYCLE_1)
	s_or_b32 s6, s6, s13
	s_or_b32 exec_lo, exec_lo, s7
	s_and_saveexec_b32 s7, s6
	s_cbranch_execnz .LBB159_3500
	s_branch .LBB159_3501
.LBB159_3518:
	s_mov_b32 s1, -1
                                        ; implicit-def: $vgpr12
	s_branch .LBB159_3523
.LBB159_3519:
	s_mov_b32 s1, -1
                                        ; implicit-def: $vgpr12
.LBB159_3520:
	s_delay_alu instid0(SALU_CYCLE_1)
	s_and_b32 vcc_lo, exec_lo, s1
	s_cbranch_vccz .LBB159_3522
; %bb.3521:
	global_load_u8 v7, v[10:11], off
	s_wait_loadcnt 0x0
	v_lshlrev_b32_e32 v7, 24, v7
	s_delay_alu instid0(VALU_DEP_1) | instskip(SKIP_1) | instid1(VALU_DEP_1)
	v_and_b32_e32 v9, 0x7f000000, v7
	s_wait_xcnt 0x1
	v_clz_i32_u32_e32 v12, v9
	v_add_nc_u32_e32 v15, 0x1000000, v9
	v_cmp_ne_u32_e32 vcc_lo, 0, v9
	s_delay_alu instid0(VALU_DEP_3) | instskip(NEXT) | instid1(VALU_DEP_1)
	v_min_u32_e32 v12, 32, v12
	v_sub_nc_u32_e64 v12, v12, 4 clamp
	s_delay_alu instid0(VALU_DEP_1) | instskip(NEXT) | instid1(VALU_DEP_1)
	v_dual_lshlrev_b32 v13, v12, v9 :: v_dual_lshlrev_b32 v12, 23, v12
	v_lshrrev_b32_e32 v13, 4, v13
	s_delay_alu instid0(VALU_DEP_1) | instskip(NEXT) | instid1(VALU_DEP_1)
	v_dual_sub_nc_u32 v12, v13, v12 :: v_dual_ashrrev_i32 v13, 8, v15
	v_add_nc_u32_e32 v12, 0x3c000000, v12
	s_delay_alu instid0(VALU_DEP_1) | instskip(NEXT) | instid1(VALU_DEP_1)
	v_and_or_b32 v12, 0x7f800000, v13, v12
	v_cndmask_b32_e32 v9, 0, v12, vcc_lo
	s_delay_alu instid0(VALU_DEP_1) | instskip(NEXT) | instid1(VALU_DEP_1)
	v_and_or_b32 v7, 0x80000000, v7, v9
	v_cvt_f16_f32_e32 v12, v7
.LBB159_3522:
	s_mov_b32 s1, 0
.LBB159_3523:
	s_delay_alu instid0(SALU_CYCLE_1)
	s_and_not1_b32 vcc_lo, exec_lo, s1
	s_cbranch_vccnz .LBB159_3525
; %bb.3524:
	global_load_u8 v7, v[10:11], off
	s_wait_loadcnt 0x0
	v_lshlrev_b32_e32 v9, 25, v7
	v_lshlrev_b16 v7, 8, v7
	s_wait_xcnt 0x1
	s_delay_alu instid0(VALU_DEP_1) | instskip(SKIP_1) | instid1(VALU_DEP_2)
	v_and_or_b32 v13, 0x7f00, v7, 0.5
	v_bfe_i32 v7, v7, 0, 16
	v_add_f32_e32 v13, -0.5, v13
	v_lshrrev_b32_e32 v12, 4, v9
	v_cmp_gt_u32_e32 vcc_lo, 0x8000000, v9
	s_delay_alu instid0(VALU_DEP_2) | instskip(NEXT) | instid1(VALU_DEP_1)
	v_or_b32_e32 v12, 0x70000000, v12
	v_mul_f32_e32 v12, 0x7800000, v12
	s_delay_alu instid0(VALU_DEP_1) | instskip(NEXT) | instid1(VALU_DEP_1)
	v_cndmask_b32_e32 v9, v12, v13, vcc_lo
	v_and_or_b32 v7, 0x80000000, v7, v9
	s_delay_alu instid0(VALU_DEP_1)
	v_cvt_f16_f32_e32 v12, v7
.LBB159_3525:
	s_mov_b32 s1, 0
	s_mov_b32 s6, -1
.LBB159_3526:
	s_and_not1_b32 vcc_lo, exec_lo, s1
	s_mov_b32 s1, 0
	s_cbranch_vccnz .LBB159_3537
; %bb.3527:
	s_cmp_gt_i32 s14, 14
	s_cbranch_scc0 .LBB159_3530
; %bb.3528:
	s_cmp_eq_u32 s14, 15
	s_cbranch_scc0 .LBB159_3533
; %bb.3529:
	global_load_u16 v7, v[10:11], off
	s_mov_b32 s0, 0
	s_mov_b32 s6, -1
	s_wait_loadcnt 0x0
	v_lshlrev_b32_e32 v7, 16, v7
	s_wait_xcnt 0x1
	s_delay_alu instid0(VALU_DEP_1)
	v_cvt_f16_f32_e32 v12, v7
	s_branch .LBB159_3535
.LBB159_3530:
	s_mov_b32 s1, -1
	s_branch .LBB159_3534
.LBB159_3531:
	s_or_saveexec_b32 s6, s6
	v_mov_b32_e32 v12, 0x7e00
	s_xor_b32 exec_lo, exec_lo, s6
	s_cbranch_execz .LBB159_3512
.LBB159_3532:
	v_cmp_ne_u16_e32 vcc_lo, 0, v7
	v_mov_b32_e32 v12, v7
	s_and_not1_b32 s1, s1, exec_lo
	s_and_b32 s7, vcc_lo, exec_lo
	s_delay_alu instid0(SALU_CYCLE_1)
	s_or_b32 s1, s1, s7
	s_or_b32 exec_lo, exec_lo, s6
	s_and_saveexec_b32 s6, s1
	s_cbranch_execnz .LBB159_3513
	s_branch .LBB159_3514
.LBB159_3533:
	s_mov_b32 s0, -1
.LBB159_3534:
                                        ; implicit-def: $vgpr12
.LBB159_3535:
	s_and_b32 vcc_lo, exec_lo, s1
	s_mov_b32 s1, 0
	s_cbranch_vccz .LBB159_3537
; %bb.3536:
	s_cmp_lg_u32 s14, 11
	s_mov_b32 s1, -1
	s_cselect_b32 s0, -1, 0
.LBB159_3537:
	s_delay_alu instid0(SALU_CYCLE_1)
	s_and_b32 vcc_lo, exec_lo, s0
	s_cbranch_vccnz .LBB159_3602
; %bb.3538:
	s_and_not1_b32 vcc_lo, exec_lo, s1
	s_cbranch_vccnz .LBB159_3540
.LBB159_3539:
	global_load_u8 v7, v[10:11], off
	s_mov_b32 s6, -1
	s_wait_loadcnt 0x0
	v_cmp_ne_u16_e32 vcc_lo, 0, v7
	s_wait_xcnt 0x1
	v_cndmask_b32_e64 v12, 0, 0x3c00, vcc_lo
.LBB159_3540:
	s_mov_b32 s0, 0
.LBB159_3541:
	s_delay_alu instid0(SALU_CYCLE_1)
	s_and_b32 vcc_lo, exec_lo, s0
	s_cbranch_vccz .LBB159_3590
; %bb.3542:
	s_cmp_lt_i32 s14, 5
	s_cbranch_scc1 .LBB159_3547
; %bb.3543:
	s_cmp_lt_i32 s14, 8
	s_cbranch_scc1 .LBB159_3548
	;; [unrolled: 3-line block ×3, first 2 shown]
; %bb.3545:
	s_cmp_gt_i32 s14, 9
	s_cbranch_scc0 .LBB159_3550
; %bb.3546:
	global_load_b64 v[12:13], v[10:11], off
	s_mov_b32 s0, 0
	s_wait_loadcnt 0x0
	v_and_or_b32 v7, 0x1ff, v13, v12
	v_lshrrev_b32_e32 v9, 8, v13
	v_bfe_u32 v12, v13, 20, 11
	s_delay_alu instid0(VALU_DEP_3) | instskip(NEXT) | instid1(VALU_DEP_2)
	v_cmp_ne_u32_e32 vcc_lo, 0, v7
	v_sub_nc_u32_e32 v15, 0x3f1, v12
	v_add_nc_u32_e32 v12, 0xfffffc10, v12
	v_cndmask_b32_e64 v7, 0, 1, vcc_lo
	s_delay_alu instid0(VALU_DEP_1) | instskip(NEXT) | instid1(VALU_DEP_4)
	v_and_or_b32 v7, 0xffe, v9, v7
	v_med3_i32 v9, v15, 0, 13
	s_delay_alu instid0(VALU_DEP_2) | instskip(NEXT) | instid1(VALU_DEP_1)
	v_or_b32_e32 v15, 0x1000, v7
	v_lshrrev_b32_e32 v17, v9, v15
	s_delay_alu instid0(VALU_DEP_1) | instskip(NEXT) | instid1(VALU_DEP_1)
	v_lshlrev_b32_e32 v9, v9, v17
	v_cmp_ne_u32_e32 vcc_lo, v9, v15
	v_lshl_or_b32 v15, v12, 12, v7
	v_cndmask_b32_e64 v9, 0, 1, vcc_lo
	v_cmp_gt_i32_e32 vcc_lo, 1, v12
	s_delay_alu instid0(VALU_DEP_2) | instskip(NEXT) | instid1(VALU_DEP_1)
	v_or_b32_e32 v9, v17, v9
	v_cndmask_b32_e32 v9, v15, v9, vcc_lo
	s_delay_alu instid0(VALU_DEP_1) | instskip(NEXT) | instid1(VALU_DEP_1)
	v_dual_lshrrev_b32 v9, 2, v9 :: v_dual_bitop2_b32 v15, 7, v9 bitop3:0x40
	v_cmp_lt_i32_e32 vcc_lo, 5, v15
	v_cndmask_b32_e64 v17, 0, 1, vcc_lo
	v_cmp_eq_u32_e32 vcc_lo, 3, v15
	v_cndmask_b32_e64 v15, 0, 1, vcc_lo
	v_cmp_ne_u32_e32 vcc_lo, 0, v7
	s_delay_alu instid0(VALU_DEP_2) | instskip(SKIP_1) | instid1(VALU_DEP_2)
	v_or_b32_e32 v15, v15, v17
	v_mov_b32_e32 v17, 0x7e00
	v_add_nc_u32_e32 v9, v9, v15
	s_delay_alu instid0(VALU_DEP_2) | instskip(SKIP_1) | instid1(VALU_DEP_3)
	v_cndmask_b32_e32 v7, 0x7c00, v17, vcc_lo
	v_cmp_gt_i32_e32 vcc_lo, 31, v12
	v_cndmask_b32_e32 v9, 0x7c00, v9, vcc_lo
	v_cmp_eq_u32_e32 vcc_lo, 0x40f, v12
	s_delay_alu instid0(VALU_DEP_2) | instskip(NEXT) | instid1(VALU_DEP_1)
	v_dual_cndmask_b32 v7, v9, v7, vcc_lo :: v_dual_lshrrev_b32 v9, 16, v13
	v_and_or_b32 v12, 0x8000, v9, v7
	s_branch .LBB159_3551
.LBB159_3547:
	s_mov_b32 s0, -1
                                        ; implicit-def: $vgpr12
	s_branch .LBB159_3569
.LBB159_3548:
	s_mov_b32 s0, -1
                                        ; implicit-def: $vgpr12
	s_branch .LBB159_3557
.LBB159_3549:
	s_mov_b32 s0, -1
                                        ; implicit-def: $vgpr12
	s_branch .LBB159_3554
.LBB159_3550:
	s_mov_b32 s0, -1
                                        ; implicit-def: $vgpr12
.LBB159_3551:
	s_delay_alu instid0(SALU_CYCLE_1)
	s_and_not1_b32 vcc_lo, exec_lo, s0
	s_cbranch_vccnz .LBB159_3553
; %bb.3552:
	global_load_b32 v7, v[10:11], off
	s_wait_loadcnt 0x0
	s_wait_xcnt 0x1
	v_cvt_f16_f32_e32 v12, v7
.LBB159_3553:
	s_mov_b32 s0, 0
.LBB159_3554:
	s_delay_alu instid0(SALU_CYCLE_1)
	s_and_not1_b32 vcc_lo, exec_lo, s0
	s_cbranch_vccnz .LBB159_3556
; %bb.3555:
	global_load_b32 v12, v[10:11], off
.LBB159_3556:
	s_mov_b32 s0, 0
.LBB159_3557:
	s_delay_alu instid0(SALU_CYCLE_1)
	s_and_not1_b32 vcc_lo, exec_lo, s0
	s_cbranch_vccnz .LBB159_3568
; %bb.3558:
	s_cmp_lt_i32 s14, 6
	s_cbranch_scc1 .LBB159_3561
; %bb.3559:
	s_cmp_gt_i32 s14, 6
	s_cbranch_scc0 .LBB159_3562
; %bb.3560:
	s_wait_loadcnt 0x0
	global_load_b64 v[12:13], v[10:11], off
	s_mov_b32 s0, 0
	s_wait_loadcnt 0x0
	v_and_or_b32 v7, 0x1ff, v13, v12
	v_lshrrev_b32_e32 v9, 8, v13
	v_bfe_u32 v12, v13, 20, 11
	s_delay_alu instid0(VALU_DEP_3) | instskip(NEXT) | instid1(VALU_DEP_2)
	v_cmp_ne_u32_e32 vcc_lo, 0, v7
	v_sub_nc_u32_e32 v15, 0x3f1, v12
	v_add_nc_u32_e32 v12, 0xfffffc10, v12
	v_cndmask_b32_e64 v7, 0, 1, vcc_lo
	s_delay_alu instid0(VALU_DEP_1) | instskip(NEXT) | instid1(VALU_DEP_4)
	v_and_or_b32 v7, 0xffe, v9, v7
	v_med3_i32 v9, v15, 0, 13
	s_delay_alu instid0(VALU_DEP_2) | instskip(NEXT) | instid1(VALU_DEP_1)
	v_or_b32_e32 v15, 0x1000, v7
	v_lshrrev_b32_e32 v17, v9, v15
	s_delay_alu instid0(VALU_DEP_1) | instskip(NEXT) | instid1(VALU_DEP_1)
	v_lshlrev_b32_e32 v9, v9, v17
	v_cmp_ne_u32_e32 vcc_lo, v9, v15
	v_lshl_or_b32 v15, v12, 12, v7
	v_cndmask_b32_e64 v9, 0, 1, vcc_lo
	v_cmp_gt_i32_e32 vcc_lo, 1, v12
	s_delay_alu instid0(VALU_DEP_2) | instskip(NEXT) | instid1(VALU_DEP_1)
	v_or_b32_e32 v9, v17, v9
	v_cndmask_b32_e32 v9, v15, v9, vcc_lo
	s_delay_alu instid0(VALU_DEP_1) | instskip(NEXT) | instid1(VALU_DEP_1)
	v_dual_lshrrev_b32 v9, 2, v9 :: v_dual_bitop2_b32 v15, 7, v9 bitop3:0x40
	v_cmp_lt_i32_e32 vcc_lo, 5, v15
	v_cndmask_b32_e64 v17, 0, 1, vcc_lo
	v_cmp_eq_u32_e32 vcc_lo, 3, v15
	v_cndmask_b32_e64 v15, 0, 1, vcc_lo
	v_cmp_ne_u32_e32 vcc_lo, 0, v7
	s_delay_alu instid0(VALU_DEP_2) | instskip(SKIP_1) | instid1(VALU_DEP_2)
	v_or_b32_e32 v15, v15, v17
	v_mov_b32_e32 v17, 0x7e00
	v_add_nc_u32_e32 v9, v9, v15
	s_delay_alu instid0(VALU_DEP_2) | instskip(SKIP_1) | instid1(VALU_DEP_3)
	v_cndmask_b32_e32 v7, 0x7c00, v17, vcc_lo
	v_cmp_gt_i32_e32 vcc_lo, 31, v12
	v_cndmask_b32_e32 v9, 0x7c00, v9, vcc_lo
	v_cmp_eq_u32_e32 vcc_lo, 0x40f, v12
	s_delay_alu instid0(VALU_DEP_2) | instskip(NEXT) | instid1(VALU_DEP_1)
	v_dual_cndmask_b32 v7, v9, v7, vcc_lo :: v_dual_lshrrev_b32 v9, 16, v13
	v_and_or_b32 v12, 0x8000, v9, v7
	s_branch .LBB159_3563
.LBB159_3561:
	s_mov_b32 s0, -1
                                        ; implicit-def: $vgpr12
	s_branch .LBB159_3566
.LBB159_3562:
	s_mov_b32 s0, -1
                                        ; implicit-def: $vgpr12
.LBB159_3563:
	s_delay_alu instid0(SALU_CYCLE_1)
	s_and_not1_b32 vcc_lo, exec_lo, s0
	s_cbranch_vccnz .LBB159_3565
; %bb.3564:
	global_load_b32 v7, v[10:11], off
	s_wait_loadcnt 0x0
	s_wait_xcnt 0x1
	v_cvt_f16_f32_e32 v12, v7
.LBB159_3565:
	s_mov_b32 s0, 0
.LBB159_3566:
	s_delay_alu instid0(SALU_CYCLE_1)
	s_and_not1_b32 vcc_lo, exec_lo, s0
	s_cbranch_vccnz .LBB159_3568
; %bb.3567:
	s_wait_loadcnt 0x0
	global_load_u16 v12, v[10:11], off
.LBB159_3568:
	s_mov_b32 s0, 0
.LBB159_3569:
	s_delay_alu instid0(SALU_CYCLE_1)
	s_and_not1_b32 vcc_lo, exec_lo, s0
	s_cbranch_vccnz .LBB159_3589
; %bb.3570:
	s_cmp_lt_i32 s14, 2
	s_cbranch_scc1 .LBB159_3574
; %bb.3571:
	s_cmp_lt_i32 s14, 3
	s_cbranch_scc1 .LBB159_3575
; %bb.3572:
	s_cmp_gt_i32 s14, 3
	s_cbranch_scc0 .LBB159_3576
; %bb.3573:
	s_wait_loadcnt 0x0
	global_load_b64 v[12:13], v[10:11], off
	s_mov_b32 s0, 0
	s_wait_loadcnt 0x0
	v_xor_b32_e32 v7, v12, v13
	v_cls_i32_e32 v9, v13
	s_delay_alu instid0(VALU_DEP_2) | instskip(NEXT) | instid1(VALU_DEP_1)
	v_ashrrev_i32_e32 v7, 31, v7
	v_add_nc_u32_e32 v7, 32, v7
	s_delay_alu instid0(VALU_DEP_1) | instskip(NEXT) | instid1(VALU_DEP_1)
	v_add_min_u32_e64 v7, v9, -1, v7
	v_lshlrev_b64_e32 v[12:13], v7, v[12:13]
	v_sub_nc_u32_e32 v7, 32, v7
	s_delay_alu instid0(VALU_DEP_2) | instskip(NEXT) | instid1(VALU_DEP_1)
	v_min_u32_e32 v9, 1, v12
	v_or_b32_e32 v9, v13, v9
	s_delay_alu instid0(VALU_DEP_1) | instskip(NEXT) | instid1(VALU_DEP_1)
	v_cvt_f32_i32_e32 v9, v9
	v_ldexp_f32 v7, v9, v7
	s_delay_alu instid0(VALU_DEP_1)
	v_cvt_f16_f32_e32 v12, v7
	s_branch .LBB159_3577
.LBB159_3574:
	s_mov_b32 s0, -1
                                        ; implicit-def: $vgpr12
	s_branch .LBB159_3583
.LBB159_3575:
	s_mov_b32 s0, -1
                                        ; implicit-def: $vgpr12
	s_branch .LBB159_3580
.LBB159_3576:
	s_mov_b32 s0, -1
                                        ; implicit-def: $vgpr12
.LBB159_3577:
	s_delay_alu instid0(SALU_CYCLE_1)
	s_and_not1_b32 vcc_lo, exec_lo, s0
	s_cbranch_vccnz .LBB159_3579
; %bb.3578:
	global_load_b32 v7, v[10:11], off
	s_wait_loadcnt 0x0
	v_cvt_f32_i32_e32 v7, v7
	s_wait_xcnt 0x1
	s_delay_alu instid0(VALU_DEP_1)
	v_cvt_f16_f32_e32 v12, v7
.LBB159_3579:
	s_mov_b32 s0, 0
.LBB159_3580:
	s_delay_alu instid0(SALU_CYCLE_1)
	s_and_not1_b32 vcc_lo, exec_lo, s0
	s_cbranch_vccnz .LBB159_3582
; %bb.3581:
	global_load_u16 v7, v[10:11], off
	s_wait_loadcnt 0x0
	s_wait_xcnt 0x1
	v_cvt_f16_i16_e32 v12, v7
.LBB159_3582:
	s_mov_b32 s0, 0
.LBB159_3583:
	s_delay_alu instid0(SALU_CYCLE_1)
	s_and_not1_b32 vcc_lo, exec_lo, s0
	s_cbranch_vccnz .LBB159_3589
; %bb.3584:
	s_cmp_gt_i32 s14, 0
	s_mov_b32 s0, 0
	s_cbranch_scc0 .LBB159_3586
; %bb.3585:
	global_load_i8 v7, v[10:11], off
	s_wait_loadcnt 0x0
	s_wait_xcnt 0x1
	v_cvt_f16_i16_e32 v12, v7
	s_branch .LBB159_3587
.LBB159_3586:
	s_mov_b32 s0, -1
                                        ; implicit-def: $vgpr12
.LBB159_3587:
	s_delay_alu instid0(SALU_CYCLE_1)
	s_and_not1_b32 vcc_lo, exec_lo, s0
	s_cbranch_vccnz .LBB159_3589
; %bb.3588:
	global_load_u8 v7, v[10:11], off
	s_wait_loadcnt 0x0
	s_wait_xcnt 0x1
	v_cvt_f16_u16_e32 v12, v7
.LBB159_3589:
	s_mov_b32 s6, -1
.LBB159_3590:
	s_delay_alu instid0(SALU_CYCLE_1)
	s_and_not1_b32 vcc_lo, exec_lo, s6
	s_cbranch_vccnz .LBB159_4155
; %bb.3591:
	v_mov_b32_e32 v9, 0
	s_cmp_lt_i32 s15, 11
	s_delay_alu instid0(VALU_DEP_1)
	v_add_nc_u64_e32 v[8:9], s[8:9], v[8:9]
	s_cbranch_scc1 .LBB159_3598
; %bb.3592:
	s_cmp_gt_i32 s15, 25
	s_mov_b32 s1, 0
	s_cbranch_scc0 .LBB159_3599
; %bb.3593:
	s_cmp_gt_i32 s15, 28
	s_cbranch_scc0 .LBB159_3600
; %bb.3594:
	s_cmp_gt_i32 s15, 43
	;; [unrolled: 3-line block ×3, first 2 shown]
	s_cbranch_scc0 .LBB159_3603
; %bb.3596:
	s_cmp_eq_u32 s15, 46
	s_mov_b32 s7, 0
	s_cbranch_scc0 .LBB159_3604
; %bb.3597:
	global_load_b32 v7, v[8:9], off
	s_mov_b32 s0, 0
	s_mov_b32 s6, -1
	s_wait_loadcnt 0x0
	v_lshlrev_b32_e32 v7, 16, v7
	s_wait_xcnt 0x1
	s_delay_alu instid0(VALU_DEP_1)
	v_cvt_f16_f32_e32 v10, v7
	s_branch .LBB159_3606
.LBB159_3598:
	s_mov_b32 s0, -1
	s_mov_b32 s6, 0
                                        ; implicit-def: $vgpr10
	s_branch .LBB159_3672
.LBB159_3599:
	s_mov_b32 s7, -1
	s_mov_b32 s6, 0
	s_mov_b32 s0, 0
                                        ; implicit-def: $vgpr10
	s_branch .LBB159_3635
.LBB159_3600:
	s_mov_b32 s7, -1
	s_mov_b32 s6, 0
	s_mov_b32 s0, 0
                                        ; implicit-def: $vgpr10
	s_branch .LBB159_3616
.LBB159_3601:
	s_mov_b32 s7, -1
	s_mov_b32 s6, 0
	s_mov_b32 s0, 0
                                        ; implicit-def: $vgpr10
	s_branch .LBB159_3611
.LBB159_3602:
	s_or_b32 s12, s12, exec_lo
	s_trap 2
	s_cbranch_execz .LBB159_3539
	s_branch .LBB159_3540
.LBB159_3603:
	s_mov_b32 s7, -1
	s_mov_b32 s6, 0
	s_mov_b32 s0, 0
	s_branch .LBB159_3605
.LBB159_3604:
	s_mov_b32 s0, -1
	s_mov_b32 s6, 0
.LBB159_3605:
                                        ; implicit-def: $vgpr10
.LBB159_3606:
	s_and_b32 vcc_lo, exec_lo, s7
	s_cbranch_vccz .LBB159_3610
; %bb.3607:
	s_cmp_eq_u32 s15, 44
	s_cbranch_scc0 .LBB159_3609
; %bb.3608:
	global_load_u8 v7, v[8:9], off
	s_mov_b32 s0, 0
	s_mov_b32 s6, -1
	s_wait_loadcnt 0x0
	s_wait_xcnt 0x1
	v_lshlrev_b32_e32 v10, 23, v7
	v_cmp_ne_u32_e32 vcc_lo, 0xff, v7
	s_delay_alu instid0(VALU_DEP_2) | instskip(NEXT) | instid1(VALU_DEP_1)
	v_cvt_f16_f32_e32 v10, v10
	v_cndmask_b32_e32 v10, 0x7e00, v10, vcc_lo
	v_cmp_ne_u32_e32 vcc_lo, 0, v7
	s_delay_alu instid0(VALU_DEP_2)
	v_cndmask_b32_e32 v10, 0, v10, vcc_lo
	s_branch .LBB159_3610
.LBB159_3609:
	s_mov_b32 s0, -1
                                        ; implicit-def: $vgpr10
.LBB159_3610:
	s_mov_b32 s7, 0
.LBB159_3611:
	s_delay_alu instid0(SALU_CYCLE_1)
	s_and_b32 vcc_lo, exec_lo, s7
	s_cbranch_vccz .LBB159_3615
; %bb.3612:
	s_cmp_eq_u32 s15, 29
	s_cbranch_scc0 .LBB159_3614
; %bb.3613:
	global_load_b64 v[10:11], v[8:9], off
	s_mov_b32 s0, 0
	s_mov_b32 s6, -1
	s_mov_b32 s7, 0
	s_wait_loadcnt 0x0
	v_clz_i32_u32_e32 v7, v11
	s_delay_alu instid0(VALU_DEP_1) | instskip(NEXT) | instid1(VALU_DEP_1)
	v_min_u32_e32 v7, 32, v7
	v_lshlrev_b64_e32 v[10:11], v7, v[10:11]
	v_sub_nc_u32_e32 v7, 32, v7
	s_delay_alu instid0(VALU_DEP_2) | instskip(NEXT) | instid1(VALU_DEP_1)
	v_min_u32_e32 v10, 1, v10
	v_or_b32_e32 v10, v11, v10
	s_delay_alu instid0(VALU_DEP_1) | instskip(NEXT) | instid1(VALU_DEP_1)
	v_cvt_f32_u32_e32 v10, v10
	v_ldexp_f32 v7, v10, v7
	s_delay_alu instid0(VALU_DEP_1)
	v_cvt_f16_f32_e32 v10, v7
	s_branch .LBB159_3616
.LBB159_3614:
	s_mov_b32 s0, -1
                                        ; implicit-def: $vgpr10
.LBB159_3615:
	s_mov_b32 s7, 0
.LBB159_3616:
	s_delay_alu instid0(SALU_CYCLE_1)
	s_and_b32 vcc_lo, exec_lo, s7
	s_cbranch_vccz .LBB159_3634
; %bb.3617:
	s_cmp_lt_i32 s15, 27
	s_cbranch_scc1 .LBB159_3620
; %bb.3618:
	s_cmp_gt_i32 s15, 27
	s_cbranch_scc0 .LBB159_3621
; %bb.3619:
	global_load_b32 v7, v[8:9], off
	s_mov_b32 s6, 0
	s_wait_loadcnt 0x0
	v_cvt_f32_u32_e32 v7, v7
	s_wait_xcnt 0x1
	s_delay_alu instid0(VALU_DEP_1)
	v_cvt_f16_f32_e32 v10, v7
	s_branch .LBB159_3622
.LBB159_3620:
	s_mov_b32 s6, -1
                                        ; implicit-def: $vgpr10
	s_branch .LBB159_3625
.LBB159_3621:
	s_mov_b32 s6, -1
                                        ; implicit-def: $vgpr10
.LBB159_3622:
	s_delay_alu instid0(SALU_CYCLE_1)
	s_and_not1_b32 vcc_lo, exec_lo, s6
	s_cbranch_vccnz .LBB159_3624
; %bb.3623:
	global_load_u16 v7, v[8:9], off
	s_wait_loadcnt 0x0
	s_wait_xcnt 0x1
	v_cvt_f16_u16_e32 v10, v7
.LBB159_3624:
	s_mov_b32 s6, 0
.LBB159_3625:
	s_delay_alu instid0(SALU_CYCLE_1)
	s_and_not1_b32 vcc_lo, exec_lo, s6
	s_cbranch_vccnz .LBB159_3633
; %bb.3626:
	global_load_u8 v7, v[8:9], off
	s_mov_b32 s6, 0
	s_mov_b32 s7, exec_lo
	s_wait_loadcnt 0x0
	v_cmpx_lt_i16_e32 0x7f, v7
	s_xor_b32 s7, exec_lo, s7
	s_cbranch_execz .LBB159_3647
; %bb.3627:
	s_mov_b32 s6, -1
	s_mov_b32 s8, exec_lo
	v_cmpx_eq_u16_e32 0x80, v7
; %bb.3628:
	s_xor_b32 s6, exec_lo, -1
; %bb.3629:
	s_or_b32 exec_lo, exec_lo, s8
	s_delay_alu instid0(SALU_CYCLE_1)
	s_and_b32 s6, s6, exec_lo
	s_or_saveexec_b32 s7, s7
	v_mov_b32_e32 v10, 0x7e00
	s_xor_b32 exec_lo, exec_lo, s7
	s_cbranch_execnz .LBB159_3648
.LBB159_3630:
	s_or_b32 exec_lo, exec_lo, s7
	s_and_saveexec_b32 s7, s6
	s_cbranch_execz .LBB159_3632
.LBB159_3631:
	v_and_b32_e32 v10, 0xffff, v7
	s_delay_alu instid0(VALU_DEP_1) | instskip(SKIP_1) | instid1(VALU_DEP_2)
	v_and_b32_e32 v11, 7, v10
	v_bfe_u32 v17, v10, 3, 4
	v_clz_i32_u32_e32 v13, v11
	s_delay_alu instid0(VALU_DEP_2) | instskip(NEXT) | instid1(VALU_DEP_2)
	v_cmp_eq_u32_e32 vcc_lo, 0, v17
	v_min_u32_e32 v13, 32, v13
	s_delay_alu instid0(VALU_DEP_1) | instskip(NEXT) | instid1(VALU_DEP_1)
	v_subrev_nc_u32_e32 v15, 28, v13
	v_dual_lshlrev_b32 v10, v15, v10 :: v_dual_sub_nc_u32 v13, 29, v13
	s_delay_alu instid0(VALU_DEP_1) | instskip(NEXT) | instid1(VALU_DEP_1)
	v_dual_lshlrev_b32 v7, 24, v7 :: v_dual_bitop2_b32 v10, 7, v10 bitop3:0x40
	v_dual_cndmask_b32 v13, v17, v13 :: v_dual_cndmask_b32 v10, v11, v10
	s_delay_alu instid0(VALU_DEP_2) | instskip(NEXT) | instid1(VALU_DEP_2)
	v_and_b32_e32 v7, 0x80000000, v7
	v_lshl_add_u32 v11, v13, 23, 0x3b800000
	s_delay_alu instid0(VALU_DEP_3) | instskip(NEXT) | instid1(VALU_DEP_1)
	v_lshlrev_b32_e32 v10, 20, v10
	v_or3_b32 v7, v7, v11, v10
	s_delay_alu instid0(VALU_DEP_1)
	v_cvt_f16_f32_e32 v10, v7
.LBB159_3632:
	s_or_b32 exec_lo, exec_lo, s7
.LBB159_3633:
	s_mov_b32 s6, -1
.LBB159_3634:
	s_mov_b32 s7, 0
.LBB159_3635:
	s_delay_alu instid0(SALU_CYCLE_1)
	s_and_b32 vcc_lo, exec_lo, s7
	s_cbranch_vccz .LBB159_3668
; %bb.3636:
	s_cmp_gt_i32 s15, 22
	s_cbranch_scc0 .LBB159_3646
; %bb.3637:
	s_cmp_lt_i32 s15, 24
	s_cbranch_scc1 .LBB159_3649
; %bb.3638:
	s_cmp_gt_i32 s15, 24
	s_cbranch_scc0 .LBB159_3650
; %bb.3639:
	global_load_u8 v7, v[8:9], off
	s_mov_b32 s6, exec_lo
	s_wait_loadcnt 0x0
	v_cmpx_lt_i16_e32 0x7f, v7
	s_xor_b32 s6, exec_lo, s6
	s_cbranch_execz .LBB159_3662
; %bb.3640:
	s_mov_b32 s1, -1
	s_mov_b32 s7, exec_lo
	v_cmpx_eq_u16_e32 0x80, v7
; %bb.3641:
	s_xor_b32 s1, exec_lo, -1
; %bb.3642:
	s_or_b32 exec_lo, exec_lo, s7
	s_delay_alu instid0(SALU_CYCLE_1)
	s_and_b32 s1, s1, exec_lo
	s_or_saveexec_b32 s6, s6
	v_mov_b32_e32 v10, 0x7e00
	s_xor_b32 exec_lo, exec_lo, s6
	s_cbranch_execnz .LBB159_3663
.LBB159_3643:
	s_or_b32 exec_lo, exec_lo, s6
	s_and_saveexec_b32 s6, s1
	s_cbranch_execz .LBB159_3645
.LBB159_3644:
	v_and_b32_e32 v10, 0xffff, v7
	s_delay_alu instid0(VALU_DEP_1) | instskip(SKIP_1) | instid1(VALU_DEP_2)
	v_and_b32_e32 v11, 3, v10
	v_bfe_u32 v17, v10, 2, 5
	v_clz_i32_u32_e32 v13, v11
	s_delay_alu instid0(VALU_DEP_2) | instskip(NEXT) | instid1(VALU_DEP_2)
	v_cmp_eq_u32_e32 vcc_lo, 0, v17
	v_min_u32_e32 v13, 32, v13
	s_delay_alu instid0(VALU_DEP_1) | instskip(NEXT) | instid1(VALU_DEP_1)
	v_subrev_nc_u32_e32 v15, 29, v13
	v_dual_lshlrev_b32 v10, v15, v10 :: v_dual_sub_nc_u32 v13, 30, v13
	s_delay_alu instid0(VALU_DEP_1) | instskip(NEXT) | instid1(VALU_DEP_1)
	v_dual_lshlrev_b32 v7, 24, v7 :: v_dual_bitop2_b32 v10, 3, v10 bitop3:0x40
	v_dual_cndmask_b32 v13, v17, v13 :: v_dual_cndmask_b32 v10, v11, v10
	s_delay_alu instid0(VALU_DEP_2) | instskip(NEXT) | instid1(VALU_DEP_2)
	v_and_b32_e32 v7, 0x80000000, v7
	v_lshl_add_u32 v11, v13, 23, 0x37800000
	s_delay_alu instid0(VALU_DEP_3) | instskip(NEXT) | instid1(VALU_DEP_1)
	v_lshlrev_b32_e32 v10, 21, v10
	v_or3_b32 v7, v7, v11, v10
	s_delay_alu instid0(VALU_DEP_1)
	v_cvt_f16_f32_e32 v10, v7
.LBB159_3645:
	s_or_b32 exec_lo, exec_lo, s6
	s_mov_b32 s1, 0
	s_branch .LBB159_3651
.LBB159_3646:
	s_mov_b32 s1, -1
                                        ; implicit-def: $vgpr10
	s_branch .LBB159_3657
.LBB159_3647:
	s_or_saveexec_b32 s7, s7
	v_mov_b32_e32 v10, 0x7e00
	s_xor_b32 exec_lo, exec_lo, s7
	s_cbranch_execz .LBB159_3630
.LBB159_3648:
	v_cmp_ne_u16_e32 vcc_lo, 0, v7
	v_mov_b32_e32 v10, v7
	s_and_not1_b32 s6, s6, exec_lo
	s_and_b32 s8, vcc_lo, exec_lo
	s_delay_alu instid0(SALU_CYCLE_1)
	s_or_b32 s6, s6, s8
	s_or_b32 exec_lo, exec_lo, s7
	s_and_saveexec_b32 s7, s6
	s_cbranch_execnz .LBB159_3631
	s_branch .LBB159_3632
.LBB159_3649:
	s_mov_b32 s1, -1
                                        ; implicit-def: $vgpr10
	s_branch .LBB159_3654
.LBB159_3650:
	s_mov_b32 s1, -1
                                        ; implicit-def: $vgpr10
.LBB159_3651:
	s_delay_alu instid0(SALU_CYCLE_1)
	s_and_b32 vcc_lo, exec_lo, s1
	s_cbranch_vccz .LBB159_3653
; %bb.3652:
	global_load_u8 v7, v[8:9], off
	s_wait_loadcnt 0x0
	v_lshlrev_b32_e32 v7, 24, v7
	s_wait_xcnt 0x1
	s_delay_alu instid0(VALU_DEP_1) | instskip(NEXT) | instid1(VALU_DEP_1)
	v_and_b32_e32 v10, 0x7f000000, v7
	v_clz_i32_u32_e32 v11, v10
	v_cmp_ne_u32_e32 vcc_lo, 0, v10
	v_add_nc_u32_e32 v15, 0x1000000, v10
	s_delay_alu instid0(VALU_DEP_3) | instskip(NEXT) | instid1(VALU_DEP_1)
	v_min_u32_e32 v11, 32, v11
	v_sub_nc_u32_e64 v11, v11, 4 clamp
	s_delay_alu instid0(VALU_DEP_1) | instskip(NEXT) | instid1(VALU_DEP_1)
	v_dual_lshlrev_b32 v13, v11, v10 :: v_dual_lshlrev_b32 v11, 23, v11
	v_lshrrev_b32_e32 v13, 4, v13
	s_delay_alu instid0(VALU_DEP_1) | instskip(SKIP_1) | instid1(VALU_DEP_2)
	v_sub_nc_u32_e32 v11, v13, v11
	v_ashrrev_i32_e32 v13, 8, v15
	v_add_nc_u32_e32 v11, 0x3c000000, v11
	s_delay_alu instid0(VALU_DEP_1) | instskip(NEXT) | instid1(VALU_DEP_1)
	v_and_or_b32 v11, 0x7f800000, v13, v11
	v_cndmask_b32_e32 v10, 0, v11, vcc_lo
	s_delay_alu instid0(VALU_DEP_1) | instskip(NEXT) | instid1(VALU_DEP_1)
	v_and_or_b32 v7, 0x80000000, v7, v10
	v_cvt_f16_f32_e32 v10, v7
.LBB159_3653:
	s_mov_b32 s1, 0
.LBB159_3654:
	s_delay_alu instid0(SALU_CYCLE_1)
	s_and_not1_b32 vcc_lo, exec_lo, s1
	s_cbranch_vccnz .LBB159_3656
; %bb.3655:
	global_load_u8 v7, v[8:9], off
	s_wait_loadcnt 0x0
	s_wait_xcnt 0x1
	v_lshlrev_b32_e32 v10, 25, v7
	v_lshlrev_b16 v7, 8, v7
	s_delay_alu instid0(VALU_DEP_1) | instskip(SKIP_1) | instid1(VALU_DEP_2)
	v_and_or_b32 v13, 0x7f00, v7, 0.5
	v_bfe_i32 v7, v7, 0, 16
	v_dual_add_f32 v13, -0.5, v13 :: v_dual_lshrrev_b32 v11, 4, v10
	v_cmp_gt_u32_e32 vcc_lo, 0x8000000, v10
	s_delay_alu instid0(VALU_DEP_2) | instskip(NEXT) | instid1(VALU_DEP_1)
	v_or_b32_e32 v11, 0x70000000, v11
	v_mul_f32_e32 v11, 0x7800000, v11
	s_delay_alu instid0(VALU_DEP_1) | instskip(NEXT) | instid1(VALU_DEP_1)
	v_cndmask_b32_e32 v10, v11, v13, vcc_lo
	v_and_or_b32 v7, 0x80000000, v7, v10
	s_delay_alu instid0(VALU_DEP_1)
	v_cvt_f16_f32_e32 v10, v7
.LBB159_3656:
	s_mov_b32 s1, 0
	s_mov_b32 s6, -1
.LBB159_3657:
	s_and_not1_b32 vcc_lo, exec_lo, s1
	s_mov_b32 s1, 0
	s_cbranch_vccnz .LBB159_3668
; %bb.3658:
	s_cmp_gt_i32 s15, 14
	s_cbranch_scc0 .LBB159_3661
; %bb.3659:
	s_cmp_eq_u32 s15, 15
	s_cbranch_scc0 .LBB159_3664
; %bb.3660:
	global_load_u16 v7, v[8:9], off
	s_mov_b32 s0, 0
	s_mov_b32 s6, -1
	s_wait_loadcnt 0x0
	v_lshlrev_b32_e32 v7, 16, v7
	s_wait_xcnt 0x1
	s_delay_alu instid0(VALU_DEP_1)
	v_cvt_f16_f32_e32 v10, v7
	s_branch .LBB159_3666
.LBB159_3661:
	s_mov_b32 s1, -1
	s_branch .LBB159_3665
.LBB159_3662:
	s_or_saveexec_b32 s6, s6
	v_mov_b32_e32 v10, 0x7e00
	s_xor_b32 exec_lo, exec_lo, s6
	s_cbranch_execz .LBB159_3643
.LBB159_3663:
	v_cmp_ne_u16_e32 vcc_lo, 0, v7
	v_mov_b32_e32 v10, v7
	s_and_not1_b32 s1, s1, exec_lo
	s_and_b32 s7, vcc_lo, exec_lo
	s_delay_alu instid0(SALU_CYCLE_1)
	s_or_b32 s1, s1, s7
	s_or_b32 exec_lo, exec_lo, s6
	s_and_saveexec_b32 s6, s1
	s_cbranch_execnz .LBB159_3644
	s_branch .LBB159_3645
.LBB159_3664:
	s_mov_b32 s0, -1
.LBB159_3665:
                                        ; implicit-def: $vgpr10
.LBB159_3666:
	s_and_b32 vcc_lo, exec_lo, s1
	s_mov_b32 s1, 0
	s_cbranch_vccz .LBB159_3668
; %bb.3667:
	s_cmp_lg_u32 s15, 11
	s_mov_b32 s1, -1
	s_cselect_b32 s0, -1, 0
.LBB159_3668:
	s_delay_alu instid0(SALU_CYCLE_1)
	s_and_b32 vcc_lo, exec_lo, s0
	s_cbranch_vccnz .LBB159_4201
; %bb.3669:
	s_and_not1_b32 vcc_lo, exec_lo, s1
	s_cbranch_vccnz .LBB159_3671
.LBB159_3670:
	global_load_u8 v7, v[8:9], off
	s_mov_b32 s6, -1
	s_wait_loadcnt 0x0
	v_cmp_ne_u16_e32 vcc_lo, 0, v7
	s_wait_xcnt 0x1
	v_cndmask_b32_e64 v10, 0, 0x3c00, vcc_lo
.LBB159_3671:
	s_mov_b32 s0, 0
.LBB159_3672:
	s_delay_alu instid0(SALU_CYCLE_1)
	s_and_b32 vcc_lo, exec_lo, s0
	s_cbranch_vccz .LBB159_3721
; %bb.3673:
	s_cmp_lt_i32 s15, 5
	s_cbranch_scc1 .LBB159_3678
; %bb.3674:
	s_cmp_lt_i32 s15, 8
	s_cbranch_scc1 .LBB159_3679
	;; [unrolled: 3-line block ×3, first 2 shown]
; %bb.3676:
	s_cmp_gt_i32 s15, 9
	s_cbranch_scc0 .LBB159_3681
; %bb.3677:
	global_load_b64 v[10:11], v[8:9], off
	s_mov_b32 s0, 0
	s_wait_loadcnt 0x0
	v_and_or_b32 v7, 0x1ff, v11, v10
	v_lshrrev_b32_e32 v10, 8, v11
	v_bfe_u32 v13, v11, 20, 11
	s_delay_alu instid0(VALU_DEP_3) | instskip(NEXT) | instid1(VALU_DEP_2)
	v_cmp_ne_u32_e32 vcc_lo, 0, v7
	v_sub_nc_u32_e32 v15, 0x3f1, v13
	v_add_nc_u32_e32 v13, 0xfffffc10, v13
	v_cndmask_b32_e64 v7, 0, 1, vcc_lo
	s_delay_alu instid0(VALU_DEP_1) | instskip(NEXT) | instid1(VALU_DEP_4)
	v_and_or_b32 v7, 0xffe, v10, v7
	v_med3_i32 v10, v15, 0, 13
	s_delay_alu instid0(VALU_DEP_2) | instskip(NEXT) | instid1(VALU_DEP_1)
	v_or_b32_e32 v15, 0x1000, v7
	v_lshrrev_b32_e32 v17, v10, v15
	s_delay_alu instid0(VALU_DEP_1) | instskip(NEXT) | instid1(VALU_DEP_1)
	v_lshlrev_b32_e32 v10, v10, v17
	v_cmp_ne_u32_e32 vcc_lo, v10, v15
	v_lshl_or_b32 v15, v13, 12, v7
	v_cndmask_b32_e64 v10, 0, 1, vcc_lo
	v_cmp_gt_i32_e32 vcc_lo, 1, v13
	s_delay_alu instid0(VALU_DEP_2) | instskip(NEXT) | instid1(VALU_DEP_1)
	v_or_b32_e32 v10, v17, v10
	v_cndmask_b32_e32 v10, v15, v10, vcc_lo
	s_delay_alu instid0(VALU_DEP_1) | instskip(NEXT) | instid1(VALU_DEP_1)
	v_dual_lshrrev_b32 v10, 2, v10 :: v_dual_bitop2_b32 v15, 7, v10 bitop3:0x40
	v_cmp_lt_i32_e32 vcc_lo, 5, v15
	v_cndmask_b32_e64 v17, 0, 1, vcc_lo
	v_cmp_eq_u32_e32 vcc_lo, 3, v15
	v_cndmask_b32_e64 v15, 0, 1, vcc_lo
	v_cmp_ne_u32_e32 vcc_lo, 0, v7
	s_delay_alu instid0(VALU_DEP_2) | instskip(NEXT) | instid1(VALU_DEP_1)
	v_or_b32_e32 v15, v15, v17
	v_dual_mov_b32 v17, 0x7e00 :: v_dual_add_nc_u32 v10, v10, v15
	s_delay_alu instid0(VALU_DEP_1) | instskip(SKIP_1) | instid1(VALU_DEP_3)
	v_cndmask_b32_e32 v7, 0x7c00, v17, vcc_lo
	v_cmp_gt_i32_e32 vcc_lo, 31, v13
	v_cndmask_b32_e32 v10, 0x7c00, v10, vcc_lo
	v_cmp_eq_u32_e32 vcc_lo, 0x40f, v13
	s_delay_alu instid0(VALU_DEP_2) | instskip(SKIP_1) | instid1(VALU_DEP_1)
	v_cndmask_b32_e32 v7, v10, v7, vcc_lo
	v_lshrrev_b32_e32 v10, 16, v11
	v_and_or_b32 v10, 0x8000, v10, v7
	s_branch .LBB159_3682
.LBB159_3678:
	s_mov_b32 s0, -1
                                        ; implicit-def: $vgpr10
	s_branch .LBB159_3700
.LBB159_3679:
	s_mov_b32 s0, -1
                                        ; implicit-def: $vgpr10
	s_branch .LBB159_3688
.LBB159_3680:
	s_mov_b32 s0, -1
                                        ; implicit-def: $vgpr10
	s_branch .LBB159_3685
.LBB159_3681:
	s_mov_b32 s0, -1
                                        ; implicit-def: $vgpr10
.LBB159_3682:
	s_delay_alu instid0(SALU_CYCLE_1)
	s_and_not1_b32 vcc_lo, exec_lo, s0
	s_cbranch_vccnz .LBB159_3684
; %bb.3683:
	global_load_b32 v7, v[8:9], off
	s_wait_loadcnt 0x0
	s_wait_xcnt 0x1
	v_cvt_f16_f32_e32 v10, v7
.LBB159_3684:
	s_mov_b32 s0, 0
.LBB159_3685:
	s_delay_alu instid0(SALU_CYCLE_1)
	s_and_not1_b32 vcc_lo, exec_lo, s0
	s_cbranch_vccnz .LBB159_3687
; %bb.3686:
	global_load_b32 v10, v[8:9], off
.LBB159_3687:
	s_mov_b32 s0, 0
.LBB159_3688:
	s_delay_alu instid0(SALU_CYCLE_1)
	s_and_not1_b32 vcc_lo, exec_lo, s0
	s_cbranch_vccnz .LBB159_3699
; %bb.3689:
	s_cmp_lt_i32 s15, 6
	s_cbranch_scc1 .LBB159_3692
; %bb.3690:
	s_cmp_gt_i32 s15, 6
	s_cbranch_scc0 .LBB159_3693
; %bb.3691:
	s_wait_loadcnt 0x0
	global_load_b64 v[10:11], v[8:9], off
	s_mov_b32 s0, 0
	s_wait_loadcnt 0x0
	v_and_or_b32 v7, 0x1ff, v11, v10
	v_lshrrev_b32_e32 v10, 8, v11
	v_bfe_u32 v13, v11, 20, 11
	s_delay_alu instid0(VALU_DEP_3) | instskip(NEXT) | instid1(VALU_DEP_2)
	v_cmp_ne_u32_e32 vcc_lo, 0, v7
	v_sub_nc_u32_e32 v15, 0x3f1, v13
	v_add_nc_u32_e32 v13, 0xfffffc10, v13
	v_cndmask_b32_e64 v7, 0, 1, vcc_lo
	s_delay_alu instid0(VALU_DEP_1) | instskip(NEXT) | instid1(VALU_DEP_4)
	v_and_or_b32 v7, 0xffe, v10, v7
	v_med3_i32 v10, v15, 0, 13
	s_delay_alu instid0(VALU_DEP_2) | instskip(NEXT) | instid1(VALU_DEP_1)
	v_or_b32_e32 v15, 0x1000, v7
	v_lshrrev_b32_e32 v17, v10, v15
	s_delay_alu instid0(VALU_DEP_1) | instskip(NEXT) | instid1(VALU_DEP_1)
	v_lshlrev_b32_e32 v10, v10, v17
	v_cmp_ne_u32_e32 vcc_lo, v10, v15
	v_lshl_or_b32 v15, v13, 12, v7
	v_cndmask_b32_e64 v10, 0, 1, vcc_lo
	v_cmp_gt_i32_e32 vcc_lo, 1, v13
	s_delay_alu instid0(VALU_DEP_2) | instskip(NEXT) | instid1(VALU_DEP_1)
	v_or_b32_e32 v10, v17, v10
	v_cndmask_b32_e32 v10, v15, v10, vcc_lo
	s_delay_alu instid0(VALU_DEP_1) | instskip(NEXT) | instid1(VALU_DEP_1)
	v_dual_lshrrev_b32 v10, 2, v10 :: v_dual_bitop2_b32 v15, 7, v10 bitop3:0x40
	v_cmp_lt_i32_e32 vcc_lo, 5, v15
	v_cndmask_b32_e64 v17, 0, 1, vcc_lo
	v_cmp_eq_u32_e32 vcc_lo, 3, v15
	v_cndmask_b32_e64 v15, 0, 1, vcc_lo
	v_cmp_ne_u32_e32 vcc_lo, 0, v7
	s_delay_alu instid0(VALU_DEP_2) | instskip(NEXT) | instid1(VALU_DEP_1)
	v_or_b32_e32 v15, v15, v17
	v_dual_mov_b32 v17, 0x7e00 :: v_dual_add_nc_u32 v10, v10, v15
	s_delay_alu instid0(VALU_DEP_1) | instskip(SKIP_1) | instid1(VALU_DEP_3)
	v_cndmask_b32_e32 v7, 0x7c00, v17, vcc_lo
	v_cmp_gt_i32_e32 vcc_lo, 31, v13
	v_cndmask_b32_e32 v10, 0x7c00, v10, vcc_lo
	v_cmp_eq_u32_e32 vcc_lo, 0x40f, v13
	s_delay_alu instid0(VALU_DEP_2) | instskip(SKIP_1) | instid1(VALU_DEP_1)
	v_cndmask_b32_e32 v7, v10, v7, vcc_lo
	v_lshrrev_b32_e32 v10, 16, v11
	v_and_or_b32 v10, 0x8000, v10, v7
	s_branch .LBB159_3694
.LBB159_3692:
	s_mov_b32 s0, -1
                                        ; implicit-def: $vgpr10
	s_branch .LBB159_3697
.LBB159_3693:
	s_mov_b32 s0, -1
                                        ; implicit-def: $vgpr10
.LBB159_3694:
	s_delay_alu instid0(SALU_CYCLE_1)
	s_and_not1_b32 vcc_lo, exec_lo, s0
	s_cbranch_vccnz .LBB159_3696
; %bb.3695:
	global_load_b32 v7, v[8:9], off
	s_wait_loadcnt 0x0
	s_wait_xcnt 0x1
	v_cvt_f16_f32_e32 v10, v7
.LBB159_3696:
	s_mov_b32 s0, 0
.LBB159_3697:
	s_delay_alu instid0(SALU_CYCLE_1)
	s_and_not1_b32 vcc_lo, exec_lo, s0
	s_cbranch_vccnz .LBB159_3699
; %bb.3698:
	s_wait_loadcnt 0x0
	global_load_u16 v10, v[8:9], off
.LBB159_3699:
	s_mov_b32 s0, 0
.LBB159_3700:
	s_delay_alu instid0(SALU_CYCLE_1)
	s_and_not1_b32 vcc_lo, exec_lo, s0
	s_cbranch_vccnz .LBB159_3720
; %bb.3701:
	s_cmp_lt_i32 s15, 2
	s_cbranch_scc1 .LBB159_3705
; %bb.3702:
	s_cmp_lt_i32 s15, 3
	s_cbranch_scc1 .LBB159_3706
; %bb.3703:
	s_cmp_gt_i32 s15, 3
	s_cbranch_scc0 .LBB159_3707
; %bb.3704:
	s_wait_loadcnt 0x0
	global_load_b64 v[10:11], v[8:9], off
	s_mov_b32 s0, 0
	s_wait_loadcnt 0x0
	v_xor_b32_e32 v7, v10, v11
	v_cls_i32_e32 v13, v11
	s_delay_alu instid0(VALU_DEP_2) | instskip(NEXT) | instid1(VALU_DEP_1)
	v_ashrrev_i32_e32 v7, 31, v7
	v_add_nc_u32_e32 v7, 32, v7
	s_delay_alu instid0(VALU_DEP_1) | instskip(NEXT) | instid1(VALU_DEP_1)
	v_add_min_u32_e64 v7, v13, -1, v7
	v_lshlrev_b64_e32 v[10:11], v7, v[10:11]
	v_sub_nc_u32_e32 v7, 32, v7
	s_delay_alu instid0(VALU_DEP_2) | instskip(NEXT) | instid1(VALU_DEP_1)
	v_min_u32_e32 v10, 1, v10
	v_or_b32_e32 v10, v11, v10
	s_delay_alu instid0(VALU_DEP_1) | instskip(NEXT) | instid1(VALU_DEP_1)
	v_cvt_f32_i32_e32 v10, v10
	v_ldexp_f32 v7, v10, v7
	s_delay_alu instid0(VALU_DEP_1)
	v_cvt_f16_f32_e32 v10, v7
	s_branch .LBB159_3708
.LBB159_3705:
	s_mov_b32 s0, -1
                                        ; implicit-def: $vgpr10
	s_branch .LBB159_3714
.LBB159_3706:
	s_mov_b32 s0, -1
                                        ; implicit-def: $vgpr10
	s_branch .LBB159_3711
.LBB159_3707:
	s_mov_b32 s0, -1
                                        ; implicit-def: $vgpr10
.LBB159_3708:
	s_delay_alu instid0(SALU_CYCLE_1)
	s_and_not1_b32 vcc_lo, exec_lo, s0
	s_cbranch_vccnz .LBB159_3710
; %bb.3709:
	global_load_b32 v7, v[8:9], off
	s_wait_loadcnt 0x0
	v_cvt_f32_i32_e32 v7, v7
	s_wait_xcnt 0x1
	s_delay_alu instid0(VALU_DEP_1)
	v_cvt_f16_f32_e32 v10, v7
.LBB159_3710:
	s_mov_b32 s0, 0
.LBB159_3711:
	s_delay_alu instid0(SALU_CYCLE_1)
	s_and_not1_b32 vcc_lo, exec_lo, s0
	s_cbranch_vccnz .LBB159_3713
; %bb.3712:
	global_load_u16 v7, v[8:9], off
	s_wait_loadcnt 0x0
	s_wait_xcnt 0x1
	v_cvt_f16_i16_e32 v10, v7
.LBB159_3713:
	s_mov_b32 s0, 0
.LBB159_3714:
	s_delay_alu instid0(SALU_CYCLE_1)
	s_and_not1_b32 vcc_lo, exec_lo, s0
	s_cbranch_vccnz .LBB159_3720
; %bb.3715:
	s_cmp_gt_i32 s15, 0
	s_mov_b32 s0, 0
	s_cbranch_scc0 .LBB159_3717
; %bb.3716:
	global_load_i8 v7, v[8:9], off
	s_wait_loadcnt 0x0
	s_wait_xcnt 0x1
	v_cvt_f16_i16_e32 v10, v7
	s_branch .LBB159_3718
.LBB159_3717:
	s_mov_b32 s0, -1
                                        ; implicit-def: $vgpr10
.LBB159_3718:
	s_delay_alu instid0(SALU_CYCLE_1)
	s_and_not1_b32 vcc_lo, exec_lo, s0
	s_cbranch_vccnz .LBB159_3720
; %bb.3719:
	global_load_u8 v7, v[8:9], off
	s_wait_loadcnt 0x0
	s_wait_xcnt 0x1
	v_cvt_f16_u16_e32 v10, v7
.LBB159_3720:
	s_mov_b32 s6, -1
.LBB159_3721:
	s_delay_alu instid0(SALU_CYCLE_1)
	s_and_not1_b32 vcc_lo, exec_lo, s6
	s_cbranch_vccnz .LBB159_4155
; %bb.3722:
	s_wait_loadcnt 0x0
	v_cmp_gt_f16_e32 vcc_lo, v1, v3
	v_mov_b32_e32 v7, 0
	v_cmp_u_f16_e64 s0, v1, v1
	s_wait_xcnt 0x0
	v_cndmask_b32_e32 v9, v3, v1, vcc_lo
	global_load_u8 v8, v7, s[2:3] offset:489
	s_wait_xcnt 0x0
	v_add_nc_u64_e32 v[6:7], s[4:5], v[6:7]
	v_cmp_lt_f16_e32 vcc_lo, v9, v5
	v_cndmask_b32_e32 v9, v5, v9, vcc_lo
	v_cmp_u_f16_e32 vcc_lo, v5, v5
	s_delay_alu instid0(VALU_DEP_2) | instskip(SKIP_1) | instid1(VALU_DEP_2)
	v_cndmask_b32_e32 v5, v9, v5, vcc_lo
	v_cmp_u_f16_e32 vcc_lo, v3, v3
	v_cndmask_b32_e32 v3, v5, v3, vcc_lo
	s_delay_alu instid0(VALU_DEP_1) | instskip(SKIP_3) | instid1(VALU_DEP_2)
	v_cndmask_b32_e64 v1, v3, v1, s0
	s_wait_loadcnt 0x0
	v_and_b32_e32 v9, 0xffff, v8
	v_readfirstlane_b32 s1, v8
	v_cmp_gt_i32_e32 vcc_lo, 11, v9
	s_cbranch_vccnz .LBB159_3800
; %bb.3723:
	s_and_b32 s2, 0xffff, s1
	s_mov_b32 s7, -1
	s_mov_b32 s3, 0
	s_cmp_gt_i32 s2, 25
	s_mov_b32 s6, 0
	s_mov_b32 s0, 0
	s_cbranch_scc0 .LBB159_3756
; %bb.3724:
	s_cmp_gt_i32 s2, 28
	s_cbranch_scc0 .LBB159_3739
; %bb.3725:
	s_cmp_gt_i32 s2, 43
	;; [unrolled: 3-line block ×3, first 2 shown]
	s_cbranch_scc0 .LBB159_3729
; %bb.3727:
	s_mov_b32 s0, -1
	s_mov_b32 s7, 0
	s_cmp_eq_u32 s2, 46
	s_cbranch_scc0 .LBB159_3729
; %bb.3728:
	v_cvt_f32_f16_e32 v3, v1
	v_cmp_o_f16_e32 vcc_lo, v1, v1
	s_mov_b32 s0, 0
	s_mov_b32 s6, -1
	s_delay_alu instid0(VALU_DEP_2) | instskip(NEXT) | instid1(VALU_DEP_1)
	v_bfe_u32 v5, v3, 16, 1
	v_add3_u32 v3, v3, v5, 0x7fff
	s_delay_alu instid0(VALU_DEP_1) | instskip(NEXT) | instid1(VALU_DEP_1)
	v_lshrrev_b32_e32 v3, 16, v3
	v_cndmask_b32_e32 v3, 0x7fc0, v3, vcc_lo
	global_store_b32 v[6:7], v3, off
.LBB159_3729:
	s_and_b32 vcc_lo, exec_lo, s7
	s_cbranch_vccz .LBB159_3734
; %bb.3730:
	s_cmp_eq_u32 s2, 44
	s_mov_b32 s0, -1
	s_cbranch_scc0 .LBB159_3734
; %bb.3731:
	s_wait_xcnt 0x0
	v_cvt_f32_f16_e32 v3, v1
	v_mov_b32_e32 v5, 0xff
	s_mov_b32 s6, exec_lo
	s_delay_alu instid0(VALU_DEP_2) | instskip(NEXT) | instid1(VALU_DEP_1)
	v_bfe_u32 v8, v3, 23, 8
	v_cmpx_ne_u32_e32 0xff, v8
	s_cbranch_execz .LBB159_3733
; %bb.3732:
	v_and_b32_e32 v5, 0x400000, v3
	v_and_or_b32 v8, 0x3fffff, v3, v8
	v_lshrrev_b32_e32 v3, 23, v3
	s_delay_alu instid0(VALU_DEP_3) | instskip(NEXT) | instid1(VALU_DEP_3)
	v_cmp_ne_u32_e32 vcc_lo, 0, v5
	v_cmp_ne_u32_e64 s0, 0, v8
	s_and_b32 s0, vcc_lo, s0
	s_delay_alu instid0(SALU_CYCLE_1) | instskip(NEXT) | instid1(VALU_DEP_1)
	v_cndmask_b32_e64 v5, 0, 1, s0
	v_add_nc_u32_e32 v5, v3, v5
.LBB159_3733:
	s_or_b32 exec_lo, exec_lo, s6
	s_mov_b32 s0, 0
	s_mov_b32 s6, -1
	global_store_b8 v[6:7], v5, off
.LBB159_3734:
	s_mov_b32 s7, 0
.LBB159_3735:
	s_delay_alu instid0(SALU_CYCLE_1)
	s_and_b32 vcc_lo, exec_lo, s7
	s_cbranch_vccz .LBB159_3738
; %bb.3736:
	s_cmp_eq_u32 s2, 29
	s_mov_b32 s0, -1
	s_cbranch_scc0 .LBB159_3738
; %bb.3737:
	s_wait_xcnt 0x0
	v_cvt_f32_f16_e32 v3, v1
	v_mov_b32_e32 v9, 0
	s_mov_b32 s0, 0
	s_mov_b32 s6, -1
	s_delay_alu instid0(VALU_DEP_2)
	v_cvt_u32_f32_e32 v8, v3
	global_store_b64 v[6:7], v[8:9], off
.LBB159_3738:
	s_mov_b32 s7, 0
.LBB159_3739:
	s_delay_alu instid0(SALU_CYCLE_1)
	s_and_b32 vcc_lo, exec_lo, s7
	s_cbranch_vccz .LBB159_3755
; %bb.3740:
	s_cmp_lt_i32 s2, 27
	s_mov_b32 s6, -1
	s_cbranch_scc1 .LBB159_3746
; %bb.3741:
	s_cmp_gt_i32 s2, 27
	s_cbranch_scc0 .LBB159_3743
; %bb.3742:
	s_wait_xcnt 0x0
	v_cvt_f32_f16_e32 v3, v1
	s_mov_b32 s6, 0
	s_delay_alu instid0(VALU_DEP_1)
	v_cvt_u32_f32_e32 v3, v3
	global_store_b32 v[6:7], v3, off
.LBB159_3743:
	s_and_not1_b32 vcc_lo, exec_lo, s6
	s_cbranch_vccnz .LBB159_3745
; %bb.3744:
	s_wait_xcnt 0x0
	v_cvt_u16_f16_e32 v3, v1
	global_store_b16 v[6:7], v3, off
.LBB159_3745:
	s_mov_b32 s6, 0
.LBB159_3746:
	s_delay_alu instid0(SALU_CYCLE_1)
	s_and_not1_b32 vcc_lo, exec_lo, s6
	s_cbranch_vccnz .LBB159_3754
; %bb.3747:
	s_wait_xcnt 0x0
	v_cvt_f32_f16_e32 v3, v1
	v_mov_b32_e32 v8, 0x80
	s_mov_b32 s6, exec_lo
	s_delay_alu instid0(VALU_DEP_2) | instskip(NEXT) | instid1(VALU_DEP_1)
	v_and_b32_e32 v5, 0x7fffffff, v3
	v_cmpx_gt_u32_e32 0x43800000, v5
	s_cbranch_execz .LBB159_3753
; %bb.3748:
	v_cmp_lt_u32_e32 vcc_lo, 0x3bffffff, v5
	s_mov_b32 s7, 0
                                        ; implicit-def: $vgpr5
	s_and_saveexec_b32 s8, vcc_lo
	s_delay_alu instid0(SALU_CYCLE_1)
	s_xor_b32 s8, exec_lo, s8
	s_cbranch_execz .LBB159_4202
; %bb.3749:
	v_bfe_u32 v5, v3, 20, 1
	s_mov_b32 s7, exec_lo
	s_delay_alu instid0(VALU_DEP_1) | instskip(NEXT) | instid1(VALU_DEP_1)
	v_add3_u32 v5, v3, v5, 0x487ffff
	v_lshrrev_b32_e32 v5, 20, v5
	s_and_not1_saveexec_b32 s8, s8
	s_cbranch_execnz .LBB159_4203
.LBB159_3750:
	s_or_b32 exec_lo, exec_lo, s8
	v_mov_b32_e32 v8, 0
	s_and_saveexec_b32 s8, s7
.LBB159_3751:
	v_lshrrev_b32_e32 v3, 24, v3
	s_delay_alu instid0(VALU_DEP_1)
	v_and_or_b32 v8, 0x80, v3, v5
.LBB159_3752:
	s_or_b32 exec_lo, exec_lo, s8
.LBB159_3753:
	s_delay_alu instid0(SALU_CYCLE_1)
	s_or_b32 exec_lo, exec_lo, s6
	global_store_b8 v[6:7], v8, off
.LBB159_3754:
	s_mov_b32 s6, -1
.LBB159_3755:
	s_mov_b32 s7, 0
.LBB159_3756:
	s_delay_alu instid0(SALU_CYCLE_1)
	s_and_b32 vcc_lo, exec_lo, s7
	s_cbranch_vccz .LBB159_3796
; %bb.3757:
	s_cmp_gt_i32 s2, 22
	s_mov_b32 s3, -1
	s_cbranch_scc0 .LBB159_3789
; %bb.3758:
	s_cmp_lt_i32 s2, 24
	s_cbranch_scc1 .LBB159_3778
; %bb.3759:
	s_cmp_gt_i32 s2, 24
	s_cbranch_scc0 .LBB159_3767
; %bb.3760:
	s_wait_xcnt 0x0
	v_cvt_f32_f16_e32 v3, v1
	v_mov_b32_e32 v8, 0x80
	s_mov_b32 s3, exec_lo
	s_delay_alu instid0(VALU_DEP_2) | instskip(NEXT) | instid1(VALU_DEP_1)
	v_and_b32_e32 v5, 0x7fffffff, v3
	v_cmpx_gt_u32_e32 0x47800000, v5
	s_cbranch_execz .LBB159_3766
; %bb.3761:
	v_cmp_lt_u32_e32 vcc_lo, 0x37ffffff, v5
	s_mov_b32 s6, 0
                                        ; implicit-def: $vgpr5
	s_and_saveexec_b32 s7, vcc_lo
	s_delay_alu instid0(SALU_CYCLE_1)
	s_xor_b32 s7, exec_lo, s7
	s_cbranch_execz .LBB159_4205
; %bb.3762:
	v_bfe_u32 v5, v3, 21, 1
	s_mov_b32 s6, exec_lo
	s_delay_alu instid0(VALU_DEP_1) | instskip(NEXT) | instid1(VALU_DEP_1)
	v_add3_u32 v5, v3, v5, 0x88fffff
	v_lshrrev_b32_e32 v5, 21, v5
	s_and_not1_saveexec_b32 s7, s7
	s_cbranch_execnz .LBB159_4206
.LBB159_3763:
	s_or_b32 exec_lo, exec_lo, s7
	v_mov_b32_e32 v8, 0
	s_and_saveexec_b32 s7, s6
.LBB159_3764:
	v_lshrrev_b32_e32 v3, 24, v3
	s_delay_alu instid0(VALU_DEP_1)
	v_and_or_b32 v8, 0x80, v3, v5
.LBB159_3765:
	s_or_b32 exec_lo, exec_lo, s7
.LBB159_3766:
	s_delay_alu instid0(SALU_CYCLE_1)
	s_or_b32 exec_lo, exec_lo, s3
	s_mov_b32 s3, 0
	global_store_b8 v[6:7], v8, off
.LBB159_3767:
	s_and_b32 vcc_lo, exec_lo, s3
	s_cbranch_vccz .LBB159_3777
; %bb.3768:
	s_wait_xcnt 0x0
	v_cvt_f32_f16_e32 v3, v1
	s_mov_b32 s3, exec_lo
                                        ; implicit-def: $vgpr5
	s_delay_alu instid0(VALU_DEP_1) | instskip(NEXT) | instid1(VALU_DEP_1)
	v_and_b32_e32 v8, 0x7fffffff, v3
	v_cmpx_gt_u32_e32 0x43f00000, v8
	s_xor_b32 s3, exec_lo, s3
	s_cbranch_execz .LBB159_3774
; %bb.3769:
	s_mov_b32 s6, exec_lo
                                        ; implicit-def: $vgpr5
	v_cmpx_lt_u32_e32 0x3c7fffff, v8
	s_xor_b32 s6, exec_lo, s6
; %bb.3770:
	v_bfe_u32 v5, v3, 20, 1
	s_delay_alu instid0(VALU_DEP_1) | instskip(NEXT) | instid1(VALU_DEP_1)
	v_add3_u32 v5, v3, v5, 0x407ffff
	v_and_b32_e32 v8, 0xff00000, v5
	v_lshrrev_b32_e32 v5, 20, v5
	s_delay_alu instid0(VALU_DEP_2) | instskip(NEXT) | instid1(VALU_DEP_2)
	v_cmp_ne_u32_e32 vcc_lo, 0x7f00000, v8
	v_cndmask_b32_e32 v5, 0x7e, v5, vcc_lo
; %bb.3771:
	s_and_not1_saveexec_b32 s6, s6
; %bb.3772:
	v_add_f32_e64 v5, 0x46800000, |v3|
; %bb.3773:
	s_or_b32 exec_lo, exec_lo, s6
                                        ; implicit-def: $vgpr8
.LBB159_3774:
	s_and_not1_saveexec_b32 s3, s3
; %bb.3775:
	v_mov_b32_e32 v5, 0x7f
	v_cmp_lt_u32_e32 vcc_lo, 0x7f800000, v8
	s_delay_alu instid0(VALU_DEP_2)
	v_cndmask_b32_e32 v5, 0x7e, v5, vcc_lo
; %bb.3776:
	s_or_b32 exec_lo, exec_lo, s3
	v_lshrrev_b32_e32 v3, 24, v3
	s_delay_alu instid0(VALU_DEP_1)
	v_and_or_b32 v3, 0x80, v3, v5
	global_store_b8 v[6:7], v3, off
.LBB159_3777:
	s_mov_b32 s3, 0
.LBB159_3778:
	s_delay_alu instid0(SALU_CYCLE_1)
	s_and_not1_b32 vcc_lo, exec_lo, s3
	s_cbranch_vccnz .LBB159_3788
; %bb.3779:
	s_wait_xcnt 0x0
	v_cvt_f32_f16_e32 v3, v1
	s_mov_b32 s3, exec_lo
                                        ; implicit-def: $vgpr5
	s_delay_alu instid0(VALU_DEP_1) | instskip(NEXT) | instid1(VALU_DEP_1)
	v_and_b32_e32 v8, 0x7fffffff, v3
	v_cmpx_gt_u32_e32 0x47800000, v8
	s_xor_b32 s3, exec_lo, s3
	s_cbranch_execz .LBB159_3785
; %bb.3780:
	s_mov_b32 s6, exec_lo
                                        ; implicit-def: $vgpr5
	v_cmpx_lt_u32_e32 0x387fffff, v8
	s_xor_b32 s6, exec_lo, s6
; %bb.3781:
	v_bfe_u32 v5, v3, 21, 1
	s_delay_alu instid0(VALU_DEP_1) | instskip(NEXT) | instid1(VALU_DEP_1)
	v_add3_u32 v5, v3, v5, 0x80fffff
	v_lshrrev_b32_e32 v5, 21, v5
; %bb.3782:
	s_and_not1_saveexec_b32 s6, s6
; %bb.3783:
	v_add_f32_e64 v5, 0x43000000, |v3|
; %bb.3784:
	s_or_b32 exec_lo, exec_lo, s6
                                        ; implicit-def: $vgpr8
.LBB159_3785:
	s_and_not1_saveexec_b32 s3, s3
; %bb.3786:
	v_mov_b32_e32 v5, 0x7f
	v_cmp_lt_u32_e32 vcc_lo, 0x7f800000, v8
	s_delay_alu instid0(VALU_DEP_2)
	v_cndmask_b32_e32 v5, 0x7c, v5, vcc_lo
; %bb.3787:
	s_or_b32 exec_lo, exec_lo, s3
	v_lshrrev_b32_e32 v3, 24, v3
	s_delay_alu instid0(VALU_DEP_1)
	v_and_or_b32 v3, 0x80, v3, v5
	global_store_b8 v[6:7], v3, off
.LBB159_3788:
	s_mov_b32 s3, 0
	s_mov_b32 s6, -1
.LBB159_3789:
	s_and_not1_b32 vcc_lo, exec_lo, s3
	s_mov_b32 s3, 0
	s_cbranch_vccnz .LBB159_3796
; %bb.3790:
	s_cmp_gt_i32 s2, 14
	s_mov_b32 s3, -1
	s_cbranch_scc0 .LBB159_3794
; %bb.3791:
	s_cmp_eq_u32 s2, 15
	s_mov_b32 s0, -1
	s_cbranch_scc0 .LBB159_3793
; %bb.3792:
	s_wait_xcnt 0x0
	v_cvt_f32_f16_e32 v3, v1
	v_cmp_o_f16_e32 vcc_lo, v1, v1
	s_mov_b32 s0, 0
	s_mov_b32 s6, -1
	s_delay_alu instid0(VALU_DEP_2) | instskip(NEXT) | instid1(VALU_DEP_1)
	v_bfe_u32 v5, v3, 16, 1
	v_add3_u32 v3, v3, v5, 0x7fff
	s_delay_alu instid0(VALU_DEP_1) | instskip(NEXT) | instid1(VALU_DEP_1)
	v_lshrrev_b32_e32 v3, 16, v3
	v_cndmask_b32_e32 v3, 0x7fc0, v3, vcc_lo
	global_store_b16 v[6:7], v3, off
.LBB159_3793:
	s_mov_b32 s3, 0
.LBB159_3794:
	s_delay_alu instid0(SALU_CYCLE_1)
	s_and_b32 vcc_lo, exec_lo, s3
	s_mov_b32 s3, 0
	s_cbranch_vccz .LBB159_3796
; %bb.3795:
	s_cmp_lg_u32 s2, 11
	s_mov_b32 s3, -1
	s_cselect_b32 s0, -1, 0
.LBB159_3796:
	s_delay_alu instid0(SALU_CYCLE_1)
	s_and_b32 vcc_lo, exec_lo, s0
	s_cbranch_vccnz .LBB159_4204
; %bb.3797:
	s_and_not1_b32 vcc_lo, exec_lo, s3
	s_cbranch_vccnz .LBB159_3799
.LBB159_3798:
	s_wait_xcnt 0x0
	v_and_b32_e32 v3, 0x7fff, v1
	s_mov_b32 s6, -1
	s_delay_alu instid0(VALU_DEP_1)
	v_cmp_ne_u16_e32 vcc_lo, 0, v3
	v_cndmask_b32_e64 v3, 0, 1, vcc_lo
	global_store_b8 v[6:7], v3, off
.LBB159_3799:
	s_mov_b32 s0, 0
	s_branch .LBB159_3801
.LBB159_3800:
	s_mov_b32 s0, -1
	s_mov_b32 s6, 0
.LBB159_3801:
	s_and_b32 vcc_lo, exec_lo, s0
	s_cbranch_vccz .LBB159_3840
; %bb.3802:
	s_and_b32 s0, 0xffff, s1
	s_mov_b32 s2, -1
	s_cmp_lt_i32 s0, 5
	s_cbranch_scc1 .LBB159_3823
; %bb.3803:
	s_cmp_lt_i32 s0, 8
	s_cbranch_scc1 .LBB159_3813
; %bb.3804:
	;; [unrolled: 3-line block ×3, first 2 shown]
	s_cmp_gt_i32 s0, 9
	s_cbranch_scc0 .LBB159_3807
; %bb.3806:
	s_wait_xcnt 0x0
	v_cvt_f32_f16_e32 v3, v1
	v_mov_b32_e32 v30, 0
	s_mov_b32 s2, 0
	s_delay_alu instid0(VALU_DEP_2) | instskip(NEXT) | instid1(VALU_DEP_2)
	v_cvt_f64_f32_e32 v[28:29], v3
	v_mov_b32_e32 v31, v30
	global_store_b128 v[6:7], v[28:31], off
.LBB159_3807:
	s_and_not1_b32 vcc_lo, exec_lo, s2
	s_cbranch_vccnz .LBB159_3809
; %bb.3808:
	s_wait_xcnt 0x0
	v_cvt_f32_f16_e32 v8, v1
	v_mov_b32_e32 v9, 0
	global_store_b64 v[6:7], v[8:9], off
.LBB159_3809:
	s_mov_b32 s2, 0
.LBB159_3810:
	s_delay_alu instid0(SALU_CYCLE_1)
	s_and_not1_b32 vcc_lo, exec_lo, s2
	s_cbranch_vccnz .LBB159_3812
; %bb.3811:
	s_wait_xcnt 0x0
	v_and_b32_e32 v3, 0xffff, v1
	global_store_b32 v[6:7], v3, off
.LBB159_3812:
	s_mov_b32 s2, 0
.LBB159_3813:
	s_delay_alu instid0(SALU_CYCLE_1)
	s_and_not1_b32 vcc_lo, exec_lo, s2
	s_cbranch_vccnz .LBB159_3822
; %bb.3814:
	s_cmp_lt_i32 s0, 6
	s_mov_b32 s2, -1
	s_cbranch_scc1 .LBB159_3820
; %bb.3815:
	s_cmp_gt_i32 s0, 6
	s_cbranch_scc0 .LBB159_3817
; %bb.3816:
	s_wait_xcnt 0x0
	v_cvt_f32_f16_e32 v3, v1
	s_mov_b32 s2, 0
	s_delay_alu instid0(VALU_DEP_1)
	v_cvt_f64_f32_e32 v[8:9], v3
	global_store_b64 v[6:7], v[8:9], off
.LBB159_3817:
	s_and_not1_b32 vcc_lo, exec_lo, s2
	s_cbranch_vccnz .LBB159_3819
; %bb.3818:
	s_wait_xcnt 0x0
	v_cvt_f32_f16_e32 v3, v1
	global_store_b32 v[6:7], v3, off
.LBB159_3819:
	s_mov_b32 s2, 0
.LBB159_3820:
	s_delay_alu instid0(SALU_CYCLE_1)
	s_and_not1_b32 vcc_lo, exec_lo, s2
	s_cbranch_vccnz .LBB159_3822
; %bb.3821:
	global_store_b16 v[6:7], v1, off
.LBB159_3822:
	s_mov_b32 s2, 0
.LBB159_3823:
	s_delay_alu instid0(SALU_CYCLE_1)
	s_and_not1_b32 vcc_lo, exec_lo, s2
	s_cbranch_vccnz .LBB159_3839
; %bb.3824:
	s_cmp_lt_i32 s0, 2
	s_mov_b32 s2, -1
	s_cbranch_scc1 .LBB159_3834
; %bb.3825:
	s_cmp_lt_i32 s0, 3
	s_cbranch_scc1 .LBB159_3831
; %bb.3826:
	s_cmp_gt_i32 s0, 3
	s_cbranch_scc0 .LBB159_3828
; %bb.3827:
	s_wait_xcnt 0x0
	v_cvt_f32_f16_e32 v3, v1
	s_mov_b32 s2, 0
	s_delay_alu instid0(VALU_DEP_1) | instskip(NEXT) | instid1(VALU_DEP_1)
	v_cvt_i32_f32_e32 v8, v3
	v_ashrrev_i32_e32 v9, 31, v8
	global_store_b64 v[6:7], v[8:9], off
.LBB159_3828:
	s_and_not1_b32 vcc_lo, exec_lo, s2
	s_cbranch_vccnz .LBB159_3830
; %bb.3829:
	s_wait_xcnt 0x0
	v_cvt_f32_f16_e32 v3, v1
	s_delay_alu instid0(VALU_DEP_1)
	v_cvt_i32_f32_e32 v3, v3
	global_store_b32 v[6:7], v3, off
.LBB159_3830:
	s_mov_b32 s2, 0
.LBB159_3831:
	s_delay_alu instid0(SALU_CYCLE_1)
	s_and_not1_b32 vcc_lo, exec_lo, s2
	s_cbranch_vccnz .LBB159_3833
; %bb.3832:
	s_wait_xcnt 0x0
	v_cvt_i16_f16_e32 v3, v1
	global_store_b16 v[6:7], v3, off
.LBB159_3833:
	s_mov_b32 s2, 0
.LBB159_3834:
	s_delay_alu instid0(SALU_CYCLE_1)
	s_and_not1_b32 vcc_lo, exec_lo, s2
	s_cbranch_vccnz .LBB159_3839
; %bb.3835:
	s_cmp_gt_i32 s0, 0
	s_mov_b32 s0, -1
	s_cbranch_scc0 .LBB159_3837
; %bb.3836:
	s_wait_xcnt 0x0
	v_cvt_i16_f16_e32 v3, v1
	s_mov_b32 s0, 0
	global_store_b8 v[6:7], v3, off
.LBB159_3837:
	s_and_not1_b32 vcc_lo, exec_lo, s0
	s_cbranch_vccnz .LBB159_3839
; %bb.3838:
	s_wait_xcnt 0x0
	v_cvt_f32_f16_e32 v1, v1
	s_delay_alu instid0(VALU_DEP_1)
	v_cvt_i32_f32_e32 v1, v1
	global_store_b8 v[6:7], v1, off
.LBB159_3839:
	s_mov_b32 s6, -1
.LBB159_3840:
	s_delay_alu instid0(SALU_CYCLE_1)
	s_and_not1_b32 vcc_lo, exec_lo, s6
	s_cbranch_vccnz .LBB159_4155
; %bb.3841:
	v_cmp_gt_f16_e32 vcc_lo, v26, v24
	s_and_b32 s2, 0xffff, s1
	s_wait_xcnt 0x0
	v_mov_b32_e32 v5, 0
	s_cmp_lt_i32 s2, 11
	v_cndmask_b32_e32 v1, v24, v26, vcc_lo
	s_delay_alu instid0(VALU_DEP_2) | instskip(NEXT) | instid1(VALU_DEP_2)
	v_add_nc_u64_e32 v[4:5], s[4:5], v[4:5]
	v_cmp_lt_f16_e32 vcc_lo, v1, v22
	v_cndmask_b32_e32 v1, v22, v1, vcc_lo
	v_cmp_u_f16_e32 vcc_lo, v22, v22
	s_delay_alu instid0(VALU_DEP_2) | instskip(SKIP_1) | instid1(VALU_DEP_2)
	v_cndmask_b32_e32 v1, v1, v22, vcc_lo
	v_cmp_u_f16_e32 vcc_lo, v24, v24
	v_cndmask_b32_e32 v1, v1, v24, vcc_lo
	v_cmp_u_f16_e32 vcc_lo, v26, v26
	s_delay_alu instid0(VALU_DEP_2)
	v_cndmask_b32_e32 v1, v1, v26, vcc_lo
	s_cbranch_scc1 .LBB159_3919
; %bb.3842:
	s_mov_b32 s7, -1
	s_mov_b32 s3, 0
	s_cmp_gt_i32 s2, 25
	s_mov_b32 s6, 0
	s_mov_b32 s0, 0
	s_cbranch_scc0 .LBB159_3875
; %bb.3843:
	s_cmp_gt_i32 s2, 28
	s_cbranch_scc0 .LBB159_3858
; %bb.3844:
	s_cmp_gt_i32 s2, 43
	;; [unrolled: 3-line block ×3, first 2 shown]
	s_cbranch_scc0 .LBB159_3848
; %bb.3846:
	s_mov_b32 s0, -1
	s_mov_b32 s7, 0
	s_cmp_eq_u32 s2, 46
	s_cbranch_scc0 .LBB159_3848
; %bb.3847:
	v_cvt_f32_f16_e32 v3, v1
	v_cmp_o_f16_e32 vcc_lo, v1, v1
	s_mov_b32 s0, 0
	s_mov_b32 s6, -1
	s_delay_alu instid0(VALU_DEP_2) | instskip(NEXT) | instid1(VALU_DEP_1)
	v_bfe_u32 v6, v3, 16, 1
	v_add3_u32 v3, v3, v6, 0x7fff
	s_delay_alu instid0(VALU_DEP_1) | instskip(NEXT) | instid1(VALU_DEP_1)
	v_lshrrev_b32_e32 v3, 16, v3
	v_cndmask_b32_e32 v3, 0x7fc0, v3, vcc_lo
	global_store_b32 v[4:5], v3, off
.LBB159_3848:
	s_and_b32 vcc_lo, exec_lo, s7
	s_cbranch_vccz .LBB159_3853
; %bb.3849:
	s_cmp_eq_u32 s2, 44
	s_mov_b32 s0, -1
	s_cbranch_scc0 .LBB159_3853
; %bb.3850:
	s_wait_xcnt 0x0
	v_cvt_f32_f16_e32 v3, v1
	v_mov_b32_e32 v6, 0xff
	s_mov_b32 s6, exec_lo
	s_delay_alu instid0(VALU_DEP_2) | instskip(NEXT) | instid1(VALU_DEP_1)
	v_bfe_u32 v7, v3, 23, 8
	v_cmpx_ne_u32_e32 0xff, v7
	s_cbranch_execz .LBB159_3852
; %bb.3851:
	v_and_b32_e32 v6, 0x400000, v3
	v_and_or_b32 v7, 0x3fffff, v3, v7
	v_lshrrev_b32_e32 v3, 23, v3
	s_delay_alu instid0(VALU_DEP_3) | instskip(NEXT) | instid1(VALU_DEP_3)
	v_cmp_ne_u32_e32 vcc_lo, 0, v6
	v_cmp_ne_u32_e64 s0, 0, v7
	s_and_b32 s0, vcc_lo, s0
	s_delay_alu instid0(SALU_CYCLE_1) | instskip(NEXT) | instid1(VALU_DEP_1)
	v_cndmask_b32_e64 v6, 0, 1, s0
	v_add_nc_u32_e32 v6, v3, v6
.LBB159_3852:
	s_or_b32 exec_lo, exec_lo, s6
	s_mov_b32 s0, 0
	s_mov_b32 s6, -1
	global_store_b8 v[4:5], v6, off
.LBB159_3853:
	s_mov_b32 s7, 0
.LBB159_3854:
	s_delay_alu instid0(SALU_CYCLE_1)
	s_and_b32 vcc_lo, exec_lo, s7
	s_cbranch_vccz .LBB159_3857
; %bb.3855:
	s_cmp_eq_u32 s2, 29
	s_mov_b32 s0, -1
	s_cbranch_scc0 .LBB159_3857
; %bb.3856:
	s_wait_xcnt 0x0
	v_cvt_f32_f16_e32 v3, v1
	v_mov_b32_e32 v7, 0
	s_mov_b32 s0, 0
	s_mov_b32 s6, -1
	s_delay_alu instid0(VALU_DEP_2)
	v_cvt_u32_f32_e32 v6, v3
	global_store_b64 v[4:5], v[6:7], off
.LBB159_3857:
	s_mov_b32 s7, 0
.LBB159_3858:
	s_delay_alu instid0(SALU_CYCLE_1)
	s_and_b32 vcc_lo, exec_lo, s7
	s_cbranch_vccz .LBB159_3874
; %bb.3859:
	s_cmp_lt_i32 s2, 27
	s_mov_b32 s6, -1
	s_cbranch_scc1 .LBB159_3865
; %bb.3860:
	s_cmp_gt_i32 s2, 27
	s_cbranch_scc0 .LBB159_3862
; %bb.3861:
	s_wait_xcnt 0x0
	v_cvt_f32_f16_e32 v3, v1
	s_mov_b32 s6, 0
	s_delay_alu instid0(VALU_DEP_1)
	v_cvt_u32_f32_e32 v3, v3
	global_store_b32 v[4:5], v3, off
.LBB159_3862:
	s_and_not1_b32 vcc_lo, exec_lo, s6
	s_cbranch_vccnz .LBB159_3864
; %bb.3863:
	s_wait_xcnt 0x0
	v_cvt_u16_f16_e32 v3, v1
	global_store_b16 v[4:5], v3, off
.LBB159_3864:
	s_mov_b32 s6, 0
.LBB159_3865:
	s_delay_alu instid0(SALU_CYCLE_1)
	s_and_not1_b32 vcc_lo, exec_lo, s6
	s_cbranch_vccnz .LBB159_3873
; %bb.3866:
	s_wait_xcnt 0x0
	v_cvt_f32_f16_e32 v3, v1
	v_mov_b32_e32 v7, 0x80
	s_mov_b32 s6, exec_lo
	s_delay_alu instid0(VALU_DEP_2) | instskip(NEXT) | instid1(VALU_DEP_1)
	v_and_b32_e32 v6, 0x7fffffff, v3
	v_cmpx_gt_u32_e32 0x43800000, v6
	s_cbranch_execz .LBB159_3872
; %bb.3867:
	v_cmp_lt_u32_e32 vcc_lo, 0x3bffffff, v6
	s_mov_b32 s7, 0
                                        ; implicit-def: $vgpr6
	s_and_saveexec_b32 s8, vcc_lo
	s_delay_alu instid0(SALU_CYCLE_1)
	s_xor_b32 s8, exec_lo, s8
	s_cbranch_execz .LBB159_4207
; %bb.3868:
	v_bfe_u32 v6, v3, 20, 1
	s_mov_b32 s7, exec_lo
	s_delay_alu instid0(VALU_DEP_1) | instskip(NEXT) | instid1(VALU_DEP_1)
	v_add3_u32 v6, v3, v6, 0x487ffff
	v_lshrrev_b32_e32 v6, 20, v6
	s_and_not1_saveexec_b32 s8, s8
	s_cbranch_execnz .LBB159_4208
.LBB159_3869:
	s_or_b32 exec_lo, exec_lo, s8
	v_mov_b32_e32 v7, 0
	s_and_saveexec_b32 s8, s7
.LBB159_3870:
	v_lshrrev_b32_e32 v3, 24, v3
	s_delay_alu instid0(VALU_DEP_1)
	v_and_or_b32 v7, 0x80, v3, v6
.LBB159_3871:
	s_or_b32 exec_lo, exec_lo, s8
.LBB159_3872:
	s_delay_alu instid0(SALU_CYCLE_1)
	s_or_b32 exec_lo, exec_lo, s6
	global_store_b8 v[4:5], v7, off
.LBB159_3873:
	s_mov_b32 s6, -1
.LBB159_3874:
	s_mov_b32 s7, 0
.LBB159_3875:
	s_delay_alu instid0(SALU_CYCLE_1)
	s_and_b32 vcc_lo, exec_lo, s7
	s_cbranch_vccz .LBB159_3915
; %bb.3876:
	s_cmp_gt_i32 s2, 22
	s_mov_b32 s3, -1
	s_cbranch_scc0 .LBB159_3908
; %bb.3877:
	s_cmp_lt_i32 s2, 24
	s_cbranch_scc1 .LBB159_3897
; %bb.3878:
	s_cmp_gt_i32 s2, 24
	s_cbranch_scc0 .LBB159_3886
; %bb.3879:
	s_wait_xcnt 0x0
	v_cvt_f32_f16_e32 v3, v1
	v_mov_b32_e32 v7, 0x80
	s_mov_b32 s3, exec_lo
	s_delay_alu instid0(VALU_DEP_2) | instskip(NEXT) | instid1(VALU_DEP_1)
	v_and_b32_e32 v6, 0x7fffffff, v3
	v_cmpx_gt_u32_e32 0x47800000, v6
	s_cbranch_execz .LBB159_3885
; %bb.3880:
	v_cmp_lt_u32_e32 vcc_lo, 0x37ffffff, v6
	s_mov_b32 s6, 0
                                        ; implicit-def: $vgpr6
	s_and_saveexec_b32 s7, vcc_lo
	s_delay_alu instid0(SALU_CYCLE_1)
	s_xor_b32 s7, exec_lo, s7
	s_cbranch_execz .LBB159_4210
; %bb.3881:
	v_bfe_u32 v6, v3, 21, 1
	s_mov_b32 s6, exec_lo
	s_delay_alu instid0(VALU_DEP_1) | instskip(NEXT) | instid1(VALU_DEP_1)
	v_add3_u32 v6, v3, v6, 0x88fffff
	v_lshrrev_b32_e32 v6, 21, v6
	s_and_not1_saveexec_b32 s7, s7
	s_cbranch_execnz .LBB159_4211
.LBB159_3882:
	s_or_b32 exec_lo, exec_lo, s7
	v_mov_b32_e32 v7, 0
	s_and_saveexec_b32 s7, s6
.LBB159_3883:
	v_lshrrev_b32_e32 v3, 24, v3
	s_delay_alu instid0(VALU_DEP_1)
	v_and_or_b32 v7, 0x80, v3, v6
.LBB159_3884:
	s_or_b32 exec_lo, exec_lo, s7
.LBB159_3885:
	s_delay_alu instid0(SALU_CYCLE_1)
	s_or_b32 exec_lo, exec_lo, s3
	s_mov_b32 s3, 0
	global_store_b8 v[4:5], v7, off
.LBB159_3886:
	s_and_b32 vcc_lo, exec_lo, s3
	s_cbranch_vccz .LBB159_3896
; %bb.3887:
	s_wait_xcnt 0x0
	v_cvt_f32_f16_e32 v3, v1
	s_mov_b32 s3, exec_lo
                                        ; implicit-def: $vgpr6
	s_delay_alu instid0(VALU_DEP_1) | instskip(NEXT) | instid1(VALU_DEP_1)
	v_and_b32_e32 v7, 0x7fffffff, v3
	v_cmpx_gt_u32_e32 0x43f00000, v7
	s_xor_b32 s3, exec_lo, s3
	s_cbranch_execz .LBB159_3893
; %bb.3888:
	s_mov_b32 s6, exec_lo
                                        ; implicit-def: $vgpr6
	v_cmpx_lt_u32_e32 0x3c7fffff, v7
	s_xor_b32 s6, exec_lo, s6
; %bb.3889:
	v_bfe_u32 v6, v3, 20, 1
	s_delay_alu instid0(VALU_DEP_1) | instskip(NEXT) | instid1(VALU_DEP_1)
	v_add3_u32 v6, v3, v6, 0x407ffff
	v_and_b32_e32 v7, 0xff00000, v6
	v_lshrrev_b32_e32 v6, 20, v6
	s_delay_alu instid0(VALU_DEP_2) | instskip(NEXT) | instid1(VALU_DEP_2)
	v_cmp_ne_u32_e32 vcc_lo, 0x7f00000, v7
	v_cndmask_b32_e32 v6, 0x7e, v6, vcc_lo
; %bb.3890:
	s_and_not1_saveexec_b32 s6, s6
; %bb.3891:
	v_add_f32_e64 v6, 0x46800000, |v3|
; %bb.3892:
	s_or_b32 exec_lo, exec_lo, s6
                                        ; implicit-def: $vgpr7
.LBB159_3893:
	s_and_not1_saveexec_b32 s3, s3
; %bb.3894:
	v_mov_b32_e32 v6, 0x7f
	v_cmp_lt_u32_e32 vcc_lo, 0x7f800000, v7
	s_delay_alu instid0(VALU_DEP_2)
	v_cndmask_b32_e32 v6, 0x7e, v6, vcc_lo
; %bb.3895:
	s_or_b32 exec_lo, exec_lo, s3
	v_lshrrev_b32_e32 v3, 24, v3
	s_delay_alu instid0(VALU_DEP_1)
	v_and_or_b32 v3, 0x80, v3, v6
	global_store_b8 v[4:5], v3, off
.LBB159_3896:
	s_mov_b32 s3, 0
.LBB159_3897:
	s_delay_alu instid0(SALU_CYCLE_1)
	s_and_not1_b32 vcc_lo, exec_lo, s3
	s_cbranch_vccnz .LBB159_3907
; %bb.3898:
	s_wait_xcnt 0x0
	v_cvt_f32_f16_e32 v3, v1
	s_mov_b32 s3, exec_lo
                                        ; implicit-def: $vgpr6
	s_delay_alu instid0(VALU_DEP_1) | instskip(NEXT) | instid1(VALU_DEP_1)
	v_and_b32_e32 v7, 0x7fffffff, v3
	v_cmpx_gt_u32_e32 0x47800000, v7
	s_xor_b32 s3, exec_lo, s3
	s_cbranch_execz .LBB159_3904
; %bb.3899:
	s_mov_b32 s6, exec_lo
                                        ; implicit-def: $vgpr6
	v_cmpx_lt_u32_e32 0x387fffff, v7
	s_xor_b32 s6, exec_lo, s6
; %bb.3900:
	v_bfe_u32 v6, v3, 21, 1
	s_delay_alu instid0(VALU_DEP_1) | instskip(NEXT) | instid1(VALU_DEP_1)
	v_add3_u32 v6, v3, v6, 0x80fffff
	v_lshrrev_b32_e32 v6, 21, v6
; %bb.3901:
	s_and_not1_saveexec_b32 s6, s6
; %bb.3902:
	v_add_f32_e64 v6, 0x43000000, |v3|
; %bb.3903:
	s_or_b32 exec_lo, exec_lo, s6
                                        ; implicit-def: $vgpr7
.LBB159_3904:
	s_and_not1_saveexec_b32 s3, s3
; %bb.3905:
	v_mov_b32_e32 v6, 0x7f
	v_cmp_lt_u32_e32 vcc_lo, 0x7f800000, v7
	s_delay_alu instid0(VALU_DEP_2)
	v_cndmask_b32_e32 v6, 0x7c, v6, vcc_lo
; %bb.3906:
	s_or_b32 exec_lo, exec_lo, s3
	v_lshrrev_b32_e32 v3, 24, v3
	s_delay_alu instid0(VALU_DEP_1)
	v_and_or_b32 v3, 0x80, v3, v6
	global_store_b8 v[4:5], v3, off
.LBB159_3907:
	s_mov_b32 s3, 0
	s_mov_b32 s6, -1
.LBB159_3908:
	s_and_not1_b32 vcc_lo, exec_lo, s3
	s_mov_b32 s3, 0
	s_cbranch_vccnz .LBB159_3915
; %bb.3909:
	s_cmp_gt_i32 s2, 14
	s_mov_b32 s3, -1
	s_cbranch_scc0 .LBB159_3913
; %bb.3910:
	s_cmp_eq_u32 s2, 15
	s_mov_b32 s0, -1
	s_cbranch_scc0 .LBB159_3912
; %bb.3911:
	s_wait_xcnt 0x0
	v_cvt_f32_f16_e32 v3, v1
	v_cmp_o_f16_e32 vcc_lo, v1, v1
	s_mov_b32 s0, 0
	s_mov_b32 s6, -1
	s_delay_alu instid0(VALU_DEP_2) | instskip(NEXT) | instid1(VALU_DEP_1)
	v_bfe_u32 v6, v3, 16, 1
	v_add3_u32 v3, v3, v6, 0x7fff
	s_delay_alu instid0(VALU_DEP_1) | instskip(NEXT) | instid1(VALU_DEP_1)
	v_lshrrev_b32_e32 v3, 16, v3
	v_cndmask_b32_e32 v3, 0x7fc0, v3, vcc_lo
	global_store_b16 v[4:5], v3, off
.LBB159_3912:
	s_mov_b32 s3, 0
.LBB159_3913:
	s_delay_alu instid0(SALU_CYCLE_1)
	s_and_b32 vcc_lo, exec_lo, s3
	s_mov_b32 s3, 0
	s_cbranch_vccz .LBB159_3915
; %bb.3914:
	s_cmp_lg_u32 s2, 11
	s_mov_b32 s3, -1
	s_cselect_b32 s0, -1, 0
.LBB159_3915:
	s_delay_alu instid0(SALU_CYCLE_1)
	s_and_b32 vcc_lo, exec_lo, s0
	s_cbranch_vccnz .LBB159_4209
; %bb.3916:
	s_and_not1_b32 vcc_lo, exec_lo, s3
	s_cbranch_vccnz .LBB159_3918
.LBB159_3917:
	s_wait_xcnt 0x0
	v_and_b32_e32 v3, 0x7fff, v1
	s_mov_b32 s6, -1
	s_delay_alu instid0(VALU_DEP_1)
	v_cmp_ne_u16_e32 vcc_lo, 0, v3
	v_cndmask_b32_e64 v3, 0, 1, vcc_lo
	global_store_b8 v[4:5], v3, off
.LBB159_3918:
	s_mov_b32 s0, 0
	s_branch .LBB159_3920
.LBB159_3919:
	s_mov_b32 s0, -1
	s_mov_b32 s6, 0
.LBB159_3920:
	s_and_b32 vcc_lo, exec_lo, s0
	s_cbranch_vccz .LBB159_3959
; %bb.3921:
	s_cmp_lt_i32 s2, 5
	s_mov_b32 s0, -1
	s_cbranch_scc1 .LBB159_3942
; %bb.3922:
	s_cmp_lt_i32 s2, 8
	s_cbranch_scc1 .LBB159_3932
; %bb.3923:
	s_cmp_lt_i32 s2, 9
	s_cbranch_scc1 .LBB159_3929
; %bb.3924:
	s_cmp_gt_i32 s2, 9
	s_cbranch_scc0 .LBB159_3926
; %bb.3925:
	s_wait_xcnt 0x0
	v_cvt_f32_f16_e32 v3, v1
	v_mov_b32_e32 v8, 0
	s_mov_b32 s0, 0
	s_delay_alu instid0(VALU_DEP_2) | instskip(NEXT) | instid1(VALU_DEP_2)
	v_cvt_f64_f32_e32 v[6:7], v3
	v_mov_b32_e32 v9, v8
	global_store_b128 v[4:5], v[6:9], off
.LBB159_3926:
	s_and_not1_b32 vcc_lo, exec_lo, s0
	s_cbranch_vccnz .LBB159_3928
; %bb.3927:
	s_wait_xcnt 0x0
	v_cvt_f32_f16_e32 v6, v1
	v_mov_b32_e32 v7, 0
	global_store_b64 v[4:5], v[6:7], off
.LBB159_3928:
	s_mov_b32 s0, 0
.LBB159_3929:
	s_delay_alu instid0(SALU_CYCLE_1)
	s_and_not1_b32 vcc_lo, exec_lo, s0
	s_cbranch_vccnz .LBB159_3931
; %bb.3930:
	s_wait_xcnt 0x0
	v_and_b32_e32 v3, 0xffff, v1
	global_store_b32 v[4:5], v3, off
.LBB159_3931:
	s_mov_b32 s0, 0
.LBB159_3932:
	s_delay_alu instid0(SALU_CYCLE_1)
	s_and_not1_b32 vcc_lo, exec_lo, s0
	s_cbranch_vccnz .LBB159_3941
; %bb.3933:
	s_cmp_lt_i32 s2, 6
	s_mov_b32 s0, -1
	s_cbranch_scc1 .LBB159_3939
; %bb.3934:
	s_cmp_gt_i32 s2, 6
	s_cbranch_scc0 .LBB159_3936
; %bb.3935:
	s_wait_xcnt 0x0
	v_cvt_f32_f16_e32 v3, v1
	s_mov_b32 s0, 0
	s_delay_alu instid0(VALU_DEP_1)
	v_cvt_f64_f32_e32 v[6:7], v3
	global_store_b64 v[4:5], v[6:7], off
.LBB159_3936:
	s_and_not1_b32 vcc_lo, exec_lo, s0
	s_cbranch_vccnz .LBB159_3938
; %bb.3937:
	s_wait_xcnt 0x0
	v_cvt_f32_f16_e32 v3, v1
	global_store_b32 v[4:5], v3, off
.LBB159_3938:
	s_mov_b32 s0, 0
.LBB159_3939:
	s_delay_alu instid0(SALU_CYCLE_1)
	s_and_not1_b32 vcc_lo, exec_lo, s0
	s_cbranch_vccnz .LBB159_3941
; %bb.3940:
	global_store_b16 v[4:5], v1, off
.LBB159_3941:
	s_mov_b32 s0, 0
.LBB159_3942:
	s_delay_alu instid0(SALU_CYCLE_1)
	s_and_not1_b32 vcc_lo, exec_lo, s0
	s_cbranch_vccnz .LBB159_3958
; %bb.3943:
	s_cmp_lt_i32 s2, 2
	s_mov_b32 s0, -1
	s_cbranch_scc1 .LBB159_3953
; %bb.3944:
	s_cmp_lt_i32 s2, 3
	s_cbranch_scc1 .LBB159_3950
; %bb.3945:
	s_cmp_gt_i32 s2, 3
	s_cbranch_scc0 .LBB159_3947
; %bb.3946:
	s_wait_xcnt 0x0
	v_cvt_f32_f16_e32 v3, v1
	s_mov_b32 s0, 0
	s_delay_alu instid0(VALU_DEP_1) | instskip(NEXT) | instid1(VALU_DEP_1)
	v_cvt_i32_f32_e32 v6, v3
	v_ashrrev_i32_e32 v7, 31, v6
	global_store_b64 v[4:5], v[6:7], off
.LBB159_3947:
	s_and_not1_b32 vcc_lo, exec_lo, s0
	s_cbranch_vccnz .LBB159_3949
; %bb.3948:
	s_wait_xcnt 0x0
	v_cvt_f32_f16_e32 v3, v1
	s_delay_alu instid0(VALU_DEP_1)
	v_cvt_i32_f32_e32 v3, v3
	global_store_b32 v[4:5], v3, off
.LBB159_3949:
	s_mov_b32 s0, 0
.LBB159_3950:
	s_delay_alu instid0(SALU_CYCLE_1)
	s_and_not1_b32 vcc_lo, exec_lo, s0
	s_cbranch_vccnz .LBB159_3952
; %bb.3951:
	s_wait_xcnt 0x0
	v_cvt_i16_f16_e32 v3, v1
	global_store_b16 v[4:5], v3, off
.LBB159_3952:
	s_mov_b32 s0, 0
.LBB159_3953:
	s_delay_alu instid0(SALU_CYCLE_1)
	s_and_not1_b32 vcc_lo, exec_lo, s0
	s_cbranch_vccnz .LBB159_3958
; %bb.3954:
	s_cmp_gt_i32 s2, 0
	s_mov_b32 s0, -1
	s_cbranch_scc0 .LBB159_3956
; %bb.3955:
	s_wait_xcnt 0x0
	v_cvt_i16_f16_e32 v3, v1
	s_mov_b32 s0, 0
	global_store_b8 v[4:5], v3, off
.LBB159_3956:
	s_and_not1_b32 vcc_lo, exec_lo, s0
	s_cbranch_vccnz .LBB159_3958
; %bb.3957:
	s_wait_xcnt 0x0
	v_cvt_f32_f16_e32 v1, v1
	s_delay_alu instid0(VALU_DEP_1)
	v_cvt_i32_f32_e32 v1, v1
	global_store_b8 v[4:5], v1, off
.LBB159_3958:
	s_mov_b32 s6, -1
.LBB159_3959:
	s_delay_alu instid0(SALU_CYCLE_1)
	s_and_not1_b32 vcc_lo, exec_lo, s6
	s_cbranch_vccnz .LBB159_4155
; %bb.3960:
	v_cmp_gt_f16_e32 vcc_lo, v20, v18
	s_cmp_lt_i32 s2, 11
	s_wait_xcnt 0x0
	v_dual_mov_b32 v3, 0 :: v_dual_cndmask_b32 v1, v18, v20, vcc_lo
	s_delay_alu instid0(VALU_DEP_1) | instskip(NEXT) | instid1(VALU_DEP_2)
	v_add_nc_u64_e32 v[2:3], s[4:5], v[2:3]
	v_cmp_lt_f16_e32 vcc_lo, v1, v16
	v_cndmask_b32_e32 v1, v16, v1, vcc_lo
	v_cmp_u_f16_e32 vcc_lo, v16, v16
	s_delay_alu instid0(VALU_DEP_2) | instskip(SKIP_1) | instid1(VALU_DEP_2)
	v_cndmask_b32_e32 v1, v1, v16, vcc_lo
	v_cmp_u_f16_e32 vcc_lo, v18, v18
	v_cndmask_b32_e32 v1, v1, v18, vcc_lo
	v_cmp_u_f16_e32 vcc_lo, v20, v20
	s_delay_alu instid0(VALU_DEP_2)
	v_cndmask_b32_e32 v1, v1, v20, vcc_lo
	s_cbranch_scc1 .LBB159_4038
; %bb.3961:
	s_mov_b32 s7, -1
	s_mov_b32 s3, 0
	s_cmp_gt_i32 s2, 25
	s_mov_b32 s6, 0
	s_mov_b32 s0, 0
	s_cbranch_scc0 .LBB159_3994
; %bb.3962:
	s_cmp_gt_i32 s2, 28
	s_cbranch_scc0 .LBB159_3977
; %bb.3963:
	s_cmp_gt_i32 s2, 43
	;; [unrolled: 3-line block ×3, first 2 shown]
	s_cbranch_scc0 .LBB159_3967
; %bb.3965:
	s_mov_b32 s0, -1
	s_mov_b32 s7, 0
	s_cmp_eq_u32 s2, 46
	s_cbranch_scc0 .LBB159_3967
; %bb.3966:
	v_cvt_f32_f16_e32 v4, v1
	v_cmp_o_f16_e32 vcc_lo, v1, v1
	s_mov_b32 s0, 0
	s_mov_b32 s6, -1
	s_delay_alu instid0(VALU_DEP_2) | instskip(NEXT) | instid1(VALU_DEP_1)
	v_bfe_u32 v5, v4, 16, 1
	v_add3_u32 v4, v4, v5, 0x7fff
	s_delay_alu instid0(VALU_DEP_1) | instskip(NEXT) | instid1(VALU_DEP_1)
	v_lshrrev_b32_e32 v4, 16, v4
	v_cndmask_b32_e32 v4, 0x7fc0, v4, vcc_lo
	global_store_b32 v[2:3], v4, off
.LBB159_3967:
	s_and_b32 vcc_lo, exec_lo, s7
	s_cbranch_vccz .LBB159_3972
; %bb.3968:
	s_cmp_eq_u32 s2, 44
	s_mov_b32 s0, -1
	s_cbranch_scc0 .LBB159_3972
; %bb.3969:
	s_wait_xcnt 0x0
	v_cvt_f32_f16_e32 v4, v1
	v_mov_b32_e32 v5, 0xff
	s_mov_b32 s6, exec_lo
	s_delay_alu instid0(VALU_DEP_2) | instskip(NEXT) | instid1(VALU_DEP_1)
	v_bfe_u32 v6, v4, 23, 8
	v_cmpx_ne_u32_e32 0xff, v6
	s_cbranch_execz .LBB159_3971
; %bb.3970:
	v_and_b32_e32 v5, 0x400000, v4
	v_and_or_b32 v6, 0x3fffff, v4, v6
	v_lshrrev_b32_e32 v4, 23, v4
	s_delay_alu instid0(VALU_DEP_3) | instskip(NEXT) | instid1(VALU_DEP_3)
	v_cmp_ne_u32_e32 vcc_lo, 0, v5
	v_cmp_ne_u32_e64 s0, 0, v6
	s_and_b32 s0, vcc_lo, s0
	s_delay_alu instid0(SALU_CYCLE_1) | instskip(NEXT) | instid1(VALU_DEP_1)
	v_cndmask_b32_e64 v5, 0, 1, s0
	v_add_nc_u32_e32 v5, v4, v5
.LBB159_3971:
	s_or_b32 exec_lo, exec_lo, s6
	s_mov_b32 s0, 0
	s_mov_b32 s6, -1
	global_store_b8 v[2:3], v5, off
.LBB159_3972:
	s_mov_b32 s7, 0
.LBB159_3973:
	s_delay_alu instid0(SALU_CYCLE_1)
	s_and_b32 vcc_lo, exec_lo, s7
	s_cbranch_vccz .LBB159_3976
; %bb.3974:
	s_cmp_eq_u32 s2, 29
	s_mov_b32 s0, -1
	s_cbranch_scc0 .LBB159_3976
; %bb.3975:
	s_wait_xcnt 0x0
	v_cvt_f32_f16_e32 v4, v1
	v_mov_b32_e32 v5, 0
	s_mov_b32 s0, 0
	s_mov_b32 s6, -1
	s_delay_alu instid0(VALU_DEP_2)
	v_cvt_u32_f32_e32 v4, v4
	global_store_b64 v[2:3], v[4:5], off
.LBB159_3976:
	s_mov_b32 s7, 0
.LBB159_3977:
	s_delay_alu instid0(SALU_CYCLE_1)
	s_and_b32 vcc_lo, exec_lo, s7
	s_cbranch_vccz .LBB159_3993
; %bb.3978:
	s_cmp_lt_i32 s2, 27
	s_mov_b32 s6, -1
	s_cbranch_scc1 .LBB159_3984
; %bb.3979:
	s_cmp_gt_i32 s2, 27
	s_cbranch_scc0 .LBB159_3981
; %bb.3980:
	s_wait_xcnt 0x0
	v_cvt_f32_f16_e32 v4, v1
	s_mov_b32 s6, 0
	s_delay_alu instid0(VALU_DEP_1)
	v_cvt_u32_f32_e32 v4, v4
	global_store_b32 v[2:3], v4, off
.LBB159_3981:
	s_and_not1_b32 vcc_lo, exec_lo, s6
	s_cbranch_vccnz .LBB159_3983
; %bb.3982:
	s_wait_xcnt 0x0
	v_cvt_u16_f16_e32 v4, v1
	global_store_b16 v[2:3], v4, off
.LBB159_3983:
	s_mov_b32 s6, 0
.LBB159_3984:
	s_delay_alu instid0(SALU_CYCLE_1)
	s_and_not1_b32 vcc_lo, exec_lo, s6
	s_cbranch_vccnz .LBB159_3992
; %bb.3985:
	s_wait_xcnt 0x0
	v_cvt_f32_f16_e32 v4, v1
	v_mov_b32_e32 v6, 0x80
	s_mov_b32 s6, exec_lo
	s_delay_alu instid0(VALU_DEP_2) | instskip(NEXT) | instid1(VALU_DEP_1)
	v_and_b32_e32 v5, 0x7fffffff, v4
	v_cmpx_gt_u32_e32 0x43800000, v5
	s_cbranch_execz .LBB159_3991
; %bb.3986:
	v_cmp_lt_u32_e32 vcc_lo, 0x3bffffff, v5
	s_mov_b32 s7, 0
                                        ; implicit-def: $vgpr5
	s_and_saveexec_b32 s8, vcc_lo
	s_delay_alu instid0(SALU_CYCLE_1)
	s_xor_b32 s8, exec_lo, s8
	s_cbranch_execz .LBB159_4212
; %bb.3987:
	v_bfe_u32 v5, v4, 20, 1
	s_mov_b32 s7, exec_lo
	s_delay_alu instid0(VALU_DEP_1) | instskip(NEXT) | instid1(VALU_DEP_1)
	v_add3_u32 v5, v4, v5, 0x487ffff
	v_lshrrev_b32_e32 v5, 20, v5
	s_and_not1_saveexec_b32 s8, s8
	s_cbranch_execnz .LBB159_4213
.LBB159_3988:
	s_or_b32 exec_lo, exec_lo, s8
	v_mov_b32_e32 v6, 0
	s_and_saveexec_b32 s8, s7
.LBB159_3989:
	v_lshrrev_b32_e32 v4, 24, v4
	s_delay_alu instid0(VALU_DEP_1)
	v_and_or_b32 v6, 0x80, v4, v5
.LBB159_3990:
	s_or_b32 exec_lo, exec_lo, s8
.LBB159_3991:
	s_delay_alu instid0(SALU_CYCLE_1)
	s_or_b32 exec_lo, exec_lo, s6
	global_store_b8 v[2:3], v6, off
.LBB159_3992:
	s_mov_b32 s6, -1
.LBB159_3993:
	s_mov_b32 s7, 0
.LBB159_3994:
	s_delay_alu instid0(SALU_CYCLE_1)
	s_and_b32 vcc_lo, exec_lo, s7
	s_cbranch_vccz .LBB159_4034
; %bb.3995:
	s_cmp_gt_i32 s2, 22
	s_mov_b32 s3, -1
	s_cbranch_scc0 .LBB159_4027
; %bb.3996:
	s_cmp_lt_i32 s2, 24
	s_cbranch_scc1 .LBB159_4016
; %bb.3997:
	s_cmp_gt_i32 s2, 24
	s_cbranch_scc0 .LBB159_4005
; %bb.3998:
	s_wait_xcnt 0x0
	v_cvt_f32_f16_e32 v4, v1
	v_mov_b32_e32 v6, 0x80
	s_mov_b32 s3, exec_lo
	s_delay_alu instid0(VALU_DEP_2) | instskip(NEXT) | instid1(VALU_DEP_1)
	v_and_b32_e32 v5, 0x7fffffff, v4
	v_cmpx_gt_u32_e32 0x47800000, v5
	s_cbranch_execz .LBB159_4004
; %bb.3999:
	v_cmp_lt_u32_e32 vcc_lo, 0x37ffffff, v5
	s_mov_b32 s6, 0
                                        ; implicit-def: $vgpr5
	s_and_saveexec_b32 s7, vcc_lo
	s_delay_alu instid0(SALU_CYCLE_1)
	s_xor_b32 s7, exec_lo, s7
	s_cbranch_execz .LBB159_4215
; %bb.4000:
	v_bfe_u32 v5, v4, 21, 1
	s_mov_b32 s6, exec_lo
	s_delay_alu instid0(VALU_DEP_1) | instskip(NEXT) | instid1(VALU_DEP_1)
	v_add3_u32 v5, v4, v5, 0x88fffff
	v_lshrrev_b32_e32 v5, 21, v5
	s_and_not1_saveexec_b32 s7, s7
	s_cbranch_execnz .LBB159_4216
.LBB159_4001:
	s_or_b32 exec_lo, exec_lo, s7
	v_mov_b32_e32 v6, 0
	s_and_saveexec_b32 s7, s6
.LBB159_4002:
	v_lshrrev_b32_e32 v4, 24, v4
	s_delay_alu instid0(VALU_DEP_1)
	v_and_or_b32 v6, 0x80, v4, v5
.LBB159_4003:
	s_or_b32 exec_lo, exec_lo, s7
.LBB159_4004:
	s_delay_alu instid0(SALU_CYCLE_1)
	s_or_b32 exec_lo, exec_lo, s3
	s_mov_b32 s3, 0
	global_store_b8 v[2:3], v6, off
.LBB159_4005:
	s_and_b32 vcc_lo, exec_lo, s3
	s_cbranch_vccz .LBB159_4015
; %bb.4006:
	s_wait_xcnt 0x0
	v_cvt_f32_f16_e32 v4, v1
	s_mov_b32 s3, exec_lo
                                        ; implicit-def: $vgpr5
	s_delay_alu instid0(VALU_DEP_1) | instskip(NEXT) | instid1(VALU_DEP_1)
	v_and_b32_e32 v6, 0x7fffffff, v4
	v_cmpx_gt_u32_e32 0x43f00000, v6
	s_xor_b32 s3, exec_lo, s3
	s_cbranch_execz .LBB159_4012
; %bb.4007:
	s_mov_b32 s6, exec_lo
                                        ; implicit-def: $vgpr5
	v_cmpx_lt_u32_e32 0x3c7fffff, v6
	s_xor_b32 s6, exec_lo, s6
; %bb.4008:
	v_bfe_u32 v5, v4, 20, 1
	s_delay_alu instid0(VALU_DEP_1) | instskip(NEXT) | instid1(VALU_DEP_1)
	v_add3_u32 v5, v4, v5, 0x407ffff
	v_and_b32_e32 v6, 0xff00000, v5
	v_lshrrev_b32_e32 v5, 20, v5
	s_delay_alu instid0(VALU_DEP_2) | instskip(NEXT) | instid1(VALU_DEP_2)
	v_cmp_ne_u32_e32 vcc_lo, 0x7f00000, v6
	v_cndmask_b32_e32 v5, 0x7e, v5, vcc_lo
; %bb.4009:
	s_and_not1_saveexec_b32 s6, s6
; %bb.4010:
	v_add_f32_e64 v5, 0x46800000, |v4|
; %bb.4011:
	s_or_b32 exec_lo, exec_lo, s6
                                        ; implicit-def: $vgpr6
.LBB159_4012:
	s_and_not1_saveexec_b32 s3, s3
; %bb.4013:
	v_mov_b32_e32 v5, 0x7f
	v_cmp_lt_u32_e32 vcc_lo, 0x7f800000, v6
	s_delay_alu instid0(VALU_DEP_2)
	v_cndmask_b32_e32 v5, 0x7e, v5, vcc_lo
; %bb.4014:
	s_or_b32 exec_lo, exec_lo, s3
	v_lshrrev_b32_e32 v4, 24, v4
	s_delay_alu instid0(VALU_DEP_1)
	v_and_or_b32 v4, 0x80, v4, v5
	global_store_b8 v[2:3], v4, off
.LBB159_4015:
	s_mov_b32 s3, 0
.LBB159_4016:
	s_delay_alu instid0(SALU_CYCLE_1)
	s_and_not1_b32 vcc_lo, exec_lo, s3
	s_cbranch_vccnz .LBB159_4026
; %bb.4017:
	s_wait_xcnt 0x0
	v_cvt_f32_f16_e32 v4, v1
	s_mov_b32 s3, exec_lo
                                        ; implicit-def: $vgpr5
	s_delay_alu instid0(VALU_DEP_1) | instskip(NEXT) | instid1(VALU_DEP_1)
	v_and_b32_e32 v6, 0x7fffffff, v4
	v_cmpx_gt_u32_e32 0x47800000, v6
	s_xor_b32 s3, exec_lo, s3
	s_cbranch_execz .LBB159_4023
; %bb.4018:
	s_mov_b32 s6, exec_lo
                                        ; implicit-def: $vgpr5
	v_cmpx_lt_u32_e32 0x387fffff, v6
	s_xor_b32 s6, exec_lo, s6
; %bb.4019:
	v_bfe_u32 v5, v4, 21, 1
	s_delay_alu instid0(VALU_DEP_1) | instskip(NEXT) | instid1(VALU_DEP_1)
	v_add3_u32 v5, v4, v5, 0x80fffff
	v_lshrrev_b32_e32 v5, 21, v5
; %bb.4020:
	s_and_not1_saveexec_b32 s6, s6
; %bb.4021:
	v_add_f32_e64 v5, 0x43000000, |v4|
; %bb.4022:
	s_or_b32 exec_lo, exec_lo, s6
                                        ; implicit-def: $vgpr6
.LBB159_4023:
	s_and_not1_saveexec_b32 s3, s3
; %bb.4024:
	v_mov_b32_e32 v5, 0x7f
	v_cmp_lt_u32_e32 vcc_lo, 0x7f800000, v6
	s_delay_alu instid0(VALU_DEP_2)
	v_cndmask_b32_e32 v5, 0x7c, v5, vcc_lo
; %bb.4025:
	s_or_b32 exec_lo, exec_lo, s3
	v_lshrrev_b32_e32 v4, 24, v4
	s_delay_alu instid0(VALU_DEP_1)
	v_and_or_b32 v4, 0x80, v4, v5
	global_store_b8 v[2:3], v4, off
.LBB159_4026:
	s_mov_b32 s3, 0
	s_mov_b32 s6, -1
.LBB159_4027:
	s_and_not1_b32 vcc_lo, exec_lo, s3
	s_mov_b32 s3, 0
	s_cbranch_vccnz .LBB159_4034
; %bb.4028:
	s_cmp_gt_i32 s2, 14
	s_mov_b32 s3, -1
	s_cbranch_scc0 .LBB159_4032
; %bb.4029:
	s_cmp_eq_u32 s2, 15
	s_mov_b32 s0, -1
	s_cbranch_scc0 .LBB159_4031
; %bb.4030:
	s_wait_xcnt 0x0
	v_cvt_f32_f16_e32 v4, v1
	v_cmp_o_f16_e32 vcc_lo, v1, v1
	s_mov_b32 s0, 0
	s_mov_b32 s6, -1
	s_delay_alu instid0(VALU_DEP_2) | instskip(NEXT) | instid1(VALU_DEP_1)
	v_bfe_u32 v5, v4, 16, 1
	v_add3_u32 v4, v4, v5, 0x7fff
	s_delay_alu instid0(VALU_DEP_1) | instskip(NEXT) | instid1(VALU_DEP_1)
	v_lshrrev_b32_e32 v4, 16, v4
	v_cndmask_b32_e32 v4, 0x7fc0, v4, vcc_lo
	global_store_b16 v[2:3], v4, off
.LBB159_4031:
	s_mov_b32 s3, 0
.LBB159_4032:
	s_delay_alu instid0(SALU_CYCLE_1)
	s_and_b32 vcc_lo, exec_lo, s3
	s_mov_b32 s3, 0
	s_cbranch_vccz .LBB159_4034
; %bb.4033:
	s_cmp_lg_u32 s2, 11
	s_mov_b32 s3, -1
	s_cselect_b32 s0, -1, 0
.LBB159_4034:
	s_delay_alu instid0(SALU_CYCLE_1)
	s_and_b32 vcc_lo, exec_lo, s0
	s_cbranch_vccnz .LBB159_4214
; %bb.4035:
	s_and_not1_b32 vcc_lo, exec_lo, s3
	s_cbranch_vccnz .LBB159_4037
.LBB159_4036:
	s_wait_xcnt 0x0
	v_and_b32_e32 v4, 0x7fff, v1
	s_mov_b32 s6, -1
	s_delay_alu instid0(VALU_DEP_1)
	v_cmp_ne_u16_e32 vcc_lo, 0, v4
	v_cndmask_b32_e64 v4, 0, 1, vcc_lo
	global_store_b8 v[2:3], v4, off
.LBB159_4037:
	s_mov_b32 s0, 0
	s_branch .LBB159_4039
.LBB159_4038:
	s_mov_b32 s0, -1
	s_mov_b32 s6, 0
.LBB159_4039:
	s_and_b32 vcc_lo, exec_lo, s0
	s_cbranch_vccz .LBB159_4078
; %bb.4040:
	s_cmp_lt_i32 s2, 5
	s_mov_b32 s0, -1
	s_cbranch_scc1 .LBB159_4061
; %bb.4041:
	s_cmp_lt_i32 s2, 8
	s_cbranch_scc1 .LBB159_4051
; %bb.4042:
	s_cmp_lt_i32 s2, 9
	s_cbranch_scc1 .LBB159_4048
; %bb.4043:
	s_cmp_gt_i32 s2, 9
	s_cbranch_scc0 .LBB159_4045
; %bb.4044:
	s_wait_xcnt 0x0
	v_cvt_f32_f16_e32 v4, v1
	v_mov_b32_e32 v6, 0
	s_mov_b32 s0, 0
	s_delay_alu instid0(VALU_DEP_2) | instskip(NEXT) | instid1(VALU_DEP_2)
	v_cvt_f64_f32_e32 v[4:5], v4
	v_mov_b32_e32 v7, v6
	global_store_b128 v[2:3], v[4:7], off
.LBB159_4045:
	s_and_not1_b32 vcc_lo, exec_lo, s0
	s_cbranch_vccnz .LBB159_4047
; %bb.4046:
	s_wait_xcnt 0x0
	v_cvt_f32_f16_e32 v4, v1
	v_mov_b32_e32 v5, 0
	global_store_b64 v[2:3], v[4:5], off
.LBB159_4047:
	s_mov_b32 s0, 0
.LBB159_4048:
	s_delay_alu instid0(SALU_CYCLE_1)
	s_and_not1_b32 vcc_lo, exec_lo, s0
	s_cbranch_vccnz .LBB159_4050
; %bb.4049:
	s_wait_xcnt 0x0
	v_and_b32_e32 v4, 0xffff, v1
	global_store_b32 v[2:3], v4, off
.LBB159_4050:
	s_mov_b32 s0, 0
.LBB159_4051:
	s_delay_alu instid0(SALU_CYCLE_1)
	s_and_not1_b32 vcc_lo, exec_lo, s0
	s_cbranch_vccnz .LBB159_4060
; %bb.4052:
	s_cmp_lt_i32 s2, 6
	s_mov_b32 s0, -1
	s_cbranch_scc1 .LBB159_4058
; %bb.4053:
	s_cmp_gt_i32 s2, 6
	s_cbranch_scc0 .LBB159_4055
; %bb.4054:
	s_wait_xcnt 0x0
	v_cvt_f32_f16_e32 v4, v1
	s_mov_b32 s0, 0
	s_delay_alu instid0(VALU_DEP_1)
	v_cvt_f64_f32_e32 v[4:5], v4
	global_store_b64 v[2:3], v[4:5], off
.LBB159_4055:
	s_and_not1_b32 vcc_lo, exec_lo, s0
	s_cbranch_vccnz .LBB159_4057
; %bb.4056:
	s_wait_xcnt 0x0
	v_cvt_f32_f16_e32 v4, v1
	global_store_b32 v[2:3], v4, off
.LBB159_4057:
	s_mov_b32 s0, 0
.LBB159_4058:
	s_delay_alu instid0(SALU_CYCLE_1)
	s_and_not1_b32 vcc_lo, exec_lo, s0
	s_cbranch_vccnz .LBB159_4060
; %bb.4059:
	global_store_b16 v[2:3], v1, off
.LBB159_4060:
	s_mov_b32 s0, 0
.LBB159_4061:
	s_delay_alu instid0(SALU_CYCLE_1)
	s_and_not1_b32 vcc_lo, exec_lo, s0
	s_cbranch_vccnz .LBB159_4077
; %bb.4062:
	s_cmp_lt_i32 s2, 2
	s_mov_b32 s0, -1
	s_cbranch_scc1 .LBB159_4072
; %bb.4063:
	s_cmp_lt_i32 s2, 3
	s_cbranch_scc1 .LBB159_4069
; %bb.4064:
	s_cmp_gt_i32 s2, 3
	s_cbranch_scc0 .LBB159_4066
; %bb.4065:
	s_wait_xcnt 0x0
	v_cvt_f32_f16_e32 v4, v1
	s_mov_b32 s0, 0
	s_delay_alu instid0(VALU_DEP_1) | instskip(NEXT) | instid1(VALU_DEP_1)
	v_cvt_i32_f32_e32 v4, v4
	v_ashrrev_i32_e32 v5, 31, v4
	global_store_b64 v[2:3], v[4:5], off
.LBB159_4066:
	s_and_not1_b32 vcc_lo, exec_lo, s0
	s_cbranch_vccnz .LBB159_4068
; %bb.4067:
	s_wait_xcnt 0x0
	v_cvt_f32_f16_e32 v4, v1
	s_delay_alu instid0(VALU_DEP_1)
	v_cvt_i32_f32_e32 v4, v4
	global_store_b32 v[2:3], v4, off
.LBB159_4068:
	s_mov_b32 s0, 0
.LBB159_4069:
	s_delay_alu instid0(SALU_CYCLE_1)
	s_and_not1_b32 vcc_lo, exec_lo, s0
	s_cbranch_vccnz .LBB159_4071
; %bb.4070:
	s_wait_xcnt 0x0
	v_cvt_i16_f16_e32 v4, v1
	global_store_b16 v[2:3], v4, off
.LBB159_4071:
	s_mov_b32 s0, 0
.LBB159_4072:
	s_delay_alu instid0(SALU_CYCLE_1)
	s_and_not1_b32 vcc_lo, exec_lo, s0
	s_cbranch_vccnz .LBB159_4077
; %bb.4073:
	s_cmp_gt_i32 s2, 0
	s_mov_b32 s0, -1
	s_cbranch_scc0 .LBB159_4075
; %bb.4074:
	s_wait_xcnt 0x0
	v_cvt_i16_f16_e32 v4, v1
	s_mov_b32 s0, 0
	global_store_b8 v[2:3], v4, off
.LBB159_4075:
	s_and_not1_b32 vcc_lo, exec_lo, s0
	s_cbranch_vccnz .LBB159_4077
; %bb.4076:
	s_wait_xcnt 0x0
	v_cvt_f32_f16_e32 v1, v1
	s_delay_alu instid0(VALU_DEP_1)
	v_cvt_i32_f32_e32 v1, v1
	global_store_b8 v[2:3], v1, off
.LBB159_4077:
	s_mov_b32 s6, -1
.LBB159_4078:
	s_delay_alu instid0(SALU_CYCLE_1)
	s_and_not1_b32 vcc_lo, exec_lo, s6
	s_cbranch_vccnz .LBB159_4155
; %bb.4079:
	v_cmp_gt_f16_e32 vcc_lo, v14, v12
	s_cmp_lt_i32 s2, 11
	s_wait_xcnt 0x0
	v_cndmask_b32_e32 v1, v12, v14, vcc_lo
	s_delay_alu instid0(VALU_DEP_1) | instskip(SKIP_2) | instid1(VALU_DEP_2)
	v_cmp_lt_f16_e32 vcc_lo, v1, v10
	v_cndmask_b32_e32 v1, v10, v1, vcc_lo
	v_cmp_u_f16_e32 vcc_lo, v10, v10
	v_dual_cndmask_b32 v2, v1, v10 :: v_dual_mov_b32 v1, 0
	v_cmp_u_f16_e32 vcc_lo, v12, v12
	s_delay_alu instid0(VALU_DEP_2) | instskip(SKIP_1) | instid1(VALU_DEP_4)
	v_cndmask_b32_e32 v4, v2, v12, vcc_lo
	v_cmp_u_f16_e32 vcc_lo, v14, v14
	v_add_nc_u64_e32 v[2:3], s[4:5], v[0:1]
	s_delay_alu instid0(VALU_DEP_3)
	v_cndmask_b32_e32 v1, v4, v14, vcc_lo
	s_cbranch_scc1 .LBB159_4200
; %bb.4080:
	s_mov_b32 s4, -1
	s_mov_b32 s3, 0
	s_cmp_gt_i32 s2, 25
	s_mov_b32 s0, 0
	s_cbranch_scc0 .LBB159_4113
; %bb.4081:
	s_cmp_gt_i32 s2, 28
	s_cbranch_scc0 .LBB159_4097
; %bb.4082:
	s_cmp_gt_i32 s2, 43
	;; [unrolled: 3-line block ×3, first 2 shown]
	s_cbranch_scc0 .LBB159_4087
; %bb.4084:
	s_cmp_eq_u32 s2, 46
	s_mov_b32 s0, -1
	s_cbranch_scc0 .LBB159_4086
; %bb.4085:
	v_cvt_f32_f16_e32 v0, v1
	v_cmp_o_f16_e32 vcc_lo, v1, v1
	s_mov_b32 s0, 0
	s_delay_alu instid0(VALU_DEP_2) | instskip(NEXT) | instid1(VALU_DEP_1)
	v_bfe_u32 v4, v0, 16, 1
	v_add3_u32 v0, v0, v4, 0x7fff
	s_delay_alu instid0(VALU_DEP_1) | instskip(NEXT) | instid1(VALU_DEP_1)
	v_lshrrev_b32_e32 v0, 16, v0
	v_cndmask_b32_e32 v0, 0x7fc0, v0, vcc_lo
	global_store_b32 v[2:3], v0, off
.LBB159_4086:
	s_mov_b32 s4, 0
.LBB159_4087:
	s_delay_alu instid0(SALU_CYCLE_1)
	s_and_b32 vcc_lo, exec_lo, s4
	s_cbranch_vccz .LBB159_4092
; %bb.4088:
	s_cmp_eq_u32 s2, 44
	s_mov_b32 s0, -1
	s_cbranch_scc0 .LBB159_4092
; %bb.4089:
	s_wait_xcnt 0x0
	v_cvt_f32_f16_e32 v0, v1
	v_mov_b32_e32 v4, 0xff
	s_mov_b32 s4, exec_lo
	s_delay_alu instid0(VALU_DEP_2) | instskip(NEXT) | instid1(VALU_DEP_1)
	v_bfe_u32 v5, v0, 23, 8
	v_cmpx_ne_u32_e32 0xff, v5
	s_cbranch_execz .LBB159_4091
; %bb.4090:
	v_and_b32_e32 v4, 0x400000, v0
	v_and_or_b32 v5, 0x3fffff, v0, v5
	v_lshrrev_b32_e32 v0, 23, v0
	s_delay_alu instid0(VALU_DEP_3) | instskip(NEXT) | instid1(VALU_DEP_3)
	v_cmp_ne_u32_e32 vcc_lo, 0, v4
	v_cmp_ne_u32_e64 s0, 0, v5
	s_and_b32 s0, vcc_lo, s0
	s_delay_alu instid0(SALU_CYCLE_1) | instskip(NEXT) | instid1(VALU_DEP_1)
	v_cndmask_b32_e64 v4, 0, 1, s0
	v_add_nc_u32_e32 v4, v0, v4
.LBB159_4091:
	s_or_b32 exec_lo, exec_lo, s4
	s_mov_b32 s0, 0
	global_store_b8 v[2:3], v4, off
.LBB159_4092:
	s_mov_b32 s4, 0
.LBB159_4093:
	s_delay_alu instid0(SALU_CYCLE_1)
	s_and_b32 vcc_lo, exec_lo, s4
	s_cbranch_vccz .LBB159_4096
; %bb.4094:
	s_cmp_eq_u32 s2, 29
	s_mov_b32 s0, -1
	s_cbranch_scc0 .LBB159_4096
; %bb.4095:
	s_wait_xcnt 0x0
	v_cvt_f32_f16_e32 v0, v1
	v_mov_b32_e32 v5, 0
	s_mov_b32 s0, 0
	s_delay_alu instid0(VALU_DEP_2)
	v_cvt_u32_f32_e32 v4, v0
	global_store_b64 v[2:3], v[4:5], off
.LBB159_4096:
	s_mov_b32 s4, 0
.LBB159_4097:
	s_delay_alu instid0(SALU_CYCLE_1)
	s_and_b32 vcc_lo, exec_lo, s4
	s_cbranch_vccz .LBB159_4112
; %bb.4098:
	s_cmp_lt_i32 s2, 27
	s_mov_b32 s4, -1
	s_cbranch_scc1 .LBB159_4104
; %bb.4099:
	s_cmp_gt_i32 s2, 27
	s_cbranch_scc0 .LBB159_4101
; %bb.4100:
	s_wait_xcnt 0x0
	v_cvt_f32_f16_e32 v0, v1
	s_mov_b32 s4, 0
	s_delay_alu instid0(VALU_DEP_1)
	v_cvt_u32_f32_e32 v0, v0
	global_store_b32 v[2:3], v0, off
.LBB159_4101:
	s_and_not1_b32 vcc_lo, exec_lo, s4
	s_cbranch_vccnz .LBB159_4103
; %bb.4102:
	s_wait_xcnt 0x0
	v_cvt_u16_f16_e32 v0, v1
	global_store_b16 v[2:3], v0, off
.LBB159_4103:
	s_mov_b32 s4, 0
.LBB159_4104:
	s_delay_alu instid0(SALU_CYCLE_1)
	s_and_not1_b32 vcc_lo, exec_lo, s4
	s_cbranch_vccnz .LBB159_4112
; %bb.4105:
	s_wait_xcnt 0x0
	v_cvt_f32_f16_e32 v0, v1
	v_mov_b32_e32 v5, 0x80
	s_mov_b32 s4, exec_lo
	s_delay_alu instid0(VALU_DEP_2) | instskip(NEXT) | instid1(VALU_DEP_1)
	v_and_b32_e32 v4, 0x7fffffff, v0
	v_cmpx_gt_u32_e32 0x43800000, v4
	s_cbranch_execz .LBB159_4111
; %bb.4106:
	v_cmp_lt_u32_e32 vcc_lo, 0x3bffffff, v4
	s_mov_b32 s5, 0
                                        ; implicit-def: $vgpr4
	s_and_saveexec_b32 s6, vcc_lo
	s_delay_alu instid0(SALU_CYCLE_1)
	s_xor_b32 s6, exec_lo, s6
	s_cbranch_execz .LBB159_4217
; %bb.4107:
	v_bfe_u32 v4, v0, 20, 1
	s_mov_b32 s5, exec_lo
	s_delay_alu instid0(VALU_DEP_1) | instskip(NEXT) | instid1(VALU_DEP_1)
	v_add3_u32 v4, v0, v4, 0x487ffff
	v_lshrrev_b32_e32 v4, 20, v4
	s_and_not1_saveexec_b32 s6, s6
	s_cbranch_execnz .LBB159_4218
.LBB159_4108:
	s_or_b32 exec_lo, exec_lo, s6
	v_mov_b32_e32 v5, 0
	s_and_saveexec_b32 s6, s5
.LBB159_4109:
	v_lshrrev_b32_e32 v0, 24, v0
	s_delay_alu instid0(VALU_DEP_1)
	v_and_or_b32 v5, 0x80, v0, v4
.LBB159_4110:
	s_or_b32 exec_lo, exec_lo, s6
.LBB159_4111:
	s_delay_alu instid0(SALU_CYCLE_1)
	s_or_b32 exec_lo, exec_lo, s4
	global_store_b8 v[2:3], v5, off
.LBB159_4112:
	s_mov_b32 s4, 0
.LBB159_4113:
	s_delay_alu instid0(SALU_CYCLE_1)
	s_and_b32 vcc_lo, exec_lo, s4
	s_cbranch_vccz .LBB159_4153
; %bb.4114:
	s_cmp_gt_i32 s2, 22
	s_mov_b32 s3, -1
	s_cbranch_scc0 .LBB159_4146
; %bb.4115:
	s_cmp_lt_i32 s2, 24
	s_cbranch_scc1 .LBB159_4135
; %bb.4116:
	s_cmp_gt_i32 s2, 24
	s_cbranch_scc0 .LBB159_4124
; %bb.4117:
	s_wait_xcnt 0x0
	v_cvt_f32_f16_e32 v0, v1
	v_mov_b32_e32 v5, 0x80
	s_mov_b32 s3, exec_lo
	s_delay_alu instid0(VALU_DEP_2) | instskip(NEXT) | instid1(VALU_DEP_1)
	v_and_b32_e32 v4, 0x7fffffff, v0
	v_cmpx_gt_u32_e32 0x47800000, v4
	s_cbranch_execz .LBB159_4123
; %bb.4118:
	v_cmp_lt_u32_e32 vcc_lo, 0x37ffffff, v4
	s_mov_b32 s4, 0
                                        ; implicit-def: $vgpr4
	s_and_saveexec_b32 s5, vcc_lo
	s_delay_alu instid0(SALU_CYCLE_1)
	s_xor_b32 s5, exec_lo, s5
	s_cbranch_execz .LBB159_4220
; %bb.4119:
	v_bfe_u32 v4, v0, 21, 1
	s_mov_b32 s4, exec_lo
	s_delay_alu instid0(VALU_DEP_1) | instskip(NEXT) | instid1(VALU_DEP_1)
	v_add3_u32 v4, v0, v4, 0x88fffff
	v_lshrrev_b32_e32 v4, 21, v4
	s_and_not1_saveexec_b32 s5, s5
	s_cbranch_execnz .LBB159_4221
.LBB159_4120:
	s_or_b32 exec_lo, exec_lo, s5
	v_mov_b32_e32 v5, 0
	s_and_saveexec_b32 s5, s4
.LBB159_4121:
	v_lshrrev_b32_e32 v0, 24, v0
	s_delay_alu instid0(VALU_DEP_1)
	v_and_or_b32 v5, 0x80, v0, v4
.LBB159_4122:
	s_or_b32 exec_lo, exec_lo, s5
.LBB159_4123:
	s_delay_alu instid0(SALU_CYCLE_1)
	s_or_b32 exec_lo, exec_lo, s3
	s_mov_b32 s3, 0
	global_store_b8 v[2:3], v5, off
.LBB159_4124:
	s_and_b32 vcc_lo, exec_lo, s3
	s_cbranch_vccz .LBB159_4134
; %bb.4125:
	s_wait_xcnt 0x0
	v_cvt_f32_f16_e32 v0, v1
	s_mov_b32 s3, exec_lo
                                        ; implicit-def: $vgpr4
	s_delay_alu instid0(VALU_DEP_1) | instskip(NEXT) | instid1(VALU_DEP_1)
	v_and_b32_e32 v5, 0x7fffffff, v0
	v_cmpx_gt_u32_e32 0x43f00000, v5
	s_xor_b32 s3, exec_lo, s3
	s_cbranch_execz .LBB159_4131
; %bb.4126:
	s_mov_b32 s4, exec_lo
                                        ; implicit-def: $vgpr4
	v_cmpx_lt_u32_e32 0x3c7fffff, v5
	s_xor_b32 s4, exec_lo, s4
; %bb.4127:
	v_bfe_u32 v4, v0, 20, 1
	s_delay_alu instid0(VALU_DEP_1) | instskip(NEXT) | instid1(VALU_DEP_1)
	v_add3_u32 v4, v0, v4, 0x407ffff
	v_and_b32_e32 v5, 0xff00000, v4
	v_lshrrev_b32_e32 v4, 20, v4
	s_delay_alu instid0(VALU_DEP_2) | instskip(NEXT) | instid1(VALU_DEP_2)
	v_cmp_ne_u32_e32 vcc_lo, 0x7f00000, v5
	v_cndmask_b32_e32 v4, 0x7e, v4, vcc_lo
; %bb.4128:
	s_and_not1_saveexec_b32 s4, s4
; %bb.4129:
	v_add_f32_e64 v4, 0x46800000, |v0|
; %bb.4130:
	s_or_b32 exec_lo, exec_lo, s4
                                        ; implicit-def: $vgpr5
.LBB159_4131:
	s_and_not1_saveexec_b32 s3, s3
; %bb.4132:
	v_mov_b32_e32 v4, 0x7f
	v_cmp_lt_u32_e32 vcc_lo, 0x7f800000, v5
	s_delay_alu instid0(VALU_DEP_2)
	v_cndmask_b32_e32 v4, 0x7e, v4, vcc_lo
; %bb.4133:
	s_or_b32 exec_lo, exec_lo, s3
	v_lshrrev_b32_e32 v0, 24, v0
	s_delay_alu instid0(VALU_DEP_1)
	v_and_or_b32 v0, 0x80, v0, v4
	global_store_b8 v[2:3], v0, off
.LBB159_4134:
	s_mov_b32 s3, 0
.LBB159_4135:
	s_delay_alu instid0(SALU_CYCLE_1)
	s_and_not1_b32 vcc_lo, exec_lo, s3
	s_cbranch_vccnz .LBB159_4145
; %bb.4136:
	s_wait_xcnt 0x0
	v_cvt_f32_f16_e32 v0, v1
	s_mov_b32 s3, exec_lo
                                        ; implicit-def: $vgpr4
	s_delay_alu instid0(VALU_DEP_1) | instskip(NEXT) | instid1(VALU_DEP_1)
	v_and_b32_e32 v5, 0x7fffffff, v0
	v_cmpx_gt_u32_e32 0x47800000, v5
	s_xor_b32 s3, exec_lo, s3
	s_cbranch_execz .LBB159_4142
; %bb.4137:
	s_mov_b32 s4, exec_lo
                                        ; implicit-def: $vgpr4
	v_cmpx_lt_u32_e32 0x387fffff, v5
	s_xor_b32 s4, exec_lo, s4
; %bb.4138:
	v_bfe_u32 v4, v0, 21, 1
	s_delay_alu instid0(VALU_DEP_1) | instskip(NEXT) | instid1(VALU_DEP_1)
	v_add3_u32 v4, v0, v4, 0x80fffff
	v_lshrrev_b32_e32 v4, 21, v4
; %bb.4139:
	s_and_not1_saveexec_b32 s4, s4
; %bb.4140:
	v_add_f32_e64 v4, 0x43000000, |v0|
; %bb.4141:
	s_or_b32 exec_lo, exec_lo, s4
                                        ; implicit-def: $vgpr5
.LBB159_4142:
	s_and_not1_saveexec_b32 s3, s3
; %bb.4143:
	v_mov_b32_e32 v4, 0x7f
	v_cmp_lt_u32_e32 vcc_lo, 0x7f800000, v5
	s_delay_alu instid0(VALU_DEP_2)
	v_cndmask_b32_e32 v4, 0x7c, v4, vcc_lo
; %bb.4144:
	s_or_b32 exec_lo, exec_lo, s3
	v_lshrrev_b32_e32 v0, 24, v0
	s_delay_alu instid0(VALU_DEP_1)
	v_and_or_b32 v0, 0x80, v0, v4
	global_store_b8 v[2:3], v0, off
.LBB159_4145:
	s_mov_b32 s3, 0
.LBB159_4146:
	s_delay_alu instid0(SALU_CYCLE_1)
	s_and_not1_b32 vcc_lo, exec_lo, s3
	s_mov_b32 s3, 0
	s_cbranch_vccnz .LBB159_4153
; %bb.4147:
	s_cmp_gt_i32 s2, 14
	s_mov_b32 s3, -1
	s_cbranch_scc0 .LBB159_4151
; %bb.4148:
	s_cmp_eq_u32 s2, 15
	s_mov_b32 s0, -1
	s_cbranch_scc0 .LBB159_4150
; %bb.4149:
	s_wait_xcnt 0x0
	v_cvt_f32_f16_e32 v0, v1
	v_cmp_o_f16_e32 vcc_lo, v1, v1
	s_mov_b32 s0, 0
	s_delay_alu instid0(VALU_DEP_2) | instskip(NEXT) | instid1(VALU_DEP_1)
	v_bfe_u32 v4, v0, 16, 1
	v_add3_u32 v0, v0, v4, 0x7fff
	s_delay_alu instid0(VALU_DEP_1) | instskip(NEXT) | instid1(VALU_DEP_1)
	v_lshrrev_b32_e32 v0, 16, v0
	v_cndmask_b32_e32 v0, 0x7fc0, v0, vcc_lo
	global_store_b16 v[2:3], v0, off
.LBB159_4150:
	s_mov_b32 s3, 0
.LBB159_4151:
	s_delay_alu instid0(SALU_CYCLE_1)
	s_and_b32 vcc_lo, exec_lo, s3
	s_mov_b32 s3, 0
	s_cbranch_vccz .LBB159_4153
; %bb.4152:
	s_cmp_lg_u32 s2, 11
	s_mov_b32 s3, -1
	s_cselect_b32 s0, -1, 0
.LBB159_4153:
	s_delay_alu instid0(SALU_CYCLE_1)
	s_and_b32 vcc_lo, exec_lo, s0
	s_cbranch_vccnz .LBB159_4219
.LBB159_4154:
	s_mov_b32 s0, 0
	s_branch .LBB159_4156
.LBB159_4155:
	s_mov_b32 s0, 0
	s_mov_b32 s3, 0
                                        ; implicit-def: $vgpr2_vgpr3
                                        ; implicit-def: $sgpr1
                                        ; implicit-def: $vgpr1
.LBB159_4156:
	s_and_not1_b32 s2, s10, exec_lo
	s_and_b32 s4, s12, exec_lo
	s_and_b32 s0, s0, exec_lo
	;; [unrolled: 1-line block ×3, first 2 shown]
	s_or_b32 s10, s2, s4
.LBB159_4157:
	s_wait_xcnt 0x0
	s_or_b32 exec_lo, exec_lo, s11
	s_and_saveexec_b32 s2, s10
	s_cbranch_execz .LBB159_4160
; %bb.4158:
	; divergent unreachable
	s_or_b32 exec_lo, exec_lo, s2
	s_and_saveexec_b32 s2, s35
	s_delay_alu instid0(SALU_CYCLE_1)
	s_xor_b32 s2, exec_lo, s2
	s_cbranch_execnz .LBB159_4161
.LBB159_4159:
	s_or_b32 exec_lo, exec_lo, s2
	s_and_saveexec_b32 s2, s0
	s_cbranch_execnz .LBB159_4162
	s_branch .LBB159_4199
.LBB159_4160:
	s_or_b32 exec_lo, exec_lo, s2
	s_and_saveexec_b32 s2, s35
	s_delay_alu instid0(SALU_CYCLE_1)
	s_xor_b32 s2, exec_lo, s2
	s_cbranch_execz .LBB159_4159
.LBB159_4161:
	s_wait_loadcnt 0x0
	v_and_b32_e32 v0, 0x7fff, v1
	s_delay_alu instid0(VALU_DEP_1)
	v_cmp_ne_u16_e32 vcc_lo, 0, v0
	v_cndmask_b32_e64 v0, 0, 1, vcc_lo
	global_store_b8 v[2:3], v0, off
	s_wait_xcnt 0x0
	s_or_b32 exec_lo, exec_lo, s2
	s_and_saveexec_b32 s2, s0
	s_cbranch_execz .LBB159_4199
.LBB159_4162:
	s_sext_i32_i16 s2, s1
	s_mov_b32 s0, -1
	s_cmp_lt_i32 s2, 5
	s_cbranch_scc1 .LBB159_4183
; %bb.4163:
	s_cmp_lt_i32 s2, 8
	s_cbranch_scc1 .LBB159_4173
; %bb.4164:
	;; [unrolled: 3-line block ×3, first 2 shown]
	s_cmp_gt_i32 s2, 9
	s_cbranch_scc0 .LBB159_4167
; %bb.4166:
	s_wait_loadcnt 0x0
	v_cvt_f32_f16_e32 v0, v1
	v_mov_b32_e32 v6, 0
	s_mov_b32 s0, 0
	s_delay_alu instid0(VALU_DEP_2) | instskip(NEXT) | instid1(VALU_DEP_2)
	v_cvt_f64_f32_e32 v[4:5], v0
	v_mov_b32_e32 v7, v6
	global_store_b128 v[2:3], v[4:7], off
.LBB159_4167:
	s_and_not1_b32 vcc_lo, exec_lo, s0
	s_cbranch_vccnz .LBB159_4169
; %bb.4168:
	s_wait_loadcnt 0x0
	v_cvt_f32_f16_e32 v4, v1
	v_mov_b32_e32 v5, 0
	global_store_b64 v[2:3], v[4:5], off
.LBB159_4169:
	s_mov_b32 s0, 0
.LBB159_4170:
	s_delay_alu instid0(SALU_CYCLE_1)
	s_and_not1_b32 vcc_lo, exec_lo, s0
	s_cbranch_vccnz .LBB159_4172
; %bb.4171:
	s_wait_loadcnt 0x0
	v_and_b32_e32 v0, 0xffff, v1
	global_store_b32 v[2:3], v0, off
.LBB159_4172:
	s_mov_b32 s0, 0
.LBB159_4173:
	s_delay_alu instid0(SALU_CYCLE_1)
	s_and_not1_b32 vcc_lo, exec_lo, s0
	s_cbranch_vccnz .LBB159_4182
; %bb.4174:
	s_sext_i32_i16 s2, s1
	s_mov_b32 s0, -1
	s_cmp_lt_i32 s2, 6
	s_cbranch_scc1 .LBB159_4180
; %bb.4175:
	s_cmp_gt_i32 s2, 6
	s_cbranch_scc0 .LBB159_4177
; %bb.4176:
	s_wait_loadcnt 0x0
	v_cvt_f32_f16_e32 v0, v1
	s_mov_b32 s0, 0
	s_delay_alu instid0(VALU_DEP_1)
	v_cvt_f64_f32_e32 v[4:5], v0
	global_store_b64 v[2:3], v[4:5], off
.LBB159_4177:
	s_and_not1_b32 vcc_lo, exec_lo, s0
	s_cbranch_vccnz .LBB159_4179
; %bb.4178:
	s_wait_loadcnt 0x0
	v_cvt_f32_f16_e32 v0, v1
	global_store_b32 v[2:3], v0, off
.LBB159_4179:
	s_mov_b32 s0, 0
.LBB159_4180:
	s_delay_alu instid0(SALU_CYCLE_1)
	s_and_not1_b32 vcc_lo, exec_lo, s0
	s_cbranch_vccnz .LBB159_4182
; %bb.4181:
	s_wait_loadcnt 0x0
	global_store_b16 v[2:3], v1, off
.LBB159_4182:
	s_mov_b32 s0, 0
.LBB159_4183:
	s_delay_alu instid0(SALU_CYCLE_1)
	s_and_not1_b32 vcc_lo, exec_lo, s0
	s_cbranch_vccnz .LBB159_4199
; %bb.4184:
	s_sext_i32_i16 s2, s1
	s_mov_b32 s0, -1
	s_cmp_lt_i32 s2, 2
	s_cbranch_scc1 .LBB159_4194
; %bb.4185:
	s_cmp_lt_i32 s2, 3
	s_cbranch_scc1 .LBB159_4191
; %bb.4186:
	s_cmp_gt_i32 s2, 3
	s_cbranch_scc0 .LBB159_4188
; %bb.4187:
	s_wait_loadcnt 0x0
	v_cvt_f32_f16_e32 v0, v1
	s_mov_b32 s0, 0
	s_delay_alu instid0(VALU_DEP_1) | instskip(NEXT) | instid1(VALU_DEP_1)
	v_cvt_i32_f32_e32 v4, v0
	v_ashrrev_i32_e32 v5, 31, v4
	global_store_b64 v[2:3], v[4:5], off
.LBB159_4188:
	s_and_not1_b32 vcc_lo, exec_lo, s0
	s_cbranch_vccnz .LBB159_4190
; %bb.4189:
	s_wait_loadcnt 0x0
	v_cvt_f32_f16_e32 v0, v1
	s_delay_alu instid0(VALU_DEP_1)
	v_cvt_i32_f32_e32 v0, v0
	global_store_b32 v[2:3], v0, off
.LBB159_4190:
	s_mov_b32 s0, 0
.LBB159_4191:
	s_delay_alu instid0(SALU_CYCLE_1)
	s_and_not1_b32 vcc_lo, exec_lo, s0
	s_cbranch_vccnz .LBB159_4193
; %bb.4192:
	s_wait_loadcnt 0x0
	v_cvt_i16_f16_e32 v0, v1
	global_store_b16 v[2:3], v0, off
.LBB159_4193:
	s_mov_b32 s0, 0
.LBB159_4194:
	s_delay_alu instid0(SALU_CYCLE_1)
	s_and_not1_b32 vcc_lo, exec_lo, s0
	s_cbranch_vccnz .LBB159_4199
; %bb.4195:
	s_sext_i32_i16 s0, s1
	s_delay_alu instid0(SALU_CYCLE_1)
	s_cmp_gt_i32 s0, 0
	s_mov_b32 s0, -1
	s_cbranch_scc0 .LBB159_4197
; %bb.4196:
	s_wait_loadcnt 0x0
	v_cvt_i16_f16_e32 v0, v1
	s_mov_b32 s0, 0
	global_store_b8 v[2:3], v0, off
.LBB159_4197:
	s_and_not1_b32 vcc_lo, exec_lo, s0
	s_cbranch_vccnz .LBB159_4199
; %bb.4198:
	s_wait_loadcnt 0x0
	v_cvt_f32_f16_e32 v0, v1
	s_delay_alu instid0(VALU_DEP_1)
	v_cvt_i32_f32_e32 v0, v0
	global_store_b8 v[2:3], v0, off
	s_endpgm
.LBB159_4199:
	s_endpgm
.LBB159_4200:
	s_mov_b32 s3, 0
	s_mov_b32 s0, -1
	s_branch .LBB159_4156
.LBB159_4201:
	s_or_b32 s12, s12, exec_lo
	s_trap 2
	s_cbranch_execz .LBB159_3670
	s_branch .LBB159_3671
.LBB159_4202:
	s_and_not1_saveexec_b32 s8, s8
	s_cbranch_execz .LBB159_3750
.LBB159_4203:
	v_add_f32_e64 v5, 0x46000000, |v3|
	s_and_not1_b32 s7, s7, exec_lo
	s_delay_alu instid0(VALU_DEP_1) | instskip(NEXT) | instid1(VALU_DEP_1)
	v_and_b32_e32 v5, 0xff, v5
	v_cmp_ne_u32_e32 vcc_lo, 0, v5
	s_and_b32 s9, vcc_lo, exec_lo
	s_delay_alu instid0(SALU_CYCLE_1)
	s_or_b32 s7, s7, s9
	s_or_b32 exec_lo, exec_lo, s8
	v_mov_b32_e32 v8, 0
	s_and_saveexec_b32 s8, s7
	s_cbranch_execnz .LBB159_3751
	s_branch .LBB159_3752
.LBB159_4204:
	s_or_b32 s12, s12, exec_lo
	s_trap 2
	s_cbranch_execz .LBB159_3798
	s_branch .LBB159_3799
.LBB159_4205:
	s_and_not1_saveexec_b32 s7, s7
	s_cbranch_execz .LBB159_3763
.LBB159_4206:
	v_add_f32_e64 v5, 0x42800000, |v3|
	s_and_not1_b32 s6, s6, exec_lo
	s_delay_alu instid0(VALU_DEP_1) | instskip(NEXT) | instid1(VALU_DEP_1)
	v_and_b32_e32 v5, 0xff, v5
	v_cmp_ne_u32_e32 vcc_lo, 0, v5
	s_and_b32 s8, vcc_lo, exec_lo
	s_delay_alu instid0(SALU_CYCLE_1)
	s_or_b32 s6, s6, s8
	s_or_b32 exec_lo, exec_lo, s7
	v_mov_b32_e32 v8, 0
	s_and_saveexec_b32 s7, s6
	s_cbranch_execnz .LBB159_3764
	s_branch .LBB159_3765
.LBB159_4207:
	s_and_not1_saveexec_b32 s8, s8
	s_cbranch_execz .LBB159_3869
.LBB159_4208:
	v_add_f32_e64 v6, 0x46000000, |v3|
	s_and_not1_b32 s7, s7, exec_lo
	s_delay_alu instid0(VALU_DEP_1) | instskip(NEXT) | instid1(VALU_DEP_1)
	v_and_b32_e32 v6, 0xff, v6
	v_cmp_ne_u32_e32 vcc_lo, 0, v6
	s_and_b32 s9, vcc_lo, exec_lo
	s_delay_alu instid0(SALU_CYCLE_1)
	s_or_b32 s7, s7, s9
	s_or_b32 exec_lo, exec_lo, s8
	v_mov_b32_e32 v7, 0
	s_and_saveexec_b32 s8, s7
	s_cbranch_execnz .LBB159_3870
	s_branch .LBB159_3871
.LBB159_4209:
	s_or_b32 s12, s12, exec_lo
	s_trap 2
	s_cbranch_execz .LBB159_3917
	s_branch .LBB159_3918
.LBB159_4210:
	s_and_not1_saveexec_b32 s7, s7
	s_cbranch_execz .LBB159_3882
.LBB159_4211:
	v_add_f32_e64 v6, 0x42800000, |v3|
	s_and_not1_b32 s6, s6, exec_lo
	s_delay_alu instid0(VALU_DEP_1) | instskip(NEXT) | instid1(VALU_DEP_1)
	v_and_b32_e32 v6, 0xff, v6
	v_cmp_ne_u32_e32 vcc_lo, 0, v6
	s_and_b32 s8, vcc_lo, exec_lo
	s_delay_alu instid0(SALU_CYCLE_1)
	s_or_b32 s6, s6, s8
	s_or_b32 exec_lo, exec_lo, s7
	v_mov_b32_e32 v7, 0
	s_and_saveexec_b32 s7, s6
	s_cbranch_execnz .LBB159_3883
	s_branch .LBB159_3884
.LBB159_4212:
	s_and_not1_saveexec_b32 s8, s8
	s_cbranch_execz .LBB159_3988
.LBB159_4213:
	v_add_f32_e64 v5, 0x46000000, |v4|
	s_and_not1_b32 s7, s7, exec_lo
	s_delay_alu instid0(VALU_DEP_1) | instskip(NEXT) | instid1(VALU_DEP_1)
	v_and_b32_e32 v5, 0xff, v5
	v_cmp_ne_u32_e32 vcc_lo, 0, v5
	s_and_b32 s9, vcc_lo, exec_lo
	s_delay_alu instid0(SALU_CYCLE_1)
	s_or_b32 s7, s7, s9
	s_or_b32 exec_lo, exec_lo, s8
	v_mov_b32_e32 v6, 0
	s_and_saveexec_b32 s8, s7
	s_cbranch_execnz .LBB159_3989
	s_branch .LBB159_3990
.LBB159_4214:
	s_or_b32 s12, s12, exec_lo
	s_trap 2
	s_cbranch_execz .LBB159_4036
	s_branch .LBB159_4037
.LBB159_4215:
	s_and_not1_saveexec_b32 s7, s7
	s_cbranch_execz .LBB159_4001
.LBB159_4216:
	v_add_f32_e64 v5, 0x42800000, |v4|
	s_and_not1_b32 s6, s6, exec_lo
	s_delay_alu instid0(VALU_DEP_1) | instskip(NEXT) | instid1(VALU_DEP_1)
	v_and_b32_e32 v5, 0xff, v5
	v_cmp_ne_u32_e32 vcc_lo, 0, v5
	s_and_b32 s8, vcc_lo, exec_lo
	s_delay_alu instid0(SALU_CYCLE_1)
	s_or_b32 s6, s6, s8
	s_or_b32 exec_lo, exec_lo, s7
	v_mov_b32_e32 v6, 0
	s_and_saveexec_b32 s7, s6
	s_cbranch_execnz .LBB159_4002
	s_branch .LBB159_4003
.LBB159_4217:
	s_and_not1_saveexec_b32 s6, s6
	s_cbranch_execz .LBB159_4108
.LBB159_4218:
	v_add_f32_e64 v4, 0x46000000, |v0|
	s_and_not1_b32 s5, s5, exec_lo
	s_delay_alu instid0(VALU_DEP_1) | instskip(NEXT) | instid1(VALU_DEP_1)
	v_and_b32_e32 v4, 0xff, v4
	v_cmp_ne_u32_e32 vcc_lo, 0, v4
	s_and_b32 s7, vcc_lo, exec_lo
	s_delay_alu instid0(SALU_CYCLE_1)
	s_or_b32 s5, s5, s7
	s_or_b32 exec_lo, exec_lo, s6
	v_mov_b32_e32 v5, 0
	s_and_saveexec_b32 s6, s5
	s_cbranch_execnz .LBB159_4109
	s_branch .LBB159_4110
.LBB159_4219:
	s_mov_b32 s3, 0
	s_or_b32 s12, s12, exec_lo
	s_trap 2
	s_branch .LBB159_4154
.LBB159_4220:
	s_and_not1_saveexec_b32 s5, s5
	s_cbranch_execz .LBB159_4120
.LBB159_4221:
	v_add_f32_e64 v4, 0x42800000, |v0|
	s_and_not1_b32 s4, s4, exec_lo
	s_delay_alu instid0(VALU_DEP_1) | instskip(NEXT) | instid1(VALU_DEP_1)
	v_and_b32_e32 v4, 0xff, v4
	v_cmp_ne_u32_e32 vcc_lo, 0, v4
	s_and_b32 s6, vcc_lo, exec_lo
	s_delay_alu instid0(SALU_CYCLE_1)
	s_or_b32 s4, s4, s6
	s_or_b32 exec_lo, exec_lo, s5
	v_mov_b32_e32 v5, 0
	s_and_saveexec_b32 s5, s4
	s_cbranch_execnz .LBB159_4121
	s_branch .LBB159_4122
	.section	.rodata,"a",@progbits
	.p2align	6, 0x0
	.amdhsa_kernel _ZN2at6native32elementwise_kernel_manual_unrollILi128ELi4EZNS0_15gpu_kernel_implIZZZNS0_12_GLOBAL__N_117clamp_kernel_implERNS_18TensorIteratorBaseEENKUlvE_clEvENKUlvE6_clEvEUlN3c104HalfES9_S9_E_EEvS5_RKT_EUlibE0_EEviT1_
		.amdhsa_group_segment_fixed_size 0
		.amdhsa_private_segment_fixed_size 0
		.amdhsa_kernarg_size 504
		.amdhsa_user_sgpr_count 2
		.amdhsa_user_sgpr_dispatch_ptr 0
		.amdhsa_user_sgpr_queue_ptr 0
		.amdhsa_user_sgpr_kernarg_segment_ptr 1
		.amdhsa_user_sgpr_dispatch_id 0
		.amdhsa_user_sgpr_kernarg_preload_length 0
		.amdhsa_user_sgpr_kernarg_preload_offset 0
		.amdhsa_user_sgpr_private_segment_size 0
		.amdhsa_wavefront_size32 1
		.amdhsa_uses_dynamic_stack 0
		.amdhsa_enable_private_segment 0
		.amdhsa_system_sgpr_workgroup_id_x 1
		.amdhsa_system_sgpr_workgroup_id_y 0
		.amdhsa_system_sgpr_workgroup_id_z 0
		.amdhsa_system_sgpr_workgroup_info 0
		.amdhsa_system_vgpr_workitem_id 0
		.amdhsa_next_free_vgpr 34
		.amdhsa_next_free_sgpr 74
		.amdhsa_named_barrier_count 0
		.amdhsa_reserve_vcc 1
		.amdhsa_float_round_mode_32 0
		.amdhsa_float_round_mode_16_64 0
		.amdhsa_float_denorm_mode_32 3
		.amdhsa_float_denorm_mode_16_64 3
		.amdhsa_fp16_overflow 0
		.amdhsa_memory_ordered 1
		.amdhsa_forward_progress 1
		.amdhsa_inst_pref_size 255
		.amdhsa_round_robin_scheduling 0
		.amdhsa_exception_fp_ieee_invalid_op 0
		.amdhsa_exception_fp_denorm_src 0
		.amdhsa_exception_fp_ieee_div_zero 0
		.amdhsa_exception_fp_ieee_overflow 0
		.amdhsa_exception_fp_ieee_underflow 0
		.amdhsa_exception_fp_ieee_inexact 0
		.amdhsa_exception_int_div_zero 0
	.end_amdhsa_kernel
	.section	.text._ZN2at6native32elementwise_kernel_manual_unrollILi128ELi4EZNS0_15gpu_kernel_implIZZZNS0_12_GLOBAL__N_117clamp_kernel_implERNS_18TensorIteratorBaseEENKUlvE_clEvENKUlvE6_clEvEUlN3c104HalfES9_S9_E_EEvS5_RKT_EUlibE0_EEviT1_,"axG",@progbits,_ZN2at6native32elementwise_kernel_manual_unrollILi128ELi4EZNS0_15gpu_kernel_implIZZZNS0_12_GLOBAL__N_117clamp_kernel_implERNS_18TensorIteratorBaseEENKUlvE_clEvENKUlvE6_clEvEUlN3c104HalfES9_S9_E_EEvS5_RKT_EUlibE0_EEviT1_,comdat
.Lfunc_end159:
	.size	_ZN2at6native32elementwise_kernel_manual_unrollILi128ELi4EZNS0_15gpu_kernel_implIZZZNS0_12_GLOBAL__N_117clamp_kernel_implERNS_18TensorIteratorBaseEENKUlvE_clEvENKUlvE6_clEvEUlN3c104HalfES9_S9_E_EEvS5_RKT_EUlibE0_EEviT1_, .Lfunc_end159-_ZN2at6native32elementwise_kernel_manual_unrollILi128ELi4EZNS0_15gpu_kernel_implIZZZNS0_12_GLOBAL__N_117clamp_kernel_implERNS_18TensorIteratorBaseEENKUlvE_clEvENKUlvE6_clEvEUlN3c104HalfES9_S9_E_EEvS5_RKT_EUlibE0_EEviT1_
                                        ; -- End function
	.set _ZN2at6native32elementwise_kernel_manual_unrollILi128ELi4EZNS0_15gpu_kernel_implIZZZNS0_12_GLOBAL__N_117clamp_kernel_implERNS_18TensorIteratorBaseEENKUlvE_clEvENKUlvE6_clEvEUlN3c104HalfES9_S9_E_EEvS5_RKT_EUlibE0_EEviT1_.num_vgpr, 34
	.set _ZN2at6native32elementwise_kernel_manual_unrollILi128ELi4EZNS0_15gpu_kernel_implIZZZNS0_12_GLOBAL__N_117clamp_kernel_implERNS_18TensorIteratorBaseEENKUlvE_clEvENKUlvE6_clEvEUlN3c104HalfES9_S9_E_EEvS5_RKT_EUlibE0_EEviT1_.num_agpr, 0
	.set _ZN2at6native32elementwise_kernel_manual_unrollILi128ELi4EZNS0_15gpu_kernel_implIZZZNS0_12_GLOBAL__N_117clamp_kernel_implERNS_18TensorIteratorBaseEENKUlvE_clEvENKUlvE6_clEvEUlN3c104HalfES9_S9_E_EEvS5_RKT_EUlibE0_EEviT1_.numbered_sgpr, 74
	.set _ZN2at6native32elementwise_kernel_manual_unrollILi128ELi4EZNS0_15gpu_kernel_implIZZZNS0_12_GLOBAL__N_117clamp_kernel_implERNS_18TensorIteratorBaseEENKUlvE_clEvENKUlvE6_clEvEUlN3c104HalfES9_S9_E_EEvS5_RKT_EUlibE0_EEviT1_.num_named_barrier, 0
	.set _ZN2at6native32elementwise_kernel_manual_unrollILi128ELi4EZNS0_15gpu_kernel_implIZZZNS0_12_GLOBAL__N_117clamp_kernel_implERNS_18TensorIteratorBaseEENKUlvE_clEvENKUlvE6_clEvEUlN3c104HalfES9_S9_E_EEvS5_RKT_EUlibE0_EEviT1_.private_seg_size, 0
	.set _ZN2at6native32elementwise_kernel_manual_unrollILi128ELi4EZNS0_15gpu_kernel_implIZZZNS0_12_GLOBAL__N_117clamp_kernel_implERNS_18TensorIteratorBaseEENKUlvE_clEvENKUlvE6_clEvEUlN3c104HalfES9_S9_E_EEvS5_RKT_EUlibE0_EEviT1_.uses_vcc, 1
	.set _ZN2at6native32elementwise_kernel_manual_unrollILi128ELi4EZNS0_15gpu_kernel_implIZZZNS0_12_GLOBAL__N_117clamp_kernel_implERNS_18TensorIteratorBaseEENKUlvE_clEvENKUlvE6_clEvEUlN3c104HalfES9_S9_E_EEvS5_RKT_EUlibE0_EEviT1_.uses_flat_scratch, 0
	.set _ZN2at6native32elementwise_kernel_manual_unrollILi128ELi4EZNS0_15gpu_kernel_implIZZZNS0_12_GLOBAL__N_117clamp_kernel_implERNS_18TensorIteratorBaseEENKUlvE_clEvENKUlvE6_clEvEUlN3c104HalfES9_S9_E_EEvS5_RKT_EUlibE0_EEviT1_.has_dyn_sized_stack, 0
	.set _ZN2at6native32elementwise_kernel_manual_unrollILi128ELi4EZNS0_15gpu_kernel_implIZZZNS0_12_GLOBAL__N_117clamp_kernel_implERNS_18TensorIteratorBaseEENKUlvE_clEvENKUlvE6_clEvEUlN3c104HalfES9_S9_E_EEvS5_RKT_EUlibE0_EEviT1_.has_recursion, 0
	.set _ZN2at6native32elementwise_kernel_manual_unrollILi128ELi4EZNS0_15gpu_kernel_implIZZZNS0_12_GLOBAL__N_117clamp_kernel_implERNS_18TensorIteratorBaseEENKUlvE_clEvENKUlvE6_clEvEUlN3c104HalfES9_S9_E_EEvS5_RKT_EUlibE0_EEviT1_.has_indirect_call, 0
	.section	.AMDGPU.csdata,"",@progbits
; Kernel info:
; codeLenInByte = 93332
; TotalNumSgprs: 76
; NumVgprs: 34
; ScratchSize: 0
; MemoryBound: 0
; FloatMode: 240
; IeeeMode: 1
; LDSByteSize: 0 bytes/workgroup (compile time only)
; SGPRBlocks: 0
; VGPRBlocks: 2
; NumSGPRsForWavesPerEU: 76
; NumVGPRsForWavesPerEU: 34
; NamedBarCnt: 0
; Occupancy: 16
; WaveLimiterHint : 1
; COMPUTE_PGM_RSRC2:SCRATCH_EN: 0
; COMPUTE_PGM_RSRC2:USER_SGPR: 2
; COMPUTE_PGM_RSRC2:TRAP_HANDLER: 0
; COMPUTE_PGM_RSRC2:TGID_X_EN: 1
; COMPUTE_PGM_RSRC2:TGID_Y_EN: 0
; COMPUTE_PGM_RSRC2:TGID_Z_EN: 0
; COMPUTE_PGM_RSRC2:TIDIG_COMP_CNT: 0
	.section	.text._ZN2at6native29vectorized_elementwise_kernelILi16EZZZNS0_12_GLOBAL__N_117clamp_kernel_implERNS_18TensorIteratorBaseEENKUlvE_clEvENKUlvE7_clEvEUlN3c108BFloat16ES8_S8_E_St5arrayIPcLm4EEEEviT0_T1_,"axG",@progbits,_ZN2at6native29vectorized_elementwise_kernelILi16EZZZNS0_12_GLOBAL__N_117clamp_kernel_implERNS_18TensorIteratorBaseEENKUlvE_clEvENKUlvE7_clEvEUlN3c108BFloat16ES8_S8_E_St5arrayIPcLm4EEEEviT0_T1_,comdat
	.globl	_ZN2at6native29vectorized_elementwise_kernelILi16EZZZNS0_12_GLOBAL__N_117clamp_kernel_implERNS_18TensorIteratorBaseEENKUlvE_clEvENKUlvE7_clEvEUlN3c108BFloat16ES8_S8_E_St5arrayIPcLm4EEEEviT0_T1_ ; -- Begin function _ZN2at6native29vectorized_elementwise_kernelILi16EZZZNS0_12_GLOBAL__N_117clamp_kernel_implERNS_18TensorIteratorBaseEENKUlvE_clEvENKUlvE7_clEvEUlN3c108BFloat16ES8_S8_E_St5arrayIPcLm4EEEEviT0_T1_
	.p2align	8
	.type	_ZN2at6native29vectorized_elementwise_kernelILi16EZZZNS0_12_GLOBAL__N_117clamp_kernel_implERNS_18TensorIteratorBaseEENKUlvE_clEvENKUlvE7_clEvEUlN3c108BFloat16ES8_S8_E_St5arrayIPcLm4EEEEviT0_T1_,@function
_ZN2at6native29vectorized_elementwise_kernelILi16EZZZNS0_12_GLOBAL__N_117clamp_kernel_implERNS_18TensorIteratorBaseEENKUlvE_clEvENKUlvE7_clEvEUlN3c108BFloat16ES8_S8_E_St5arrayIPcLm4EEEEviT0_T1_: ; @_ZN2at6native29vectorized_elementwise_kernelILi16EZZZNS0_12_GLOBAL__N_117clamp_kernel_implERNS_18TensorIteratorBaseEENKUlvE_clEvENKUlvE7_clEvEUlN3c108BFloat16ES8_S8_E_St5arrayIPcLm4EEEEviT0_T1_
; %bb.0:
	s_clause 0x1
	s_load_b32 s2, s[0:1], 0x0
	s_load_b256 s[4:11], s[0:1], 0x8
	s_wait_xcnt 0x0
	s_bfe_u32 s0, ttmp6, 0x4000c
	s_and_b32 s1, ttmp6, 15
	s_add_co_i32 s0, s0, 1
	s_getreg_b32 s3, hwreg(HW_REG_IB_STS2, 6, 4)
	s_mul_i32 s0, ttmp9, s0
	s_delay_alu instid0(SALU_CYCLE_1) | instskip(SKIP_2) | instid1(SALU_CYCLE_1)
	s_add_co_i32 s1, s1, s0
	s_cmp_eq_u32 s3, 0
	s_cselect_b32 s0, ttmp9, s1
	s_lshl_b32 s12, s0, 11
	s_mov_b32 s0, -1
	s_wait_kmcnt 0x0
	s_sub_co_i32 s16, s2, s12
	s_delay_alu instid0(SALU_CYCLE_1)
	s_cmp_gt_i32 s16, 0x7ff
	s_cbranch_scc0 .LBB160_2
; %bb.1:
	s_ashr_i32 s13, s12, 31
	s_delay_alu instid0(SALU_CYCLE_1) | instskip(NEXT) | instid1(SALU_CYCLE_1)
	s_lshl_b64 s[14:15], s[12:13], 1
	s_add_nc_u64 s[0:1], s[6:7], s[14:15]
	global_load_b128 v[2:5], v0, s[0:1] scale_offset
	s_wait_xcnt 0x0
	s_add_nc_u64 s[0:1], s[8:9], s[14:15]
	global_load_b128 v[6:9], v0, s[0:1] scale_offset
	s_wait_xcnt 0x0
	s_add_nc_u64 s[0:1], s[10:11], s[14:15]
	global_load_b128 v[10:13], v0, s[0:1] scale_offset
	s_wait_loadcnt 0x2
	v_and_b32_e32 v15, 0xffff0000, v2
	v_dual_lshrrev_b32 v1, 16, v3 :: v_dual_lshrrev_b32 v14, 16, v2
	s_wait_loadcnt 0x1
	v_and_b32_e32 v21, 0xffff0000, v6
	v_dual_lshlrev_b32 v16, 16, v2 :: v_dual_lshlrev_b32 v18, 16, v3
	v_dual_lshrrev_b32 v19, 16, v7 :: v_dual_lshrrev_b32 v20, 16, v6
	v_dual_lshlrev_b32 v22, 16, v6 :: v_dual_lshlrev_b32 v24, 16, v7
	s_delay_alu instid0(VALU_DEP_4)
	v_cmp_gt_f32_e32 vcc_lo, v15, v21
	v_and_b32_e32 v17, 0xffff0000, v3
	v_and_b32_e32 v23, 0xffff0000, v7
	;; [unrolled: 1-line block ×4, first 2 shown]
	v_cndmask_b32_e32 v49, v20, v14, vcc_lo
	v_cmp_gt_f32_e32 vcc_lo, v16, v22
	v_dual_lshrrev_b32 v31, 16, v5 :: v_dual_lshrrev_b32 v32, 16, v4
	v_dual_lshlrev_b32 v34, 16, v4 :: v_dual_lshlrev_b32 v36, 16, v5
	v_cndmask_b32_e32 v50, v6, v2, vcc_lo
	v_cmp_gt_f32_e32 vcc_lo, v17, v23
	v_dual_lshrrev_b32 v37, 16, v9 :: v_dual_lshrrev_b32 v38, 16, v8
	v_dual_lshlrev_b32 v40, 16, v8 :: v_dual_lshlrev_b32 v42, 16, v9
	v_cndmask_b32_e32 v51, v19, v1, vcc_lo
	v_cmp_gt_f32_e32 vcc_lo, v18, v24
	v_and_b32_e32 v35, 0xffff0000, v5
	v_and_b32_e32 v41, 0xffff0000, v9
	s_wait_loadcnt 0x0
	v_dual_lshlrev_b32 v27, 16, v11 :: v_dual_lshlrev_b32 v29, 16, v10
	v_cndmask_b32_e32 v52, v7, v3, vcc_lo
	v_cmp_gt_f32_e32 vcc_lo, v33, v39
	v_and_b32_e32 v28, 0xffff0000, v11
	v_and_b32_e32 v30, 0xffff0000, v10
	v_dual_lshlrev_b32 v56, 16, v49 :: v_dual_lshlrev_b32 v59, 16, v51
	v_cndmask_b32_e32 v53, v38, v32, vcc_lo
	v_cmp_gt_f32_e32 vcc_lo, v34, v40
	v_dual_lshrrev_b32 v25, 16, v10 :: v_dual_lshrrev_b32 v26, 16, v11
	v_dual_lshlrev_b32 v45, 16, v13 :: v_dual_lshlrev_b32 v47, 16, v12
	v_cndmask_b32_e32 v54, v8, v4, vcc_lo
	v_cmp_gt_f32_e32 vcc_lo, v35, v41
	v_and_b32_e32 v46, 0xffff0000, v13
	v_dual_lshrrev_b32 v43, 16, v12 :: v_dual_lshrrev_b32 v44, 16, v13
	v_and_b32_e32 v48, 0xffff0000, v12
	v_cndmask_b32_e32 v55, v37, v31, vcc_lo
	v_cmp_gt_f32_e32 vcc_lo, v36, v42
	v_dual_cndmask_b32 v58, v9, v5 :: v_dual_lshlrev_b32 v57, 16, v50
	v_cmp_lt_f32_e32 vcc_lo, v56, v30
	v_lshlrev_b32_e32 v56, 16, v52
	s_delay_alu instid0(VALU_DEP_3) | instskip(SKIP_2) | instid1(VALU_DEP_4)
	v_cmp_lt_f32_e64 s0, v57, v29
	v_cmp_lt_f32_e64 s1, v59, v28
	v_dual_lshlrev_b32 v57, 16, v58 :: v_dual_lshlrev_b32 v59, 16, v55
	v_cmp_lt_f32_e64 s2, v56, v27
	v_lshlrev_b32_e32 v56, 16, v54
	v_dual_cndmask_b32 v50, v10, v50, s0 :: v_dual_cndmask_b32 v49, v25, v49, vcc_lo
	s_delay_alu instid0(VALU_DEP_4) | instskip(SKIP_2) | instid1(VALU_DEP_3)
	v_cmp_lt_f32_e64 s3, v57, v45
	v_cmp_lt_f32_e32 vcc_lo, v59, v46
	v_dual_lshlrev_b32 v57, 16, v53 :: v_dual_cndmask_b32 v52, v11, v52, s2
	v_dual_cndmask_b32 v51, v26, v51, s1 :: v_dual_cndmask_b32 v58, v13, v58, s3
	v_cndmask_b32_e32 v55, v44, v55, vcc_lo
	v_cmp_lt_f32_e32 vcc_lo, v56, v47
	s_add_nc_u64 s[2:3], s[4:5], s[14:15]
	s_mov_b32 s0, 0
	v_cndmask_b32_e32 v54, v12, v54, vcc_lo
	v_cmp_lt_f32_e32 vcc_lo, v57, v48
	v_cndmask_b32_e32 v53, v43, v53, vcc_lo
	v_cmp_u_f32_e32 vcc_lo, v30, v30
	v_cndmask_b32_e32 v25, v49, v25, vcc_lo
	v_cmp_u_f32_e32 vcc_lo, v29, v29
	;; [unrolled: 2-line block ×21, first 2 shown]
	s_delay_alu instid0(VALU_DEP_4)
	v_perm_b32 v3, v1, v3, 0x5040100
	v_cndmask_b32_e32 v11, v13, v31, vcc_lo
	v_cmp_u_f32_e32 vcc_lo, v36, v36
	v_cndmask_b32_e32 v5, v9, v5, vcc_lo
	v_cmp_u_f32_e32 vcc_lo, v34, v34
	;; [unrolled: 2-line block ×3, first 2 shown]
	s_delay_alu instid0(VALU_DEP_2) | instskip(SKIP_2) | instid1(VALU_DEP_2)
	v_perm_b32 v4, v7, v4, 0x5040100
	v_cndmask_b32_e32 v2, v6, v2, vcc_lo
	v_perm_b32 v5, v11, v5, 0x5040100
	v_perm_b32 v2, v10, v2, 0x5040100
	global_store_b128 v0, v[2:5], s[2:3] scale_offset
.LBB160_2:
	s_and_not1_b32 vcc_lo, exec_lo, s0
	s_cbranch_vccnz .LBB160_43
; %bb.3:
	v_cmp_gt_i32_e32 vcc_lo, s16, v0
	s_wait_xcnt 0x0
	v_dual_mov_b32 v3, 0 :: v_dual_bitop2_b32 v1, s12, v0 bitop3:0x54
	v_or_b32_e32 v2, 0x100, v0
	v_dual_mov_b32 v7, 0 :: v_dual_mov_b32 v10, 0
	v_dual_mov_b32 v18, 0 :: v_dual_mov_b32 v27, v0
	s_and_saveexec_b32 s0, vcc_lo
	s_cbranch_execz .LBB160_5
; %bb.4:
	s_clause 0x2
	global_load_u16 v7, v1, s[6:7] scale_offset
	global_load_u16 v10, v1, s[8:9] scale_offset
	;; [unrolled: 1-line block ×3, first 2 shown]
	v_or_b32_e32 v27, 0x100, v0
.LBB160_5:
	s_wait_xcnt 0x0
	s_or_b32 exec_lo, exec_lo, s0
	v_dual_mov_b32 v12, 0 :: v_dual_mov_b32 v20, 0
	s_mov_b32 s1, exec_lo
	v_cmpx_gt_i32_e64 s16, v27
	s_cbranch_execz .LBB160_7
; %bb.6:
	v_add_nc_u32_e32 v4, s12, v27
	v_add_nc_u32_e32 v27, 0x100, v27
	s_clause 0x2
	global_load_u16 v3, v4, s[6:7] scale_offset
	global_load_u16 v12, v4, s[8:9] scale_offset
	global_load_u16 v20, v4, s[10:11] scale_offset
.LBB160_7:
	s_wait_xcnt 0x0
	s_or_b32 exec_lo, exec_lo, s1
	v_dual_mov_b32 v4, 0 :: v_dual_mov_b32 v8, 0
	v_dual_mov_b32 v13, 0 :: v_dual_mov_b32 v21, 0
	s_mov_b32 s1, exec_lo
	v_cmpx_gt_i32_e64 s16, v27
	s_cbranch_execz .LBB160_9
; %bb.8:
	v_add_nc_u32_e32 v5, s12, v27
	v_add_nc_u32_e32 v27, 0x100, v27
	s_clause 0x2
	global_load_u16 v8, v5, s[6:7] scale_offset
	global_load_u16 v13, v5, s[8:9] scale_offset
	global_load_u16 v21, v5, s[10:11] scale_offset
.LBB160_9:
	s_wait_xcnt 0x0
	s_or_b32 exec_lo, exec_lo, s1
	v_dual_mov_b32 v14, 0 :: v_dual_mov_b32 v22, 0
	s_mov_b32 s1, exec_lo
	v_cmpx_gt_i32_e64 s16, v27
	s_cbranch_execz .LBB160_11
; %bb.10:
	v_add_nc_u32_e32 v5, s12, v27
	v_add_nc_u32_e32 v27, 0x100, v27
	s_clause 0x2
	global_load_u16 v4, v5, s[6:7] scale_offset
	global_load_u16 v14, v5, s[8:9] scale_offset
	global_load_u16 v22, v5, s[10:11] scale_offset
.LBB160_11:
	s_wait_xcnt 0x0
	s_or_b32 exec_lo, exec_lo, s1
	v_dual_mov_b32 v5, 0 :: v_dual_mov_b32 v9, 0
	v_dual_mov_b32 v15, 0 :: v_dual_mov_b32 v23, 0
	s_mov_b32 s1, exec_lo
	v_cmpx_gt_i32_e64 s16, v27
	s_cbranch_execz .LBB160_13
; %bb.12:
	v_add_nc_u32_e32 v6, s12, v27
	v_add_nc_u32_e32 v27, 0x100, v27
	s_clause 0x2
	global_load_u16 v9, v6, s[6:7] scale_offset
	global_load_u16 v15, v6, s[8:9] scale_offset
	global_load_u16 v23, v6, s[10:11] scale_offset
.LBB160_13:
	;; [unrolled: 29-line block ×3, first 2 shown]
	s_wait_xcnt 0x0
	s_or_b32 exec_lo, exec_lo, s1
	v_dual_mov_b32 v17, 0 :: v_dual_mov_b32 v25, 0
	s_mov_b32 s1, exec_lo
	v_cmpx_gt_i32_e64 s16, v27
	s_cbranch_execz .LBB160_19
; %bb.18:
	v_add_nc_u32_e32 v27, s12, v27
	s_clause 0x2
	global_load_u16 v6, v27, s[6:7] scale_offset
	global_load_u16 v17, v27, s[8:9] scale_offset
	;; [unrolled: 1-line block ×3, first 2 shown]
	s_wait_xcnt 0x0
	s_or_b32 exec_lo, exec_lo, s1
                                        ; implicit-def: $vgpr27
	s_and_saveexec_b32 s1, vcc_lo
	s_cbranch_execz .LBB160_21
	s_branch .LBB160_20
.LBB160_19:
	s_or_b32 exec_lo, exec_lo, s1
                                        ; implicit-def: $vgpr27
	s_and_saveexec_b32 s1, vcc_lo
	s_cbranch_execz .LBB160_21
.LBB160_20:
	s_wait_loadcnt 0x1
	v_dual_lshlrev_b32 v27, 16, v7 :: v_dual_lshlrev_b32 v28, 16, v10
	s_wait_loadcnt 0x0
	v_lshlrev_b32_e32 v30, 16, v18
	s_delay_alu instid0(VALU_DEP_2) | instskip(NEXT) | instid1(VALU_DEP_1)
	v_cmp_gt_f32_e64 s0, v27, v28
	v_cndmask_b32_e64 v29, v10, v7, s0
	s_delay_alu instid0(VALU_DEP_1) | instskip(NEXT) | instid1(VALU_DEP_1)
	v_lshlrev_b32_e32 v31, 16, v29
	v_cmp_lt_f32_e64 s0, v31, v30
	s_delay_alu instid0(VALU_DEP_1) | instskip(SKIP_1) | instid1(VALU_DEP_1)
	v_cndmask_b32_e64 v29, v18, v29, s0
	v_cmp_u_f32_e64 s0, v30, v30
	v_cndmask_b32_e64 v18, v29, v18, s0
	v_cmp_u_f32_e64 s0, v28, v28
	s_delay_alu instid0(VALU_DEP_1) | instskip(SKIP_1) | instid1(VALU_DEP_1)
	v_cndmask_b32_e64 v10, v18, v10, s0
	v_cmp_u_f32_e64 s0, v27, v27
	v_cndmask_b32_e64 v27, v10, v7, s0
.LBB160_21:
	s_or_b32 exec_lo, exec_lo, s1
	s_delay_alu instid0(SALU_CYCLE_1)
	s_mov_b32 s1, exec_lo
                                        ; implicit-def: $vgpr7
	v_cmpx_gt_i32_e64 s16, v2
	s_cbranch_execz .LBB160_23
; %bb.22:
	s_wait_loadcnt 0x1
	v_dual_lshlrev_b32 v7, 16, v3 :: v_dual_lshlrev_b32 v10, 16, v12
	s_wait_loadcnt 0x0
	v_lshlrev_b32_e32 v28, 16, v20
	s_delay_alu instid0(VALU_DEP_2) | instskip(NEXT) | instid1(VALU_DEP_1)
	v_cmp_gt_f32_e64 s0, v7, v10
	v_cndmask_b32_e64 v18, v12, v3, s0
	s_delay_alu instid0(VALU_DEP_1) | instskip(NEXT) | instid1(VALU_DEP_1)
	v_lshlrev_b32_e32 v29, 16, v18
	v_cmp_lt_f32_e64 s0, v29, v28
	s_delay_alu instid0(VALU_DEP_1) | instskip(SKIP_1) | instid1(VALU_DEP_1)
	v_cndmask_b32_e64 v18, v20, v18, s0
	v_cmp_u_f32_e64 s0, v28, v28
	v_cndmask_b32_e64 v18, v18, v20, s0
	v_cmp_u_f32_e64 s0, v10, v10
	s_delay_alu instid0(VALU_DEP_1) | instskip(SKIP_1) | instid1(VALU_DEP_1)
	v_cndmask_b32_e64 v10, v18, v12, s0
	v_cmp_u_f32_e64 s0, v7, v7
	v_cndmask_b32_e64 v7, v10, v3, s0
.LBB160_23:
	s_or_b32 exec_lo, exec_lo, s1
	s_wait_loadcnt 0x2
	v_or_b32_e32 v3, 0x200, v0
	s_delay_alu instid0(VALU_DEP_1)
	v_cmp_gt_i32_e64 s0, s16, v3
                                        ; implicit-def: $vgpr3
	s_and_saveexec_b32 s1, s0
	s_cbranch_execz .LBB160_25
; %bb.24:
	s_wait_loadcnt 0x1
	v_dual_lshlrev_b32 v3, 16, v8 :: v_dual_lshlrev_b32 v10, 16, v13
	s_wait_loadcnt 0x0
	v_lshlrev_b32_e32 v18, 16, v21
	s_delay_alu instid0(VALU_DEP_2) | instskip(NEXT) | instid1(VALU_DEP_1)
	v_cmp_gt_f32_e64 s0, v3, v10
	v_cndmask_b32_e64 v12, v13, v8, s0
	s_delay_alu instid0(VALU_DEP_1) | instskip(NEXT) | instid1(VALU_DEP_1)
	v_lshlrev_b32_e32 v20, 16, v12
	v_cmp_lt_f32_e64 s0, v20, v18
	s_delay_alu instid0(VALU_DEP_1) | instskip(SKIP_1) | instid1(VALU_DEP_1)
	v_cndmask_b32_e64 v12, v21, v12, s0
	v_cmp_u_f32_e64 s0, v18, v18
	v_cndmask_b32_e64 v12, v12, v21, s0
	v_cmp_u_f32_e64 s0, v10, v10
	s_delay_alu instid0(VALU_DEP_1) | instskip(SKIP_1) | instid1(VALU_DEP_1)
	v_cndmask_b32_e64 v10, v12, v13, s0
	v_cmp_u_f32_e64 s0, v3, v3
	v_cndmask_b32_e64 v3, v10, v8, s0
.LBB160_25:
	s_or_b32 exec_lo, exec_lo, s1
	v_or_b32_e32 v8, 0x300, v0
	s_delay_alu instid0(VALU_DEP_1)
	v_cmp_gt_i32_e64 s0, s16, v8
                                        ; implicit-def: $vgpr8
	s_and_saveexec_b32 s1, s0
	s_cbranch_execz .LBB160_27
; %bb.26:
	s_wait_loadcnt 0x1
	v_dual_lshlrev_b32 v8, 16, v4 :: v_dual_lshlrev_b32 v10, 16, v14
	s_wait_loadcnt 0x0
	v_lshlrev_b32_e32 v13, 16, v22
	s_delay_alu instid0(VALU_DEP_2) | instskip(NEXT) | instid1(VALU_DEP_1)
	v_cmp_gt_f32_e64 s0, v8, v10
	v_cndmask_b32_e64 v12, v14, v4, s0
	s_delay_alu instid0(VALU_DEP_1) | instskip(NEXT) | instid1(VALU_DEP_1)
	v_lshlrev_b32_e32 v18, 16, v12
	v_cmp_lt_f32_e64 s0, v18, v13
	s_delay_alu instid0(VALU_DEP_1) | instskip(SKIP_1) | instid1(VALU_DEP_1)
	v_cndmask_b32_e64 v12, v22, v12, s0
	v_cmp_u_f32_e64 s0, v13, v13
	v_cndmask_b32_e64 v12, v12, v22, s0
	v_cmp_u_f32_e64 s0, v10, v10
	s_delay_alu instid0(VALU_DEP_1) | instskip(SKIP_1) | instid1(VALU_DEP_1)
	v_cndmask_b32_e64 v10, v12, v14, s0
	v_cmp_u_f32_e64 s0, v8, v8
	v_cndmask_b32_e64 v8, v10, v4, s0
.LBB160_27:
	s_or_b32 exec_lo, exec_lo, s1
	v_or_b32_e32 v4, 0x400, v0
	s_delay_alu instid0(VALU_DEP_1)
	v_cmp_gt_i32_e64 s0, s16, v4
                                        ; implicit-def: $vgpr4
	s_and_saveexec_b32 s1, s0
	s_cbranch_execz .LBB160_29
; %bb.28:
	s_wait_loadcnt 0x1
	v_dual_lshlrev_b32 v4, 16, v9 :: v_dual_lshlrev_b32 v10, 16, v15
	s_wait_loadcnt 0x0
	v_lshlrev_b32_e32 v13, 16, v23
	s_delay_alu instid0(VALU_DEP_2) | instskip(NEXT) | instid1(VALU_DEP_1)
	v_cmp_gt_f32_e64 s0, v4, v10
	v_cndmask_b32_e64 v12, v15, v9, s0
	s_delay_alu instid0(VALU_DEP_1) | instskip(NEXT) | instid1(VALU_DEP_1)
	v_lshlrev_b32_e32 v14, 16, v12
	v_cmp_lt_f32_e64 s0, v14, v13
	s_delay_alu instid0(VALU_DEP_1) | instskip(SKIP_1) | instid1(VALU_DEP_1)
	v_cndmask_b32_e64 v12, v23, v12, s0
	v_cmp_u_f32_e64 s0, v13, v13
	v_cndmask_b32_e64 v12, v12, v23, s0
	v_cmp_u_f32_e64 s0, v10, v10
	s_delay_alu instid0(VALU_DEP_1) | instskip(SKIP_1) | instid1(VALU_DEP_1)
	v_cndmask_b32_e64 v10, v12, v15, s0
	v_cmp_u_f32_e64 s0, v4, v4
	v_cndmask_b32_e64 v4, v10, v9, s0
.LBB160_29:
	s_or_b32 exec_lo, exec_lo, s1
	v_or_b32_e32 v9, 0x500, v0
	s_delay_alu instid0(VALU_DEP_1)
	v_cmp_gt_i32_e64 s0, s16, v9
                                        ; implicit-def: $vgpr9
	s_and_saveexec_b32 s1, s0
	s_cbranch_execz .LBB160_31
; %bb.30:
	s_wait_loadcnt 0x1
	v_dual_lshlrev_b32 v9, 16, v5 :: v_dual_lshlrev_b32 v10, 16, v16
	s_wait_loadcnt 0x0
	v_lshlrev_b32_e32 v13, 16, v24
	s_delay_alu instid0(VALU_DEP_2) | instskip(NEXT) | instid1(VALU_DEP_1)
	v_cmp_gt_f32_e64 s0, v9, v10
	v_cndmask_b32_e64 v12, v16, v5, s0
	s_delay_alu instid0(VALU_DEP_1) | instskip(NEXT) | instid1(VALU_DEP_1)
	v_lshlrev_b32_e32 v14, 16, v12
	v_cmp_lt_f32_e64 s0, v14, v13
	s_delay_alu instid0(VALU_DEP_1) | instskip(SKIP_1) | instid1(VALU_DEP_1)
	v_cndmask_b32_e64 v12, v24, v12, s0
	v_cmp_u_f32_e64 s0, v13, v13
	v_cndmask_b32_e64 v12, v12, v24, s0
	v_cmp_u_f32_e64 s0, v10, v10
	s_delay_alu instid0(VALU_DEP_1) | instskip(SKIP_1) | instid1(VALU_DEP_1)
	v_cndmask_b32_e64 v10, v12, v16, s0
	v_cmp_u_f32_e64 s0, v9, v9
	v_cndmask_b32_e64 v9, v10, v5, s0
.LBB160_31:
	s_or_b32 exec_lo, exec_lo, s1
	v_or_b32_e32 v5, 0x600, v0
	s_delay_alu instid0(VALU_DEP_1)
	v_cmp_gt_i32_e64 s0, s16, v5
                                        ; implicit-def: $vgpr5
	s_and_saveexec_b32 s1, s0
	s_cbranch_execz .LBB160_33
; %bb.32:
	v_lshlrev_b32_e32 v5, 16, v11
	s_wait_loadcnt 0x0
	v_dual_lshlrev_b32 v10, 16, v19 :: v_dual_lshlrev_b32 v13, 16, v26
	s_delay_alu instid0(VALU_DEP_1) | instskip(NEXT) | instid1(VALU_DEP_1)
	v_cmp_gt_f32_e64 s0, v5, v10
	v_cndmask_b32_e64 v12, v19, v11, s0
	s_delay_alu instid0(VALU_DEP_1) | instskip(NEXT) | instid1(VALU_DEP_1)
	v_lshlrev_b32_e32 v14, 16, v12
	v_cmp_lt_f32_e64 s0, v14, v13
	s_delay_alu instid0(VALU_DEP_1) | instskip(SKIP_1) | instid1(VALU_DEP_1)
	v_cndmask_b32_e64 v12, v26, v12, s0
	v_cmp_u_f32_e64 s0, v13, v13
	v_cndmask_b32_e64 v12, v12, v26, s0
	v_cmp_u_f32_e64 s0, v10, v10
	s_delay_alu instid0(VALU_DEP_1) | instskip(SKIP_1) | instid1(VALU_DEP_1)
	v_cndmask_b32_e64 v10, v12, v19, s0
	v_cmp_u_f32_e64 s0, v5, v5
	v_cndmask_b32_e64 v5, v10, v11, s0
.LBB160_33:
	s_or_b32 exec_lo, exec_lo, s1
	s_wait_loadcnt 0x1
	v_or_b32_e32 v10, 0x700, v0
	s_delay_alu instid0(VALU_DEP_1)
	v_cmp_gt_i32_e64 s0, s16, v10
                                        ; implicit-def: $vgpr10
	s_and_saveexec_b32 s1, s0
	s_cbranch_execz .LBB160_44
; %bb.34:
	v_dual_lshlrev_b32 v10, 16, v6 :: v_dual_lshlrev_b32 v11, 16, v17
	s_wait_loadcnt 0x0
	v_lshlrev_b32_e32 v13, 16, v25
	s_delay_alu instid0(VALU_DEP_2) | instskip(NEXT) | instid1(VALU_DEP_1)
	v_cmp_gt_f32_e64 s0, v10, v11
	v_cndmask_b32_e64 v12, v17, v6, s0
	s_delay_alu instid0(VALU_DEP_1) | instskip(NEXT) | instid1(VALU_DEP_1)
	v_lshlrev_b32_e32 v14, 16, v12
	v_cmp_lt_f32_e64 s0, v14, v13
	s_delay_alu instid0(VALU_DEP_1) | instskip(SKIP_1) | instid1(VALU_DEP_1)
	v_cndmask_b32_e64 v12, v25, v12, s0
	v_cmp_u_f32_e64 s0, v13, v13
	v_cndmask_b32_e64 v12, v12, v25, s0
	v_cmp_u_f32_e64 s0, v11, v11
	s_delay_alu instid0(VALU_DEP_1) | instskip(SKIP_1) | instid1(VALU_DEP_1)
	v_cndmask_b32_e64 v11, v12, v17, s0
	v_cmp_u_f32_e64 s0, v10, v10
	v_cndmask_b32_e64 v10, v11, v6, s0
	s_or_b32 exec_lo, exec_lo, s1
	s_and_saveexec_b32 s0, vcc_lo
	s_delay_alu instid0(SALU_CYCLE_1)
	s_xor_b32 s0, exec_lo, s0
	s_cbranch_execnz .LBB160_45
.LBB160_35:
	s_or_b32 exec_lo, exec_lo, s0
	s_delay_alu instid0(SALU_CYCLE_1)
	s_mov_b32 s0, exec_lo
	v_cmpx_gt_i32_e64 s16, v0
	s_cbranch_execz .LBB160_46
.LBB160_36:
	v_add_nc_u32_e32 v1, s12, v0
	v_add_nc_u32_e32 v0, 0x100, v0
	global_store_b16 v1, v7, s[4:5] scale_offset
	s_wait_xcnt 0x0
	s_or_b32 exec_lo, exec_lo, s0
	s_delay_alu instid0(SALU_CYCLE_1)
	s_mov_b32 s0, exec_lo
	v_cmpx_gt_i32_e64 s16, v0
	s_cbranch_execnz .LBB160_47
.LBB160_37:
	s_or_b32 exec_lo, exec_lo, s0
	s_delay_alu instid0(SALU_CYCLE_1)
	s_mov_b32 s0, exec_lo
	v_cmpx_gt_i32_e64 s16, v0
	s_cbranch_execz .LBB160_48
.LBB160_38:
	v_add_nc_u32_e32 v1, s12, v0
	v_add_nc_u32_e32 v0, 0x100, v0
	global_store_b16 v1, v8, s[4:5] scale_offset
	s_wait_xcnt 0x0
	s_or_b32 exec_lo, exec_lo, s0
	s_delay_alu instid0(SALU_CYCLE_1)
	s_mov_b32 s0, exec_lo
	v_cmpx_gt_i32_e64 s16, v0
	s_cbranch_execnz .LBB160_49
.LBB160_39:
	s_or_b32 exec_lo, exec_lo, s0
	s_delay_alu instid0(SALU_CYCLE_1)
	s_mov_b32 s0, exec_lo
	v_cmpx_gt_i32_e64 s16, v0
	s_cbranch_execz .LBB160_50
.LBB160_40:
	v_add_nc_u32_e32 v1, s12, v0
	v_add_nc_u32_e32 v0, 0x100, v0
	global_store_b16 v1, v9, s[4:5] scale_offset
	s_wait_xcnt 0x0
	s_or_b32 exec_lo, exec_lo, s0
	s_delay_alu instid0(SALU_CYCLE_1)
	s_mov_b32 s0, exec_lo
	v_cmpx_gt_i32_e64 s16, v0
	s_cbranch_execnz .LBB160_51
.LBB160_41:
	s_or_b32 exec_lo, exec_lo, s0
	s_delay_alu instid0(SALU_CYCLE_1)
	s_mov_b32 s0, exec_lo
	v_cmpx_gt_i32_e64 s16, v0
	s_cbranch_execz .LBB160_43
.LBB160_42:
	v_add_nc_u32_e32 v0, s12, v0
	global_store_b16 v0, v10, s[4:5] scale_offset
.LBB160_43:
	s_endpgm
.LBB160_44:
	s_or_b32 exec_lo, exec_lo, s1
	s_and_saveexec_b32 s0, vcc_lo
	s_delay_alu instid0(SALU_CYCLE_1)
	s_xor_b32 s0, exec_lo, s0
	s_cbranch_execz .LBB160_35
.LBB160_45:
	v_mov_b32_e32 v0, v2
	global_store_b16 v1, v27, s[4:5] scale_offset
	s_wait_xcnt 0x0
	s_or_b32 exec_lo, exec_lo, s0
	s_delay_alu instid0(SALU_CYCLE_1)
	s_mov_b32 s0, exec_lo
	v_cmpx_gt_i32_e64 s16, v0
	s_cbranch_execnz .LBB160_36
.LBB160_46:
	s_or_b32 exec_lo, exec_lo, s0
	s_delay_alu instid0(SALU_CYCLE_1)
	s_mov_b32 s0, exec_lo
	v_cmpx_gt_i32_e64 s16, v0
	s_cbranch_execz .LBB160_37
.LBB160_47:
	v_add_nc_u32_e32 v1, s12, v0
	v_add_nc_u32_e32 v0, 0x100, v0
	global_store_b16 v1, v3, s[4:5] scale_offset
	s_wait_xcnt 0x0
	s_or_b32 exec_lo, exec_lo, s0
	s_delay_alu instid0(SALU_CYCLE_1)
	s_mov_b32 s0, exec_lo
	v_cmpx_gt_i32_e64 s16, v0
	s_cbranch_execnz .LBB160_38
.LBB160_48:
	s_or_b32 exec_lo, exec_lo, s0
	s_delay_alu instid0(SALU_CYCLE_1)
	s_mov_b32 s0, exec_lo
	v_cmpx_gt_i32_e64 s16, v0
	s_cbranch_execz .LBB160_39
.LBB160_49:
	v_add_nc_u32_e32 v1, s12, v0
	v_add_nc_u32_e32 v0, 0x100, v0
	global_store_b16 v1, v4, s[4:5] scale_offset
	s_wait_xcnt 0x0
	s_or_b32 exec_lo, exec_lo, s0
	s_delay_alu instid0(SALU_CYCLE_1)
	s_mov_b32 s0, exec_lo
	v_cmpx_gt_i32_e64 s16, v0
	s_cbranch_execnz .LBB160_40
.LBB160_50:
	s_or_b32 exec_lo, exec_lo, s0
	s_delay_alu instid0(SALU_CYCLE_1)
	s_mov_b32 s0, exec_lo
	v_cmpx_gt_i32_e64 s16, v0
	s_cbranch_execz .LBB160_41
.LBB160_51:
	v_add_nc_u32_e32 v1, s12, v0
	v_add_nc_u32_e32 v0, 0x100, v0
	global_store_b16 v1, v5, s[4:5] scale_offset
	s_wait_xcnt 0x0
	s_or_b32 exec_lo, exec_lo, s0
	s_delay_alu instid0(SALU_CYCLE_1)
	s_mov_b32 s0, exec_lo
	v_cmpx_gt_i32_e64 s16, v0
	s_cbranch_execnz .LBB160_42
	s_branch .LBB160_43
	.section	.rodata,"a",@progbits
	.p2align	6, 0x0
	.amdhsa_kernel _ZN2at6native29vectorized_elementwise_kernelILi16EZZZNS0_12_GLOBAL__N_117clamp_kernel_implERNS_18TensorIteratorBaseEENKUlvE_clEvENKUlvE7_clEvEUlN3c108BFloat16ES8_S8_E_St5arrayIPcLm4EEEEviT0_T1_
		.amdhsa_group_segment_fixed_size 0
		.amdhsa_private_segment_fixed_size 0
		.amdhsa_kernarg_size 40
		.amdhsa_user_sgpr_count 2
		.amdhsa_user_sgpr_dispatch_ptr 0
		.amdhsa_user_sgpr_queue_ptr 0
		.amdhsa_user_sgpr_kernarg_segment_ptr 1
		.amdhsa_user_sgpr_dispatch_id 0
		.amdhsa_user_sgpr_kernarg_preload_length 0
		.amdhsa_user_sgpr_kernarg_preload_offset 0
		.amdhsa_user_sgpr_private_segment_size 0
		.amdhsa_wavefront_size32 1
		.amdhsa_uses_dynamic_stack 0
		.amdhsa_enable_private_segment 0
		.amdhsa_system_sgpr_workgroup_id_x 1
		.amdhsa_system_sgpr_workgroup_id_y 0
		.amdhsa_system_sgpr_workgroup_id_z 0
		.amdhsa_system_sgpr_workgroup_info 0
		.amdhsa_system_vgpr_workitem_id 0
		.amdhsa_next_free_vgpr 60
		.amdhsa_next_free_sgpr 17
		.amdhsa_named_barrier_count 0
		.amdhsa_reserve_vcc 1
		.amdhsa_float_round_mode_32 0
		.amdhsa_float_round_mode_16_64 0
		.amdhsa_float_denorm_mode_32 3
		.amdhsa_float_denorm_mode_16_64 3
		.amdhsa_fp16_overflow 0
		.amdhsa_memory_ordered 1
		.amdhsa_forward_progress 1
		.amdhsa_inst_pref_size 28
		.amdhsa_round_robin_scheduling 0
		.amdhsa_exception_fp_ieee_invalid_op 0
		.amdhsa_exception_fp_denorm_src 0
		.amdhsa_exception_fp_ieee_div_zero 0
		.amdhsa_exception_fp_ieee_overflow 0
		.amdhsa_exception_fp_ieee_underflow 0
		.amdhsa_exception_fp_ieee_inexact 0
		.amdhsa_exception_int_div_zero 0
	.end_amdhsa_kernel
	.section	.text._ZN2at6native29vectorized_elementwise_kernelILi16EZZZNS0_12_GLOBAL__N_117clamp_kernel_implERNS_18TensorIteratorBaseEENKUlvE_clEvENKUlvE7_clEvEUlN3c108BFloat16ES8_S8_E_St5arrayIPcLm4EEEEviT0_T1_,"axG",@progbits,_ZN2at6native29vectorized_elementwise_kernelILi16EZZZNS0_12_GLOBAL__N_117clamp_kernel_implERNS_18TensorIteratorBaseEENKUlvE_clEvENKUlvE7_clEvEUlN3c108BFloat16ES8_S8_E_St5arrayIPcLm4EEEEviT0_T1_,comdat
.Lfunc_end160:
	.size	_ZN2at6native29vectorized_elementwise_kernelILi16EZZZNS0_12_GLOBAL__N_117clamp_kernel_implERNS_18TensorIteratorBaseEENKUlvE_clEvENKUlvE7_clEvEUlN3c108BFloat16ES8_S8_E_St5arrayIPcLm4EEEEviT0_T1_, .Lfunc_end160-_ZN2at6native29vectorized_elementwise_kernelILi16EZZZNS0_12_GLOBAL__N_117clamp_kernel_implERNS_18TensorIteratorBaseEENKUlvE_clEvENKUlvE7_clEvEUlN3c108BFloat16ES8_S8_E_St5arrayIPcLm4EEEEviT0_T1_
                                        ; -- End function
	.set _ZN2at6native29vectorized_elementwise_kernelILi16EZZZNS0_12_GLOBAL__N_117clamp_kernel_implERNS_18TensorIteratorBaseEENKUlvE_clEvENKUlvE7_clEvEUlN3c108BFloat16ES8_S8_E_St5arrayIPcLm4EEEEviT0_T1_.num_vgpr, 60
	.set _ZN2at6native29vectorized_elementwise_kernelILi16EZZZNS0_12_GLOBAL__N_117clamp_kernel_implERNS_18TensorIteratorBaseEENKUlvE_clEvENKUlvE7_clEvEUlN3c108BFloat16ES8_S8_E_St5arrayIPcLm4EEEEviT0_T1_.num_agpr, 0
	.set _ZN2at6native29vectorized_elementwise_kernelILi16EZZZNS0_12_GLOBAL__N_117clamp_kernel_implERNS_18TensorIteratorBaseEENKUlvE_clEvENKUlvE7_clEvEUlN3c108BFloat16ES8_S8_E_St5arrayIPcLm4EEEEviT0_T1_.numbered_sgpr, 17
	.set _ZN2at6native29vectorized_elementwise_kernelILi16EZZZNS0_12_GLOBAL__N_117clamp_kernel_implERNS_18TensorIteratorBaseEENKUlvE_clEvENKUlvE7_clEvEUlN3c108BFloat16ES8_S8_E_St5arrayIPcLm4EEEEviT0_T1_.num_named_barrier, 0
	.set _ZN2at6native29vectorized_elementwise_kernelILi16EZZZNS0_12_GLOBAL__N_117clamp_kernel_implERNS_18TensorIteratorBaseEENKUlvE_clEvENKUlvE7_clEvEUlN3c108BFloat16ES8_S8_E_St5arrayIPcLm4EEEEviT0_T1_.private_seg_size, 0
	.set _ZN2at6native29vectorized_elementwise_kernelILi16EZZZNS0_12_GLOBAL__N_117clamp_kernel_implERNS_18TensorIteratorBaseEENKUlvE_clEvENKUlvE7_clEvEUlN3c108BFloat16ES8_S8_E_St5arrayIPcLm4EEEEviT0_T1_.uses_vcc, 1
	.set _ZN2at6native29vectorized_elementwise_kernelILi16EZZZNS0_12_GLOBAL__N_117clamp_kernel_implERNS_18TensorIteratorBaseEENKUlvE_clEvENKUlvE7_clEvEUlN3c108BFloat16ES8_S8_E_St5arrayIPcLm4EEEEviT0_T1_.uses_flat_scratch, 0
	.set _ZN2at6native29vectorized_elementwise_kernelILi16EZZZNS0_12_GLOBAL__N_117clamp_kernel_implERNS_18TensorIteratorBaseEENKUlvE_clEvENKUlvE7_clEvEUlN3c108BFloat16ES8_S8_E_St5arrayIPcLm4EEEEviT0_T1_.has_dyn_sized_stack, 0
	.set _ZN2at6native29vectorized_elementwise_kernelILi16EZZZNS0_12_GLOBAL__N_117clamp_kernel_implERNS_18TensorIteratorBaseEENKUlvE_clEvENKUlvE7_clEvEUlN3c108BFloat16ES8_S8_E_St5arrayIPcLm4EEEEviT0_T1_.has_recursion, 0
	.set _ZN2at6native29vectorized_elementwise_kernelILi16EZZZNS0_12_GLOBAL__N_117clamp_kernel_implERNS_18TensorIteratorBaseEENKUlvE_clEvENKUlvE7_clEvEUlN3c108BFloat16ES8_S8_E_St5arrayIPcLm4EEEEviT0_T1_.has_indirect_call, 0
	.section	.AMDGPU.csdata,"",@progbits
; Kernel info:
; codeLenInByte = 3464
; TotalNumSgprs: 19
; NumVgprs: 60
; ScratchSize: 0
; MemoryBound: 0
; FloatMode: 240
; IeeeMode: 1
; LDSByteSize: 0 bytes/workgroup (compile time only)
; SGPRBlocks: 0
; VGPRBlocks: 3
; NumSGPRsForWavesPerEU: 19
; NumVGPRsForWavesPerEU: 60
; NamedBarCnt: 0
; Occupancy: 16
; WaveLimiterHint : 0
; COMPUTE_PGM_RSRC2:SCRATCH_EN: 0
; COMPUTE_PGM_RSRC2:USER_SGPR: 2
; COMPUTE_PGM_RSRC2:TRAP_HANDLER: 0
; COMPUTE_PGM_RSRC2:TGID_X_EN: 1
; COMPUTE_PGM_RSRC2:TGID_Y_EN: 0
; COMPUTE_PGM_RSRC2:TGID_Z_EN: 0
; COMPUTE_PGM_RSRC2:TIDIG_COMP_CNT: 0
	.section	.text._ZN2at6native29vectorized_elementwise_kernelILi8EZZZNS0_12_GLOBAL__N_117clamp_kernel_implERNS_18TensorIteratorBaseEENKUlvE_clEvENKUlvE7_clEvEUlN3c108BFloat16ES8_S8_E_St5arrayIPcLm4EEEEviT0_T1_,"axG",@progbits,_ZN2at6native29vectorized_elementwise_kernelILi8EZZZNS0_12_GLOBAL__N_117clamp_kernel_implERNS_18TensorIteratorBaseEENKUlvE_clEvENKUlvE7_clEvEUlN3c108BFloat16ES8_S8_E_St5arrayIPcLm4EEEEviT0_T1_,comdat
	.globl	_ZN2at6native29vectorized_elementwise_kernelILi8EZZZNS0_12_GLOBAL__N_117clamp_kernel_implERNS_18TensorIteratorBaseEENKUlvE_clEvENKUlvE7_clEvEUlN3c108BFloat16ES8_S8_E_St5arrayIPcLm4EEEEviT0_T1_ ; -- Begin function _ZN2at6native29vectorized_elementwise_kernelILi8EZZZNS0_12_GLOBAL__N_117clamp_kernel_implERNS_18TensorIteratorBaseEENKUlvE_clEvENKUlvE7_clEvEUlN3c108BFloat16ES8_S8_E_St5arrayIPcLm4EEEEviT0_T1_
	.p2align	8
	.type	_ZN2at6native29vectorized_elementwise_kernelILi8EZZZNS0_12_GLOBAL__N_117clamp_kernel_implERNS_18TensorIteratorBaseEENKUlvE_clEvENKUlvE7_clEvEUlN3c108BFloat16ES8_S8_E_St5arrayIPcLm4EEEEviT0_T1_,@function
_ZN2at6native29vectorized_elementwise_kernelILi8EZZZNS0_12_GLOBAL__N_117clamp_kernel_implERNS_18TensorIteratorBaseEENKUlvE_clEvENKUlvE7_clEvEUlN3c108BFloat16ES8_S8_E_St5arrayIPcLm4EEEEviT0_T1_: ; @_ZN2at6native29vectorized_elementwise_kernelILi8EZZZNS0_12_GLOBAL__N_117clamp_kernel_implERNS_18TensorIteratorBaseEENKUlvE_clEvENKUlvE7_clEvEUlN3c108BFloat16ES8_S8_E_St5arrayIPcLm4EEEEviT0_T1_
; %bb.0:
	s_clause 0x1
	s_load_b32 s2, s[0:1], 0x0
	s_load_b256 s[4:11], s[0:1], 0x8
	s_wait_xcnt 0x0
	s_bfe_u32 s0, ttmp6, 0x4000c
	s_and_b32 s1, ttmp6, 15
	s_add_co_i32 s0, s0, 1
	s_getreg_b32 s3, hwreg(HW_REG_IB_STS2, 6, 4)
	s_mul_i32 s0, ttmp9, s0
	s_delay_alu instid0(SALU_CYCLE_1) | instskip(SKIP_2) | instid1(SALU_CYCLE_1)
	s_add_co_i32 s1, s1, s0
	s_cmp_eq_u32 s3, 0
	s_cselect_b32 s0, ttmp9, s1
	s_lshl_b32 s12, s0, 11
	s_mov_b32 s0, -1
	s_wait_kmcnt 0x0
	s_sub_co_i32 s16, s2, s12
	s_delay_alu instid0(SALU_CYCLE_1)
	s_cmp_gt_i32 s16, 0x7ff
	s_cbranch_scc0 .LBB161_2
; %bb.1:
	s_ashr_i32 s13, s12, 31
	s_delay_alu instid0(SALU_CYCLE_1) | instskip(NEXT) | instid1(SALU_CYCLE_1)
	s_lshl_b64 s[14:15], s[12:13], 1
	s_add_nc_u64 s[0:1], s[6:7], s[14:15]
	global_load_b128 v[2:5], v0, s[0:1] scale_offset
	s_wait_xcnt 0x0
	s_add_nc_u64 s[0:1], s[8:9], s[14:15]
	global_load_b128 v[6:9], v0, s[0:1] scale_offset
	s_wait_xcnt 0x0
	s_add_nc_u64 s[0:1], s[10:11], s[14:15]
	global_load_b128 v[10:13], v0, s[0:1] scale_offset
	s_wait_loadcnt 0x2
	v_and_b32_e32 v15, 0xffff0000, v2
	v_dual_lshrrev_b32 v1, 16, v3 :: v_dual_lshrrev_b32 v14, 16, v2
	s_wait_loadcnt 0x1
	v_and_b32_e32 v21, 0xffff0000, v6
	v_dual_lshlrev_b32 v16, 16, v2 :: v_dual_lshlrev_b32 v18, 16, v3
	v_dual_lshrrev_b32 v19, 16, v7 :: v_dual_lshrrev_b32 v20, 16, v6
	v_dual_lshlrev_b32 v22, 16, v6 :: v_dual_lshlrev_b32 v24, 16, v7
	s_delay_alu instid0(VALU_DEP_4)
	v_cmp_gt_f32_e32 vcc_lo, v15, v21
	v_and_b32_e32 v17, 0xffff0000, v3
	v_and_b32_e32 v23, 0xffff0000, v7
	;; [unrolled: 1-line block ×4, first 2 shown]
	v_cndmask_b32_e32 v49, v20, v14, vcc_lo
	v_cmp_gt_f32_e32 vcc_lo, v16, v22
	v_dual_lshrrev_b32 v31, 16, v5 :: v_dual_lshrrev_b32 v32, 16, v4
	v_dual_lshlrev_b32 v34, 16, v4 :: v_dual_lshlrev_b32 v36, 16, v5
	v_cndmask_b32_e32 v50, v6, v2, vcc_lo
	v_cmp_gt_f32_e32 vcc_lo, v17, v23
	v_dual_lshrrev_b32 v37, 16, v9 :: v_dual_lshrrev_b32 v38, 16, v8
	v_dual_lshlrev_b32 v40, 16, v8 :: v_dual_lshlrev_b32 v42, 16, v9
	v_cndmask_b32_e32 v51, v19, v1, vcc_lo
	v_cmp_gt_f32_e32 vcc_lo, v18, v24
	v_and_b32_e32 v35, 0xffff0000, v5
	v_and_b32_e32 v41, 0xffff0000, v9
	s_wait_loadcnt 0x0
	v_dual_lshlrev_b32 v27, 16, v11 :: v_dual_lshlrev_b32 v29, 16, v10
	v_cndmask_b32_e32 v52, v7, v3, vcc_lo
	v_cmp_gt_f32_e32 vcc_lo, v33, v39
	v_and_b32_e32 v28, 0xffff0000, v11
	v_and_b32_e32 v30, 0xffff0000, v10
	v_dual_lshlrev_b32 v56, 16, v49 :: v_dual_lshlrev_b32 v59, 16, v51
	v_cndmask_b32_e32 v53, v38, v32, vcc_lo
	v_cmp_gt_f32_e32 vcc_lo, v34, v40
	v_dual_lshrrev_b32 v25, 16, v10 :: v_dual_lshrrev_b32 v26, 16, v11
	v_dual_lshlrev_b32 v45, 16, v13 :: v_dual_lshlrev_b32 v47, 16, v12
	v_cndmask_b32_e32 v54, v8, v4, vcc_lo
	v_cmp_gt_f32_e32 vcc_lo, v35, v41
	v_and_b32_e32 v46, 0xffff0000, v13
	v_dual_lshrrev_b32 v43, 16, v12 :: v_dual_lshrrev_b32 v44, 16, v13
	v_and_b32_e32 v48, 0xffff0000, v12
	v_cndmask_b32_e32 v55, v37, v31, vcc_lo
	v_cmp_gt_f32_e32 vcc_lo, v36, v42
	v_dual_cndmask_b32 v58, v9, v5 :: v_dual_lshlrev_b32 v57, 16, v50
	v_cmp_lt_f32_e32 vcc_lo, v56, v30
	v_lshlrev_b32_e32 v56, 16, v52
	s_delay_alu instid0(VALU_DEP_3) | instskip(SKIP_2) | instid1(VALU_DEP_4)
	v_cmp_lt_f32_e64 s0, v57, v29
	v_cmp_lt_f32_e64 s1, v59, v28
	v_dual_lshlrev_b32 v57, 16, v58 :: v_dual_lshlrev_b32 v59, 16, v55
	v_cmp_lt_f32_e64 s2, v56, v27
	v_lshlrev_b32_e32 v56, 16, v54
	v_dual_cndmask_b32 v50, v10, v50, s0 :: v_dual_cndmask_b32 v49, v25, v49, vcc_lo
	s_delay_alu instid0(VALU_DEP_4) | instskip(SKIP_2) | instid1(VALU_DEP_3)
	v_cmp_lt_f32_e64 s3, v57, v45
	v_cmp_lt_f32_e32 vcc_lo, v59, v46
	v_dual_lshlrev_b32 v57, 16, v53 :: v_dual_cndmask_b32 v52, v11, v52, s2
	v_dual_cndmask_b32 v51, v26, v51, s1 :: v_dual_cndmask_b32 v58, v13, v58, s3
	v_cndmask_b32_e32 v55, v44, v55, vcc_lo
	v_cmp_lt_f32_e32 vcc_lo, v56, v47
	s_add_nc_u64 s[2:3], s[4:5], s[14:15]
	s_mov_b32 s0, 0
	v_cndmask_b32_e32 v54, v12, v54, vcc_lo
	v_cmp_lt_f32_e32 vcc_lo, v57, v48
	v_cndmask_b32_e32 v53, v43, v53, vcc_lo
	v_cmp_u_f32_e32 vcc_lo, v30, v30
	v_cndmask_b32_e32 v25, v49, v25, vcc_lo
	v_cmp_u_f32_e32 vcc_lo, v29, v29
	;; [unrolled: 2-line block ×21, first 2 shown]
	s_delay_alu instid0(VALU_DEP_4)
	v_perm_b32 v3, v1, v3, 0x5040100
	v_cndmask_b32_e32 v11, v13, v31, vcc_lo
	v_cmp_u_f32_e32 vcc_lo, v36, v36
	v_cndmask_b32_e32 v5, v9, v5, vcc_lo
	v_cmp_u_f32_e32 vcc_lo, v34, v34
	;; [unrolled: 2-line block ×3, first 2 shown]
	s_delay_alu instid0(VALU_DEP_2) | instskip(SKIP_2) | instid1(VALU_DEP_2)
	v_perm_b32 v4, v7, v4, 0x5040100
	v_cndmask_b32_e32 v2, v6, v2, vcc_lo
	v_perm_b32 v5, v11, v5, 0x5040100
	v_perm_b32 v2, v10, v2, 0x5040100
	global_store_b128 v0, v[2:5], s[2:3] scale_offset
.LBB161_2:
	s_and_not1_b32 vcc_lo, exec_lo, s0
	s_cbranch_vccnz .LBB161_43
; %bb.3:
	v_cmp_gt_i32_e32 vcc_lo, s16, v0
	s_wait_xcnt 0x0
	v_dual_mov_b32 v3, 0 :: v_dual_bitop2_b32 v1, s12, v0 bitop3:0x54
	v_or_b32_e32 v2, 0x100, v0
	v_dual_mov_b32 v7, 0 :: v_dual_mov_b32 v10, 0
	v_dual_mov_b32 v18, 0 :: v_dual_mov_b32 v27, v0
	s_and_saveexec_b32 s0, vcc_lo
	s_cbranch_execz .LBB161_5
; %bb.4:
	s_clause 0x2
	global_load_u16 v7, v1, s[6:7] scale_offset
	global_load_u16 v10, v1, s[8:9] scale_offset
	;; [unrolled: 1-line block ×3, first 2 shown]
	v_or_b32_e32 v27, 0x100, v0
.LBB161_5:
	s_wait_xcnt 0x0
	s_or_b32 exec_lo, exec_lo, s0
	v_dual_mov_b32 v12, 0 :: v_dual_mov_b32 v20, 0
	s_mov_b32 s1, exec_lo
	v_cmpx_gt_i32_e64 s16, v27
	s_cbranch_execz .LBB161_7
; %bb.6:
	v_add_nc_u32_e32 v4, s12, v27
	v_add_nc_u32_e32 v27, 0x100, v27
	s_clause 0x2
	global_load_u16 v3, v4, s[6:7] scale_offset
	global_load_u16 v12, v4, s[8:9] scale_offset
	global_load_u16 v20, v4, s[10:11] scale_offset
.LBB161_7:
	s_wait_xcnt 0x0
	s_or_b32 exec_lo, exec_lo, s1
	v_dual_mov_b32 v4, 0 :: v_dual_mov_b32 v8, 0
	v_dual_mov_b32 v13, 0 :: v_dual_mov_b32 v21, 0
	s_mov_b32 s1, exec_lo
	v_cmpx_gt_i32_e64 s16, v27
	s_cbranch_execz .LBB161_9
; %bb.8:
	v_add_nc_u32_e32 v5, s12, v27
	v_add_nc_u32_e32 v27, 0x100, v27
	s_clause 0x2
	global_load_u16 v8, v5, s[6:7] scale_offset
	global_load_u16 v13, v5, s[8:9] scale_offset
	global_load_u16 v21, v5, s[10:11] scale_offset
.LBB161_9:
	s_wait_xcnt 0x0
	s_or_b32 exec_lo, exec_lo, s1
	v_dual_mov_b32 v14, 0 :: v_dual_mov_b32 v22, 0
	s_mov_b32 s1, exec_lo
	v_cmpx_gt_i32_e64 s16, v27
	s_cbranch_execz .LBB161_11
; %bb.10:
	v_add_nc_u32_e32 v5, s12, v27
	v_add_nc_u32_e32 v27, 0x100, v27
	s_clause 0x2
	global_load_u16 v4, v5, s[6:7] scale_offset
	global_load_u16 v14, v5, s[8:9] scale_offset
	global_load_u16 v22, v5, s[10:11] scale_offset
.LBB161_11:
	s_wait_xcnt 0x0
	s_or_b32 exec_lo, exec_lo, s1
	v_dual_mov_b32 v5, 0 :: v_dual_mov_b32 v9, 0
	v_dual_mov_b32 v15, 0 :: v_dual_mov_b32 v23, 0
	s_mov_b32 s1, exec_lo
	v_cmpx_gt_i32_e64 s16, v27
	s_cbranch_execz .LBB161_13
; %bb.12:
	v_add_nc_u32_e32 v6, s12, v27
	v_add_nc_u32_e32 v27, 0x100, v27
	s_clause 0x2
	global_load_u16 v9, v6, s[6:7] scale_offset
	global_load_u16 v15, v6, s[8:9] scale_offset
	global_load_u16 v23, v6, s[10:11] scale_offset
.LBB161_13:
	;; [unrolled: 29-line block ×3, first 2 shown]
	s_wait_xcnt 0x0
	s_or_b32 exec_lo, exec_lo, s1
	v_dual_mov_b32 v17, 0 :: v_dual_mov_b32 v25, 0
	s_mov_b32 s1, exec_lo
	v_cmpx_gt_i32_e64 s16, v27
	s_cbranch_execz .LBB161_19
; %bb.18:
	v_add_nc_u32_e32 v27, s12, v27
	s_clause 0x2
	global_load_u16 v6, v27, s[6:7] scale_offset
	global_load_u16 v17, v27, s[8:9] scale_offset
	;; [unrolled: 1-line block ×3, first 2 shown]
	s_wait_xcnt 0x0
	s_or_b32 exec_lo, exec_lo, s1
                                        ; implicit-def: $vgpr27
	s_and_saveexec_b32 s1, vcc_lo
	s_cbranch_execz .LBB161_21
	s_branch .LBB161_20
.LBB161_19:
	s_or_b32 exec_lo, exec_lo, s1
                                        ; implicit-def: $vgpr27
	s_and_saveexec_b32 s1, vcc_lo
	s_cbranch_execz .LBB161_21
.LBB161_20:
	s_wait_loadcnt 0x1
	v_dual_lshlrev_b32 v27, 16, v7 :: v_dual_lshlrev_b32 v28, 16, v10
	s_wait_loadcnt 0x0
	v_lshlrev_b32_e32 v30, 16, v18
	s_delay_alu instid0(VALU_DEP_2) | instskip(NEXT) | instid1(VALU_DEP_1)
	v_cmp_gt_f32_e64 s0, v27, v28
	v_cndmask_b32_e64 v29, v10, v7, s0
	s_delay_alu instid0(VALU_DEP_1) | instskip(NEXT) | instid1(VALU_DEP_1)
	v_lshlrev_b32_e32 v31, 16, v29
	v_cmp_lt_f32_e64 s0, v31, v30
	s_delay_alu instid0(VALU_DEP_1) | instskip(SKIP_1) | instid1(VALU_DEP_1)
	v_cndmask_b32_e64 v29, v18, v29, s0
	v_cmp_u_f32_e64 s0, v30, v30
	v_cndmask_b32_e64 v18, v29, v18, s0
	v_cmp_u_f32_e64 s0, v28, v28
	s_delay_alu instid0(VALU_DEP_1) | instskip(SKIP_1) | instid1(VALU_DEP_1)
	v_cndmask_b32_e64 v10, v18, v10, s0
	v_cmp_u_f32_e64 s0, v27, v27
	v_cndmask_b32_e64 v27, v10, v7, s0
.LBB161_21:
	s_or_b32 exec_lo, exec_lo, s1
	s_delay_alu instid0(SALU_CYCLE_1)
	s_mov_b32 s1, exec_lo
                                        ; implicit-def: $vgpr7
	v_cmpx_gt_i32_e64 s16, v2
	s_cbranch_execz .LBB161_23
; %bb.22:
	s_wait_loadcnt 0x1
	v_dual_lshlrev_b32 v7, 16, v3 :: v_dual_lshlrev_b32 v10, 16, v12
	s_wait_loadcnt 0x0
	v_lshlrev_b32_e32 v28, 16, v20
	s_delay_alu instid0(VALU_DEP_2) | instskip(NEXT) | instid1(VALU_DEP_1)
	v_cmp_gt_f32_e64 s0, v7, v10
	v_cndmask_b32_e64 v18, v12, v3, s0
	s_delay_alu instid0(VALU_DEP_1) | instskip(NEXT) | instid1(VALU_DEP_1)
	v_lshlrev_b32_e32 v29, 16, v18
	v_cmp_lt_f32_e64 s0, v29, v28
	s_delay_alu instid0(VALU_DEP_1) | instskip(SKIP_1) | instid1(VALU_DEP_1)
	v_cndmask_b32_e64 v18, v20, v18, s0
	v_cmp_u_f32_e64 s0, v28, v28
	v_cndmask_b32_e64 v18, v18, v20, s0
	v_cmp_u_f32_e64 s0, v10, v10
	s_delay_alu instid0(VALU_DEP_1) | instskip(SKIP_1) | instid1(VALU_DEP_1)
	v_cndmask_b32_e64 v10, v18, v12, s0
	v_cmp_u_f32_e64 s0, v7, v7
	v_cndmask_b32_e64 v7, v10, v3, s0
.LBB161_23:
	s_or_b32 exec_lo, exec_lo, s1
	s_wait_loadcnt 0x2
	v_or_b32_e32 v3, 0x200, v0
	s_delay_alu instid0(VALU_DEP_1)
	v_cmp_gt_i32_e64 s0, s16, v3
                                        ; implicit-def: $vgpr3
	s_and_saveexec_b32 s1, s0
	s_cbranch_execz .LBB161_25
; %bb.24:
	s_wait_loadcnt 0x1
	v_dual_lshlrev_b32 v3, 16, v8 :: v_dual_lshlrev_b32 v10, 16, v13
	s_wait_loadcnt 0x0
	v_lshlrev_b32_e32 v18, 16, v21
	s_delay_alu instid0(VALU_DEP_2) | instskip(NEXT) | instid1(VALU_DEP_1)
	v_cmp_gt_f32_e64 s0, v3, v10
	v_cndmask_b32_e64 v12, v13, v8, s0
	s_delay_alu instid0(VALU_DEP_1) | instskip(NEXT) | instid1(VALU_DEP_1)
	v_lshlrev_b32_e32 v20, 16, v12
	v_cmp_lt_f32_e64 s0, v20, v18
	s_delay_alu instid0(VALU_DEP_1) | instskip(SKIP_1) | instid1(VALU_DEP_1)
	v_cndmask_b32_e64 v12, v21, v12, s0
	v_cmp_u_f32_e64 s0, v18, v18
	v_cndmask_b32_e64 v12, v12, v21, s0
	v_cmp_u_f32_e64 s0, v10, v10
	s_delay_alu instid0(VALU_DEP_1) | instskip(SKIP_1) | instid1(VALU_DEP_1)
	v_cndmask_b32_e64 v10, v12, v13, s0
	v_cmp_u_f32_e64 s0, v3, v3
	v_cndmask_b32_e64 v3, v10, v8, s0
.LBB161_25:
	s_or_b32 exec_lo, exec_lo, s1
	v_or_b32_e32 v8, 0x300, v0
	s_delay_alu instid0(VALU_DEP_1)
	v_cmp_gt_i32_e64 s0, s16, v8
                                        ; implicit-def: $vgpr8
	s_and_saveexec_b32 s1, s0
	s_cbranch_execz .LBB161_27
; %bb.26:
	s_wait_loadcnt 0x1
	v_dual_lshlrev_b32 v8, 16, v4 :: v_dual_lshlrev_b32 v10, 16, v14
	s_wait_loadcnt 0x0
	v_lshlrev_b32_e32 v13, 16, v22
	s_delay_alu instid0(VALU_DEP_2) | instskip(NEXT) | instid1(VALU_DEP_1)
	v_cmp_gt_f32_e64 s0, v8, v10
	v_cndmask_b32_e64 v12, v14, v4, s0
	s_delay_alu instid0(VALU_DEP_1) | instskip(NEXT) | instid1(VALU_DEP_1)
	v_lshlrev_b32_e32 v18, 16, v12
	v_cmp_lt_f32_e64 s0, v18, v13
	s_delay_alu instid0(VALU_DEP_1) | instskip(SKIP_1) | instid1(VALU_DEP_1)
	v_cndmask_b32_e64 v12, v22, v12, s0
	v_cmp_u_f32_e64 s0, v13, v13
	v_cndmask_b32_e64 v12, v12, v22, s0
	v_cmp_u_f32_e64 s0, v10, v10
	s_delay_alu instid0(VALU_DEP_1) | instskip(SKIP_1) | instid1(VALU_DEP_1)
	v_cndmask_b32_e64 v10, v12, v14, s0
	v_cmp_u_f32_e64 s0, v8, v8
	v_cndmask_b32_e64 v8, v10, v4, s0
.LBB161_27:
	s_or_b32 exec_lo, exec_lo, s1
	v_or_b32_e32 v4, 0x400, v0
	s_delay_alu instid0(VALU_DEP_1)
	v_cmp_gt_i32_e64 s0, s16, v4
                                        ; implicit-def: $vgpr4
	s_and_saveexec_b32 s1, s0
	s_cbranch_execz .LBB161_29
; %bb.28:
	s_wait_loadcnt 0x1
	v_dual_lshlrev_b32 v4, 16, v9 :: v_dual_lshlrev_b32 v10, 16, v15
	s_wait_loadcnt 0x0
	v_lshlrev_b32_e32 v13, 16, v23
	s_delay_alu instid0(VALU_DEP_2) | instskip(NEXT) | instid1(VALU_DEP_1)
	v_cmp_gt_f32_e64 s0, v4, v10
	v_cndmask_b32_e64 v12, v15, v9, s0
	s_delay_alu instid0(VALU_DEP_1) | instskip(NEXT) | instid1(VALU_DEP_1)
	v_lshlrev_b32_e32 v14, 16, v12
	v_cmp_lt_f32_e64 s0, v14, v13
	s_delay_alu instid0(VALU_DEP_1) | instskip(SKIP_1) | instid1(VALU_DEP_1)
	v_cndmask_b32_e64 v12, v23, v12, s0
	v_cmp_u_f32_e64 s0, v13, v13
	v_cndmask_b32_e64 v12, v12, v23, s0
	v_cmp_u_f32_e64 s0, v10, v10
	s_delay_alu instid0(VALU_DEP_1) | instskip(SKIP_1) | instid1(VALU_DEP_1)
	v_cndmask_b32_e64 v10, v12, v15, s0
	v_cmp_u_f32_e64 s0, v4, v4
	v_cndmask_b32_e64 v4, v10, v9, s0
.LBB161_29:
	s_or_b32 exec_lo, exec_lo, s1
	v_or_b32_e32 v9, 0x500, v0
	s_delay_alu instid0(VALU_DEP_1)
	v_cmp_gt_i32_e64 s0, s16, v9
                                        ; implicit-def: $vgpr9
	s_and_saveexec_b32 s1, s0
	s_cbranch_execz .LBB161_31
; %bb.30:
	s_wait_loadcnt 0x1
	v_dual_lshlrev_b32 v9, 16, v5 :: v_dual_lshlrev_b32 v10, 16, v16
	s_wait_loadcnt 0x0
	v_lshlrev_b32_e32 v13, 16, v24
	s_delay_alu instid0(VALU_DEP_2) | instskip(NEXT) | instid1(VALU_DEP_1)
	v_cmp_gt_f32_e64 s0, v9, v10
	v_cndmask_b32_e64 v12, v16, v5, s0
	s_delay_alu instid0(VALU_DEP_1) | instskip(NEXT) | instid1(VALU_DEP_1)
	v_lshlrev_b32_e32 v14, 16, v12
	v_cmp_lt_f32_e64 s0, v14, v13
	s_delay_alu instid0(VALU_DEP_1) | instskip(SKIP_1) | instid1(VALU_DEP_1)
	v_cndmask_b32_e64 v12, v24, v12, s0
	v_cmp_u_f32_e64 s0, v13, v13
	v_cndmask_b32_e64 v12, v12, v24, s0
	v_cmp_u_f32_e64 s0, v10, v10
	s_delay_alu instid0(VALU_DEP_1) | instskip(SKIP_1) | instid1(VALU_DEP_1)
	v_cndmask_b32_e64 v10, v12, v16, s0
	v_cmp_u_f32_e64 s0, v9, v9
	v_cndmask_b32_e64 v9, v10, v5, s0
.LBB161_31:
	s_or_b32 exec_lo, exec_lo, s1
	v_or_b32_e32 v5, 0x600, v0
	s_delay_alu instid0(VALU_DEP_1)
	v_cmp_gt_i32_e64 s0, s16, v5
                                        ; implicit-def: $vgpr5
	s_and_saveexec_b32 s1, s0
	s_cbranch_execz .LBB161_33
; %bb.32:
	v_lshlrev_b32_e32 v5, 16, v11
	s_wait_loadcnt 0x0
	v_dual_lshlrev_b32 v10, 16, v19 :: v_dual_lshlrev_b32 v13, 16, v26
	s_delay_alu instid0(VALU_DEP_1) | instskip(NEXT) | instid1(VALU_DEP_1)
	v_cmp_gt_f32_e64 s0, v5, v10
	v_cndmask_b32_e64 v12, v19, v11, s0
	s_delay_alu instid0(VALU_DEP_1) | instskip(NEXT) | instid1(VALU_DEP_1)
	v_lshlrev_b32_e32 v14, 16, v12
	v_cmp_lt_f32_e64 s0, v14, v13
	s_delay_alu instid0(VALU_DEP_1) | instskip(SKIP_1) | instid1(VALU_DEP_1)
	v_cndmask_b32_e64 v12, v26, v12, s0
	v_cmp_u_f32_e64 s0, v13, v13
	v_cndmask_b32_e64 v12, v12, v26, s0
	v_cmp_u_f32_e64 s0, v10, v10
	s_delay_alu instid0(VALU_DEP_1) | instskip(SKIP_1) | instid1(VALU_DEP_1)
	v_cndmask_b32_e64 v10, v12, v19, s0
	v_cmp_u_f32_e64 s0, v5, v5
	v_cndmask_b32_e64 v5, v10, v11, s0
.LBB161_33:
	s_or_b32 exec_lo, exec_lo, s1
	s_wait_loadcnt 0x1
	v_or_b32_e32 v10, 0x700, v0
	s_delay_alu instid0(VALU_DEP_1)
	v_cmp_gt_i32_e64 s0, s16, v10
                                        ; implicit-def: $vgpr10
	s_and_saveexec_b32 s1, s0
	s_cbranch_execz .LBB161_44
; %bb.34:
	v_dual_lshlrev_b32 v10, 16, v6 :: v_dual_lshlrev_b32 v11, 16, v17
	s_wait_loadcnt 0x0
	v_lshlrev_b32_e32 v13, 16, v25
	s_delay_alu instid0(VALU_DEP_2) | instskip(NEXT) | instid1(VALU_DEP_1)
	v_cmp_gt_f32_e64 s0, v10, v11
	v_cndmask_b32_e64 v12, v17, v6, s0
	s_delay_alu instid0(VALU_DEP_1) | instskip(NEXT) | instid1(VALU_DEP_1)
	v_lshlrev_b32_e32 v14, 16, v12
	v_cmp_lt_f32_e64 s0, v14, v13
	s_delay_alu instid0(VALU_DEP_1) | instskip(SKIP_1) | instid1(VALU_DEP_1)
	v_cndmask_b32_e64 v12, v25, v12, s0
	v_cmp_u_f32_e64 s0, v13, v13
	v_cndmask_b32_e64 v12, v12, v25, s0
	v_cmp_u_f32_e64 s0, v11, v11
	s_delay_alu instid0(VALU_DEP_1) | instskip(SKIP_1) | instid1(VALU_DEP_1)
	v_cndmask_b32_e64 v11, v12, v17, s0
	v_cmp_u_f32_e64 s0, v10, v10
	v_cndmask_b32_e64 v10, v11, v6, s0
	s_or_b32 exec_lo, exec_lo, s1
	s_and_saveexec_b32 s0, vcc_lo
	s_delay_alu instid0(SALU_CYCLE_1)
	s_xor_b32 s0, exec_lo, s0
	s_cbranch_execnz .LBB161_45
.LBB161_35:
	s_or_b32 exec_lo, exec_lo, s0
	s_delay_alu instid0(SALU_CYCLE_1)
	s_mov_b32 s0, exec_lo
	v_cmpx_gt_i32_e64 s16, v0
	s_cbranch_execz .LBB161_46
.LBB161_36:
	v_add_nc_u32_e32 v1, s12, v0
	v_add_nc_u32_e32 v0, 0x100, v0
	global_store_b16 v1, v7, s[4:5] scale_offset
	s_wait_xcnt 0x0
	s_or_b32 exec_lo, exec_lo, s0
	s_delay_alu instid0(SALU_CYCLE_1)
	s_mov_b32 s0, exec_lo
	v_cmpx_gt_i32_e64 s16, v0
	s_cbranch_execnz .LBB161_47
.LBB161_37:
	s_or_b32 exec_lo, exec_lo, s0
	s_delay_alu instid0(SALU_CYCLE_1)
	s_mov_b32 s0, exec_lo
	v_cmpx_gt_i32_e64 s16, v0
	s_cbranch_execz .LBB161_48
.LBB161_38:
	v_add_nc_u32_e32 v1, s12, v0
	v_add_nc_u32_e32 v0, 0x100, v0
	global_store_b16 v1, v8, s[4:5] scale_offset
	s_wait_xcnt 0x0
	s_or_b32 exec_lo, exec_lo, s0
	s_delay_alu instid0(SALU_CYCLE_1)
	s_mov_b32 s0, exec_lo
	v_cmpx_gt_i32_e64 s16, v0
	s_cbranch_execnz .LBB161_49
.LBB161_39:
	s_or_b32 exec_lo, exec_lo, s0
	s_delay_alu instid0(SALU_CYCLE_1)
	s_mov_b32 s0, exec_lo
	v_cmpx_gt_i32_e64 s16, v0
	s_cbranch_execz .LBB161_50
.LBB161_40:
	v_add_nc_u32_e32 v1, s12, v0
	v_add_nc_u32_e32 v0, 0x100, v0
	global_store_b16 v1, v9, s[4:5] scale_offset
	s_wait_xcnt 0x0
	s_or_b32 exec_lo, exec_lo, s0
	s_delay_alu instid0(SALU_CYCLE_1)
	s_mov_b32 s0, exec_lo
	v_cmpx_gt_i32_e64 s16, v0
	s_cbranch_execnz .LBB161_51
.LBB161_41:
	s_or_b32 exec_lo, exec_lo, s0
	s_delay_alu instid0(SALU_CYCLE_1)
	s_mov_b32 s0, exec_lo
	v_cmpx_gt_i32_e64 s16, v0
	s_cbranch_execz .LBB161_43
.LBB161_42:
	v_add_nc_u32_e32 v0, s12, v0
	global_store_b16 v0, v10, s[4:5] scale_offset
.LBB161_43:
	s_endpgm
.LBB161_44:
	s_or_b32 exec_lo, exec_lo, s1
	s_and_saveexec_b32 s0, vcc_lo
	s_delay_alu instid0(SALU_CYCLE_1)
	s_xor_b32 s0, exec_lo, s0
	s_cbranch_execz .LBB161_35
.LBB161_45:
	v_mov_b32_e32 v0, v2
	global_store_b16 v1, v27, s[4:5] scale_offset
	s_wait_xcnt 0x0
	s_or_b32 exec_lo, exec_lo, s0
	s_delay_alu instid0(SALU_CYCLE_1)
	s_mov_b32 s0, exec_lo
	v_cmpx_gt_i32_e64 s16, v0
	s_cbranch_execnz .LBB161_36
.LBB161_46:
	s_or_b32 exec_lo, exec_lo, s0
	s_delay_alu instid0(SALU_CYCLE_1)
	s_mov_b32 s0, exec_lo
	v_cmpx_gt_i32_e64 s16, v0
	s_cbranch_execz .LBB161_37
.LBB161_47:
	v_add_nc_u32_e32 v1, s12, v0
	v_add_nc_u32_e32 v0, 0x100, v0
	global_store_b16 v1, v3, s[4:5] scale_offset
	s_wait_xcnt 0x0
	s_or_b32 exec_lo, exec_lo, s0
	s_delay_alu instid0(SALU_CYCLE_1)
	s_mov_b32 s0, exec_lo
	v_cmpx_gt_i32_e64 s16, v0
	s_cbranch_execnz .LBB161_38
.LBB161_48:
	s_or_b32 exec_lo, exec_lo, s0
	s_delay_alu instid0(SALU_CYCLE_1)
	s_mov_b32 s0, exec_lo
	v_cmpx_gt_i32_e64 s16, v0
	s_cbranch_execz .LBB161_39
.LBB161_49:
	v_add_nc_u32_e32 v1, s12, v0
	v_add_nc_u32_e32 v0, 0x100, v0
	global_store_b16 v1, v4, s[4:5] scale_offset
	s_wait_xcnt 0x0
	s_or_b32 exec_lo, exec_lo, s0
	s_delay_alu instid0(SALU_CYCLE_1)
	s_mov_b32 s0, exec_lo
	v_cmpx_gt_i32_e64 s16, v0
	s_cbranch_execnz .LBB161_40
.LBB161_50:
	s_or_b32 exec_lo, exec_lo, s0
	s_delay_alu instid0(SALU_CYCLE_1)
	s_mov_b32 s0, exec_lo
	v_cmpx_gt_i32_e64 s16, v0
	s_cbranch_execz .LBB161_41
.LBB161_51:
	v_add_nc_u32_e32 v1, s12, v0
	v_add_nc_u32_e32 v0, 0x100, v0
	global_store_b16 v1, v5, s[4:5] scale_offset
	s_wait_xcnt 0x0
	s_or_b32 exec_lo, exec_lo, s0
	s_delay_alu instid0(SALU_CYCLE_1)
	s_mov_b32 s0, exec_lo
	v_cmpx_gt_i32_e64 s16, v0
	s_cbranch_execnz .LBB161_42
	s_branch .LBB161_43
	.section	.rodata,"a",@progbits
	.p2align	6, 0x0
	.amdhsa_kernel _ZN2at6native29vectorized_elementwise_kernelILi8EZZZNS0_12_GLOBAL__N_117clamp_kernel_implERNS_18TensorIteratorBaseEENKUlvE_clEvENKUlvE7_clEvEUlN3c108BFloat16ES8_S8_E_St5arrayIPcLm4EEEEviT0_T1_
		.amdhsa_group_segment_fixed_size 0
		.amdhsa_private_segment_fixed_size 0
		.amdhsa_kernarg_size 40
		.amdhsa_user_sgpr_count 2
		.amdhsa_user_sgpr_dispatch_ptr 0
		.amdhsa_user_sgpr_queue_ptr 0
		.amdhsa_user_sgpr_kernarg_segment_ptr 1
		.amdhsa_user_sgpr_dispatch_id 0
		.amdhsa_user_sgpr_kernarg_preload_length 0
		.amdhsa_user_sgpr_kernarg_preload_offset 0
		.amdhsa_user_sgpr_private_segment_size 0
		.amdhsa_wavefront_size32 1
		.amdhsa_uses_dynamic_stack 0
		.amdhsa_enable_private_segment 0
		.amdhsa_system_sgpr_workgroup_id_x 1
		.amdhsa_system_sgpr_workgroup_id_y 0
		.amdhsa_system_sgpr_workgroup_id_z 0
		.amdhsa_system_sgpr_workgroup_info 0
		.amdhsa_system_vgpr_workitem_id 0
		.amdhsa_next_free_vgpr 60
		.amdhsa_next_free_sgpr 17
		.amdhsa_named_barrier_count 0
		.amdhsa_reserve_vcc 1
		.amdhsa_float_round_mode_32 0
		.amdhsa_float_round_mode_16_64 0
		.amdhsa_float_denorm_mode_32 3
		.amdhsa_float_denorm_mode_16_64 3
		.amdhsa_fp16_overflow 0
		.amdhsa_memory_ordered 1
		.amdhsa_forward_progress 1
		.amdhsa_inst_pref_size 28
		.amdhsa_round_robin_scheduling 0
		.amdhsa_exception_fp_ieee_invalid_op 0
		.amdhsa_exception_fp_denorm_src 0
		.amdhsa_exception_fp_ieee_div_zero 0
		.amdhsa_exception_fp_ieee_overflow 0
		.amdhsa_exception_fp_ieee_underflow 0
		.amdhsa_exception_fp_ieee_inexact 0
		.amdhsa_exception_int_div_zero 0
	.end_amdhsa_kernel
	.section	.text._ZN2at6native29vectorized_elementwise_kernelILi8EZZZNS0_12_GLOBAL__N_117clamp_kernel_implERNS_18TensorIteratorBaseEENKUlvE_clEvENKUlvE7_clEvEUlN3c108BFloat16ES8_S8_E_St5arrayIPcLm4EEEEviT0_T1_,"axG",@progbits,_ZN2at6native29vectorized_elementwise_kernelILi8EZZZNS0_12_GLOBAL__N_117clamp_kernel_implERNS_18TensorIteratorBaseEENKUlvE_clEvENKUlvE7_clEvEUlN3c108BFloat16ES8_S8_E_St5arrayIPcLm4EEEEviT0_T1_,comdat
.Lfunc_end161:
	.size	_ZN2at6native29vectorized_elementwise_kernelILi8EZZZNS0_12_GLOBAL__N_117clamp_kernel_implERNS_18TensorIteratorBaseEENKUlvE_clEvENKUlvE7_clEvEUlN3c108BFloat16ES8_S8_E_St5arrayIPcLm4EEEEviT0_T1_, .Lfunc_end161-_ZN2at6native29vectorized_elementwise_kernelILi8EZZZNS0_12_GLOBAL__N_117clamp_kernel_implERNS_18TensorIteratorBaseEENKUlvE_clEvENKUlvE7_clEvEUlN3c108BFloat16ES8_S8_E_St5arrayIPcLm4EEEEviT0_T1_
                                        ; -- End function
	.set _ZN2at6native29vectorized_elementwise_kernelILi8EZZZNS0_12_GLOBAL__N_117clamp_kernel_implERNS_18TensorIteratorBaseEENKUlvE_clEvENKUlvE7_clEvEUlN3c108BFloat16ES8_S8_E_St5arrayIPcLm4EEEEviT0_T1_.num_vgpr, 60
	.set _ZN2at6native29vectorized_elementwise_kernelILi8EZZZNS0_12_GLOBAL__N_117clamp_kernel_implERNS_18TensorIteratorBaseEENKUlvE_clEvENKUlvE7_clEvEUlN3c108BFloat16ES8_S8_E_St5arrayIPcLm4EEEEviT0_T1_.num_agpr, 0
	.set _ZN2at6native29vectorized_elementwise_kernelILi8EZZZNS0_12_GLOBAL__N_117clamp_kernel_implERNS_18TensorIteratorBaseEENKUlvE_clEvENKUlvE7_clEvEUlN3c108BFloat16ES8_S8_E_St5arrayIPcLm4EEEEviT0_T1_.numbered_sgpr, 17
	.set _ZN2at6native29vectorized_elementwise_kernelILi8EZZZNS0_12_GLOBAL__N_117clamp_kernel_implERNS_18TensorIteratorBaseEENKUlvE_clEvENKUlvE7_clEvEUlN3c108BFloat16ES8_S8_E_St5arrayIPcLm4EEEEviT0_T1_.num_named_barrier, 0
	.set _ZN2at6native29vectorized_elementwise_kernelILi8EZZZNS0_12_GLOBAL__N_117clamp_kernel_implERNS_18TensorIteratorBaseEENKUlvE_clEvENKUlvE7_clEvEUlN3c108BFloat16ES8_S8_E_St5arrayIPcLm4EEEEviT0_T1_.private_seg_size, 0
	.set _ZN2at6native29vectorized_elementwise_kernelILi8EZZZNS0_12_GLOBAL__N_117clamp_kernel_implERNS_18TensorIteratorBaseEENKUlvE_clEvENKUlvE7_clEvEUlN3c108BFloat16ES8_S8_E_St5arrayIPcLm4EEEEviT0_T1_.uses_vcc, 1
	.set _ZN2at6native29vectorized_elementwise_kernelILi8EZZZNS0_12_GLOBAL__N_117clamp_kernel_implERNS_18TensorIteratorBaseEENKUlvE_clEvENKUlvE7_clEvEUlN3c108BFloat16ES8_S8_E_St5arrayIPcLm4EEEEviT0_T1_.uses_flat_scratch, 0
	.set _ZN2at6native29vectorized_elementwise_kernelILi8EZZZNS0_12_GLOBAL__N_117clamp_kernel_implERNS_18TensorIteratorBaseEENKUlvE_clEvENKUlvE7_clEvEUlN3c108BFloat16ES8_S8_E_St5arrayIPcLm4EEEEviT0_T1_.has_dyn_sized_stack, 0
	.set _ZN2at6native29vectorized_elementwise_kernelILi8EZZZNS0_12_GLOBAL__N_117clamp_kernel_implERNS_18TensorIteratorBaseEENKUlvE_clEvENKUlvE7_clEvEUlN3c108BFloat16ES8_S8_E_St5arrayIPcLm4EEEEviT0_T1_.has_recursion, 0
	.set _ZN2at6native29vectorized_elementwise_kernelILi8EZZZNS0_12_GLOBAL__N_117clamp_kernel_implERNS_18TensorIteratorBaseEENKUlvE_clEvENKUlvE7_clEvEUlN3c108BFloat16ES8_S8_E_St5arrayIPcLm4EEEEviT0_T1_.has_indirect_call, 0
	.section	.AMDGPU.csdata,"",@progbits
; Kernel info:
; codeLenInByte = 3464
; TotalNumSgprs: 19
; NumVgprs: 60
; ScratchSize: 0
; MemoryBound: 0
; FloatMode: 240
; IeeeMode: 1
; LDSByteSize: 0 bytes/workgroup (compile time only)
; SGPRBlocks: 0
; VGPRBlocks: 3
; NumSGPRsForWavesPerEU: 19
; NumVGPRsForWavesPerEU: 60
; NamedBarCnt: 0
; Occupancy: 16
; WaveLimiterHint : 0
; COMPUTE_PGM_RSRC2:SCRATCH_EN: 0
; COMPUTE_PGM_RSRC2:USER_SGPR: 2
; COMPUTE_PGM_RSRC2:TRAP_HANDLER: 0
; COMPUTE_PGM_RSRC2:TGID_X_EN: 1
; COMPUTE_PGM_RSRC2:TGID_Y_EN: 0
; COMPUTE_PGM_RSRC2:TGID_Z_EN: 0
; COMPUTE_PGM_RSRC2:TIDIG_COMP_CNT: 0
	.section	.text._ZN2at6native29vectorized_elementwise_kernelILi4EZZZNS0_12_GLOBAL__N_117clamp_kernel_implERNS_18TensorIteratorBaseEENKUlvE_clEvENKUlvE7_clEvEUlN3c108BFloat16ES8_S8_E_St5arrayIPcLm4EEEEviT0_T1_,"axG",@progbits,_ZN2at6native29vectorized_elementwise_kernelILi4EZZZNS0_12_GLOBAL__N_117clamp_kernel_implERNS_18TensorIteratorBaseEENKUlvE_clEvENKUlvE7_clEvEUlN3c108BFloat16ES8_S8_E_St5arrayIPcLm4EEEEviT0_T1_,comdat
	.globl	_ZN2at6native29vectorized_elementwise_kernelILi4EZZZNS0_12_GLOBAL__N_117clamp_kernel_implERNS_18TensorIteratorBaseEENKUlvE_clEvENKUlvE7_clEvEUlN3c108BFloat16ES8_S8_E_St5arrayIPcLm4EEEEviT0_T1_ ; -- Begin function _ZN2at6native29vectorized_elementwise_kernelILi4EZZZNS0_12_GLOBAL__N_117clamp_kernel_implERNS_18TensorIteratorBaseEENKUlvE_clEvENKUlvE7_clEvEUlN3c108BFloat16ES8_S8_E_St5arrayIPcLm4EEEEviT0_T1_
	.p2align	8
	.type	_ZN2at6native29vectorized_elementwise_kernelILi4EZZZNS0_12_GLOBAL__N_117clamp_kernel_implERNS_18TensorIteratorBaseEENKUlvE_clEvENKUlvE7_clEvEUlN3c108BFloat16ES8_S8_E_St5arrayIPcLm4EEEEviT0_T1_,@function
_ZN2at6native29vectorized_elementwise_kernelILi4EZZZNS0_12_GLOBAL__N_117clamp_kernel_implERNS_18TensorIteratorBaseEENKUlvE_clEvENKUlvE7_clEvEUlN3c108BFloat16ES8_S8_E_St5arrayIPcLm4EEEEviT0_T1_: ; @_ZN2at6native29vectorized_elementwise_kernelILi4EZZZNS0_12_GLOBAL__N_117clamp_kernel_implERNS_18TensorIteratorBaseEENKUlvE_clEvENKUlvE7_clEvEUlN3c108BFloat16ES8_S8_E_St5arrayIPcLm4EEEEviT0_T1_
; %bb.0:
	s_clause 0x1
	s_load_b32 s2, s[0:1], 0x0
	s_load_b256 s[4:11], s[0:1], 0x8
	s_wait_xcnt 0x0
	s_bfe_u32 s0, ttmp6, 0x4000c
	s_and_b32 s1, ttmp6, 15
	s_add_co_i32 s0, s0, 1
	s_getreg_b32 s3, hwreg(HW_REG_IB_STS2, 6, 4)
	s_mul_i32 s0, ttmp9, s0
	s_delay_alu instid0(SALU_CYCLE_1) | instskip(SKIP_2) | instid1(SALU_CYCLE_1)
	s_add_co_i32 s1, s1, s0
	s_cmp_eq_u32 s3, 0
	s_cselect_b32 s0, ttmp9, s1
	s_lshl_b32 s12, s0, 11
	s_mov_b32 s0, -1
	s_wait_kmcnt 0x0
	s_sub_co_i32 s16, s2, s12
	s_delay_alu instid0(SALU_CYCLE_1)
	s_cmp_gt_i32 s16, 0x7ff
	s_cbranch_scc0 .LBB162_2
; %bb.1:
	s_ashr_i32 s13, s12, 31
	s_delay_alu instid0(SALU_CYCLE_1) | instskip(NEXT) | instid1(SALU_CYCLE_1)
	s_lshl_b64 s[14:15], s[12:13], 1
	s_add_nc_u64 s[0:1], s[6:7], s[14:15]
	s_add_nc_u64 s[2:3], s[8:9], s[14:15]
	global_load_b64 v[2:3], v0, s[0:1] scale_offset
	s_add_nc_u64 s[18:19], s[10:11], s[14:15]
	s_clause 0x4
	global_load_b64 v[4:5], v0, s[2:3] scale_offset
	global_load_b64 v[6:7], v0, s[18:19] scale_offset
	global_load_b64 v[8:9], v0, s[2:3] offset:2048 scale_offset
	global_load_b64 v[10:11], v0, s[0:1] offset:2048 scale_offset
	;; [unrolled: 1-line block ×3, first 2 shown]
	s_wait_loadcnt 0x4
	v_lshlrev_b32_e32 v19, 16, v4
	v_and_b32_e32 v24, 0xffff0000, v5
	v_lshlrev_b32_e32 v20, 16, v2
	v_and_b32_e32 v25, 0xffff0000, v3
	v_dual_lshrrev_b32 v1, 16, v3 :: v_dual_lshrrev_b32 v14, 16, v2
	v_dual_lshrrev_b32 v15, 16, v5 :: v_dual_lshrrev_b32 v16, 16, v4
	s_delay_alu instid0(VALU_DEP_4)
	v_cmp_gt_f32_e32 vcc_lo, v20, v19
	v_and_b32_e32 v22, 0xffff0000, v4
	v_and_b32_e32 v23, 0xffff0000, v2
	s_wait_loadcnt 0x3
	v_dual_lshlrev_b32 v21, 16, v6 :: v_dual_lshlrev_b32 v28, 16, v5
	v_cndmask_b32_e32 v49, v4, v2, vcc_lo
	v_cmp_gt_f32_e32 vcc_lo, v25, v24
	s_wait_loadcnt 0x1
	v_dual_lshlrev_b32 v29, 16, v3 :: v_dual_lshrrev_b32 v32, 16, v10
	v_dual_lshlrev_b32 v37, 16, v8 :: v_dual_lshlrev_b32 v38, 16, v10
	v_cndmask_b32_e32 v50, v15, v1, vcc_lo
	v_cmp_gt_f32_e32 vcc_lo, v23, v22
	v_and_b32_e32 v42, 0xffff0000, v9
	v_and_b32_e32 v43, 0xffff0000, v11
	v_dual_lshlrev_b32 v30, 16, v7 :: v_dual_lshrrev_b32 v33, 16, v9
	v_cndmask_b32_e32 v51, v16, v14, vcc_lo
	v_cmp_gt_f32_e32 vcc_lo, v29, v28
	v_dual_lshrrev_b32 v31, 16, v11 :: v_dual_lshrrev_b32 v34, 16, v8
	v_and_b32_e32 v40, 0xffff0000, v8
	v_and_b32_e32 v41, 0xffff0000, v10
	v_cndmask_b32_e32 v52, v5, v3, vcc_lo
	v_cmp_gt_f32_e32 vcc_lo, v38, v37
	s_wait_loadcnt 0x0
	v_dual_lshlrev_b32 v39, 16, v12 :: v_dual_lshlrev_b32 v46, 16, v9
	v_dual_lshlrev_b32 v47, 16, v11 :: v_dual_lshlrev_b32 v48, 16, v13
	v_cndmask_b32_e32 v53, v8, v10, vcc_lo
	v_cmp_gt_f32_e32 vcc_lo, v43, v42
	v_and_b32_e32 v26, 0xffff0000, v7
	v_and_b32_e32 v27, 0xffff0000, v6
	v_dual_lshlrev_b32 v59, 16, v51 :: v_dual_lshlrev_b32 v56, 16, v49
	v_cndmask_b32_e32 v54, v33, v31, vcc_lo
	v_cmp_gt_f32_e32 vcc_lo, v41, v40
	v_and_b32_e32 v45, 0xffff0000, v12
	v_dual_lshrrev_b32 v17, 16, v6 :: v_dual_lshrrev_b32 v18, 16, v7
	v_dual_lshrrev_b32 v35, 16, v12 :: v_dual_lshrrev_b32 v36, 16, v13
	v_cndmask_b32_e32 v55, v34, v32, vcc_lo
	v_cmp_gt_f32_e32 vcc_lo, v47, v46
	v_lshlrev_b32_e32 v57, 16, v50
	v_and_b32_e32 v44, 0xffff0000, v13
	v_cndmask_b32_e32 v58, v9, v11, vcc_lo
	v_cmp_lt_f32_e32 vcc_lo, v56, v21
	v_lshlrev_b32_e32 v56, 16, v52
	v_cmp_lt_f32_e64 s0, v57, v26
	v_lshlrev_b32_e32 v57, 16, v53
	v_cmp_lt_f32_e64 s1, v59, v27
	;; [unrolled: 2-line block ×3, first 2 shown]
	v_dual_cndmask_b32 v49, v6, v49 :: v_dual_lshlrev_b32 v56, 16, v54
	v_cmp_lt_f32_e64 s3, v57, v39
	v_dual_lshlrev_b32 v57, 16, v58 :: v_dual_cndmask_b32 v51, v17, v51, s1
	v_cmp_lt_f32_e32 vcc_lo, v59, v45
	v_dual_cndmask_b32 v52, v7, v52, s2 :: v_dual_cndmask_b32 v50, v18, v50, s0
	s_delay_alu instid0(VALU_DEP_4)
	v_cndmask_b32_e64 v53, v12, v53, s3
	s_add_nc_u64 s[2:3], s[4:5], s[14:15]
	v_cndmask_b32_e32 v55, v35, v55, vcc_lo
	v_cmp_lt_f32_e32 vcc_lo, v57, v48
	s_mov_b32 s0, 0
	v_cndmask_b32_e32 v57, v13, v58, vcc_lo
	v_cmp_lt_f32_e32 vcc_lo, v56, v44
	v_cndmask_b32_e32 v54, v36, v54, vcc_lo
	v_cmp_u_f32_e32 vcc_lo, v21, v21
	v_cndmask_b32_e32 v6, v49, v6, vcc_lo
	v_cmp_u_f32_e32 vcc_lo, v27, v27
	;; [unrolled: 2-line block ×18, first 2 shown]
	s_delay_alu instid0(VALU_DEP_2) | instskip(SKIP_4) | instid1(VALU_DEP_2)
	v_and_b32_e32 v2, 0xffff, v2
	v_cndmask_b32_e32 v4, v6, v14, vcc_lo
	v_cmp_u_f32_e32 vcc_lo, v29, v29
	v_cndmask_b32_e32 v3, v5, v3, vcc_lo
	v_cmp_u_f32_e32 vcc_lo, v25, v25
	v_and_b32_e32 v3, 0xffff, v3
	v_cndmask_b32_e32 v1, v7, v1, vcc_lo
	v_cmp_u_f32_e32 vcc_lo, v38, v38
	v_cndmask_b32_e32 v5, v8, v10, vcc_lo
	v_cmp_u_f32_e32 vcc_lo, v41, v41
	;; [unrolled: 2-line block ×4, first 2 shown]
	v_and_b32_e32 v5, 0xffff, v5
	s_delay_alu instid0(VALU_DEP_3) | instskip(SKIP_2) | instid1(VALU_DEP_2)
	v_and_b32_e32 v7, 0xffff, v7
	v_dual_cndmask_b32 v8, v13, v31, vcc_lo :: v_dual_lshlrev_b32 v4, 16, v4
	v_dual_lshlrev_b32 v6, 16, v6 :: v_dual_lshlrev_b32 v1, 16, v1
	v_dual_lshlrev_b32 v8, 16, v8 :: v_dual_bitop2_b32 v2, v4, v2 bitop3:0x54
	s_delay_alu instid0(VALU_DEP_2) | instskip(NEXT) | instid1(VALU_DEP_3)
	v_or_b32_e32 v4, v6, v5
	v_or3_b32 v3, 0, v3, v1
	s_delay_alu instid0(VALU_DEP_3) | instskip(NEXT) | instid1(VALU_DEP_4)
	v_or3_b32 v5, 0, v7, v8
	v_or3_b32 v2, v2, 0, 0
	s_delay_alu instid0(VALU_DEP_4)
	v_or3_b32 v4, v4, 0, 0
	s_clause 0x1
	global_store_b64 v0, v[2:3], s[2:3] scale_offset
	global_store_b64 v0, v[4:5], s[2:3] offset:2048 scale_offset
.LBB162_2:
	s_and_not1_b32 vcc_lo, exec_lo, s0
	s_cbranch_vccnz .LBB162_43
; %bb.3:
	v_cmp_gt_i32_e32 vcc_lo, s16, v0
	s_wait_xcnt 0x1
	v_dual_mov_b32 v3, 0 :: v_dual_bitop2_b32 v1, s12, v0 bitop3:0x54
	v_or_b32_e32 v2, 0x100, v0
	v_dual_mov_b32 v7, 0 :: v_dual_mov_b32 v10, 0
	v_dual_mov_b32 v18, 0 :: v_dual_mov_b32 v27, v0
	s_wait_xcnt 0x0
	s_and_saveexec_b32 s0, vcc_lo
	s_cbranch_execz .LBB162_5
; %bb.4:
	s_clause 0x2
	global_load_u16 v7, v1, s[6:7] scale_offset
	global_load_u16 v10, v1, s[8:9] scale_offset
	;; [unrolled: 1-line block ×3, first 2 shown]
	v_or_b32_e32 v27, 0x100, v0
.LBB162_5:
	s_wait_xcnt 0x0
	s_or_b32 exec_lo, exec_lo, s0
	v_dual_mov_b32 v12, 0 :: v_dual_mov_b32 v20, 0
	s_mov_b32 s1, exec_lo
	v_cmpx_gt_i32_e64 s16, v27
	s_cbranch_execz .LBB162_7
; %bb.6:
	v_add_nc_u32_e32 v4, s12, v27
	v_add_nc_u32_e32 v27, 0x100, v27
	s_clause 0x2
	global_load_u16 v3, v4, s[6:7] scale_offset
	global_load_u16 v12, v4, s[8:9] scale_offset
	global_load_u16 v20, v4, s[10:11] scale_offset
.LBB162_7:
	s_wait_xcnt 0x0
	s_or_b32 exec_lo, exec_lo, s1
	v_dual_mov_b32 v4, 0 :: v_dual_mov_b32 v8, 0
	v_dual_mov_b32 v13, 0 :: v_dual_mov_b32 v21, 0
	s_mov_b32 s1, exec_lo
	v_cmpx_gt_i32_e64 s16, v27
	s_cbranch_execz .LBB162_9
; %bb.8:
	v_add_nc_u32_e32 v5, s12, v27
	v_add_nc_u32_e32 v27, 0x100, v27
	s_clause 0x2
	global_load_u16 v8, v5, s[6:7] scale_offset
	global_load_u16 v13, v5, s[8:9] scale_offset
	global_load_u16 v21, v5, s[10:11] scale_offset
.LBB162_9:
	s_wait_xcnt 0x0
	s_or_b32 exec_lo, exec_lo, s1
	v_dual_mov_b32 v14, 0 :: v_dual_mov_b32 v22, 0
	s_mov_b32 s1, exec_lo
	v_cmpx_gt_i32_e64 s16, v27
	s_cbranch_execz .LBB162_11
; %bb.10:
	v_add_nc_u32_e32 v5, s12, v27
	v_add_nc_u32_e32 v27, 0x100, v27
	s_clause 0x2
	global_load_u16 v4, v5, s[6:7] scale_offset
	global_load_u16 v14, v5, s[8:9] scale_offset
	global_load_u16 v22, v5, s[10:11] scale_offset
.LBB162_11:
	s_wait_xcnt 0x0
	s_or_b32 exec_lo, exec_lo, s1
	v_dual_mov_b32 v5, 0 :: v_dual_mov_b32 v9, 0
	v_dual_mov_b32 v15, 0 :: v_dual_mov_b32 v23, 0
	s_mov_b32 s1, exec_lo
	v_cmpx_gt_i32_e64 s16, v27
	s_cbranch_execz .LBB162_13
; %bb.12:
	v_add_nc_u32_e32 v6, s12, v27
	v_add_nc_u32_e32 v27, 0x100, v27
	s_clause 0x2
	global_load_u16 v9, v6, s[6:7] scale_offset
	global_load_u16 v15, v6, s[8:9] scale_offset
	global_load_u16 v23, v6, s[10:11] scale_offset
.LBB162_13:
	;; [unrolled: 29-line block ×3, first 2 shown]
	s_wait_xcnt 0x0
	s_or_b32 exec_lo, exec_lo, s1
	v_dual_mov_b32 v17, 0 :: v_dual_mov_b32 v25, 0
	s_mov_b32 s1, exec_lo
	v_cmpx_gt_i32_e64 s16, v27
	s_cbranch_execz .LBB162_19
; %bb.18:
	v_add_nc_u32_e32 v27, s12, v27
	s_clause 0x2
	global_load_u16 v6, v27, s[6:7] scale_offset
	global_load_u16 v17, v27, s[8:9] scale_offset
	;; [unrolled: 1-line block ×3, first 2 shown]
	s_wait_xcnt 0x0
	s_or_b32 exec_lo, exec_lo, s1
                                        ; implicit-def: $vgpr27
	s_and_saveexec_b32 s1, vcc_lo
	s_cbranch_execz .LBB162_21
	s_branch .LBB162_20
.LBB162_19:
	s_or_b32 exec_lo, exec_lo, s1
                                        ; implicit-def: $vgpr27
	s_and_saveexec_b32 s1, vcc_lo
	s_cbranch_execz .LBB162_21
.LBB162_20:
	s_wait_loadcnt 0x1
	v_dual_lshlrev_b32 v27, 16, v7 :: v_dual_lshlrev_b32 v28, 16, v10
	s_wait_loadcnt 0x0
	v_lshlrev_b32_e32 v30, 16, v18
	s_delay_alu instid0(VALU_DEP_2) | instskip(NEXT) | instid1(VALU_DEP_1)
	v_cmp_gt_f32_e64 s0, v27, v28
	v_cndmask_b32_e64 v29, v10, v7, s0
	s_delay_alu instid0(VALU_DEP_1) | instskip(NEXT) | instid1(VALU_DEP_1)
	v_lshlrev_b32_e32 v31, 16, v29
	v_cmp_lt_f32_e64 s0, v31, v30
	s_delay_alu instid0(VALU_DEP_1) | instskip(SKIP_1) | instid1(VALU_DEP_1)
	v_cndmask_b32_e64 v29, v18, v29, s0
	v_cmp_u_f32_e64 s0, v30, v30
	v_cndmask_b32_e64 v18, v29, v18, s0
	v_cmp_u_f32_e64 s0, v28, v28
	s_delay_alu instid0(VALU_DEP_1) | instskip(SKIP_1) | instid1(VALU_DEP_1)
	v_cndmask_b32_e64 v10, v18, v10, s0
	v_cmp_u_f32_e64 s0, v27, v27
	v_cndmask_b32_e64 v27, v10, v7, s0
.LBB162_21:
	s_or_b32 exec_lo, exec_lo, s1
	s_delay_alu instid0(SALU_CYCLE_1)
	s_mov_b32 s1, exec_lo
                                        ; implicit-def: $vgpr7
	v_cmpx_gt_i32_e64 s16, v2
	s_cbranch_execz .LBB162_23
; %bb.22:
	s_wait_loadcnt 0x1
	v_dual_lshlrev_b32 v7, 16, v3 :: v_dual_lshlrev_b32 v10, 16, v12
	s_wait_loadcnt 0x0
	v_lshlrev_b32_e32 v28, 16, v20
	s_delay_alu instid0(VALU_DEP_2) | instskip(NEXT) | instid1(VALU_DEP_1)
	v_cmp_gt_f32_e64 s0, v7, v10
	v_cndmask_b32_e64 v18, v12, v3, s0
	s_delay_alu instid0(VALU_DEP_1) | instskip(NEXT) | instid1(VALU_DEP_1)
	v_lshlrev_b32_e32 v29, 16, v18
	v_cmp_lt_f32_e64 s0, v29, v28
	s_delay_alu instid0(VALU_DEP_1) | instskip(SKIP_1) | instid1(VALU_DEP_1)
	v_cndmask_b32_e64 v18, v20, v18, s0
	v_cmp_u_f32_e64 s0, v28, v28
	v_cndmask_b32_e64 v18, v18, v20, s0
	v_cmp_u_f32_e64 s0, v10, v10
	s_delay_alu instid0(VALU_DEP_1) | instskip(SKIP_1) | instid1(VALU_DEP_1)
	v_cndmask_b32_e64 v10, v18, v12, s0
	v_cmp_u_f32_e64 s0, v7, v7
	v_cndmask_b32_e64 v7, v10, v3, s0
.LBB162_23:
	s_or_b32 exec_lo, exec_lo, s1
	s_wait_loadcnt 0x2
	v_or_b32_e32 v3, 0x200, v0
	s_delay_alu instid0(VALU_DEP_1)
	v_cmp_gt_i32_e64 s0, s16, v3
                                        ; implicit-def: $vgpr3
	s_and_saveexec_b32 s1, s0
	s_cbranch_execz .LBB162_25
; %bb.24:
	s_wait_loadcnt 0x1
	v_dual_lshlrev_b32 v3, 16, v8 :: v_dual_lshlrev_b32 v10, 16, v13
	s_wait_loadcnt 0x0
	v_lshlrev_b32_e32 v18, 16, v21
	s_delay_alu instid0(VALU_DEP_2) | instskip(NEXT) | instid1(VALU_DEP_1)
	v_cmp_gt_f32_e64 s0, v3, v10
	v_cndmask_b32_e64 v12, v13, v8, s0
	s_delay_alu instid0(VALU_DEP_1) | instskip(NEXT) | instid1(VALU_DEP_1)
	v_lshlrev_b32_e32 v20, 16, v12
	v_cmp_lt_f32_e64 s0, v20, v18
	s_delay_alu instid0(VALU_DEP_1) | instskip(SKIP_1) | instid1(VALU_DEP_1)
	v_cndmask_b32_e64 v12, v21, v12, s0
	v_cmp_u_f32_e64 s0, v18, v18
	v_cndmask_b32_e64 v12, v12, v21, s0
	v_cmp_u_f32_e64 s0, v10, v10
	s_delay_alu instid0(VALU_DEP_1) | instskip(SKIP_1) | instid1(VALU_DEP_1)
	v_cndmask_b32_e64 v10, v12, v13, s0
	v_cmp_u_f32_e64 s0, v3, v3
	v_cndmask_b32_e64 v3, v10, v8, s0
.LBB162_25:
	s_or_b32 exec_lo, exec_lo, s1
	v_or_b32_e32 v8, 0x300, v0
	s_delay_alu instid0(VALU_DEP_1)
	v_cmp_gt_i32_e64 s0, s16, v8
                                        ; implicit-def: $vgpr8
	s_and_saveexec_b32 s1, s0
	s_cbranch_execz .LBB162_27
; %bb.26:
	s_wait_loadcnt 0x1
	v_dual_lshlrev_b32 v8, 16, v4 :: v_dual_lshlrev_b32 v10, 16, v14
	s_wait_loadcnt 0x0
	v_lshlrev_b32_e32 v13, 16, v22
	s_delay_alu instid0(VALU_DEP_2) | instskip(NEXT) | instid1(VALU_DEP_1)
	v_cmp_gt_f32_e64 s0, v8, v10
	v_cndmask_b32_e64 v12, v14, v4, s0
	s_delay_alu instid0(VALU_DEP_1) | instskip(NEXT) | instid1(VALU_DEP_1)
	v_lshlrev_b32_e32 v18, 16, v12
	v_cmp_lt_f32_e64 s0, v18, v13
	s_delay_alu instid0(VALU_DEP_1) | instskip(SKIP_1) | instid1(VALU_DEP_1)
	v_cndmask_b32_e64 v12, v22, v12, s0
	v_cmp_u_f32_e64 s0, v13, v13
	v_cndmask_b32_e64 v12, v12, v22, s0
	v_cmp_u_f32_e64 s0, v10, v10
	s_delay_alu instid0(VALU_DEP_1) | instskip(SKIP_1) | instid1(VALU_DEP_1)
	v_cndmask_b32_e64 v10, v12, v14, s0
	v_cmp_u_f32_e64 s0, v8, v8
	v_cndmask_b32_e64 v8, v10, v4, s0
.LBB162_27:
	s_or_b32 exec_lo, exec_lo, s1
	v_or_b32_e32 v4, 0x400, v0
	s_delay_alu instid0(VALU_DEP_1)
	v_cmp_gt_i32_e64 s0, s16, v4
                                        ; implicit-def: $vgpr4
	s_and_saveexec_b32 s1, s0
	s_cbranch_execz .LBB162_29
; %bb.28:
	s_wait_loadcnt 0x1
	v_dual_lshlrev_b32 v4, 16, v9 :: v_dual_lshlrev_b32 v10, 16, v15
	s_wait_loadcnt 0x0
	v_lshlrev_b32_e32 v13, 16, v23
	s_delay_alu instid0(VALU_DEP_2) | instskip(NEXT) | instid1(VALU_DEP_1)
	v_cmp_gt_f32_e64 s0, v4, v10
	v_cndmask_b32_e64 v12, v15, v9, s0
	s_delay_alu instid0(VALU_DEP_1) | instskip(NEXT) | instid1(VALU_DEP_1)
	v_lshlrev_b32_e32 v14, 16, v12
	v_cmp_lt_f32_e64 s0, v14, v13
	s_delay_alu instid0(VALU_DEP_1) | instskip(SKIP_1) | instid1(VALU_DEP_1)
	v_cndmask_b32_e64 v12, v23, v12, s0
	v_cmp_u_f32_e64 s0, v13, v13
	v_cndmask_b32_e64 v12, v12, v23, s0
	v_cmp_u_f32_e64 s0, v10, v10
	s_delay_alu instid0(VALU_DEP_1) | instskip(SKIP_1) | instid1(VALU_DEP_1)
	v_cndmask_b32_e64 v10, v12, v15, s0
	v_cmp_u_f32_e64 s0, v4, v4
	v_cndmask_b32_e64 v4, v10, v9, s0
.LBB162_29:
	s_or_b32 exec_lo, exec_lo, s1
	v_or_b32_e32 v9, 0x500, v0
	s_delay_alu instid0(VALU_DEP_1)
	v_cmp_gt_i32_e64 s0, s16, v9
                                        ; implicit-def: $vgpr9
	s_and_saveexec_b32 s1, s0
	s_cbranch_execz .LBB162_31
; %bb.30:
	s_wait_loadcnt 0x1
	v_dual_lshlrev_b32 v9, 16, v5 :: v_dual_lshlrev_b32 v10, 16, v16
	s_wait_loadcnt 0x0
	v_lshlrev_b32_e32 v13, 16, v24
	s_delay_alu instid0(VALU_DEP_2) | instskip(NEXT) | instid1(VALU_DEP_1)
	v_cmp_gt_f32_e64 s0, v9, v10
	v_cndmask_b32_e64 v12, v16, v5, s0
	s_delay_alu instid0(VALU_DEP_1) | instskip(NEXT) | instid1(VALU_DEP_1)
	v_lshlrev_b32_e32 v14, 16, v12
	v_cmp_lt_f32_e64 s0, v14, v13
	s_delay_alu instid0(VALU_DEP_1) | instskip(SKIP_1) | instid1(VALU_DEP_1)
	v_cndmask_b32_e64 v12, v24, v12, s0
	v_cmp_u_f32_e64 s0, v13, v13
	v_cndmask_b32_e64 v12, v12, v24, s0
	v_cmp_u_f32_e64 s0, v10, v10
	s_delay_alu instid0(VALU_DEP_1) | instskip(SKIP_1) | instid1(VALU_DEP_1)
	v_cndmask_b32_e64 v10, v12, v16, s0
	v_cmp_u_f32_e64 s0, v9, v9
	v_cndmask_b32_e64 v9, v10, v5, s0
.LBB162_31:
	s_or_b32 exec_lo, exec_lo, s1
	v_or_b32_e32 v5, 0x600, v0
	s_delay_alu instid0(VALU_DEP_1)
	v_cmp_gt_i32_e64 s0, s16, v5
                                        ; implicit-def: $vgpr5
	s_and_saveexec_b32 s1, s0
	s_cbranch_execz .LBB162_33
; %bb.32:
	v_lshlrev_b32_e32 v5, 16, v11
	s_wait_loadcnt 0x0
	v_dual_lshlrev_b32 v10, 16, v19 :: v_dual_lshlrev_b32 v13, 16, v26
	s_delay_alu instid0(VALU_DEP_1) | instskip(NEXT) | instid1(VALU_DEP_1)
	v_cmp_gt_f32_e64 s0, v5, v10
	v_cndmask_b32_e64 v12, v19, v11, s0
	s_delay_alu instid0(VALU_DEP_1) | instskip(NEXT) | instid1(VALU_DEP_1)
	v_lshlrev_b32_e32 v14, 16, v12
	v_cmp_lt_f32_e64 s0, v14, v13
	s_delay_alu instid0(VALU_DEP_1) | instskip(SKIP_1) | instid1(VALU_DEP_1)
	v_cndmask_b32_e64 v12, v26, v12, s0
	v_cmp_u_f32_e64 s0, v13, v13
	v_cndmask_b32_e64 v12, v12, v26, s0
	v_cmp_u_f32_e64 s0, v10, v10
	s_delay_alu instid0(VALU_DEP_1) | instskip(SKIP_1) | instid1(VALU_DEP_1)
	v_cndmask_b32_e64 v10, v12, v19, s0
	v_cmp_u_f32_e64 s0, v5, v5
	v_cndmask_b32_e64 v5, v10, v11, s0
.LBB162_33:
	s_or_b32 exec_lo, exec_lo, s1
	s_wait_loadcnt 0x1
	v_or_b32_e32 v10, 0x700, v0
	s_delay_alu instid0(VALU_DEP_1)
	v_cmp_gt_i32_e64 s0, s16, v10
                                        ; implicit-def: $vgpr10
	s_and_saveexec_b32 s1, s0
	s_cbranch_execz .LBB162_44
; %bb.34:
	v_dual_lshlrev_b32 v10, 16, v6 :: v_dual_lshlrev_b32 v11, 16, v17
	s_wait_loadcnt 0x0
	v_lshlrev_b32_e32 v13, 16, v25
	s_delay_alu instid0(VALU_DEP_2) | instskip(NEXT) | instid1(VALU_DEP_1)
	v_cmp_gt_f32_e64 s0, v10, v11
	v_cndmask_b32_e64 v12, v17, v6, s0
	s_delay_alu instid0(VALU_DEP_1) | instskip(NEXT) | instid1(VALU_DEP_1)
	v_lshlrev_b32_e32 v14, 16, v12
	v_cmp_lt_f32_e64 s0, v14, v13
	s_delay_alu instid0(VALU_DEP_1) | instskip(SKIP_1) | instid1(VALU_DEP_1)
	v_cndmask_b32_e64 v12, v25, v12, s0
	v_cmp_u_f32_e64 s0, v13, v13
	v_cndmask_b32_e64 v12, v12, v25, s0
	v_cmp_u_f32_e64 s0, v11, v11
	s_delay_alu instid0(VALU_DEP_1) | instskip(SKIP_1) | instid1(VALU_DEP_1)
	v_cndmask_b32_e64 v11, v12, v17, s0
	v_cmp_u_f32_e64 s0, v10, v10
	v_cndmask_b32_e64 v10, v11, v6, s0
	s_or_b32 exec_lo, exec_lo, s1
	s_and_saveexec_b32 s0, vcc_lo
	s_delay_alu instid0(SALU_CYCLE_1)
	s_xor_b32 s0, exec_lo, s0
	s_cbranch_execnz .LBB162_45
.LBB162_35:
	s_or_b32 exec_lo, exec_lo, s0
	s_delay_alu instid0(SALU_CYCLE_1)
	s_mov_b32 s0, exec_lo
	v_cmpx_gt_i32_e64 s16, v0
	s_cbranch_execz .LBB162_46
.LBB162_36:
	v_add_nc_u32_e32 v1, s12, v0
	v_add_nc_u32_e32 v0, 0x100, v0
	global_store_b16 v1, v7, s[4:5] scale_offset
	s_wait_xcnt 0x0
	s_or_b32 exec_lo, exec_lo, s0
	s_delay_alu instid0(SALU_CYCLE_1)
	s_mov_b32 s0, exec_lo
	v_cmpx_gt_i32_e64 s16, v0
	s_cbranch_execnz .LBB162_47
.LBB162_37:
	s_or_b32 exec_lo, exec_lo, s0
	s_delay_alu instid0(SALU_CYCLE_1)
	s_mov_b32 s0, exec_lo
	v_cmpx_gt_i32_e64 s16, v0
	s_cbranch_execz .LBB162_48
.LBB162_38:
	v_add_nc_u32_e32 v1, s12, v0
	v_add_nc_u32_e32 v0, 0x100, v0
	global_store_b16 v1, v8, s[4:5] scale_offset
	s_wait_xcnt 0x0
	s_or_b32 exec_lo, exec_lo, s0
	s_delay_alu instid0(SALU_CYCLE_1)
	s_mov_b32 s0, exec_lo
	v_cmpx_gt_i32_e64 s16, v0
	s_cbranch_execnz .LBB162_49
.LBB162_39:
	s_or_b32 exec_lo, exec_lo, s0
	s_delay_alu instid0(SALU_CYCLE_1)
	s_mov_b32 s0, exec_lo
	v_cmpx_gt_i32_e64 s16, v0
	s_cbranch_execz .LBB162_50
.LBB162_40:
	v_add_nc_u32_e32 v1, s12, v0
	v_add_nc_u32_e32 v0, 0x100, v0
	global_store_b16 v1, v9, s[4:5] scale_offset
	s_wait_xcnt 0x0
	s_or_b32 exec_lo, exec_lo, s0
	s_delay_alu instid0(SALU_CYCLE_1)
	s_mov_b32 s0, exec_lo
	v_cmpx_gt_i32_e64 s16, v0
	s_cbranch_execnz .LBB162_51
.LBB162_41:
	s_or_b32 exec_lo, exec_lo, s0
	s_delay_alu instid0(SALU_CYCLE_1)
	s_mov_b32 s0, exec_lo
	v_cmpx_gt_i32_e64 s16, v0
	s_cbranch_execz .LBB162_43
.LBB162_42:
	v_add_nc_u32_e32 v0, s12, v0
	global_store_b16 v0, v10, s[4:5] scale_offset
.LBB162_43:
	s_endpgm
.LBB162_44:
	s_or_b32 exec_lo, exec_lo, s1
	s_and_saveexec_b32 s0, vcc_lo
	s_delay_alu instid0(SALU_CYCLE_1)
	s_xor_b32 s0, exec_lo, s0
	s_cbranch_execz .LBB162_35
.LBB162_45:
	v_mov_b32_e32 v0, v2
	global_store_b16 v1, v27, s[4:5] scale_offset
	s_wait_xcnt 0x0
	s_or_b32 exec_lo, exec_lo, s0
	s_delay_alu instid0(SALU_CYCLE_1)
	s_mov_b32 s0, exec_lo
	v_cmpx_gt_i32_e64 s16, v0
	s_cbranch_execnz .LBB162_36
.LBB162_46:
	s_or_b32 exec_lo, exec_lo, s0
	s_delay_alu instid0(SALU_CYCLE_1)
	s_mov_b32 s0, exec_lo
	v_cmpx_gt_i32_e64 s16, v0
	s_cbranch_execz .LBB162_37
.LBB162_47:
	v_add_nc_u32_e32 v1, s12, v0
	v_add_nc_u32_e32 v0, 0x100, v0
	global_store_b16 v1, v3, s[4:5] scale_offset
	s_wait_xcnt 0x0
	s_or_b32 exec_lo, exec_lo, s0
	s_delay_alu instid0(SALU_CYCLE_1)
	s_mov_b32 s0, exec_lo
	v_cmpx_gt_i32_e64 s16, v0
	s_cbranch_execnz .LBB162_38
.LBB162_48:
	s_or_b32 exec_lo, exec_lo, s0
	s_delay_alu instid0(SALU_CYCLE_1)
	s_mov_b32 s0, exec_lo
	v_cmpx_gt_i32_e64 s16, v0
	s_cbranch_execz .LBB162_39
.LBB162_49:
	v_add_nc_u32_e32 v1, s12, v0
	v_add_nc_u32_e32 v0, 0x100, v0
	global_store_b16 v1, v4, s[4:5] scale_offset
	s_wait_xcnt 0x0
	s_or_b32 exec_lo, exec_lo, s0
	s_delay_alu instid0(SALU_CYCLE_1)
	s_mov_b32 s0, exec_lo
	v_cmpx_gt_i32_e64 s16, v0
	s_cbranch_execnz .LBB162_40
.LBB162_50:
	s_or_b32 exec_lo, exec_lo, s0
	s_delay_alu instid0(SALU_CYCLE_1)
	s_mov_b32 s0, exec_lo
	v_cmpx_gt_i32_e64 s16, v0
	s_cbranch_execz .LBB162_41
.LBB162_51:
	v_add_nc_u32_e32 v1, s12, v0
	v_add_nc_u32_e32 v0, 0x100, v0
	global_store_b16 v1, v5, s[4:5] scale_offset
	s_wait_xcnt 0x0
	s_or_b32 exec_lo, exec_lo, s0
	s_delay_alu instid0(SALU_CYCLE_1)
	s_mov_b32 s0, exec_lo
	v_cmpx_gt_i32_e64 s16, v0
	s_cbranch_execnz .LBB162_42
	s_branch .LBB162_43
	.section	.rodata,"a",@progbits
	.p2align	6, 0x0
	.amdhsa_kernel _ZN2at6native29vectorized_elementwise_kernelILi4EZZZNS0_12_GLOBAL__N_117clamp_kernel_implERNS_18TensorIteratorBaseEENKUlvE_clEvENKUlvE7_clEvEUlN3c108BFloat16ES8_S8_E_St5arrayIPcLm4EEEEviT0_T1_
		.amdhsa_group_segment_fixed_size 0
		.amdhsa_private_segment_fixed_size 0
		.amdhsa_kernarg_size 40
		.amdhsa_user_sgpr_count 2
		.amdhsa_user_sgpr_dispatch_ptr 0
		.amdhsa_user_sgpr_queue_ptr 0
		.amdhsa_user_sgpr_kernarg_segment_ptr 1
		.amdhsa_user_sgpr_dispatch_id 0
		.amdhsa_user_sgpr_kernarg_preload_length 0
		.amdhsa_user_sgpr_kernarg_preload_offset 0
		.amdhsa_user_sgpr_private_segment_size 0
		.amdhsa_wavefront_size32 1
		.amdhsa_uses_dynamic_stack 0
		.amdhsa_enable_private_segment 0
		.amdhsa_system_sgpr_workgroup_id_x 1
		.amdhsa_system_sgpr_workgroup_id_y 0
		.amdhsa_system_sgpr_workgroup_id_z 0
		.amdhsa_system_sgpr_workgroup_info 0
		.amdhsa_system_vgpr_workitem_id 0
		.amdhsa_next_free_vgpr 60
		.amdhsa_next_free_sgpr 20
		.amdhsa_named_barrier_count 0
		.amdhsa_reserve_vcc 1
		.amdhsa_float_round_mode_32 0
		.amdhsa_float_round_mode_16_64 0
		.amdhsa_float_denorm_mode_32 3
		.amdhsa_float_denorm_mode_16_64 3
		.amdhsa_fp16_overflow 0
		.amdhsa_memory_ordered 1
		.amdhsa_forward_progress 1
		.amdhsa_inst_pref_size 28
		.amdhsa_round_robin_scheduling 0
		.amdhsa_exception_fp_ieee_invalid_op 0
		.amdhsa_exception_fp_denorm_src 0
		.amdhsa_exception_fp_ieee_div_zero 0
		.amdhsa_exception_fp_ieee_overflow 0
		.amdhsa_exception_fp_ieee_underflow 0
		.amdhsa_exception_fp_ieee_inexact 0
		.amdhsa_exception_int_div_zero 0
	.end_amdhsa_kernel
	.section	.text._ZN2at6native29vectorized_elementwise_kernelILi4EZZZNS0_12_GLOBAL__N_117clamp_kernel_implERNS_18TensorIteratorBaseEENKUlvE_clEvENKUlvE7_clEvEUlN3c108BFloat16ES8_S8_E_St5arrayIPcLm4EEEEviT0_T1_,"axG",@progbits,_ZN2at6native29vectorized_elementwise_kernelILi4EZZZNS0_12_GLOBAL__N_117clamp_kernel_implERNS_18TensorIteratorBaseEENKUlvE_clEvENKUlvE7_clEvEUlN3c108BFloat16ES8_S8_E_St5arrayIPcLm4EEEEviT0_T1_,comdat
.Lfunc_end162:
	.size	_ZN2at6native29vectorized_elementwise_kernelILi4EZZZNS0_12_GLOBAL__N_117clamp_kernel_implERNS_18TensorIteratorBaseEENKUlvE_clEvENKUlvE7_clEvEUlN3c108BFloat16ES8_S8_E_St5arrayIPcLm4EEEEviT0_T1_, .Lfunc_end162-_ZN2at6native29vectorized_elementwise_kernelILi4EZZZNS0_12_GLOBAL__N_117clamp_kernel_implERNS_18TensorIteratorBaseEENKUlvE_clEvENKUlvE7_clEvEUlN3c108BFloat16ES8_S8_E_St5arrayIPcLm4EEEEviT0_T1_
                                        ; -- End function
	.set _ZN2at6native29vectorized_elementwise_kernelILi4EZZZNS0_12_GLOBAL__N_117clamp_kernel_implERNS_18TensorIteratorBaseEENKUlvE_clEvENKUlvE7_clEvEUlN3c108BFloat16ES8_S8_E_St5arrayIPcLm4EEEEviT0_T1_.num_vgpr, 60
	.set _ZN2at6native29vectorized_elementwise_kernelILi4EZZZNS0_12_GLOBAL__N_117clamp_kernel_implERNS_18TensorIteratorBaseEENKUlvE_clEvENKUlvE7_clEvEUlN3c108BFloat16ES8_S8_E_St5arrayIPcLm4EEEEviT0_T1_.num_agpr, 0
	.set _ZN2at6native29vectorized_elementwise_kernelILi4EZZZNS0_12_GLOBAL__N_117clamp_kernel_implERNS_18TensorIteratorBaseEENKUlvE_clEvENKUlvE7_clEvEUlN3c108BFloat16ES8_S8_E_St5arrayIPcLm4EEEEviT0_T1_.numbered_sgpr, 20
	.set _ZN2at6native29vectorized_elementwise_kernelILi4EZZZNS0_12_GLOBAL__N_117clamp_kernel_implERNS_18TensorIteratorBaseEENKUlvE_clEvENKUlvE7_clEvEUlN3c108BFloat16ES8_S8_E_St5arrayIPcLm4EEEEviT0_T1_.num_named_barrier, 0
	.set _ZN2at6native29vectorized_elementwise_kernelILi4EZZZNS0_12_GLOBAL__N_117clamp_kernel_implERNS_18TensorIteratorBaseEENKUlvE_clEvENKUlvE7_clEvEUlN3c108BFloat16ES8_S8_E_St5arrayIPcLm4EEEEviT0_T1_.private_seg_size, 0
	.set _ZN2at6native29vectorized_elementwise_kernelILi4EZZZNS0_12_GLOBAL__N_117clamp_kernel_implERNS_18TensorIteratorBaseEENKUlvE_clEvENKUlvE7_clEvEUlN3c108BFloat16ES8_S8_E_St5arrayIPcLm4EEEEviT0_T1_.uses_vcc, 1
	.set _ZN2at6native29vectorized_elementwise_kernelILi4EZZZNS0_12_GLOBAL__N_117clamp_kernel_implERNS_18TensorIteratorBaseEENKUlvE_clEvENKUlvE7_clEvEUlN3c108BFloat16ES8_S8_E_St5arrayIPcLm4EEEEviT0_T1_.uses_flat_scratch, 0
	.set _ZN2at6native29vectorized_elementwise_kernelILi4EZZZNS0_12_GLOBAL__N_117clamp_kernel_implERNS_18TensorIteratorBaseEENKUlvE_clEvENKUlvE7_clEvEUlN3c108BFloat16ES8_S8_E_St5arrayIPcLm4EEEEviT0_T1_.has_dyn_sized_stack, 0
	.set _ZN2at6native29vectorized_elementwise_kernelILi4EZZZNS0_12_GLOBAL__N_117clamp_kernel_implERNS_18TensorIteratorBaseEENKUlvE_clEvENKUlvE7_clEvEUlN3c108BFloat16ES8_S8_E_St5arrayIPcLm4EEEEviT0_T1_.has_recursion, 0
	.set _ZN2at6native29vectorized_elementwise_kernelILi4EZZZNS0_12_GLOBAL__N_117clamp_kernel_implERNS_18TensorIteratorBaseEENKUlvE_clEvENKUlvE7_clEvEUlN3c108BFloat16ES8_S8_E_St5arrayIPcLm4EEEEviT0_T1_.has_indirect_call, 0
	.section	.AMDGPU.csdata,"",@progbits
; Kernel info:
; codeLenInByte = 3572
; TotalNumSgprs: 22
; NumVgprs: 60
; ScratchSize: 0
; MemoryBound: 0
; FloatMode: 240
; IeeeMode: 1
; LDSByteSize: 0 bytes/workgroup (compile time only)
; SGPRBlocks: 0
; VGPRBlocks: 3
; NumSGPRsForWavesPerEU: 22
; NumVGPRsForWavesPerEU: 60
; NamedBarCnt: 0
; Occupancy: 16
; WaveLimiterHint : 1
; COMPUTE_PGM_RSRC2:SCRATCH_EN: 0
; COMPUTE_PGM_RSRC2:USER_SGPR: 2
; COMPUTE_PGM_RSRC2:TRAP_HANDLER: 0
; COMPUTE_PGM_RSRC2:TGID_X_EN: 1
; COMPUTE_PGM_RSRC2:TGID_Y_EN: 0
; COMPUTE_PGM_RSRC2:TGID_Z_EN: 0
; COMPUTE_PGM_RSRC2:TIDIG_COMP_CNT: 0
	.section	.text._ZN2at6native29vectorized_elementwise_kernelILi2EZZZNS0_12_GLOBAL__N_117clamp_kernel_implERNS_18TensorIteratorBaseEENKUlvE_clEvENKUlvE7_clEvEUlN3c108BFloat16ES8_S8_E_St5arrayIPcLm4EEEEviT0_T1_,"axG",@progbits,_ZN2at6native29vectorized_elementwise_kernelILi2EZZZNS0_12_GLOBAL__N_117clamp_kernel_implERNS_18TensorIteratorBaseEENKUlvE_clEvENKUlvE7_clEvEUlN3c108BFloat16ES8_S8_E_St5arrayIPcLm4EEEEviT0_T1_,comdat
	.globl	_ZN2at6native29vectorized_elementwise_kernelILi2EZZZNS0_12_GLOBAL__N_117clamp_kernel_implERNS_18TensorIteratorBaseEENKUlvE_clEvENKUlvE7_clEvEUlN3c108BFloat16ES8_S8_E_St5arrayIPcLm4EEEEviT0_T1_ ; -- Begin function _ZN2at6native29vectorized_elementwise_kernelILi2EZZZNS0_12_GLOBAL__N_117clamp_kernel_implERNS_18TensorIteratorBaseEENKUlvE_clEvENKUlvE7_clEvEUlN3c108BFloat16ES8_S8_E_St5arrayIPcLm4EEEEviT0_T1_
	.p2align	8
	.type	_ZN2at6native29vectorized_elementwise_kernelILi2EZZZNS0_12_GLOBAL__N_117clamp_kernel_implERNS_18TensorIteratorBaseEENKUlvE_clEvENKUlvE7_clEvEUlN3c108BFloat16ES8_S8_E_St5arrayIPcLm4EEEEviT0_T1_,@function
_ZN2at6native29vectorized_elementwise_kernelILi2EZZZNS0_12_GLOBAL__N_117clamp_kernel_implERNS_18TensorIteratorBaseEENKUlvE_clEvENKUlvE7_clEvEUlN3c108BFloat16ES8_S8_E_St5arrayIPcLm4EEEEviT0_T1_: ; @_ZN2at6native29vectorized_elementwise_kernelILi2EZZZNS0_12_GLOBAL__N_117clamp_kernel_implERNS_18TensorIteratorBaseEENKUlvE_clEvENKUlvE7_clEvEUlN3c108BFloat16ES8_S8_E_St5arrayIPcLm4EEEEviT0_T1_
; %bb.0:
	s_clause 0x1
	s_load_b32 s2, s[0:1], 0x0
	s_load_b256 s[4:11], s[0:1], 0x8
	s_wait_xcnt 0x0
	s_bfe_u32 s0, ttmp6, 0x4000c
	s_and_b32 s1, ttmp6, 15
	s_add_co_i32 s0, s0, 1
	s_getreg_b32 s3, hwreg(HW_REG_IB_STS2, 6, 4)
	s_mul_i32 s0, ttmp9, s0
	s_delay_alu instid0(SALU_CYCLE_1) | instskip(SKIP_2) | instid1(SALU_CYCLE_1)
	s_add_co_i32 s1, s1, s0
	s_cmp_eq_u32 s3, 0
	s_cselect_b32 s0, ttmp9, s1
	s_lshl_b32 s12, s0, 11
	s_mov_b32 s0, -1
	s_wait_kmcnt 0x0
	s_sub_co_i32 s16, s2, s12
	s_delay_alu instid0(SALU_CYCLE_1)
	s_cmp_gt_i32 s16, 0x7ff
	s_cbranch_scc0 .LBB163_2
; %bb.1:
	s_ashr_i32 s13, s12, 31
	s_delay_alu instid0(SALU_CYCLE_1) | instskip(NEXT) | instid1(SALU_CYCLE_1)
	s_lshl_b64 s[14:15], s[12:13], 1
	s_add_nc_u64 s[2:3], s[10:11], s[14:15]
	s_add_nc_u64 s[0:1], s[6:7], s[14:15]
	;; [unrolled: 1-line block ×3, first 2 shown]
	s_clause 0xb
	global_load_b32 v1, v0, s[2:3] scale_offset
	global_load_b32 v2, v0, s[2:3] offset:1024 scale_offset
	global_load_b32 v3, v0, s[2:3] offset:2048 scale_offset
	;; [unrolled: 1-line block ×3, first 2 shown]
	global_load_b32 v5, v0, s[18:19] scale_offset
	global_load_b32 v6, v0, s[0:1] scale_offset
	global_load_b32 v7, v0, s[18:19] offset:1024 scale_offset
	global_load_b32 v8, v0, s[0:1] offset:1024 scale_offset
	global_load_b32 v9, v0, s[18:19] offset:2048 scale_offset
	global_load_b32 v10, v0, s[0:1] offset:2048 scale_offset
	global_load_b32 v11, v0, s[18:19] offset:3072 scale_offset
	global_load_b32 v12, v0, s[0:1] offset:3072 scale_offset
	s_wait_loadcnt 0xb
	v_lshlrev_b32_e32 v19, 16, v1
	s_wait_loadcnt 0xa
	v_and_b32_e32 v32, 0xffff0000, v2
	s_wait_loadcnt 0x9
	v_lshlrev_b32_e32 v35, 16, v3
	v_and_b32_e32 v31, 0xffff0000, v1
	s_wait_loadcnt 0x6
	v_dual_lshlrev_b32 v17, 16, v5 :: v_dual_lshlrev_b32 v18, 16, v6
	s_wait_loadcnt 0x4
	v_dual_lshlrev_b32 v22, 16, v7 :: v_dual_lshlrev_b32 v23, 16, v8
	v_lshlrev_b32_e32 v24, 16, v2
	v_and_b32_e32 v25, 0xffff0000, v7
	v_cmp_gt_f32_e32 vcc_lo, v18, v17
	v_and_b32_e32 v26, 0xffff0000, v8
	v_and_b32_e32 v20, 0xffff0000, v5
	;; [unrolled: 1-line block ×3, first 2 shown]
	v_dual_lshrrev_b32 v27, 16, v8 :: v_dual_lshrrev_b32 v28, 16, v6
	v_cndmask_b32_e32 v49, v5, v6, vcc_lo
	v_cmp_gt_f32_e32 vcc_lo, v23, v22
	v_dual_lshrrev_b32 v29, 16, v7 :: v_dual_lshrrev_b32 v30, 16, v5
	s_wait_loadcnt 0x2
	v_dual_lshlrev_b32 v33, 16, v9 :: v_dual_lshlrev_b32 v34, 16, v10
	v_cndmask_b32_e32 v50, v7, v8, vcc_lo
	v_cmp_gt_f32_e32 vcc_lo, v26, v25
	s_wait_loadcnt 0x1
	v_dual_lshlrev_b32 v38, 16, v11 :: v_dual_lshlrev_b32 v40, 16, v4
	s_wait_loadcnt 0x0
	v_lshlrev_b32_e32 v39, 16, v12
	v_and_b32_e32 v41, 0xffff0000, v11
	v_cndmask_b32_e32 v51, v29, v27, vcc_lo
	v_cmp_gt_f32_e32 vcc_lo, v21, v20
	v_and_b32_e32 v42, 0xffff0000, v12
	v_and_b32_e32 v36, 0xffff0000, v9
	;; [unrolled: 1-line block ×3, first 2 shown]
	v_dual_lshrrev_b32 v43, 16, v12 :: v_dual_lshrrev_b32 v44, 16, v10
	v_cndmask_b32_e32 v52, v30, v28, vcc_lo
	v_cmp_gt_f32_e32 vcc_lo, v34, v33
	v_dual_lshrrev_b32 v45, 16, v11 :: v_dual_lshrrev_b32 v46, 16, v9
	v_lshlrev_b32_e32 v59, 16, v51
	v_and_b32_e32 v47, 0xffff0000, v3
	v_cndmask_b32_e32 v53, v9, v10, vcc_lo
	v_cmp_gt_f32_e32 vcc_lo, v39, v38
	v_dual_lshrrev_b32 v15, 16, v3 :: v_dual_lshrrev_b32 v16, 16, v4
	v_lshlrev_b32_e32 v56, 16, v49
	v_and_b32_e32 v48, 0xffff0000, v4
	v_cndmask_b32_e32 v54, v11, v12, vcc_lo
	v_cmp_gt_f32_e32 vcc_lo, v42, v41
	v_dual_lshrrev_b32 v13, 16, v1 :: v_dual_lshrrev_b32 v14, 16, v2
	v_cndmask_b32_e32 v55, v45, v43, vcc_lo
	v_cmp_gt_f32_e32 vcc_lo, v37, v36
	v_dual_cndmask_b32 v58, v46, v44 :: v_dual_lshlrev_b32 v57, 16, v50
	v_cmp_lt_f32_e32 vcc_lo, v56, v19
	v_lshlrev_b32_e32 v56, 16, v52
	s_delay_alu instid0(VALU_DEP_3)
	v_cmp_lt_f32_e64 s0, v57, v24
	v_lshlrev_b32_e32 v57, 16, v53
	v_cmp_lt_f32_e64 s1, v59, v32
	v_lshlrev_b32_e32 v59, 16, v54
	v_cmp_lt_f32_e64 s2, v56, v31
	v_lshlrev_b32_e32 v56, 16, v58
	v_cmp_lt_f32_e64 s3, v57, v35
	v_dual_cndmask_b32 v49, v1, v49, vcc_lo :: v_dual_cndmask_b32 v50, v2, v50, s0
	v_cmp_lt_f32_e32 vcc_lo, v59, v40
	s_delay_alu instid0(VALU_DEP_3)
	v_dual_lshlrev_b32 v57, 16, v55 :: v_dual_cndmask_b32 v53, v3, v53, s3
	v_dual_cndmask_b32 v52, v13, v52, s2 :: v_dual_cndmask_b32 v51, v14, v51, s1
	v_cndmask_b32_e32 v54, v4, v54, vcc_lo
	v_cmp_lt_f32_e32 vcc_lo, v56, v47
	s_add_nc_u64 s[2:3], s[4:5], s[14:15]
	s_mov_b32 s0, 0
	v_cndmask_b32_e32 v56, v15, v58, vcc_lo
	v_cmp_lt_f32_e32 vcc_lo, v57, v48
	v_cndmask_b32_e32 v55, v16, v55, vcc_lo
	v_cmp_u_f32_e32 vcc_lo, v19, v19
	v_cndmask_b32_e32 v1, v49, v1, vcc_lo
	v_cmp_u_f32_e32 vcc_lo, v24, v24
	;; [unrolled: 2-line block ×19, first 2 shown]
	s_delay_alu instid0(VALU_DEP_4) | instskip(NEXT) | instid1(VALU_DEP_3)
	v_and_b32_e32 v1, 0xffff, v1
	v_and_b32_e32 v2, 0xffff, v2
	v_cndmask_b32_e32 v5, v5, v28, vcc_lo
	v_cmp_u_f32_e32 vcc_lo, v26, v26
	v_cndmask_b32_e32 v6, v7, v27, vcc_lo
	v_cmp_u_f32_e32 vcc_lo, v34, v34
	s_delay_alu instid0(VALU_DEP_2) | instskip(SKIP_2) | instid1(VALU_DEP_3)
	v_dual_lshlrev_b32 v5, 16, v5 :: v_dual_lshlrev_b32 v6, 16, v6
	v_cndmask_b32_e32 v3, v3, v10, vcc_lo
	v_cmp_u_f32_e32 vcc_lo, v39, v39
	v_or_b32_e32 v1, v5, v1
	s_delay_alu instid0(VALU_DEP_4) | instskip(SKIP_2) | instid1(VALU_DEP_3)
	v_dual_cndmask_b32 v4, v4, v12, vcc_lo :: v_dual_bitop2_b32 v2, v6, v2 bitop3:0x54
	v_cmp_u_f32_e32 vcc_lo, v37, v37
	v_and_b32_e32 v3, 0xffff, v3
	v_and_b32_e32 v4, 0xffff, v4
	v_cndmask_b32_e32 v7, v9, v44, vcc_lo
	v_cmp_u_f32_e32 vcc_lo, v42, v42
	v_cndmask_b32_e32 v8, v11, v43, vcc_lo
	s_delay_alu instid0(VALU_DEP_1) | instskip(NEXT) | instid1(VALU_DEP_1)
	v_dual_lshlrev_b32 v7, 16, v7 :: v_dual_lshlrev_b32 v8, 16, v8
	v_or_b32_e32 v3, v7, v3
	s_delay_alu instid0(VALU_DEP_2)
	v_or_b32_e32 v4, v8, v4
	s_clause 0x3
	global_store_b32 v0, v1, s[2:3] scale_offset
	global_store_b32 v0, v2, s[2:3] offset:1024 scale_offset
	global_store_b32 v0, v3, s[2:3] offset:2048 scale_offset
	;; [unrolled: 1-line block ×3, first 2 shown]
.LBB163_2:
	s_and_not1_b32 vcc_lo, exec_lo, s0
	s_cbranch_vccnz .LBB163_43
; %bb.3:
	v_cmp_gt_i32_e32 vcc_lo, s16, v0
	s_wait_xcnt 0x1
	v_dual_mov_b32 v3, 0 :: v_dual_bitop2_b32 v1, s12, v0 bitop3:0x54
	v_or_b32_e32 v2, 0x100, v0
	v_dual_mov_b32 v7, 0 :: v_dual_mov_b32 v10, 0
	v_dual_mov_b32 v18, 0 :: v_dual_mov_b32 v27, v0
	s_wait_xcnt 0x0
	s_and_saveexec_b32 s0, vcc_lo
	s_cbranch_execz .LBB163_5
; %bb.4:
	s_clause 0x2
	global_load_u16 v7, v1, s[6:7] scale_offset
	global_load_u16 v10, v1, s[8:9] scale_offset
	;; [unrolled: 1-line block ×3, first 2 shown]
	v_or_b32_e32 v27, 0x100, v0
.LBB163_5:
	s_wait_xcnt 0x0
	s_or_b32 exec_lo, exec_lo, s0
	v_dual_mov_b32 v12, 0 :: v_dual_mov_b32 v20, 0
	s_mov_b32 s1, exec_lo
	v_cmpx_gt_i32_e64 s16, v27
	s_cbranch_execz .LBB163_7
; %bb.6:
	v_add_nc_u32_e32 v4, s12, v27
	v_add_nc_u32_e32 v27, 0x100, v27
	s_clause 0x2
	global_load_u16 v3, v4, s[6:7] scale_offset
	global_load_u16 v12, v4, s[8:9] scale_offset
	global_load_u16 v20, v4, s[10:11] scale_offset
.LBB163_7:
	s_wait_xcnt 0x0
	s_or_b32 exec_lo, exec_lo, s1
	v_dual_mov_b32 v4, 0 :: v_dual_mov_b32 v8, 0
	v_dual_mov_b32 v13, 0 :: v_dual_mov_b32 v21, 0
	s_mov_b32 s1, exec_lo
	v_cmpx_gt_i32_e64 s16, v27
	s_cbranch_execz .LBB163_9
; %bb.8:
	v_add_nc_u32_e32 v5, s12, v27
	v_add_nc_u32_e32 v27, 0x100, v27
	s_clause 0x2
	global_load_u16 v8, v5, s[6:7] scale_offset
	global_load_u16 v13, v5, s[8:9] scale_offset
	global_load_u16 v21, v5, s[10:11] scale_offset
.LBB163_9:
	s_wait_xcnt 0x0
	s_or_b32 exec_lo, exec_lo, s1
	v_dual_mov_b32 v14, 0 :: v_dual_mov_b32 v22, 0
	s_mov_b32 s1, exec_lo
	v_cmpx_gt_i32_e64 s16, v27
	s_cbranch_execz .LBB163_11
; %bb.10:
	v_add_nc_u32_e32 v5, s12, v27
	v_add_nc_u32_e32 v27, 0x100, v27
	s_clause 0x2
	global_load_u16 v4, v5, s[6:7] scale_offset
	global_load_u16 v14, v5, s[8:9] scale_offset
	global_load_u16 v22, v5, s[10:11] scale_offset
.LBB163_11:
	s_wait_xcnt 0x0
	s_or_b32 exec_lo, exec_lo, s1
	v_dual_mov_b32 v5, 0 :: v_dual_mov_b32 v9, 0
	v_dual_mov_b32 v15, 0 :: v_dual_mov_b32 v23, 0
	s_mov_b32 s1, exec_lo
	v_cmpx_gt_i32_e64 s16, v27
	s_cbranch_execz .LBB163_13
; %bb.12:
	v_add_nc_u32_e32 v6, s12, v27
	v_add_nc_u32_e32 v27, 0x100, v27
	s_clause 0x2
	global_load_u16 v9, v6, s[6:7] scale_offset
	global_load_u16 v15, v6, s[8:9] scale_offset
	global_load_u16 v23, v6, s[10:11] scale_offset
.LBB163_13:
	;; [unrolled: 29-line block ×3, first 2 shown]
	s_wait_xcnt 0x0
	s_or_b32 exec_lo, exec_lo, s1
	v_dual_mov_b32 v17, 0 :: v_dual_mov_b32 v25, 0
	s_mov_b32 s1, exec_lo
	v_cmpx_gt_i32_e64 s16, v27
	s_cbranch_execz .LBB163_19
; %bb.18:
	v_add_nc_u32_e32 v27, s12, v27
	s_clause 0x2
	global_load_u16 v6, v27, s[6:7] scale_offset
	global_load_u16 v17, v27, s[8:9] scale_offset
	;; [unrolled: 1-line block ×3, first 2 shown]
	s_wait_xcnt 0x0
	s_or_b32 exec_lo, exec_lo, s1
                                        ; implicit-def: $vgpr27
	s_and_saveexec_b32 s1, vcc_lo
	s_cbranch_execz .LBB163_21
	s_branch .LBB163_20
.LBB163_19:
	s_or_b32 exec_lo, exec_lo, s1
                                        ; implicit-def: $vgpr27
	s_and_saveexec_b32 s1, vcc_lo
	s_cbranch_execz .LBB163_21
.LBB163_20:
	s_wait_loadcnt 0x1
	v_dual_lshlrev_b32 v27, 16, v7 :: v_dual_lshlrev_b32 v28, 16, v10
	s_wait_loadcnt 0x0
	v_lshlrev_b32_e32 v30, 16, v18
	s_delay_alu instid0(VALU_DEP_2) | instskip(NEXT) | instid1(VALU_DEP_1)
	v_cmp_gt_f32_e64 s0, v27, v28
	v_cndmask_b32_e64 v29, v10, v7, s0
	s_delay_alu instid0(VALU_DEP_1) | instskip(NEXT) | instid1(VALU_DEP_1)
	v_lshlrev_b32_e32 v31, 16, v29
	v_cmp_lt_f32_e64 s0, v31, v30
	s_delay_alu instid0(VALU_DEP_1) | instskip(SKIP_1) | instid1(VALU_DEP_1)
	v_cndmask_b32_e64 v29, v18, v29, s0
	v_cmp_u_f32_e64 s0, v30, v30
	v_cndmask_b32_e64 v18, v29, v18, s0
	v_cmp_u_f32_e64 s0, v28, v28
	s_delay_alu instid0(VALU_DEP_1) | instskip(SKIP_1) | instid1(VALU_DEP_1)
	v_cndmask_b32_e64 v10, v18, v10, s0
	v_cmp_u_f32_e64 s0, v27, v27
	v_cndmask_b32_e64 v27, v10, v7, s0
.LBB163_21:
	s_or_b32 exec_lo, exec_lo, s1
	s_delay_alu instid0(SALU_CYCLE_1)
	s_mov_b32 s1, exec_lo
                                        ; implicit-def: $vgpr7
	v_cmpx_gt_i32_e64 s16, v2
	s_cbranch_execz .LBB163_23
; %bb.22:
	s_wait_loadcnt 0x1
	v_dual_lshlrev_b32 v7, 16, v3 :: v_dual_lshlrev_b32 v10, 16, v12
	s_wait_loadcnt 0x0
	v_lshlrev_b32_e32 v28, 16, v20
	s_delay_alu instid0(VALU_DEP_2) | instskip(NEXT) | instid1(VALU_DEP_1)
	v_cmp_gt_f32_e64 s0, v7, v10
	v_cndmask_b32_e64 v18, v12, v3, s0
	s_delay_alu instid0(VALU_DEP_1) | instskip(NEXT) | instid1(VALU_DEP_1)
	v_lshlrev_b32_e32 v29, 16, v18
	v_cmp_lt_f32_e64 s0, v29, v28
	s_delay_alu instid0(VALU_DEP_1) | instskip(SKIP_1) | instid1(VALU_DEP_1)
	v_cndmask_b32_e64 v18, v20, v18, s0
	v_cmp_u_f32_e64 s0, v28, v28
	v_cndmask_b32_e64 v18, v18, v20, s0
	v_cmp_u_f32_e64 s0, v10, v10
	s_delay_alu instid0(VALU_DEP_1) | instskip(SKIP_1) | instid1(VALU_DEP_1)
	v_cndmask_b32_e64 v10, v18, v12, s0
	v_cmp_u_f32_e64 s0, v7, v7
	v_cndmask_b32_e64 v7, v10, v3, s0
.LBB163_23:
	s_or_b32 exec_lo, exec_lo, s1
	s_wait_loadcnt 0x2
	v_or_b32_e32 v3, 0x200, v0
	s_delay_alu instid0(VALU_DEP_1)
	v_cmp_gt_i32_e64 s0, s16, v3
                                        ; implicit-def: $vgpr3
	s_and_saveexec_b32 s1, s0
	s_cbranch_execz .LBB163_25
; %bb.24:
	s_wait_loadcnt 0x1
	v_dual_lshlrev_b32 v3, 16, v8 :: v_dual_lshlrev_b32 v10, 16, v13
	s_wait_loadcnt 0x0
	v_lshlrev_b32_e32 v18, 16, v21
	s_delay_alu instid0(VALU_DEP_2) | instskip(NEXT) | instid1(VALU_DEP_1)
	v_cmp_gt_f32_e64 s0, v3, v10
	v_cndmask_b32_e64 v12, v13, v8, s0
	s_delay_alu instid0(VALU_DEP_1) | instskip(NEXT) | instid1(VALU_DEP_1)
	v_lshlrev_b32_e32 v20, 16, v12
	v_cmp_lt_f32_e64 s0, v20, v18
	s_delay_alu instid0(VALU_DEP_1) | instskip(SKIP_1) | instid1(VALU_DEP_1)
	v_cndmask_b32_e64 v12, v21, v12, s0
	v_cmp_u_f32_e64 s0, v18, v18
	v_cndmask_b32_e64 v12, v12, v21, s0
	v_cmp_u_f32_e64 s0, v10, v10
	s_delay_alu instid0(VALU_DEP_1) | instskip(SKIP_1) | instid1(VALU_DEP_1)
	v_cndmask_b32_e64 v10, v12, v13, s0
	v_cmp_u_f32_e64 s0, v3, v3
	v_cndmask_b32_e64 v3, v10, v8, s0
.LBB163_25:
	s_or_b32 exec_lo, exec_lo, s1
	v_or_b32_e32 v8, 0x300, v0
	s_delay_alu instid0(VALU_DEP_1)
	v_cmp_gt_i32_e64 s0, s16, v8
                                        ; implicit-def: $vgpr8
	s_and_saveexec_b32 s1, s0
	s_cbranch_execz .LBB163_27
; %bb.26:
	s_wait_loadcnt 0x1
	v_dual_lshlrev_b32 v8, 16, v4 :: v_dual_lshlrev_b32 v10, 16, v14
	s_wait_loadcnt 0x0
	v_lshlrev_b32_e32 v13, 16, v22
	s_delay_alu instid0(VALU_DEP_2) | instskip(NEXT) | instid1(VALU_DEP_1)
	v_cmp_gt_f32_e64 s0, v8, v10
	v_cndmask_b32_e64 v12, v14, v4, s0
	s_delay_alu instid0(VALU_DEP_1) | instskip(NEXT) | instid1(VALU_DEP_1)
	v_lshlrev_b32_e32 v18, 16, v12
	v_cmp_lt_f32_e64 s0, v18, v13
	s_delay_alu instid0(VALU_DEP_1) | instskip(SKIP_1) | instid1(VALU_DEP_1)
	v_cndmask_b32_e64 v12, v22, v12, s0
	v_cmp_u_f32_e64 s0, v13, v13
	v_cndmask_b32_e64 v12, v12, v22, s0
	v_cmp_u_f32_e64 s0, v10, v10
	s_delay_alu instid0(VALU_DEP_1) | instskip(SKIP_1) | instid1(VALU_DEP_1)
	v_cndmask_b32_e64 v10, v12, v14, s0
	v_cmp_u_f32_e64 s0, v8, v8
	v_cndmask_b32_e64 v8, v10, v4, s0
.LBB163_27:
	s_or_b32 exec_lo, exec_lo, s1
	v_or_b32_e32 v4, 0x400, v0
	s_delay_alu instid0(VALU_DEP_1)
	v_cmp_gt_i32_e64 s0, s16, v4
                                        ; implicit-def: $vgpr4
	s_and_saveexec_b32 s1, s0
	s_cbranch_execz .LBB163_29
; %bb.28:
	s_wait_loadcnt 0x1
	v_dual_lshlrev_b32 v4, 16, v9 :: v_dual_lshlrev_b32 v10, 16, v15
	s_wait_loadcnt 0x0
	v_lshlrev_b32_e32 v13, 16, v23
	s_delay_alu instid0(VALU_DEP_2) | instskip(NEXT) | instid1(VALU_DEP_1)
	v_cmp_gt_f32_e64 s0, v4, v10
	v_cndmask_b32_e64 v12, v15, v9, s0
	s_delay_alu instid0(VALU_DEP_1) | instskip(NEXT) | instid1(VALU_DEP_1)
	v_lshlrev_b32_e32 v14, 16, v12
	v_cmp_lt_f32_e64 s0, v14, v13
	s_delay_alu instid0(VALU_DEP_1) | instskip(SKIP_1) | instid1(VALU_DEP_1)
	v_cndmask_b32_e64 v12, v23, v12, s0
	v_cmp_u_f32_e64 s0, v13, v13
	v_cndmask_b32_e64 v12, v12, v23, s0
	v_cmp_u_f32_e64 s0, v10, v10
	s_delay_alu instid0(VALU_DEP_1) | instskip(SKIP_1) | instid1(VALU_DEP_1)
	v_cndmask_b32_e64 v10, v12, v15, s0
	v_cmp_u_f32_e64 s0, v4, v4
	v_cndmask_b32_e64 v4, v10, v9, s0
.LBB163_29:
	s_or_b32 exec_lo, exec_lo, s1
	v_or_b32_e32 v9, 0x500, v0
	s_delay_alu instid0(VALU_DEP_1)
	v_cmp_gt_i32_e64 s0, s16, v9
                                        ; implicit-def: $vgpr9
	s_and_saveexec_b32 s1, s0
	s_cbranch_execz .LBB163_31
; %bb.30:
	s_wait_loadcnt 0x1
	v_dual_lshlrev_b32 v9, 16, v5 :: v_dual_lshlrev_b32 v10, 16, v16
	s_wait_loadcnt 0x0
	v_lshlrev_b32_e32 v13, 16, v24
	s_delay_alu instid0(VALU_DEP_2) | instskip(NEXT) | instid1(VALU_DEP_1)
	v_cmp_gt_f32_e64 s0, v9, v10
	v_cndmask_b32_e64 v12, v16, v5, s0
	s_delay_alu instid0(VALU_DEP_1) | instskip(NEXT) | instid1(VALU_DEP_1)
	v_lshlrev_b32_e32 v14, 16, v12
	v_cmp_lt_f32_e64 s0, v14, v13
	s_delay_alu instid0(VALU_DEP_1) | instskip(SKIP_1) | instid1(VALU_DEP_1)
	v_cndmask_b32_e64 v12, v24, v12, s0
	v_cmp_u_f32_e64 s0, v13, v13
	v_cndmask_b32_e64 v12, v12, v24, s0
	v_cmp_u_f32_e64 s0, v10, v10
	s_delay_alu instid0(VALU_DEP_1) | instskip(SKIP_1) | instid1(VALU_DEP_1)
	v_cndmask_b32_e64 v10, v12, v16, s0
	v_cmp_u_f32_e64 s0, v9, v9
	v_cndmask_b32_e64 v9, v10, v5, s0
.LBB163_31:
	s_or_b32 exec_lo, exec_lo, s1
	v_or_b32_e32 v5, 0x600, v0
	s_delay_alu instid0(VALU_DEP_1)
	v_cmp_gt_i32_e64 s0, s16, v5
                                        ; implicit-def: $vgpr5
	s_and_saveexec_b32 s1, s0
	s_cbranch_execz .LBB163_33
; %bb.32:
	v_lshlrev_b32_e32 v5, 16, v11
	s_wait_loadcnt 0x0
	v_dual_lshlrev_b32 v10, 16, v19 :: v_dual_lshlrev_b32 v13, 16, v26
	s_delay_alu instid0(VALU_DEP_1) | instskip(NEXT) | instid1(VALU_DEP_1)
	v_cmp_gt_f32_e64 s0, v5, v10
	v_cndmask_b32_e64 v12, v19, v11, s0
	s_delay_alu instid0(VALU_DEP_1) | instskip(NEXT) | instid1(VALU_DEP_1)
	v_lshlrev_b32_e32 v14, 16, v12
	v_cmp_lt_f32_e64 s0, v14, v13
	s_delay_alu instid0(VALU_DEP_1) | instskip(SKIP_1) | instid1(VALU_DEP_1)
	v_cndmask_b32_e64 v12, v26, v12, s0
	v_cmp_u_f32_e64 s0, v13, v13
	v_cndmask_b32_e64 v12, v12, v26, s0
	v_cmp_u_f32_e64 s0, v10, v10
	s_delay_alu instid0(VALU_DEP_1) | instskip(SKIP_1) | instid1(VALU_DEP_1)
	v_cndmask_b32_e64 v10, v12, v19, s0
	v_cmp_u_f32_e64 s0, v5, v5
	v_cndmask_b32_e64 v5, v10, v11, s0
.LBB163_33:
	s_or_b32 exec_lo, exec_lo, s1
	s_wait_loadcnt 0x1
	v_or_b32_e32 v10, 0x700, v0
	s_delay_alu instid0(VALU_DEP_1)
	v_cmp_gt_i32_e64 s0, s16, v10
                                        ; implicit-def: $vgpr10
	s_and_saveexec_b32 s1, s0
	s_cbranch_execz .LBB163_44
; %bb.34:
	v_dual_lshlrev_b32 v10, 16, v6 :: v_dual_lshlrev_b32 v11, 16, v17
	s_wait_loadcnt 0x0
	v_lshlrev_b32_e32 v13, 16, v25
	s_delay_alu instid0(VALU_DEP_2) | instskip(NEXT) | instid1(VALU_DEP_1)
	v_cmp_gt_f32_e64 s0, v10, v11
	v_cndmask_b32_e64 v12, v17, v6, s0
	s_delay_alu instid0(VALU_DEP_1) | instskip(NEXT) | instid1(VALU_DEP_1)
	v_lshlrev_b32_e32 v14, 16, v12
	v_cmp_lt_f32_e64 s0, v14, v13
	s_delay_alu instid0(VALU_DEP_1) | instskip(SKIP_1) | instid1(VALU_DEP_1)
	v_cndmask_b32_e64 v12, v25, v12, s0
	v_cmp_u_f32_e64 s0, v13, v13
	v_cndmask_b32_e64 v12, v12, v25, s0
	v_cmp_u_f32_e64 s0, v11, v11
	s_delay_alu instid0(VALU_DEP_1) | instskip(SKIP_1) | instid1(VALU_DEP_1)
	v_cndmask_b32_e64 v11, v12, v17, s0
	v_cmp_u_f32_e64 s0, v10, v10
	v_cndmask_b32_e64 v10, v11, v6, s0
	s_or_b32 exec_lo, exec_lo, s1
	s_and_saveexec_b32 s0, vcc_lo
	s_delay_alu instid0(SALU_CYCLE_1)
	s_xor_b32 s0, exec_lo, s0
	s_cbranch_execnz .LBB163_45
.LBB163_35:
	s_or_b32 exec_lo, exec_lo, s0
	s_delay_alu instid0(SALU_CYCLE_1)
	s_mov_b32 s0, exec_lo
	v_cmpx_gt_i32_e64 s16, v0
	s_cbranch_execz .LBB163_46
.LBB163_36:
	v_add_nc_u32_e32 v1, s12, v0
	v_add_nc_u32_e32 v0, 0x100, v0
	global_store_b16 v1, v7, s[4:5] scale_offset
	s_wait_xcnt 0x0
	s_or_b32 exec_lo, exec_lo, s0
	s_delay_alu instid0(SALU_CYCLE_1)
	s_mov_b32 s0, exec_lo
	v_cmpx_gt_i32_e64 s16, v0
	s_cbranch_execnz .LBB163_47
.LBB163_37:
	s_or_b32 exec_lo, exec_lo, s0
	s_delay_alu instid0(SALU_CYCLE_1)
	s_mov_b32 s0, exec_lo
	v_cmpx_gt_i32_e64 s16, v0
	s_cbranch_execz .LBB163_48
.LBB163_38:
	v_add_nc_u32_e32 v1, s12, v0
	v_add_nc_u32_e32 v0, 0x100, v0
	global_store_b16 v1, v8, s[4:5] scale_offset
	s_wait_xcnt 0x0
	s_or_b32 exec_lo, exec_lo, s0
	s_delay_alu instid0(SALU_CYCLE_1)
	s_mov_b32 s0, exec_lo
	v_cmpx_gt_i32_e64 s16, v0
	s_cbranch_execnz .LBB163_49
.LBB163_39:
	s_or_b32 exec_lo, exec_lo, s0
	s_delay_alu instid0(SALU_CYCLE_1)
	s_mov_b32 s0, exec_lo
	v_cmpx_gt_i32_e64 s16, v0
	s_cbranch_execz .LBB163_50
.LBB163_40:
	v_add_nc_u32_e32 v1, s12, v0
	v_add_nc_u32_e32 v0, 0x100, v0
	global_store_b16 v1, v9, s[4:5] scale_offset
	s_wait_xcnt 0x0
	s_or_b32 exec_lo, exec_lo, s0
	s_delay_alu instid0(SALU_CYCLE_1)
	s_mov_b32 s0, exec_lo
	v_cmpx_gt_i32_e64 s16, v0
	s_cbranch_execnz .LBB163_51
.LBB163_41:
	s_or_b32 exec_lo, exec_lo, s0
	s_delay_alu instid0(SALU_CYCLE_1)
	s_mov_b32 s0, exec_lo
	v_cmpx_gt_i32_e64 s16, v0
	s_cbranch_execz .LBB163_43
.LBB163_42:
	v_add_nc_u32_e32 v0, s12, v0
	global_store_b16 v0, v10, s[4:5] scale_offset
.LBB163_43:
	s_endpgm
.LBB163_44:
	s_or_b32 exec_lo, exec_lo, s1
	s_and_saveexec_b32 s0, vcc_lo
	s_delay_alu instid0(SALU_CYCLE_1)
	s_xor_b32 s0, exec_lo, s0
	s_cbranch_execz .LBB163_35
.LBB163_45:
	v_mov_b32_e32 v0, v2
	global_store_b16 v1, v27, s[4:5] scale_offset
	s_wait_xcnt 0x0
	s_or_b32 exec_lo, exec_lo, s0
	s_delay_alu instid0(SALU_CYCLE_1)
	s_mov_b32 s0, exec_lo
	v_cmpx_gt_i32_e64 s16, v0
	s_cbranch_execnz .LBB163_36
.LBB163_46:
	s_or_b32 exec_lo, exec_lo, s0
	s_delay_alu instid0(SALU_CYCLE_1)
	s_mov_b32 s0, exec_lo
	v_cmpx_gt_i32_e64 s16, v0
	s_cbranch_execz .LBB163_37
.LBB163_47:
	v_add_nc_u32_e32 v1, s12, v0
	v_add_nc_u32_e32 v0, 0x100, v0
	global_store_b16 v1, v3, s[4:5] scale_offset
	s_wait_xcnt 0x0
	s_or_b32 exec_lo, exec_lo, s0
	s_delay_alu instid0(SALU_CYCLE_1)
	s_mov_b32 s0, exec_lo
	v_cmpx_gt_i32_e64 s16, v0
	s_cbranch_execnz .LBB163_38
.LBB163_48:
	s_or_b32 exec_lo, exec_lo, s0
	s_delay_alu instid0(SALU_CYCLE_1)
	s_mov_b32 s0, exec_lo
	v_cmpx_gt_i32_e64 s16, v0
	s_cbranch_execz .LBB163_39
.LBB163_49:
	v_add_nc_u32_e32 v1, s12, v0
	v_add_nc_u32_e32 v0, 0x100, v0
	global_store_b16 v1, v4, s[4:5] scale_offset
	s_wait_xcnt 0x0
	s_or_b32 exec_lo, exec_lo, s0
	s_delay_alu instid0(SALU_CYCLE_1)
	s_mov_b32 s0, exec_lo
	v_cmpx_gt_i32_e64 s16, v0
	s_cbranch_execnz .LBB163_40
.LBB163_50:
	s_or_b32 exec_lo, exec_lo, s0
	s_delay_alu instid0(SALU_CYCLE_1)
	s_mov_b32 s0, exec_lo
	v_cmpx_gt_i32_e64 s16, v0
	s_cbranch_execz .LBB163_41
.LBB163_51:
	v_add_nc_u32_e32 v1, s12, v0
	v_add_nc_u32_e32 v0, 0x100, v0
	global_store_b16 v1, v5, s[4:5] scale_offset
	s_wait_xcnt 0x0
	s_or_b32 exec_lo, exec_lo, s0
	s_delay_alu instid0(SALU_CYCLE_1)
	s_mov_b32 s0, exec_lo
	v_cmpx_gt_i32_e64 s16, v0
	s_cbranch_execnz .LBB163_42
	s_branch .LBB163_43
	.section	.rodata,"a",@progbits
	.p2align	6, 0x0
	.amdhsa_kernel _ZN2at6native29vectorized_elementwise_kernelILi2EZZZNS0_12_GLOBAL__N_117clamp_kernel_implERNS_18TensorIteratorBaseEENKUlvE_clEvENKUlvE7_clEvEUlN3c108BFloat16ES8_S8_E_St5arrayIPcLm4EEEEviT0_T1_
		.amdhsa_group_segment_fixed_size 0
		.amdhsa_private_segment_fixed_size 0
		.amdhsa_kernarg_size 40
		.amdhsa_user_sgpr_count 2
		.amdhsa_user_sgpr_dispatch_ptr 0
		.amdhsa_user_sgpr_queue_ptr 0
		.amdhsa_user_sgpr_kernarg_segment_ptr 1
		.amdhsa_user_sgpr_dispatch_id 0
		.amdhsa_user_sgpr_kernarg_preload_length 0
		.amdhsa_user_sgpr_kernarg_preload_offset 0
		.amdhsa_user_sgpr_private_segment_size 0
		.amdhsa_wavefront_size32 1
		.amdhsa_uses_dynamic_stack 0
		.amdhsa_enable_private_segment 0
		.amdhsa_system_sgpr_workgroup_id_x 1
		.amdhsa_system_sgpr_workgroup_id_y 0
		.amdhsa_system_sgpr_workgroup_id_z 0
		.amdhsa_system_sgpr_workgroup_info 0
		.amdhsa_system_vgpr_workitem_id 0
		.amdhsa_next_free_vgpr 60
		.amdhsa_next_free_sgpr 20
		.amdhsa_named_barrier_count 0
		.amdhsa_reserve_vcc 1
		.amdhsa_float_round_mode_32 0
		.amdhsa_float_round_mode_16_64 0
		.amdhsa_float_denorm_mode_32 3
		.amdhsa_float_denorm_mode_16_64 3
		.amdhsa_fp16_overflow 0
		.amdhsa_memory_ordered 1
		.amdhsa_forward_progress 1
		.amdhsa_inst_pref_size 29
		.amdhsa_round_robin_scheduling 0
		.amdhsa_exception_fp_ieee_invalid_op 0
		.amdhsa_exception_fp_denorm_src 0
		.amdhsa_exception_fp_ieee_div_zero 0
		.amdhsa_exception_fp_ieee_overflow 0
		.amdhsa_exception_fp_ieee_underflow 0
		.amdhsa_exception_fp_ieee_inexact 0
		.amdhsa_exception_int_div_zero 0
	.end_amdhsa_kernel
	.section	.text._ZN2at6native29vectorized_elementwise_kernelILi2EZZZNS0_12_GLOBAL__N_117clamp_kernel_implERNS_18TensorIteratorBaseEENKUlvE_clEvENKUlvE7_clEvEUlN3c108BFloat16ES8_S8_E_St5arrayIPcLm4EEEEviT0_T1_,"axG",@progbits,_ZN2at6native29vectorized_elementwise_kernelILi2EZZZNS0_12_GLOBAL__N_117clamp_kernel_implERNS_18TensorIteratorBaseEENKUlvE_clEvENKUlvE7_clEvEUlN3c108BFloat16ES8_S8_E_St5arrayIPcLm4EEEEviT0_T1_,comdat
.Lfunc_end163:
	.size	_ZN2at6native29vectorized_elementwise_kernelILi2EZZZNS0_12_GLOBAL__N_117clamp_kernel_implERNS_18TensorIteratorBaseEENKUlvE_clEvENKUlvE7_clEvEUlN3c108BFloat16ES8_S8_E_St5arrayIPcLm4EEEEviT0_T1_, .Lfunc_end163-_ZN2at6native29vectorized_elementwise_kernelILi2EZZZNS0_12_GLOBAL__N_117clamp_kernel_implERNS_18TensorIteratorBaseEENKUlvE_clEvENKUlvE7_clEvEUlN3c108BFloat16ES8_S8_E_St5arrayIPcLm4EEEEviT0_T1_
                                        ; -- End function
	.set _ZN2at6native29vectorized_elementwise_kernelILi2EZZZNS0_12_GLOBAL__N_117clamp_kernel_implERNS_18TensorIteratorBaseEENKUlvE_clEvENKUlvE7_clEvEUlN3c108BFloat16ES8_S8_E_St5arrayIPcLm4EEEEviT0_T1_.num_vgpr, 60
	.set _ZN2at6native29vectorized_elementwise_kernelILi2EZZZNS0_12_GLOBAL__N_117clamp_kernel_implERNS_18TensorIteratorBaseEENKUlvE_clEvENKUlvE7_clEvEUlN3c108BFloat16ES8_S8_E_St5arrayIPcLm4EEEEviT0_T1_.num_agpr, 0
	.set _ZN2at6native29vectorized_elementwise_kernelILi2EZZZNS0_12_GLOBAL__N_117clamp_kernel_implERNS_18TensorIteratorBaseEENKUlvE_clEvENKUlvE7_clEvEUlN3c108BFloat16ES8_S8_E_St5arrayIPcLm4EEEEviT0_T1_.numbered_sgpr, 20
	.set _ZN2at6native29vectorized_elementwise_kernelILi2EZZZNS0_12_GLOBAL__N_117clamp_kernel_implERNS_18TensorIteratorBaseEENKUlvE_clEvENKUlvE7_clEvEUlN3c108BFloat16ES8_S8_E_St5arrayIPcLm4EEEEviT0_T1_.num_named_barrier, 0
	.set _ZN2at6native29vectorized_elementwise_kernelILi2EZZZNS0_12_GLOBAL__N_117clamp_kernel_implERNS_18TensorIteratorBaseEENKUlvE_clEvENKUlvE7_clEvEUlN3c108BFloat16ES8_S8_E_St5arrayIPcLm4EEEEviT0_T1_.private_seg_size, 0
	.set _ZN2at6native29vectorized_elementwise_kernelILi2EZZZNS0_12_GLOBAL__N_117clamp_kernel_implERNS_18TensorIteratorBaseEENKUlvE_clEvENKUlvE7_clEvEUlN3c108BFloat16ES8_S8_E_St5arrayIPcLm4EEEEviT0_T1_.uses_vcc, 1
	.set _ZN2at6native29vectorized_elementwise_kernelILi2EZZZNS0_12_GLOBAL__N_117clamp_kernel_implERNS_18TensorIteratorBaseEENKUlvE_clEvENKUlvE7_clEvEUlN3c108BFloat16ES8_S8_E_St5arrayIPcLm4EEEEviT0_T1_.uses_flat_scratch, 0
	.set _ZN2at6native29vectorized_elementwise_kernelILi2EZZZNS0_12_GLOBAL__N_117clamp_kernel_implERNS_18TensorIteratorBaseEENKUlvE_clEvENKUlvE7_clEvEUlN3c108BFloat16ES8_S8_E_St5arrayIPcLm4EEEEviT0_T1_.has_dyn_sized_stack, 0
	.set _ZN2at6native29vectorized_elementwise_kernelILi2EZZZNS0_12_GLOBAL__N_117clamp_kernel_implERNS_18TensorIteratorBaseEENKUlvE_clEvENKUlvE7_clEvEUlN3c108BFloat16ES8_S8_E_St5arrayIPcLm4EEEEviT0_T1_.has_recursion, 0
	.set _ZN2at6native29vectorized_elementwise_kernelILi2EZZZNS0_12_GLOBAL__N_117clamp_kernel_implERNS_18TensorIteratorBaseEENKUlvE_clEvENKUlvE7_clEvEUlN3c108BFloat16ES8_S8_E_St5arrayIPcLm4EEEEviT0_T1_.has_indirect_call, 0
	.section	.AMDGPU.csdata,"",@progbits
; Kernel info:
; codeLenInByte = 3652
; TotalNumSgprs: 22
; NumVgprs: 60
; ScratchSize: 0
; MemoryBound: 0
; FloatMode: 240
; IeeeMode: 1
; LDSByteSize: 0 bytes/workgroup (compile time only)
; SGPRBlocks: 0
; VGPRBlocks: 3
; NumSGPRsForWavesPerEU: 22
; NumVGPRsForWavesPerEU: 60
; NamedBarCnt: 0
; Occupancy: 16
; WaveLimiterHint : 1
; COMPUTE_PGM_RSRC2:SCRATCH_EN: 0
; COMPUTE_PGM_RSRC2:USER_SGPR: 2
; COMPUTE_PGM_RSRC2:TRAP_HANDLER: 0
; COMPUTE_PGM_RSRC2:TGID_X_EN: 1
; COMPUTE_PGM_RSRC2:TGID_Y_EN: 0
; COMPUTE_PGM_RSRC2:TGID_Z_EN: 0
; COMPUTE_PGM_RSRC2:TIDIG_COMP_CNT: 0
	.section	.text._ZN2at6native27unrolled_elementwise_kernelIZZZNS0_12_GLOBAL__N_117clamp_kernel_implERNS_18TensorIteratorBaseEENKUlvE_clEvENKUlvE7_clEvEUlN3c108BFloat16ES8_S8_E_St5arrayIPcLm4EELi4E23TrivialOffsetCalculatorILi3EjESD_ILi1EjENS0_6memory15LoadWithoutCastENSG_16StoreWithoutCastEEEviT_T0_T2_T3_T4_T5_,"axG",@progbits,_ZN2at6native27unrolled_elementwise_kernelIZZZNS0_12_GLOBAL__N_117clamp_kernel_implERNS_18TensorIteratorBaseEENKUlvE_clEvENKUlvE7_clEvEUlN3c108BFloat16ES8_S8_E_St5arrayIPcLm4EELi4E23TrivialOffsetCalculatorILi3EjESD_ILi1EjENS0_6memory15LoadWithoutCastENSG_16StoreWithoutCastEEEviT_T0_T2_T3_T4_T5_,comdat
	.globl	_ZN2at6native27unrolled_elementwise_kernelIZZZNS0_12_GLOBAL__N_117clamp_kernel_implERNS_18TensorIteratorBaseEENKUlvE_clEvENKUlvE7_clEvEUlN3c108BFloat16ES8_S8_E_St5arrayIPcLm4EELi4E23TrivialOffsetCalculatorILi3EjESD_ILi1EjENS0_6memory15LoadWithoutCastENSG_16StoreWithoutCastEEEviT_T0_T2_T3_T4_T5_ ; -- Begin function _ZN2at6native27unrolled_elementwise_kernelIZZZNS0_12_GLOBAL__N_117clamp_kernel_implERNS_18TensorIteratorBaseEENKUlvE_clEvENKUlvE7_clEvEUlN3c108BFloat16ES8_S8_E_St5arrayIPcLm4EELi4E23TrivialOffsetCalculatorILi3EjESD_ILi1EjENS0_6memory15LoadWithoutCastENSG_16StoreWithoutCastEEEviT_T0_T2_T3_T4_T5_
	.p2align	8
	.type	_ZN2at6native27unrolled_elementwise_kernelIZZZNS0_12_GLOBAL__N_117clamp_kernel_implERNS_18TensorIteratorBaseEENKUlvE_clEvENKUlvE7_clEvEUlN3c108BFloat16ES8_S8_E_St5arrayIPcLm4EELi4E23TrivialOffsetCalculatorILi3EjESD_ILi1EjENS0_6memory15LoadWithoutCastENSG_16StoreWithoutCastEEEviT_T0_T2_T3_T4_T5_,@function
_ZN2at6native27unrolled_elementwise_kernelIZZZNS0_12_GLOBAL__N_117clamp_kernel_implERNS_18TensorIteratorBaseEENKUlvE_clEvENKUlvE7_clEvEUlN3c108BFloat16ES8_S8_E_St5arrayIPcLm4EELi4E23TrivialOffsetCalculatorILi3EjESD_ILi1EjENS0_6memory15LoadWithoutCastENSG_16StoreWithoutCastEEEviT_T0_T2_T3_T4_T5_: ; @_ZN2at6native27unrolled_elementwise_kernelIZZZNS0_12_GLOBAL__N_117clamp_kernel_implERNS_18TensorIteratorBaseEENKUlvE_clEvENKUlvE7_clEvEUlN3c108BFloat16ES8_S8_E_St5arrayIPcLm4EELi4E23TrivialOffsetCalculatorILi3EjESD_ILi1EjENS0_6memory15LoadWithoutCastENSG_16StoreWithoutCastEEEviT_T0_T2_T3_T4_T5_
; %bb.0:
	s_load_b32 s2, s[0:1], 0x0
	s_bfe_u32 s12, ttmp6, 0x4000c
	s_load_b256 s[4:11], s[0:1], 0x8
	s_add_co_i32 s12, s12, 1
	s_and_b32 s3, ttmp6, 15
	s_wait_xcnt 0x0
	s_mul_i32 s0, ttmp9, s12
	s_getreg_b32 s13, hwreg(HW_REG_IB_STS2, 6, 4)
	s_add_co_i32 s3, s3, s0
	s_cmp_eq_u32 s13, 0
	v_dual_mov_b32 v3, 0 :: v_dual_mov_b32 v5, 0
	s_cselect_b32 s0, ttmp9, s3
	v_dual_mov_b32 v6, 0 :: v_dual_mov_b32 v8, 0
	s_lshl_b32 s1, s0, 10
	v_or_b32_e32 v1, 0x100, v0
	v_dual_mov_b32 v15, v0 :: v_dual_bitop2_b32 v2, s1, v0 bitop3:0x54
	s_wait_kmcnt 0x0
	s_sub_co_i32 s2, s2, s1
	s_delay_alu instid0(SALU_CYCLE_1)
	v_cmp_gt_i32_e32 vcc_lo, s2, v0
	s_and_saveexec_b32 s0, vcc_lo
	s_cbranch_execz .LBB164_2
; %bb.1:
	s_clause 0x2
	global_load_u16 v5, v2, s[6:7] scale_offset
	global_load_u16 v6, v2, s[8:9] scale_offset
	;; [unrolled: 1-line block ×3, first 2 shown]
	v_or_b32_e32 v15, 0x100, v0
.LBB164_2:
	s_wait_xcnt 0x0
	s_or_b32 exec_lo, exec_lo, s0
	v_dual_mov_b32 v9, 0 :: v_dual_mov_b32 v12, 0
	s_mov_b32 s3, exec_lo
	v_cmpx_gt_i32_e64 s2, v15
	s_cbranch_execz .LBB164_4
; %bb.3:
	v_add_nc_u32_e32 v4, s1, v15
	v_add_nc_u32_e32 v15, 0x100, v15
	s_clause 0x2
	global_load_u16 v3, v4, s[6:7] scale_offset
	global_load_u16 v9, v4, s[8:9] scale_offset
	;; [unrolled: 1-line block ×3, first 2 shown]
.LBB164_4:
	s_wait_xcnt 0x0
	s_or_b32 exec_lo, exec_lo, s3
	v_dual_mov_b32 v4, 0 :: v_dual_mov_b32 v7, 0
	v_dual_mov_b32 v11, 0 :: v_dual_mov_b32 v14, 0
	s_mov_b32 s3, exec_lo
	v_cmpx_gt_i32_e64 s2, v15
	s_cbranch_execz .LBB164_6
; %bb.5:
	v_add_nc_u32_e32 v10, s1, v15
	v_add_nc_u32_e32 v15, 0x100, v15
	s_clause 0x2
	global_load_u16 v7, v10, s[6:7] scale_offset
	global_load_u16 v11, v10, s[8:9] scale_offset
	;; [unrolled: 1-line block ×3, first 2 shown]
.LBB164_6:
	s_wait_xcnt 0x0
	s_or_b32 exec_lo, exec_lo, s3
	v_dual_mov_b32 v10, 0 :: v_dual_mov_b32 v13, 0
	s_mov_b32 s3, exec_lo
	v_cmpx_gt_i32_e64 s2, v15
	s_cbranch_execz .LBB164_8
; %bb.7:
	v_add_nc_u32_e32 v15, s1, v15
	s_clause 0x2
	global_load_u16 v4, v15, s[6:7] scale_offset
	global_load_u16 v10, v15, s[8:9] scale_offset
	global_load_u16 v13, v15, s[10:11] scale_offset
	s_wait_xcnt 0x0
	s_or_b32 exec_lo, exec_lo, s3
                                        ; implicit-def: $vgpr15
	s_and_saveexec_b32 s3, vcc_lo
	s_cbranch_execz .LBB164_10
	s_branch .LBB164_9
.LBB164_8:
	s_or_b32 exec_lo, exec_lo, s3
                                        ; implicit-def: $vgpr15
	s_and_saveexec_b32 s3, vcc_lo
	s_cbranch_execz .LBB164_10
.LBB164_9:
	s_wait_loadcnt 0x1
	v_dual_lshlrev_b32 v15, 16, v5 :: v_dual_lshlrev_b32 v16, 16, v6
	s_wait_loadcnt 0x0
	v_lshlrev_b32_e32 v18, 16, v8
	s_delay_alu instid0(VALU_DEP_2) | instskip(NEXT) | instid1(VALU_DEP_1)
	v_cmp_gt_f32_e64 s0, v15, v16
	v_cndmask_b32_e64 v17, v6, v5, s0
	s_delay_alu instid0(VALU_DEP_1) | instskip(NEXT) | instid1(VALU_DEP_1)
	v_lshlrev_b32_e32 v19, 16, v17
	v_cmp_lt_f32_e64 s0, v19, v18
	s_delay_alu instid0(VALU_DEP_1) | instskip(SKIP_1) | instid1(VALU_DEP_1)
	v_cndmask_b32_e64 v17, v8, v17, s0
	v_cmp_u_f32_e64 s0, v18, v18
	v_cndmask_b32_e64 v8, v17, v8, s0
	v_cmp_u_f32_e64 s0, v16, v16
	s_delay_alu instid0(VALU_DEP_1) | instskip(SKIP_1) | instid1(VALU_DEP_1)
	v_cndmask_b32_e64 v6, v8, v6, s0
	v_cmp_u_f32_e64 s0, v15, v15
	v_cndmask_b32_e64 v15, v6, v5, s0
.LBB164_10:
	s_or_b32 exec_lo, exec_lo, s3
	s_delay_alu instid0(SALU_CYCLE_1)
	s_mov_b32 s3, exec_lo
                                        ; implicit-def: $vgpr5
	v_cmpx_gt_i32_e64 s2, v1
	s_cbranch_execz .LBB164_12
; %bb.11:
	s_wait_loadcnt 0x1
	v_dual_lshlrev_b32 v5, 16, v3 :: v_dual_lshlrev_b32 v6, 16, v9
	s_wait_loadcnt 0x0
	v_lshlrev_b32_e32 v16, 16, v12
	s_delay_alu instid0(VALU_DEP_2) | instskip(NEXT) | instid1(VALU_DEP_1)
	v_cmp_gt_f32_e64 s0, v5, v6
	v_cndmask_b32_e64 v8, v9, v3, s0
	s_delay_alu instid0(VALU_DEP_1) | instskip(NEXT) | instid1(VALU_DEP_1)
	v_lshlrev_b32_e32 v17, 16, v8
	v_cmp_lt_f32_e64 s0, v17, v16
	s_delay_alu instid0(VALU_DEP_1) | instskip(SKIP_1) | instid1(VALU_DEP_1)
	v_cndmask_b32_e64 v8, v12, v8, s0
	v_cmp_u_f32_e64 s0, v16, v16
	v_cndmask_b32_e64 v8, v8, v12, s0
	v_cmp_u_f32_e64 s0, v6, v6
	s_delay_alu instid0(VALU_DEP_1) | instskip(SKIP_1) | instid1(VALU_DEP_1)
	v_cndmask_b32_e64 v6, v8, v9, s0
	v_cmp_u_f32_e64 s0, v5, v5
	v_cndmask_b32_e64 v5, v6, v3, s0
.LBB164_12:
	s_or_b32 exec_lo, exec_lo, s3
	s_wait_loadcnt 0x2
	v_or_b32_e32 v3, 0x200, v0
	s_delay_alu instid0(VALU_DEP_1)
	v_cmp_gt_i32_e64 s0, s2, v3
                                        ; implicit-def: $vgpr3
	s_and_saveexec_b32 s3, s0
	s_cbranch_execz .LBB164_14
; %bb.13:
	v_lshlrev_b32_e32 v3, 16, v7
	s_wait_loadcnt 0x0
	v_dual_lshlrev_b32 v6, 16, v11 :: v_dual_lshlrev_b32 v9, 16, v14
	s_delay_alu instid0(VALU_DEP_1) | instskip(NEXT) | instid1(VALU_DEP_1)
	v_cmp_gt_f32_e64 s0, v3, v6
	v_cndmask_b32_e64 v8, v11, v7, s0
	s_delay_alu instid0(VALU_DEP_1) | instskip(NEXT) | instid1(VALU_DEP_1)
	v_lshlrev_b32_e32 v12, 16, v8
	v_cmp_lt_f32_e64 s0, v12, v9
	s_delay_alu instid0(VALU_DEP_1) | instskip(SKIP_1) | instid1(VALU_DEP_1)
	v_cndmask_b32_e64 v8, v14, v8, s0
	v_cmp_u_f32_e64 s0, v9, v9
	v_cndmask_b32_e64 v8, v8, v14, s0
	v_cmp_u_f32_e64 s0, v6, v6
	s_delay_alu instid0(VALU_DEP_1) | instskip(SKIP_1) | instid1(VALU_DEP_1)
	v_cndmask_b32_e64 v6, v8, v11, s0
	v_cmp_u_f32_e64 s0, v3, v3
	v_cndmask_b32_e64 v3, v6, v7, s0
.LBB164_14:
	s_or_b32 exec_lo, exec_lo, s3
	s_wait_loadcnt 0x1
	v_or_b32_e32 v6, 0x300, v0
	s_delay_alu instid0(VALU_DEP_1)
	v_cmp_gt_i32_e64 s0, s2, v6
                                        ; implicit-def: $vgpr6
	s_and_saveexec_b32 s3, s0
	s_cbranch_execz .LBB164_20
; %bb.15:
	v_dual_lshlrev_b32 v6, 16, v4 :: v_dual_lshlrev_b32 v7, 16, v10
	s_wait_loadcnt 0x0
	v_lshlrev_b32_e32 v9, 16, v13
	s_delay_alu instid0(VALU_DEP_2) | instskip(NEXT) | instid1(VALU_DEP_1)
	v_cmp_gt_f32_e64 s0, v6, v7
	v_cndmask_b32_e64 v8, v10, v4, s0
	s_delay_alu instid0(VALU_DEP_1) | instskip(NEXT) | instid1(VALU_DEP_1)
	v_lshlrev_b32_e32 v11, 16, v8
	v_cmp_lt_f32_e64 s0, v11, v9
	s_delay_alu instid0(VALU_DEP_1) | instskip(SKIP_1) | instid1(VALU_DEP_1)
	v_cndmask_b32_e64 v8, v13, v8, s0
	v_cmp_u_f32_e64 s0, v9, v9
	v_cndmask_b32_e64 v8, v8, v13, s0
	v_cmp_u_f32_e64 s0, v7, v7
	s_delay_alu instid0(VALU_DEP_1) | instskip(SKIP_1) | instid1(VALU_DEP_1)
	v_cndmask_b32_e64 v7, v8, v10, s0
	v_cmp_u_f32_e64 s0, v6, v6
	v_cndmask_b32_e64 v6, v7, v4, s0
	s_or_b32 exec_lo, exec_lo, s3
	s_and_saveexec_b32 s0, vcc_lo
	s_delay_alu instid0(SALU_CYCLE_1)
	s_xor_b32 s0, exec_lo, s0
	s_cbranch_execnz .LBB164_21
.LBB164_16:
	s_or_b32 exec_lo, exec_lo, s0
	s_delay_alu instid0(SALU_CYCLE_1)
	s_mov_b32 s0, exec_lo
	v_cmpx_gt_i32_e64 s2, v0
	s_cbranch_execz .LBB164_22
.LBB164_17:
	v_add_nc_u32_e32 v1, 0x100, v0
	s_delay_alu instid0(VALU_DEP_1) | instskip(SKIP_3) | instid1(SALU_CYCLE_1)
	v_dual_add_nc_u32 v2, s1, v0 :: v_dual_mov_b32 v0, v1
	global_store_b16 v2, v5, s[4:5] scale_offset
	s_wait_xcnt 0x0
	s_or_b32 exec_lo, exec_lo, s0
	s_mov_b32 s0, exec_lo
	v_cmpx_gt_i32_e64 s2, v0
	s_cbranch_execnz .LBB164_23
.LBB164_18:
	s_or_b32 exec_lo, exec_lo, s0
	s_delay_alu instid0(SALU_CYCLE_1)
	s_mov_b32 s0, exec_lo
	v_cmpx_gt_i32_e64 s2, v0
	s_cbranch_execz .LBB164_24
.LBB164_19:
	v_add_nc_u32_e32 v0, s1, v0
	global_store_b16 v0, v6, s[4:5] scale_offset
	s_endpgm
.LBB164_20:
	s_or_b32 exec_lo, exec_lo, s3
	s_and_saveexec_b32 s0, vcc_lo
	s_delay_alu instid0(SALU_CYCLE_1)
	s_xor_b32 s0, exec_lo, s0
	s_cbranch_execz .LBB164_16
.LBB164_21:
	v_mov_b32_e32 v0, v1
	global_store_b16 v2, v15, s[4:5] scale_offset
	s_wait_xcnt 0x0
	s_or_b32 exec_lo, exec_lo, s0
	s_delay_alu instid0(SALU_CYCLE_1)
	s_mov_b32 s0, exec_lo
	v_cmpx_gt_i32_e64 s2, v0
	s_cbranch_execnz .LBB164_17
.LBB164_22:
	s_or_b32 exec_lo, exec_lo, s0
	s_delay_alu instid0(SALU_CYCLE_1)
	s_mov_b32 s0, exec_lo
	v_cmpx_gt_i32_e64 s2, v0
	s_cbranch_execz .LBB164_18
.LBB164_23:
	v_add_nc_u32_e32 v1, 0x100, v0
	s_delay_alu instid0(VALU_DEP_1) | instskip(SKIP_3) | instid1(SALU_CYCLE_1)
	v_dual_add_nc_u32 v2, s1, v0 :: v_dual_mov_b32 v0, v1
	global_store_b16 v2, v3, s[4:5] scale_offset
	s_wait_xcnt 0x0
	s_or_b32 exec_lo, exec_lo, s0
	s_mov_b32 s0, exec_lo
	v_cmpx_gt_i32_e64 s2, v0
	s_cbranch_execnz .LBB164_19
.LBB164_24:
	s_endpgm
	.section	.rodata,"a",@progbits
	.p2align	6, 0x0
	.amdhsa_kernel _ZN2at6native27unrolled_elementwise_kernelIZZZNS0_12_GLOBAL__N_117clamp_kernel_implERNS_18TensorIteratorBaseEENKUlvE_clEvENKUlvE7_clEvEUlN3c108BFloat16ES8_S8_E_St5arrayIPcLm4EELi4E23TrivialOffsetCalculatorILi3EjESD_ILi1EjENS0_6memory15LoadWithoutCastENSG_16StoreWithoutCastEEEviT_T0_T2_T3_T4_T5_
		.amdhsa_group_segment_fixed_size 0
		.amdhsa_private_segment_fixed_size 0
		.amdhsa_kernarg_size 44
		.amdhsa_user_sgpr_count 2
		.amdhsa_user_sgpr_dispatch_ptr 0
		.amdhsa_user_sgpr_queue_ptr 0
		.amdhsa_user_sgpr_kernarg_segment_ptr 1
		.amdhsa_user_sgpr_dispatch_id 0
		.amdhsa_user_sgpr_kernarg_preload_length 0
		.amdhsa_user_sgpr_kernarg_preload_offset 0
		.amdhsa_user_sgpr_private_segment_size 0
		.amdhsa_wavefront_size32 1
		.amdhsa_uses_dynamic_stack 0
		.amdhsa_enable_private_segment 0
		.amdhsa_system_sgpr_workgroup_id_x 1
		.amdhsa_system_sgpr_workgroup_id_y 0
		.amdhsa_system_sgpr_workgroup_id_z 0
		.amdhsa_system_sgpr_workgroup_info 0
		.amdhsa_system_vgpr_workitem_id 0
		.amdhsa_next_free_vgpr 20
		.amdhsa_next_free_sgpr 14
		.amdhsa_named_barrier_count 0
		.amdhsa_reserve_vcc 1
		.amdhsa_float_round_mode_32 0
		.amdhsa_float_round_mode_16_64 0
		.amdhsa_float_denorm_mode_32 3
		.amdhsa_float_denorm_mode_16_64 3
		.amdhsa_fp16_overflow 0
		.amdhsa_memory_ordered 1
		.amdhsa_forward_progress 1
		.amdhsa_inst_pref_size 11
		.amdhsa_round_robin_scheduling 0
		.amdhsa_exception_fp_ieee_invalid_op 0
		.amdhsa_exception_fp_denorm_src 0
		.amdhsa_exception_fp_ieee_div_zero 0
		.amdhsa_exception_fp_ieee_overflow 0
		.amdhsa_exception_fp_ieee_underflow 0
		.amdhsa_exception_fp_ieee_inexact 0
		.amdhsa_exception_int_div_zero 0
	.end_amdhsa_kernel
	.section	.text._ZN2at6native27unrolled_elementwise_kernelIZZZNS0_12_GLOBAL__N_117clamp_kernel_implERNS_18TensorIteratorBaseEENKUlvE_clEvENKUlvE7_clEvEUlN3c108BFloat16ES8_S8_E_St5arrayIPcLm4EELi4E23TrivialOffsetCalculatorILi3EjESD_ILi1EjENS0_6memory15LoadWithoutCastENSG_16StoreWithoutCastEEEviT_T0_T2_T3_T4_T5_,"axG",@progbits,_ZN2at6native27unrolled_elementwise_kernelIZZZNS0_12_GLOBAL__N_117clamp_kernel_implERNS_18TensorIteratorBaseEENKUlvE_clEvENKUlvE7_clEvEUlN3c108BFloat16ES8_S8_E_St5arrayIPcLm4EELi4E23TrivialOffsetCalculatorILi3EjESD_ILi1EjENS0_6memory15LoadWithoutCastENSG_16StoreWithoutCastEEEviT_T0_T2_T3_T4_T5_,comdat
.Lfunc_end164:
	.size	_ZN2at6native27unrolled_elementwise_kernelIZZZNS0_12_GLOBAL__N_117clamp_kernel_implERNS_18TensorIteratorBaseEENKUlvE_clEvENKUlvE7_clEvEUlN3c108BFloat16ES8_S8_E_St5arrayIPcLm4EELi4E23TrivialOffsetCalculatorILi3EjESD_ILi1EjENS0_6memory15LoadWithoutCastENSG_16StoreWithoutCastEEEviT_T0_T2_T3_T4_T5_, .Lfunc_end164-_ZN2at6native27unrolled_elementwise_kernelIZZZNS0_12_GLOBAL__N_117clamp_kernel_implERNS_18TensorIteratorBaseEENKUlvE_clEvENKUlvE7_clEvEUlN3c108BFloat16ES8_S8_E_St5arrayIPcLm4EELi4E23TrivialOffsetCalculatorILi3EjESD_ILi1EjENS0_6memory15LoadWithoutCastENSG_16StoreWithoutCastEEEviT_T0_T2_T3_T4_T5_
                                        ; -- End function
	.set _ZN2at6native27unrolled_elementwise_kernelIZZZNS0_12_GLOBAL__N_117clamp_kernel_implERNS_18TensorIteratorBaseEENKUlvE_clEvENKUlvE7_clEvEUlN3c108BFloat16ES8_S8_E_St5arrayIPcLm4EELi4E23TrivialOffsetCalculatorILi3EjESD_ILi1EjENS0_6memory15LoadWithoutCastENSG_16StoreWithoutCastEEEviT_T0_T2_T3_T4_T5_.num_vgpr, 20
	.set _ZN2at6native27unrolled_elementwise_kernelIZZZNS0_12_GLOBAL__N_117clamp_kernel_implERNS_18TensorIteratorBaseEENKUlvE_clEvENKUlvE7_clEvEUlN3c108BFloat16ES8_S8_E_St5arrayIPcLm4EELi4E23TrivialOffsetCalculatorILi3EjESD_ILi1EjENS0_6memory15LoadWithoutCastENSG_16StoreWithoutCastEEEviT_T0_T2_T3_T4_T5_.num_agpr, 0
	.set _ZN2at6native27unrolled_elementwise_kernelIZZZNS0_12_GLOBAL__N_117clamp_kernel_implERNS_18TensorIteratorBaseEENKUlvE_clEvENKUlvE7_clEvEUlN3c108BFloat16ES8_S8_E_St5arrayIPcLm4EELi4E23TrivialOffsetCalculatorILi3EjESD_ILi1EjENS0_6memory15LoadWithoutCastENSG_16StoreWithoutCastEEEviT_T0_T2_T3_T4_T5_.numbered_sgpr, 14
	.set _ZN2at6native27unrolled_elementwise_kernelIZZZNS0_12_GLOBAL__N_117clamp_kernel_implERNS_18TensorIteratorBaseEENKUlvE_clEvENKUlvE7_clEvEUlN3c108BFloat16ES8_S8_E_St5arrayIPcLm4EELi4E23TrivialOffsetCalculatorILi3EjESD_ILi1EjENS0_6memory15LoadWithoutCastENSG_16StoreWithoutCastEEEviT_T0_T2_T3_T4_T5_.num_named_barrier, 0
	.set _ZN2at6native27unrolled_elementwise_kernelIZZZNS0_12_GLOBAL__N_117clamp_kernel_implERNS_18TensorIteratorBaseEENKUlvE_clEvENKUlvE7_clEvEUlN3c108BFloat16ES8_S8_E_St5arrayIPcLm4EELi4E23TrivialOffsetCalculatorILi3EjESD_ILi1EjENS0_6memory15LoadWithoutCastENSG_16StoreWithoutCastEEEviT_T0_T2_T3_T4_T5_.private_seg_size, 0
	.set _ZN2at6native27unrolled_elementwise_kernelIZZZNS0_12_GLOBAL__N_117clamp_kernel_implERNS_18TensorIteratorBaseEENKUlvE_clEvENKUlvE7_clEvEUlN3c108BFloat16ES8_S8_E_St5arrayIPcLm4EELi4E23TrivialOffsetCalculatorILi3EjESD_ILi1EjENS0_6memory15LoadWithoutCastENSG_16StoreWithoutCastEEEviT_T0_T2_T3_T4_T5_.uses_vcc, 1
	.set _ZN2at6native27unrolled_elementwise_kernelIZZZNS0_12_GLOBAL__N_117clamp_kernel_implERNS_18TensorIteratorBaseEENKUlvE_clEvENKUlvE7_clEvEUlN3c108BFloat16ES8_S8_E_St5arrayIPcLm4EELi4E23TrivialOffsetCalculatorILi3EjESD_ILi1EjENS0_6memory15LoadWithoutCastENSG_16StoreWithoutCastEEEviT_T0_T2_T3_T4_T5_.uses_flat_scratch, 0
	.set _ZN2at6native27unrolled_elementwise_kernelIZZZNS0_12_GLOBAL__N_117clamp_kernel_implERNS_18TensorIteratorBaseEENKUlvE_clEvENKUlvE7_clEvEUlN3c108BFloat16ES8_S8_E_St5arrayIPcLm4EELi4E23TrivialOffsetCalculatorILi3EjESD_ILi1EjENS0_6memory15LoadWithoutCastENSG_16StoreWithoutCastEEEviT_T0_T2_T3_T4_T5_.has_dyn_sized_stack, 0
	.set _ZN2at6native27unrolled_elementwise_kernelIZZZNS0_12_GLOBAL__N_117clamp_kernel_implERNS_18TensorIteratorBaseEENKUlvE_clEvENKUlvE7_clEvEUlN3c108BFloat16ES8_S8_E_St5arrayIPcLm4EELi4E23TrivialOffsetCalculatorILi3EjESD_ILi1EjENS0_6memory15LoadWithoutCastENSG_16StoreWithoutCastEEEviT_T0_T2_T3_T4_T5_.has_recursion, 0
	.set _ZN2at6native27unrolled_elementwise_kernelIZZZNS0_12_GLOBAL__N_117clamp_kernel_implERNS_18TensorIteratorBaseEENKUlvE_clEvENKUlvE7_clEvEUlN3c108BFloat16ES8_S8_E_St5arrayIPcLm4EELi4E23TrivialOffsetCalculatorILi3EjESD_ILi1EjENS0_6memory15LoadWithoutCastENSG_16StoreWithoutCastEEEviT_T0_T2_T3_T4_T5_.has_indirect_call, 0
	.section	.AMDGPU.csdata,"",@progbits
; Kernel info:
; codeLenInByte = 1344
; TotalNumSgprs: 16
; NumVgprs: 20
; ScratchSize: 0
; MemoryBound: 0
; FloatMode: 240
; IeeeMode: 1
; LDSByteSize: 0 bytes/workgroup (compile time only)
; SGPRBlocks: 0
; VGPRBlocks: 1
; NumSGPRsForWavesPerEU: 16
; NumVGPRsForWavesPerEU: 20
; NamedBarCnt: 0
; Occupancy: 16
; WaveLimiterHint : 0
; COMPUTE_PGM_RSRC2:SCRATCH_EN: 0
; COMPUTE_PGM_RSRC2:USER_SGPR: 2
; COMPUTE_PGM_RSRC2:TRAP_HANDLER: 0
; COMPUTE_PGM_RSRC2:TGID_X_EN: 1
; COMPUTE_PGM_RSRC2:TGID_Y_EN: 0
; COMPUTE_PGM_RSRC2:TGID_Z_EN: 0
; COMPUTE_PGM_RSRC2:TIDIG_COMP_CNT: 0
	.section	.text._ZN2at6native32elementwise_kernel_manual_unrollILi128ELi8EZNS0_22gpu_kernel_impl_nocastIZZZNS0_12_GLOBAL__N_117clamp_kernel_implERNS_18TensorIteratorBaseEENKUlvE_clEvENKUlvE7_clEvEUlN3c108BFloat16ES9_S9_E_EEvS5_RKT_EUlibE_EEviT1_,"axG",@progbits,_ZN2at6native32elementwise_kernel_manual_unrollILi128ELi8EZNS0_22gpu_kernel_impl_nocastIZZZNS0_12_GLOBAL__N_117clamp_kernel_implERNS_18TensorIteratorBaseEENKUlvE_clEvENKUlvE7_clEvEUlN3c108BFloat16ES9_S9_E_EEvS5_RKT_EUlibE_EEviT1_,comdat
	.globl	_ZN2at6native32elementwise_kernel_manual_unrollILi128ELi8EZNS0_22gpu_kernel_impl_nocastIZZZNS0_12_GLOBAL__N_117clamp_kernel_implERNS_18TensorIteratorBaseEENKUlvE_clEvENKUlvE7_clEvEUlN3c108BFloat16ES9_S9_E_EEvS5_RKT_EUlibE_EEviT1_ ; -- Begin function _ZN2at6native32elementwise_kernel_manual_unrollILi128ELi8EZNS0_22gpu_kernel_impl_nocastIZZZNS0_12_GLOBAL__N_117clamp_kernel_implERNS_18TensorIteratorBaseEENKUlvE_clEvENKUlvE7_clEvEUlN3c108BFloat16ES9_S9_E_EEvS5_RKT_EUlibE_EEviT1_
	.p2align	8
	.type	_ZN2at6native32elementwise_kernel_manual_unrollILi128ELi8EZNS0_22gpu_kernel_impl_nocastIZZZNS0_12_GLOBAL__N_117clamp_kernel_implERNS_18TensorIteratorBaseEENKUlvE_clEvENKUlvE7_clEvEUlN3c108BFloat16ES9_S9_E_EEvS5_RKT_EUlibE_EEviT1_,@function
_ZN2at6native32elementwise_kernel_manual_unrollILi128ELi8EZNS0_22gpu_kernel_impl_nocastIZZZNS0_12_GLOBAL__N_117clamp_kernel_implERNS_18TensorIteratorBaseEENKUlvE_clEvENKUlvE7_clEvEUlN3c108BFloat16ES9_S9_E_EEvS5_RKT_EUlibE_EEviT1_: ; @_ZN2at6native32elementwise_kernel_manual_unrollILi128ELi8EZNS0_22gpu_kernel_impl_nocastIZZZNS0_12_GLOBAL__N_117clamp_kernel_implERNS_18TensorIteratorBaseEENKUlvE_clEvENKUlvE7_clEvEUlN3c108BFloat16ES9_S9_E_EEvS5_RKT_EUlibE_EEviT1_
; %bb.0:
	s_clause 0x1
	s_load_b32 s33, s[0:1], 0x8
	s_load_b32 s39, s[0:1], 0x0
	s_bfe_u32 s2, ttmp6, 0x4000c
	s_and_b32 s3, ttmp6, 15
	s_add_co_i32 s2, s2, 1
	s_getreg_b32 s4, hwreg(HW_REG_IB_STS2, 6, 4)
	s_mul_i32 s2, ttmp9, s2
	s_add_nc_u64 s[20:21], s[0:1], 8
	s_add_co_i32 s3, s3, s2
	s_cmp_eq_u32 s4, 0
	s_mov_b32 s25, 0
	s_cselect_b32 s2, ttmp9, s3
	s_wait_xcnt 0x0
	s_mov_b32 s0, exec_lo
	v_lshl_or_b32 v0, s2, 10, v0
	s_delay_alu instid0(VALU_DEP_1) | instskip(SKIP_2) | instid1(SALU_CYCLE_1)
	v_or_b32_e32 v6, 0x380, v0
	s_wait_kmcnt 0x0
	s_add_co_i32 s34, s33, -1
	s_cmp_gt_u32 s34, 1
	s_cselect_b32 s35, -1, 0
	v_cmpx_le_i32_e64 s39, v6
	s_xor_b32 s36, exec_lo, s0
	s_cbranch_execz .LBB165_106
; %bb.1:
	s_clause 0x3
	s_load_b128 s[16:19], s[20:21], 0x4
	s_load_b64 s[22:23], s[20:21], 0x14
	s_load_b256 s[8:15], s[20:21], 0xc4
	s_load_b256 s[0:7], s[20:21], 0x1c8
	s_cmp_lg_u32 s33, 0
	s_mov_b32 s27, s25
	s_cselect_b32 s40, -1, 0
	s_min_u32 s38, s34, 15
	s_cmp_gt_u32 s33, 1
	s_cselect_b32 s37, -1, 0
	s_wait_kmcnt 0x0
	s_mov_b32 s24, s17
	s_mov_b32 s26, s22
	s_mov_b32 s17, exec_lo
	v_cmpx_gt_i32_e64 s39, v0
	s_cbranch_execnz .LBB165_9
; %bb.2:
	s_or_b32 exec_lo, exec_lo, s17
	s_delay_alu instid0(SALU_CYCLE_1)
	s_mov_b32 s17, exec_lo
	v_cmpx_gt_i32_e64 s39, v0
	s_cbranch_execnz .LBB165_21
.LBB165_3:
	s_or_b32 exec_lo, exec_lo, s17
	s_delay_alu instid0(SALU_CYCLE_1)
	s_mov_b32 s17, exec_lo
	v_cmpx_gt_i32_e64 s39, v0
	s_cbranch_execnz .LBB165_33
.LBB165_4:
	s_or_b32 exec_lo, exec_lo, s17
	s_delay_alu instid0(SALU_CYCLE_1)
	s_mov_b32 s17, exec_lo
	v_cmpx_gt_i32_e64 s39, v0
	s_cbranch_execnz .LBB165_45
.LBB165_5:
	s_or_b32 exec_lo, exec_lo, s17
	s_delay_alu instid0(SALU_CYCLE_1)
	s_mov_b32 s17, exec_lo
	v_cmpx_gt_i32_e64 s39, v0
	s_cbranch_execnz .LBB165_57
.LBB165_6:
	s_or_b32 exec_lo, exec_lo, s17
	s_delay_alu instid0(SALU_CYCLE_1)
	s_mov_b32 s17, exec_lo
	v_cmpx_gt_i32_e64 s39, v0
	s_cbranch_execnz .LBB165_69
.LBB165_7:
	s_or_b32 exec_lo, exec_lo, s17
	s_delay_alu instid0(SALU_CYCLE_1)
	s_mov_b32 s17, exec_lo
	v_cmpx_gt_i32_e64 s39, v0
	s_cbranch_execnz .LBB165_81
.LBB165_8:
	s_or_b32 exec_lo, exec_lo, s17
	s_delay_alu instid0(SALU_CYCLE_1)
	s_mov_b32 s17, exec_lo
	v_cmpx_gt_i32_e64 s39, v0
	s_cbranch_execnz .LBB165_93
	s_branch .LBB165_105
.LBB165_9:
	s_and_not1_b32 vcc_lo, exec_lo, s35
	s_cbranch_vccnz .LBB165_15
; %bb.10:
	s_and_not1_b32 vcc_lo, exec_lo, s40
	s_cbranch_vccnz .LBB165_16
; %bb.11:
	v_dual_mov_b32 v5, 0 :: v_dual_mov_b32 v1, v0
	v_dual_mov_b32 v7, 0 :: v_dual_mov_b32 v4, 0
	v_mov_b32_e32 v6, 0
	s_add_co_i32 s22, s38, 1
	s_mov_b64 s[28:29], 0xffffffffffffffe0
	s_and_b32 s22, s22, 30
	s_add_nc_u64 s[28:29], s[20:21], s[28:29]
	s_mov_b64 s[30:31], s[20:21]
.LBB165_12:                             ; =>This Inner Loop Header: Depth=1
	s_clause 0x1
	s_load_b128 s[52:55], s[30:31], 0x4
	s_load_b64 s[42:43], s[30:31], 0x14
	s_load_b256 s[44:51], s[28:29], 0xe4
	s_add_co_i32 s22, s22, -2
	s_wait_xcnt 0x0
	s_add_nc_u64 s[30:31], s[30:31], 24
	s_cmp_lg_u32 s22, 0
	s_add_nc_u64 s[28:29], s[28:29], 32
	s_wait_kmcnt 0x0
	v_mul_hi_u32 v2, s53, v1
	s_delay_alu instid0(VALU_DEP_1) | instskip(NEXT) | instid1(VALU_DEP_1)
	v_add_nc_u32_e32 v2, v1, v2
	v_lshrrev_b32_e32 v2, s54, v2
	s_delay_alu instid0(VALU_DEP_1) | instskip(SKIP_1) | instid1(VALU_DEP_1)
	v_mul_hi_u32 v3, s42, v2
	v_mul_lo_u32 v8, v2, s52
	v_dual_add_nc_u32 v3, v2, v3 :: v_dual_sub_nc_u32 v8, v1, v8
	s_delay_alu instid0(VALU_DEP_1) | instskip(NEXT) | instid1(VALU_DEP_2)
	v_lshrrev_b32_e32 v1, s43, v3
	v_mad_u32 v6, v8, s45, v6
	v_mad_u32 v4, v8, s44, v4
	;; [unrolled: 1-line block ×4, first 2 shown]
	v_mul_lo_u32 v3, v1, s55
	s_delay_alu instid0(VALU_DEP_1) | instskip(NEXT) | instid1(VALU_DEP_1)
	v_sub_nc_u32_e32 v2, v2, v3
	v_mad_u32 v6, v2, s49, v6
	v_mad_u32 v4, v2, s48, v4
	;; [unrolled: 1-line block ×4, first 2 shown]
	s_cbranch_scc1 .LBB165_12
; %bb.13:
	s_bitcmp1_b32 s38, 0
	s_cselect_b32 s22, -1, 0
	s_delay_alu instid0(SALU_CYCLE_1)
	s_and_b32 vcc_lo, exec_lo, s22
	s_cbranch_vccnz .LBB165_17
; %bb.14:
	s_load_b96 s[48:50], s[30:31], 0x4
	s_load_b128 s[44:47], s[28:29], 0xe4
	s_wait_kmcnt 0x0
	v_mul_hi_u32 v2, s49, v1
	s_delay_alu instid0(VALU_DEP_1) | instskip(NEXT) | instid1(VALU_DEP_1)
	v_add_nc_u32_e32 v2, v1, v2
	v_lshrrev_b32_e32 v2, s50, v2
	s_delay_alu instid0(VALU_DEP_1) | instskip(NEXT) | instid1(VALU_DEP_1)
	v_mul_lo_u32 v2, v2, s48
	v_sub_nc_u32_e32 v1, v1, v2
	s_delay_alu instid0(VALU_DEP_1)
	v_mad_u32 v4, v1, s44, v4
	v_mad_u32 v6, v1, s45, v6
	;; [unrolled: 1-line block ×4, first 2 shown]
	s_cbranch_execz .LBB165_18
	s_branch .LBB165_20
.LBB165_15:
                                        ; implicit-def: $vgpr6
                                        ; implicit-def: $vgpr4
                                        ; implicit-def: $vgpr7
                                        ; implicit-def: $vgpr5
	s_branch .LBB165_18
.LBB165_16:
	v_dual_mov_b32 v6, 0 :: v_dual_mov_b32 v4, 0
	v_dual_mov_b32 v7, 0 :: v_dual_mov_b32 v5, 0
.LBB165_17:
	s_cbranch_execnz .LBB165_20
.LBB165_18:
	v_mov_b32_e32 v1, 0
	s_and_not1_b32 vcc_lo, exec_lo, s37
	s_delay_alu instid0(VALU_DEP_1) | instskip(NEXT) | instid1(VALU_DEP_1)
	v_mul_u64_e32 v[2:3], s[24:25], v[0:1]
	v_add_nc_u32_e32 v2, v0, v3
	s_delay_alu instid0(VALU_DEP_1) | instskip(NEXT) | instid1(VALU_DEP_1)
	v_lshrrev_b32_e32 v2, s18, v2
	v_mul_lo_u32 v3, v2, s16
	s_delay_alu instid0(VALU_DEP_1) | instskip(NEXT) | instid1(VALU_DEP_1)
	v_sub_nc_u32_e32 v3, v0, v3
	v_mul_lo_u32 v6, v3, s9
	v_mul_lo_u32 v4, v3, s8
	;; [unrolled: 1-line block ×4, first 2 shown]
	s_cbranch_vccnz .LBB165_20
; %bb.19:
	v_mov_b32_e32 v3, v1
	s_delay_alu instid0(VALU_DEP_1) | instskip(NEXT) | instid1(VALU_DEP_1)
	v_mul_u64_e32 v[8:9], s[26:27], v[2:3]
	v_add_nc_u32_e32 v1, v2, v9
	s_delay_alu instid0(VALU_DEP_1) | instskip(NEXT) | instid1(VALU_DEP_1)
	v_lshrrev_b32_e32 v1, s23, v1
	v_mul_lo_u32 v1, v1, s19
	s_delay_alu instid0(VALU_DEP_1) | instskip(NEXT) | instid1(VALU_DEP_1)
	v_sub_nc_u32_e32 v1, v2, v1
	v_mad_u32 v4, v1, s12, v4
	v_mad_u32 v6, v1, s13, v6
	;; [unrolled: 1-line block ×4, first 2 shown]
.LBB165_20:
	global_load_u16 v1, v5, s[4:5]
	global_load_u16 v2, v6, s[2:3]
	;; [unrolled: 1-line block ×3, first 2 shown]
	v_add_nc_u32_e32 v0, 0x80, v0
	s_wait_loadcnt 0x1
	s_wait_xcnt 0x1
	v_dual_lshlrev_b32 v5, 16, v1 :: v_dual_lshlrev_b32 v6, 16, v2
	s_wait_loadcnt 0x0
	v_lshlrev_b32_e32 v8, 16, v3
	s_delay_alu instid0(VALU_DEP_2) | instskip(SKIP_1) | instid1(VALU_DEP_1)
	v_cmp_gt_f32_e32 vcc_lo, v6, v5
	v_cndmask_b32_e32 v7, v1, v2, vcc_lo
	v_lshlrev_b32_e32 v9, 16, v7
	s_delay_alu instid0(VALU_DEP_1) | instskip(SKIP_2) | instid1(VALU_DEP_2)
	v_cmp_lt_f32_e32 vcc_lo, v9, v8
	v_cndmask_b32_e32 v7, v3, v7, vcc_lo
	v_cmp_u_f32_e32 vcc_lo, v8, v8
	v_cndmask_b32_e32 v3, v7, v3, vcc_lo
	v_cmp_u_f32_e32 vcc_lo, v5, v5
	s_delay_alu instid0(VALU_DEP_2) | instskip(SKIP_1) | instid1(VALU_DEP_2)
	v_cndmask_b32_e32 v1, v3, v1, vcc_lo
	v_cmp_u_f32_e32 vcc_lo, v6, v6
	v_cndmask_b32_e32 v1, v1, v2, vcc_lo
	global_store_b16 v4, v1, s[0:1]
	s_wait_xcnt 0x0
	s_or_b32 exec_lo, exec_lo, s17
	s_delay_alu instid0(SALU_CYCLE_1)
	s_mov_b32 s17, exec_lo
	v_cmpx_gt_i32_e64 s39, v0
	s_cbranch_execz .LBB165_3
.LBB165_21:
	s_and_not1_b32 vcc_lo, exec_lo, s35
	s_cbranch_vccnz .LBB165_27
; %bb.22:
	s_and_not1_b32 vcc_lo, exec_lo, s40
	s_cbranch_vccnz .LBB165_28
; %bb.23:
	v_dual_mov_b32 v6, 0 :: v_dual_mov_b32 v1, v0
	v_dual_mov_b32 v7, 0 :: v_dual_mov_b32 v4, 0
	v_mov_b32_e32 v5, 0
	s_add_co_i32 s22, s38, 1
	s_mov_b64 s[28:29], 0xffffffffffffffe0
	s_and_b32 s22, s22, 30
	s_add_nc_u64 s[28:29], s[20:21], s[28:29]
	s_mov_b64 s[30:31], s[20:21]
.LBB165_24:                             ; =>This Inner Loop Header: Depth=1
	s_clause 0x1
	s_load_b128 s[52:55], s[30:31], 0x4
	s_load_b64 s[42:43], s[30:31], 0x14
	s_load_b256 s[44:51], s[28:29], 0xe4
	s_add_co_i32 s22, s22, -2
	s_wait_xcnt 0x0
	s_add_nc_u64 s[30:31], s[30:31], 24
	s_cmp_eq_u32 s22, 0
	s_add_nc_u64 s[28:29], s[28:29], 32
	s_wait_kmcnt 0x0
	v_mul_hi_u32 v2, s53, v1
	s_delay_alu instid0(VALU_DEP_1) | instskip(NEXT) | instid1(VALU_DEP_1)
	v_add_nc_u32_e32 v2, v1, v2
	v_lshrrev_b32_e32 v2, s54, v2
	s_delay_alu instid0(VALU_DEP_1) | instskip(SKIP_1) | instid1(VALU_DEP_1)
	v_mul_hi_u32 v3, s42, v2
	v_mul_lo_u32 v8, v2, s52
	v_dual_add_nc_u32 v3, v2, v3 :: v_dual_sub_nc_u32 v8, v1, v8
	s_delay_alu instid0(VALU_DEP_1) | instskip(NEXT) | instid1(VALU_DEP_2)
	v_lshrrev_b32_e32 v1, s43, v3
	v_mad_u32 v5, v8, s45, v5
	v_mad_u32 v4, v8, s44, v4
	;; [unrolled: 1-line block ×4, first 2 shown]
	v_mul_lo_u32 v3, v1, s55
	s_delay_alu instid0(VALU_DEP_1) | instskip(NEXT) | instid1(VALU_DEP_1)
	v_sub_nc_u32_e32 v2, v2, v3
	v_mad_u32 v5, v2, s49, v5
	v_mad_u32 v4, v2, s48, v4
	;; [unrolled: 1-line block ×4, first 2 shown]
	s_cbranch_scc0 .LBB165_24
; %bb.25:
	s_bitcmp1_b32 s38, 0
	s_cselect_b32 s22, -1, 0
	s_delay_alu instid0(SALU_CYCLE_1)
	s_and_b32 vcc_lo, exec_lo, s22
	s_cbranch_vccnz .LBB165_29
; %bb.26:
	s_load_b96 s[48:50], s[30:31], 0x4
	s_load_b128 s[44:47], s[28:29], 0xe4
	s_wait_kmcnt 0x0
	v_mul_hi_u32 v2, s49, v1
	s_delay_alu instid0(VALU_DEP_1) | instskip(NEXT) | instid1(VALU_DEP_1)
	v_add_nc_u32_e32 v2, v1, v2
	v_lshrrev_b32_e32 v2, s50, v2
	s_delay_alu instid0(VALU_DEP_1) | instskip(NEXT) | instid1(VALU_DEP_1)
	v_mul_lo_u32 v2, v2, s48
	v_sub_nc_u32_e32 v1, v1, v2
	s_delay_alu instid0(VALU_DEP_1)
	v_mad_u32 v4, v1, s44, v4
	v_mad_u32 v5, v1, s45, v5
	;; [unrolled: 1-line block ×4, first 2 shown]
	s_branch .LBB165_29
.LBB165_27:
                                        ; implicit-def: $vgpr5
                                        ; implicit-def: $vgpr4
                                        ; implicit-def: $vgpr7
                                        ; implicit-def: $vgpr6
	s_branch .LBB165_30
.LBB165_28:
	v_dual_mov_b32 v5, 0 :: v_dual_mov_b32 v4, 0
	v_dual_mov_b32 v7, 0 :: v_dual_mov_b32 v6, 0
.LBB165_29:
	s_cbranch_execnz .LBB165_32
.LBB165_30:
	v_mov_b32_e32 v1, 0
	s_and_not1_b32 vcc_lo, exec_lo, s37
	s_delay_alu instid0(VALU_DEP_1) | instskip(NEXT) | instid1(VALU_DEP_1)
	v_mul_u64_e32 v[2:3], s[24:25], v[0:1]
	v_add_nc_u32_e32 v2, v0, v3
	s_delay_alu instid0(VALU_DEP_1) | instskip(NEXT) | instid1(VALU_DEP_1)
	v_lshrrev_b32_e32 v2, s18, v2
	v_mul_lo_u32 v3, v2, s16
	s_delay_alu instid0(VALU_DEP_1) | instskip(NEXT) | instid1(VALU_DEP_1)
	v_sub_nc_u32_e32 v3, v0, v3
	v_mul_lo_u32 v5, v3, s9
	v_mul_lo_u32 v4, v3, s8
	;; [unrolled: 1-line block ×4, first 2 shown]
	s_cbranch_vccnz .LBB165_32
; %bb.31:
	v_mov_b32_e32 v3, v1
	s_delay_alu instid0(VALU_DEP_1) | instskip(NEXT) | instid1(VALU_DEP_1)
	v_mul_u64_e32 v[8:9], s[26:27], v[2:3]
	v_add_nc_u32_e32 v1, v2, v9
	s_delay_alu instid0(VALU_DEP_1) | instskip(NEXT) | instid1(VALU_DEP_1)
	v_lshrrev_b32_e32 v1, s23, v1
	v_mul_lo_u32 v1, v1, s19
	s_delay_alu instid0(VALU_DEP_1) | instskip(NEXT) | instid1(VALU_DEP_1)
	v_sub_nc_u32_e32 v1, v2, v1
	v_mad_u32 v4, v1, s12, v4
	v_mad_u32 v5, v1, s13, v5
	v_mad_u32 v6, v1, s14, v6
	v_mad_u32 v7, v1, s15, v7
.LBB165_32:
	global_load_u16 v1, v6, s[4:5]
	global_load_u16 v2, v5, s[2:3]
	;; [unrolled: 1-line block ×3, first 2 shown]
	v_add_nc_u32_e32 v0, 0x80, v0
	s_wait_loadcnt 0x1
	s_wait_xcnt 0x1
	v_dual_lshlrev_b32 v5, 16, v1 :: v_dual_lshlrev_b32 v6, 16, v2
	s_wait_loadcnt 0x0
	v_lshlrev_b32_e32 v8, 16, v3
	s_delay_alu instid0(VALU_DEP_2) | instskip(SKIP_2) | instid1(VALU_DEP_1)
	v_cmp_gt_f32_e32 vcc_lo, v6, v5
	s_wait_xcnt 0x0
	v_cndmask_b32_e32 v7, v1, v2, vcc_lo
	v_lshlrev_b32_e32 v9, 16, v7
	s_delay_alu instid0(VALU_DEP_1) | instskip(SKIP_2) | instid1(VALU_DEP_2)
	v_cmp_lt_f32_e32 vcc_lo, v9, v8
	v_cndmask_b32_e32 v7, v3, v7, vcc_lo
	v_cmp_u_f32_e32 vcc_lo, v8, v8
	v_cndmask_b32_e32 v3, v7, v3, vcc_lo
	v_cmp_u_f32_e32 vcc_lo, v5, v5
	s_delay_alu instid0(VALU_DEP_2) | instskip(SKIP_1) | instid1(VALU_DEP_2)
	v_cndmask_b32_e32 v1, v3, v1, vcc_lo
	v_cmp_u_f32_e32 vcc_lo, v6, v6
	v_cndmask_b32_e32 v1, v1, v2, vcc_lo
	global_store_b16 v4, v1, s[0:1]
	s_wait_xcnt 0x0
	s_or_b32 exec_lo, exec_lo, s17
	s_delay_alu instid0(SALU_CYCLE_1)
	s_mov_b32 s17, exec_lo
	v_cmpx_gt_i32_e64 s39, v0
	s_cbranch_execz .LBB165_4
.LBB165_33:
	s_and_not1_b32 vcc_lo, exec_lo, s35
	s_cbranch_vccnz .LBB165_39
; %bb.34:
	s_and_not1_b32 vcc_lo, exec_lo, s40
	s_cbranch_vccnz .LBB165_40
; %bb.35:
	v_dual_mov_b32 v6, 0 :: v_dual_mov_b32 v1, v0
	v_dual_mov_b32 v7, 0 :: v_dual_mov_b32 v4, 0
	v_mov_b32_e32 v5, 0
	s_add_co_i32 s22, s38, 1
	s_mov_b64 s[28:29], 0xffffffffffffffe0
	s_and_b32 s22, s22, 30
	s_add_nc_u64 s[28:29], s[20:21], s[28:29]
	s_mov_b64 s[30:31], s[20:21]
.LBB165_36:                             ; =>This Inner Loop Header: Depth=1
	s_clause 0x1
	s_load_b128 s[52:55], s[30:31], 0x4
	s_load_b64 s[42:43], s[30:31], 0x14
	s_load_b256 s[44:51], s[28:29], 0xe4
	s_add_co_i32 s22, s22, -2
	s_wait_xcnt 0x0
	s_add_nc_u64 s[30:31], s[30:31], 24
	s_cmp_eq_u32 s22, 0
	s_add_nc_u64 s[28:29], s[28:29], 32
	s_wait_kmcnt 0x0
	v_mul_hi_u32 v2, s53, v1
	s_delay_alu instid0(VALU_DEP_1) | instskip(NEXT) | instid1(VALU_DEP_1)
	v_add_nc_u32_e32 v2, v1, v2
	v_lshrrev_b32_e32 v2, s54, v2
	s_delay_alu instid0(VALU_DEP_1) | instskip(SKIP_1) | instid1(VALU_DEP_1)
	v_mul_hi_u32 v3, s42, v2
	v_mul_lo_u32 v8, v2, s52
	v_dual_add_nc_u32 v3, v2, v3 :: v_dual_sub_nc_u32 v8, v1, v8
	s_delay_alu instid0(VALU_DEP_1) | instskip(NEXT) | instid1(VALU_DEP_2)
	v_lshrrev_b32_e32 v1, s43, v3
	v_mad_u32 v5, v8, s45, v5
	v_mad_u32 v4, v8, s44, v4
	;; [unrolled: 1-line block ×4, first 2 shown]
	v_mul_lo_u32 v3, v1, s55
	s_delay_alu instid0(VALU_DEP_1) | instskip(NEXT) | instid1(VALU_DEP_1)
	v_sub_nc_u32_e32 v2, v2, v3
	v_mad_u32 v5, v2, s49, v5
	v_mad_u32 v4, v2, s48, v4
	;; [unrolled: 1-line block ×4, first 2 shown]
	s_cbranch_scc0 .LBB165_36
; %bb.37:
	s_bitcmp1_b32 s38, 0
	s_cselect_b32 s22, -1, 0
	s_delay_alu instid0(SALU_CYCLE_1)
	s_and_b32 vcc_lo, exec_lo, s22
	s_cbranch_vccnz .LBB165_41
; %bb.38:
	s_load_b96 s[48:50], s[30:31], 0x4
	s_load_b128 s[44:47], s[28:29], 0xe4
	s_wait_kmcnt 0x0
	v_mul_hi_u32 v2, s49, v1
	s_delay_alu instid0(VALU_DEP_1) | instskip(NEXT) | instid1(VALU_DEP_1)
	v_add_nc_u32_e32 v2, v1, v2
	v_lshrrev_b32_e32 v2, s50, v2
	s_delay_alu instid0(VALU_DEP_1) | instskip(NEXT) | instid1(VALU_DEP_1)
	v_mul_lo_u32 v2, v2, s48
	v_sub_nc_u32_e32 v1, v1, v2
	s_delay_alu instid0(VALU_DEP_1)
	v_mad_u32 v4, v1, s44, v4
	v_mad_u32 v5, v1, s45, v5
	;; [unrolled: 1-line block ×4, first 2 shown]
	s_branch .LBB165_41
.LBB165_39:
                                        ; implicit-def: $vgpr5
                                        ; implicit-def: $vgpr4
                                        ; implicit-def: $vgpr7
                                        ; implicit-def: $vgpr6
	s_branch .LBB165_42
.LBB165_40:
	v_dual_mov_b32 v5, 0 :: v_dual_mov_b32 v4, 0
	v_dual_mov_b32 v7, 0 :: v_dual_mov_b32 v6, 0
.LBB165_41:
	s_cbranch_execnz .LBB165_44
.LBB165_42:
	v_mov_b32_e32 v1, 0
	s_and_not1_b32 vcc_lo, exec_lo, s37
	s_delay_alu instid0(VALU_DEP_1) | instskip(NEXT) | instid1(VALU_DEP_1)
	v_mul_u64_e32 v[2:3], s[24:25], v[0:1]
	v_add_nc_u32_e32 v2, v0, v3
	s_delay_alu instid0(VALU_DEP_1) | instskip(NEXT) | instid1(VALU_DEP_1)
	v_lshrrev_b32_e32 v2, s18, v2
	v_mul_lo_u32 v3, v2, s16
	s_delay_alu instid0(VALU_DEP_1) | instskip(NEXT) | instid1(VALU_DEP_1)
	v_sub_nc_u32_e32 v3, v0, v3
	v_mul_lo_u32 v5, v3, s9
	v_mul_lo_u32 v4, v3, s8
	;; [unrolled: 1-line block ×4, first 2 shown]
	s_cbranch_vccnz .LBB165_44
; %bb.43:
	v_mov_b32_e32 v3, v1
	s_delay_alu instid0(VALU_DEP_1) | instskip(NEXT) | instid1(VALU_DEP_1)
	v_mul_u64_e32 v[8:9], s[26:27], v[2:3]
	v_add_nc_u32_e32 v1, v2, v9
	s_delay_alu instid0(VALU_DEP_1) | instskip(NEXT) | instid1(VALU_DEP_1)
	v_lshrrev_b32_e32 v1, s23, v1
	v_mul_lo_u32 v1, v1, s19
	s_delay_alu instid0(VALU_DEP_1) | instskip(NEXT) | instid1(VALU_DEP_1)
	v_sub_nc_u32_e32 v1, v2, v1
	v_mad_u32 v4, v1, s12, v4
	v_mad_u32 v5, v1, s13, v5
	;; [unrolled: 1-line block ×4, first 2 shown]
.LBB165_44:
	global_load_u16 v1, v6, s[4:5]
	global_load_u16 v2, v5, s[2:3]
	;; [unrolled: 1-line block ×3, first 2 shown]
	v_add_nc_u32_e32 v0, 0x80, v0
	s_wait_loadcnt 0x1
	s_wait_xcnt 0x1
	v_dual_lshlrev_b32 v5, 16, v1 :: v_dual_lshlrev_b32 v6, 16, v2
	s_wait_loadcnt 0x0
	v_lshlrev_b32_e32 v8, 16, v3
	s_delay_alu instid0(VALU_DEP_2) | instskip(SKIP_2) | instid1(VALU_DEP_1)
	v_cmp_gt_f32_e32 vcc_lo, v6, v5
	s_wait_xcnt 0x0
	v_cndmask_b32_e32 v7, v1, v2, vcc_lo
	v_lshlrev_b32_e32 v9, 16, v7
	s_delay_alu instid0(VALU_DEP_1) | instskip(SKIP_2) | instid1(VALU_DEP_2)
	v_cmp_lt_f32_e32 vcc_lo, v9, v8
	v_cndmask_b32_e32 v7, v3, v7, vcc_lo
	v_cmp_u_f32_e32 vcc_lo, v8, v8
	v_cndmask_b32_e32 v3, v7, v3, vcc_lo
	v_cmp_u_f32_e32 vcc_lo, v5, v5
	s_delay_alu instid0(VALU_DEP_2) | instskip(SKIP_1) | instid1(VALU_DEP_2)
	v_cndmask_b32_e32 v1, v3, v1, vcc_lo
	v_cmp_u_f32_e32 vcc_lo, v6, v6
	v_cndmask_b32_e32 v1, v1, v2, vcc_lo
	global_store_b16 v4, v1, s[0:1]
	s_wait_xcnt 0x0
	s_or_b32 exec_lo, exec_lo, s17
	s_delay_alu instid0(SALU_CYCLE_1)
	s_mov_b32 s17, exec_lo
	v_cmpx_gt_i32_e64 s39, v0
	s_cbranch_execz .LBB165_5
.LBB165_45:
	s_and_not1_b32 vcc_lo, exec_lo, s35
	s_cbranch_vccnz .LBB165_51
; %bb.46:
	s_and_not1_b32 vcc_lo, exec_lo, s40
	s_cbranch_vccnz .LBB165_52
; %bb.47:
	v_dual_mov_b32 v5, 0 :: v_dual_mov_b32 v1, v0
	v_dual_mov_b32 v7, 0 :: v_dual_mov_b32 v4, 0
	v_mov_b32_e32 v6, 0
	s_add_co_i32 s22, s38, 1
	s_mov_b64 s[28:29], 0xffffffffffffffe0
	s_and_b32 s22, s22, 30
	s_add_nc_u64 s[28:29], s[20:21], s[28:29]
	s_mov_b64 s[30:31], s[20:21]
.LBB165_48:                             ; =>This Inner Loop Header: Depth=1
	s_clause 0x1
	s_load_b128 s[52:55], s[30:31], 0x4
	s_load_b64 s[42:43], s[30:31], 0x14
	s_load_b256 s[44:51], s[28:29], 0xe4
	s_add_co_i32 s22, s22, -2
	s_wait_xcnt 0x0
	s_add_nc_u64 s[30:31], s[30:31], 24
	s_cmp_eq_u32 s22, 0
	s_add_nc_u64 s[28:29], s[28:29], 32
	s_wait_kmcnt 0x0
	v_mul_hi_u32 v2, s53, v1
	s_delay_alu instid0(VALU_DEP_1) | instskip(NEXT) | instid1(VALU_DEP_1)
	v_add_nc_u32_e32 v2, v1, v2
	v_lshrrev_b32_e32 v2, s54, v2
	s_delay_alu instid0(VALU_DEP_1) | instskip(SKIP_1) | instid1(VALU_DEP_1)
	v_mul_hi_u32 v3, s42, v2
	v_mul_lo_u32 v8, v2, s52
	v_dual_add_nc_u32 v3, v2, v3 :: v_dual_sub_nc_u32 v8, v1, v8
	s_delay_alu instid0(VALU_DEP_1) | instskip(NEXT) | instid1(VALU_DEP_2)
	v_lshrrev_b32_e32 v1, s43, v3
	v_mad_u32 v6, v8, s45, v6
	v_mad_u32 v4, v8, s44, v4
	;; [unrolled: 1-line block ×4, first 2 shown]
	v_mul_lo_u32 v3, v1, s55
	s_delay_alu instid0(VALU_DEP_1) | instskip(NEXT) | instid1(VALU_DEP_1)
	v_sub_nc_u32_e32 v2, v2, v3
	v_mad_u32 v6, v2, s49, v6
	v_mad_u32 v4, v2, s48, v4
	;; [unrolled: 1-line block ×4, first 2 shown]
	s_cbranch_scc0 .LBB165_48
; %bb.49:
	s_bitcmp1_b32 s38, 0
	s_cselect_b32 s22, -1, 0
	s_delay_alu instid0(SALU_CYCLE_1)
	s_and_b32 vcc_lo, exec_lo, s22
	s_cbranch_vccnz .LBB165_53
; %bb.50:
	s_load_b96 s[48:50], s[30:31], 0x4
	s_load_b128 s[44:47], s[28:29], 0xe4
	s_wait_kmcnt 0x0
	v_mul_hi_u32 v2, s49, v1
	s_delay_alu instid0(VALU_DEP_1) | instskip(NEXT) | instid1(VALU_DEP_1)
	v_add_nc_u32_e32 v2, v1, v2
	v_lshrrev_b32_e32 v2, s50, v2
	s_delay_alu instid0(VALU_DEP_1) | instskip(NEXT) | instid1(VALU_DEP_1)
	v_mul_lo_u32 v2, v2, s48
	v_sub_nc_u32_e32 v1, v1, v2
	s_delay_alu instid0(VALU_DEP_1)
	v_mad_u32 v4, v1, s44, v4
	v_mad_u32 v6, v1, s45, v6
	;; [unrolled: 1-line block ×4, first 2 shown]
	s_branch .LBB165_53
.LBB165_51:
                                        ; implicit-def: $vgpr6
                                        ; implicit-def: $vgpr4
                                        ; implicit-def: $vgpr7
                                        ; implicit-def: $vgpr5
	s_branch .LBB165_54
.LBB165_52:
	v_dual_mov_b32 v6, 0 :: v_dual_mov_b32 v4, 0
	v_dual_mov_b32 v7, 0 :: v_dual_mov_b32 v5, 0
.LBB165_53:
	s_cbranch_execnz .LBB165_56
.LBB165_54:
	v_mov_b32_e32 v1, 0
	s_and_not1_b32 vcc_lo, exec_lo, s37
	s_delay_alu instid0(VALU_DEP_1) | instskip(NEXT) | instid1(VALU_DEP_1)
	v_mul_u64_e32 v[2:3], s[24:25], v[0:1]
	v_add_nc_u32_e32 v2, v0, v3
	s_delay_alu instid0(VALU_DEP_1) | instskip(NEXT) | instid1(VALU_DEP_1)
	v_lshrrev_b32_e32 v2, s18, v2
	v_mul_lo_u32 v3, v2, s16
	s_delay_alu instid0(VALU_DEP_1) | instskip(NEXT) | instid1(VALU_DEP_1)
	v_sub_nc_u32_e32 v3, v0, v3
	v_mul_lo_u32 v6, v3, s9
	v_mul_lo_u32 v4, v3, s8
	;; [unrolled: 1-line block ×4, first 2 shown]
	s_cbranch_vccnz .LBB165_56
; %bb.55:
	v_mov_b32_e32 v3, v1
	s_delay_alu instid0(VALU_DEP_1) | instskip(NEXT) | instid1(VALU_DEP_1)
	v_mul_u64_e32 v[8:9], s[26:27], v[2:3]
	v_add_nc_u32_e32 v1, v2, v9
	s_delay_alu instid0(VALU_DEP_1) | instskip(NEXT) | instid1(VALU_DEP_1)
	v_lshrrev_b32_e32 v1, s23, v1
	v_mul_lo_u32 v1, v1, s19
	s_delay_alu instid0(VALU_DEP_1) | instskip(NEXT) | instid1(VALU_DEP_1)
	v_sub_nc_u32_e32 v1, v2, v1
	v_mad_u32 v4, v1, s12, v4
	v_mad_u32 v6, v1, s13, v6
	;; [unrolled: 1-line block ×4, first 2 shown]
.LBB165_56:
	global_load_u16 v1, v5, s[4:5]
	global_load_u16 v2, v6, s[2:3]
	;; [unrolled: 1-line block ×3, first 2 shown]
	v_add_nc_u32_e32 v0, 0x80, v0
	s_wait_loadcnt 0x1
	s_wait_xcnt 0x1
	v_dual_lshlrev_b32 v5, 16, v1 :: v_dual_lshlrev_b32 v6, 16, v2
	s_wait_loadcnt 0x0
	v_lshlrev_b32_e32 v8, 16, v3
	s_delay_alu instid0(VALU_DEP_2) | instskip(SKIP_2) | instid1(VALU_DEP_1)
	v_cmp_gt_f32_e32 vcc_lo, v6, v5
	s_wait_xcnt 0x0
	v_cndmask_b32_e32 v7, v1, v2, vcc_lo
	v_lshlrev_b32_e32 v9, 16, v7
	s_delay_alu instid0(VALU_DEP_1) | instskip(SKIP_2) | instid1(VALU_DEP_2)
	v_cmp_lt_f32_e32 vcc_lo, v9, v8
	v_cndmask_b32_e32 v7, v3, v7, vcc_lo
	v_cmp_u_f32_e32 vcc_lo, v8, v8
	v_cndmask_b32_e32 v3, v7, v3, vcc_lo
	v_cmp_u_f32_e32 vcc_lo, v5, v5
	s_delay_alu instid0(VALU_DEP_2) | instskip(SKIP_1) | instid1(VALU_DEP_2)
	v_cndmask_b32_e32 v1, v3, v1, vcc_lo
	v_cmp_u_f32_e32 vcc_lo, v6, v6
	v_cndmask_b32_e32 v1, v1, v2, vcc_lo
	global_store_b16 v4, v1, s[0:1]
	s_wait_xcnt 0x0
	s_or_b32 exec_lo, exec_lo, s17
	s_delay_alu instid0(SALU_CYCLE_1)
	s_mov_b32 s17, exec_lo
	v_cmpx_gt_i32_e64 s39, v0
	s_cbranch_execz .LBB165_6
.LBB165_57:
	s_and_not1_b32 vcc_lo, exec_lo, s35
	s_cbranch_vccnz .LBB165_63
; %bb.58:
	s_and_not1_b32 vcc_lo, exec_lo, s40
	s_cbranch_vccnz .LBB165_64
; %bb.59:
	v_dual_mov_b32 v6, 0 :: v_dual_mov_b32 v1, v0
	v_dual_mov_b32 v7, 0 :: v_dual_mov_b32 v4, 0
	v_mov_b32_e32 v5, 0
	s_add_co_i32 s22, s38, 1
	s_mov_b64 s[28:29], 0xffffffffffffffe0
	s_and_b32 s22, s22, 30
	s_add_nc_u64 s[28:29], s[20:21], s[28:29]
	s_mov_b64 s[30:31], s[20:21]
.LBB165_60:                             ; =>This Inner Loop Header: Depth=1
	s_clause 0x1
	s_load_b128 s[52:55], s[30:31], 0x4
	s_load_b64 s[42:43], s[30:31], 0x14
	s_load_b256 s[44:51], s[28:29], 0xe4
	s_add_co_i32 s22, s22, -2
	s_wait_xcnt 0x0
	s_add_nc_u64 s[30:31], s[30:31], 24
	s_cmp_eq_u32 s22, 0
	s_add_nc_u64 s[28:29], s[28:29], 32
	s_wait_kmcnt 0x0
	v_mul_hi_u32 v2, s53, v1
	s_delay_alu instid0(VALU_DEP_1) | instskip(NEXT) | instid1(VALU_DEP_1)
	v_add_nc_u32_e32 v2, v1, v2
	v_lshrrev_b32_e32 v2, s54, v2
	s_delay_alu instid0(VALU_DEP_1) | instskip(SKIP_1) | instid1(VALU_DEP_1)
	v_mul_hi_u32 v3, s42, v2
	v_mul_lo_u32 v8, v2, s52
	v_dual_add_nc_u32 v3, v2, v3 :: v_dual_sub_nc_u32 v8, v1, v8
	s_delay_alu instid0(VALU_DEP_1) | instskip(NEXT) | instid1(VALU_DEP_2)
	v_lshrrev_b32_e32 v1, s43, v3
	v_mad_u32 v5, v8, s45, v5
	v_mad_u32 v4, v8, s44, v4
	;; [unrolled: 1-line block ×4, first 2 shown]
	v_mul_lo_u32 v3, v1, s55
	s_delay_alu instid0(VALU_DEP_1) | instskip(NEXT) | instid1(VALU_DEP_1)
	v_sub_nc_u32_e32 v2, v2, v3
	v_mad_u32 v5, v2, s49, v5
	v_mad_u32 v4, v2, s48, v4
	;; [unrolled: 1-line block ×4, first 2 shown]
	s_cbranch_scc0 .LBB165_60
; %bb.61:
	s_bitcmp1_b32 s38, 0
	s_cselect_b32 s22, -1, 0
	s_delay_alu instid0(SALU_CYCLE_1)
	s_and_b32 vcc_lo, exec_lo, s22
	s_cbranch_vccnz .LBB165_65
; %bb.62:
	s_load_b96 s[48:50], s[30:31], 0x4
	s_load_b128 s[44:47], s[28:29], 0xe4
	s_wait_kmcnt 0x0
	v_mul_hi_u32 v2, s49, v1
	s_delay_alu instid0(VALU_DEP_1) | instskip(NEXT) | instid1(VALU_DEP_1)
	v_add_nc_u32_e32 v2, v1, v2
	v_lshrrev_b32_e32 v2, s50, v2
	s_delay_alu instid0(VALU_DEP_1) | instskip(NEXT) | instid1(VALU_DEP_1)
	v_mul_lo_u32 v2, v2, s48
	v_sub_nc_u32_e32 v1, v1, v2
	s_delay_alu instid0(VALU_DEP_1)
	v_mad_u32 v4, v1, s44, v4
	v_mad_u32 v5, v1, s45, v5
	;; [unrolled: 1-line block ×4, first 2 shown]
	s_branch .LBB165_65
.LBB165_63:
                                        ; implicit-def: $vgpr5
                                        ; implicit-def: $vgpr4
                                        ; implicit-def: $vgpr7
                                        ; implicit-def: $vgpr6
	s_branch .LBB165_66
.LBB165_64:
	v_dual_mov_b32 v5, 0 :: v_dual_mov_b32 v4, 0
	v_dual_mov_b32 v7, 0 :: v_dual_mov_b32 v6, 0
.LBB165_65:
	s_cbranch_execnz .LBB165_68
.LBB165_66:
	v_mov_b32_e32 v1, 0
	s_and_not1_b32 vcc_lo, exec_lo, s37
	s_delay_alu instid0(VALU_DEP_1) | instskip(NEXT) | instid1(VALU_DEP_1)
	v_mul_u64_e32 v[2:3], s[24:25], v[0:1]
	v_add_nc_u32_e32 v2, v0, v3
	s_delay_alu instid0(VALU_DEP_1) | instskip(NEXT) | instid1(VALU_DEP_1)
	v_lshrrev_b32_e32 v2, s18, v2
	v_mul_lo_u32 v3, v2, s16
	s_delay_alu instid0(VALU_DEP_1) | instskip(NEXT) | instid1(VALU_DEP_1)
	v_sub_nc_u32_e32 v3, v0, v3
	v_mul_lo_u32 v5, v3, s9
	v_mul_lo_u32 v4, v3, s8
	;; [unrolled: 1-line block ×4, first 2 shown]
	s_cbranch_vccnz .LBB165_68
; %bb.67:
	v_mov_b32_e32 v3, v1
	s_delay_alu instid0(VALU_DEP_1) | instskip(NEXT) | instid1(VALU_DEP_1)
	v_mul_u64_e32 v[8:9], s[26:27], v[2:3]
	v_add_nc_u32_e32 v1, v2, v9
	s_delay_alu instid0(VALU_DEP_1) | instskip(NEXT) | instid1(VALU_DEP_1)
	v_lshrrev_b32_e32 v1, s23, v1
	v_mul_lo_u32 v1, v1, s19
	s_delay_alu instid0(VALU_DEP_1) | instskip(NEXT) | instid1(VALU_DEP_1)
	v_sub_nc_u32_e32 v1, v2, v1
	v_mad_u32 v4, v1, s12, v4
	v_mad_u32 v5, v1, s13, v5
	;; [unrolled: 1-line block ×4, first 2 shown]
.LBB165_68:
	global_load_u16 v1, v6, s[4:5]
	global_load_u16 v2, v5, s[2:3]
	;; [unrolled: 1-line block ×3, first 2 shown]
	v_add_nc_u32_e32 v0, 0x80, v0
	s_wait_loadcnt 0x1
	s_wait_xcnt 0x1
	v_dual_lshlrev_b32 v5, 16, v1 :: v_dual_lshlrev_b32 v6, 16, v2
	s_wait_loadcnt 0x0
	v_lshlrev_b32_e32 v8, 16, v3
	s_delay_alu instid0(VALU_DEP_2) | instskip(SKIP_2) | instid1(VALU_DEP_1)
	v_cmp_gt_f32_e32 vcc_lo, v6, v5
	s_wait_xcnt 0x0
	v_cndmask_b32_e32 v7, v1, v2, vcc_lo
	v_lshlrev_b32_e32 v9, 16, v7
	s_delay_alu instid0(VALU_DEP_1) | instskip(SKIP_2) | instid1(VALU_DEP_2)
	v_cmp_lt_f32_e32 vcc_lo, v9, v8
	v_cndmask_b32_e32 v7, v3, v7, vcc_lo
	v_cmp_u_f32_e32 vcc_lo, v8, v8
	v_cndmask_b32_e32 v3, v7, v3, vcc_lo
	v_cmp_u_f32_e32 vcc_lo, v5, v5
	s_delay_alu instid0(VALU_DEP_2) | instskip(SKIP_1) | instid1(VALU_DEP_2)
	v_cndmask_b32_e32 v1, v3, v1, vcc_lo
	v_cmp_u_f32_e32 vcc_lo, v6, v6
	v_cndmask_b32_e32 v1, v1, v2, vcc_lo
	global_store_b16 v4, v1, s[0:1]
	s_wait_xcnt 0x0
	s_or_b32 exec_lo, exec_lo, s17
	s_delay_alu instid0(SALU_CYCLE_1)
	s_mov_b32 s17, exec_lo
	v_cmpx_gt_i32_e64 s39, v0
	s_cbranch_execz .LBB165_7
.LBB165_69:
	s_and_not1_b32 vcc_lo, exec_lo, s35
	s_cbranch_vccnz .LBB165_75
; %bb.70:
	s_and_not1_b32 vcc_lo, exec_lo, s40
	s_cbranch_vccnz .LBB165_76
; %bb.71:
	v_dual_mov_b32 v6, 0 :: v_dual_mov_b32 v1, v0
	v_dual_mov_b32 v7, 0 :: v_dual_mov_b32 v4, 0
	v_mov_b32_e32 v5, 0
	s_add_co_i32 s22, s38, 1
	s_mov_b64 s[28:29], 0xffffffffffffffe0
	s_and_b32 s22, s22, 30
	s_add_nc_u64 s[28:29], s[20:21], s[28:29]
	s_mov_b64 s[30:31], s[20:21]
.LBB165_72:                             ; =>This Inner Loop Header: Depth=1
	s_clause 0x1
	s_load_b128 s[52:55], s[30:31], 0x4
	s_load_b64 s[42:43], s[30:31], 0x14
	s_load_b256 s[44:51], s[28:29], 0xe4
	s_add_co_i32 s22, s22, -2
	s_wait_xcnt 0x0
	s_add_nc_u64 s[30:31], s[30:31], 24
	s_cmp_eq_u32 s22, 0
	s_add_nc_u64 s[28:29], s[28:29], 32
	s_wait_kmcnt 0x0
	v_mul_hi_u32 v2, s53, v1
	s_delay_alu instid0(VALU_DEP_1) | instskip(NEXT) | instid1(VALU_DEP_1)
	v_add_nc_u32_e32 v2, v1, v2
	v_lshrrev_b32_e32 v2, s54, v2
	s_delay_alu instid0(VALU_DEP_1) | instskip(SKIP_1) | instid1(VALU_DEP_1)
	v_mul_hi_u32 v3, s42, v2
	v_mul_lo_u32 v8, v2, s52
	v_dual_add_nc_u32 v3, v2, v3 :: v_dual_sub_nc_u32 v8, v1, v8
	s_delay_alu instid0(VALU_DEP_1) | instskip(NEXT) | instid1(VALU_DEP_2)
	v_lshrrev_b32_e32 v1, s43, v3
	v_mad_u32 v5, v8, s45, v5
	v_mad_u32 v4, v8, s44, v4
	;; [unrolled: 1-line block ×4, first 2 shown]
	v_mul_lo_u32 v3, v1, s55
	s_delay_alu instid0(VALU_DEP_1) | instskip(NEXT) | instid1(VALU_DEP_1)
	v_sub_nc_u32_e32 v2, v2, v3
	v_mad_u32 v5, v2, s49, v5
	v_mad_u32 v4, v2, s48, v4
	;; [unrolled: 1-line block ×4, first 2 shown]
	s_cbranch_scc0 .LBB165_72
; %bb.73:
	s_bitcmp1_b32 s38, 0
	s_cselect_b32 s22, -1, 0
	s_delay_alu instid0(SALU_CYCLE_1)
	s_and_b32 vcc_lo, exec_lo, s22
	s_cbranch_vccnz .LBB165_77
; %bb.74:
	s_load_b96 s[48:50], s[30:31], 0x4
	s_load_b128 s[44:47], s[28:29], 0xe4
	s_wait_kmcnt 0x0
	v_mul_hi_u32 v2, s49, v1
	s_delay_alu instid0(VALU_DEP_1) | instskip(NEXT) | instid1(VALU_DEP_1)
	v_add_nc_u32_e32 v2, v1, v2
	v_lshrrev_b32_e32 v2, s50, v2
	s_delay_alu instid0(VALU_DEP_1) | instskip(NEXT) | instid1(VALU_DEP_1)
	v_mul_lo_u32 v2, v2, s48
	v_sub_nc_u32_e32 v1, v1, v2
	s_delay_alu instid0(VALU_DEP_1)
	v_mad_u32 v4, v1, s44, v4
	v_mad_u32 v5, v1, s45, v5
	;; [unrolled: 1-line block ×4, first 2 shown]
	s_branch .LBB165_77
.LBB165_75:
                                        ; implicit-def: $vgpr5
                                        ; implicit-def: $vgpr4
                                        ; implicit-def: $vgpr7
                                        ; implicit-def: $vgpr6
	s_branch .LBB165_78
.LBB165_76:
	v_dual_mov_b32 v5, 0 :: v_dual_mov_b32 v4, 0
	v_dual_mov_b32 v7, 0 :: v_dual_mov_b32 v6, 0
.LBB165_77:
	s_cbranch_execnz .LBB165_80
.LBB165_78:
	v_mov_b32_e32 v1, 0
	s_and_not1_b32 vcc_lo, exec_lo, s37
	s_delay_alu instid0(VALU_DEP_1) | instskip(NEXT) | instid1(VALU_DEP_1)
	v_mul_u64_e32 v[2:3], s[24:25], v[0:1]
	v_add_nc_u32_e32 v2, v0, v3
	s_delay_alu instid0(VALU_DEP_1) | instskip(NEXT) | instid1(VALU_DEP_1)
	v_lshrrev_b32_e32 v2, s18, v2
	v_mul_lo_u32 v3, v2, s16
	s_delay_alu instid0(VALU_DEP_1) | instskip(NEXT) | instid1(VALU_DEP_1)
	v_sub_nc_u32_e32 v3, v0, v3
	v_mul_lo_u32 v5, v3, s9
	v_mul_lo_u32 v4, v3, s8
	;; [unrolled: 1-line block ×4, first 2 shown]
	s_cbranch_vccnz .LBB165_80
; %bb.79:
	v_mov_b32_e32 v3, v1
	s_delay_alu instid0(VALU_DEP_1) | instskip(NEXT) | instid1(VALU_DEP_1)
	v_mul_u64_e32 v[8:9], s[26:27], v[2:3]
	v_add_nc_u32_e32 v1, v2, v9
	s_delay_alu instid0(VALU_DEP_1) | instskip(NEXT) | instid1(VALU_DEP_1)
	v_lshrrev_b32_e32 v1, s23, v1
	v_mul_lo_u32 v1, v1, s19
	s_delay_alu instid0(VALU_DEP_1) | instskip(NEXT) | instid1(VALU_DEP_1)
	v_sub_nc_u32_e32 v1, v2, v1
	v_mad_u32 v4, v1, s12, v4
	v_mad_u32 v5, v1, s13, v5
	;; [unrolled: 1-line block ×4, first 2 shown]
.LBB165_80:
	global_load_u16 v1, v6, s[4:5]
	global_load_u16 v2, v5, s[2:3]
	;; [unrolled: 1-line block ×3, first 2 shown]
	v_add_nc_u32_e32 v0, 0x80, v0
	s_wait_loadcnt 0x1
	s_wait_xcnt 0x1
	v_dual_lshlrev_b32 v5, 16, v1 :: v_dual_lshlrev_b32 v6, 16, v2
	s_wait_loadcnt 0x0
	v_lshlrev_b32_e32 v8, 16, v3
	s_delay_alu instid0(VALU_DEP_2) | instskip(SKIP_2) | instid1(VALU_DEP_1)
	v_cmp_gt_f32_e32 vcc_lo, v6, v5
	s_wait_xcnt 0x0
	v_cndmask_b32_e32 v7, v1, v2, vcc_lo
	v_lshlrev_b32_e32 v9, 16, v7
	s_delay_alu instid0(VALU_DEP_1) | instskip(SKIP_2) | instid1(VALU_DEP_2)
	v_cmp_lt_f32_e32 vcc_lo, v9, v8
	v_cndmask_b32_e32 v7, v3, v7, vcc_lo
	v_cmp_u_f32_e32 vcc_lo, v8, v8
	v_cndmask_b32_e32 v3, v7, v3, vcc_lo
	v_cmp_u_f32_e32 vcc_lo, v5, v5
	s_delay_alu instid0(VALU_DEP_2) | instskip(SKIP_1) | instid1(VALU_DEP_2)
	v_cndmask_b32_e32 v1, v3, v1, vcc_lo
	v_cmp_u_f32_e32 vcc_lo, v6, v6
	v_cndmask_b32_e32 v1, v1, v2, vcc_lo
	global_store_b16 v4, v1, s[0:1]
	s_wait_xcnt 0x0
	s_or_b32 exec_lo, exec_lo, s17
	s_delay_alu instid0(SALU_CYCLE_1)
	s_mov_b32 s17, exec_lo
	v_cmpx_gt_i32_e64 s39, v0
	s_cbranch_execz .LBB165_8
.LBB165_81:
	s_and_not1_b32 vcc_lo, exec_lo, s35
	s_cbranch_vccnz .LBB165_87
; %bb.82:
	s_and_not1_b32 vcc_lo, exec_lo, s40
	s_cbranch_vccnz .LBB165_88
; %bb.83:
	v_dual_mov_b32 v5, 0 :: v_dual_mov_b32 v1, v0
	v_dual_mov_b32 v7, 0 :: v_dual_mov_b32 v4, 0
	v_mov_b32_e32 v6, 0
	s_add_co_i32 s22, s38, 1
	s_mov_b64 s[28:29], 0xffffffffffffffe0
	s_and_b32 s22, s22, 30
	s_add_nc_u64 s[28:29], s[20:21], s[28:29]
	s_mov_b64 s[30:31], s[20:21]
.LBB165_84:                             ; =>This Inner Loop Header: Depth=1
	s_clause 0x1
	s_load_b128 s[52:55], s[30:31], 0x4
	s_load_b64 s[42:43], s[30:31], 0x14
	s_load_b256 s[44:51], s[28:29], 0xe4
	s_add_co_i32 s22, s22, -2
	s_wait_xcnt 0x0
	s_add_nc_u64 s[30:31], s[30:31], 24
	s_cmp_eq_u32 s22, 0
	s_add_nc_u64 s[28:29], s[28:29], 32
	s_wait_kmcnt 0x0
	v_mul_hi_u32 v2, s53, v1
	s_delay_alu instid0(VALU_DEP_1) | instskip(NEXT) | instid1(VALU_DEP_1)
	v_add_nc_u32_e32 v2, v1, v2
	v_lshrrev_b32_e32 v2, s54, v2
	s_delay_alu instid0(VALU_DEP_1) | instskip(SKIP_1) | instid1(VALU_DEP_1)
	v_mul_hi_u32 v3, s42, v2
	v_mul_lo_u32 v8, v2, s52
	v_dual_add_nc_u32 v3, v2, v3 :: v_dual_sub_nc_u32 v8, v1, v8
	s_delay_alu instid0(VALU_DEP_1) | instskip(NEXT) | instid1(VALU_DEP_2)
	v_lshrrev_b32_e32 v1, s43, v3
	v_mad_u32 v6, v8, s45, v6
	v_mad_u32 v4, v8, s44, v4
	;; [unrolled: 1-line block ×4, first 2 shown]
	v_mul_lo_u32 v3, v1, s55
	s_delay_alu instid0(VALU_DEP_1) | instskip(NEXT) | instid1(VALU_DEP_1)
	v_sub_nc_u32_e32 v2, v2, v3
	v_mad_u32 v6, v2, s49, v6
	v_mad_u32 v4, v2, s48, v4
	v_mad_u32 v7, v2, s51, v7
	v_mad_u32 v5, v2, s50, v5
	s_cbranch_scc0 .LBB165_84
; %bb.85:
	s_bitcmp1_b32 s38, 0
	s_cselect_b32 s22, -1, 0
	s_delay_alu instid0(SALU_CYCLE_1)
	s_and_b32 vcc_lo, exec_lo, s22
	s_cbranch_vccnz .LBB165_89
; %bb.86:
	s_load_b96 s[48:50], s[30:31], 0x4
	s_load_b128 s[44:47], s[28:29], 0xe4
	s_wait_kmcnt 0x0
	v_mul_hi_u32 v2, s49, v1
	s_delay_alu instid0(VALU_DEP_1) | instskip(NEXT) | instid1(VALU_DEP_1)
	v_add_nc_u32_e32 v2, v1, v2
	v_lshrrev_b32_e32 v2, s50, v2
	s_delay_alu instid0(VALU_DEP_1) | instskip(NEXT) | instid1(VALU_DEP_1)
	v_mul_lo_u32 v2, v2, s48
	v_sub_nc_u32_e32 v1, v1, v2
	s_delay_alu instid0(VALU_DEP_1)
	v_mad_u32 v4, v1, s44, v4
	v_mad_u32 v6, v1, s45, v6
	;; [unrolled: 1-line block ×4, first 2 shown]
	s_branch .LBB165_89
.LBB165_87:
                                        ; implicit-def: $vgpr6
                                        ; implicit-def: $vgpr4
                                        ; implicit-def: $vgpr7
                                        ; implicit-def: $vgpr5
	s_branch .LBB165_90
.LBB165_88:
	v_dual_mov_b32 v6, 0 :: v_dual_mov_b32 v4, 0
	v_dual_mov_b32 v7, 0 :: v_dual_mov_b32 v5, 0
.LBB165_89:
	s_cbranch_execnz .LBB165_92
.LBB165_90:
	v_mov_b32_e32 v1, 0
	s_and_not1_b32 vcc_lo, exec_lo, s37
	s_delay_alu instid0(VALU_DEP_1) | instskip(NEXT) | instid1(VALU_DEP_1)
	v_mul_u64_e32 v[2:3], s[24:25], v[0:1]
	v_add_nc_u32_e32 v2, v0, v3
	s_delay_alu instid0(VALU_DEP_1) | instskip(NEXT) | instid1(VALU_DEP_1)
	v_lshrrev_b32_e32 v2, s18, v2
	v_mul_lo_u32 v3, v2, s16
	s_delay_alu instid0(VALU_DEP_1) | instskip(NEXT) | instid1(VALU_DEP_1)
	v_sub_nc_u32_e32 v3, v0, v3
	v_mul_lo_u32 v6, v3, s9
	v_mul_lo_u32 v4, v3, s8
	;; [unrolled: 1-line block ×4, first 2 shown]
	s_cbranch_vccnz .LBB165_92
; %bb.91:
	v_mov_b32_e32 v3, v1
	s_delay_alu instid0(VALU_DEP_1) | instskip(NEXT) | instid1(VALU_DEP_1)
	v_mul_u64_e32 v[8:9], s[26:27], v[2:3]
	v_add_nc_u32_e32 v1, v2, v9
	s_delay_alu instid0(VALU_DEP_1) | instskip(NEXT) | instid1(VALU_DEP_1)
	v_lshrrev_b32_e32 v1, s23, v1
	v_mul_lo_u32 v1, v1, s19
	s_delay_alu instid0(VALU_DEP_1) | instskip(NEXT) | instid1(VALU_DEP_1)
	v_sub_nc_u32_e32 v1, v2, v1
	v_mad_u32 v4, v1, s12, v4
	v_mad_u32 v6, v1, s13, v6
	;; [unrolled: 1-line block ×4, first 2 shown]
.LBB165_92:
	global_load_u16 v1, v5, s[4:5]
	global_load_u16 v2, v6, s[2:3]
	;; [unrolled: 1-line block ×3, first 2 shown]
	v_add_nc_u32_e32 v0, 0x80, v0
	s_wait_loadcnt 0x1
	s_wait_xcnt 0x1
	v_dual_lshlrev_b32 v5, 16, v1 :: v_dual_lshlrev_b32 v6, 16, v2
	s_wait_loadcnt 0x0
	v_lshlrev_b32_e32 v8, 16, v3
	s_delay_alu instid0(VALU_DEP_2) | instskip(SKIP_2) | instid1(VALU_DEP_1)
	v_cmp_gt_f32_e32 vcc_lo, v6, v5
	s_wait_xcnt 0x0
	v_cndmask_b32_e32 v7, v1, v2, vcc_lo
	v_lshlrev_b32_e32 v9, 16, v7
	s_delay_alu instid0(VALU_DEP_1) | instskip(SKIP_2) | instid1(VALU_DEP_2)
	v_cmp_lt_f32_e32 vcc_lo, v9, v8
	v_cndmask_b32_e32 v7, v3, v7, vcc_lo
	v_cmp_u_f32_e32 vcc_lo, v8, v8
	v_cndmask_b32_e32 v3, v7, v3, vcc_lo
	v_cmp_u_f32_e32 vcc_lo, v5, v5
	s_delay_alu instid0(VALU_DEP_2) | instskip(SKIP_1) | instid1(VALU_DEP_2)
	v_cndmask_b32_e32 v1, v3, v1, vcc_lo
	v_cmp_u_f32_e32 vcc_lo, v6, v6
	v_cndmask_b32_e32 v1, v1, v2, vcc_lo
	global_store_b16 v4, v1, s[0:1]
	s_wait_xcnt 0x0
	s_or_b32 exec_lo, exec_lo, s17
	s_delay_alu instid0(SALU_CYCLE_1)
	s_mov_b32 s17, exec_lo
	v_cmpx_gt_i32_e64 s39, v0
	s_cbranch_execz .LBB165_105
.LBB165_93:
	s_and_not1_b32 vcc_lo, exec_lo, s35
	s_cbranch_vccnz .LBB165_99
; %bb.94:
	s_and_not1_b32 vcc_lo, exec_lo, s40
	s_cbranch_vccnz .LBB165_100
; %bb.95:
	v_dual_mov_b32 v5, 0 :: v_dual_mov_b32 v1, v0
	v_dual_mov_b32 v7, 0 :: v_dual_mov_b32 v4, 0
	v_mov_b32_e32 v6, 0
	s_add_co_i32 s22, s38, 1
	s_mov_b64 s[28:29], 0xffffffffffffffe0
	s_and_b32 s22, s22, 30
	s_add_nc_u64 s[28:29], s[20:21], s[28:29]
	s_mov_b64 s[30:31], s[20:21]
.LBB165_96:                             ; =>This Inner Loop Header: Depth=1
	s_clause 0x1
	s_load_b128 s[48:51], s[30:31], 0x4
	s_load_b64 s[52:53], s[30:31], 0x14
	s_load_b256 s[40:47], s[28:29], 0xe4
	s_add_co_i32 s22, s22, -2
	s_wait_xcnt 0x0
	s_add_nc_u64 s[30:31], s[30:31], 24
	s_cmp_eq_u32 s22, 0
	s_add_nc_u64 s[28:29], s[28:29], 32
	s_wait_kmcnt 0x0
	v_mul_hi_u32 v2, s49, v1
	s_delay_alu instid0(VALU_DEP_1) | instskip(NEXT) | instid1(VALU_DEP_1)
	v_add_nc_u32_e32 v2, v1, v2
	v_lshrrev_b32_e32 v2, s50, v2
	s_delay_alu instid0(VALU_DEP_1) | instskip(SKIP_1) | instid1(VALU_DEP_1)
	v_mul_hi_u32 v3, s52, v2
	v_mul_lo_u32 v8, v2, s48
	v_dual_add_nc_u32 v3, v2, v3 :: v_dual_sub_nc_u32 v8, v1, v8
	s_delay_alu instid0(VALU_DEP_1) | instskip(NEXT) | instid1(VALU_DEP_2)
	v_lshrrev_b32_e32 v1, s53, v3
	v_mad_u32 v6, v8, s41, v6
	v_mad_u32 v4, v8, s40, v4
	;; [unrolled: 1-line block ×4, first 2 shown]
	v_mul_lo_u32 v3, v1, s51
	s_delay_alu instid0(VALU_DEP_1) | instskip(NEXT) | instid1(VALU_DEP_1)
	v_sub_nc_u32_e32 v2, v2, v3
	v_mad_u32 v6, v2, s45, v6
	v_mad_u32 v4, v2, s44, v4
	;; [unrolled: 1-line block ×4, first 2 shown]
	s_cbranch_scc0 .LBB165_96
; %bb.97:
	s_bitcmp1_b32 s38, 0
	s_cselect_b32 s22, -1, 0
	s_delay_alu instid0(SALU_CYCLE_1)
	s_and_b32 vcc_lo, exec_lo, s22
	s_cbranch_vccnz .LBB165_101
; %bb.98:
	s_load_b96 s[44:46], s[30:31], 0x4
	s_load_b128 s[40:43], s[28:29], 0xe4
	s_wait_kmcnt 0x0
	v_mul_hi_u32 v2, s45, v1
	s_delay_alu instid0(VALU_DEP_1) | instskip(NEXT) | instid1(VALU_DEP_1)
	v_add_nc_u32_e32 v2, v1, v2
	v_lshrrev_b32_e32 v2, s46, v2
	s_delay_alu instid0(VALU_DEP_1) | instskip(NEXT) | instid1(VALU_DEP_1)
	v_mul_lo_u32 v2, v2, s44
	v_sub_nc_u32_e32 v1, v1, v2
	s_delay_alu instid0(VALU_DEP_1)
	v_mad_u32 v4, v1, s40, v4
	v_mad_u32 v6, v1, s41, v6
	;; [unrolled: 1-line block ×4, first 2 shown]
	s_branch .LBB165_101
.LBB165_99:
                                        ; implicit-def: $vgpr6
                                        ; implicit-def: $vgpr4
                                        ; implicit-def: $vgpr7
                                        ; implicit-def: $vgpr5
	s_branch .LBB165_102
.LBB165_100:
	v_dual_mov_b32 v6, 0 :: v_dual_mov_b32 v4, 0
	v_dual_mov_b32 v7, 0 :: v_dual_mov_b32 v5, 0
.LBB165_101:
	s_cbranch_execnz .LBB165_104
.LBB165_102:
	v_mov_b32_e32 v1, 0
	s_and_not1_b32 vcc_lo, exec_lo, s37
	s_delay_alu instid0(VALU_DEP_1) | instskip(NEXT) | instid1(VALU_DEP_1)
	v_mul_u64_e32 v[2:3], s[24:25], v[0:1]
	v_add_nc_u32_e32 v2, v0, v3
	s_delay_alu instid0(VALU_DEP_1) | instskip(NEXT) | instid1(VALU_DEP_1)
	v_lshrrev_b32_e32 v2, s18, v2
	v_mul_lo_u32 v3, v2, s16
	s_delay_alu instid0(VALU_DEP_1) | instskip(NEXT) | instid1(VALU_DEP_1)
	v_sub_nc_u32_e32 v0, v0, v3
	v_mul_lo_u32 v6, v0, s9
	v_mul_lo_u32 v4, v0, s8
	;; [unrolled: 1-line block ×4, first 2 shown]
	s_cbranch_vccnz .LBB165_104
; %bb.103:
	v_mov_b32_e32 v3, v1
	s_delay_alu instid0(VALU_DEP_1) | instskip(NEXT) | instid1(VALU_DEP_1)
	v_mul_u64_e32 v[0:1], s[26:27], v[2:3]
	v_add_nc_u32_e32 v0, v2, v1
	s_delay_alu instid0(VALU_DEP_1) | instskip(NEXT) | instid1(VALU_DEP_1)
	v_lshrrev_b32_e32 v0, s23, v0
	v_mul_lo_u32 v0, v0, s19
	s_delay_alu instid0(VALU_DEP_1) | instskip(NEXT) | instid1(VALU_DEP_1)
	v_sub_nc_u32_e32 v0, v2, v0
	v_mad_u32 v4, v0, s12, v4
	v_mad_u32 v6, v0, s13, v6
	;; [unrolled: 1-line block ×4, first 2 shown]
.LBB165_104:
	global_load_u16 v0, v5, s[4:5]
	global_load_u16 v1, v6, s[2:3]
	;; [unrolled: 1-line block ×3, first 2 shown]
	s_wait_loadcnt 0x1
	s_wait_xcnt 0x2
	v_dual_lshlrev_b32 v3, 16, v0 :: v_dual_lshlrev_b32 v5, 16, v1
	s_wait_loadcnt 0x0
	v_lshlrev_b32_e32 v7, 16, v2
	s_delay_alu instid0(VALU_DEP_2) | instskip(SKIP_1) | instid1(VALU_DEP_1)
	v_cmp_gt_f32_e32 vcc_lo, v5, v3
	v_cndmask_b32_e32 v6, v0, v1, vcc_lo
	v_lshlrev_b32_e32 v8, 16, v6
	s_delay_alu instid0(VALU_DEP_1) | instskip(SKIP_2) | instid1(VALU_DEP_2)
	v_cmp_lt_f32_e32 vcc_lo, v8, v7
	v_cndmask_b32_e32 v6, v2, v6, vcc_lo
	v_cmp_u_f32_e32 vcc_lo, v7, v7
	v_cndmask_b32_e32 v2, v6, v2, vcc_lo
	v_cmp_u_f32_e32 vcc_lo, v3, v3
	s_delay_alu instid0(VALU_DEP_2) | instskip(SKIP_1) | instid1(VALU_DEP_2)
	v_cndmask_b32_e32 v0, v2, v0, vcc_lo
	v_cmp_u_f32_e32 vcc_lo, v5, v5
	v_cndmask_b32_e32 v0, v0, v1, vcc_lo
	global_store_b16 v4, v0, s[0:1]
.LBB165_105:
	s_wait_xcnt 0x0
	s_or_b32 exec_lo, exec_lo, s17
                                        ; implicit-def: $vgpr6
                                        ; implicit-def: $vgpr0
.LBB165_106:
	s_and_not1_saveexec_b32 s0, s36
	s_cbranch_execz .LBB165_113
; %bb.107:
	v_cndmask_b32_e64 v11, 0, 1, s35
	s_and_not1_b32 vcc_lo, exec_lo, s35
	s_cbranch_vccnz .LBB165_114
; %bb.108:
	s_cmp_lg_u32 s33, 0
	s_mov_b32 s4, 0
	s_cbranch_scc0 .LBB165_118
; %bb.109:
	s_min_u32 s5, s34, 15
	v_dual_mov_b32 v3, 0 :: v_dual_mov_b32 v5, v0
	v_dual_mov_b32 v4, 0 :: v_dual_mov_b32 v1, 0
	v_mov_b32_e32 v2, 0
	s_add_co_i32 s2, s5, 1
	s_mov_b64 s[0:1], 0xffffffffffffffe0
	s_and_b32 s6, s2, 30
	s_add_nc_u64 s[0:1], s[20:21], s[0:1]
	s_mov_b64 s[2:3], s[20:21]
.LBB165_110:                            ; =>This Inner Loop Header: Depth=1
	s_clause 0x1
	s_load_b128 s[16:19], s[2:3], 0x4
	s_load_b64 s[22:23], s[2:3], 0x14
	s_load_b256 s[8:15], s[0:1], 0xe4
	s_add_co_i32 s6, s6, -2
	s_wait_xcnt 0x0
	s_add_nc_u64 s[2:3], s[2:3], 24
	s_cmp_lg_u32 s6, 0
	s_add_nc_u64 s[0:1], s[0:1], 32
	s_wait_kmcnt 0x0
	v_mul_hi_u32 v7, s17, v5
	s_delay_alu instid0(VALU_DEP_1) | instskip(NEXT) | instid1(VALU_DEP_1)
	v_add_nc_u32_e32 v7, v5, v7
	v_lshrrev_b32_e32 v7, s18, v7
	s_delay_alu instid0(VALU_DEP_1) | instskip(SKIP_1) | instid1(VALU_DEP_1)
	v_mul_hi_u32 v8, s22, v7
	v_mul_lo_u32 v9, v7, s16
	v_dual_add_nc_u32 v8, v7, v8 :: v_dual_sub_nc_u32 v9, v5, v9
	s_delay_alu instid0(VALU_DEP_1) | instskip(NEXT) | instid1(VALU_DEP_2)
	v_lshrrev_b32_e32 v5, s23, v8
	v_mad_u32 v2, v9, s9, v2
	v_mad_u32 v1, v9, s8, v1
	;; [unrolled: 1-line block ×4, first 2 shown]
	v_mul_lo_u32 v8, v5, s19
	s_delay_alu instid0(VALU_DEP_1) | instskip(NEXT) | instid1(VALU_DEP_1)
	v_sub_nc_u32_e32 v7, v7, v8
	v_mad_u32 v2, v7, s13, v2
	v_mad_u32 v1, v7, s12, v1
	;; [unrolled: 1-line block ×4, first 2 shown]
	s_cbranch_scc1 .LBB165_110
; %bb.111:
	s_bitcmp1_b32 s5, 0
	s_cselect_b32 s5, -1, 0
	s_delay_alu instid0(SALU_CYCLE_1)
	s_and_b32 vcc_lo, exec_lo, s5
	s_cbranch_vccnz .LBB165_115
; %bb.112:
	s_load_b96 s[12:14], s[2:3], 0x4
	s_load_b128 s[8:11], s[0:1], 0xe4
	s_wait_kmcnt 0x0
	v_mul_hi_u32 v7, s13, v5
	s_delay_alu instid0(VALU_DEP_1) | instskip(NEXT) | instid1(VALU_DEP_1)
	v_add_nc_u32_e32 v7, v5, v7
	v_lshrrev_b32_e32 v7, s14, v7
	s_delay_alu instid0(VALU_DEP_1) | instskip(NEXT) | instid1(VALU_DEP_1)
	v_mul_lo_u32 v7, v7, s12
	v_sub_nc_u32_e32 v5, v5, v7
	s_delay_alu instid0(VALU_DEP_1)
	v_mad_u32 v1, v5, s8, v1
	v_mad_u32 v2, v5, s9, v2
	;; [unrolled: 1-line block ×4, first 2 shown]
	s_and_not1_b32 vcc_lo, exec_lo, s4
	s_cbranch_vccz .LBB165_116
	s_branch .LBB165_119
.LBB165_113:
	s_endpgm
.LBB165_114:
	s_mov_b32 s4, -1
                                        ; implicit-def: $vgpr2
                                        ; implicit-def: $vgpr1
                                        ; implicit-def: $vgpr4
                                        ; implicit-def: $vgpr3
.LBB165_115:
	s_delay_alu instid0(SALU_CYCLE_1)
	s_and_not1_b32 vcc_lo, exec_lo, s4
	s_cbranch_vccnz .LBB165_119
.LBB165_116:
	s_clause 0x1
	s_load_b96 s[4:6], s[20:21], 0x4
	s_load_b128 s[0:3], s[20:21], 0xc4
	s_cmp_lt_u32 s33, 2
	s_wait_kmcnt 0x0
	v_mul_hi_u32 v1, s5, v0
	s_delay_alu instid0(VALU_DEP_1) | instskip(NEXT) | instid1(VALU_DEP_1)
	v_add_nc_u32_e32 v1, v0, v1
	v_lshrrev_b32_e32 v5, s6, v1
	s_delay_alu instid0(VALU_DEP_1) | instskip(NEXT) | instid1(VALU_DEP_1)
	v_mul_lo_u32 v1, v5, s4
	v_sub_nc_u32_e32 v3, v0, v1
	s_delay_alu instid0(VALU_DEP_1)
	v_mul_lo_u32 v2, v3, s1
	v_mul_lo_u32 v1, v3, s0
	;; [unrolled: 1-line block ×4, first 2 shown]
	s_cbranch_scc1 .LBB165_119
; %bb.117:
	s_clause 0x1
	s_load_b96 s[4:6], s[20:21], 0x10
	s_load_b128 s[0:3], s[20:21], 0xd4
	s_wait_kmcnt 0x0
	v_mul_hi_u32 v7, s5, v5
	s_delay_alu instid0(VALU_DEP_1) | instskip(NEXT) | instid1(VALU_DEP_1)
	v_add_nc_u32_e32 v7, v5, v7
	v_lshrrev_b32_e32 v7, s6, v7
	s_delay_alu instid0(VALU_DEP_1) | instskip(NEXT) | instid1(VALU_DEP_1)
	v_mul_lo_u32 v7, v7, s4
	v_sub_nc_u32_e32 v5, v5, v7
	s_delay_alu instid0(VALU_DEP_1)
	v_mad_u32 v1, v5, s0, v1
	v_mad_u32 v2, v5, s1, v2
	;; [unrolled: 1-line block ×4, first 2 shown]
	s_branch .LBB165_119
.LBB165_118:
	v_dual_mov_b32 v2, 0 :: v_dual_mov_b32 v1, 0
	v_dual_mov_b32 v4, 0 :: v_dual_mov_b32 v3, 0
	s_and_not1_b32 vcc_lo, exec_lo, s4
	s_cbranch_vccz .LBB165_116
.LBB165_119:
	v_cmp_ne_u32_e32 vcc_lo, 1, v11
	v_add_nc_u32_e32 v10, 0x80, v0
	s_cbranch_vccnz .LBB165_125
; %bb.120:
	s_cmp_lg_u32 s33, 0
	s_mov_b32 s4, 0
	s_cbranch_scc0 .LBB165_129
; %bb.121:
	s_min_u32 s5, s34, 15
	v_dual_mov_b32 v7, 0 :: v_dual_mov_b32 v12, v10
	v_dual_mov_b32 v9, 0 :: v_dual_mov_b32 v5, 0
	v_mov_b32_e32 v8, 0
	s_add_co_i32 s2, s5, 1
	s_mov_b64 s[0:1], 0xffffffffffffffe0
	s_and_b32 s6, s2, 30
	s_add_nc_u64 s[0:1], s[20:21], s[0:1]
	s_mov_b64 s[2:3], s[20:21]
.LBB165_122:                            ; =>This Inner Loop Header: Depth=1
	s_clause 0x1
	s_load_b128 s[16:19], s[2:3], 0x4
	s_load_b64 s[22:23], s[2:3], 0x14
	s_load_b256 s[8:15], s[0:1], 0xe4
	s_add_co_i32 s6, s6, -2
	s_wait_xcnt 0x0
	s_add_nc_u64 s[2:3], s[2:3], 24
	s_cmp_lg_u32 s6, 0
	s_add_nc_u64 s[0:1], s[0:1], 32
	s_wait_kmcnt 0x0
	v_mul_hi_u32 v13, s17, v12
	s_delay_alu instid0(VALU_DEP_1) | instskip(NEXT) | instid1(VALU_DEP_1)
	v_add_nc_u32_e32 v13, v12, v13
	v_lshrrev_b32_e32 v13, s18, v13
	s_delay_alu instid0(VALU_DEP_1) | instskip(SKIP_1) | instid1(VALU_DEP_1)
	v_mul_hi_u32 v14, s22, v13
	v_mul_lo_u32 v15, v13, s16
	v_dual_add_nc_u32 v14, v13, v14 :: v_dual_sub_nc_u32 v15, v12, v15
	s_delay_alu instid0(VALU_DEP_1) | instskip(NEXT) | instid1(VALU_DEP_2)
	v_lshrrev_b32_e32 v12, s23, v14
	v_mad_u32 v8, v15, s9, v8
	v_mad_u32 v5, v15, s8, v5
	;; [unrolled: 1-line block ×4, first 2 shown]
	v_mul_lo_u32 v14, v12, s19
	s_delay_alu instid0(VALU_DEP_1) | instskip(NEXT) | instid1(VALU_DEP_1)
	v_sub_nc_u32_e32 v13, v13, v14
	v_mad_u32 v8, v13, s13, v8
	v_mad_u32 v5, v13, s12, v5
	;; [unrolled: 1-line block ×4, first 2 shown]
	s_cbranch_scc1 .LBB165_122
; %bb.123:
	s_bitcmp1_b32 s5, 0
	s_cselect_b32 s5, -1, 0
	s_delay_alu instid0(SALU_CYCLE_1)
	s_and_b32 vcc_lo, exec_lo, s5
	s_cbranch_vccnz .LBB165_126
; %bb.124:
	s_load_b96 s[12:14], s[2:3], 0x4
	s_load_b128 s[8:11], s[0:1], 0xe4
	s_wait_kmcnt 0x0
	v_mul_hi_u32 v13, s13, v12
	s_delay_alu instid0(VALU_DEP_1) | instskip(NEXT) | instid1(VALU_DEP_1)
	v_add_nc_u32_e32 v13, v12, v13
	v_lshrrev_b32_e32 v13, s14, v13
	s_delay_alu instid0(VALU_DEP_1) | instskip(NEXT) | instid1(VALU_DEP_1)
	v_mul_lo_u32 v13, v13, s12
	v_sub_nc_u32_e32 v12, v12, v13
	s_delay_alu instid0(VALU_DEP_1)
	v_mad_u32 v5, v12, s8, v5
	v_mad_u32 v8, v12, s9, v8
	;; [unrolled: 1-line block ×4, first 2 shown]
	s_and_not1_b32 vcc_lo, exec_lo, s4
	s_cbranch_vccz .LBB165_127
	s_branch .LBB165_130
.LBB165_125:
	s_mov_b32 s4, -1
                                        ; implicit-def: $vgpr8
                                        ; implicit-def: $vgpr5
                                        ; implicit-def: $vgpr9
                                        ; implicit-def: $vgpr7
.LBB165_126:
	s_delay_alu instid0(SALU_CYCLE_1)
	s_and_not1_b32 vcc_lo, exec_lo, s4
	s_cbranch_vccnz .LBB165_130
.LBB165_127:
	s_clause 0x1
	s_load_b96 s[4:6], s[20:21], 0x4
	s_load_b128 s[0:3], s[20:21], 0xc4
	s_cmp_lt_u32 s33, 2
	s_wait_kmcnt 0x0
	v_mul_hi_u32 v5, s5, v10
	s_delay_alu instid0(VALU_DEP_1) | instskip(NEXT) | instid1(VALU_DEP_1)
	v_add_nc_u32_e32 v5, v10, v5
	v_lshrrev_b32_e32 v12, s6, v5
	s_delay_alu instid0(VALU_DEP_1) | instskip(NEXT) | instid1(VALU_DEP_1)
	v_mul_lo_u32 v5, v12, s4
	v_sub_nc_u32_e32 v7, v10, v5
	s_delay_alu instid0(VALU_DEP_1)
	v_mul_lo_u32 v8, v7, s1
	v_mul_lo_u32 v5, v7, s0
	;; [unrolled: 1-line block ×4, first 2 shown]
	s_cbranch_scc1 .LBB165_130
; %bb.128:
	s_clause 0x1
	s_load_b96 s[4:6], s[20:21], 0x10
	s_load_b128 s[0:3], s[20:21], 0xd4
	s_wait_kmcnt 0x0
	v_mul_hi_u32 v10, s5, v12
	s_delay_alu instid0(VALU_DEP_1) | instskip(NEXT) | instid1(VALU_DEP_1)
	v_add_nc_u32_e32 v10, v12, v10
	v_lshrrev_b32_e32 v10, s6, v10
	s_delay_alu instid0(VALU_DEP_1) | instskip(NEXT) | instid1(VALU_DEP_1)
	v_mul_lo_u32 v10, v10, s4
	v_sub_nc_u32_e32 v10, v12, v10
	s_delay_alu instid0(VALU_DEP_1)
	v_mad_u32 v5, v10, s0, v5
	v_mad_u32 v8, v10, s1, v8
	;; [unrolled: 1-line block ×4, first 2 shown]
	s_branch .LBB165_130
.LBB165_129:
	v_dual_mov_b32 v8, 0 :: v_dual_mov_b32 v5, 0
	v_dual_mov_b32 v9, 0 :: v_dual_mov_b32 v7, 0
	s_and_not1_b32 vcc_lo, exec_lo, s4
	s_cbranch_vccz .LBB165_127
.LBB165_130:
	v_cmp_ne_u32_e32 vcc_lo, 1, v11
	v_add_nc_u32_e32 v15, 0x100, v0
	s_cbranch_vccnz .LBB165_136
; %bb.131:
	s_cmp_lg_u32 s33, 0
	s_mov_b32 s4, 0
	s_cbranch_scc0 .LBB165_140
; %bb.132:
	s_min_u32 s5, s34, 15
	v_dual_mov_b32 v14, 0 :: v_dual_mov_b32 v16, v15
	v_dual_mov_b32 v13, 0 :: v_dual_mov_b32 v10, 0
	v_mov_b32_e32 v12, 0
	s_add_co_i32 s2, s5, 1
	s_mov_b64 s[0:1], 0xffffffffffffffe0
	s_and_b32 s6, s2, 30
	s_add_nc_u64 s[0:1], s[20:21], s[0:1]
	s_mov_b64 s[2:3], s[20:21]
.LBB165_133:                            ; =>This Inner Loop Header: Depth=1
	s_clause 0x1
	s_load_b128 s[16:19], s[2:3], 0x4
	s_load_b64 s[22:23], s[2:3], 0x14
	s_load_b256 s[8:15], s[0:1], 0xe4
	s_add_co_i32 s6, s6, -2
	s_wait_xcnt 0x0
	s_add_nc_u64 s[2:3], s[2:3], 24
	s_cmp_lg_u32 s6, 0
	s_add_nc_u64 s[0:1], s[0:1], 32
	s_wait_kmcnt 0x0
	v_mul_hi_u32 v17, s17, v16
	s_delay_alu instid0(VALU_DEP_1) | instskip(NEXT) | instid1(VALU_DEP_1)
	v_add_nc_u32_e32 v17, v16, v17
	v_lshrrev_b32_e32 v17, s18, v17
	s_delay_alu instid0(VALU_DEP_1) | instskip(SKIP_1) | instid1(VALU_DEP_1)
	v_mul_hi_u32 v18, s22, v17
	v_mul_lo_u32 v19, v17, s16
	v_dual_add_nc_u32 v18, v17, v18 :: v_dual_sub_nc_u32 v19, v16, v19
	s_delay_alu instid0(VALU_DEP_1) | instskip(NEXT) | instid1(VALU_DEP_2)
	v_lshrrev_b32_e32 v16, s23, v18
	v_mad_u32 v12, v19, s9, v12
	v_mad_u32 v10, v19, s8, v10
	;; [unrolled: 1-line block ×4, first 2 shown]
	v_mul_lo_u32 v18, v16, s19
	s_delay_alu instid0(VALU_DEP_1) | instskip(NEXT) | instid1(VALU_DEP_1)
	v_sub_nc_u32_e32 v17, v17, v18
	v_mad_u32 v12, v17, s13, v12
	v_mad_u32 v10, v17, s12, v10
	;; [unrolled: 1-line block ×4, first 2 shown]
	s_cbranch_scc1 .LBB165_133
; %bb.134:
	s_bitcmp1_b32 s5, 0
	s_cselect_b32 s5, -1, 0
	s_delay_alu instid0(SALU_CYCLE_1)
	s_and_b32 vcc_lo, exec_lo, s5
	s_cbranch_vccnz .LBB165_137
; %bb.135:
	s_load_b96 s[12:14], s[2:3], 0x4
	s_load_b128 s[8:11], s[0:1], 0xe4
	s_wait_kmcnt 0x0
	v_mul_hi_u32 v17, s13, v16
	s_delay_alu instid0(VALU_DEP_1) | instskip(NEXT) | instid1(VALU_DEP_1)
	v_add_nc_u32_e32 v17, v16, v17
	v_lshrrev_b32_e32 v17, s14, v17
	s_delay_alu instid0(VALU_DEP_1) | instskip(NEXT) | instid1(VALU_DEP_1)
	v_mul_lo_u32 v17, v17, s12
	v_sub_nc_u32_e32 v16, v16, v17
	s_delay_alu instid0(VALU_DEP_1)
	v_mad_u32 v10, v16, s8, v10
	v_mad_u32 v12, v16, s9, v12
	;; [unrolled: 1-line block ×4, first 2 shown]
	s_and_not1_b32 vcc_lo, exec_lo, s4
	s_cbranch_vccz .LBB165_138
	s_branch .LBB165_141
.LBB165_136:
	s_mov_b32 s4, -1
                                        ; implicit-def: $vgpr12
                                        ; implicit-def: $vgpr10
                                        ; implicit-def: $vgpr13
                                        ; implicit-def: $vgpr14
.LBB165_137:
	s_delay_alu instid0(SALU_CYCLE_1)
	s_and_not1_b32 vcc_lo, exec_lo, s4
	s_cbranch_vccnz .LBB165_141
.LBB165_138:
	s_clause 0x1
	s_load_b96 s[4:6], s[20:21], 0x4
	s_load_b128 s[0:3], s[20:21], 0xc4
	s_cmp_lt_u32 s33, 2
	s_wait_kmcnt 0x0
	v_mul_hi_u32 v10, s5, v15
	s_delay_alu instid0(VALU_DEP_1) | instskip(NEXT) | instid1(VALU_DEP_1)
	v_add_nc_u32_e32 v10, v15, v10
	v_lshrrev_b32_e32 v16, s6, v10
	s_delay_alu instid0(VALU_DEP_1) | instskip(NEXT) | instid1(VALU_DEP_1)
	v_mul_lo_u32 v10, v16, s4
	v_sub_nc_u32_e32 v14, v15, v10
	s_delay_alu instid0(VALU_DEP_1)
	v_mul_lo_u32 v12, v14, s1
	v_mul_lo_u32 v10, v14, s0
	;; [unrolled: 1-line block ×4, first 2 shown]
	s_cbranch_scc1 .LBB165_141
; %bb.139:
	s_clause 0x1
	s_load_b96 s[4:6], s[20:21], 0x10
	s_load_b128 s[0:3], s[20:21], 0xd4
	s_wait_kmcnt 0x0
	v_mul_hi_u32 v15, s5, v16
	s_delay_alu instid0(VALU_DEP_1) | instskip(NEXT) | instid1(VALU_DEP_1)
	v_add_nc_u32_e32 v15, v16, v15
	v_lshrrev_b32_e32 v15, s6, v15
	s_delay_alu instid0(VALU_DEP_1) | instskip(NEXT) | instid1(VALU_DEP_1)
	v_mul_lo_u32 v15, v15, s4
	v_sub_nc_u32_e32 v15, v16, v15
	s_delay_alu instid0(VALU_DEP_1)
	v_mad_u32 v10, v15, s0, v10
	v_mad_u32 v12, v15, s1, v12
	v_mad_u32 v14, v15, s2, v14
	v_mad_u32 v13, v15, s3, v13
	s_branch .LBB165_141
.LBB165_140:
	v_dual_mov_b32 v12, 0 :: v_dual_mov_b32 v10, 0
	v_dual_mov_b32 v13, 0 :: v_dual_mov_b32 v14, 0
	s_and_not1_b32 vcc_lo, exec_lo, s4
	s_cbranch_vccz .LBB165_138
.LBB165_141:
	v_cmp_ne_u32_e32 vcc_lo, 1, v11
	v_add_nc_u32_e32 v19, 0x180, v0
	s_cbranch_vccnz .LBB165_147
; %bb.142:
	s_cmp_lg_u32 s33, 0
	s_mov_b32 s4, 0
	s_cbranch_scc0 .LBB165_151
; %bb.143:
	s_min_u32 s5, s34, 15
	v_dual_mov_b32 v18, 0 :: v_dual_mov_b32 v20, v19
	v_dual_mov_b32 v17, 0 :: v_dual_mov_b32 v15, 0
	v_mov_b32_e32 v16, 0
	s_add_co_i32 s2, s5, 1
	s_mov_b64 s[0:1], 0xffffffffffffffe0
	s_and_b32 s6, s2, 30
	s_add_nc_u64 s[0:1], s[20:21], s[0:1]
	s_mov_b64 s[2:3], s[20:21]
.LBB165_144:                            ; =>This Inner Loop Header: Depth=1
	s_clause 0x1
	s_load_b128 s[16:19], s[2:3], 0x4
	s_load_b64 s[22:23], s[2:3], 0x14
	s_load_b256 s[8:15], s[0:1], 0xe4
	s_add_co_i32 s6, s6, -2
	s_wait_xcnt 0x0
	s_add_nc_u64 s[2:3], s[2:3], 24
	s_cmp_lg_u32 s6, 0
	s_add_nc_u64 s[0:1], s[0:1], 32
	s_wait_kmcnt 0x0
	v_mul_hi_u32 v21, s17, v20
	s_delay_alu instid0(VALU_DEP_1) | instskip(NEXT) | instid1(VALU_DEP_1)
	v_add_nc_u32_e32 v21, v20, v21
	v_lshrrev_b32_e32 v21, s18, v21
	s_delay_alu instid0(VALU_DEP_1) | instskip(SKIP_1) | instid1(VALU_DEP_1)
	v_mul_hi_u32 v22, s22, v21
	v_mul_lo_u32 v23, v21, s16
	v_dual_add_nc_u32 v22, v21, v22 :: v_dual_sub_nc_u32 v23, v20, v23
	s_delay_alu instid0(VALU_DEP_1) | instskip(NEXT) | instid1(VALU_DEP_2)
	v_lshrrev_b32_e32 v20, s23, v22
	v_mad_u32 v16, v23, s9, v16
	v_mad_u32 v15, v23, s8, v15
	;; [unrolled: 1-line block ×4, first 2 shown]
	v_mul_lo_u32 v22, v20, s19
	s_delay_alu instid0(VALU_DEP_1) | instskip(NEXT) | instid1(VALU_DEP_1)
	v_sub_nc_u32_e32 v21, v21, v22
	v_mad_u32 v16, v21, s13, v16
	v_mad_u32 v15, v21, s12, v15
	v_mad_u32 v17, v21, s15, v17
	v_mad_u32 v18, v21, s14, v18
	s_cbranch_scc1 .LBB165_144
; %bb.145:
	s_bitcmp1_b32 s5, 0
	s_cselect_b32 s5, -1, 0
	s_delay_alu instid0(SALU_CYCLE_1)
	s_and_b32 vcc_lo, exec_lo, s5
	s_cbranch_vccnz .LBB165_148
; %bb.146:
	s_load_b96 s[12:14], s[2:3], 0x4
	s_load_b128 s[8:11], s[0:1], 0xe4
	s_wait_kmcnt 0x0
	v_mul_hi_u32 v21, s13, v20
	s_delay_alu instid0(VALU_DEP_1) | instskip(NEXT) | instid1(VALU_DEP_1)
	v_add_nc_u32_e32 v21, v20, v21
	v_lshrrev_b32_e32 v21, s14, v21
	s_delay_alu instid0(VALU_DEP_1) | instskip(NEXT) | instid1(VALU_DEP_1)
	v_mul_lo_u32 v21, v21, s12
	v_sub_nc_u32_e32 v20, v20, v21
	s_delay_alu instid0(VALU_DEP_1)
	v_mad_u32 v15, v20, s8, v15
	v_mad_u32 v16, v20, s9, v16
	;; [unrolled: 1-line block ×4, first 2 shown]
	s_and_not1_b32 vcc_lo, exec_lo, s4
	s_cbranch_vccz .LBB165_149
	s_branch .LBB165_152
.LBB165_147:
	s_mov_b32 s4, -1
                                        ; implicit-def: $vgpr16
                                        ; implicit-def: $vgpr15
                                        ; implicit-def: $vgpr17
                                        ; implicit-def: $vgpr18
.LBB165_148:
	s_delay_alu instid0(SALU_CYCLE_1)
	s_and_not1_b32 vcc_lo, exec_lo, s4
	s_cbranch_vccnz .LBB165_152
.LBB165_149:
	s_clause 0x1
	s_load_b96 s[4:6], s[20:21], 0x4
	s_load_b128 s[0:3], s[20:21], 0xc4
	s_cmp_lt_u32 s33, 2
	s_wait_kmcnt 0x0
	v_mul_hi_u32 v15, s5, v19
	s_delay_alu instid0(VALU_DEP_1) | instskip(NEXT) | instid1(VALU_DEP_1)
	v_add_nc_u32_e32 v15, v19, v15
	v_lshrrev_b32_e32 v20, s6, v15
	s_delay_alu instid0(VALU_DEP_1) | instskip(NEXT) | instid1(VALU_DEP_1)
	v_mul_lo_u32 v15, v20, s4
	v_sub_nc_u32_e32 v18, v19, v15
	s_delay_alu instid0(VALU_DEP_1)
	v_mul_lo_u32 v16, v18, s1
	v_mul_lo_u32 v15, v18, s0
	v_mul_lo_u32 v17, v18, s3
	v_mul_lo_u32 v18, v18, s2
	s_cbranch_scc1 .LBB165_152
; %bb.150:
	s_clause 0x1
	s_load_b96 s[4:6], s[20:21], 0x10
	s_load_b128 s[0:3], s[20:21], 0xd4
	s_wait_kmcnt 0x0
	v_mul_hi_u32 v19, s5, v20
	s_delay_alu instid0(VALU_DEP_1) | instskip(NEXT) | instid1(VALU_DEP_1)
	v_add_nc_u32_e32 v19, v20, v19
	v_lshrrev_b32_e32 v19, s6, v19
	s_delay_alu instid0(VALU_DEP_1) | instskip(NEXT) | instid1(VALU_DEP_1)
	v_mul_lo_u32 v19, v19, s4
	v_sub_nc_u32_e32 v19, v20, v19
	s_delay_alu instid0(VALU_DEP_1)
	v_mad_u32 v15, v19, s0, v15
	v_mad_u32 v16, v19, s1, v16
	;; [unrolled: 1-line block ×4, first 2 shown]
	s_branch .LBB165_152
.LBB165_151:
	v_dual_mov_b32 v16, 0 :: v_dual_mov_b32 v15, 0
	v_dual_mov_b32 v17, 0 :: v_dual_mov_b32 v18, 0
	s_and_not1_b32 vcc_lo, exec_lo, s4
	s_cbranch_vccz .LBB165_149
.LBB165_152:
	v_cmp_ne_u32_e32 vcc_lo, 1, v11
	v_add_nc_u32_e32 v23, 0x200, v0
	s_cbranch_vccnz .LBB165_158
; %bb.153:
	s_cmp_lg_u32 s33, 0
	s_mov_b32 s4, 0
	s_cbranch_scc0 .LBB165_162
; %bb.154:
	s_min_u32 s5, s34, 15
	v_dual_mov_b32 v21, 0 :: v_dual_mov_b32 v24, v23
	v_dual_mov_b32 v22, 0 :: v_dual_mov_b32 v19, 0
	v_mov_b32_e32 v20, 0
	s_add_co_i32 s2, s5, 1
	s_mov_b64 s[0:1], 0xffffffffffffffe0
	s_and_b32 s6, s2, 30
	s_add_nc_u64 s[0:1], s[20:21], s[0:1]
	s_mov_b64 s[2:3], s[20:21]
.LBB165_155:                            ; =>This Inner Loop Header: Depth=1
	s_clause 0x1
	s_load_b128 s[16:19], s[2:3], 0x4
	s_load_b64 s[22:23], s[2:3], 0x14
	s_load_b256 s[8:15], s[0:1], 0xe4
	s_add_co_i32 s6, s6, -2
	s_wait_xcnt 0x0
	s_add_nc_u64 s[2:3], s[2:3], 24
	s_cmp_lg_u32 s6, 0
	s_add_nc_u64 s[0:1], s[0:1], 32
	s_wait_kmcnt 0x0
	v_mul_hi_u32 v25, s17, v24
	s_delay_alu instid0(VALU_DEP_1) | instskip(NEXT) | instid1(VALU_DEP_1)
	v_add_nc_u32_e32 v25, v24, v25
	v_lshrrev_b32_e32 v25, s18, v25
	s_delay_alu instid0(VALU_DEP_1) | instskip(SKIP_1) | instid1(VALU_DEP_1)
	v_mul_hi_u32 v26, s22, v25
	v_mul_lo_u32 v27, v25, s16
	v_dual_add_nc_u32 v26, v25, v26 :: v_dual_sub_nc_u32 v27, v24, v27
	s_delay_alu instid0(VALU_DEP_1) | instskip(NEXT) | instid1(VALU_DEP_2)
	v_lshrrev_b32_e32 v24, s23, v26
	v_mad_u32 v20, v27, s9, v20
	v_mad_u32 v19, v27, s8, v19
	v_mad_u32 v22, v27, s11, v22
	v_mad_u32 v21, v27, s10, v21
	v_mul_lo_u32 v26, v24, s19
	s_delay_alu instid0(VALU_DEP_1) | instskip(NEXT) | instid1(VALU_DEP_1)
	v_sub_nc_u32_e32 v25, v25, v26
	v_mad_u32 v20, v25, s13, v20
	v_mad_u32 v19, v25, s12, v19
	;; [unrolled: 1-line block ×4, first 2 shown]
	s_cbranch_scc1 .LBB165_155
; %bb.156:
	s_bitcmp1_b32 s5, 0
	s_cselect_b32 s5, -1, 0
	s_delay_alu instid0(SALU_CYCLE_1)
	s_and_b32 vcc_lo, exec_lo, s5
	s_cbranch_vccnz .LBB165_159
; %bb.157:
	s_load_b96 s[12:14], s[2:3], 0x4
	s_load_b128 s[8:11], s[0:1], 0xe4
	s_wait_kmcnt 0x0
	v_mul_hi_u32 v25, s13, v24
	s_delay_alu instid0(VALU_DEP_1) | instskip(NEXT) | instid1(VALU_DEP_1)
	v_add_nc_u32_e32 v25, v24, v25
	v_lshrrev_b32_e32 v25, s14, v25
	s_delay_alu instid0(VALU_DEP_1) | instskip(NEXT) | instid1(VALU_DEP_1)
	v_mul_lo_u32 v25, v25, s12
	v_sub_nc_u32_e32 v24, v24, v25
	s_delay_alu instid0(VALU_DEP_1)
	v_mad_u32 v19, v24, s8, v19
	v_mad_u32 v20, v24, s9, v20
	;; [unrolled: 1-line block ×4, first 2 shown]
	s_and_not1_b32 vcc_lo, exec_lo, s4
	s_cbranch_vccz .LBB165_160
	s_branch .LBB165_163
.LBB165_158:
	s_mov_b32 s4, -1
                                        ; implicit-def: $vgpr20
                                        ; implicit-def: $vgpr19
                                        ; implicit-def: $vgpr22
                                        ; implicit-def: $vgpr21
.LBB165_159:
	s_delay_alu instid0(SALU_CYCLE_1)
	s_and_not1_b32 vcc_lo, exec_lo, s4
	s_cbranch_vccnz .LBB165_163
.LBB165_160:
	s_clause 0x1
	s_load_b96 s[4:6], s[20:21], 0x4
	s_load_b128 s[0:3], s[20:21], 0xc4
	s_cmp_lt_u32 s33, 2
	s_wait_kmcnt 0x0
	v_mul_hi_u32 v19, s5, v23
	s_delay_alu instid0(VALU_DEP_1) | instskip(NEXT) | instid1(VALU_DEP_1)
	v_add_nc_u32_e32 v19, v23, v19
	v_lshrrev_b32_e32 v24, s6, v19
	s_delay_alu instid0(VALU_DEP_1) | instskip(NEXT) | instid1(VALU_DEP_1)
	v_mul_lo_u32 v19, v24, s4
	v_sub_nc_u32_e32 v21, v23, v19
	s_delay_alu instid0(VALU_DEP_1)
	v_mul_lo_u32 v20, v21, s1
	v_mul_lo_u32 v19, v21, s0
	;; [unrolled: 1-line block ×4, first 2 shown]
	s_cbranch_scc1 .LBB165_163
; %bb.161:
	s_clause 0x1
	s_load_b96 s[4:6], s[20:21], 0x10
	s_load_b128 s[0:3], s[20:21], 0xd4
	s_wait_kmcnt 0x0
	v_mul_hi_u32 v23, s5, v24
	s_delay_alu instid0(VALU_DEP_1) | instskip(NEXT) | instid1(VALU_DEP_1)
	v_add_nc_u32_e32 v23, v24, v23
	v_lshrrev_b32_e32 v23, s6, v23
	s_delay_alu instid0(VALU_DEP_1) | instskip(NEXT) | instid1(VALU_DEP_1)
	v_mul_lo_u32 v23, v23, s4
	v_sub_nc_u32_e32 v23, v24, v23
	s_delay_alu instid0(VALU_DEP_1)
	v_mad_u32 v19, v23, s0, v19
	v_mad_u32 v20, v23, s1, v20
	;; [unrolled: 1-line block ×4, first 2 shown]
	s_branch .LBB165_163
.LBB165_162:
	v_dual_mov_b32 v20, 0 :: v_dual_mov_b32 v19, 0
	v_dual_mov_b32 v22, 0 :: v_dual_mov_b32 v21, 0
	s_and_not1_b32 vcc_lo, exec_lo, s4
	s_cbranch_vccz .LBB165_160
.LBB165_163:
	v_cmp_ne_u32_e32 vcc_lo, 1, v11
	v_add_nc_u32_e32 v27, 0x280, v0
	s_cbranch_vccnz .LBB165_169
; %bb.164:
	s_cmp_lg_u32 s33, 0
	s_mov_b32 s4, 0
	s_cbranch_scc0 .LBB165_173
; %bb.165:
	s_min_u32 s5, s34, 15
	v_dual_mov_b32 v24, 0 :: v_dual_mov_b32 v28, v27
	v_dual_mov_b32 v26, 0 :: v_dual_mov_b32 v23, 0
	v_mov_b32_e32 v25, 0
	s_add_co_i32 s2, s5, 1
	s_mov_b64 s[0:1], 0xffffffffffffffe0
	s_and_b32 s6, s2, 30
	s_add_nc_u64 s[0:1], s[20:21], s[0:1]
	s_mov_b64 s[2:3], s[20:21]
.LBB165_166:                            ; =>This Inner Loop Header: Depth=1
	s_clause 0x1
	s_load_b128 s[16:19], s[2:3], 0x4
	s_load_b64 s[22:23], s[2:3], 0x14
	s_load_b256 s[8:15], s[0:1], 0xe4
	s_add_co_i32 s6, s6, -2
	s_wait_xcnt 0x0
	s_add_nc_u64 s[2:3], s[2:3], 24
	s_cmp_lg_u32 s6, 0
	s_add_nc_u64 s[0:1], s[0:1], 32
	s_wait_kmcnt 0x0
	v_mul_hi_u32 v29, s17, v28
	s_delay_alu instid0(VALU_DEP_1) | instskip(NEXT) | instid1(VALU_DEP_1)
	v_add_nc_u32_e32 v29, v28, v29
	v_lshrrev_b32_e32 v29, s18, v29
	s_delay_alu instid0(VALU_DEP_1) | instskip(SKIP_1) | instid1(VALU_DEP_1)
	v_mul_hi_u32 v30, s22, v29
	v_mul_lo_u32 v31, v29, s16
	v_dual_add_nc_u32 v30, v29, v30 :: v_dual_sub_nc_u32 v31, v28, v31
	s_delay_alu instid0(VALU_DEP_1) | instskip(NEXT) | instid1(VALU_DEP_2)
	v_lshrrev_b32_e32 v28, s23, v30
	v_mad_u32 v25, v31, s9, v25
	v_mad_u32 v23, v31, s8, v23
	v_mad_u32 v26, v31, s11, v26
	v_mad_u32 v24, v31, s10, v24
	v_mul_lo_u32 v30, v28, s19
	s_delay_alu instid0(VALU_DEP_1) | instskip(NEXT) | instid1(VALU_DEP_1)
	v_sub_nc_u32_e32 v29, v29, v30
	v_mad_u32 v25, v29, s13, v25
	v_mad_u32 v23, v29, s12, v23
	;; [unrolled: 1-line block ×4, first 2 shown]
	s_cbranch_scc1 .LBB165_166
; %bb.167:
	s_bitcmp1_b32 s5, 0
	s_cselect_b32 s5, -1, 0
	s_delay_alu instid0(SALU_CYCLE_1)
	s_and_b32 vcc_lo, exec_lo, s5
	s_cbranch_vccnz .LBB165_170
; %bb.168:
	s_load_b96 s[12:14], s[2:3], 0x4
	s_load_b128 s[8:11], s[0:1], 0xe4
	s_wait_kmcnt 0x0
	v_mul_hi_u32 v29, s13, v28
	s_delay_alu instid0(VALU_DEP_1) | instskip(NEXT) | instid1(VALU_DEP_1)
	v_add_nc_u32_e32 v29, v28, v29
	v_lshrrev_b32_e32 v29, s14, v29
	s_delay_alu instid0(VALU_DEP_1) | instskip(NEXT) | instid1(VALU_DEP_1)
	v_mul_lo_u32 v29, v29, s12
	v_sub_nc_u32_e32 v28, v28, v29
	s_delay_alu instid0(VALU_DEP_1)
	v_mad_u32 v23, v28, s8, v23
	v_mad_u32 v25, v28, s9, v25
	;; [unrolled: 1-line block ×4, first 2 shown]
	s_and_not1_b32 vcc_lo, exec_lo, s4
	s_cbranch_vccz .LBB165_171
	s_branch .LBB165_174
.LBB165_169:
	s_mov_b32 s4, -1
                                        ; implicit-def: $vgpr25
                                        ; implicit-def: $vgpr23
                                        ; implicit-def: $vgpr26
                                        ; implicit-def: $vgpr24
.LBB165_170:
	s_delay_alu instid0(SALU_CYCLE_1)
	s_and_not1_b32 vcc_lo, exec_lo, s4
	s_cbranch_vccnz .LBB165_174
.LBB165_171:
	s_clause 0x1
	s_load_b96 s[4:6], s[20:21], 0x4
	s_load_b128 s[0:3], s[20:21], 0xc4
	s_cmp_lt_u32 s33, 2
	s_wait_kmcnt 0x0
	v_mul_hi_u32 v23, s5, v27
	s_delay_alu instid0(VALU_DEP_1) | instskip(NEXT) | instid1(VALU_DEP_1)
	v_add_nc_u32_e32 v23, v27, v23
	v_lshrrev_b32_e32 v28, s6, v23
	s_delay_alu instid0(VALU_DEP_1) | instskip(NEXT) | instid1(VALU_DEP_1)
	v_mul_lo_u32 v23, v28, s4
	v_sub_nc_u32_e32 v24, v27, v23
	s_delay_alu instid0(VALU_DEP_1)
	v_mul_lo_u32 v25, v24, s1
	v_mul_lo_u32 v23, v24, s0
	;; [unrolled: 1-line block ×4, first 2 shown]
	s_cbranch_scc1 .LBB165_174
; %bb.172:
	s_clause 0x1
	s_load_b96 s[4:6], s[20:21], 0x10
	s_load_b128 s[0:3], s[20:21], 0xd4
	s_wait_kmcnt 0x0
	v_mul_hi_u32 v27, s5, v28
	s_delay_alu instid0(VALU_DEP_1) | instskip(NEXT) | instid1(VALU_DEP_1)
	v_add_nc_u32_e32 v27, v28, v27
	v_lshrrev_b32_e32 v27, s6, v27
	s_delay_alu instid0(VALU_DEP_1) | instskip(NEXT) | instid1(VALU_DEP_1)
	v_mul_lo_u32 v27, v27, s4
	v_sub_nc_u32_e32 v27, v28, v27
	s_delay_alu instid0(VALU_DEP_1)
	v_mad_u32 v23, v27, s0, v23
	v_mad_u32 v25, v27, s1, v25
	;; [unrolled: 1-line block ×4, first 2 shown]
	s_branch .LBB165_174
.LBB165_173:
	v_dual_mov_b32 v25, 0 :: v_dual_mov_b32 v23, 0
	v_dual_mov_b32 v26, 0 :: v_dual_mov_b32 v24, 0
	s_and_not1_b32 vcc_lo, exec_lo, s4
	s_cbranch_vccz .LBB165_171
.LBB165_174:
	v_cmp_ne_u32_e32 vcc_lo, 1, v11
	v_add_nc_u32_e32 v30, 0x300, v0
	s_cbranch_vccnz .LBB165_180
; %bb.175:
	s_cmp_lg_u32 s33, 0
	s_mov_b32 s4, 0
	s_cbranch_scc0 .LBB165_184
; %bb.176:
	s_min_u32 s5, s34, 15
	v_dual_mov_b32 v29, 0 :: v_dual_mov_b32 v31, v30
	v_dual_mov_b32 v28, 0 :: v_dual_mov_b32 v0, 0
	v_mov_b32_e32 v27, 0
	s_add_co_i32 s2, s5, 1
	s_mov_b64 s[0:1], 0xffffffffffffffe0
	s_and_b32 s6, s2, 30
	s_add_nc_u64 s[0:1], s[20:21], s[0:1]
	s_mov_b64 s[2:3], s[20:21]
.LBB165_177:                            ; =>This Inner Loop Header: Depth=1
	s_clause 0x1
	s_load_b128 s[16:19], s[2:3], 0x4
	s_load_b64 s[22:23], s[2:3], 0x14
	s_load_b256 s[8:15], s[0:1], 0xe4
	s_add_co_i32 s6, s6, -2
	s_wait_xcnt 0x0
	s_add_nc_u64 s[2:3], s[2:3], 24
	s_cmp_lg_u32 s6, 0
	s_add_nc_u64 s[0:1], s[0:1], 32
	s_wait_kmcnt 0x0
	v_mul_hi_u32 v32, s17, v31
	s_delay_alu instid0(VALU_DEP_1) | instskip(NEXT) | instid1(VALU_DEP_1)
	v_add_nc_u32_e32 v32, v31, v32
	v_lshrrev_b32_e32 v32, s18, v32
	s_delay_alu instid0(VALU_DEP_1) | instskip(SKIP_1) | instid1(VALU_DEP_1)
	v_mul_hi_u32 v33, s22, v32
	v_mul_lo_u32 v34, v32, s16
	v_dual_add_nc_u32 v33, v32, v33 :: v_dual_sub_nc_u32 v34, v31, v34
	s_delay_alu instid0(VALU_DEP_1) | instskip(NEXT) | instid1(VALU_DEP_2)
	v_lshrrev_b32_e32 v31, s23, v33
	v_mad_u32 v27, v34, s9, v27
	v_mad_u32 v0, v34, s8, v0
	;; [unrolled: 1-line block ×4, first 2 shown]
	v_mul_lo_u32 v33, v31, s19
	s_delay_alu instid0(VALU_DEP_1) | instskip(NEXT) | instid1(VALU_DEP_1)
	v_sub_nc_u32_e32 v32, v32, v33
	v_mad_u32 v27, v32, s13, v27
	v_mad_u32 v0, v32, s12, v0
	;; [unrolled: 1-line block ×4, first 2 shown]
	s_cbranch_scc1 .LBB165_177
; %bb.178:
	s_bitcmp1_b32 s5, 0
	s_cselect_b32 s5, -1, 0
	s_delay_alu instid0(SALU_CYCLE_1)
	s_and_b32 vcc_lo, exec_lo, s5
	s_cbranch_vccnz .LBB165_181
; %bb.179:
	s_load_b96 s[12:14], s[2:3], 0x4
	s_load_b128 s[8:11], s[0:1], 0xe4
	s_wait_kmcnt 0x0
	v_mul_hi_u32 v32, s13, v31
	s_delay_alu instid0(VALU_DEP_1) | instskip(NEXT) | instid1(VALU_DEP_1)
	v_add_nc_u32_e32 v32, v31, v32
	v_lshrrev_b32_e32 v32, s14, v32
	s_delay_alu instid0(VALU_DEP_1) | instskip(NEXT) | instid1(VALU_DEP_1)
	v_mul_lo_u32 v32, v32, s12
	v_sub_nc_u32_e32 v31, v31, v32
	s_delay_alu instid0(VALU_DEP_1)
	v_mad_u32 v0, v31, s8, v0
	v_mad_u32 v27, v31, s9, v27
	;; [unrolled: 1-line block ×4, first 2 shown]
	s_and_not1_b32 vcc_lo, exec_lo, s4
	s_cbranch_vccz .LBB165_182
	s_branch .LBB165_185
.LBB165_180:
	s_mov_b32 s4, -1
                                        ; implicit-def: $vgpr27
                                        ; implicit-def: $vgpr0
                                        ; implicit-def: $vgpr28
                                        ; implicit-def: $vgpr29
.LBB165_181:
	s_delay_alu instid0(SALU_CYCLE_1)
	s_and_not1_b32 vcc_lo, exec_lo, s4
	s_cbranch_vccnz .LBB165_185
.LBB165_182:
	s_clause 0x1
	s_load_b96 s[4:6], s[20:21], 0x4
	s_load_b128 s[0:3], s[20:21], 0xc4
	s_cmp_lt_u32 s33, 2
	s_wait_kmcnt 0x0
	v_mul_hi_u32 v0, s5, v30
	s_delay_alu instid0(VALU_DEP_1) | instskip(NEXT) | instid1(VALU_DEP_1)
	v_add_nc_u32_e32 v0, v30, v0
	v_lshrrev_b32_e32 v31, s6, v0
	s_delay_alu instid0(VALU_DEP_1) | instskip(NEXT) | instid1(VALU_DEP_1)
	v_mul_lo_u32 v0, v31, s4
	v_sub_nc_u32_e32 v29, v30, v0
	s_delay_alu instid0(VALU_DEP_1)
	v_mul_lo_u32 v27, v29, s1
	v_mul_lo_u32 v0, v29, s0
	;; [unrolled: 1-line block ×4, first 2 shown]
	s_cbranch_scc1 .LBB165_185
; %bb.183:
	s_clause 0x1
	s_load_b96 s[4:6], s[20:21], 0x10
	s_load_b128 s[0:3], s[20:21], 0xd4
	s_wait_kmcnt 0x0
	v_mul_hi_u32 v30, s5, v31
	s_delay_alu instid0(VALU_DEP_1) | instskip(NEXT) | instid1(VALU_DEP_1)
	v_add_nc_u32_e32 v30, v31, v30
	v_lshrrev_b32_e32 v30, s6, v30
	s_delay_alu instid0(VALU_DEP_1) | instskip(NEXT) | instid1(VALU_DEP_1)
	v_mul_lo_u32 v30, v30, s4
	v_sub_nc_u32_e32 v30, v31, v30
	s_delay_alu instid0(VALU_DEP_1)
	v_mad_u32 v0, v30, s0, v0
	v_mad_u32 v27, v30, s1, v27
	v_mad_u32 v29, v30, s2, v29
	v_mad_u32 v28, v30, s3, v28
	s_branch .LBB165_185
.LBB165_184:
	v_dual_mov_b32 v27, 0 :: v_dual_mov_b32 v0, 0
	v_dual_mov_b32 v28, 0 :: v_dual_mov_b32 v29, 0
	s_and_not1_b32 vcc_lo, exec_lo, s4
	s_cbranch_vccz .LBB165_182
.LBB165_185:
	v_cmp_ne_u32_e32 vcc_lo, 1, v11
	s_cbranch_vccnz .LBB165_191
; %bb.186:
	s_cmp_lg_u32 s33, 0
	s_mov_b32 s4, 0
	s_cbranch_scc0 .LBB165_195
; %bb.187:
	s_min_u32 s5, s34, 15
	v_dual_mov_b32 v32, 0 :: v_dual_mov_b32 v33, v6
	v_dual_mov_b32 v31, 0 :: v_dual_mov_b32 v11, 0
	v_mov_b32_e32 v30, 0
	s_add_co_i32 s2, s5, 1
	s_mov_b64 s[0:1], 0xffffffffffffffe0
	s_and_b32 s6, s2, 30
	s_add_nc_u64 s[0:1], s[20:21], s[0:1]
	s_mov_b64 s[2:3], s[20:21]
.LBB165_188:                            ; =>This Inner Loop Header: Depth=1
	s_clause 0x1
	s_load_b128 s[16:19], s[2:3], 0x4
	s_load_b64 s[22:23], s[2:3], 0x14
	s_load_b256 s[8:15], s[0:1], 0xe4
	s_add_co_i32 s6, s6, -2
	s_wait_xcnt 0x0
	s_add_nc_u64 s[2:3], s[2:3], 24
	s_cmp_lg_u32 s6, 0
	s_add_nc_u64 s[0:1], s[0:1], 32
	s_wait_kmcnt 0x0
	v_mul_hi_u32 v34, s17, v33
	s_delay_alu instid0(VALU_DEP_1) | instskip(NEXT) | instid1(VALU_DEP_1)
	v_add_nc_u32_e32 v34, v33, v34
	v_lshrrev_b32_e32 v34, s18, v34
	s_delay_alu instid0(VALU_DEP_1) | instskip(SKIP_1) | instid1(VALU_DEP_1)
	v_mul_hi_u32 v35, s22, v34
	v_mul_lo_u32 v36, v34, s16
	v_dual_add_nc_u32 v35, v34, v35 :: v_dual_sub_nc_u32 v36, v33, v36
	s_delay_alu instid0(VALU_DEP_1) | instskip(NEXT) | instid1(VALU_DEP_2)
	v_lshrrev_b32_e32 v33, s23, v35
	v_mad_u32 v30, v36, s9, v30
	v_mad_u32 v11, v36, s8, v11
	;; [unrolled: 1-line block ×4, first 2 shown]
	v_mul_lo_u32 v35, v33, s19
	s_delay_alu instid0(VALU_DEP_1) | instskip(NEXT) | instid1(VALU_DEP_1)
	v_sub_nc_u32_e32 v34, v34, v35
	v_mad_u32 v30, v34, s13, v30
	v_mad_u32 v11, v34, s12, v11
	;; [unrolled: 1-line block ×4, first 2 shown]
	s_cbranch_scc1 .LBB165_188
; %bb.189:
	s_bitcmp1_b32 s5, 0
	s_cselect_b32 s5, -1, 0
	s_delay_alu instid0(SALU_CYCLE_1)
	s_and_b32 vcc_lo, exec_lo, s5
	s_cbranch_vccnz .LBB165_192
; %bb.190:
	s_load_b96 s[12:14], s[2:3], 0x4
	s_load_b128 s[8:11], s[0:1], 0xe4
	s_wait_kmcnt 0x0
	v_mul_hi_u32 v34, s13, v33
	s_delay_alu instid0(VALU_DEP_1) | instskip(NEXT) | instid1(VALU_DEP_1)
	v_add_nc_u32_e32 v34, v33, v34
	v_lshrrev_b32_e32 v34, s14, v34
	s_delay_alu instid0(VALU_DEP_1) | instskip(NEXT) | instid1(VALU_DEP_1)
	v_mul_lo_u32 v34, v34, s12
	v_sub_nc_u32_e32 v33, v33, v34
	s_delay_alu instid0(VALU_DEP_1)
	v_mad_u32 v11, v33, s8, v11
	v_mad_u32 v30, v33, s9, v30
	;; [unrolled: 1-line block ×4, first 2 shown]
	s_and_not1_b32 vcc_lo, exec_lo, s4
	s_cbranch_vccz .LBB165_193
	s_branch .LBB165_196
.LBB165_191:
	s_mov_b32 s4, -1
                                        ; implicit-def: $vgpr30
                                        ; implicit-def: $vgpr11
                                        ; implicit-def: $vgpr31
                                        ; implicit-def: $vgpr32
.LBB165_192:
	s_delay_alu instid0(SALU_CYCLE_1)
	s_and_not1_b32 vcc_lo, exec_lo, s4
	s_cbranch_vccnz .LBB165_196
.LBB165_193:
	s_clause 0x1
	s_load_b96 s[4:6], s[20:21], 0x4
	s_load_b128 s[0:3], s[20:21], 0xc4
	s_cmp_lt_u32 s33, 2
	s_wait_kmcnt 0x0
	v_mul_hi_u32 v11, s5, v6
	s_delay_alu instid0(VALU_DEP_1) | instskip(NEXT) | instid1(VALU_DEP_1)
	v_add_nc_u32_e32 v11, v6, v11
	v_lshrrev_b32_e32 v33, s6, v11
	s_delay_alu instid0(VALU_DEP_1) | instskip(NEXT) | instid1(VALU_DEP_1)
	v_mul_lo_u32 v11, v33, s4
	v_sub_nc_u32_e32 v6, v6, v11
	s_delay_alu instid0(VALU_DEP_1)
	v_mul_lo_u32 v30, v6, s1
	v_mul_lo_u32 v11, v6, s0
	;; [unrolled: 1-line block ×4, first 2 shown]
	s_cbranch_scc1 .LBB165_196
; %bb.194:
	s_clause 0x1
	s_load_b96 s[4:6], s[20:21], 0x10
	s_load_b128 s[0:3], s[20:21], 0xd4
	s_wait_kmcnt 0x0
	v_mul_hi_u32 v6, s5, v33
	s_delay_alu instid0(VALU_DEP_1) | instskip(NEXT) | instid1(VALU_DEP_1)
	v_add_nc_u32_e32 v6, v33, v6
	v_lshrrev_b32_e32 v6, s6, v6
	s_delay_alu instid0(VALU_DEP_1) | instskip(NEXT) | instid1(VALU_DEP_1)
	v_mul_lo_u32 v6, v6, s4
	v_sub_nc_u32_e32 v6, v33, v6
	s_delay_alu instid0(VALU_DEP_1)
	v_mad_u32 v11, v6, s0, v11
	v_mad_u32 v30, v6, s1, v30
	v_mad_u32 v32, v6, s2, v32
	v_mad_u32 v31, v6, s3, v31
	s_branch .LBB165_196
.LBB165_195:
	v_dual_mov_b32 v30, 0 :: v_dual_mov_b32 v11, 0
	v_dual_mov_b32 v31, 0 :: v_dual_mov_b32 v32, 0
	s_and_not1_b32 vcc_lo, exec_lo, s4
	s_cbranch_vccz .LBB165_193
.LBB165_196:
	s_load_b256 s[8:15], s[20:21], 0x1c8
	s_wait_kmcnt 0x0
	global_load_u16 v6, v3, s[12:13]
	global_load_u16 v33, v2, s[10:11]
	;; [unrolled: 1-line block ×15, first 2 shown]
                                        ; kill: killed $vgpr22
                                        ; kill: killed $vgpr4
                                        ; kill: killed $vgpr25
                                        ; kill: killed $vgpr8
                                        ; kill: killed $vgpr26
                                        ; kill: killed $vgpr9
                                        ; kill: killed $vgpr18
                                        ; kill: killed $vgpr21
                                        ; kill: killed $vgpr16
                                        ; kill: killed $vgpr3
                                        ; kill: killed $vgpr17
                                        ; kill: killed $vgpr24
                                        ; kill: killed $vgpr20
                                        ; kill: killed $vgpr7
                                        ; kill: killed $vgpr2
	global_load_u16 v2, v29, s[12:13]
	global_load_u16 v3, v27, s[10:11]
	;; [unrolled: 1-line block ×9, first 2 shown]
	s_wait_loadcnt 0x16
	s_wait_xcnt 0x0
	v_dual_lshlrev_b32 v12, 16, v6 :: v_dual_lshlrev_b32 v13, 16, v33
	s_wait_loadcnt 0x14
	v_dual_lshlrev_b32 v14, 16, v34 :: v_dual_lshlrev_b32 v20, 16, v35
	s_wait_loadcnt 0x12
	v_dual_lshlrev_b32 v21, 16, v36 :: v_dual_lshlrev_b32 v22, 16, v37
	v_cmp_gt_f32_e32 vcc_lo, v13, v12
	s_wait_loadcnt 0x10
	v_dual_lshlrev_b32 v24, 16, v38 :: v_dual_lshlrev_b32 v25, 16, v39
	s_wait_loadcnt 0xe
	v_dual_lshlrev_b32 v26, 16, v40 :: v_dual_lshlrev_b32 v27, 16, v41
	v_cndmask_b32_e32 v52, v6, v33, vcc_lo
	v_cmp_gt_f32_e32 vcc_lo, v21, v20
	s_wait_loadcnt 0xc
	v_dual_lshlrev_b32 v28, 16, v42 :: v_dual_lshlrev_b32 v29, 16, v43
	s_wait_loadcnt 0xa
	v_dual_lshlrev_b32 v30, 16, v44 :: v_dual_lshlrev_b32 v31, 16, v45
	v_cndmask_b32_e32 v53, v35, v36, vcc_lo
	v_cmp_gt_f32_e32 vcc_lo, v25, v24
	s_wait_loadcnt 0x9
	s_delay_alu instid0(VALU_DEP_2)
	v_dual_lshlrev_b32 v32, 16, v46 :: v_dual_lshlrev_b32 v59, 16, v53
	v_cndmask_b32_e32 v54, v38, v39, vcc_lo
	v_cmp_gt_f32_e32 vcc_lo, v28, v27
	v_cndmask_b32_e32 v55, v41, v42, vcc_lo
	s_wait_loadcnt 0x7
	v_dual_lshlrev_b32 v47, 16, v2 :: v_dual_lshlrev_b32 v48, 16, v3
	v_cmp_gt_f32_e32 vcc_lo, v31, v30
	s_wait_loadcnt 0x5
	v_dual_lshlrev_b32 v49, 16, v4 :: v_dual_lshlrev_b32 v50, 16, v7
	s_wait_loadcnt 0x4
	v_lshlrev_b32_e32 v51, 16, v8
	v_dual_cndmask_b32 v57, v44, v45 :: v_dual_lshlrev_b32 v56, 16, v52
	v_cmp_gt_f32_e32 vcc_lo, v48, v47
	s_delay_alu instid0(VALU_DEP_3) | instskip(SKIP_1) | instid1(VALU_DEP_4)
	v_cmp_gt_f32_e64 s0, v51, v50
	v_cndmask_b32_e32 v58, v2, v3, vcc_lo
	v_cmp_lt_f32_e32 vcc_lo, v56, v14
	s_delay_alu instid0(VALU_DEP_3) | instskip(SKIP_3) | instid1(VALU_DEP_3)
	v_cndmask_b32_e64 v56, v7, v8, s0
	v_cmp_lt_f32_e64 s0, v59, v22
	v_dual_cndmask_b32 v52, v34, v52 :: v_dual_lshlrev_b32 v59, 16, v55
	v_cmp_u_f32_e32 vcc_lo, v14, v14
	v_dual_lshlrev_b32 v14, 16, v54 :: v_dual_cndmask_b32 v53, v37, v53, s0
	v_cmp_u_f32_e64 s0, v22, v22
	v_lshlrev_b32_e32 v22, 16, v57
	v_cmp_lt_f32_e64 s2, v59, v29
	v_lshlrev_b32_e32 v59, 16, v58
	v_cmp_lt_f32_e64 s1, v14, v26
	s_wait_loadcnt 0x3
	v_dual_lshlrev_b32 v14, 16, v9 :: v_dual_cndmask_b32 v34, v52, v34, vcc_lo
	s_delay_alu instid0(VALU_DEP_3) | instskip(SKIP_4) | instid1(VALU_DEP_2)
	v_cmp_lt_f32_e64 s4, v59, v49
	s_wait_loadcnt 0x2
	v_lshlrev_b32_e32 v59, 16, v16
	v_cmp_lt_f32_e64 s3, v22, v32
	v_dual_lshlrev_b32 v22, 16, v56 :: v_dual_cndmask_b32 v55, v43, v55, s2
	v_dual_cndmask_b32 v54, v40, v54, s1 :: v_dual_cndmask_b32 v57, v46, v57, s3
	s_delay_alu instid0(VALU_DEP_2) | instskip(SKIP_2) | instid1(VALU_DEP_2)
	v_cmp_lt_f32_e64 s5, v22, v14
	s_wait_loadcnt 0x1
	v_dual_lshlrev_b32 v22, 16, v17 :: v_dual_cndmask_b32 v58, v4, v58, s4
	v_cndmask_b32_e64 v56, v9, v56, s5
	s_delay_alu instid0(VALU_DEP_2) | instskip(SKIP_3) | instid1(VALU_DEP_2)
	v_cmp_gt_f32_e32 vcc_lo, v22, v59
	v_cndmask_b32_e32 v52, v16, v17, vcc_lo
	s_wait_loadcnt 0x0
	v_dual_cndmask_b32 v37, v53, v37, s0 :: v_dual_lshlrev_b32 v53, 16, v18
	v_lshlrev_b32_e32 v60, 16, v52
	s_delay_alu instid0(VALU_DEP_1) | instskip(SKIP_2) | instid1(VALU_DEP_2)
	v_cmp_lt_f32_e32 vcc_lo, v60, v53
	v_cndmask_b32_e32 v52, v18, v52, vcc_lo
	v_cmp_u_f32_e32 vcc_lo, v53, v53
	v_cndmask_b32_e32 v18, v52, v18, vcc_lo
	v_cmp_u_f32_e32 vcc_lo, v26, v26
	;; [unrolled: 2-line block ×22, first 2 shown]
	v_cndmask_b32_e32 v3, v4, v8, vcc_lo
	s_clause 0x7
	global_store_b16 v1, v6, s[8:9]
	global_store_b16 v5, v7, s[8:9]
	;; [unrolled: 1-line block ×8, first 2 shown]
	s_endpgm
	.section	.rodata,"a",@progbits
	.p2align	6, 0x0
	.amdhsa_kernel _ZN2at6native32elementwise_kernel_manual_unrollILi128ELi8EZNS0_22gpu_kernel_impl_nocastIZZZNS0_12_GLOBAL__N_117clamp_kernel_implERNS_18TensorIteratorBaseEENKUlvE_clEvENKUlvE7_clEvEUlN3c108BFloat16ES9_S9_E_EEvS5_RKT_EUlibE_EEviT1_
		.amdhsa_group_segment_fixed_size 0
		.amdhsa_private_segment_fixed_size 0
		.amdhsa_kernarg_size 504
		.amdhsa_user_sgpr_count 2
		.amdhsa_user_sgpr_dispatch_ptr 0
		.amdhsa_user_sgpr_queue_ptr 0
		.amdhsa_user_sgpr_kernarg_segment_ptr 1
		.amdhsa_user_sgpr_dispatch_id 0
		.amdhsa_user_sgpr_kernarg_preload_length 0
		.amdhsa_user_sgpr_kernarg_preload_offset 0
		.amdhsa_user_sgpr_private_segment_size 0
		.amdhsa_wavefront_size32 1
		.amdhsa_uses_dynamic_stack 0
		.amdhsa_enable_private_segment 0
		.amdhsa_system_sgpr_workgroup_id_x 1
		.amdhsa_system_sgpr_workgroup_id_y 0
		.amdhsa_system_sgpr_workgroup_id_z 0
		.amdhsa_system_sgpr_workgroup_info 0
		.amdhsa_system_vgpr_workitem_id 0
		.amdhsa_next_free_vgpr 61
		.amdhsa_next_free_sgpr 56
		.amdhsa_named_barrier_count 0
		.amdhsa_reserve_vcc 1
		.amdhsa_float_round_mode_32 0
		.amdhsa_float_round_mode_16_64 0
		.amdhsa_float_denorm_mode_32 3
		.amdhsa_float_denorm_mode_16_64 3
		.amdhsa_fp16_overflow 0
		.amdhsa_memory_ordered 1
		.amdhsa_forward_progress 1
		.amdhsa_inst_pref_size 97
		.amdhsa_round_robin_scheduling 0
		.amdhsa_exception_fp_ieee_invalid_op 0
		.amdhsa_exception_fp_denorm_src 0
		.amdhsa_exception_fp_ieee_div_zero 0
		.amdhsa_exception_fp_ieee_overflow 0
		.amdhsa_exception_fp_ieee_underflow 0
		.amdhsa_exception_fp_ieee_inexact 0
		.amdhsa_exception_int_div_zero 0
	.end_amdhsa_kernel
	.section	.text._ZN2at6native32elementwise_kernel_manual_unrollILi128ELi8EZNS0_22gpu_kernel_impl_nocastIZZZNS0_12_GLOBAL__N_117clamp_kernel_implERNS_18TensorIteratorBaseEENKUlvE_clEvENKUlvE7_clEvEUlN3c108BFloat16ES9_S9_E_EEvS5_RKT_EUlibE_EEviT1_,"axG",@progbits,_ZN2at6native32elementwise_kernel_manual_unrollILi128ELi8EZNS0_22gpu_kernel_impl_nocastIZZZNS0_12_GLOBAL__N_117clamp_kernel_implERNS_18TensorIteratorBaseEENKUlvE_clEvENKUlvE7_clEvEUlN3c108BFloat16ES9_S9_E_EEvS5_RKT_EUlibE_EEviT1_,comdat
.Lfunc_end165:
	.size	_ZN2at6native32elementwise_kernel_manual_unrollILi128ELi8EZNS0_22gpu_kernel_impl_nocastIZZZNS0_12_GLOBAL__N_117clamp_kernel_implERNS_18TensorIteratorBaseEENKUlvE_clEvENKUlvE7_clEvEUlN3c108BFloat16ES9_S9_E_EEvS5_RKT_EUlibE_EEviT1_, .Lfunc_end165-_ZN2at6native32elementwise_kernel_manual_unrollILi128ELi8EZNS0_22gpu_kernel_impl_nocastIZZZNS0_12_GLOBAL__N_117clamp_kernel_implERNS_18TensorIteratorBaseEENKUlvE_clEvENKUlvE7_clEvEUlN3c108BFloat16ES9_S9_E_EEvS5_RKT_EUlibE_EEviT1_
                                        ; -- End function
	.set _ZN2at6native32elementwise_kernel_manual_unrollILi128ELi8EZNS0_22gpu_kernel_impl_nocastIZZZNS0_12_GLOBAL__N_117clamp_kernel_implERNS_18TensorIteratorBaseEENKUlvE_clEvENKUlvE7_clEvEUlN3c108BFloat16ES9_S9_E_EEvS5_RKT_EUlibE_EEviT1_.num_vgpr, 61
	.set _ZN2at6native32elementwise_kernel_manual_unrollILi128ELi8EZNS0_22gpu_kernel_impl_nocastIZZZNS0_12_GLOBAL__N_117clamp_kernel_implERNS_18TensorIteratorBaseEENKUlvE_clEvENKUlvE7_clEvEUlN3c108BFloat16ES9_S9_E_EEvS5_RKT_EUlibE_EEviT1_.num_agpr, 0
	.set _ZN2at6native32elementwise_kernel_manual_unrollILi128ELi8EZNS0_22gpu_kernel_impl_nocastIZZZNS0_12_GLOBAL__N_117clamp_kernel_implERNS_18TensorIteratorBaseEENKUlvE_clEvENKUlvE7_clEvEUlN3c108BFloat16ES9_S9_E_EEvS5_RKT_EUlibE_EEviT1_.numbered_sgpr, 56
	.set _ZN2at6native32elementwise_kernel_manual_unrollILi128ELi8EZNS0_22gpu_kernel_impl_nocastIZZZNS0_12_GLOBAL__N_117clamp_kernel_implERNS_18TensorIteratorBaseEENKUlvE_clEvENKUlvE7_clEvEUlN3c108BFloat16ES9_S9_E_EEvS5_RKT_EUlibE_EEviT1_.num_named_barrier, 0
	.set _ZN2at6native32elementwise_kernel_manual_unrollILi128ELi8EZNS0_22gpu_kernel_impl_nocastIZZZNS0_12_GLOBAL__N_117clamp_kernel_implERNS_18TensorIteratorBaseEENKUlvE_clEvENKUlvE7_clEvEUlN3c108BFloat16ES9_S9_E_EEvS5_RKT_EUlibE_EEviT1_.private_seg_size, 0
	.set _ZN2at6native32elementwise_kernel_manual_unrollILi128ELi8EZNS0_22gpu_kernel_impl_nocastIZZZNS0_12_GLOBAL__N_117clamp_kernel_implERNS_18TensorIteratorBaseEENKUlvE_clEvENKUlvE7_clEvEUlN3c108BFloat16ES9_S9_E_EEvS5_RKT_EUlibE_EEviT1_.uses_vcc, 1
	.set _ZN2at6native32elementwise_kernel_manual_unrollILi128ELi8EZNS0_22gpu_kernel_impl_nocastIZZZNS0_12_GLOBAL__N_117clamp_kernel_implERNS_18TensorIteratorBaseEENKUlvE_clEvENKUlvE7_clEvEUlN3c108BFloat16ES9_S9_E_EEvS5_RKT_EUlibE_EEviT1_.uses_flat_scratch, 0
	.set _ZN2at6native32elementwise_kernel_manual_unrollILi128ELi8EZNS0_22gpu_kernel_impl_nocastIZZZNS0_12_GLOBAL__N_117clamp_kernel_implERNS_18TensorIteratorBaseEENKUlvE_clEvENKUlvE7_clEvEUlN3c108BFloat16ES9_S9_E_EEvS5_RKT_EUlibE_EEviT1_.has_dyn_sized_stack, 0
	.set _ZN2at6native32elementwise_kernel_manual_unrollILi128ELi8EZNS0_22gpu_kernel_impl_nocastIZZZNS0_12_GLOBAL__N_117clamp_kernel_implERNS_18TensorIteratorBaseEENKUlvE_clEvENKUlvE7_clEvEUlN3c108BFloat16ES9_S9_E_EEvS5_RKT_EUlibE_EEviT1_.has_recursion, 0
	.set _ZN2at6native32elementwise_kernel_manual_unrollILi128ELi8EZNS0_22gpu_kernel_impl_nocastIZZZNS0_12_GLOBAL__N_117clamp_kernel_implERNS_18TensorIteratorBaseEENKUlvE_clEvENKUlvE7_clEvEUlN3c108BFloat16ES9_S9_E_EEvS5_RKT_EUlibE_EEviT1_.has_indirect_call, 0
	.section	.AMDGPU.csdata,"",@progbits
; Kernel info:
; codeLenInByte = 12384
; TotalNumSgprs: 58
; NumVgprs: 61
; ScratchSize: 0
; MemoryBound: 0
; FloatMode: 240
; IeeeMode: 1
; LDSByteSize: 0 bytes/workgroup (compile time only)
; SGPRBlocks: 0
; VGPRBlocks: 3
; NumSGPRsForWavesPerEU: 58
; NumVGPRsForWavesPerEU: 61
; NamedBarCnt: 0
; Occupancy: 16
; WaveLimiterHint : 1
; COMPUTE_PGM_RSRC2:SCRATCH_EN: 0
; COMPUTE_PGM_RSRC2:USER_SGPR: 2
; COMPUTE_PGM_RSRC2:TRAP_HANDLER: 0
; COMPUTE_PGM_RSRC2:TGID_X_EN: 1
; COMPUTE_PGM_RSRC2:TGID_Y_EN: 0
; COMPUTE_PGM_RSRC2:TGID_Z_EN: 0
; COMPUTE_PGM_RSRC2:TIDIG_COMP_CNT: 0
	.section	.text._ZN2at6native32elementwise_kernel_manual_unrollILi128ELi4EZNS0_15gpu_kernel_implIZZZNS0_12_GLOBAL__N_117clamp_kernel_implERNS_18TensorIteratorBaseEENKUlvE_clEvENKUlvE7_clEvEUlN3c108BFloat16ES9_S9_E_EEvS5_RKT_EUlibE_EEviT1_,"axG",@progbits,_ZN2at6native32elementwise_kernel_manual_unrollILi128ELi4EZNS0_15gpu_kernel_implIZZZNS0_12_GLOBAL__N_117clamp_kernel_implERNS_18TensorIteratorBaseEENKUlvE_clEvENKUlvE7_clEvEUlN3c108BFloat16ES9_S9_E_EEvS5_RKT_EUlibE_EEviT1_,comdat
	.globl	_ZN2at6native32elementwise_kernel_manual_unrollILi128ELi4EZNS0_15gpu_kernel_implIZZZNS0_12_GLOBAL__N_117clamp_kernel_implERNS_18TensorIteratorBaseEENKUlvE_clEvENKUlvE7_clEvEUlN3c108BFloat16ES9_S9_E_EEvS5_RKT_EUlibE_EEviT1_ ; -- Begin function _ZN2at6native32elementwise_kernel_manual_unrollILi128ELi4EZNS0_15gpu_kernel_implIZZZNS0_12_GLOBAL__N_117clamp_kernel_implERNS_18TensorIteratorBaseEENKUlvE_clEvENKUlvE7_clEvEUlN3c108BFloat16ES9_S9_E_EEvS5_RKT_EUlibE_EEviT1_
	.p2align	8
	.type	_ZN2at6native32elementwise_kernel_manual_unrollILi128ELi4EZNS0_15gpu_kernel_implIZZZNS0_12_GLOBAL__N_117clamp_kernel_implERNS_18TensorIteratorBaseEENKUlvE_clEvENKUlvE7_clEvEUlN3c108BFloat16ES9_S9_E_EEvS5_RKT_EUlibE_EEviT1_,@function
_ZN2at6native32elementwise_kernel_manual_unrollILi128ELi4EZNS0_15gpu_kernel_implIZZZNS0_12_GLOBAL__N_117clamp_kernel_implERNS_18TensorIteratorBaseEENKUlvE_clEvENKUlvE7_clEvEUlN3c108BFloat16ES9_S9_E_EEvS5_RKT_EUlibE_EEviT1_: ; @_ZN2at6native32elementwise_kernel_manual_unrollILi128ELi4EZNS0_15gpu_kernel_implIZZZNS0_12_GLOBAL__N_117clamp_kernel_implERNS_18TensorIteratorBaseEENKUlvE_clEvENKUlvE7_clEvEUlN3c108BFloat16ES9_S9_E_EEvS5_RKT_EUlibE_EEviT1_
; %bb.0:
	v_mov_b32_e32 v1, 0
	s_bfe_u32 s3, ttmp6, 0x4000c
	s_clause 0x1
	s_load_b128 s[12:15], s[0:1], 0x28
	s_load_b256 s[4:11], s[0:1], 0x8
	s_add_co_i32 s3, s3, 1
	global_load_b32 v1, v1, s[0:1] offset:57
	s_load_b32 s20, s[0:1], 0x0
	s_and_b32 s16, ttmp6, 15
	s_wait_xcnt 0x0
	s_mul_i32 s0, ttmp9, s3
	s_getreg_b32 s18, hwreg(HW_REG_IB_STS2, 6, 4)
	s_add_co_i32 s16, s16, s0
	s_mov_b32 s19, 0
	s_wait_loadcnt 0x0
	v_readfirstlane_b32 s2, v1
	s_lshr_b32 s3, s2, 16
	s_lshr_b32 s17, s2, 8
	s_lshr_b32 s1, s2, 24
	s_cmp_eq_u32 s18, 0
	s_cselect_b32 s0, ttmp9, s16
	s_mov_b32 s16, 0
	v_lshl_or_b32 v8, s0, 9, v0
	s_mov_b32 s0, exec_lo
	s_delay_alu instid0(VALU_DEP_1) | instskip(SKIP_1) | instid1(VALU_DEP_1)
	v_or_b32_e32 v0, 0x180, v8
	s_wait_kmcnt 0x0
	v_cmpx_le_i32_e64 s20, v0
	s_xor_b32 s18, exec_lo, s0
	s_cbranch_execz .LBB166_2063
; %bb.1:
	s_mov_b32 s28, -1
	s_mov_b32 s25, 0
	s_mov_b32 s23, 0
	;; [unrolled: 1-line block ×4, first 2 shown]
	s_mov_b32 s24, exec_lo
	v_cmpx_gt_i32_e64 s20, v8
	s_cbranch_execz .LBB166_512
; %bb.2:
	v_mul_lo_u32 v0, v8, s13
	s_and_b32 s0, s17, 0xff
	s_delay_alu instid0(SALU_CYCLE_1) | instskip(NEXT) | instid1(VALU_DEP_1)
	s_cmp_lt_i32 s0, 11
	v_ashrrev_i32_e32 v1, 31, v0
	s_delay_alu instid0(VALU_DEP_1)
	v_add_nc_u64_e32 v[0:1], s[6:7], v[0:1]
	s_cbranch_scc1 .LBB166_9
; %bb.3:
	s_and_b32 s19, 0xffff, s0
	s_delay_alu instid0(SALU_CYCLE_1)
	s_cmp_gt_i32 s19, 25
	s_cbranch_scc0 .LBB166_18
; %bb.4:
	s_cmp_gt_i32 s19, 28
	s_cbranch_scc0 .LBB166_28
; %bb.5:
	;; [unrolled: 3-line block ×4, first 2 shown]
	s_cmp_eq_u32 s19, 46
	s_cbranch_scc0 .LBB166_37
; %bb.8:
	global_load_b32 v2, v[0:1], off
	s_mov_b32 s21, -1
	s_branch .LBB166_39
.LBB166_9:
                                        ; implicit-def: $vgpr2
	s_cbranch_execnz .LBB166_105
.LBB166_10:
	s_and_not1_b32 vcc_lo, exec_lo, s21
	s_cbranch_vccnz .LBB166_152
.LBB166_11:
	s_wait_xcnt 0x0
	v_mul_lo_u32 v0, v8, s14
	s_and_b32 s0, s3, 0xff
	s_delay_alu instid0(SALU_CYCLE_1) | instskip(NEXT) | instid1(VALU_DEP_1)
	s_cmp_lt_i32 s0, 11
	v_ashrrev_i32_e32 v1, 31, v0
	s_delay_alu instid0(VALU_DEP_1)
	v_add_nc_u64_e32 v[0:1], s[8:9], v[0:1]
	s_cbranch_scc1 .LBB166_19
; %bb.12:
	s_and_b32 s19, 0xffff, s0
	s_delay_alu instid0(SALU_CYCLE_1)
	s_cmp_gt_i32 s19, 25
	s_cbranch_scc0 .LBB166_29
; %bb.13:
	s_cmp_gt_i32 s19, 28
	s_cbranch_scc0 .LBB166_32
; %bb.14:
	;; [unrolled: 3-line block ×4, first 2 shown]
	s_cmp_eq_u32 s19, 46
	s_mov_b32 s26, 0
	s_cbranch_scc0 .LBB166_153
; %bb.17:
	global_load_b32 v3, v[0:1], off
	s_mov_b32 s21, -1
	s_mov_b32 s22, 0
	s_branch .LBB166_155
.LBB166_18:
                                        ; implicit-def: $vgpr2
	s_cbranch_execnz .LBB166_70
	s_branch .LBB166_104
.LBB166_19:
	s_mov_b32 s22, 0
	s_mov_b32 s21, 0
                                        ; implicit-def: $vgpr3
	s_cbranch_execnz .LBB166_221
.LBB166_20:
	s_and_not1_b32 vcc_lo, exec_lo, s21
	s_cbranch_vccnz .LBB166_269
.LBB166_21:
	s_wait_xcnt 0x0
	v_mul_lo_u32 v0, v8, s15
	s_and_b32 s0, 0xffff, s1
	s_delay_alu instid0(SALU_CYCLE_1) | instskip(NEXT) | instid1(VALU_DEP_1)
	s_cmp_lt_i32 s0, 11
	v_ashrrev_i32_e32 v1, 31, v0
	s_delay_alu instid0(VALU_DEP_1)
	v_add_nc_u64_e32 v[0:1], s[10:11], v[0:1]
	s_cbranch_scc1 .LBB166_30
; %bb.22:
	s_cmp_gt_i32 s0, 25
	s_cbranch_scc0 .LBB166_33
; %bb.23:
	s_cmp_gt_i32 s0, 28
	s_cbranch_scc0 .LBB166_36
	;; [unrolled: 3-line block ×4, first 2 shown]
; %bb.26:
	s_cmp_eq_u32 s0, 46
	s_mov_b32 s26, 0
	s_cbranch_scc0 .LBB166_270
; %bb.27:
	global_load_b32 v4, v[0:1], off
	s_mov_b32 s19, -1
	s_mov_b32 s21, 0
	s_branch .LBB166_272
.LBB166_28:
	s_mov_b32 s22, -1
                                        ; implicit-def: $vgpr2
	s_branch .LBB166_51
.LBB166_29:
	s_mov_b32 s26, -1
	s_mov_b32 s22, 0
	s_mov_b32 s21, 0
                                        ; implicit-def: $vgpr3
	s_branch .LBB166_185
.LBB166_30:
	s_mov_b32 s26, -1
	s_mov_b32 s21, 0
	s_mov_b32 s19, 0
                                        ; implicit-def: $vgpr4
	s_branch .LBB166_337
.LBB166_31:
	s_mov_b32 s22, -1
                                        ; implicit-def: $vgpr2
	s_branch .LBB166_46
.LBB166_32:
	s_mov_b32 s26, -1
	s_mov_b32 s22, 0
	s_mov_b32 s21, 0
                                        ; implicit-def: $vgpr3
	s_branch .LBB166_166
.LBB166_33:
	s_mov_b32 s26, -1
	s_mov_b32 s21, 0
	s_mov_b32 s19, 0
                                        ; implicit-def: $vgpr4
	s_branch .LBB166_301
.LBB166_34:
	s_mov_b32 s22, -1
	s_branch .LBB166_38
.LBB166_35:
	s_mov_b32 s26, -1
	s_mov_b32 s22, 0
	s_mov_b32 s21, 0
                                        ; implicit-def: $vgpr3
	s_branch .LBB166_161
.LBB166_36:
	s_mov_b32 s26, -1
	s_mov_b32 s21, 0
	s_mov_b32 s19, 0
                                        ; implicit-def: $vgpr4
	s_branch .LBB166_282
.LBB166_37:
	s_mov_b32 s23, -1
.LBB166_38:
                                        ; implicit-def: $vgpr2
.LBB166_39:
	s_and_b32 vcc_lo, exec_lo, s22
	s_cbranch_vccz .LBB166_45
; %bb.40:
	s_cmp_eq_u32 s19, 44
	s_cbranch_scc0 .LBB166_44
; %bb.41:
	s_wait_loadcnt 0x0
	global_load_u8 v2, v[0:1], off
	s_mov_b32 s23, 0
	s_mov_b32 s21, -1
	s_wait_loadcnt 0x0
	v_lshlrev_b32_e32 v3, 23, v2
	v_cmp_ne_u32_e32 vcc_lo, 0xff, v2
	s_delay_alu instid0(VALU_DEP_2) | instskip(SKIP_1) | instid1(VALU_DEP_2)
	v_cndmask_b32_e32 v3, 0x7f800001, v3, vcc_lo
	v_cmp_ne_u32_e32 vcc_lo, 0, v2
	v_cndmask_b32_e32 v2, 0x400000, v3, vcc_lo
	s_delay_alu instid0(VALU_DEP_1) | instskip(NEXT) | instid1(VALU_DEP_1)
	v_add_nc_u32_e32 v3, 0x7fff, v2
	v_lshrrev_b32_e32 v3, 16, v3
	v_cmp_o_f32_e32 vcc_lo, v2, v2
	s_delay_alu instid0(VALU_DEP_2)
	v_cndmask_b32_e32 v2, 0x7fc0, v3, vcc_lo
	s_branch .LBB166_45
.LBB166_42:
	s_mov_b32 s26, -1
	s_mov_b32 s22, 0
	s_branch .LBB166_154
.LBB166_43:
	s_mov_b32 s26, -1
	s_mov_b32 s21, 0
	s_mov_b32 s19, 0
                                        ; implicit-def: $vgpr4
	s_branch .LBB166_277
.LBB166_44:
	s_mov_b32 s23, -1
                                        ; implicit-def: $vgpr2
.LBB166_45:
	s_mov_b32 s22, 0
.LBB166_46:
	s_delay_alu instid0(SALU_CYCLE_1)
	s_and_b32 vcc_lo, exec_lo, s22
	s_cbranch_vccz .LBB166_50
; %bb.47:
	s_cmp_eq_u32 s19, 29
	s_cbranch_scc0 .LBB166_49
; %bb.48:
	s_wait_loadcnt 0x0
	global_load_b64 v[2:3], v[0:1], off
	s_mov_b32 s21, -1
	s_mov_b32 s23, 0
	s_mov_b32 s22, 0
	s_wait_loadcnt 0x0
	v_clz_i32_u32_e32 v4, v3
	s_delay_alu instid0(VALU_DEP_1) | instskip(NEXT) | instid1(VALU_DEP_1)
	v_min_u32_e32 v4, 32, v4
	v_lshlrev_b64_e32 v[2:3], v4, v[2:3]
	s_delay_alu instid0(VALU_DEP_1) | instskip(NEXT) | instid1(VALU_DEP_1)
	v_min_u32_e32 v2, 1, v2
	v_dual_sub_nc_u32 v3, 32, v4 :: v_dual_bitop2_b32 v2, v3, v2 bitop3:0x54
	s_delay_alu instid0(VALU_DEP_1) | instskip(NEXT) | instid1(VALU_DEP_1)
	v_cvt_f32_u32_e32 v2, v2
	v_ldexp_f32 v2, v2, v3
	s_delay_alu instid0(VALU_DEP_1) | instskip(NEXT) | instid1(VALU_DEP_1)
	v_bfe_u32 v3, v2, 16, 1
	v_add3_u32 v2, v2, v3, 0x7fff
	s_delay_alu instid0(VALU_DEP_1)
	v_lshrrev_b32_e32 v2, 16, v2
	s_branch .LBB166_51
.LBB166_49:
	s_mov_b32 s23, -1
                                        ; implicit-def: $vgpr2
.LBB166_50:
	s_mov_b32 s22, 0
.LBB166_51:
	s_delay_alu instid0(SALU_CYCLE_1)
	s_and_b32 vcc_lo, exec_lo, s22
	s_cbranch_vccz .LBB166_69
; %bb.52:
	s_cmp_lt_i32 s19, 27
	s_cbranch_scc1 .LBB166_55
; %bb.53:
	s_cmp_gt_i32 s19, 27
	s_cbranch_scc0 .LBB166_56
; %bb.54:
	s_wait_loadcnt 0x0
	global_load_b32 v2, v[0:1], off
	s_mov_b32 s21, 0
	s_wait_loadcnt 0x0
	v_cvt_f32_u32_e32 v2, v2
	s_delay_alu instid0(VALU_DEP_1) | instskip(NEXT) | instid1(VALU_DEP_1)
	v_bfe_u32 v3, v2, 16, 1
	v_add3_u32 v2, v2, v3, 0x7fff
	s_delay_alu instid0(VALU_DEP_1)
	v_lshrrev_b32_e32 v2, 16, v2
	s_branch .LBB166_57
.LBB166_55:
	s_mov_b32 s21, -1
                                        ; implicit-def: $vgpr2
	s_branch .LBB166_60
.LBB166_56:
	s_mov_b32 s21, -1
                                        ; implicit-def: $vgpr2
.LBB166_57:
	s_delay_alu instid0(SALU_CYCLE_1)
	s_and_not1_b32 vcc_lo, exec_lo, s21
	s_cbranch_vccnz .LBB166_59
; %bb.58:
	s_wait_loadcnt 0x0
	global_load_u16 v2, v[0:1], off
	s_wait_loadcnt 0x0
	v_cvt_f32_u32_e32 v2, v2
	s_delay_alu instid0(VALU_DEP_1) | instskip(NEXT) | instid1(VALU_DEP_1)
	v_bfe_u32 v3, v2, 16, 1
	v_add3_u32 v2, v2, v3, 0x7fff
	s_delay_alu instid0(VALU_DEP_1)
	v_lshrrev_b32_e32 v2, 16, v2
.LBB166_59:
	s_mov_b32 s21, 0
.LBB166_60:
	s_delay_alu instid0(SALU_CYCLE_1)
	s_and_not1_b32 vcc_lo, exec_lo, s21
	s_cbranch_vccnz .LBB166_68
; %bb.61:
	s_wait_loadcnt 0x0
	global_load_u8 v2, v[0:1], off
	s_mov_b32 s21, 0
	s_mov_b32 s22, exec_lo
	s_wait_loadcnt 0x0
	v_cmpx_lt_i16_e32 0x7f, v2
	s_xor_b32 s22, exec_lo, s22
	s_cbranch_execz .LBB166_81
; %bb.62:
	s_mov_b32 s21, -1
	s_mov_b32 s26, exec_lo
	v_cmpx_eq_u16_e32 0x80, v2
; %bb.63:
	s_xor_b32 s21, exec_lo, -1
; %bb.64:
	s_or_b32 exec_lo, exec_lo, s26
	s_delay_alu instid0(SALU_CYCLE_1)
	s_and_b32 s21, s21, exec_lo
	s_or_saveexec_b32 s22, s22
	v_mov_b32_e32 v3, 0x7f800001
	s_xor_b32 exec_lo, exec_lo, s22
	s_cbranch_execnz .LBB166_82
.LBB166_65:
	s_or_b32 exec_lo, exec_lo, s22
	s_and_saveexec_b32 s22, s21
	s_cbranch_execz .LBB166_67
.LBB166_66:
	v_and_b32_e32 v3, 0xffff, v2
	s_delay_alu instid0(VALU_DEP_1) | instskip(SKIP_1) | instid1(VALU_DEP_2)
	v_and_b32_e32 v4, 7, v3
	v_bfe_u32 v7, v3, 3, 4
	v_clz_i32_u32_e32 v5, v4
	s_delay_alu instid0(VALU_DEP_2) | instskip(NEXT) | instid1(VALU_DEP_2)
	v_cmp_eq_u32_e32 vcc_lo, 0, v7
	v_min_u32_e32 v5, 32, v5
	s_delay_alu instid0(VALU_DEP_1) | instskip(NEXT) | instid1(VALU_DEP_1)
	v_subrev_nc_u32_e32 v6, 28, v5
	v_dual_lshlrev_b32 v3, v6, v3 :: v_dual_sub_nc_u32 v5, 29, v5
	s_delay_alu instid0(VALU_DEP_1) | instskip(NEXT) | instid1(VALU_DEP_1)
	v_dual_lshlrev_b32 v2, 24, v2 :: v_dual_bitop2_b32 v3, 7, v3 bitop3:0x40
	v_dual_cndmask_b32 v5, v7, v5, vcc_lo :: v_dual_cndmask_b32 v3, v4, v3, vcc_lo
	s_delay_alu instid0(VALU_DEP_2) | instskip(NEXT) | instid1(VALU_DEP_2)
	v_and_b32_e32 v2, 0x80000000, v2
	v_lshl_add_u32 v4, v5, 23, 0x3b800000
	s_delay_alu instid0(VALU_DEP_3) | instskip(NEXT) | instid1(VALU_DEP_1)
	v_lshlrev_b32_e32 v3, 20, v3
	v_or3_b32 v3, v2, v4, v3
.LBB166_67:
	s_or_b32 exec_lo, exec_lo, s22
	s_delay_alu instid0(VALU_DEP_1) | instskip(SKIP_1) | instid1(VALU_DEP_2)
	v_bfe_u32 v2, v3, 16, 1
	v_cmp_o_f32_e32 vcc_lo, v3, v3
	v_add3_u32 v2, v3, v2, 0x7fff
	s_delay_alu instid0(VALU_DEP_1) | instskip(NEXT) | instid1(VALU_DEP_1)
	v_lshrrev_b32_e32 v2, 16, v2
	v_cndmask_b32_e32 v2, 0x7fc0, v2, vcc_lo
.LBB166_68:
	s_mov_b32 s21, -1
.LBB166_69:
	s_branch .LBB166_104
.LBB166_70:
	s_cmp_gt_i32 s19, 22
	s_cbranch_scc0 .LBB166_80
; %bb.71:
	s_cmp_lt_i32 s19, 24
	s_cbranch_scc1 .LBB166_83
; %bb.72:
	s_cmp_gt_i32 s19, 24
	s_cbranch_scc0 .LBB166_84
; %bb.73:
	s_wait_loadcnt 0x0
	global_load_u8 v2, v[0:1], off
	s_mov_b32 s21, 0
	s_mov_b32 s22, exec_lo
	s_wait_loadcnt 0x0
	v_cmpx_lt_i16_e32 0x7f, v2
	s_xor_b32 s22, exec_lo, s22
	s_cbranch_execz .LBB166_96
; %bb.74:
	s_mov_b32 s21, -1
	s_mov_b32 s26, exec_lo
	v_cmpx_eq_u16_e32 0x80, v2
; %bb.75:
	s_xor_b32 s21, exec_lo, -1
; %bb.76:
	s_or_b32 exec_lo, exec_lo, s26
	s_delay_alu instid0(SALU_CYCLE_1)
	s_and_b32 s21, s21, exec_lo
	s_or_saveexec_b32 s22, s22
	v_mov_b32_e32 v3, 0x7f800001
	s_xor_b32 exec_lo, exec_lo, s22
	s_cbranch_execnz .LBB166_97
.LBB166_77:
	s_or_b32 exec_lo, exec_lo, s22
	s_and_saveexec_b32 s22, s21
	s_cbranch_execz .LBB166_79
.LBB166_78:
	v_and_b32_e32 v3, 0xffff, v2
	s_delay_alu instid0(VALU_DEP_1) | instskip(SKIP_1) | instid1(VALU_DEP_2)
	v_and_b32_e32 v4, 3, v3
	v_bfe_u32 v7, v3, 2, 5
	v_clz_i32_u32_e32 v5, v4
	s_delay_alu instid0(VALU_DEP_2) | instskip(NEXT) | instid1(VALU_DEP_2)
	v_cmp_eq_u32_e32 vcc_lo, 0, v7
	v_min_u32_e32 v5, 32, v5
	s_delay_alu instid0(VALU_DEP_1) | instskip(NEXT) | instid1(VALU_DEP_1)
	v_subrev_nc_u32_e32 v6, 29, v5
	v_dual_lshlrev_b32 v3, v6, v3 :: v_dual_sub_nc_u32 v5, 30, v5
	s_delay_alu instid0(VALU_DEP_1) | instskip(NEXT) | instid1(VALU_DEP_1)
	v_dual_lshlrev_b32 v2, 24, v2 :: v_dual_bitop2_b32 v3, 3, v3 bitop3:0x40
	v_dual_cndmask_b32 v5, v7, v5, vcc_lo :: v_dual_cndmask_b32 v3, v4, v3, vcc_lo
	s_delay_alu instid0(VALU_DEP_2) | instskip(NEXT) | instid1(VALU_DEP_2)
	v_and_b32_e32 v2, 0x80000000, v2
	v_lshl_add_u32 v4, v5, 23, 0x37800000
	s_delay_alu instid0(VALU_DEP_3) | instskip(NEXT) | instid1(VALU_DEP_1)
	v_lshlrev_b32_e32 v3, 21, v3
	v_or3_b32 v3, v2, v4, v3
.LBB166_79:
	s_or_b32 exec_lo, exec_lo, s22
	s_delay_alu instid0(VALU_DEP_1) | instskip(SKIP_2) | instid1(VALU_DEP_2)
	v_bfe_u32 v2, v3, 16, 1
	v_cmp_o_f32_e32 vcc_lo, v3, v3
	s_mov_b32 s21, 0
	v_add3_u32 v2, v3, v2, 0x7fff
	s_delay_alu instid0(VALU_DEP_1) | instskip(NEXT) | instid1(VALU_DEP_1)
	v_lshrrev_b32_e32 v2, 16, v2
	v_cndmask_b32_e32 v2, 0x7fc0, v2, vcc_lo
	s_branch .LBB166_85
.LBB166_80:
	s_mov_b32 s22, -1
                                        ; implicit-def: $vgpr2
	s_branch .LBB166_91
.LBB166_81:
	s_or_saveexec_b32 s22, s22
	v_mov_b32_e32 v3, 0x7f800001
	s_xor_b32 exec_lo, exec_lo, s22
	s_cbranch_execz .LBB166_65
.LBB166_82:
	v_cmp_ne_u16_e32 vcc_lo, 0, v2
	v_mov_b32_e32 v3, 0
	s_and_not1_b32 s21, s21, exec_lo
	s_and_b32 s26, vcc_lo, exec_lo
	s_delay_alu instid0(SALU_CYCLE_1)
	s_or_b32 s21, s21, s26
	s_or_b32 exec_lo, exec_lo, s22
	s_and_saveexec_b32 s22, s21
	s_cbranch_execnz .LBB166_66
	s_branch .LBB166_67
.LBB166_83:
	s_mov_b32 s21, -1
                                        ; implicit-def: $vgpr2
	s_branch .LBB166_88
.LBB166_84:
	s_mov_b32 s21, -1
                                        ; implicit-def: $vgpr2
.LBB166_85:
	s_delay_alu instid0(SALU_CYCLE_1)
	s_and_b32 vcc_lo, exec_lo, s21
	s_cbranch_vccz .LBB166_87
; %bb.86:
	s_wait_loadcnt 0x0
	global_load_u8 v2, v[0:1], off
	s_wait_loadcnt 0x0
	v_lshlrev_b32_e32 v2, 24, v2
	s_delay_alu instid0(VALU_DEP_1) | instskip(NEXT) | instid1(VALU_DEP_1)
	v_and_b32_e32 v3, 0x7f000000, v2
	v_clz_i32_u32_e32 v4, v3
	v_cmp_ne_u32_e32 vcc_lo, 0, v3
	v_add_nc_u32_e32 v6, 0x1000000, v3
	s_delay_alu instid0(VALU_DEP_3) | instskip(NEXT) | instid1(VALU_DEP_1)
	v_min_u32_e32 v4, 32, v4
	v_sub_nc_u32_e64 v4, v4, 4 clamp
	s_delay_alu instid0(VALU_DEP_1) | instskip(NEXT) | instid1(VALU_DEP_1)
	v_dual_lshlrev_b32 v5, v4, v3 :: v_dual_lshlrev_b32 v4, 23, v4
	v_lshrrev_b32_e32 v5, 4, v5
	s_delay_alu instid0(VALU_DEP_1) | instskip(NEXT) | instid1(VALU_DEP_1)
	v_dual_sub_nc_u32 v4, v5, v4 :: v_dual_ashrrev_i32 v5, 8, v6
	v_add_nc_u32_e32 v4, 0x3c000000, v4
	s_delay_alu instid0(VALU_DEP_1) | instskip(NEXT) | instid1(VALU_DEP_1)
	v_and_or_b32 v4, 0x7f800000, v5, v4
	v_cndmask_b32_e32 v3, 0, v4, vcc_lo
	s_delay_alu instid0(VALU_DEP_1) | instskip(SKIP_1) | instid1(VALU_DEP_2)
	v_and_or_b32 v2, 0x80000000, v2, v3
	v_bfe_u32 v3, v3, 16, 1
	v_cmp_o_f32_e32 vcc_lo, v2, v2
	s_delay_alu instid0(VALU_DEP_2) | instskip(NEXT) | instid1(VALU_DEP_1)
	v_add3_u32 v3, v2, v3, 0x7fff
	v_lshrrev_b32_e32 v3, 16, v3
	s_delay_alu instid0(VALU_DEP_1)
	v_cndmask_b32_e32 v2, 0x7fc0, v3, vcc_lo
.LBB166_87:
	s_mov_b32 s21, 0
.LBB166_88:
	s_delay_alu instid0(SALU_CYCLE_1)
	s_and_not1_b32 vcc_lo, exec_lo, s21
	s_cbranch_vccnz .LBB166_90
; %bb.89:
	s_wait_loadcnt 0x0
	global_load_u8 v2, v[0:1], off
	s_wait_loadcnt 0x0
	v_lshlrev_b32_e32 v3, 25, v2
	v_lshlrev_b16 v2, 8, v2
	s_delay_alu instid0(VALU_DEP_1) | instskip(SKIP_1) | instid1(VALU_DEP_2)
	v_and_or_b32 v5, 0x7f00, v2, 0.5
	v_bfe_i32 v2, v2, 0, 16
	v_dual_add_f32 v5, -0.5, v5 :: v_dual_lshrrev_b32 v4, 4, v3
	v_cmp_gt_u32_e32 vcc_lo, 0x8000000, v3
	s_delay_alu instid0(VALU_DEP_2) | instskip(NEXT) | instid1(VALU_DEP_1)
	v_or_b32_e32 v4, 0x70000000, v4
	v_mul_f32_e32 v4, 0x7800000, v4
	s_delay_alu instid0(VALU_DEP_1) | instskip(NEXT) | instid1(VALU_DEP_1)
	v_cndmask_b32_e32 v3, v4, v5, vcc_lo
	v_and_or_b32 v2, 0x80000000, v2, v3
	v_bfe_u32 v3, v3, 16, 1
	s_delay_alu instid0(VALU_DEP_2) | instskip(NEXT) | instid1(VALU_DEP_2)
	v_cmp_o_f32_e32 vcc_lo, v2, v2
	v_add3_u32 v3, v2, v3, 0x7fff
	s_delay_alu instid0(VALU_DEP_1) | instskip(NEXT) | instid1(VALU_DEP_1)
	v_lshrrev_b32_e32 v3, 16, v3
	v_cndmask_b32_e32 v2, 0x7fc0, v3, vcc_lo
.LBB166_90:
	s_mov_b32 s22, 0
	s_mov_b32 s21, -1
.LBB166_91:
	s_and_not1_b32 vcc_lo, exec_lo, s22
	s_cbranch_vccnz .LBB166_104
; %bb.92:
	s_cmp_gt_i32 s19, 14
	s_cbranch_scc0 .LBB166_95
; %bb.93:
	s_cmp_eq_u32 s19, 15
	s_cbranch_scc0 .LBB166_98
; %bb.94:
	s_wait_loadcnt 0x0
	global_load_u16 v2, v[0:1], off
	s_mov_b32 s21, -1
	s_mov_b32 s23, 0
	s_branch .LBB166_99
.LBB166_95:
	s_mov_b32 s22, -1
                                        ; implicit-def: $vgpr2
	s_branch .LBB166_100
.LBB166_96:
	s_or_saveexec_b32 s22, s22
	v_mov_b32_e32 v3, 0x7f800001
	s_xor_b32 exec_lo, exec_lo, s22
	s_cbranch_execz .LBB166_77
.LBB166_97:
	v_cmp_ne_u16_e32 vcc_lo, 0, v2
	v_mov_b32_e32 v3, 0
	s_and_not1_b32 s21, s21, exec_lo
	s_and_b32 s26, vcc_lo, exec_lo
	s_delay_alu instid0(SALU_CYCLE_1)
	s_or_b32 s21, s21, s26
	s_or_b32 exec_lo, exec_lo, s22
	s_and_saveexec_b32 s22, s21
	s_cbranch_execnz .LBB166_78
	s_branch .LBB166_79
.LBB166_98:
	s_mov_b32 s23, -1
                                        ; implicit-def: $vgpr2
.LBB166_99:
	s_mov_b32 s22, 0
.LBB166_100:
	s_delay_alu instid0(SALU_CYCLE_1)
	s_and_b32 vcc_lo, exec_lo, s22
	s_cbranch_vccz .LBB166_104
; %bb.101:
	s_cmp_eq_u32 s19, 11
	s_cbranch_scc0 .LBB166_103
; %bb.102:
	s_wait_loadcnt 0x0
	global_load_u8 v2, v[0:1], off
	s_mov_b32 s23, 0
	s_mov_b32 s21, -1
	s_wait_loadcnt 0x0
	v_cmp_ne_u16_e32 vcc_lo, 0, v2
	v_cndmask_b32_e64 v2, 0, 1.0, vcc_lo
	s_delay_alu instid0(VALU_DEP_1)
	v_lshrrev_b32_e32 v2, 16, v2
	s_branch .LBB166_104
.LBB166_103:
	s_mov_b32 s23, -1
                                        ; implicit-def: $vgpr2
.LBB166_104:
	s_branch .LBB166_10
.LBB166_105:
	s_and_b32 s0, 0xffff, s0
	s_delay_alu instid0(SALU_CYCLE_1)
	s_cmp_lt_i32 s0, 5
	s_cbranch_scc1 .LBB166_110
; %bb.106:
	s_cmp_lt_i32 s0, 8
	s_cbranch_scc1 .LBB166_111
; %bb.107:
	;; [unrolled: 3-line block ×3, first 2 shown]
	s_cmp_gt_i32 s0, 9
	s_cbranch_scc0 .LBB166_113
; %bb.109:
	s_wait_loadcnt 0x0
	global_load_b64 v[2:3], v[0:1], off
	s_mov_b32 s19, 0
	s_wait_loadcnt 0x0
	v_cvt_f32_f64_e32 v2, v[2:3]
	s_delay_alu instid0(VALU_DEP_1) | instskip(SKIP_1) | instid1(VALU_DEP_2)
	v_bfe_u32 v3, v2, 16, 1
	v_cmp_o_f32_e32 vcc_lo, v2, v2
	v_add3_u32 v3, v2, v3, 0x7fff
	s_delay_alu instid0(VALU_DEP_1) | instskip(NEXT) | instid1(VALU_DEP_1)
	v_lshrrev_b32_e32 v3, 16, v3
	v_cndmask_b32_e32 v2, 0x7fc0, v3, vcc_lo
	s_branch .LBB166_114
.LBB166_110:
                                        ; implicit-def: $vgpr2
	s_branch .LBB166_132
.LBB166_111:
	s_mov_b32 s19, -1
                                        ; implicit-def: $vgpr2
	s_branch .LBB166_120
.LBB166_112:
	s_mov_b32 s19, -1
                                        ; implicit-def: $vgpr2
	s_branch .LBB166_117
.LBB166_113:
	s_mov_b32 s19, -1
                                        ; implicit-def: $vgpr2
.LBB166_114:
	s_delay_alu instid0(SALU_CYCLE_1)
	s_and_not1_b32 vcc_lo, exec_lo, s19
	s_cbranch_vccnz .LBB166_116
; %bb.115:
	s_wait_loadcnt 0x0
	global_load_b32 v2, v[0:1], off
	s_wait_loadcnt 0x0
	v_bfe_u32 v3, v2, 16, 1
	v_cmp_o_f32_e32 vcc_lo, v2, v2
	s_delay_alu instid0(VALU_DEP_2) | instskip(NEXT) | instid1(VALU_DEP_1)
	v_add3_u32 v3, v2, v3, 0x7fff
	v_lshrrev_b32_e32 v3, 16, v3
	s_delay_alu instid0(VALU_DEP_1)
	v_cndmask_b32_e32 v2, 0x7fc0, v3, vcc_lo
.LBB166_116:
	s_mov_b32 s19, 0
.LBB166_117:
	s_delay_alu instid0(SALU_CYCLE_1)
	s_and_not1_b32 vcc_lo, exec_lo, s19
	s_cbranch_vccnz .LBB166_119
; %bb.118:
	s_wait_loadcnt 0x0
	global_load_b32 v2, v[0:1], off
	s_wait_loadcnt 0x0
	v_cvt_f32_f16_e32 v3, v2
	v_cmp_o_f16_e32 vcc_lo, v2, v2
	s_delay_alu instid0(VALU_DEP_2) | instskip(NEXT) | instid1(VALU_DEP_1)
	v_bfe_u32 v4, v3, 16, 1
	v_add3_u32 v3, v3, v4, 0x7fff
	s_delay_alu instid0(VALU_DEP_1) | instskip(NEXT) | instid1(VALU_DEP_1)
	v_lshrrev_b32_e32 v3, 16, v3
	v_cndmask_b32_e32 v2, 0x7fc0, v3, vcc_lo
.LBB166_119:
	s_mov_b32 s19, 0
.LBB166_120:
	s_delay_alu instid0(SALU_CYCLE_1)
	s_and_not1_b32 vcc_lo, exec_lo, s19
	s_cbranch_vccnz .LBB166_131
; %bb.121:
	s_cmp_lt_i32 s0, 6
	s_cbranch_scc1 .LBB166_124
; %bb.122:
	s_cmp_gt_i32 s0, 6
	s_cbranch_scc0 .LBB166_125
; %bb.123:
	s_wait_loadcnt 0x0
	global_load_b64 v[2:3], v[0:1], off
	s_mov_b32 s19, 0
	s_wait_loadcnt 0x0
	v_cvt_f32_f64_e32 v2, v[2:3]
	s_delay_alu instid0(VALU_DEP_1) | instskip(SKIP_1) | instid1(VALU_DEP_2)
	v_bfe_u32 v3, v2, 16, 1
	v_cmp_o_f32_e32 vcc_lo, v2, v2
	v_add3_u32 v3, v2, v3, 0x7fff
	s_delay_alu instid0(VALU_DEP_1) | instskip(NEXT) | instid1(VALU_DEP_1)
	v_lshrrev_b32_e32 v3, 16, v3
	v_cndmask_b32_e32 v2, 0x7fc0, v3, vcc_lo
	s_branch .LBB166_126
.LBB166_124:
	s_mov_b32 s19, -1
                                        ; implicit-def: $vgpr2
	s_branch .LBB166_129
.LBB166_125:
	s_mov_b32 s19, -1
                                        ; implicit-def: $vgpr2
.LBB166_126:
	s_delay_alu instid0(SALU_CYCLE_1)
	s_and_not1_b32 vcc_lo, exec_lo, s19
	s_cbranch_vccnz .LBB166_128
; %bb.127:
	s_wait_loadcnt 0x0
	global_load_b32 v2, v[0:1], off
	s_wait_loadcnt 0x0
	v_bfe_u32 v3, v2, 16, 1
	v_cmp_o_f32_e32 vcc_lo, v2, v2
	s_delay_alu instid0(VALU_DEP_2) | instskip(NEXT) | instid1(VALU_DEP_1)
	v_add3_u32 v3, v2, v3, 0x7fff
	v_lshrrev_b32_e32 v3, 16, v3
	s_delay_alu instid0(VALU_DEP_1)
	v_cndmask_b32_e32 v2, 0x7fc0, v3, vcc_lo
.LBB166_128:
	s_mov_b32 s19, 0
.LBB166_129:
	s_delay_alu instid0(SALU_CYCLE_1)
	s_and_not1_b32 vcc_lo, exec_lo, s19
	s_cbranch_vccnz .LBB166_131
; %bb.130:
	s_wait_loadcnt 0x0
	global_load_u16 v2, v[0:1], off
	s_wait_loadcnt 0x0
	v_cvt_f32_f16_e32 v3, v2
	v_cmp_o_f16_e32 vcc_lo, v2, v2
	s_delay_alu instid0(VALU_DEP_2) | instskip(NEXT) | instid1(VALU_DEP_1)
	v_bfe_u32 v4, v3, 16, 1
	v_add3_u32 v3, v3, v4, 0x7fff
	s_delay_alu instid0(VALU_DEP_1) | instskip(NEXT) | instid1(VALU_DEP_1)
	v_lshrrev_b32_e32 v3, 16, v3
	v_cndmask_b32_e32 v2, 0x7fc0, v3, vcc_lo
.LBB166_131:
	s_cbranch_execnz .LBB166_151
.LBB166_132:
	s_cmp_lt_i32 s0, 2
	s_cbranch_scc1 .LBB166_136
; %bb.133:
	s_cmp_lt_i32 s0, 3
	s_cbranch_scc1 .LBB166_137
; %bb.134:
	s_cmp_gt_i32 s0, 3
	s_cbranch_scc0 .LBB166_138
; %bb.135:
	s_wait_loadcnt 0x0
	global_load_b64 v[2:3], v[0:1], off
	s_mov_b32 s19, 0
	s_wait_loadcnt 0x0
	v_xor_b32_e32 v4, v2, v3
	v_cls_i32_e32 v5, v3
	s_delay_alu instid0(VALU_DEP_2) | instskip(NEXT) | instid1(VALU_DEP_1)
	v_ashrrev_i32_e32 v4, 31, v4
	v_add_nc_u32_e32 v4, 32, v4
	s_delay_alu instid0(VALU_DEP_1) | instskip(NEXT) | instid1(VALU_DEP_1)
	v_add_min_u32_e64 v4, v5, -1, v4
	v_lshlrev_b64_e32 v[2:3], v4, v[2:3]
	s_delay_alu instid0(VALU_DEP_1) | instskip(NEXT) | instid1(VALU_DEP_1)
	v_min_u32_e32 v2, 1, v2
	v_dual_sub_nc_u32 v3, 32, v4 :: v_dual_bitop2_b32 v2, v3, v2 bitop3:0x54
	s_delay_alu instid0(VALU_DEP_1) | instskip(NEXT) | instid1(VALU_DEP_1)
	v_cvt_f32_i32_e32 v2, v2
	v_ldexp_f32 v2, v2, v3
	s_delay_alu instid0(VALU_DEP_1) | instskip(NEXT) | instid1(VALU_DEP_1)
	v_bfe_u32 v3, v2, 16, 1
	v_add3_u32 v2, v2, v3, 0x7fff
	s_delay_alu instid0(VALU_DEP_1)
	v_lshrrev_b32_e32 v2, 16, v2
	s_branch .LBB166_139
.LBB166_136:
	s_mov_b32 s19, -1
                                        ; implicit-def: $vgpr2
	s_branch .LBB166_145
.LBB166_137:
	s_mov_b32 s19, -1
                                        ; implicit-def: $vgpr2
	s_branch .LBB166_142
.LBB166_138:
	s_mov_b32 s19, -1
                                        ; implicit-def: $vgpr2
.LBB166_139:
	s_delay_alu instid0(SALU_CYCLE_1)
	s_and_not1_b32 vcc_lo, exec_lo, s19
	s_cbranch_vccnz .LBB166_141
; %bb.140:
	s_wait_loadcnt 0x0
	global_load_b32 v2, v[0:1], off
	s_wait_loadcnt 0x0
	v_cvt_f32_i32_e32 v2, v2
	s_delay_alu instid0(VALU_DEP_1) | instskip(NEXT) | instid1(VALU_DEP_1)
	v_bfe_u32 v3, v2, 16, 1
	v_add3_u32 v2, v2, v3, 0x7fff
	s_delay_alu instid0(VALU_DEP_1)
	v_lshrrev_b32_e32 v2, 16, v2
.LBB166_141:
	s_mov_b32 s19, 0
.LBB166_142:
	s_delay_alu instid0(SALU_CYCLE_1)
	s_and_not1_b32 vcc_lo, exec_lo, s19
	s_cbranch_vccnz .LBB166_144
; %bb.143:
	s_wait_loadcnt 0x0
	global_load_i16 v2, v[0:1], off
	s_wait_loadcnt 0x0
	v_cvt_f32_i32_e32 v2, v2
	s_delay_alu instid0(VALU_DEP_1) | instskip(NEXT) | instid1(VALU_DEP_1)
	v_bfe_u32 v3, v2, 16, 1
	v_add3_u32 v2, v2, v3, 0x7fff
	s_delay_alu instid0(VALU_DEP_1)
	v_lshrrev_b32_e32 v2, 16, v2
.LBB166_144:
	s_mov_b32 s19, 0
.LBB166_145:
	s_delay_alu instid0(SALU_CYCLE_1)
	s_and_not1_b32 vcc_lo, exec_lo, s19
	s_cbranch_vccnz .LBB166_151
; %bb.146:
	s_cmp_gt_i32 s0, 0
	s_mov_b32 s0, 0
	s_cbranch_scc0 .LBB166_148
; %bb.147:
	s_wait_loadcnt 0x0
	global_load_i8 v2, v[0:1], off
	s_wait_loadcnt 0x0
	v_cvt_f32_i32_e32 v2, v2
	s_delay_alu instid0(VALU_DEP_1) | instskip(NEXT) | instid1(VALU_DEP_1)
	v_bfe_u32 v3, v2, 16, 1
	v_add3_u32 v2, v2, v3, 0x7fff
	s_delay_alu instid0(VALU_DEP_1)
	v_lshrrev_b32_e32 v2, 16, v2
	s_branch .LBB166_149
.LBB166_148:
	s_mov_b32 s0, -1
                                        ; implicit-def: $vgpr2
.LBB166_149:
	s_delay_alu instid0(SALU_CYCLE_1)
	s_and_not1_b32 vcc_lo, exec_lo, s0
	s_cbranch_vccnz .LBB166_151
; %bb.150:
	global_load_u8 v0, v[0:1], off
	s_wait_loadcnt 0x0
	v_cvt_f32_ubyte0_e32 v0, v0
	s_delay_alu instid0(VALU_DEP_1) | instskip(NEXT) | instid1(VALU_DEP_1)
	v_bfe_u32 v1, v0, 16, 1
	v_add3_u32 v0, v0, v1, 0x7fff
	s_delay_alu instid0(VALU_DEP_1)
	v_lshrrev_b32_e32 v2, 16, v0
.LBB166_151:
	s_branch .LBB166_11
.LBB166_152:
	s_mov_b32 s0, 0
	s_mov_b32 s21, 0
	;; [unrolled: 1-line block ×3, first 2 shown]
	s_branch .LBB166_510
.LBB166_153:
	s_mov_b32 s22, -1
.LBB166_154:
	s_mov_b32 s21, 0
                                        ; implicit-def: $vgpr3
.LBB166_155:
	s_and_b32 vcc_lo, exec_lo, s26
	s_cbranch_vccz .LBB166_160
; %bb.156:
	s_cmp_eq_u32 s19, 44
	s_cbranch_scc0 .LBB166_159
; %bb.157:
	s_wait_loadcnt 0x0
	global_load_u8 v3, v[0:1], off
	s_mov_b32 s22, 0
	s_mov_b32 s21, -1
	s_wait_loadcnt 0x0
	v_lshlrev_b32_e32 v4, 23, v3
	v_cmp_ne_u32_e32 vcc_lo, 0xff, v3
	s_delay_alu instid0(VALU_DEP_2) | instskip(SKIP_1) | instid1(VALU_DEP_2)
	v_cndmask_b32_e32 v4, 0x7f800001, v4, vcc_lo
	v_cmp_ne_u32_e32 vcc_lo, 0, v3
	v_cndmask_b32_e32 v3, 0x400000, v4, vcc_lo
	s_delay_alu instid0(VALU_DEP_1) | instskip(NEXT) | instid1(VALU_DEP_1)
	v_add_nc_u32_e32 v4, 0x7fff, v3
	v_lshrrev_b32_e32 v4, 16, v4
	v_cmp_o_f32_e32 vcc_lo, v3, v3
	s_delay_alu instid0(VALU_DEP_2)
	v_cndmask_b32_e32 v3, 0x7fc0, v4, vcc_lo
	s_branch .LBB166_160
.LBB166_158:
	s_mov_b32 s26, -1
	s_mov_b32 s21, 0
	s_branch .LBB166_271
.LBB166_159:
	s_mov_b32 s22, -1
                                        ; implicit-def: $vgpr3
.LBB166_160:
	s_mov_b32 s26, 0
.LBB166_161:
	s_delay_alu instid0(SALU_CYCLE_1)
	s_and_b32 vcc_lo, exec_lo, s26
	s_cbranch_vccz .LBB166_165
; %bb.162:
	s_cmp_eq_u32 s19, 29
	s_cbranch_scc0 .LBB166_164
; %bb.163:
	global_load_b64 v[4:5], v[0:1], off
	s_mov_b32 s21, -1
	s_mov_b32 s22, 0
	s_mov_b32 s26, 0
	s_wait_loadcnt 0x0
	v_clz_i32_u32_e32 v3, v5
	s_delay_alu instid0(VALU_DEP_1) | instskip(NEXT) | instid1(VALU_DEP_1)
	v_min_u32_e32 v3, 32, v3
	v_lshlrev_b64_e32 v[4:5], v3, v[4:5]
	v_sub_nc_u32_e32 v3, 32, v3
	s_delay_alu instid0(VALU_DEP_2) | instskip(NEXT) | instid1(VALU_DEP_1)
	v_min_u32_e32 v4, 1, v4
	v_or_b32_e32 v4, v5, v4
	s_delay_alu instid0(VALU_DEP_1) | instskip(NEXT) | instid1(VALU_DEP_1)
	v_cvt_f32_u32_e32 v4, v4
	v_ldexp_f32 v3, v4, v3
	s_delay_alu instid0(VALU_DEP_1) | instskip(NEXT) | instid1(VALU_DEP_1)
	v_bfe_u32 v4, v3, 16, 1
	v_add3_u32 v3, v3, v4, 0x7fff
	s_delay_alu instid0(VALU_DEP_1)
	v_lshrrev_b32_e32 v3, 16, v3
	s_branch .LBB166_166
.LBB166_164:
	s_mov_b32 s22, -1
                                        ; implicit-def: $vgpr3
.LBB166_165:
	s_mov_b32 s26, 0
.LBB166_166:
	s_delay_alu instid0(SALU_CYCLE_1)
	s_and_b32 vcc_lo, exec_lo, s26
	s_cbranch_vccz .LBB166_184
; %bb.167:
	s_cmp_lt_i32 s19, 27
	s_cbranch_scc1 .LBB166_170
; %bb.168:
	s_cmp_gt_i32 s19, 27
	s_cbranch_scc0 .LBB166_171
; %bb.169:
	s_wait_loadcnt 0x0
	global_load_b32 v3, v[0:1], off
	s_mov_b32 s21, 0
	s_wait_loadcnt 0x0
	v_cvt_f32_u32_e32 v3, v3
	s_delay_alu instid0(VALU_DEP_1) | instskip(NEXT) | instid1(VALU_DEP_1)
	v_bfe_u32 v4, v3, 16, 1
	v_add3_u32 v3, v3, v4, 0x7fff
	s_delay_alu instid0(VALU_DEP_1)
	v_lshrrev_b32_e32 v3, 16, v3
	s_branch .LBB166_172
.LBB166_170:
	s_mov_b32 s21, -1
                                        ; implicit-def: $vgpr3
	s_branch .LBB166_175
.LBB166_171:
	s_mov_b32 s21, -1
                                        ; implicit-def: $vgpr3
.LBB166_172:
	s_delay_alu instid0(SALU_CYCLE_1)
	s_and_not1_b32 vcc_lo, exec_lo, s21
	s_cbranch_vccnz .LBB166_174
; %bb.173:
	s_wait_loadcnt 0x0
	global_load_u16 v3, v[0:1], off
	s_wait_loadcnt 0x0
	v_cvt_f32_u32_e32 v3, v3
	s_delay_alu instid0(VALU_DEP_1) | instskip(NEXT) | instid1(VALU_DEP_1)
	v_bfe_u32 v4, v3, 16, 1
	v_add3_u32 v3, v3, v4, 0x7fff
	s_delay_alu instid0(VALU_DEP_1)
	v_lshrrev_b32_e32 v3, 16, v3
.LBB166_174:
	s_mov_b32 s21, 0
.LBB166_175:
	s_delay_alu instid0(SALU_CYCLE_1)
	s_and_not1_b32 vcc_lo, exec_lo, s21
	s_cbranch_vccnz .LBB166_183
; %bb.176:
	s_wait_loadcnt 0x0
	global_load_u8 v3, v[0:1], off
	s_mov_b32 s21, 0
	s_mov_b32 s26, exec_lo
	s_wait_loadcnt 0x0
	v_cmpx_lt_i16_e32 0x7f, v3
	s_xor_b32 s26, exec_lo, s26
	s_cbranch_execz .LBB166_197
; %bb.177:
	s_mov_b32 s21, -1
	s_mov_b32 s27, exec_lo
	v_cmpx_eq_u16_e32 0x80, v3
; %bb.178:
	s_xor_b32 s21, exec_lo, -1
; %bb.179:
	s_or_b32 exec_lo, exec_lo, s27
	s_delay_alu instid0(SALU_CYCLE_1)
	s_and_b32 s21, s21, exec_lo
	s_or_saveexec_b32 s26, s26
	v_mov_b32_e32 v4, 0x7f800001
	s_xor_b32 exec_lo, exec_lo, s26
	s_cbranch_execnz .LBB166_198
.LBB166_180:
	s_or_b32 exec_lo, exec_lo, s26
	s_and_saveexec_b32 s26, s21
	s_cbranch_execz .LBB166_182
.LBB166_181:
	v_and_b32_e32 v4, 0xffff, v3
	s_delay_alu instid0(VALU_DEP_1) | instskip(SKIP_1) | instid1(VALU_DEP_2)
	v_and_b32_e32 v5, 7, v4
	v_bfe_u32 v9, v4, 3, 4
	v_clz_i32_u32_e32 v6, v5
	s_delay_alu instid0(VALU_DEP_2) | instskip(NEXT) | instid1(VALU_DEP_2)
	v_cmp_eq_u32_e32 vcc_lo, 0, v9
	v_min_u32_e32 v6, 32, v6
	s_delay_alu instid0(VALU_DEP_1) | instskip(NEXT) | instid1(VALU_DEP_1)
	v_subrev_nc_u32_e32 v7, 28, v6
	v_dual_lshlrev_b32 v4, v7, v4 :: v_dual_sub_nc_u32 v6, 29, v6
	s_delay_alu instid0(VALU_DEP_1) | instskip(NEXT) | instid1(VALU_DEP_2)
	v_dual_lshlrev_b32 v3, 24, v3 :: v_dual_bitop2_b32 v4, 7, v4 bitop3:0x40
	v_cndmask_b32_e32 v6, v9, v6, vcc_lo
	s_delay_alu instid0(VALU_DEP_2) | instskip(NEXT) | instid1(VALU_DEP_3)
	v_cndmask_b32_e32 v4, v5, v4, vcc_lo
	v_and_b32_e32 v3, 0x80000000, v3
	s_delay_alu instid0(VALU_DEP_3) | instskip(NEXT) | instid1(VALU_DEP_3)
	v_lshl_add_u32 v5, v6, 23, 0x3b800000
	v_lshlrev_b32_e32 v4, 20, v4
	s_delay_alu instid0(VALU_DEP_1)
	v_or3_b32 v4, v3, v5, v4
.LBB166_182:
	s_or_b32 exec_lo, exec_lo, s26
	s_delay_alu instid0(VALU_DEP_1) | instskip(SKIP_1) | instid1(VALU_DEP_2)
	v_bfe_u32 v3, v4, 16, 1
	v_cmp_o_f32_e32 vcc_lo, v4, v4
	v_add3_u32 v3, v4, v3, 0x7fff
	s_delay_alu instid0(VALU_DEP_1) | instskip(NEXT) | instid1(VALU_DEP_1)
	v_lshrrev_b32_e32 v3, 16, v3
	v_cndmask_b32_e32 v3, 0x7fc0, v3, vcc_lo
.LBB166_183:
	s_mov_b32 s21, -1
.LBB166_184:
	s_mov_b32 s26, 0
.LBB166_185:
	s_delay_alu instid0(SALU_CYCLE_1)
	s_and_b32 vcc_lo, exec_lo, s26
	s_cbranch_vccz .LBB166_220
; %bb.186:
	s_cmp_gt_i32 s19, 22
	s_cbranch_scc0 .LBB166_196
; %bb.187:
	s_cmp_lt_i32 s19, 24
	s_cbranch_scc1 .LBB166_199
; %bb.188:
	s_cmp_gt_i32 s19, 24
	s_cbranch_scc0 .LBB166_200
; %bb.189:
	s_wait_loadcnt 0x0
	global_load_u8 v3, v[0:1], off
	s_mov_b32 s21, 0
	s_mov_b32 s26, exec_lo
	s_wait_loadcnt 0x0
	v_cmpx_lt_i16_e32 0x7f, v3
	s_xor_b32 s26, exec_lo, s26
	s_cbranch_execz .LBB166_212
; %bb.190:
	s_mov_b32 s21, -1
	s_mov_b32 s27, exec_lo
	v_cmpx_eq_u16_e32 0x80, v3
; %bb.191:
	s_xor_b32 s21, exec_lo, -1
; %bb.192:
	s_or_b32 exec_lo, exec_lo, s27
	s_delay_alu instid0(SALU_CYCLE_1)
	s_and_b32 s21, s21, exec_lo
	s_or_saveexec_b32 s26, s26
	v_mov_b32_e32 v4, 0x7f800001
	s_xor_b32 exec_lo, exec_lo, s26
	s_cbranch_execnz .LBB166_213
.LBB166_193:
	s_or_b32 exec_lo, exec_lo, s26
	s_and_saveexec_b32 s26, s21
	s_cbranch_execz .LBB166_195
.LBB166_194:
	v_and_b32_e32 v4, 0xffff, v3
	s_delay_alu instid0(VALU_DEP_1) | instskip(SKIP_1) | instid1(VALU_DEP_2)
	v_and_b32_e32 v5, 3, v4
	v_bfe_u32 v9, v4, 2, 5
	v_clz_i32_u32_e32 v6, v5
	s_delay_alu instid0(VALU_DEP_2) | instskip(NEXT) | instid1(VALU_DEP_2)
	v_cmp_eq_u32_e32 vcc_lo, 0, v9
	v_min_u32_e32 v6, 32, v6
	s_delay_alu instid0(VALU_DEP_1) | instskip(NEXT) | instid1(VALU_DEP_1)
	v_subrev_nc_u32_e32 v7, 29, v6
	v_dual_lshlrev_b32 v4, v7, v4 :: v_dual_sub_nc_u32 v6, 30, v6
	s_delay_alu instid0(VALU_DEP_1) | instskip(NEXT) | instid1(VALU_DEP_2)
	v_dual_lshlrev_b32 v3, 24, v3 :: v_dual_bitop2_b32 v4, 3, v4 bitop3:0x40
	v_cndmask_b32_e32 v6, v9, v6, vcc_lo
	s_delay_alu instid0(VALU_DEP_2) | instskip(NEXT) | instid1(VALU_DEP_3)
	v_cndmask_b32_e32 v4, v5, v4, vcc_lo
	v_and_b32_e32 v3, 0x80000000, v3
	s_delay_alu instid0(VALU_DEP_3) | instskip(NEXT) | instid1(VALU_DEP_3)
	v_lshl_add_u32 v5, v6, 23, 0x37800000
	v_lshlrev_b32_e32 v4, 21, v4
	s_delay_alu instid0(VALU_DEP_1)
	v_or3_b32 v4, v3, v5, v4
.LBB166_195:
	s_or_b32 exec_lo, exec_lo, s26
	s_delay_alu instid0(VALU_DEP_1) | instskip(SKIP_2) | instid1(VALU_DEP_2)
	v_bfe_u32 v3, v4, 16, 1
	v_cmp_o_f32_e32 vcc_lo, v4, v4
	s_mov_b32 s21, 0
	v_add3_u32 v3, v4, v3, 0x7fff
	s_delay_alu instid0(VALU_DEP_1) | instskip(NEXT) | instid1(VALU_DEP_1)
	v_lshrrev_b32_e32 v3, 16, v3
	v_cndmask_b32_e32 v3, 0x7fc0, v3, vcc_lo
	s_branch .LBB166_201
.LBB166_196:
	s_mov_b32 s26, -1
                                        ; implicit-def: $vgpr3
	s_branch .LBB166_207
.LBB166_197:
	s_or_saveexec_b32 s26, s26
	v_mov_b32_e32 v4, 0x7f800001
	s_xor_b32 exec_lo, exec_lo, s26
	s_cbranch_execz .LBB166_180
.LBB166_198:
	v_cmp_ne_u16_e32 vcc_lo, 0, v3
	v_mov_b32_e32 v4, 0
	s_and_not1_b32 s21, s21, exec_lo
	s_and_b32 s27, vcc_lo, exec_lo
	s_delay_alu instid0(SALU_CYCLE_1)
	s_or_b32 s21, s21, s27
	s_or_b32 exec_lo, exec_lo, s26
	s_and_saveexec_b32 s26, s21
	s_cbranch_execnz .LBB166_181
	s_branch .LBB166_182
.LBB166_199:
	s_mov_b32 s21, -1
                                        ; implicit-def: $vgpr3
	s_branch .LBB166_204
.LBB166_200:
	s_mov_b32 s21, -1
                                        ; implicit-def: $vgpr3
.LBB166_201:
	s_delay_alu instid0(SALU_CYCLE_1)
	s_and_b32 vcc_lo, exec_lo, s21
	s_cbranch_vccz .LBB166_203
; %bb.202:
	s_wait_loadcnt 0x0
	global_load_u8 v3, v[0:1], off
	s_wait_loadcnt 0x0
	v_lshlrev_b32_e32 v3, 24, v3
	s_delay_alu instid0(VALU_DEP_1) | instskip(NEXT) | instid1(VALU_DEP_1)
	v_and_b32_e32 v4, 0x7f000000, v3
	v_clz_i32_u32_e32 v5, v4
	v_cmp_ne_u32_e32 vcc_lo, 0, v4
	v_add_nc_u32_e32 v7, 0x1000000, v4
	s_delay_alu instid0(VALU_DEP_3) | instskip(NEXT) | instid1(VALU_DEP_1)
	v_min_u32_e32 v5, 32, v5
	v_sub_nc_u32_e64 v5, v5, 4 clamp
	s_delay_alu instid0(VALU_DEP_1) | instskip(NEXT) | instid1(VALU_DEP_1)
	v_dual_lshlrev_b32 v6, v5, v4 :: v_dual_lshlrev_b32 v5, 23, v5
	v_lshrrev_b32_e32 v6, 4, v6
	s_delay_alu instid0(VALU_DEP_1) | instskip(NEXT) | instid1(VALU_DEP_1)
	v_dual_sub_nc_u32 v5, v6, v5 :: v_dual_ashrrev_i32 v6, 8, v7
	v_add_nc_u32_e32 v5, 0x3c000000, v5
	s_delay_alu instid0(VALU_DEP_1) | instskip(NEXT) | instid1(VALU_DEP_1)
	v_and_or_b32 v5, 0x7f800000, v6, v5
	v_cndmask_b32_e32 v4, 0, v5, vcc_lo
	s_delay_alu instid0(VALU_DEP_1) | instskip(SKIP_1) | instid1(VALU_DEP_2)
	v_and_or_b32 v3, 0x80000000, v3, v4
	v_bfe_u32 v4, v4, 16, 1
	v_cmp_o_f32_e32 vcc_lo, v3, v3
	s_delay_alu instid0(VALU_DEP_2) | instskip(NEXT) | instid1(VALU_DEP_1)
	v_add3_u32 v4, v3, v4, 0x7fff
	v_lshrrev_b32_e32 v4, 16, v4
	s_delay_alu instid0(VALU_DEP_1)
	v_cndmask_b32_e32 v3, 0x7fc0, v4, vcc_lo
.LBB166_203:
	s_mov_b32 s21, 0
.LBB166_204:
	s_delay_alu instid0(SALU_CYCLE_1)
	s_and_not1_b32 vcc_lo, exec_lo, s21
	s_cbranch_vccnz .LBB166_206
; %bb.205:
	s_wait_loadcnt 0x0
	global_load_u8 v3, v[0:1], off
	s_wait_loadcnt 0x0
	v_lshlrev_b32_e32 v4, 25, v3
	v_lshlrev_b16 v3, 8, v3
	s_delay_alu instid0(VALU_DEP_1) | instskip(SKIP_1) | instid1(VALU_DEP_2)
	v_and_or_b32 v6, 0x7f00, v3, 0.5
	v_bfe_i32 v3, v3, 0, 16
	v_dual_add_f32 v6, -0.5, v6 :: v_dual_lshrrev_b32 v5, 4, v4
	v_cmp_gt_u32_e32 vcc_lo, 0x8000000, v4
	s_delay_alu instid0(VALU_DEP_2) | instskip(NEXT) | instid1(VALU_DEP_1)
	v_or_b32_e32 v5, 0x70000000, v5
	v_mul_f32_e32 v5, 0x7800000, v5
	s_delay_alu instid0(VALU_DEP_1) | instskip(NEXT) | instid1(VALU_DEP_1)
	v_cndmask_b32_e32 v4, v5, v6, vcc_lo
	v_and_or_b32 v3, 0x80000000, v3, v4
	v_bfe_u32 v4, v4, 16, 1
	s_delay_alu instid0(VALU_DEP_2) | instskip(NEXT) | instid1(VALU_DEP_2)
	v_cmp_o_f32_e32 vcc_lo, v3, v3
	v_add3_u32 v4, v3, v4, 0x7fff
	s_delay_alu instid0(VALU_DEP_1) | instskip(NEXT) | instid1(VALU_DEP_1)
	v_lshrrev_b32_e32 v4, 16, v4
	v_cndmask_b32_e32 v3, 0x7fc0, v4, vcc_lo
.LBB166_206:
	s_mov_b32 s26, 0
	s_mov_b32 s21, -1
.LBB166_207:
	s_and_not1_b32 vcc_lo, exec_lo, s26
	s_cbranch_vccnz .LBB166_220
; %bb.208:
	s_cmp_gt_i32 s19, 14
	s_cbranch_scc0 .LBB166_211
; %bb.209:
	s_cmp_eq_u32 s19, 15
	s_cbranch_scc0 .LBB166_214
; %bb.210:
	s_wait_loadcnt 0x0
	global_load_u16 v3, v[0:1], off
	s_mov_b32 s21, -1
	s_mov_b32 s22, 0
	s_branch .LBB166_215
.LBB166_211:
	s_mov_b32 s26, -1
                                        ; implicit-def: $vgpr3
	s_branch .LBB166_216
.LBB166_212:
	s_or_saveexec_b32 s26, s26
	v_mov_b32_e32 v4, 0x7f800001
	s_xor_b32 exec_lo, exec_lo, s26
	s_cbranch_execz .LBB166_193
.LBB166_213:
	v_cmp_ne_u16_e32 vcc_lo, 0, v3
	v_mov_b32_e32 v4, 0
	s_and_not1_b32 s21, s21, exec_lo
	s_and_b32 s27, vcc_lo, exec_lo
	s_delay_alu instid0(SALU_CYCLE_1)
	s_or_b32 s21, s21, s27
	s_or_b32 exec_lo, exec_lo, s26
	s_and_saveexec_b32 s26, s21
	s_cbranch_execnz .LBB166_194
	s_branch .LBB166_195
.LBB166_214:
	s_mov_b32 s22, -1
                                        ; implicit-def: $vgpr3
.LBB166_215:
	s_mov_b32 s26, 0
.LBB166_216:
	s_delay_alu instid0(SALU_CYCLE_1)
	s_and_b32 vcc_lo, exec_lo, s26
	s_cbranch_vccz .LBB166_220
; %bb.217:
	s_cmp_eq_u32 s19, 11
	s_cbranch_scc0 .LBB166_219
; %bb.218:
	s_wait_loadcnt 0x0
	global_load_u8 v3, v[0:1], off
	s_mov_b32 s22, 0
	s_mov_b32 s21, -1
	s_wait_loadcnt 0x0
	v_cmp_ne_u16_e32 vcc_lo, 0, v3
	v_cndmask_b32_e64 v3, 0, 1.0, vcc_lo
	s_delay_alu instid0(VALU_DEP_1)
	v_lshrrev_b32_e32 v3, 16, v3
	s_branch .LBB166_220
.LBB166_219:
	s_mov_b32 s22, -1
                                        ; implicit-def: $vgpr3
.LBB166_220:
	s_branch .LBB166_20
.LBB166_221:
	s_and_b32 s0, 0xffff, s0
	s_delay_alu instid0(SALU_CYCLE_1)
	s_cmp_lt_i32 s0, 5
	s_cbranch_scc1 .LBB166_226
; %bb.222:
	s_cmp_lt_i32 s0, 8
	s_cbranch_scc1 .LBB166_227
; %bb.223:
	;; [unrolled: 3-line block ×3, first 2 shown]
	s_cmp_gt_i32 s0, 9
	s_cbranch_scc0 .LBB166_229
; %bb.225:
	global_load_b64 v[4:5], v[0:1], off
	s_mov_b32 s19, 0
	s_wait_loadcnt 0x0
	v_cvt_f32_f64_e32 v3, v[4:5]
	s_delay_alu instid0(VALU_DEP_1) | instskip(SKIP_1) | instid1(VALU_DEP_2)
	v_bfe_u32 v4, v3, 16, 1
	v_cmp_o_f32_e32 vcc_lo, v3, v3
	v_add3_u32 v4, v3, v4, 0x7fff
	s_delay_alu instid0(VALU_DEP_1) | instskip(NEXT) | instid1(VALU_DEP_1)
	v_lshrrev_b32_e32 v4, 16, v4
	v_cndmask_b32_e32 v3, 0x7fc0, v4, vcc_lo
	s_branch .LBB166_230
.LBB166_226:
	s_mov_b32 s19, -1
                                        ; implicit-def: $vgpr3
	s_branch .LBB166_248
.LBB166_227:
	s_mov_b32 s19, -1
                                        ; implicit-def: $vgpr3
	s_branch .LBB166_236
.LBB166_228:
	s_mov_b32 s19, -1
                                        ; implicit-def: $vgpr3
	s_branch .LBB166_233
.LBB166_229:
	s_mov_b32 s19, -1
                                        ; implicit-def: $vgpr3
.LBB166_230:
	s_delay_alu instid0(SALU_CYCLE_1)
	s_and_not1_b32 vcc_lo, exec_lo, s19
	s_cbranch_vccnz .LBB166_232
; %bb.231:
	s_wait_loadcnt 0x0
	global_load_b32 v3, v[0:1], off
	s_wait_loadcnt 0x0
	v_bfe_u32 v4, v3, 16, 1
	v_cmp_o_f32_e32 vcc_lo, v3, v3
	s_delay_alu instid0(VALU_DEP_2) | instskip(NEXT) | instid1(VALU_DEP_1)
	v_add3_u32 v4, v3, v4, 0x7fff
	v_lshrrev_b32_e32 v4, 16, v4
	s_delay_alu instid0(VALU_DEP_1)
	v_cndmask_b32_e32 v3, 0x7fc0, v4, vcc_lo
.LBB166_232:
	s_mov_b32 s19, 0
.LBB166_233:
	s_delay_alu instid0(SALU_CYCLE_1)
	s_and_not1_b32 vcc_lo, exec_lo, s19
	s_cbranch_vccnz .LBB166_235
; %bb.234:
	s_wait_loadcnt 0x0
	global_load_b32 v3, v[0:1], off
	s_wait_loadcnt 0x0
	v_cvt_f32_f16_e32 v4, v3
	v_cmp_o_f16_e32 vcc_lo, v3, v3
	s_delay_alu instid0(VALU_DEP_2) | instskip(NEXT) | instid1(VALU_DEP_1)
	v_bfe_u32 v5, v4, 16, 1
	v_add3_u32 v4, v4, v5, 0x7fff
	s_delay_alu instid0(VALU_DEP_1) | instskip(NEXT) | instid1(VALU_DEP_1)
	v_lshrrev_b32_e32 v4, 16, v4
	v_cndmask_b32_e32 v3, 0x7fc0, v4, vcc_lo
.LBB166_235:
	s_mov_b32 s19, 0
.LBB166_236:
	s_delay_alu instid0(SALU_CYCLE_1)
	s_and_not1_b32 vcc_lo, exec_lo, s19
	s_cbranch_vccnz .LBB166_247
; %bb.237:
	s_cmp_lt_i32 s0, 6
	s_cbranch_scc1 .LBB166_240
; %bb.238:
	s_cmp_gt_i32 s0, 6
	s_cbranch_scc0 .LBB166_241
; %bb.239:
	global_load_b64 v[4:5], v[0:1], off
	s_mov_b32 s19, 0
	s_wait_loadcnt 0x0
	v_cvt_f32_f64_e32 v3, v[4:5]
	s_delay_alu instid0(VALU_DEP_1) | instskip(SKIP_1) | instid1(VALU_DEP_2)
	v_bfe_u32 v4, v3, 16, 1
	v_cmp_o_f32_e32 vcc_lo, v3, v3
	v_add3_u32 v4, v3, v4, 0x7fff
	s_delay_alu instid0(VALU_DEP_1) | instskip(NEXT) | instid1(VALU_DEP_1)
	v_lshrrev_b32_e32 v4, 16, v4
	v_cndmask_b32_e32 v3, 0x7fc0, v4, vcc_lo
	s_branch .LBB166_242
.LBB166_240:
	s_mov_b32 s19, -1
                                        ; implicit-def: $vgpr3
	s_branch .LBB166_245
.LBB166_241:
	s_mov_b32 s19, -1
                                        ; implicit-def: $vgpr3
.LBB166_242:
	s_delay_alu instid0(SALU_CYCLE_1)
	s_and_not1_b32 vcc_lo, exec_lo, s19
	s_cbranch_vccnz .LBB166_244
; %bb.243:
	s_wait_loadcnt 0x0
	global_load_b32 v3, v[0:1], off
	s_wait_loadcnt 0x0
	v_bfe_u32 v4, v3, 16, 1
	v_cmp_o_f32_e32 vcc_lo, v3, v3
	s_delay_alu instid0(VALU_DEP_2) | instskip(NEXT) | instid1(VALU_DEP_1)
	v_add3_u32 v4, v3, v4, 0x7fff
	v_lshrrev_b32_e32 v4, 16, v4
	s_delay_alu instid0(VALU_DEP_1)
	v_cndmask_b32_e32 v3, 0x7fc0, v4, vcc_lo
.LBB166_244:
	s_mov_b32 s19, 0
.LBB166_245:
	s_delay_alu instid0(SALU_CYCLE_1)
	s_and_not1_b32 vcc_lo, exec_lo, s19
	s_cbranch_vccnz .LBB166_247
; %bb.246:
	s_wait_loadcnt 0x0
	global_load_u16 v3, v[0:1], off
	s_wait_loadcnt 0x0
	v_cvt_f32_f16_e32 v4, v3
	v_cmp_o_f16_e32 vcc_lo, v3, v3
	s_delay_alu instid0(VALU_DEP_2) | instskip(NEXT) | instid1(VALU_DEP_1)
	v_bfe_u32 v5, v4, 16, 1
	v_add3_u32 v4, v4, v5, 0x7fff
	s_delay_alu instid0(VALU_DEP_1) | instskip(NEXT) | instid1(VALU_DEP_1)
	v_lshrrev_b32_e32 v4, 16, v4
	v_cndmask_b32_e32 v3, 0x7fc0, v4, vcc_lo
.LBB166_247:
	s_mov_b32 s19, 0
.LBB166_248:
	s_delay_alu instid0(SALU_CYCLE_1)
	s_and_not1_b32 vcc_lo, exec_lo, s19
	s_cbranch_vccnz .LBB166_268
; %bb.249:
	s_cmp_lt_i32 s0, 2
	s_cbranch_scc1 .LBB166_253
; %bb.250:
	s_cmp_lt_i32 s0, 3
	s_cbranch_scc1 .LBB166_254
; %bb.251:
	s_cmp_gt_i32 s0, 3
	s_cbranch_scc0 .LBB166_255
; %bb.252:
	global_load_b64 v[4:5], v[0:1], off
	s_mov_b32 s19, 0
	s_wait_loadcnt 0x0
	v_xor_b32_e32 v3, v4, v5
	v_cls_i32_e32 v6, v5
	s_delay_alu instid0(VALU_DEP_2) | instskip(NEXT) | instid1(VALU_DEP_1)
	v_ashrrev_i32_e32 v3, 31, v3
	v_add_nc_u32_e32 v3, 32, v3
	s_delay_alu instid0(VALU_DEP_1) | instskip(NEXT) | instid1(VALU_DEP_1)
	v_add_min_u32_e64 v3, v6, -1, v3
	v_lshlrev_b64_e32 v[4:5], v3, v[4:5]
	v_sub_nc_u32_e32 v3, 32, v3
	s_delay_alu instid0(VALU_DEP_2) | instskip(NEXT) | instid1(VALU_DEP_1)
	v_min_u32_e32 v4, 1, v4
	v_or_b32_e32 v4, v5, v4
	s_delay_alu instid0(VALU_DEP_1) | instskip(NEXT) | instid1(VALU_DEP_1)
	v_cvt_f32_i32_e32 v4, v4
	v_ldexp_f32 v3, v4, v3
	s_delay_alu instid0(VALU_DEP_1) | instskip(NEXT) | instid1(VALU_DEP_1)
	v_bfe_u32 v4, v3, 16, 1
	v_add3_u32 v3, v3, v4, 0x7fff
	s_delay_alu instid0(VALU_DEP_1)
	v_lshrrev_b32_e32 v3, 16, v3
	s_branch .LBB166_256
.LBB166_253:
	s_mov_b32 s19, -1
                                        ; implicit-def: $vgpr3
	s_branch .LBB166_262
.LBB166_254:
	s_mov_b32 s19, -1
                                        ; implicit-def: $vgpr3
	s_branch .LBB166_259
.LBB166_255:
	s_mov_b32 s19, -1
                                        ; implicit-def: $vgpr3
.LBB166_256:
	s_delay_alu instid0(SALU_CYCLE_1)
	s_and_not1_b32 vcc_lo, exec_lo, s19
	s_cbranch_vccnz .LBB166_258
; %bb.257:
	s_wait_loadcnt 0x0
	global_load_b32 v3, v[0:1], off
	s_wait_loadcnt 0x0
	v_cvt_f32_i32_e32 v3, v3
	s_delay_alu instid0(VALU_DEP_1) | instskip(NEXT) | instid1(VALU_DEP_1)
	v_bfe_u32 v4, v3, 16, 1
	v_add3_u32 v3, v3, v4, 0x7fff
	s_delay_alu instid0(VALU_DEP_1)
	v_lshrrev_b32_e32 v3, 16, v3
.LBB166_258:
	s_mov_b32 s19, 0
.LBB166_259:
	s_delay_alu instid0(SALU_CYCLE_1)
	s_and_not1_b32 vcc_lo, exec_lo, s19
	s_cbranch_vccnz .LBB166_261
; %bb.260:
	s_wait_loadcnt 0x0
	global_load_i16 v3, v[0:1], off
	s_wait_loadcnt 0x0
	v_cvt_f32_i32_e32 v3, v3
	s_delay_alu instid0(VALU_DEP_1) | instskip(NEXT) | instid1(VALU_DEP_1)
	v_bfe_u32 v4, v3, 16, 1
	v_add3_u32 v3, v3, v4, 0x7fff
	s_delay_alu instid0(VALU_DEP_1)
	v_lshrrev_b32_e32 v3, 16, v3
.LBB166_261:
	s_mov_b32 s19, 0
.LBB166_262:
	s_delay_alu instid0(SALU_CYCLE_1)
	s_and_not1_b32 vcc_lo, exec_lo, s19
	s_cbranch_vccnz .LBB166_268
; %bb.263:
	s_cmp_gt_i32 s0, 0
	s_mov_b32 s0, 0
	s_cbranch_scc0 .LBB166_265
; %bb.264:
	s_wait_loadcnt 0x0
	global_load_i8 v3, v[0:1], off
	s_wait_loadcnt 0x0
	v_cvt_f32_i32_e32 v3, v3
	s_delay_alu instid0(VALU_DEP_1) | instskip(NEXT) | instid1(VALU_DEP_1)
	v_bfe_u32 v4, v3, 16, 1
	v_add3_u32 v3, v3, v4, 0x7fff
	s_delay_alu instid0(VALU_DEP_1)
	v_lshrrev_b32_e32 v3, 16, v3
	s_branch .LBB166_266
.LBB166_265:
	s_mov_b32 s0, -1
                                        ; implicit-def: $vgpr3
.LBB166_266:
	s_delay_alu instid0(SALU_CYCLE_1)
	s_and_not1_b32 vcc_lo, exec_lo, s0
	s_cbranch_vccnz .LBB166_268
; %bb.267:
	global_load_u8 v0, v[0:1], off
	s_wait_loadcnt 0x0
	v_cvt_f32_ubyte0_e32 v0, v0
	s_delay_alu instid0(VALU_DEP_1) | instskip(NEXT) | instid1(VALU_DEP_1)
	v_bfe_u32 v1, v0, 16, 1
	v_add3_u32 v0, v0, v1, 0x7fff
	s_delay_alu instid0(VALU_DEP_1)
	v_lshrrev_b32_e32 v3, 16, v0
.LBB166_268:
	s_branch .LBB166_21
.LBB166_269:
	s_mov_b32 s0, 0
	s_mov_b32 s21, 0
	s_branch .LBB166_510
.LBB166_270:
	s_mov_b32 s21, -1
.LBB166_271:
	s_mov_b32 s19, 0
                                        ; implicit-def: $vgpr4
.LBB166_272:
	s_and_b32 vcc_lo, exec_lo, s26
	s_cbranch_vccz .LBB166_276
; %bb.273:
	s_cmp_eq_u32 s0, 44
	s_cbranch_scc0 .LBB166_275
; %bb.274:
	s_wait_loadcnt 0x0
	global_load_u8 v4, v[0:1], off
	s_mov_b32 s21, 0
	s_mov_b32 s19, -1
	s_wait_loadcnt 0x0
	v_lshlrev_b32_e32 v5, 23, v4
	v_cmp_ne_u32_e32 vcc_lo, 0xff, v4
	s_delay_alu instid0(VALU_DEP_2) | instskip(SKIP_1) | instid1(VALU_DEP_2)
	v_cndmask_b32_e32 v5, 0x7f800001, v5, vcc_lo
	v_cmp_ne_u32_e32 vcc_lo, 0, v4
	v_cndmask_b32_e32 v4, 0x400000, v5, vcc_lo
	s_delay_alu instid0(VALU_DEP_1) | instskip(NEXT) | instid1(VALU_DEP_1)
	v_add_nc_u32_e32 v5, 0x7fff, v4
	v_lshrrev_b32_e32 v5, 16, v5
	v_cmp_o_f32_e32 vcc_lo, v4, v4
	s_delay_alu instid0(VALU_DEP_2)
	v_cndmask_b32_e32 v4, 0x7fc0, v5, vcc_lo
	s_branch .LBB166_276
.LBB166_275:
	s_mov_b32 s21, -1
                                        ; implicit-def: $vgpr4
.LBB166_276:
	s_mov_b32 s26, 0
.LBB166_277:
	s_delay_alu instid0(SALU_CYCLE_1)
	s_and_b32 vcc_lo, exec_lo, s26
	s_cbranch_vccz .LBB166_281
; %bb.278:
	s_cmp_eq_u32 s0, 29
	s_cbranch_scc0 .LBB166_280
; %bb.279:
	s_wait_loadcnt 0x0
	global_load_b64 v[4:5], v[0:1], off
	s_mov_b32 s19, -1
	s_mov_b32 s21, 0
	s_mov_b32 s26, 0
	s_wait_loadcnt 0x0
	v_clz_i32_u32_e32 v6, v5
	s_delay_alu instid0(VALU_DEP_1) | instskip(NEXT) | instid1(VALU_DEP_1)
	v_min_u32_e32 v6, 32, v6
	v_lshlrev_b64_e32 v[4:5], v6, v[4:5]
	s_delay_alu instid0(VALU_DEP_1) | instskip(NEXT) | instid1(VALU_DEP_1)
	v_min_u32_e32 v4, 1, v4
	v_dual_sub_nc_u32 v5, 32, v6 :: v_dual_bitop2_b32 v4, v5, v4 bitop3:0x54
	s_delay_alu instid0(VALU_DEP_1) | instskip(NEXT) | instid1(VALU_DEP_1)
	v_cvt_f32_u32_e32 v4, v4
	v_ldexp_f32 v4, v4, v5
	s_delay_alu instid0(VALU_DEP_1) | instskip(NEXT) | instid1(VALU_DEP_1)
	v_bfe_u32 v5, v4, 16, 1
	v_add3_u32 v4, v4, v5, 0x7fff
	s_delay_alu instid0(VALU_DEP_1)
	v_lshrrev_b32_e32 v4, 16, v4
	s_branch .LBB166_282
.LBB166_280:
	s_mov_b32 s21, -1
                                        ; implicit-def: $vgpr4
.LBB166_281:
	s_mov_b32 s26, 0
.LBB166_282:
	s_delay_alu instid0(SALU_CYCLE_1)
	s_and_b32 vcc_lo, exec_lo, s26
	s_cbranch_vccz .LBB166_300
; %bb.283:
	s_cmp_lt_i32 s0, 27
	s_cbranch_scc1 .LBB166_286
; %bb.284:
	s_cmp_gt_i32 s0, 27
	s_cbranch_scc0 .LBB166_287
; %bb.285:
	s_wait_loadcnt 0x0
	global_load_b32 v4, v[0:1], off
	s_mov_b32 s19, 0
	s_wait_loadcnt 0x0
	v_cvt_f32_u32_e32 v4, v4
	s_delay_alu instid0(VALU_DEP_1) | instskip(NEXT) | instid1(VALU_DEP_1)
	v_bfe_u32 v5, v4, 16, 1
	v_add3_u32 v4, v4, v5, 0x7fff
	s_delay_alu instid0(VALU_DEP_1)
	v_lshrrev_b32_e32 v4, 16, v4
	s_branch .LBB166_288
.LBB166_286:
	s_mov_b32 s19, -1
                                        ; implicit-def: $vgpr4
	s_branch .LBB166_291
.LBB166_287:
	s_mov_b32 s19, -1
                                        ; implicit-def: $vgpr4
.LBB166_288:
	s_delay_alu instid0(SALU_CYCLE_1)
	s_and_not1_b32 vcc_lo, exec_lo, s19
	s_cbranch_vccnz .LBB166_290
; %bb.289:
	s_wait_loadcnt 0x0
	global_load_u16 v4, v[0:1], off
	s_wait_loadcnt 0x0
	v_cvt_f32_u32_e32 v4, v4
	s_delay_alu instid0(VALU_DEP_1) | instskip(NEXT) | instid1(VALU_DEP_1)
	v_bfe_u32 v5, v4, 16, 1
	v_add3_u32 v4, v4, v5, 0x7fff
	s_delay_alu instid0(VALU_DEP_1)
	v_lshrrev_b32_e32 v4, 16, v4
.LBB166_290:
	s_mov_b32 s19, 0
.LBB166_291:
	s_delay_alu instid0(SALU_CYCLE_1)
	s_and_not1_b32 vcc_lo, exec_lo, s19
	s_cbranch_vccnz .LBB166_299
; %bb.292:
	s_wait_loadcnt 0x0
	global_load_u8 v4, v[0:1], off
	s_mov_b32 s19, 0
	s_mov_b32 s26, exec_lo
	s_wait_loadcnt 0x0
	v_cmpx_lt_i16_e32 0x7f, v4
	s_xor_b32 s26, exec_lo, s26
	s_cbranch_execz .LBB166_313
; %bb.293:
	s_mov_b32 s19, -1
	s_mov_b32 s27, exec_lo
	v_cmpx_eq_u16_e32 0x80, v4
; %bb.294:
	s_xor_b32 s19, exec_lo, -1
; %bb.295:
	s_or_b32 exec_lo, exec_lo, s27
	s_delay_alu instid0(SALU_CYCLE_1)
	s_and_b32 s19, s19, exec_lo
	s_or_saveexec_b32 s26, s26
	v_mov_b32_e32 v5, 0x7f800001
	s_xor_b32 exec_lo, exec_lo, s26
	s_cbranch_execnz .LBB166_314
.LBB166_296:
	s_or_b32 exec_lo, exec_lo, s26
	s_and_saveexec_b32 s26, s19
	s_cbranch_execz .LBB166_298
.LBB166_297:
	v_and_b32_e32 v5, 0xffff, v4
	s_delay_alu instid0(VALU_DEP_1) | instskip(SKIP_1) | instid1(VALU_DEP_2)
	v_and_b32_e32 v6, 7, v5
	v_bfe_u32 v10, v5, 3, 4
	v_clz_i32_u32_e32 v7, v6
	s_delay_alu instid0(VALU_DEP_2) | instskip(NEXT) | instid1(VALU_DEP_2)
	v_cmp_eq_u32_e32 vcc_lo, 0, v10
	v_min_u32_e32 v7, 32, v7
	s_delay_alu instid0(VALU_DEP_1) | instskip(NEXT) | instid1(VALU_DEP_1)
	v_subrev_nc_u32_e32 v9, 28, v7
	v_dual_lshlrev_b32 v5, v9, v5 :: v_dual_sub_nc_u32 v7, 29, v7
	s_delay_alu instid0(VALU_DEP_1) | instskip(NEXT) | instid1(VALU_DEP_2)
	v_dual_lshlrev_b32 v4, 24, v4 :: v_dual_bitop2_b32 v5, 7, v5 bitop3:0x40
	v_cndmask_b32_e32 v7, v10, v7, vcc_lo
	s_delay_alu instid0(VALU_DEP_2) | instskip(NEXT) | instid1(VALU_DEP_3)
	v_cndmask_b32_e32 v5, v6, v5, vcc_lo
	v_and_b32_e32 v4, 0x80000000, v4
	s_delay_alu instid0(VALU_DEP_3) | instskip(NEXT) | instid1(VALU_DEP_3)
	v_lshl_add_u32 v6, v7, 23, 0x3b800000
	v_lshlrev_b32_e32 v5, 20, v5
	s_delay_alu instid0(VALU_DEP_1)
	v_or3_b32 v5, v4, v6, v5
.LBB166_298:
	s_or_b32 exec_lo, exec_lo, s26
	s_delay_alu instid0(VALU_DEP_1) | instskip(SKIP_1) | instid1(VALU_DEP_2)
	v_bfe_u32 v4, v5, 16, 1
	v_cmp_o_f32_e32 vcc_lo, v5, v5
	v_add3_u32 v4, v5, v4, 0x7fff
	s_delay_alu instid0(VALU_DEP_1) | instskip(NEXT) | instid1(VALU_DEP_1)
	v_lshrrev_b32_e32 v4, 16, v4
	v_cndmask_b32_e32 v4, 0x7fc0, v4, vcc_lo
.LBB166_299:
	s_mov_b32 s19, -1
.LBB166_300:
	s_mov_b32 s26, 0
.LBB166_301:
	s_delay_alu instid0(SALU_CYCLE_1)
	s_and_b32 vcc_lo, exec_lo, s26
	s_cbranch_vccz .LBB166_336
; %bb.302:
	s_cmp_gt_i32 s0, 22
	s_cbranch_scc0 .LBB166_312
; %bb.303:
	s_cmp_lt_i32 s0, 24
	s_cbranch_scc1 .LBB166_315
; %bb.304:
	s_cmp_gt_i32 s0, 24
	s_cbranch_scc0 .LBB166_316
; %bb.305:
	s_wait_loadcnt 0x0
	global_load_u8 v4, v[0:1], off
	s_mov_b32 s19, 0
	s_mov_b32 s26, exec_lo
	s_wait_loadcnt 0x0
	v_cmpx_lt_i16_e32 0x7f, v4
	s_xor_b32 s26, exec_lo, s26
	s_cbranch_execz .LBB166_328
; %bb.306:
	s_mov_b32 s19, -1
	s_mov_b32 s27, exec_lo
	v_cmpx_eq_u16_e32 0x80, v4
; %bb.307:
	s_xor_b32 s19, exec_lo, -1
; %bb.308:
	s_or_b32 exec_lo, exec_lo, s27
	s_delay_alu instid0(SALU_CYCLE_1)
	s_and_b32 s19, s19, exec_lo
	s_or_saveexec_b32 s26, s26
	v_mov_b32_e32 v5, 0x7f800001
	s_xor_b32 exec_lo, exec_lo, s26
	s_cbranch_execnz .LBB166_329
.LBB166_309:
	s_or_b32 exec_lo, exec_lo, s26
	s_and_saveexec_b32 s26, s19
	s_cbranch_execz .LBB166_311
.LBB166_310:
	v_and_b32_e32 v5, 0xffff, v4
	s_delay_alu instid0(VALU_DEP_1) | instskip(SKIP_1) | instid1(VALU_DEP_2)
	v_and_b32_e32 v6, 3, v5
	v_bfe_u32 v10, v5, 2, 5
	v_clz_i32_u32_e32 v7, v6
	s_delay_alu instid0(VALU_DEP_2) | instskip(NEXT) | instid1(VALU_DEP_2)
	v_cmp_eq_u32_e32 vcc_lo, 0, v10
	v_min_u32_e32 v7, 32, v7
	s_delay_alu instid0(VALU_DEP_1) | instskip(NEXT) | instid1(VALU_DEP_1)
	v_subrev_nc_u32_e32 v9, 29, v7
	v_dual_lshlrev_b32 v5, v9, v5 :: v_dual_sub_nc_u32 v7, 30, v7
	s_delay_alu instid0(VALU_DEP_1) | instskip(NEXT) | instid1(VALU_DEP_2)
	v_dual_lshlrev_b32 v4, 24, v4 :: v_dual_bitop2_b32 v5, 3, v5 bitop3:0x40
	v_cndmask_b32_e32 v7, v10, v7, vcc_lo
	s_delay_alu instid0(VALU_DEP_2) | instskip(NEXT) | instid1(VALU_DEP_3)
	v_cndmask_b32_e32 v5, v6, v5, vcc_lo
	v_and_b32_e32 v4, 0x80000000, v4
	s_delay_alu instid0(VALU_DEP_3) | instskip(NEXT) | instid1(VALU_DEP_3)
	v_lshl_add_u32 v6, v7, 23, 0x37800000
	v_lshlrev_b32_e32 v5, 21, v5
	s_delay_alu instid0(VALU_DEP_1)
	v_or3_b32 v5, v4, v6, v5
.LBB166_311:
	s_or_b32 exec_lo, exec_lo, s26
	s_delay_alu instid0(VALU_DEP_1) | instskip(SKIP_2) | instid1(VALU_DEP_2)
	v_bfe_u32 v4, v5, 16, 1
	v_cmp_o_f32_e32 vcc_lo, v5, v5
	s_mov_b32 s19, 0
	v_add3_u32 v4, v5, v4, 0x7fff
	s_delay_alu instid0(VALU_DEP_1) | instskip(NEXT) | instid1(VALU_DEP_1)
	v_lshrrev_b32_e32 v4, 16, v4
	v_cndmask_b32_e32 v4, 0x7fc0, v4, vcc_lo
	s_branch .LBB166_317
.LBB166_312:
	s_mov_b32 s26, -1
                                        ; implicit-def: $vgpr4
	s_branch .LBB166_323
.LBB166_313:
	s_or_saveexec_b32 s26, s26
	v_mov_b32_e32 v5, 0x7f800001
	s_xor_b32 exec_lo, exec_lo, s26
	s_cbranch_execz .LBB166_296
.LBB166_314:
	v_cmp_ne_u16_e32 vcc_lo, 0, v4
	v_mov_b32_e32 v5, 0
	s_and_not1_b32 s19, s19, exec_lo
	s_and_b32 s27, vcc_lo, exec_lo
	s_delay_alu instid0(SALU_CYCLE_1)
	s_or_b32 s19, s19, s27
	s_or_b32 exec_lo, exec_lo, s26
	s_and_saveexec_b32 s26, s19
	s_cbranch_execnz .LBB166_297
	s_branch .LBB166_298
.LBB166_315:
	s_mov_b32 s19, -1
                                        ; implicit-def: $vgpr4
	s_branch .LBB166_320
.LBB166_316:
	s_mov_b32 s19, -1
                                        ; implicit-def: $vgpr4
.LBB166_317:
	s_delay_alu instid0(SALU_CYCLE_1)
	s_and_b32 vcc_lo, exec_lo, s19
	s_cbranch_vccz .LBB166_319
; %bb.318:
	s_wait_loadcnt 0x0
	global_load_u8 v4, v[0:1], off
	s_wait_loadcnt 0x0
	v_lshlrev_b32_e32 v4, 24, v4
	s_delay_alu instid0(VALU_DEP_1) | instskip(NEXT) | instid1(VALU_DEP_1)
	v_and_b32_e32 v5, 0x7f000000, v4
	v_clz_i32_u32_e32 v6, v5
	v_add_nc_u32_e32 v9, 0x1000000, v5
	v_cmp_ne_u32_e32 vcc_lo, 0, v5
	s_delay_alu instid0(VALU_DEP_3) | instskip(NEXT) | instid1(VALU_DEP_1)
	v_min_u32_e32 v6, 32, v6
	v_sub_nc_u32_e64 v6, v6, 4 clamp
	s_delay_alu instid0(VALU_DEP_1) | instskip(NEXT) | instid1(VALU_DEP_1)
	v_dual_lshlrev_b32 v7, v6, v5 :: v_dual_lshlrev_b32 v6, 23, v6
	v_lshrrev_b32_e32 v7, 4, v7
	s_delay_alu instid0(VALU_DEP_1) | instskip(NEXT) | instid1(VALU_DEP_1)
	v_dual_sub_nc_u32 v6, v7, v6 :: v_dual_ashrrev_i32 v7, 8, v9
	v_add_nc_u32_e32 v6, 0x3c000000, v6
	s_delay_alu instid0(VALU_DEP_1) | instskip(NEXT) | instid1(VALU_DEP_1)
	v_and_or_b32 v6, 0x7f800000, v7, v6
	v_cndmask_b32_e32 v5, 0, v6, vcc_lo
	s_delay_alu instid0(VALU_DEP_1) | instskip(SKIP_1) | instid1(VALU_DEP_2)
	v_and_or_b32 v4, 0x80000000, v4, v5
	v_bfe_u32 v5, v5, 16, 1
	v_cmp_o_f32_e32 vcc_lo, v4, v4
	s_delay_alu instid0(VALU_DEP_2) | instskip(NEXT) | instid1(VALU_DEP_1)
	v_add3_u32 v5, v4, v5, 0x7fff
	v_lshrrev_b32_e32 v5, 16, v5
	s_delay_alu instid0(VALU_DEP_1)
	v_cndmask_b32_e32 v4, 0x7fc0, v5, vcc_lo
.LBB166_319:
	s_mov_b32 s19, 0
.LBB166_320:
	s_delay_alu instid0(SALU_CYCLE_1)
	s_and_not1_b32 vcc_lo, exec_lo, s19
	s_cbranch_vccnz .LBB166_322
; %bb.321:
	s_wait_loadcnt 0x0
	global_load_u8 v4, v[0:1], off
	s_wait_loadcnt 0x0
	v_lshlrev_b32_e32 v5, 25, v4
	v_lshlrev_b16 v4, 8, v4
	s_delay_alu instid0(VALU_DEP_1) | instskip(SKIP_1) | instid1(VALU_DEP_2)
	v_and_or_b32 v7, 0x7f00, v4, 0.5
	v_bfe_i32 v4, v4, 0, 16
	v_dual_add_f32 v7, -0.5, v7 :: v_dual_lshrrev_b32 v6, 4, v5
	v_cmp_gt_u32_e32 vcc_lo, 0x8000000, v5
	s_delay_alu instid0(VALU_DEP_2) | instskip(NEXT) | instid1(VALU_DEP_1)
	v_or_b32_e32 v6, 0x70000000, v6
	v_mul_f32_e32 v6, 0x7800000, v6
	s_delay_alu instid0(VALU_DEP_1) | instskip(NEXT) | instid1(VALU_DEP_1)
	v_cndmask_b32_e32 v5, v6, v7, vcc_lo
	v_and_or_b32 v4, 0x80000000, v4, v5
	v_bfe_u32 v5, v5, 16, 1
	s_delay_alu instid0(VALU_DEP_2) | instskip(NEXT) | instid1(VALU_DEP_2)
	v_cmp_o_f32_e32 vcc_lo, v4, v4
	v_add3_u32 v5, v4, v5, 0x7fff
	s_delay_alu instid0(VALU_DEP_1) | instskip(NEXT) | instid1(VALU_DEP_1)
	v_lshrrev_b32_e32 v5, 16, v5
	v_cndmask_b32_e32 v4, 0x7fc0, v5, vcc_lo
.LBB166_322:
	s_mov_b32 s26, 0
	s_mov_b32 s19, -1
.LBB166_323:
	s_and_not1_b32 vcc_lo, exec_lo, s26
	s_cbranch_vccnz .LBB166_336
; %bb.324:
	s_cmp_gt_i32 s0, 14
	s_cbranch_scc0 .LBB166_327
; %bb.325:
	s_cmp_eq_u32 s0, 15
	s_cbranch_scc0 .LBB166_330
; %bb.326:
	s_wait_loadcnt 0x0
	global_load_u16 v4, v[0:1], off
	s_mov_b32 s19, -1
	s_mov_b32 s21, 0
	s_branch .LBB166_331
.LBB166_327:
	s_mov_b32 s26, -1
                                        ; implicit-def: $vgpr4
	s_branch .LBB166_332
.LBB166_328:
	s_or_saveexec_b32 s26, s26
	v_mov_b32_e32 v5, 0x7f800001
	s_xor_b32 exec_lo, exec_lo, s26
	s_cbranch_execz .LBB166_309
.LBB166_329:
	v_cmp_ne_u16_e32 vcc_lo, 0, v4
	v_mov_b32_e32 v5, 0
	s_and_not1_b32 s19, s19, exec_lo
	s_and_b32 s27, vcc_lo, exec_lo
	s_delay_alu instid0(SALU_CYCLE_1)
	s_or_b32 s19, s19, s27
	s_or_b32 exec_lo, exec_lo, s26
	s_and_saveexec_b32 s26, s19
	s_cbranch_execnz .LBB166_310
	s_branch .LBB166_311
.LBB166_330:
	s_mov_b32 s21, -1
                                        ; implicit-def: $vgpr4
.LBB166_331:
	s_mov_b32 s26, 0
.LBB166_332:
	s_delay_alu instid0(SALU_CYCLE_1)
	s_and_b32 vcc_lo, exec_lo, s26
	s_cbranch_vccz .LBB166_336
; %bb.333:
	s_cmp_eq_u32 s0, 11
	s_cbranch_scc0 .LBB166_335
; %bb.334:
	s_wait_loadcnt 0x0
	global_load_u8 v4, v[0:1], off
	s_mov_b32 s21, 0
	s_mov_b32 s19, -1
	s_wait_loadcnt 0x0
	v_cmp_ne_u16_e32 vcc_lo, 0, v4
	v_cndmask_b32_e64 v4, 0, 1.0, vcc_lo
	s_delay_alu instid0(VALU_DEP_1)
	v_lshrrev_b32_e32 v4, 16, v4
	s_branch .LBB166_336
.LBB166_335:
	s_mov_b32 s21, -1
                                        ; implicit-def: $vgpr4
.LBB166_336:
	s_mov_b32 s26, 0
.LBB166_337:
	s_delay_alu instid0(SALU_CYCLE_1)
	s_and_b32 vcc_lo, exec_lo, s26
	s_cbranch_vccz .LBB166_386
; %bb.338:
	s_cmp_lt_i32 s0, 5
	s_cbranch_scc1 .LBB166_343
; %bb.339:
	s_cmp_lt_i32 s0, 8
	s_cbranch_scc1 .LBB166_344
	;; [unrolled: 3-line block ×3, first 2 shown]
; %bb.341:
	s_cmp_gt_i32 s0, 9
	s_cbranch_scc0 .LBB166_346
; %bb.342:
	s_wait_loadcnt 0x0
	global_load_b64 v[4:5], v[0:1], off
	s_mov_b32 s19, 0
	s_wait_loadcnt 0x0
	v_cvt_f32_f64_e32 v4, v[4:5]
	s_delay_alu instid0(VALU_DEP_1) | instskip(SKIP_1) | instid1(VALU_DEP_2)
	v_bfe_u32 v5, v4, 16, 1
	v_cmp_o_f32_e32 vcc_lo, v4, v4
	v_add3_u32 v5, v4, v5, 0x7fff
	s_delay_alu instid0(VALU_DEP_1) | instskip(NEXT) | instid1(VALU_DEP_1)
	v_lshrrev_b32_e32 v5, 16, v5
	v_cndmask_b32_e32 v4, 0x7fc0, v5, vcc_lo
	s_branch .LBB166_347
.LBB166_343:
	s_mov_b32 s19, -1
                                        ; implicit-def: $vgpr4
	s_branch .LBB166_365
.LBB166_344:
	s_mov_b32 s19, -1
                                        ; implicit-def: $vgpr4
	s_branch .LBB166_353
.LBB166_345:
	s_mov_b32 s19, -1
                                        ; implicit-def: $vgpr4
	s_branch .LBB166_350
.LBB166_346:
	s_mov_b32 s19, -1
                                        ; implicit-def: $vgpr4
.LBB166_347:
	s_delay_alu instid0(SALU_CYCLE_1)
	s_and_not1_b32 vcc_lo, exec_lo, s19
	s_cbranch_vccnz .LBB166_349
; %bb.348:
	s_wait_loadcnt 0x0
	global_load_b32 v4, v[0:1], off
	s_wait_loadcnt 0x0
	v_bfe_u32 v5, v4, 16, 1
	v_cmp_o_f32_e32 vcc_lo, v4, v4
	s_delay_alu instid0(VALU_DEP_2) | instskip(NEXT) | instid1(VALU_DEP_1)
	v_add3_u32 v5, v4, v5, 0x7fff
	v_lshrrev_b32_e32 v5, 16, v5
	s_delay_alu instid0(VALU_DEP_1)
	v_cndmask_b32_e32 v4, 0x7fc0, v5, vcc_lo
.LBB166_349:
	s_mov_b32 s19, 0
.LBB166_350:
	s_delay_alu instid0(SALU_CYCLE_1)
	s_and_not1_b32 vcc_lo, exec_lo, s19
	s_cbranch_vccnz .LBB166_352
; %bb.351:
	s_wait_loadcnt 0x0
	global_load_b32 v4, v[0:1], off
	s_wait_loadcnt 0x0
	v_cvt_f32_f16_e32 v5, v4
	v_cmp_o_f16_e32 vcc_lo, v4, v4
	s_delay_alu instid0(VALU_DEP_2) | instskip(NEXT) | instid1(VALU_DEP_1)
	v_bfe_u32 v6, v5, 16, 1
	v_add3_u32 v5, v5, v6, 0x7fff
	s_delay_alu instid0(VALU_DEP_1) | instskip(NEXT) | instid1(VALU_DEP_1)
	v_lshrrev_b32_e32 v5, 16, v5
	v_cndmask_b32_e32 v4, 0x7fc0, v5, vcc_lo
.LBB166_352:
	s_mov_b32 s19, 0
.LBB166_353:
	s_delay_alu instid0(SALU_CYCLE_1)
	s_and_not1_b32 vcc_lo, exec_lo, s19
	s_cbranch_vccnz .LBB166_364
; %bb.354:
	s_cmp_lt_i32 s0, 6
	s_cbranch_scc1 .LBB166_357
; %bb.355:
	s_cmp_gt_i32 s0, 6
	s_cbranch_scc0 .LBB166_358
; %bb.356:
	s_wait_loadcnt 0x0
	global_load_b64 v[4:5], v[0:1], off
	s_mov_b32 s19, 0
	s_wait_loadcnt 0x0
	v_cvt_f32_f64_e32 v4, v[4:5]
	s_delay_alu instid0(VALU_DEP_1) | instskip(SKIP_1) | instid1(VALU_DEP_2)
	v_bfe_u32 v5, v4, 16, 1
	v_cmp_o_f32_e32 vcc_lo, v4, v4
	v_add3_u32 v5, v4, v5, 0x7fff
	s_delay_alu instid0(VALU_DEP_1) | instskip(NEXT) | instid1(VALU_DEP_1)
	v_lshrrev_b32_e32 v5, 16, v5
	v_cndmask_b32_e32 v4, 0x7fc0, v5, vcc_lo
	s_branch .LBB166_359
.LBB166_357:
	s_mov_b32 s19, -1
                                        ; implicit-def: $vgpr4
	s_branch .LBB166_362
.LBB166_358:
	s_mov_b32 s19, -1
                                        ; implicit-def: $vgpr4
.LBB166_359:
	s_delay_alu instid0(SALU_CYCLE_1)
	s_and_not1_b32 vcc_lo, exec_lo, s19
	s_cbranch_vccnz .LBB166_361
; %bb.360:
	s_wait_loadcnt 0x0
	global_load_b32 v4, v[0:1], off
	s_wait_loadcnt 0x0
	v_bfe_u32 v5, v4, 16, 1
	v_cmp_o_f32_e32 vcc_lo, v4, v4
	s_delay_alu instid0(VALU_DEP_2) | instskip(NEXT) | instid1(VALU_DEP_1)
	v_add3_u32 v5, v4, v5, 0x7fff
	v_lshrrev_b32_e32 v5, 16, v5
	s_delay_alu instid0(VALU_DEP_1)
	v_cndmask_b32_e32 v4, 0x7fc0, v5, vcc_lo
.LBB166_361:
	s_mov_b32 s19, 0
.LBB166_362:
	s_delay_alu instid0(SALU_CYCLE_1)
	s_and_not1_b32 vcc_lo, exec_lo, s19
	s_cbranch_vccnz .LBB166_364
; %bb.363:
	s_wait_loadcnt 0x0
	global_load_u16 v4, v[0:1], off
	s_wait_loadcnt 0x0
	v_cvt_f32_f16_e32 v5, v4
	v_cmp_o_f16_e32 vcc_lo, v4, v4
	s_delay_alu instid0(VALU_DEP_2) | instskip(NEXT) | instid1(VALU_DEP_1)
	v_bfe_u32 v6, v5, 16, 1
	v_add3_u32 v5, v5, v6, 0x7fff
	s_delay_alu instid0(VALU_DEP_1) | instskip(NEXT) | instid1(VALU_DEP_1)
	v_lshrrev_b32_e32 v5, 16, v5
	v_cndmask_b32_e32 v4, 0x7fc0, v5, vcc_lo
.LBB166_364:
	s_mov_b32 s19, 0
.LBB166_365:
	s_delay_alu instid0(SALU_CYCLE_1)
	s_and_not1_b32 vcc_lo, exec_lo, s19
	s_cbranch_vccnz .LBB166_385
; %bb.366:
	s_cmp_lt_i32 s0, 2
	s_cbranch_scc1 .LBB166_370
; %bb.367:
	s_cmp_lt_i32 s0, 3
	s_cbranch_scc1 .LBB166_371
; %bb.368:
	s_cmp_gt_i32 s0, 3
	s_cbranch_scc0 .LBB166_372
; %bb.369:
	s_wait_loadcnt 0x0
	global_load_b64 v[4:5], v[0:1], off
	s_mov_b32 s19, 0
	s_wait_loadcnt 0x0
	v_xor_b32_e32 v6, v4, v5
	v_cls_i32_e32 v7, v5
	s_delay_alu instid0(VALU_DEP_2) | instskip(NEXT) | instid1(VALU_DEP_1)
	v_ashrrev_i32_e32 v6, 31, v6
	v_add_nc_u32_e32 v6, 32, v6
	s_delay_alu instid0(VALU_DEP_1) | instskip(NEXT) | instid1(VALU_DEP_1)
	v_add_min_u32_e64 v6, v7, -1, v6
	v_lshlrev_b64_e32 v[4:5], v6, v[4:5]
	s_delay_alu instid0(VALU_DEP_1) | instskip(NEXT) | instid1(VALU_DEP_1)
	v_min_u32_e32 v4, 1, v4
	v_dual_sub_nc_u32 v5, 32, v6 :: v_dual_bitop2_b32 v4, v5, v4 bitop3:0x54
	s_delay_alu instid0(VALU_DEP_1) | instskip(NEXT) | instid1(VALU_DEP_1)
	v_cvt_f32_i32_e32 v4, v4
	v_ldexp_f32 v4, v4, v5
	s_delay_alu instid0(VALU_DEP_1) | instskip(NEXT) | instid1(VALU_DEP_1)
	v_bfe_u32 v5, v4, 16, 1
	v_add3_u32 v4, v4, v5, 0x7fff
	s_delay_alu instid0(VALU_DEP_1)
	v_lshrrev_b32_e32 v4, 16, v4
	s_branch .LBB166_373
.LBB166_370:
	s_mov_b32 s19, -1
                                        ; implicit-def: $vgpr4
	s_branch .LBB166_379
.LBB166_371:
	s_mov_b32 s19, -1
                                        ; implicit-def: $vgpr4
	s_branch .LBB166_376
.LBB166_372:
	s_mov_b32 s19, -1
                                        ; implicit-def: $vgpr4
.LBB166_373:
	s_delay_alu instid0(SALU_CYCLE_1)
	s_and_not1_b32 vcc_lo, exec_lo, s19
	s_cbranch_vccnz .LBB166_375
; %bb.374:
	s_wait_loadcnt 0x0
	global_load_b32 v4, v[0:1], off
	s_wait_loadcnt 0x0
	v_cvt_f32_i32_e32 v4, v4
	s_delay_alu instid0(VALU_DEP_1) | instskip(NEXT) | instid1(VALU_DEP_1)
	v_bfe_u32 v5, v4, 16, 1
	v_add3_u32 v4, v4, v5, 0x7fff
	s_delay_alu instid0(VALU_DEP_1)
	v_lshrrev_b32_e32 v4, 16, v4
.LBB166_375:
	s_mov_b32 s19, 0
.LBB166_376:
	s_delay_alu instid0(SALU_CYCLE_1)
	s_and_not1_b32 vcc_lo, exec_lo, s19
	s_cbranch_vccnz .LBB166_378
; %bb.377:
	s_wait_loadcnt 0x0
	global_load_i16 v4, v[0:1], off
	s_wait_loadcnt 0x0
	v_cvt_f32_i32_e32 v4, v4
	s_delay_alu instid0(VALU_DEP_1) | instskip(NEXT) | instid1(VALU_DEP_1)
	v_bfe_u32 v5, v4, 16, 1
	v_add3_u32 v4, v4, v5, 0x7fff
	s_delay_alu instid0(VALU_DEP_1)
	v_lshrrev_b32_e32 v4, 16, v4
.LBB166_378:
	s_mov_b32 s19, 0
.LBB166_379:
	s_delay_alu instid0(SALU_CYCLE_1)
	s_and_not1_b32 vcc_lo, exec_lo, s19
	s_cbranch_vccnz .LBB166_385
; %bb.380:
	s_cmp_gt_i32 s0, 0
	s_mov_b32 s0, 0
	s_cbranch_scc0 .LBB166_382
; %bb.381:
	s_wait_loadcnt 0x0
	global_load_i8 v4, v[0:1], off
	s_wait_loadcnt 0x0
	v_cvt_f32_i32_e32 v4, v4
	s_delay_alu instid0(VALU_DEP_1) | instskip(NEXT) | instid1(VALU_DEP_1)
	v_bfe_u32 v5, v4, 16, 1
	v_add3_u32 v4, v4, v5, 0x7fff
	s_delay_alu instid0(VALU_DEP_1)
	v_lshrrev_b32_e32 v4, 16, v4
	s_branch .LBB166_383
.LBB166_382:
	s_mov_b32 s0, -1
                                        ; implicit-def: $vgpr4
.LBB166_383:
	s_delay_alu instid0(SALU_CYCLE_1)
	s_and_not1_b32 vcc_lo, exec_lo, s0
	s_cbranch_vccnz .LBB166_385
; %bb.384:
	global_load_u8 v0, v[0:1], off
	s_wait_loadcnt 0x0
	v_cvt_f32_ubyte0_e32 v0, v0
	s_delay_alu instid0(VALU_DEP_1) | instskip(NEXT) | instid1(VALU_DEP_1)
	v_bfe_u32 v1, v0, 16, 1
	v_add3_u32 v0, v0, v1, 0x7fff
	s_delay_alu instid0(VALU_DEP_1)
	v_lshrrev_b32_e32 v4, 16, v0
.LBB166_385:
	s_mov_b32 s19, -1
.LBB166_386:
	s_delay_alu instid0(SALU_CYCLE_1)
	s_and_not1_b32 vcc_lo, exec_lo, s19
	s_cbranch_vccnz .LBB166_394
; %bb.387:
	s_wait_loadcnt 0x0
	v_dual_lshlrev_b32 v5, 16, v3 :: v_dual_lshlrev_b32 v6, 16, v2
	v_mul_lo_u32 v0, v8, s12
	s_and_b32 s19, s2, 0xff
	v_lshlrev_b32_e32 v7, 16, v4
	s_cmp_lt_i32 s19, 11
	v_cmp_gt_f32_e32 vcc_lo, v6, v5
	v_cndmask_b32_e32 v1, v3, v2, vcc_lo
	s_delay_alu instid0(VALU_DEP_1) | instskip(NEXT) | instid1(VALU_DEP_1)
	v_lshlrev_b32_e32 v9, 16, v1
	v_cmp_lt_f32_e32 vcc_lo, v9, v7
	v_cndmask_b32_e32 v1, v4, v1, vcc_lo
	v_cmp_u_f32_e32 vcc_lo, v7, v7
	s_delay_alu instid0(VALU_DEP_2) | instskip(SKIP_1) | instid1(VALU_DEP_2)
	v_cndmask_b32_e32 v4, v1, v4, vcc_lo
	v_cmp_u_f32_e32 vcc_lo, v5, v5
	v_dual_ashrrev_i32 v1, 31, v0 :: v_dual_cndmask_b32 v3, v4, v3, vcc_lo
	v_cmp_u_f32_e32 vcc_lo, v6, v6
	s_delay_alu instid0(VALU_DEP_2) | instskip(NEXT) | instid1(VALU_DEP_3)
	v_add_nc_u64_e32 v[0:1], s[4:5], v[0:1]
	v_cndmask_b32_e32 v2, v3, v2, vcc_lo
	s_cbranch_scc1 .LBB166_395
; %bb.388:
	s_and_b32 s26, 0xffff, s19
	s_delay_alu instid0(SALU_CYCLE_1)
	s_cmp_gt_i32 s26, 25
	s_cbranch_scc0 .LBB166_396
; %bb.389:
	s_cmp_gt_i32 s26, 28
	s_cbranch_scc0 .LBB166_397
; %bb.390:
	;; [unrolled: 3-line block ×4, first 2 shown]
	s_mov_b32 s28, 0
	s_mov_b32 s0, -1
	s_cmp_eq_u32 s26, 46
	s_mov_b32 s27, 0
	s_cbranch_scc0 .LBB166_400
; %bb.393:
	v_and_b32_e32 v3, 0xffff, v2
	s_mov_b32 s27, -1
	s_mov_b32 s0, 0
	global_store_b32 v[0:1], v3, off
	s_branch .LBB166_400
.LBB166_394:
	s_mov_b32 s0, 0
	s_branch .LBB166_510
.LBB166_395:
	s_mov_b32 s26, -1
	s_mov_b32 s0, 0
	s_mov_b32 s27, 0
	s_branch .LBB166_469
.LBB166_396:
	s_mov_b32 s0, 0
	s_mov_b32 s27, 0
	s_branch .LBB166_427
.LBB166_397:
	s_mov_b32 s0, 0
	s_mov_b32 s27, 0
	s_branch .LBB166_410
.LBB166_398:
	s_mov_b32 s0, 0
	s_mov_b32 s27, 0
	s_branch .LBB166_406
.LBB166_399:
	s_mov_b32 s0, 0
	s_mov_b32 s27, 0
.LBB166_400:
	s_and_b32 vcc_lo, exec_lo, s28
	s_cbranch_vccz .LBB166_405
; %bb.401:
	s_cmp_eq_u32 s26, 44
	s_mov_b32 s0, -1
	s_cbranch_scc0 .LBB166_405
; %bb.402:
	s_wait_xcnt 0x0
	v_and_b32_e32 v3, 0xffff, v2
	v_mov_b32_e32 v4, 0xff
	s_mov_b32 s27, exec_lo
	s_delay_alu instid0(VALU_DEP_2) | instskip(NEXT) | instid1(VALU_DEP_1)
	v_bfe_u32 v5, v3, 7, 8
	v_cmpx_ne_u32_e32 0xff, v5
	s_cbranch_execz .LBB166_404
; %bb.403:
	v_dual_lshlrev_b32 v4, 16, v3 :: v_dual_bitop2_b32 v6, 64, v3 bitop3:0x40
	v_lshrrev_b32_e32 v3, 7, v3
	s_delay_alu instid0(VALU_DEP_2) | instskip(NEXT) | instid1(VALU_DEP_3)
	v_and_or_b32 v4, 0x3f0000, v4, v5
	v_cmp_ne_u32_e32 vcc_lo, 0, v6
	s_delay_alu instid0(VALU_DEP_2) | instskip(SKIP_1) | instid1(SALU_CYCLE_1)
	v_cmp_ne_u32_e64 s0, 0, v4
	s_and_b32 s0, vcc_lo, s0
	v_cndmask_b32_e64 v4, 0, 1, s0
	s_delay_alu instid0(VALU_DEP_1)
	v_add_nc_u32_e32 v4, v3, v4
.LBB166_404:
	s_or_b32 exec_lo, exec_lo, s27
	s_mov_b32 s27, -1
	s_mov_b32 s0, 0
	global_store_b8 v[0:1], v4, off
.LBB166_405:
	s_mov_b32 s28, 0
.LBB166_406:
	s_delay_alu instid0(SALU_CYCLE_1)
	s_and_b32 vcc_lo, exec_lo, s28
	s_cbranch_vccz .LBB166_409
; %bb.407:
	s_cmp_eq_u32 s26, 29
	s_mov_b32 s0, -1
	s_cbranch_scc0 .LBB166_409
; %bb.408:
	s_wait_xcnt 0x0
	v_lshlrev_b32_e32 v3, 16, v2
	s_mov_b32 s27, -1
	s_mov_b32 s0, 0
	s_mov_b32 s28, 0
	s_delay_alu instid0(VALU_DEP_1) | instskip(NEXT) | instid1(VALU_DEP_1)
	v_trunc_f32_e32 v3, v3
	v_mul_f32_e32 v4, 0x2f800000, v3
	s_delay_alu instid0(VALU_DEP_1) | instskip(NEXT) | instid1(VALU_DEP_1)
	v_floor_f32_e32 v4, v4
	v_fmamk_f32 v3, v4, 0xcf800000, v3
	v_cvt_u32_f32_e32 v5, v4
	s_delay_alu instid0(VALU_DEP_2)
	v_cvt_u32_f32_e32 v4, v3
	global_store_b64 v[0:1], v[4:5], off
	s_branch .LBB166_410
.LBB166_409:
	s_mov_b32 s28, 0
.LBB166_410:
	s_delay_alu instid0(SALU_CYCLE_1)
	s_and_b32 vcc_lo, exec_lo, s28
	s_cbranch_vccz .LBB166_426
; %bb.411:
	s_cmp_lt_i32 s26, 27
	s_mov_b32 s27, -1
	s_cbranch_scc1 .LBB166_417
; %bb.412:
	s_cmp_gt_i32 s26, 27
	s_cbranch_scc0 .LBB166_414
; %bb.413:
	s_wait_xcnt 0x0
	v_lshlrev_b32_e32 v3, 16, v2
	s_mov_b32 s27, 0
	s_delay_alu instid0(VALU_DEP_1)
	v_cvt_u32_f32_e32 v3, v3
	global_store_b32 v[0:1], v3, off
.LBB166_414:
	s_and_not1_b32 vcc_lo, exec_lo, s27
	s_cbranch_vccnz .LBB166_416
; %bb.415:
	s_wait_xcnt 0x0
	v_lshlrev_b32_e32 v3, 16, v2
	s_delay_alu instid0(VALU_DEP_1)
	v_cvt_u32_f32_e32 v3, v3
	global_store_b16 v[0:1], v3, off
.LBB166_416:
	s_mov_b32 s27, 0
.LBB166_417:
	s_delay_alu instid0(SALU_CYCLE_1)
	s_and_not1_b32 vcc_lo, exec_lo, s27
	s_cbranch_vccnz .LBB166_425
; %bb.418:
	s_wait_xcnt 0x0
	v_dual_mov_b32 v6, 0x80 :: v_dual_lshlrev_b32 v5, 16, v2
	s_mov_b32 s27, exec_lo
	s_delay_alu instid0(VALU_DEP_1) | instskip(NEXT) | instid1(VALU_DEP_1)
	v_and_b32_e32 v4, 0x7fffffff, v5
	v_cmpx_gt_u32_e32 0x43800000, v4
	s_cbranch_execz .LBB166_424
; %bb.419:
	v_and_b32_e32 v3, 0xffff, v2
	v_cmp_lt_u32_e32 vcc_lo, 0x3bffffff, v4
	s_mov_b32 s28, 0
                                        ; implicit-def: $vgpr4
	s_and_saveexec_b32 s29, vcc_lo
	s_delay_alu instid0(SALU_CYCLE_1)
	s_xor_b32 s29, exec_lo, s29
	s_cbranch_execz .LBB166_658
; %bb.420:
	v_bfe_u32 v4, v3, 4, 1
	s_mov_b32 s28, exec_lo
	s_delay_alu instid0(VALU_DEP_1) | instskip(NEXT) | instid1(VALU_DEP_1)
	v_add3_u32 v4, v5, v4, 0x487ffff
                                        ; implicit-def: $vgpr5
	v_lshrrev_b32_e32 v4, 20, v4
	s_and_not1_saveexec_b32 s29, s29
	s_cbranch_execnz .LBB166_659
.LBB166_421:
	s_or_b32 exec_lo, exec_lo, s29
	v_mov_b32_e32 v6, 0
	s_and_saveexec_b32 s29, s28
.LBB166_422:
	v_lshrrev_b32_e32 v3, 8, v3
	s_delay_alu instid0(VALU_DEP_1)
	v_and_or_b32 v6, 0x80, v3, v4
.LBB166_423:
	s_or_b32 exec_lo, exec_lo, s29
.LBB166_424:
	s_delay_alu instid0(SALU_CYCLE_1)
	s_or_b32 exec_lo, exec_lo, s27
	global_store_b8 v[0:1], v6, off
.LBB166_425:
	s_mov_b32 s27, -1
.LBB166_426:
	s_mov_b32 s28, 0
.LBB166_427:
	s_delay_alu instid0(SALU_CYCLE_1)
	s_and_b32 vcc_lo, exec_lo, s28
	s_cbranch_vccz .LBB166_468
; %bb.428:
	s_cmp_gt_i32 s26, 22
	s_mov_b32 s28, -1
	s_cbranch_scc0 .LBB166_460
; %bb.429:
	s_cmp_lt_i32 s26, 24
	s_mov_b32 s27, -1
	s_cbranch_scc1 .LBB166_449
; %bb.430:
	s_cmp_gt_i32 s26, 24
	s_cbranch_scc0 .LBB166_438
; %bb.431:
	s_wait_xcnt 0x0
	v_dual_mov_b32 v6, 0x80 :: v_dual_lshlrev_b32 v5, 16, v2
	s_mov_b32 s27, exec_lo
	s_delay_alu instid0(VALU_DEP_1) | instskip(NEXT) | instid1(VALU_DEP_1)
	v_and_b32_e32 v4, 0x7fffffff, v5
	v_cmpx_gt_u32_e32 0x47800000, v4
	s_cbranch_execz .LBB166_437
; %bb.432:
	v_and_b32_e32 v3, 0xffff, v2
	v_cmp_lt_u32_e32 vcc_lo, 0x37ffffff, v4
	s_mov_b32 s28, 0
                                        ; implicit-def: $vgpr4
	s_and_saveexec_b32 s29, vcc_lo
	s_delay_alu instid0(SALU_CYCLE_1)
	s_xor_b32 s29, exec_lo, s29
	s_cbranch_execz .LBB166_790
; %bb.433:
	v_bfe_u32 v4, v3, 5, 1
	s_mov_b32 s28, exec_lo
	s_delay_alu instid0(VALU_DEP_1) | instskip(NEXT) | instid1(VALU_DEP_1)
	v_add3_u32 v4, v5, v4, 0x88fffff
                                        ; implicit-def: $vgpr5
	v_lshrrev_b32_e32 v4, 21, v4
	s_and_not1_saveexec_b32 s29, s29
	s_cbranch_execnz .LBB166_791
.LBB166_434:
	s_or_b32 exec_lo, exec_lo, s29
	v_mov_b32_e32 v6, 0
	s_and_saveexec_b32 s29, s28
.LBB166_435:
	v_lshrrev_b32_e32 v3, 8, v3
	s_delay_alu instid0(VALU_DEP_1)
	v_and_or_b32 v6, 0x80, v3, v4
.LBB166_436:
	s_or_b32 exec_lo, exec_lo, s29
.LBB166_437:
	s_delay_alu instid0(SALU_CYCLE_1)
	s_or_b32 exec_lo, exec_lo, s27
	s_mov_b32 s27, 0
	global_store_b8 v[0:1], v6, off
.LBB166_438:
	s_and_b32 vcc_lo, exec_lo, s27
	s_cbranch_vccz .LBB166_448
; %bb.439:
	s_wait_xcnt 0x0
	v_lshlrev_b32_e32 v5, 16, v2
	v_and_b32_e32 v3, 0xffff, v2
	s_mov_b32 s27, exec_lo
                                        ; implicit-def: $vgpr4
	s_delay_alu instid0(VALU_DEP_2) | instskip(NEXT) | instid1(VALU_DEP_1)
	v_and_b32_e32 v6, 0x7fffffff, v5
	v_cmpx_gt_u32_e32 0x43f00000, v6
	s_xor_b32 s27, exec_lo, s27
	s_cbranch_execz .LBB166_445
; %bb.440:
	s_mov_b32 s28, exec_lo
                                        ; implicit-def: $vgpr4
	v_cmpx_lt_u32_e32 0x3c7fffff, v6
	s_xor_b32 s28, exec_lo, s28
; %bb.441:
	v_bfe_u32 v4, v3, 4, 1
	s_delay_alu instid0(VALU_DEP_1) | instskip(NEXT) | instid1(VALU_DEP_1)
	v_add3_u32 v4, v5, v4, 0x407ffff
	v_and_b32_e32 v5, 0xff00000, v4
	v_lshrrev_b32_e32 v4, 20, v4
	s_delay_alu instid0(VALU_DEP_2) | instskip(NEXT) | instid1(VALU_DEP_2)
	v_cmp_ne_u32_e32 vcc_lo, 0x7f00000, v5
                                        ; implicit-def: $vgpr5
	v_cndmask_b32_e32 v4, 0x7e, v4, vcc_lo
; %bb.442:
	s_and_not1_saveexec_b32 s28, s28
; %bb.443:
	v_add_f32_e64 v4, 0x46800000, |v5|
; %bb.444:
	s_or_b32 exec_lo, exec_lo, s28
                                        ; implicit-def: $vgpr6
.LBB166_445:
	s_and_not1_saveexec_b32 s27, s27
; %bb.446:
	v_mov_b32_e32 v4, 0x7f
	v_cmp_lt_u32_e32 vcc_lo, 0x7f800000, v6
	s_delay_alu instid0(VALU_DEP_2)
	v_cndmask_b32_e32 v4, 0x7e, v4, vcc_lo
; %bb.447:
	s_or_b32 exec_lo, exec_lo, s27
	v_lshrrev_b32_e32 v3, 8, v3
	s_delay_alu instid0(VALU_DEP_1)
	v_and_or_b32 v3, 0x80, v3, v4
	global_store_b8 v[0:1], v3, off
.LBB166_448:
	s_mov_b32 s27, 0
.LBB166_449:
	s_delay_alu instid0(SALU_CYCLE_1)
	s_and_not1_b32 vcc_lo, exec_lo, s27
	s_cbranch_vccnz .LBB166_459
; %bb.450:
	s_wait_xcnt 0x0
	v_lshlrev_b32_e32 v5, 16, v2
	v_and_b32_e32 v3, 0xffff, v2
	s_mov_b32 s27, exec_lo
                                        ; implicit-def: $vgpr4
	s_delay_alu instid0(VALU_DEP_2) | instskip(NEXT) | instid1(VALU_DEP_1)
	v_and_b32_e32 v6, 0x7fffffff, v5
	v_cmpx_gt_u32_e32 0x47800000, v6
	s_xor_b32 s27, exec_lo, s27
	s_cbranch_execz .LBB166_456
; %bb.451:
	s_mov_b32 s28, exec_lo
                                        ; implicit-def: $vgpr4
	v_cmpx_lt_u32_e32 0x387fffff, v6
	s_xor_b32 s28, exec_lo, s28
; %bb.452:
	v_bfe_u32 v4, v3, 5, 1
	s_delay_alu instid0(VALU_DEP_1) | instskip(NEXT) | instid1(VALU_DEP_1)
	v_add3_u32 v4, v5, v4, 0x80fffff
                                        ; implicit-def: $vgpr5
	v_lshrrev_b32_e32 v4, 21, v4
; %bb.453:
	s_and_not1_saveexec_b32 s28, s28
; %bb.454:
	v_add_f32_e64 v4, 0x43000000, |v5|
; %bb.455:
	s_or_b32 exec_lo, exec_lo, s28
                                        ; implicit-def: $vgpr6
.LBB166_456:
	s_and_not1_saveexec_b32 s27, s27
; %bb.457:
	v_mov_b32_e32 v4, 0x7f
	v_cmp_lt_u32_e32 vcc_lo, 0x7f800000, v6
	s_delay_alu instid0(VALU_DEP_2)
	v_cndmask_b32_e32 v4, 0x7c, v4, vcc_lo
; %bb.458:
	s_or_b32 exec_lo, exec_lo, s27
	v_lshrrev_b32_e32 v3, 8, v3
	s_delay_alu instid0(VALU_DEP_1)
	v_and_or_b32 v3, 0x80, v3, v4
	global_store_b8 v[0:1], v3, off
.LBB166_459:
	s_mov_b32 s28, 0
	s_mov_b32 s27, -1
.LBB166_460:
	s_and_not1_b32 vcc_lo, exec_lo, s28
	s_cbranch_vccnz .LBB166_468
; %bb.461:
	s_cmp_gt_i32 s26, 14
	s_mov_b32 s28, -1
	s_cbranch_scc0 .LBB166_465
; %bb.462:
	s_cmp_eq_u32 s26, 15
	s_mov_b32 s0, -1
	s_cbranch_scc0 .LBB166_464
; %bb.463:
	s_mov_b32 s27, -1
	s_mov_b32 s0, 0
	global_store_b16 v[0:1], v2, off
.LBB166_464:
	s_mov_b32 s28, 0
.LBB166_465:
	s_delay_alu instid0(SALU_CYCLE_1)
	s_and_b32 vcc_lo, exec_lo, s28
	s_cbranch_vccz .LBB166_468
; %bb.466:
	s_cmp_eq_u32 s26, 11
	s_mov_b32 s0, -1
	s_cbranch_scc0 .LBB166_468
; %bb.467:
	s_wait_xcnt 0x0
	v_and_b32_e32 v3, 0x7fff, v2
	s_mov_b32 s0, 0
	s_mov_b32 s27, -1
	s_delay_alu instid0(VALU_DEP_1)
	v_cmp_ne_u16_e32 vcc_lo, 0, v3
	v_cndmask_b32_e64 v3, 0, 1, vcc_lo
	global_store_b8 v[0:1], v3, off
.LBB166_468:
	s_mov_b32 s26, 0
.LBB166_469:
	s_delay_alu instid0(SALU_CYCLE_1)
	s_and_b32 vcc_lo, exec_lo, s26
	s_cbranch_vccz .LBB166_508
; %bb.470:
	s_and_b32 s19, 0xffff, s19
	s_mov_b32 s26, -1
	s_cmp_lt_i32 s19, 5
	s_cbranch_scc1 .LBB166_491
; %bb.471:
	s_cmp_lt_i32 s19, 8
	s_cbranch_scc1 .LBB166_481
; %bb.472:
	;; [unrolled: 3-line block ×3, first 2 shown]
	s_cmp_gt_i32 s19, 9
	s_cbranch_scc0 .LBB166_475
; %bb.474:
	s_wait_xcnt 0x0
	v_dual_mov_b32 v6, 0 :: v_dual_lshlrev_b32 v3, 16, v2
	s_mov_b32 s26, 0
	s_delay_alu instid0(VALU_DEP_1) | instskip(NEXT) | instid1(VALU_DEP_2)
	v_cvt_f64_f32_e32 v[4:5], v3
	v_mov_b32_e32 v7, v6
	global_store_b128 v[0:1], v[4:7], off
.LBB166_475:
	s_and_not1_b32 vcc_lo, exec_lo, s26
	s_cbranch_vccnz .LBB166_477
; %bb.476:
	s_wait_xcnt 0x0
	v_dual_mov_b32 v5, 0 :: v_dual_lshlrev_b32 v4, 16, v2
	global_store_b64 v[0:1], v[4:5], off
.LBB166_477:
	s_mov_b32 s26, 0
.LBB166_478:
	s_delay_alu instid0(SALU_CYCLE_1)
	s_and_not1_b32 vcc_lo, exec_lo, s26
	s_cbranch_vccnz .LBB166_480
; %bb.479:
	s_wait_xcnt 0x0
	v_lshlrev_b32_e32 v3, 16, v2
	s_delay_alu instid0(VALU_DEP_1) | instskip(NEXT) | instid1(VALU_DEP_1)
	v_cvt_f16_f32_e32 v3, v3
	v_and_b32_e32 v3, 0xffff, v3
	global_store_b32 v[0:1], v3, off
.LBB166_480:
	s_mov_b32 s26, 0
.LBB166_481:
	s_delay_alu instid0(SALU_CYCLE_1)
	s_and_not1_b32 vcc_lo, exec_lo, s26
	s_cbranch_vccnz .LBB166_490
; %bb.482:
	s_cmp_lt_i32 s19, 6
	s_mov_b32 s26, -1
	s_cbranch_scc1 .LBB166_488
; %bb.483:
	s_cmp_gt_i32 s19, 6
	s_cbranch_scc0 .LBB166_485
; %bb.484:
	s_wait_xcnt 0x0
	v_lshlrev_b32_e32 v3, 16, v2
	s_mov_b32 s26, 0
	s_delay_alu instid0(VALU_DEP_1)
	v_cvt_f64_f32_e32 v[4:5], v3
	global_store_b64 v[0:1], v[4:5], off
.LBB166_485:
	s_and_not1_b32 vcc_lo, exec_lo, s26
	s_cbranch_vccnz .LBB166_487
; %bb.486:
	s_wait_xcnt 0x0
	v_lshlrev_b32_e32 v3, 16, v2
	global_store_b32 v[0:1], v3, off
.LBB166_487:
	s_mov_b32 s26, 0
.LBB166_488:
	s_delay_alu instid0(SALU_CYCLE_1)
	s_and_not1_b32 vcc_lo, exec_lo, s26
	s_cbranch_vccnz .LBB166_490
; %bb.489:
	s_wait_xcnt 0x0
	v_lshlrev_b32_e32 v3, 16, v2
	s_delay_alu instid0(VALU_DEP_1)
	v_cvt_f16_f32_e32 v3, v3
	global_store_b16 v[0:1], v3, off
.LBB166_490:
	s_mov_b32 s26, 0
.LBB166_491:
	s_delay_alu instid0(SALU_CYCLE_1)
	s_and_not1_b32 vcc_lo, exec_lo, s26
	s_cbranch_vccnz .LBB166_507
; %bb.492:
	s_cmp_lt_i32 s19, 2
	s_mov_b32 s26, -1
	s_cbranch_scc1 .LBB166_502
; %bb.493:
	s_cmp_lt_i32 s19, 3
	s_cbranch_scc1 .LBB166_499
; %bb.494:
	s_cmp_gt_i32 s19, 3
	s_cbranch_scc0 .LBB166_496
; %bb.495:
	s_wait_xcnt 0x0
	v_lshlrev_b32_e32 v3, 16, v2
	s_mov_b32 s26, 0
	s_delay_alu instid0(VALU_DEP_1) | instskip(NEXT) | instid1(VALU_DEP_1)
	v_trunc_f32_e32 v3, v3
	v_mul_f32_e64 v4, 0x2f800000, |v3|
	s_delay_alu instid0(VALU_DEP_1) | instskip(SKIP_1) | instid1(VALU_DEP_2)
	v_floor_f32_e32 v5, v4
	v_ashrrev_i32_e32 v4, 31, v3
	v_fma_f32 v6, 0xcf800000, v5, |v3|
	v_cvt_u32_f32_e32 v3, v5
	s_delay_alu instid0(VALU_DEP_3) | instskip(NEXT) | instid1(VALU_DEP_3)
	v_mov_b32_e32 v5, v4
	v_cvt_u32_f32_e32 v6, v6
	s_delay_alu instid0(VALU_DEP_3) | instskip(NEXT) | instid1(VALU_DEP_2)
	v_xor_b32_e32 v7, v3, v4
	v_xor_b32_e32 v6, v6, v4
	s_delay_alu instid0(VALU_DEP_1)
	v_sub_nc_u64_e32 v[4:5], v[6:7], v[4:5]
	global_store_b64 v[0:1], v[4:5], off
.LBB166_496:
	s_and_not1_b32 vcc_lo, exec_lo, s26
	s_cbranch_vccnz .LBB166_498
; %bb.497:
	s_wait_xcnt 0x0
	v_lshlrev_b32_e32 v3, 16, v2
	s_delay_alu instid0(VALU_DEP_1)
	v_cvt_i32_f32_e32 v3, v3
	global_store_b32 v[0:1], v3, off
.LBB166_498:
	s_mov_b32 s26, 0
.LBB166_499:
	s_delay_alu instid0(SALU_CYCLE_1)
	s_and_not1_b32 vcc_lo, exec_lo, s26
	s_cbranch_vccnz .LBB166_501
; %bb.500:
	s_wait_xcnt 0x0
	v_lshlrev_b32_e32 v3, 16, v2
	s_delay_alu instid0(VALU_DEP_1)
	v_cvt_i32_f32_e32 v3, v3
	global_store_b16 v[0:1], v3, off
.LBB166_501:
	s_mov_b32 s26, 0
.LBB166_502:
	s_delay_alu instid0(SALU_CYCLE_1)
	s_and_not1_b32 vcc_lo, exec_lo, s26
	s_cbranch_vccnz .LBB166_507
; %bb.503:
	s_wait_xcnt 0x0
	v_lshlrev_b32_e32 v2, 16, v2
	s_cmp_gt_i32 s19, 0
	s_mov_b32 s19, -1
	s_cbranch_scc0 .LBB166_505
; %bb.504:
	s_delay_alu instid0(VALU_DEP_1)
	v_cvt_i32_f32_e32 v3, v2
	s_mov_b32 s19, 0
	global_store_b8 v[0:1], v3, off
.LBB166_505:
	s_and_not1_b32 vcc_lo, exec_lo, s19
	s_cbranch_vccnz .LBB166_507
; %bb.506:
	v_trunc_f32_e32 v2, v2
	s_wait_xcnt 0x0
	s_delay_alu instid0(VALU_DEP_1) | instskip(NEXT) | instid1(VALU_DEP_1)
	v_mul_f32_e64 v3, 0x2f800000, |v2|
	v_floor_f32_e32 v3, v3
	s_delay_alu instid0(VALU_DEP_1) | instskip(SKIP_1) | instid1(VALU_DEP_2)
	v_fma_f32 v3, 0xcf800000, v3, |v2|
	v_ashrrev_i32_e32 v2, 31, v2
	v_cvt_u32_f32_e32 v3, v3
	s_delay_alu instid0(VALU_DEP_1) | instskip(NEXT) | instid1(VALU_DEP_1)
	v_xor_b32_e32 v3, v3, v2
	v_sub_nc_u32_e32 v2, v3, v2
	global_store_b8 v[0:1], v2, off
.LBB166_507:
	s_mov_b32 s27, -1
.LBB166_508:
	s_delay_alu instid0(SALU_CYCLE_1)
	s_and_not1_b32 vcc_lo, exec_lo, s27
	s_cbranch_vccnz .LBB166_510
; %bb.509:
	v_add_nc_u32_e32 v8, 0x80, v8
	s_mov_b32 s26, -1
	s_branch .LBB166_511
.LBB166_510:
	s_mov_b32 s26, 0
                                        ; implicit-def: $vgpr8
.LBB166_511:
	s_and_b32 s19, s0, exec_lo
	s_and_b32 s21, s21, exec_lo
	;; [unrolled: 1-line block ×4, first 2 shown]
	s_or_not1_b32 s28, s26, exec_lo
.LBB166_512:
	s_wait_xcnt 0x0
	s_or_b32 exec_lo, exec_lo, s24
	s_mov_b32 s27, 0
	s_mov_b32 s26, 0
                                        ; implicit-def: $sgpr0
                                        ; implicit-def: $vgpr0_vgpr1
                                        ; implicit-def: $vgpr2
	s_and_saveexec_b32 s24, s28
	s_cbranch_execz .LBB166_521
; %bb.513:
	s_mov_b32 s31, -1
	s_mov_b32 s25, s23
	s_mov_b32 s28, s22
	s_mov_b32 s27, s21
	s_mov_b32 s26, s19
	s_mov_b32 s29, exec_lo
	v_cmpx_gt_i32_e64 s20, v8
	s_cbranch_execz .LBB166_1035
; %bb.514:
	v_mul_lo_u32 v0, v8, s13
	s_and_b32 s0, s17, 0xff
	s_delay_alu instid0(SALU_CYCLE_1) | instskip(NEXT) | instid1(VALU_DEP_1)
	s_cmp_lt_i32 s0, 11
	v_ashrrev_i32_e32 v1, 31, v0
	s_delay_alu instid0(VALU_DEP_1)
	v_add_nc_u64_e32 v[0:1], s[6:7], v[0:1]
	s_cbranch_scc1 .LBB166_524
; %bb.515:
	s_and_b32 s26, 0xffff, s0
	s_delay_alu instid0(SALU_CYCLE_1)
	s_cmp_gt_i32 s26, 25
	s_cbranch_scc0 .LBB166_533
; %bb.516:
	s_cmp_gt_i32 s26, 28
	s_cbranch_scc0 .LBB166_535
; %bb.517:
	;; [unrolled: 3-line block ×4, first 2 shown]
	s_cmp_eq_u32 s26, 46
	s_mov_b32 s28, 0
	s_cbranch_scc0 .LBB166_541
; %bb.520:
	s_wait_loadcnt 0x0
	global_load_b32 v2, v[0:1], off
	s_mov_b32 s27, -1
	s_mov_b32 s25, 0
	s_branch .LBB166_543
.LBB166_521:
	s_or_b32 exec_lo, exec_lo, s24
	s_mov_b32 s20, 0
	s_and_saveexec_b32 s24, s23
	s_cbranch_execnz .LBB166_1639
.LBB166_522:
	s_or_b32 exec_lo, exec_lo, s24
	s_and_saveexec_b32 s23, s25
	s_delay_alu instid0(SALU_CYCLE_1)
	s_xor_b32 s23, exec_lo, s23
	s_cbranch_execz .LBB166_1640
.LBB166_523:
	s_wait_loadcnt 0x0
	global_load_u8 v2, v[0:1], off
	s_or_b32 s26, s26, exec_lo
	s_wait_loadcnt 0x0
	v_cmp_ne_u16_e32 vcc_lo, 0, v2
	v_cndmask_b32_e64 v2, 0, 1.0, vcc_lo
	s_delay_alu instid0(VALU_DEP_1)
	v_lshrrev_b32_e32 v2, 16, v2
	s_wait_xcnt 0x0
	s_or_b32 exec_lo, exec_lo, s23
	s_and_saveexec_b32 s23, s27
	s_cbranch_execz .LBB166_1686
	s_branch .LBB166_1641
.LBB166_524:
	s_mov_b32 s27, 0
	s_mov_b32 s25, s23
                                        ; implicit-def: $vgpr2
	s_cbranch_execnz .LBB166_609
.LBB166_525:
	s_and_not1_b32 vcc_lo, exec_lo, s27
	s_cbranch_vccnz .LBB166_657
.LBB166_526:
	s_wait_xcnt 0x0
	v_mul_lo_u32 v0, v8, s14
	s_and_b32 s0, s3, 0xff
	s_delay_alu instid0(SALU_CYCLE_1) | instskip(NEXT) | instid1(VALU_DEP_1)
	s_cmp_lt_i32 s0, 11
	v_ashrrev_i32_e32 v1, 31, v0
	s_delay_alu instid0(VALU_DEP_1)
	v_add_nc_u64_e32 v[0:1], s[8:9], v[0:1]
	s_cbranch_scc1 .LBB166_534
; %bb.527:
	s_and_b32 s26, 0xffff, s0
	s_delay_alu instid0(SALU_CYCLE_1)
	s_cmp_gt_i32 s26, 25
	s_cbranch_scc0 .LBB166_536
; %bb.528:
	s_cmp_gt_i32 s26, 28
	s_cbranch_scc0 .LBB166_538
; %bb.529:
	;; [unrolled: 3-line block ×4, first 2 shown]
	s_cmp_eq_u32 s26, 46
	s_mov_b32 s30, 0
	s_cbranch_scc0 .LBB166_660
; %bb.532:
	s_wait_loadcnt 0x0
	global_load_b32 v3, v[0:1], off
	s_mov_b32 s27, -1
	s_mov_b32 s28, 0
	s_branch .LBB166_662
.LBB166_533:
	s_mov_b32 s28, -1
	s_mov_b32 s27, 0
	s_mov_b32 s25, s23
                                        ; implicit-def: $vgpr2
	s_branch .LBB166_573
.LBB166_534:
	s_mov_b32 s26, -1
	s_mov_b32 s27, 0
	s_mov_b32 s28, s22
                                        ; implicit-def: $vgpr3
	s_branch .LBB166_727
.LBB166_535:
	s_mov_b32 s28, -1
	s_mov_b32 s27, 0
	s_mov_b32 s25, s23
                                        ; implicit-def: $vgpr2
	s_branch .LBB166_554
.LBB166_536:
	s_mov_b32 s30, -1
	s_mov_b32 s27, 0
	s_mov_b32 s28, s22
                                        ; implicit-def: $vgpr3
	s_branch .LBB166_691
.LBB166_537:
	s_mov_b32 s28, -1
	s_mov_b32 s27, 0
	s_mov_b32 s25, s23
                                        ; implicit-def: $vgpr2
	s_branch .LBB166_549
.LBB166_538:
	s_mov_b32 s30, -1
	s_mov_b32 s27, 0
	s_mov_b32 s28, s22
                                        ; implicit-def: $vgpr3
	s_branch .LBB166_672
.LBB166_539:
	s_mov_b32 s28, -1
	s_mov_b32 s27, 0
	s_mov_b32 s25, s23
	s_branch .LBB166_542
.LBB166_540:
	s_mov_b32 s30, -1
	s_mov_b32 s27, 0
	s_mov_b32 s28, s22
                                        ; implicit-def: $vgpr3
	s_branch .LBB166_667
.LBB166_541:
	s_mov_b32 s25, -1
	s_mov_b32 s27, 0
.LBB166_542:
                                        ; implicit-def: $vgpr2
.LBB166_543:
	s_and_b32 vcc_lo, exec_lo, s28
	s_cbranch_vccz .LBB166_548
; %bb.544:
	s_cmp_eq_u32 s26, 44
	s_cbranch_scc0 .LBB166_547
; %bb.545:
	s_wait_loadcnt 0x0
	global_load_u8 v2, v[0:1], off
	s_mov_b32 s25, 0
	s_mov_b32 s27, -1
	s_wait_loadcnt 0x0
	v_lshlrev_b32_e32 v3, 23, v2
	v_cmp_ne_u32_e32 vcc_lo, 0xff, v2
	s_delay_alu instid0(VALU_DEP_2) | instskip(SKIP_1) | instid1(VALU_DEP_2)
	v_cndmask_b32_e32 v3, 0x7f800001, v3, vcc_lo
	v_cmp_ne_u32_e32 vcc_lo, 0, v2
	v_cndmask_b32_e32 v2, 0x400000, v3, vcc_lo
	s_delay_alu instid0(VALU_DEP_1) | instskip(NEXT) | instid1(VALU_DEP_1)
	v_add_nc_u32_e32 v3, 0x7fff, v2
	v_lshrrev_b32_e32 v3, 16, v3
	v_cmp_o_f32_e32 vcc_lo, v2, v2
	s_delay_alu instid0(VALU_DEP_2)
	v_cndmask_b32_e32 v2, 0x7fc0, v3, vcc_lo
	s_branch .LBB166_548
.LBB166_546:
	s_mov_b32 s30, -1
	s_mov_b32 s27, 0
	s_mov_b32 s28, s22
	s_branch .LBB166_661
.LBB166_547:
	s_mov_b32 s25, -1
                                        ; implicit-def: $vgpr2
.LBB166_548:
	s_mov_b32 s28, 0
.LBB166_549:
	s_delay_alu instid0(SALU_CYCLE_1)
	s_and_b32 vcc_lo, exec_lo, s28
	s_cbranch_vccz .LBB166_553
; %bb.550:
	s_cmp_eq_u32 s26, 29
	s_cbranch_scc0 .LBB166_552
; %bb.551:
	s_wait_loadcnt 0x0
	global_load_b64 v[2:3], v[0:1], off
	s_mov_b32 s27, -1
	s_mov_b32 s25, 0
	s_mov_b32 s28, 0
	s_wait_loadcnt 0x0
	v_clz_i32_u32_e32 v4, v3
	s_delay_alu instid0(VALU_DEP_1) | instskip(NEXT) | instid1(VALU_DEP_1)
	v_min_u32_e32 v4, 32, v4
	v_lshlrev_b64_e32 v[2:3], v4, v[2:3]
	s_delay_alu instid0(VALU_DEP_1) | instskip(NEXT) | instid1(VALU_DEP_1)
	v_min_u32_e32 v2, 1, v2
	v_dual_sub_nc_u32 v3, 32, v4 :: v_dual_bitop2_b32 v2, v3, v2 bitop3:0x54
	s_delay_alu instid0(VALU_DEP_1) | instskip(NEXT) | instid1(VALU_DEP_1)
	v_cvt_f32_u32_e32 v2, v2
	v_ldexp_f32 v2, v2, v3
	s_delay_alu instid0(VALU_DEP_1) | instskip(NEXT) | instid1(VALU_DEP_1)
	v_bfe_u32 v3, v2, 16, 1
	v_add3_u32 v2, v2, v3, 0x7fff
	s_delay_alu instid0(VALU_DEP_1)
	v_lshrrev_b32_e32 v2, 16, v2
	s_branch .LBB166_554
.LBB166_552:
	s_mov_b32 s25, -1
                                        ; implicit-def: $vgpr2
.LBB166_553:
	s_mov_b32 s28, 0
.LBB166_554:
	s_delay_alu instid0(SALU_CYCLE_1)
	s_and_b32 vcc_lo, exec_lo, s28
	s_cbranch_vccz .LBB166_572
; %bb.555:
	s_cmp_lt_i32 s26, 27
	s_cbranch_scc1 .LBB166_558
; %bb.556:
	s_cmp_gt_i32 s26, 27
	s_cbranch_scc0 .LBB166_559
; %bb.557:
	s_wait_loadcnt 0x0
	global_load_b32 v2, v[0:1], off
	s_mov_b32 s27, 0
	s_wait_loadcnt 0x0
	v_cvt_f32_u32_e32 v2, v2
	s_delay_alu instid0(VALU_DEP_1) | instskip(NEXT) | instid1(VALU_DEP_1)
	v_bfe_u32 v3, v2, 16, 1
	v_add3_u32 v2, v2, v3, 0x7fff
	s_delay_alu instid0(VALU_DEP_1)
	v_lshrrev_b32_e32 v2, 16, v2
	s_branch .LBB166_560
.LBB166_558:
	s_mov_b32 s27, -1
                                        ; implicit-def: $vgpr2
	s_branch .LBB166_563
.LBB166_559:
	s_mov_b32 s27, -1
                                        ; implicit-def: $vgpr2
.LBB166_560:
	s_delay_alu instid0(SALU_CYCLE_1)
	s_and_not1_b32 vcc_lo, exec_lo, s27
	s_cbranch_vccnz .LBB166_562
; %bb.561:
	s_wait_loadcnt 0x0
	global_load_u16 v2, v[0:1], off
	s_wait_loadcnt 0x0
	v_cvt_f32_u32_e32 v2, v2
	s_delay_alu instid0(VALU_DEP_1) | instskip(NEXT) | instid1(VALU_DEP_1)
	v_bfe_u32 v3, v2, 16, 1
	v_add3_u32 v2, v2, v3, 0x7fff
	s_delay_alu instid0(VALU_DEP_1)
	v_lshrrev_b32_e32 v2, 16, v2
.LBB166_562:
	s_mov_b32 s27, 0
.LBB166_563:
	s_delay_alu instid0(SALU_CYCLE_1)
	s_and_not1_b32 vcc_lo, exec_lo, s27
	s_cbranch_vccnz .LBB166_571
; %bb.564:
	s_wait_loadcnt 0x0
	global_load_u8 v2, v[0:1], off
	s_mov_b32 s27, 0
	s_mov_b32 s28, exec_lo
	s_wait_loadcnt 0x0
	v_cmpx_lt_i16_e32 0x7f, v2
	s_xor_b32 s28, exec_lo, s28
	s_cbranch_execz .LBB166_585
; %bb.565:
	s_mov_b32 s27, -1
	s_mov_b32 s30, exec_lo
	v_cmpx_eq_u16_e32 0x80, v2
; %bb.566:
	s_xor_b32 s27, exec_lo, -1
; %bb.567:
	s_or_b32 exec_lo, exec_lo, s30
	s_delay_alu instid0(SALU_CYCLE_1)
	s_and_b32 s27, s27, exec_lo
	s_or_saveexec_b32 s28, s28
	v_mov_b32_e32 v3, 0x7f800001
	s_xor_b32 exec_lo, exec_lo, s28
	s_cbranch_execnz .LBB166_586
.LBB166_568:
	s_or_b32 exec_lo, exec_lo, s28
	s_and_saveexec_b32 s28, s27
	s_cbranch_execz .LBB166_570
.LBB166_569:
	v_and_b32_e32 v3, 0xffff, v2
	s_delay_alu instid0(VALU_DEP_1) | instskip(SKIP_1) | instid1(VALU_DEP_2)
	v_and_b32_e32 v4, 7, v3
	v_bfe_u32 v7, v3, 3, 4
	v_clz_i32_u32_e32 v5, v4
	s_delay_alu instid0(VALU_DEP_2) | instskip(NEXT) | instid1(VALU_DEP_2)
	v_cmp_eq_u32_e32 vcc_lo, 0, v7
	v_min_u32_e32 v5, 32, v5
	s_delay_alu instid0(VALU_DEP_1) | instskip(NEXT) | instid1(VALU_DEP_1)
	v_subrev_nc_u32_e32 v6, 28, v5
	v_dual_lshlrev_b32 v3, v6, v3 :: v_dual_sub_nc_u32 v5, 29, v5
	s_delay_alu instid0(VALU_DEP_1) | instskip(NEXT) | instid1(VALU_DEP_1)
	v_dual_lshlrev_b32 v2, 24, v2 :: v_dual_bitop2_b32 v3, 7, v3 bitop3:0x40
	v_dual_cndmask_b32 v5, v7, v5, vcc_lo :: v_dual_cndmask_b32 v3, v4, v3, vcc_lo
	s_delay_alu instid0(VALU_DEP_2) | instskip(NEXT) | instid1(VALU_DEP_2)
	v_and_b32_e32 v2, 0x80000000, v2
	v_lshl_add_u32 v4, v5, 23, 0x3b800000
	s_delay_alu instid0(VALU_DEP_3) | instskip(NEXT) | instid1(VALU_DEP_1)
	v_lshlrev_b32_e32 v3, 20, v3
	v_or3_b32 v3, v2, v4, v3
.LBB166_570:
	s_or_b32 exec_lo, exec_lo, s28
	s_delay_alu instid0(VALU_DEP_1) | instskip(SKIP_1) | instid1(VALU_DEP_2)
	v_bfe_u32 v2, v3, 16, 1
	v_cmp_o_f32_e32 vcc_lo, v3, v3
	v_add3_u32 v2, v3, v2, 0x7fff
	s_delay_alu instid0(VALU_DEP_1) | instskip(NEXT) | instid1(VALU_DEP_1)
	v_lshrrev_b32_e32 v2, 16, v2
	v_cndmask_b32_e32 v2, 0x7fc0, v2, vcc_lo
.LBB166_571:
	s_mov_b32 s27, -1
.LBB166_572:
	s_mov_b32 s28, 0
.LBB166_573:
	s_delay_alu instid0(SALU_CYCLE_1)
	s_and_b32 vcc_lo, exec_lo, s28
	s_cbranch_vccz .LBB166_608
; %bb.574:
	s_cmp_gt_i32 s26, 22
	s_cbranch_scc0 .LBB166_584
; %bb.575:
	s_cmp_lt_i32 s26, 24
	s_cbranch_scc1 .LBB166_587
; %bb.576:
	s_cmp_gt_i32 s26, 24
	s_cbranch_scc0 .LBB166_588
; %bb.577:
	s_wait_loadcnt 0x0
	global_load_u8 v2, v[0:1], off
	s_mov_b32 s27, 0
	s_mov_b32 s28, exec_lo
	s_wait_loadcnt 0x0
	v_cmpx_lt_i16_e32 0x7f, v2
	s_xor_b32 s28, exec_lo, s28
	s_cbranch_execz .LBB166_600
; %bb.578:
	s_mov_b32 s27, -1
	s_mov_b32 s30, exec_lo
	v_cmpx_eq_u16_e32 0x80, v2
; %bb.579:
	s_xor_b32 s27, exec_lo, -1
; %bb.580:
	s_or_b32 exec_lo, exec_lo, s30
	s_delay_alu instid0(SALU_CYCLE_1)
	s_and_b32 s27, s27, exec_lo
	s_or_saveexec_b32 s28, s28
	v_mov_b32_e32 v3, 0x7f800001
	s_xor_b32 exec_lo, exec_lo, s28
	s_cbranch_execnz .LBB166_601
.LBB166_581:
	s_or_b32 exec_lo, exec_lo, s28
	s_and_saveexec_b32 s28, s27
	s_cbranch_execz .LBB166_583
.LBB166_582:
	v_and_b32_e32 v3, 0xffff, v2
	s_delay_alu instid0(VALU_DEP_1) | instskip(SKIP_1) | instid1(VALU_DEP_2)
	v_and_b32_e32 v4, 3, v3
	v_bfe_u32 v7, v3, 2, 5
	v_clz_i32_u32_e32 v5, v4
	s_delay_alu instid0(VALU_DEP_2) | instskip(NEXT) | instid1(VALU_DEP_2)
	v_cmp_eq_u32_e32 vcc_lo, 0, v7
	v_min_u32_e32 v5, 32, v5
	s_delay_alu instid0(VALU_DEP_1) | instskip(NEXT) | instid1(VALU_DEP_1)
	v_subrev_nc_u32_e32 v6, 29, v5
	v_dual_lshlrev_b32 v3, v6, v3 :: v_dual_sub_nc_u32 v5, 30, v5
	s_delay_alu instid0(VALU_DEP_1) | instskip(NEXT) | instid1(VALU_DEP_1)
	v_dual_lshlrev_b32 v2, 24, v2 :: v_dual_bitop2_b32 v3, 3, v3 bitop3:0x40
	v_dual_cndmask_b32 v5, v7, v5, vcc_lo :: v_dual_cndmask_b32 v3, v4, v3, vcc_lo
	s_delay_alu instid0(VALU_DEP_2) | instskip(NEXT) | instid1(VALU_DEP_2)
	v_and_b32_e32 v2, 0x80000000, v2
	v_lshl_add_u32 v4, v5, 23, 0x37800000
	s_delay_alu instid0(VALU_DEP_3) | instskip(NEXT) | instid1(VALU_DEP_1)
	v_lshlrev_b32_e32 v3, 21, v3
	v_or3_b32 v3, v2, v4, v3
.LBB166_583:
	s_or_b32 exec_lo, exec_lo, s28
	s_delay_alu instid0(VALU_DEP_1) | instskip(SKIP_2) | instid1(VALU_DEP_2)
	v_bfe_u32 v2, v3, 16, 1
	v_cmp_o_f32_e32 vcc_lo, v3, v3
	s_mov_b32 s27, 0
	v_add3_u32 v2, v3, v2, 0x7fff
	s_delay_alu instid0(VALU_DEP_1) | instskip(NEXT) | instid1(VALU_DEP_1)
	v_lshrrev_b32_e32 v2, 16, v2
	v_cndmask_b32_e32 v2, 0x7fc0, v2, vcc_lo
	s_branch .LBB166_589
.LBB166_584:
	s_mov_b32 s28, -1
                                        ; implicit-def: $vgpr2
	s_branch .LBB166_595
.LBB166_585:
	s_or_saveexec_b32 s28, s28
	v_mov_b32_e32 v3, 0x7f800001
	s_xor_b32 exec_lo, exec_lo, s28
	s_cbranch_execz .LBB166_568
.LBB166_586:
	v_cmp_ne_u16_e32 vcc_lo, 0, v2
	v_mov_b32_e32 v3, 0
	s_and_not1_b32 s27, s27, exec_lo
	s_and_b32 s30, vcc_lo, exec_lo
	s_delay_alu instid0(SALU_CYCLE_1)
	s_or_b32 s27, s27, s30
	s_or_b32 exec_lo, exec_lo, s28
	s_and_saveexec_b32 s28, s27
	s_cbranch_execnz .LBB166_569
	s_branch .LBB166_570
.LBB166_587:
	s_mov_b32 s27, -1
                                        ; implicit-def: $vgpr2
	s_branch .LBB166_592
.LBB166_588:
	s_mov_b32 s27, -1
                                        ; implicit-def: $vgpr2
.LBB166_589:
	s_delay_alu instid0(SALU_CYCLE_1)
	s_and_b32 vcc_lo, exec_lo, s27
	s_cbranch_vccz .LBB166_591
; %bb.590:
	s_wait_loadcnt 0x0
	global_load_u8 v2, v[0:1], off
	s_wait_loadcnt 0x0
	v_lshlrev_b32_e32 v2, 24, v2
	s_delay_alu instid0(VALU_DEP_1) | instskip(NEXT) | instid1(VALU_DEP_1)
	v_and_b32_e32 v3, 0x7f000000, v2
	v_clz_i32_u32_e32 v4, v3
	v_cmp_ne_u32_e32 vcc_lo, 0, v3
	v_add_nc_u32_e32 v6, 0x1000000, v3
	s_delay_alu instid0(VALU_DEP_3) | instskip(NEXT) | instid1(VALU_DEP_1)
	v_min_u32_e32 v4, 32, v4
	v_sub_nc_u32_e64 v4, v4, 4 clamp
	s_delay_alu instid0(VALU_DEP_1) | instskip(NEXT) | instid1(VALU_DEP_1)
	v_dual_lshlrev_b32 v5, v4, v3 :: v_dual_lshlrev_b32 v4, 23, v4
	v_lshrrev_b32_e32 v5, 4, v5
	s_delay_alu instid0(VALU_DEP_1) | instskip(NEXT) | instid1(VALU_DEP_1)
	v_dual_sub_nc_u32 v4, v5, v4 :: v_dual_ashrrev_i32 v5, 8, v6
	v_add_nc_u32_e32 v4, 0x3c000000, v4
	s_delay_alu instid0(VALU_DEP_1) | instskip(NEXT) | instid1(VALU_DEP_1)
	v_and_or_b32 v4, 0x7f800000, v5, v4
	v_cndmask_b32_e32 v3, 0, v4, vcc_lo
	s_delay_alu instid0(VALU_DEP_1) | instskip(SKIP_1) | instid1(VALU_DEP_2)
	v_and_or_b32 v2, 0x80000000, v2, v3
	v_bfe_u32 v3, v3, 16, 1
	v_cmp_o_f32_e32 vcc_lo, v2, v2
	s_delay_alu instid0(VALU_DEP_2) | instskip(NEXT) | instid1(VALU_DEP_1)
	v_add3_u32 v3, v2, v3, 0x7fff
	v_lshrrev_b32_e32 v3, 16, v3
	s_delay_alu instid0(VALU_DEP_1)
	v_cndmask_b32_e32 v2, 0x7fc0, v3, vcc_lo
.LBB166_591:
	s_mov_b32 s27, 0
.LBB166_592:
	s_delay_alu instid0(SALU_CYCLE_1)
	s_and_not1_b32 vcc_lo, exec_lo, s27
	s_cbranch_vccnz .LBB166_594
; %bb.593:
	s_wait_loadcnt 0x0
	global_load_u8 v2, v[0:1], off
	s_wait_loadcnt 0x0
	v_lshlrev_b32_e32 v3, 25, v2
	v_lshlrev_b16 v2, 8, v2
	s_delay_alu instid0(VALU_DEP_1) | instskip(SKIP_1) | instid1(VALU_DEP_2)
	v_and_or_b32 v5, 0x7f00, v2, 0.5
	v_bfe_i32 v2, v2, 0, 16
	v_dual_add_f32 v5, -0.5, v5 :: v_dual_lshrrev_b32 v4, 4, v3
	v_cmp_gt_u32_e32 vcc_lo, 0x8000000, v3
	s_delay_alu instid0(VALU_DEP_2) | instskip(NEXT) | instid1(VALU_DEP_1)
	v_or_b32_e32 v4, 0x70000000, v4
	v_mul_f32_e32 v4, 0x7800000, v4
	s_delay_alu instid0(VALU_DEP_1) | instskip(NEXT) | instid1(VALU_DEP_1)
	v_cndmask_b32_e32 v3, v4, v5, vcc_lo
	v_and_or_b32 v2, 0x80000000, v2, v3
	v_bfe_u32 v3, v3, 16, 1
	s_delay_alu instid0(VALU_DEP_2) | instskip(NEXT) | instid1(VALU_DEP_2)
	v_cmp_o_f32_e32 vcc_lo, v2, v2
	v_add3_u32 v3, v2, v3, 0x7fff
	s_delay_alu instid0(VALU_DEP_1) | instskip(NEXT) | instid1(VALU_DEP_1)
	v_lshrrev_b32_e32 v3, 16, v3
	v_cndmask_b32_e32 v2, 0x7fc0, v3, vcc_lo
.LBB166_594:
	s_mov_b32 s28, 0
	s_mov_b32 s27, -1
.LBB166_595:
	s_and_not1_b32 vcc_lo, exec_lo, s28
	s_cbranch_vccnz .LBB166_608
; %bb.596:
	s_cmp_gt_i32 s26, 14
	s_cbranch_scc0 .LBB166_599
; %bb.597:
	s_cmp_eq_u32 s26, 15
	s_cbranch_scc0 .LBB166_602
; %bb.598:
	s_wait_loadcnt 0x0
	global_load_u16 v2, v[0:1], off
	s_mov_b32 s27, -1
	s_mov_b32 s25, 0
	s_branch .LBB166_603
.LBB166_599:
	s_mov_b32 s28, -1
                                        ; implicit-def: $vgpr2
	s_branch .LBB166_604
.LBB166_600:
	s_or_saveexec_b32 s28, s28
	v_mov_b32_e32 v3, 0x7f800001
	s_xor_b32 exec_lo, exec_lo, s28
	s_cbranch_execz .LBB166_581
.LBB166_601:
	v_cmp_ne_u16_e32 vcc_lo, 0, v2
	v_mov_b32_e32 v3, 0
	s_and_not1_b32 s27, s27, exec_lo
	s_and_b32 s30, vcc_lo, exec_lo
	s_delay_alu instid0(SALU_CYCLE_1)
	s_or_b32 s27, s27, s30
	s_or_b32 exec_lo, exec_lo, s28
	s_and_saveexec_b32 s28, s27
	s_cbranch_execnz .LBB166_582
	s_branch .LBB166_583
.LBB166_602:
	s_mov_b32 s25, -1
                                        ; implicit-def: $vgpr2
.LBB166_603:
	s_mov_b32 s28, 0
.LBB166_604:
	s_delay_alu instid0(SALU_CYCLE_1)
	s_and_b32 vcc_lo, exec_lo, s28
	s_cbranch_vccz .LBB166_608
; %bb.605:
	s_cmp_eq_u32 s26, 11
	s_cbranch_scc0 .LBB166_607
; %bb.606:
	s_wait_loadcnt 0x0
	global_load_u8 v2, v[0:1], off
	s_mov_b32 s25, 0
	s_mov_b32 s27, -1
	s_wait_loadcnt 0x0
	v_cmp_ne_u16_e32 vcc_lo, 0, v2
	v_cndmask_b32_e64 v2, 0, 1.0, vcc_lo
	s_delay_alu instid0(VALU_DEP_1)
	v_lshrrev_b32_e32 v2, 16, v2
	s_branch .LBB166_608
.LBB166_607:
	s_mov_b32 s25, -1
                                        ; implicit-def: $vgpr2
.LBB166_608:
	s_branch .LBB166_525
.LBB166_609:
	s_and_b32 s0, 0xffff, s0
	s_delay_alu instid0(SALU_CYCLE_1)
	s_cmp_lt_i32 s0, 5
	s_cbranch_scc1 .LBB166_614
; %bb.610:
	s_cmp_lt_i32 s0, 8
	s_cbranch_scc1 .LBB166_615
; %bb.611:
	s_cmp_lt_i32 s0, 9
	s_cbranch_scc1 .LBB166_616
; %bb.612:
	s_cmp_gt_i32 s0, 9
	s_cbranch_scc0 .LBB166_617
; %bb.613:
	s_wait_loadcnt 0x0
	global_load_b64 v[2:3], v[0:1], off
	s_mov_b32 s26, 0
	s_wait_loadcnt 0x0
	v_cvt_f32_f64_e32 v2, v[2:3]
	s_delay_alu instid0(VALU_DEP_1) | instskip(SKIP_1) | instid1(VALU_DEP_2)
	v_bfe_u32 v3, v2, 16, 1
	v_cmp_o_f32_e32 vcc_lo, v2, v2
	v_add3_u32 v3, v2, v3, 0x7fff
	s_delay_alu instid0(VALU_DEP_1) | instskip(NEXT) | instid1(VALU_DEP_1)
	v_lshrrev_b32_e32 v3, 16, v3
	v_cndmask_b32_e32 v2, 0x7fc0, v3, vcc_lo
	s_branch .LBB166_618
.LBB166_614:
	s_mov_b32 s26, -1
                                        ; implicit-def: $vgpr2
	s_branch .LBB166_636
.LBB166_615:
	s_mov_b32 s26, -1
                                        ; implicit-def: $vgpr2
	s_branch .LBB166_624
.LBB166_616:
	s_mov_b32 s26, -1
                                        ; implicit-def: $vgpr2
	s_branch .LBB166_621
.LBB166_617:
	s_mov_b32 s26, -1
                                        ; implicit-def: $vgpr2
.LBB166_618:
	s_delay_alu instid0(SALU_CYCLE_1)
	s_and_not1_b32 vcc_lo, exec_lo, s26
	s_cbranch_vccnz .LBB166_620
; %bb.619:
	s_wait_loadcnt 0x0
	global_load_b32 v2, v[0:1], off
	s_wait_loadcnt 0x0
	v_bfe_u32 v3, v2, 16, 1
	v_cmp_o_f32_e32 vcc_lo, v2, v2
	s_delay_alu instid0(VALU_DEP_2) | instskip(NEXT) | instid1(VALU_DEP_1)
	v_add3_u32 v3, v2, v3, 0x7fff
	v_lshrrev_b32_e32 v3, 16, v3
	s_delay_alu instid0(VALU_DEP_1)
	v_cndmask_b32_e32 v2, 0x7fc0, v3, vcc_lo
.LBB166_620:
	s_mov_b32 s26, 0
.LBB166_621:
	s_delay_alu instid0(SALU_CYCLE_1)
	s_and_not1_b32 vcc_lo, exec_lo, s26
	s_cbranch_vccnz .LBB166_623
; %bb.622:
	s_wait_loadcnt 0x0
	global_load_b32 v2, v[0:1], off
	s_wait_loadcnt 0x0
	v_cvt_f32_f16_e32 v3, v2
	v_cmp_o_f16_e32 vcc_lo, v2, v2
	s_delay_alu instid0(VALU_DEP_2) | instskip(NEXT) | instid1(VALU_DEP_1)
	v_bfe_u32 v4, v3, 16, 1
	v_add3_u32 v3, v3, v4, 0x7fff
	s_delay_alu instid0(VALU_DEP_1) | instskip(NEXT) | instid1(VALU_DEP_1)
	v_lshrrev_b32_e32 v3, 16, v3
	v_cndmask_b32_e32 v2, 0x7fc0, v3, vcc_lo
.LBB166_623:
	s_mov_b32 s26, 0
.LBB166_624:
	s_delay_alu instid0(SALU_CYCLE_1)
	s_and_not1_b32 vcc_lo, exec_lo, s26
	s_cbranch_vccnz .LBB166_635
; %bb.625:
	s_cmp_lt_i32 s0, 6
	s_cbranch_scc1 .LBB166_628
; %bb.626:
	s_cmp_gt_i32 s0, 6
	s_cbranch_scc0 .LBB166_629
; %bb.627:
	s_wait_loadcnt 0x0
	global_load_b64 v[2:3], v[0:1], off
	s_mov_b32 s26, 0
	s_wait_loadcnt 0x0
	v_cvt_f32_f64_e32 v2, v[2:3]
	s_delay_alu instid0(VALU_DEP_1) | instskip(SKIP_1) | instid1(VALU_DEP_2)
	v_bfe_u32 v3, v2, 16, 1
	v_cmp_o_f32_e32 vcc_lo, v2, v2
	v_add3_u32 v3, v2, v3, 0x7fff
	s_delay_alu instid0(VALU_DEP_1) | instskip(NEXT) | instid1(VALU_DEP_1)
	v_lshrrev_b32_e32 v3, 16, v3
	v_cndmask_b32_e32 v2, 0x7fc0, v3, vcc_lo
	s_branch .LBB166_630
.LBB166_628:
	s_mov_b32 s26, -1
                                        ; implicit-def: $vgpr2
	s_branch .LBB166_633
.LBB166_629:
	s_mov_b32 s26, -1
                                        ; implicit-def: $vgpr2
.LBB166_630:
	s_delay_alu instid0(SALU_CYCLE_1)
	s_and_not1_b32 vcc_lo, exec_lo, s26
	s_cbranch_vccnz .LBB166_632
; %bb.631:
	s_wait_loadcnt 0x0
	global_load_b32 v2, v[0:1], off
	s_wait_loadcnt 0x0
	v_bfe_u32 v3, v2, 16, 1
	v_cmp_o_f32_e32 vcc_lo, v2, v2
	s_delay_alu instid0(VALU_DEP_2) | instskip(NEXT) | instid1(VALU_DEP_1)
	v_add3_u32 v3, v2, v3, 0x7fff
	v_lshrrev_b32_e32 v3, 16, v3
	s_delay_alu instid0(VALU_DEP_1)
	v_cndmask_b32_e32 v2, 0x7fc0, v3, vcc_lo
.LBB166_632:
	s_mov_b32 s26, 0
.LBB166_633:
	s_delay_alu instid0(SALU_CYCLE_1)
	s_and_not1_b32 vcc_lo, exec_lo, s26
	s_cbranch_vccnz .LBB166_635
; %bb.634:
	s_wait_loadcnt 0x0
	global_load_u16 v2, v[0:1], off
	s_wait_loadcnt 0x0
	v_cvt_f32_f16_e32 v3, v2
	v_cmp_o_f16_e32 vcc_lo, v2, v2
	s_delay_alu instid0(VALU_DEP_2) | instskip(NEXT) | instid1(VALU_DEP_1)
	v_bfe_u32 v4, v3, 16, 1
	v_add3_u32 v3, v3, v4, 0x7fff
	s_delay_alu instid0(VALU_DEP_1) | instskip(NEXT) | instid1(VALU_DEP_1)
	v_lshrrev_b32_e32 v3, 16, v3
	v_cndmask_b32_e32 v2, 0x7fc0, v3, vcc_lo
.LBB166_635:
	s_mov_b32 s26, 0
.LBB166_636:
	s_delay_alu instid0(SALU_CYCLE_1)
	s_and_not1_b32 vcc_lo, exec_lo, s26
	s_cbranch_vccnz .LBB166_656
; %bb.637:
	s_cmp_lt_i32 s0, 2
	s_cbranch_scc1 .LBB166_641
; %bb.638:
	s_cmp_lt_i32 s0, 3
	s_cbranch_scc1 .LBB166_642
; %bb.639:
	s_cmp_gt_i32 s0, 3
	s_cbranch_scc0 .LBB166_643
; %bb.640:
	s_wait_loadcnt 0x0
	global_load_b64 v[2:3], v[0:1], off
	s_mov_b32 s26, 0
	s_wait_loadcnt 0x0
	v_xor_b32_e32 v4, v2, v3
	v_cls_i32_e32 v5, v3
	s_delay_alu instid0(VALU_DEP_2) | instskip(NEXT) | instid1(VALU_DEP_1)
	v_ashrrev_i32_e32 v4, 31, v4
	v_add_nc_u32_e32 v4, 32, v4
	s_delay_alu instid0(VALU_DEP_1) | instskip(NEXT) | instid1(VALU_DEP_1)
	v_add_min_u32_e64 v4, v5, -1, v4
	v_lshlrev_b64_e32 v[2:3], v4, v[2:3]
	s_delay_alu instid0(VALU_DEP_1) | instskip(NEXT) | instid1(VALU_DEP_1)
	v_min_u32_e32 v2, 1, v2
	v_dual_sub_nc_u32 v3, 32, v4 :: v_dual_bitop2_b32 v2, v3, v2 bitop3:0x54
	s_delay_alu instid0(VALU_DEP_1) | instskip(NEXT) | instid1(VALU_DEP_1)
	v_cvt_f32_i32_e32 v2, v2
	v_ldexp_f32 v2, v2, v3
	s_delay_alu instid0(VALU_DEP_1) | instskip(NEXT) | instid1(VALU_DEP_1)
	v_bfe_u32 v3, v2, 16, 1
	v_add3_u32 v2, v2, v3, 0x7fff
	s_delay_alu instid0(VALU_DEP_1)
	v_lshrrev_b32_e32 v2, 16, v2
	s_branch .LBB166_644
.LBB166_641:
	s_mov_b32 s26, -1
                                        ; implicit-def: $vgpr2
	s_branch .LBB166_650
.LBB166_642:
	s_mov_b32 s26, -1
                                        ; implicit-def: $vgpr2
	s_branch .LBB166_647
.LBB166_643:
	s_mov_b32 s26, -1
                                        ; implicit-def: $vgpr2
.LBB166_644:
	s_delay_alu instid0(SALU_CYCLE_1)
	s_and_not1_b32 vcc_lo, exec_lo, s26
	s_cbranch_vccnz .LBB166_646
; %bb.645:
	s_wait_loadcnt 0x0
	global_load_b32 v2, v[0:1], off
	s_wait_loadcnt 0x0
	v_cvt_f32_i32_e32 v2, v2
	s_delay_alu instid0(VALU_DEP_1) | instskip(NEXT) | instid1(VALU_DEP_1)
	v_bfe_u32 v3, v2, 16, 1
	v_add3_u32 v2, v2, v3, 0x7fff
	s_delay_alu instid0(VALU_DEP_1)
	v_lshrrev_b32_e32 v2, 16, v2
.LBB166_646:
	s_mov_b32 s26, 0
.LBB166_647:
	s_delay_alu instid0(SALU_CYCLE_1)
	s_and_not1_b32 vcc_lo, exec_lo, s26
	s_cbranch_vccnz .LBB166_649
; %bb.648:
	s_wait_loadcnt 0x0
	global_load_i16 v2, v[0:1], off
	s_wait_loadcnt 0x0
	v_cvt_f32_i32_e32 v2, v2
	s_delay_alu instid0(VALU_DEP_1) | instskip(NEXT) | instid1(VALU_DEP_1)
	v_bfe_u32 v3, v2, 16, 1
	v_add3_u32 v2, v2, v3, 0x7fff
	s_delay_alu instid0(VALU_DEP_1)
	v_lshrrev_b32_e32 v2, 16, v2
.LBB166_649:
	s_mov_b32 s26, 0
.LBB166_650:
	s_delay_alu instid0(SALU_CYCLE_1)
	s_and_not1_b32 vcc_lo, exec_lo, s26
	s_cbranch_vccnz .LBB166_656
; %bb.651:
	s_cmp_gt_i32 s0, 0
	s_mov_b32 s0, 0
	s_cbranch_scc0 .LBB166_653
; %bb.652:
	s_wait_loadcnt 0x0
	global_load_i8 v2, v[0:1], off
	s_wait_loadcnt 0x0
	v_cvt_f32_i32_e32 v2, v2
	s_delay_alu instid0(VALU_DEP_1) | instskip(NEXT) | instid1(VALU_DEP_1)
	v_bfe_u32 v3, v2, 16, 1
	v_add3_u32 v2, v2, v3, 0x7fff
	s_delay_alu instid0(VALU_DEP_1)
	v_lshrrev_b32_e32 v2, 16, v2
	s_branch .LBB166_654
.LBB166_653:
	s_mov_b32 s0, -1
                                        ; implicit-def: $vgpr2
.LBB166_654:
	s_delay_alu instid0(SALU_CYCLE_1)
	s_and_not1_b32 vcc_lo, exec_lo, s0
	s_cbranch_vccnz .LBB166_656
; %bb.655:
	global_load_u8 v0, v[0:1], off
	s_wait_loadcnt 0x0
	v_cvt_f32_ubyte0_e32 v0, v0
	s_delay_alu instid0(VALU_DEP_1) | instskip(NEXT) | instid1(VALU_DEP_1)
	v_bfe_u32 v1, v0, 16, 1
	v_add3_u32 v0, v0, v1, 0x7fff
	s_delay_alu instid0(VALU_DEP_1)
	v_lshrrev_b32_e32 v2, 16, v0
.LBB166_656:
	s_branch .LBB166_526
.LBB166_657:
	s_mov_b32 s30, 0
	s_mov_b32 s0, s19
	;; [unrolled: 1-line block ×4, first 2 shown]
	s_branch .LBB166_1033
.LBB166_658:
	s_and_not1_saveexec_b32 s29, s29
	s_cbranch_execz .LBB166_421
.LBB166_659:
	v_add_f32_e64 v4, 0x46000000, |v5|
	s_and_not1_b32 s28, s28, exec_lo
	s_delay_alu instid0(VALU_DEP_1) | instskip(NEXT) | instid1(VALU_DEP_1)
	v_and_b32_e32 v4, 0xff, v4
	v_cmp_ne_u32_e32 vcc_lo, 0, v4
	s_and_b32 s30, vcc_lo, exec_lo
	s_delay_alu instid0(SALU_CYCLE_1)
	s_or_b32 s28, s28, s30
	s_or_b32 exec_lo, exec_lo, s29
	v_mov_b32_e32 v6, 0
	s_and_saveexec_b32 s29, s28
	s_cbranch_execnz .LBB166_422
	s_branch .LBB166_423
.LBB166_660:
	s_mov_b32 s28, -1
	s_mov_b32 s27, 0
.LBB166_661:
                                        ; implicit-def: $vgpr3
.LBB166_662:
	s_and_b32 vcc_lo, exec_lo, s30
	s_cbranch_vccz .LBB166_666
; %bb.663:
	s_cmp_eq_u32 s26, 44
	s_cbranch_scc0 .LBB166_665
; %bb.664:
	s_wait_loadcnt 0x0
	global_load_u8 v3, v[0:1], off
	s_mov_b32 s28, 0
	s_mov_b32 s27, -1
	s_wait_loadcnt 0x0
	v_lshlrev_b32_e32 v4, 23, v3
	v_cmp_ne_u32_e32 vcc_lo, 0xff, v3
	s_delay_alu instid0(VALU_DEP_2) | instskip(SKIP_1) | instid1(VALU_DEP_2)
	v_cndmask_b32_e32 v4, 0x7f800001, v4, vcc_lo
	v_cmp_ne_u32_e32 vcc_lo, 0, v3
	v_cndmask_b32_e32 v3, 0x400000, v4, vcc_lo
	s_delay_alu instid0(VALU_DEP_1) | instskip(NEXT) | instid1(VALU_DEP_1)
	v_add_nc_u32_e32 v4, 0x7fff, v3
	v_lshrrev_b32_e32 v4, 16, v4
	v_cmp_o_f32_e32 vcc_lo, v3, v3
	s_delay_alu instid0(VALU_DEP_2)
	v_cndmask_b32_e32 v3, 0x7fc0, v4, vcc_lo
	s_branch .LBB166_666
.LBB166_665:
	s_mov_b32 s28, -1
                                        ; implicit-def: $vgpr3
.LBB166_666:
	s_mov_b32 s30, 0
.LBB166_667:
	s_delay_alu instid0(SALU_CYCLE_1)
	s_and_b32 vcc_lo, exec_lo, s30
	s_cbranch_vccz .LBB166_671
; %bb.668:
	s_cmp_eq_u32 s26, 29
	s_cbranch_scc0 .LBB166_670
; %bb.669:
	s_wait_loadcnt 0x0
	global_load_b64 v[4:5], v[0:1], off
	s_mov_b32 s27, -1
	s_mov_b32 s28, 0
	s_mov_b32 s30, 0
	s_wait_loadcnt 0x0
	v_clz_i32_u32_e32 v3, v5
	s_delay_alu instid0(VALU_DEP_1) | instskip(NEXT) | instid1(VALU_DEP_1)
	v_min_u32_e32 v3, 32, v3
	v_lshlrev_b64_e32 v[4:5], v3, v[4:5]
	v_sub_nc_u32_e32 v3, 32, v3
	s_delay_alu instid0(VALU_DEP_2) | instskip(NEXT) | instid1(VALU_DEP_1)
	v_min_u32_e32 v4, 1, v4
	v_or_b32_e32 v4, v5, v4
	s_delay_alu instid0(VALU_DEP_1) | instskip(NEXT) | instid1(VALU_DEP_1)
	v_cvt_f32_u32_e32 v4, v4
	v_ldexp_f32 v3, v4, v3
	s_delay_alu instid0(VALU_DEP_1) | instskip(NEXT) | instid1(VALU_DEP_1)
	v_bfe_u32 v4, v3, 16, 1
	v_add3_u32 v3, v3, v4, 0x7fff
	s_delay_alu instid0(VALU_DEP_1)
	v_lshrrev_b32_e32 v3, 16, v3
	s_branch .LBB166_672
.LBB166_670:
	s_mov_b32 s28, -1
                                        ; implicit-def: $vgpr3
.LBB166_671:
	s_mov_b32 s30, 0
.LBB166_672:
	s_delay_alu instid0(SALU_CYCLE_1)
	s_and_b32 vcc_lo, exec_lo, s30
	s_cbranch_vccz .LBB166_690
; %bb.673:
	s_cmp_lt_i32 s26, 27
	s_cbranch_scc1 .LBB166_676
; %bb.674:
	s_cmp_gt_i32 s26, 27
	s_cbranch_scc0 .LBB166_677
; %bb.675:
	s_wait_loadcnt 0x0
	global_load_b32 v3, v[0:1], off
	s_mov_b32 s27, 0
	s_wait_loadcnt 0x0
	v_cvt_f32_u32_e32 v3, v3
	s_delay_alu instid0(VALU_DEP_1) | instskip(NEXT) | instid1(VALU_DEP_1)
	v_bfe_u32 v4, v3, 16, 1
	v_add3_u32 v3, v3, v4, 0x7fff
	s_delay_alu instid0(VALU_DEP_1)
	v_lshrrev_b32_e32 v3, 16, v3
	s_branch .LBB166_678
.LBB166_676:
	s_mov_b32 s27, -1
                                        ; implicit-def: $vgpr3
	s_branch .LBB166_681
.LBB166_677:
	s_mov_b32 s27, -1
                                        ; implicit-def: $vgpr3
.LBB166_678:
	s_delay_alu instid0(SALU_CYCLE_1)
	s_and_not1_b32 vcc_lo, exec_lo, s27
	s_cbranch_vccnz .LBB166_680
; %bb.679:
	s_wait_loadcnt 0x0
	global_load_u16 v3, v[0:1], off
	s_wait_loadcnt 0x0
	v_cvt_f32_u32_e32 v3, v3
	s_delay_alu instid0(VALU_DEP_1) | instskip(NEXT) | instid1(VALU_DEP_1)
	v_bfe_u32 v4, v3, 16, 1
	v_add3_u32 v3, v3, v4, 0x7fff
	s_delay_alu instid0(VALU_DEP_1)
	v_lshrrev_b32_e32 v3, 16, v3
.LBB166_680:
	s_mov_b32 s27, 0
.LBB166_681:
	s_delay_alu instid0(SALU_CYCLE_1)
	s_and_not1_b32 vcc_lo, exec_lo, s27
	s_cbranch_vccnz .LBB166_689
; %bb.682:
	s_wait_loadcnt 0x0
	global_load_u8 v3, v[0:1], off
	s_mov_b32 s27, 0
	s_mov_b32 s30, exec_lo
	s_wait_loadcnt 0x0
	v_cmpx_lt_i16_e32 0x7f, v3
	s_xor_b32 s30, exec_lo, s30
	s_cbranch_execz .LBB166_703
; %bb.683:
	s_mov_b32 s27, -1
	s_mov_b32 s31, exec_lo
	v_cmpx_eq_u16_e32 0x80, v3
; %bb.684:
	s_xor_b32 s27, exec_lo, -1
; %bb.685:
	s_or_b32 exec_lo, exec_lo, s31
	s_delay_alu instid0(SALU_CYCLE_1)
	s_and_b32 s27, s27, exec_lo
	s_or_saveexec_b32 s30, s30
	v_mov_b32_e32 v4, 0x7f800001
	s_xor_b32 exec_lo, exec_lo, s30
	s_cbranch_execnz .LBB166_704
.LBB166_686:
	s_or_b32 exec_lo, exec_lo, s30
	s_and_saveexec_b32 s30, s27
	s_cbranch_execz .LBB166_688
.LBB166_687:
	v_and_b32_e32 v4, 0xffff, v3
	s_delay_alu instid0(VALU_DEP_1) | instskip(SKIP_1) | instid1(VALU_DEP_2)
	v_and_b32_e32 v5, 7, v4
	v_bfe_u32 v9, v4, 3, 4
	v_clz_i32_u32_e32 v6, v5
	s_delay_alu instid0(VALU_DEP_2) | instskip(NEXT) | instid1(VALU_DEP_2)
	v_cmp_eq_u32_e32 vcc_lo, 0, v9
	v_min_u32_e32 v6, 32, v6
	s_delay_alu instid0(VALU_DEP_1) | instskip(NEXT) | instid1(VALU_DEP_1)
	v_subrev_nc_u32_e32 v7, 28, v6
	v_dual_lshlrev_b32 v4, v7, v4 :: v_dual_sub_nc_u32 v6, 29, v6
	s_delay_alu instid0(VALU_DEP_1) | instskip(NEXT) | instid1(VALU_DEP_2)
	v_dual_lshlrev_b32 v3, 24, v3 :: v_dual_bitop2_b32 v4, 7, v4 bitop3:0x40
	v_cndmask_b32_e32 v6, v9, v6, vcc_lo
	s_delay_alu instid0(VALU_DEP_2) | instskip(NEXT) | instid1(VALU_DEP_3)
	v_cndmask_b32_e32 v4, v5, v4, vcc_lo
	v_and_b32_e32 v3, 0x80000000, v3
	s_delay_alu instid0(VALU_DEP_3) | instskip(NEXT) | instid1(VALU_DEP_3)
	v_lshl_add_u32 v5, v6, 23, 0x3b800000
	v_lshlrev_b32_e32 v4, 20, v4
	s_delay_alu instid0(VALU_DEP_1)
	v_or3_b32 v4, v3, v5, v4
.LBB166_688:
	s_or_b32 exec_lo, exec_lo, s30
	s_delay_alu instid0(VALU_DEP_1) | instskip(SKIP_1) | instid1(VALU_DEP_2)
	v_bfe_u32 v3, v4, 16, 1
	v_cmp_o_f32_e32 vcc_lo, v4, v4
	v_add3_u32 v3, v4, v3, 0x7fff
	s_delay_alu instid0(VALU_DEP_1) | instskip(NEXT) | instid1(VALU_DEP_1)
	v_lshrrev_b32_e32 v3, 16, v3
	v_cndmask_b32_e32 v3, 0x7fc0, v3, vcc_lo
.LBB166_689:
	s_mov_b32 s27, -1
.LBB166_690:
	s_mov_b32 s30, 0
.LBB166_691:
	s_delay_alu instid0(SALU_CYCLE_1)
	s_and_b32 vcc_lo, exec_lo, s30
	s_cbranch_vccz .LBB166_726
; %bb.692:
	s_cmp_gt_i32 s26, 22
	s_cbranch_scc0 .LBB166_702
; %bb.693:
	s_cmp_lt_i32 s26, 24
	s_cbranch_scc1 .LBB166_705
; %bb.694:
	s_cmp_gt_i32 s26, 24
	s_cbranch_scc0 .LBB166_706
; %bb.695:
	s_wait_loadcnt 0x0
	global_load_u8 v3, v[0:1], off
	s_mov_b32 s27, 0
	s_mov_b32 s30, exec_lo
	s_wait_loadcnt 0x0
	v_cmpx_lt_i16_e32 0x7f, v3
	s_xor_b32 s30, exec_lo, s30
	s_cbranch_execz .LBB166_718
; %bb.696:
	s_mov_b32 s27, -1
	s_mov_b32 s31, exec_lo
	v_cmpx_eq_u16_e32 0x80, v3
; %bb.697:
	s_xor_b32 s27, exec_lo, -1
; %bb.698:
	s_or_b32 exec_lo, exec_lo, s31
	s_delay_alu instid0(SALU_CYCLE_1)
	s_and_b32 s27, s27, exec_lo
	s_or_saveexec_b32 s30, s30
	v_mov_b32_e32 v4, 0x7f800001
	s_xor_b32 exec_lo, exec_lo, s30
	s_cbranch_execnz .LBB166_719
.LBB166_699:
	s_or_b32 exec_lo, exec_lo, s30
	s_and_saveexec_b32 s30, s27
	s_cbranch_execz .LBB166_701
.LBB166_700:
	v_and_b32_e32 v4, 0xffff, v3
	s_delay_alu instid0(VALU_DEP_1) | instskip(SKIP_1) | instid1(VALU_DEP_2)
	v_and_b32_e32 v5, 3, v4
	v_bfe_u32 v9, v4, 2, 5
	v_clz_i32_u32_e32 v6, v5
	s_delay_alu instid0(VALU_DEP_2) | instskip(NEXT) | instid1(VALU_DEP_2)
	v_cmp_eq_u32_e32 vcc_lo, 0, v9
	v_min_u32_e32 v6, 32, v6
	s_delay_alu instid0(VALU_DEP_1) | instskip(NEXT) | instid1(VALU_DEP_1)
	v_subrev_nc_u32_e32 v7, 29, v6
	v_dual_lshlrev_b32 v4, v7, v4 :: v_dual_sub_nc_u32 v6, 30, v6
	s_delay_alu instid0(VALU_DEP_1) | instskip(NEXT) | instid1(VALU_DEP_2)
	v_dual_lshlrev_b32 v3, 24, v3 :: v_dual_bitop2_b32 v4, 3, v4 bitop3:0x40
	v_cndmask_b32_e32 v6, v9, v6, vcc_lo
	s_delay_alu instid0(VALU_DEP_2) | instskip(NEXT) | instid1(VALU_DEP_3)
	v_cndmask_b32_e32 v4, v5, v4, vcc_lo
	v_and_b32_e32 v3, 0x80000000, v3
	s_delay_alu instid0(VALU_DEP_3) | instskip(NEXT) | instid1(VALU_DEP_3)
	v_lshl_add_u32 v5, v6, 23, 0x37800000
	v_lshlrev_b32_e32 v4, 21, v4
	s_delay_alu instid0(VALU_DEP_1)
	v_or3_b32 v4, v3, v5, v4
.LBB166_701:
	s_or_b32 exec_lo, exec_lo, s30
	s_delay_alu instid0(VALU_DEP_1) | instskip(SKIP_2) | instid1(VALU_DEP_2)
	v_bfe_u32 v3, v4, 16, 1
	v_cmp_o_f32_e32 vcc_lo, v4, v4
	s_mov_b32 s27, 0
	v_add3_u32 v3, v4, v3, 0x7fff
	s_delay_alu instid0(VALU_DEP_1) | instskip(NEXT) | instid1(VALU_DEP_1)
	v_lshrrev_b32_e32 v3, 16, v3
	v_cndmask_b32_e32 v3, 0x7fc0, v3, vcc_lo
	s_branch .LBB166_707
.LBB166_702:
	s_mov_b32 s30, -1
                                        ; implicit-def: $vgpr3
	s_branch .LBB166_713
.LBB166_703:
	s_or_saveexec_b32 s30, s30
	v_mov_b32_e32 v4, 0x7f800001
	s_xor_b32 exec_lo, exec_lo, s30
	s_cbranch_execz .LBB166_686
.LBB166_704:
	v_cmp_ne_u16_e32 vcc_lo, 0, v3
	v_mov_b32_e32 v4, 0
	s_and_not1_b32 s27, s27, exec_lo
	s_and_b32 s31, vcc_lo, exec_lo
	s_delay_alu instid0(SALU_CYCLE_1)
	s_or_b32 s27, s27, s31
	s_or_b32 exec_lo, exec_lo, s30
	s_and_saveexec_b32 s30, s27
	s_cbranch_execnz .LBB166_687
	s_branch .LBB166_688
.LBB166_705:
	s_mov_b32 s27, -1
                                        ; implicit-def: $vgpr3
	s_branch .LBB166_710
.LBB166_706:
	s_mov_b32 s27, -1
                                        ; implicit-def: $vgpr3
.LBB166_707:
	s_delay_alu instid0(SALU_CYCLE_1)
	s_and_b32 vcc_lo, exec_lo, s27
	s_cbranch_vccz .LBB166_709
; %bb.708:
	s_wait_loadcnt 0x0
	global_load_u8 v3, v[0:1], off
	s_wait_loadcnt 0x0
	v_lshlrev_b32_e32 v3, 24, v3
	s_delay_alu instid0(VALU_DEP_1) | instskip(NEXT) | instid1(VALU_DEP_1)
	v_and_b32_e32 v4, 0x7f000000, v3
	v_clz_i32_u32_e32 v5, v4
	v_cmp_ne_u32_e32 vcc_lo, 0, v4
	v_add_nc_u32_e32 v7, 0x1000000, v4
	s_delay_alu instid0(VALU_DEP_3) | instskip(NEXT) | instid1(VALU_DEP_1)
	v_min_u32_e32 v5, 32, v5
	v_sub_nc_u32_e64 v5, v5, 4 clamp
	s_delay_alu instid0(VALU_DEP_1) | instskip(NEXT) | instid1(VALU_DEP_1)
	v_dual_lshlrev_b32 v6, v5, v4 :: v_dual_lshlrev_b32 v5, 23, v5
	v_lshrrev_b32_e32 v6, 4, v6
	s_delay_alu instid0(VALU_DEP_1) | instskip(NEXT) | instid1(VALU_DEP_1)
	v_dual_sub_nc_u32 v5, v6, v5 :: v_dual_ashrrev_i32 v6, 8, v7
	v_add_nc_u32_e32 v5, 0x3c000000, v5
	s_delay_alu instid0(VALU_DEP_1) | instskip(NEXT) | instid1(VALU_DEP_1)
	v_and_or_b32 v5, 0x7f800000, v6, v5
	v_cndmask_b32_e32 v4, 0, v5, vcc_lo
	s_delay_alu instid0(VALU_DEP_1) | instskip(SKIP_1) | instid1(VALU_DEP_2)
	v_and_or_b32 v3, 0x80000000, v3, v4
	v_bfe_u32 v4, v4, 16, 1
	v_cmp_o_f32_e32 vcc_lo, v3, v3
	s_delay_alu instid0(VALU_DEP_2) | instskip(NEXT) | instid1(VALU_DEP_1)
	v_add3_u32 v4, v3, v4, 0x7fff
	v_lshrrev_b32_e32 v4, 16, v4
	s_delay_alu instid0(VALU_DEP_1)
	v_cndmask_b32_e32 v3, 0x7fc0, v4, vcc_lo
.LBB166_709:
	s_mov_b32 s27, 0
.LBB166_710:
	s_delay_alu instid0(SALU_CYCLE_1)
	s_and_not1_b32 vcc_lo, exec_lo, s27
	s_cbranch_vccnz .LBB166_712
; %bb.711:
	s_wait_loadcnt 0x0
	global_load_u8 v3, v[0:1], off
	s_wait_loadcnt 0x0
	v_lshlrev_b32_e32 v4, 25, v3
	v_lshlrev_b16 v3, 8, v3
	s_delay_alu instid0(VALU_DEP_1) | instskip(SKIP_1) | instid1(VALU_DEP_2)
	v_and_or_b32 v6, 0x7f00, v3, 0.5
	v_bfe_i32 v3, v3, 0, 16
	v_dual_add_f32 v6, -0.5, v6 :: v_dual_lshrrev_b32 v5, 4, v4
	v_cmp_gt_u32_e32 vcc_lo, 0x8000000, v4
	s_delay_alu instid0(VALU_DEP_2) | instskip(NEXT) | instid1(VALU_DEP_1)
	v_or_b32_e32 v5, 0x70000000, v5
	v_mul_f32_e32 v5, 0x7800000, v5
	s_delay_alu instid0(VALU_DEP_1) | instskip(NEXT) | instid1(VALU_DEP_1)
	v_cndmask_b32_e32 v4, v5, v6, vcc_lo
	v_and_or_b32 v3, 0x80000000, v3, v4
	v_bfe_u32 v4, v4, 16, 1
	s_delay_alu instid0(VALU_DEP_2) | instskip(NEXT) | instid1(VALU_DEP_2)
	v_cmp_o_f32_e32 vcc_lo, v3, v3
	v_add3_u32 v4, v3, v4, 0x7fff
	s_delay_alu instid0(VALU_DEP_1) | instskip(NEXT) | instid1(VALU_DEP_1)
	v_lshrrev_b32_e32 v4, 16, v4
	v_cndmask_b32_e32 v3, 0x7fc0, v4, vcc_lo
.LBB166_712:
	s_mov_b32 s30, 0
	s_mov_b32 s27, -1
.LBB166_713:
	s_and_not1_b32 vcc_lo, exec_lo, s30
	s_cbranch_vccnz .LBB166_726
; %bb.714:
	s_cmp_gt_i32 s26, 14
	s_cbranch_scc0 .LBB166_717
; %bb.715:
	s_cmp_eq_u32 s26, 15
	s_cbranch_scc0 .LBB166_720
; %bb.716:
	s_wait_loadcnt 0x0
	global_load_u16 v3, v[0:1], off
	s_mov_b32 s27, -1
	s_mov_b32 s28, 0
	s_branch .LBB166_721
.LBB166_717:
	s_mov_b32 s30, -1
                                        ; implicit-def: $vgpr3
	s_branch .LBB166_722
.LBB166_718:
	s_or_saveexec_b32 s30, s30
	v_mov_b32_e32 v4, 0x7f800001
	s_xor_b32 exec_lo, exec_lo, s30
	s_cbranch_execz .LBB166_699
.LBB166_719:
	v_cmp_ne_u16_e32 vcc_lo, 0, v3
	v_mov_b32_e32 v4, 0
	s_and_not1_b32 s27, s27, exec_lo
	s_and_b32 s31, vcc_lo, exec_lo
	s_delay_alu instid0(SALU_CYCLE_1)
	s_or_b32 s27, s27, s31
	s_or_b32 exec_lo, exec_lo, s30
	s_and_saveexec_b32 s30, s27
	s_cbranch_execnz .LBB166_700
	s_branch .LBB166_701
.LBB166_720:
	s_mov_b32 s28, -1
                                        ; implicit-def: $vgpr3
.LBB166_721:
	s_mov_b32 s30, 0
.LBB166_722:
	s_delay_alu instid0(SALU_CYCLE_1)
	s_and_b32 vcc_lo, exec_lo, s30
	s_cbranch_vccz .LBB166_726
; %bb.723:
	s_cmp_eq_u32 s26, 11
	s_cbranch_scc0 .LBB166_725
; %bb.724:
	s_wait_loadcnt 0x0
	global_load_u8 v3, v[0:1], off
	s_mov_b32 s28, 0
	s_mov_b32 s27, -1
	s_wait_loadcnt 0x0
	v_cmp_ne_u16_e32 vcc_lo, 0, v3
	v_cndmask_b32_e64 v3, 0, 1.0, vcc_lo
	s_delay_alu instid0(VALU_DEP_1)
	v_lshrrev_b32_e32 v3, 16, v3
	s_branch .LBB166_726
.LBB166_725:
	s_mov_b32 s28, -1
                                        ; implicit-def: $vgpr3
.LBB166_726:
	s_mov_b32 s26, 0
.LBB166_727:
	s_delay_alu instid0(SALU_CYCLE_1)
	s_and_b32 vcc_lo, exec_lo, s26
	s_cbranch_vccz .LBB166_776
; %bb.728:
	s_and_b32 s0, 0xffff, s0
	s_delay_alu instid0(SALU_CYCLE_1)
	s_cmp_lt_i32 s0, 5
	s_cbranch_scc1 .LBB166_733
; %bb.729:
	s_cmp_lt_i32 s0, 8
	s_cbranch_scc1 .LBB166_734
; %bb.730:
	;; [unrolled: 3-line block ×3, first 2 shown]
	s_cmp_gt_i32 s0, 9
	s_cbranch_scc0 .LBB166_736
; %bb.732:
	s_wait_loadcnt 0x0
	global_load_b64 v[4:5], v[0:1], off
	s_mov_b32 s26, 0
	s_wait_loadcnt 0x0
	v_cvt_f32_f64_e32 v3, v[4:5]
	s_delay_alu instid0(VALU_DEP_1) | instskip(SKIP_1) | instid1(VALU_DEP_2)
	v_bfe_u32 v4, v3, 16, 1
	v_cmp_o_f32_e32 vcc_lo, v3, v3
	v_add3_u32 v4, v3, v4, 0x7fff
	s_delay_alu instid0(VALU_DEP_1) | instskip(NEXT) | instid1(VALU_DEP_1)
	v_lshrrev_b32_e32 v4, 16, v4
	v_cndmask_b32_e32 v3, 0x7fc0, v4, vcc_lo
	s_branch .LBB166_737
.LBB166_733:
	s_mov_b32 s26, -1
                                        ; implicit-def: $vgpr3
	s_branch .LBB166_755
.LBB166_734:
	s_mov_b32 s26, -1
                                        ; implicit-def: $vgpr3
	s_branch .LBB166_743
.LBB166_735:
	s_mov_b32 s26, -1
                                        ; implicit-def: $vgpr3
	s_branch .LBB166_740
.LBB166_736:
	s_mov_b32 s26, -1
                                        ; implicit-def: $vgpr3
.LBB166_737:
	s_delay_alu instid0(SALU_CYCLE_1)
	s_and_not1_b32 vcc_lo, exec_lo, s26
	s_cbranch_vccnz .LBB166_739
; %bb.738:
	s_wait_loadcnt 0x0
	global_load_b32 v3, v[0:1], off
	s_wait_loadcnt 0x0
	v_bfe_u32 v4, v3, 16, 1
	v_cmp_o_f32_e32 vcc_lo, v3, v3
	s_delay_alu instid0(VALU_DEP_2) | instskip(NEXT) | instid1(VALU_DEP_1)
	v_add3_u32 v4, v3, v4, 0x7fff
	v_lshrrev_b32_e32 v4, 16, v4
	s_delay_alu instid0(VALU_DEP_1)
	v_cndmask_b32_e32 v3, 0x7fc0, v4, vcc_lo
.LBB166_739:
	s_mov_b32 s26, 0
.LBB166_740:
	s_delay_alu instid0(SALU_CYCLE_1)
	s_and_not1_b32 vcc_lo, exec_lo, s26
	s_cbranch_vccnz .LBB166_742
; %bb.741:
	s_wait_loadcnt 0x0
	global_load_b32 v3, v[0:1], off
	s_wait_loadcnt 0x0
	v_cvt_f32_f16_e32 v4, v3
	v_cmp_o_f16_e32 vcc_lo, v3, v3
	s_delay_alu instid0(VALU_DEP_2) | instskip(NEXT) | instid1(VALU_DEP_1)
	v_bfe_u32 v5, v4, 16, 1
	v_add3_u32 v4, v4, v5, 0x7fff
	s_delay_alu instid0(VALU_DEP_1) | instskip(NEXT) | instid1(VALU_DEP_1)
	v_lshrrev_b32_e32 v4, 16, v4
	v_cndmask_b32_e32 v3, 0x7fc0, v4, vcc_lo
.LBB166_742:
	s_mov_b32 s26, 0
.LBB166_743:
	s_delay_alu instid0(SALU_CYCLE_1)
	s_and_not1_b32 vcc_lo, exec_lo, s26
	s_cbranch_vccnz .LBB166_754
; %bb.744:
	s_cmp_lt_i32 s0, 6
	s_cbranch_scc1 .LBB166_747
; %bb.745:
	s_cmp_gt_i32 s0, 6
	s_cbranch_scc0 .LBB166_748
; %bb.746:
	s_wait_loadcnt 0x0
	global_load_b64 v[4:5], v[0:1], off
	s_mov_b32 s26, 0
	s_wait_loadcnt 0x0
	v_cvt_f32_f64_e32 v3, v[4:5]
	s_delay_alu instid0(VALU_DEP_1) | instskip(SKIP_1) | instid1(VALU_DEP_2)
	v_bfe_u32 v4, v3, 16, 1
	v_cmp_o_f32_e32 vcc_lo, v3, v3
	v_add3_u32 v4, v3, v4, 0x7fff
	s_delay_alu instid0(VALU_DEP_1) | instskip(NEXT) | instid1(VALU_DEP_1)
	v_lshrrev_b32_e32 v4, 16, v4
	v_cndmask_b32_e32 v3, 0x7fc0, v4, vcc_lo
	s_branch .LBB166_749
.LBB166_747:
	s_mov_b32 s26, -1
                                        ; implicit-def: $vgpr3
	s_branch .LBB166_752
.LBB166_748:
	s_mov_b32 s26, -1
                                        ; implicit-def: $vgpr3
.LBB166_749:
	s_delay_alu instid0(SALU_CYCLE_1)
	s_and_not1_b32 vcc_lo, exec_lo, s26
	s_cbranch_vccnz .LBB166_751
; %bb.750:
	s_wait_loadcnt 0x0
	global_load_b32 v3, v[0:1], off
	s_wait_loadcnt 0x0
	v_bfe_u32 v4, v3, 16, 1
	v_cmp_o_f32_e32 vcc_lo, v3, v3
	s_delay_alu instid0(VALU_DEP_2) | instskip(NEXT) | instid1(VALU_DEP_1)
	v_add3_u32 v4, v3, v4, 0x7fff
	v_lshrrev_b32_e32 v4, 16, v4
	s_delay_alu instid0(VALU_DEP_1)
	v_cndmask_b32_e32 v3, 0x7fc0, v4, vcc_lo
.LBB166_751:
	s_mov_b32 s26, 0
.LBB166_752:
	s_delay_alu instid0(SALU_CYCLE_1)
	s_and_not1_b32 vcc_lo, exec_lo, s26
	s_cbranch_vccnz .LBB166_754
; %bb.753:
	s_wait_loadcnt 0x0
	global_load_u16 v3, v[0:1], off
	s_wait_loadcnt 0x0
	v_cvt_f32_f16_e32 v4, v3
	v_cmp_o_f16_e32 vcc_lo, v3, v3
	s_delay_alu instid0(VALU_DEP_2) | instskip(NEXT) | instid1(VALU_DEP_1)
	v_bfe_u32 v5, v4, 16, 1
	v_add3_u32 v4, v4, v5, 0x7fff
	s_delay_alu instid0(VALU_DEP_1) | instskip(NEXT) | instid1(VALU_DEP_1)
	v_lshrrev_b32_e32 v4, 16, v4
	v_cndmask_b32_e32 v3, 0x7fc0, v4, vcc_lo
.LBB166_754:
	s_mov_b32 s26, 0
.LBB166_755:
	s_delay_alu instid0(SALU_CYCLE_1)
	s_and_not1_b32 vcc_lo, exec_lo, s26
	s_cbranch_vccnz .LBB166_775
; %bb.756:
	s_cmp_lt_i32 s0, 2
	s_cbranch_scc1 .LBB166_760
; %bb.757:
	s_cmp_lt_i32 s0, 3
	s_cbranch_scc1 .LBB166_761
; %bb.758:
	s_cmp_gt_i32 s0, 3
	s_cbranch_scc0 .LBB166_762
; %bb.759:
	s_wait_loadcnt 0x0
	global_load_b64 v[4:5], v[0:1], off
	s_mov_b32 s26, 0
	s_wait_loadcnt 0x0
	v_xor_b32_e32 v3, v4, v5
	v_cls_i32_e32 v6, v5
	s_delay_alu instid0(VALU_DEP_2) | instskip(NEXT) | instid1(VALU_DEP_1)
	v_ashrrev_i32_e32 v3, 31, v3
	v_add_nc_u32_e32 v3, 32, v3
	s_delay_alu instid0(VALU_DEP_1) | instskip(NEXT) | instid1(VALU_DEP_1)
	v_add_min_u32_e64 v3, v6, -1, v3
	v_lshlrev_b64_e32 v[4:5], v3, v[4:5]
	v_sub_nc_u32_e32 v3, 32, v3
	s_delay_alu instid0(VALU_DEP_2) | instskip(NEXT) | instid1(VALU_DEP_1)
	v_min_u32_e32 v4, 1, v4
	v_or_b32_e32 v4, v5, v4
	s_delay_alu instid0(VALU_DEP_1) | instskip(NEXT) | instid1(VALU_DEP_1)
	v_cvt_f32_i32_e32 v4, v4
	v_ldexp_f32 v3, v4, v3
	s_delay_alu instid0(VALU_DEP_1) | instskip(NEXT) | instid1(VALU_DEP_1)
	v_bfe_u32 v4, v3, 16, 1
	v_add3_u32 v3, v3, v4, 0x7fff
	s_delay_alu instid0(VALU_DEP_1)
	v_lshrrev_b32_e32 v3, 16, v3
	s_branch .LBB166_763
.LBB166_760:
	s_mov_b32 s26, -1
                                        ; implicit-def: $vgpr3
	s_branch .LBB166_769
.LBB166_761:
	s_mov_b32 s26, -1
                                        ; implicit-def: $vgpr3
	s_branch .LBB166_766
.LBB166_762:
	s_mov_b32 s26, -1
                                        ; implicit-def: $vgpr3
.LBB166_763:
	s_delay_alu instid0(SALU_CYCLE_1)
	s_and_not1_b32 vcc_lo, exec_lo, s26
	s_cbranch_vccnz .LBB166_765
; %bb.764:
	s_wait_loadcnt 0x0
	global_load_b32 v3, v[0:1], off
	s_wait_loadcnt 0x0
	v_cvt_f32_i32_e32 v3, v3
	s_delay_alu instid0(VALU_DEP_1) | instskip(NEXT) | instid1(VALU_DEP_1)
	v_bfe_u32 v4, v3, 16, 1
	v_add3_u32 v3, v3, v4, 0x7fff
	s_delay_alu instid0(VALU_DEP_1)
	v_lshrrev_b32_e32 v3, 16, v3
.LBB166_765:
	s_mov_b32 s26, 0
.LBB166_766:
	s_delay_alu instid0(SALU_CYCLE_1)
	s_and_not1_b32 vcc_lo, exec_lo, s26
	s_cbranch_vccnz .LBB166_768
; %bb.767:
	s_wait_loadcnt 0x0
	global_load_i16 v3, v[0:1], off
	s_wait_loadcnt 0x0
	v_cvt_f32_i32_e32 v3, v3
	s_delay_alu instid0(VALU_DEP_1) | instskip(NEXT) | instid1(VALU_DEP_1)
	v_bfe_u32 v4, v3, 16, 1
	v_add3_u32 v3, v3, v4, 0x7fff
	s_delay_alu instid0(VALU_DEP_1)
	v_lshrrev_b32_e32 v3, 16, v3
.LBB166_768:
	s_mov_b32 s26, 0
.LBB166_769:
	s_delay_alu instid0(SALU_CYCLE_1)
	s_and_not1_b32 vcc_lo, exec_lo, s26
	s_cbranch_vccnz .LBB166_775
; %bb.770:
	s_cmp_gt_i32 s0, 0
	s_mov_b32 s0, 0
	s_cbranch_scc0 .LBB166_772
; %bb.771:
	s_wait_loadcnt 0x0
	global_load_i8 v3, v[0:1], off
	s_wait_loadcnt 0x0
	v_cvt_f32_i32_e32 v3, v3
	s_delay_alu instid0(VALU_DEP_1) | instskip(NEXT) | instid1(VALU_DEP_1)
	v_bfe_u32 v4, v3, 16, 1
	v_add3_u32 v3, v3, v4, 0x7fff
	s_delay_alu instid0(VALU_DEP_1)
	v_lshrrev_b32_e32 v3, 16, v3
	s_branch .LBB166_773
.LBB166_772:
	s_mov_b32 s0, -1
                                        ; implicit-def: $vgpr3
.LBB166_773:
	s_delay_alu instid0(SALU_CYCLE_1)
	s_and_not1_b32 vcc_lo, exec_lo, s0
	s_cbranch_vccnz .LBB166_775
; %bb.774:
	global_load_u8 v0, v[0:1], off
	s_wait_loadcnt 0x0
	v_cvt_f32_ubyte0_e32 v0, v0
	s_delay_alu instid0(VALU_DEP_1) | instskip(NEXT) | instid1(VALU_DEP_1)
	v_bfe_u32 v1, v0, 16, 1
	v_add3_u32 v0, v0, v1, 0x7fff
	s_delay_alu instid0(VALU_DEP_1)
	v_lshrrev_b32_e32 v3, 16, v0
.LBB166_775:
	s_mov_b32 s27, -1
.LBB166_776:
	s_delay_alu instid0(SALU_CYCLE_1)
	s_and_not1_b32 vcc_lo, exec_lo, s27
	s_cbranch_vccnz .LBB166_784
; %bb.777:
	s_wait_xcnt 0x0
	v_mul_lo_u32 v0, v8, s15
	s_and_b32 s0, 0xffff, s1
	s_delay_alu instid0(SALU_CYCLE_1) | instskip(NEXT) | instid1(VALU_DEP_1)
	s_cmp_lt_i32 s0, 11
	v_ashrrev_i32_e32 v1, 31, v0
	s_delay_alu instid0(VALU_DEP_1)
	v_add_nc_u64_e32 v[0:1], s[10:11], v[0:1]
	s_cbranch_scc1 .LBB166_785
; %bb.778:
	s_cmp_gt_i32 s0, 25
	s_cbranch_scc0 .LBB166_786
; %bb.779:
	s_cmp_gt_i32 s0, 28
	s_cbranch_scc0 .LBB166_787
	;; [unrolled: 3-line block ×4, first 2 shown]
; %bb.782:
	s_cmp_eq_u32 s0, 46
	s_mov_b32 s30, 0
	s_cbranch_scc0 .LBB166_792
; %bb.783:
	s_wait_loadcnt 0x0
	global_load_b32 v4, v[0:1], off
	s_mov_b32 s27, -1
	s_mov_b32 s26, 0
	s_branch .LBB166_794
.LBB166_784:
	s_mov_b32 s30, 0
	s_mov_b32 s0, s19
	;; [unrolled: 1-line block ×3, first 2 shown]
	s_branch .LBB166_1033
.LBB166_785:
	s_mov_b32 s30, -1
	s_mov_b32 s27, 0
	s_mov_b32 s26, s21
                                        ; implicit-def: $vgpr4
	s_branch .LBB166_859
.LBB166_786:
	s_mov_b32 s30, -1
	s_mov_b32 s27, 0
	s_mov_b32 s26, s21
                                        ; implicit-def: $vgpr4
	s_branch .LBB166_823
.LBB166_787:
	s_mov_b32 s30, -1
	s_mov_b32 s27, 0
	s_mov_b32 s26, s21
                                        ; implicit-def: $vgpr4
	s_branch .LBB166_804
.LBB166_788:
	s_mov_b32 s30, -1
	s_mov_b32 s27, 0
	s_mov_b32 s26, s21
                                        ; implicit-def: $vgpr4
	s_branch .LBB166_799
.LBB166_789:
	s_mov_b32 s30, -1
	s_mov_b32 s27, 0
	s_mov_b32 s26, s21
	s_branch .LBB166_793
.LBB166_790:
	s_and_not1_saveexec_b32 s29, s29
	s_cbranch_execz .LBB166_434
.LBB166_791:
	v_add_f32_e64 v4, 0x42800000, |v5|
	s_and_not1_b32 s28, s28, exec_lo
	s_delay_alu instid0(VALU_DEP_1) | instskip(NEXT) | instid1(VALU_DEP_1)
	v_and_b32_e32 v4, 0xff, v4
	v_cmp_ne_u32_e32 vcc_lo, 0, v4
	s_and_b32 s30, vcc_lo, exec_lo
	s_delay_alu instid0(SALU_CYCLE_1)
	s_or_b32 s28, s28, s30
	s_or_b32 exec_lo, exec_lo, s29
	v_mov_b32_e32 v6, 0
	s_and_saveexec_b32 s29, s28
	s_cbranch_execnz .LBB166_435
	s_branch .LBB166_436
.LBB166_792:
	s_mov_b32 s26, -1
	s_mov_b32 s27, 0
.LBB166_793:
                                        ; implicit-def: $vgpr4
.LBB166_794:
	s_and_b32 vcc_lo, exec_lo, s30
	s_cbranch_vccz .LBB166_798
; %bb.795:
	s_cmp_eq_u32 s0, 44
	s_cbranch_scc0 .LBB166_797
; %bb.796:
	s_wait_loadcnt 0x0
	global_load_u8 v4, v[0:1], off
	s_mov_b32 s26, 0
	s_mov_b32 s27, -1
	s_wait_loadcnt 0x0
	v_lshlrev_b32_e32 v5, 23, v4
	v_cmp_ne_u32_e32 vcc_lo, 0xff, v4
	s_delay_alu instid0(VALU_DEP_2) | instskip(SKIP_1) | instid1(VALU_DEP_2)
	v_cndmask_b32_e32 v5, 0x7f800001, v5, vcc_lo
	v_cmp_ne_u32_e32 vcc_lo, 0, v4
	v_cndmask_b32_e32 v4, 0x400000, v5, vcc_lo
	s_delay_alu instid0(VALU_DEP_1) | instskip(NEXT) | instid1(VALU_DEP_1)
	v_add_nc_u32_e32 v5, 0x7fff, v4
	v_lshrrev_b32_e32 v5, 16, v5
	v_cmp_o_f32_e32 vcc_lo, v4, v4
	s_delay_alu instid0(VALU_DEP_2)
	v_cndmask_b32_e32 v4, 0x7fc0, v5, vcc_lo
	s_branch .LBB166_798
.LBB166_797:
	s_mov_b32 s26, -1
                                        ; implicit-def: $vgpr4
.LBB166_798:
	s_mov_b32 s30, 0
.LBB166_799:
	s_delay_alu instid0(SALU_CYCLE_1)
	s_and_b32 vcc_lo, exec_lo, s30
	s_cbranch_vccz .LBB166_803
; %bb.800:
	s_cmp_eq_u32 s0, 29
	s_cbranch_scc0 .LBB166_802
; %bb.801:
	s_wait_loadcnt 0x0
	global_load_b64 v[4:5], v[0:1], off
	s_mov_b32 s27, -1
	s_mov_b32 s26, 0
	s_mov_b32 s30, 0
	s_wait_loadcnt 0x0
	v_clz_i32_u32_e32 v6, v5
	s_delay_alu instid0(VALU_DEP_1) | instskip(NEXT) | instid1(VALU_DEP_1)
	v_min_u32_e32 v6, 32, v6
	v_lshlrev_b64_e32 v[4:5], v6, v[4:5]
	s_delay_alu instid0(VALU_DEP_1) | instskip(NEXT) | instid1(VALU_DEP_1)
	v_min_u32_e32 v4, 1, v4
	v_dual_sub_nc_u32 v5, 32, v6 :: v_dual_bitop2_b32 v4, v5, v4 bitop3:0x54
	s_delay_alu instid0(VALU_DEP_1) | instskip(NEXT) | instid1(VALU_DEP_1)
	v_cvt_f32_u32_e32 v4, v4
	v_ldexp_f32 v4, v4, v5
	s_delay_alu instid0(VALU_DEP_1) | instskip(NEXT) | instid1(VALU_DEP_1)
	v_bfe_u32 v5, v4, 16, 1
	v_add3_u32 v4, v4, v5, 0x7fff
	s_delay_alu instid0(VALU_DEP_1)
	v_lshrrev_b32_e32 v4, 16, v4
	s_branch .LBB166_804
.LBB166_802:
	s_mov_b32 s26, -1
                                        ; implicit-def: $vgpr4
.LBB166_803:
	s_mov_b32 s30, 0
.LBB166_804:
	s_delay_alu instid0(SALU_CYCLE_1)
	s_and_b32 vcc_lo, exec_lo, s30
	s_cbranch_vccz .LBB166_822
; %bb.805:
	s_cmp_lt_i32 s0, 27
	s_cbranch_scc1 .LBB166_808
; %bb.806:
	s_cmp_gt_i32 s0, 27
	s_cbranch_scc0 .LBB166_809
; %bb.807:
	s_wait_loadcnt 0x0
	global_load_b32 v4, v[0:1], off
	s_mov_b32 s27, 0
	s_wait_loadcnt 0x0
	v_cvt_f32_u32_e32 v4, v4
	s_delay_alu instid0(VALU_DEP_1) | instskip(NEXT) | instid1(VALU_DEP_1)
	v_bfe_u32 v5, v4, 16, 1
	v_add3_u32 v4, v4, v5, 0x7fff
	s_delay_alu instid0(VALU_DEP_1)
	v_lshrrev_b32_e32 v4, 16, v4
	s_branch .LBB166_810
.LBB166_808:
	s_mov_b32 s27, -1
                                        ; implicit-def: $vgpr4
	s_branch .LBB166_813
.LBB166_809:
	s_mov_b32 s27, -1
                                        ; implicit-def: $vgpr4
.LBB166_810:
	s_delay_alu instid0(SALU_CYCLE_1)
	s_and_not1_b32 vcc_lo, exec_lo, s27
	s_cbranch_vccnz .LBB166_812
; %bb.811:
	s_wait_loadcnt 0x0
	global_load_u16 v4, v[0:1], off
	s_wait_loadcnt 0x0
	v_cvt_f32_u32_e32 v4, v4
	s_delay_alu instid0(VALU_DEP_1) | instskip(NEXT) | instid1(VALU_DEP_1)
	v_bfe_u32 v5, v4, 16, 1
	v_add3_u32 v4, v4, v5, 0x7fff
	s_delay_alu instid0(VALU_DEP_1)
	v_lshrrev_b32_e32 v4, 16, v4
.LBB166_812:
	s_mov_b32 s27, 0
.LBB166_813:
	s_delay_alu instid0(SALU_CYCLE_1)
	s_and_not1_b32 vcc_lo, exec_lo, s27
	s_cbranch_vccnz .LBB166_821
; %bb.814:
	s_wait_loadcnt 0x0
	global_load_u8 v4, v[0:1], off
	s_mov_b32 s27, 0
	s_mov_b32 s30, exec_lo
	s_wait_loadcnt 0x0
	v_cmpx_lt_i16_e32 0x7f, v4
	s_xor_b32 s30, exec_lo, s30
	s_cbranch_execz .LBB166_835
; %bb.815:
	s_mov_b32 s27, -1
	s_mov_b32 s31, exec_lo
	v_cmpx_eq_u16_e32 0x80, v4
; %bb.816:
	s_xor_b32 s27, exec_lo, -1
; %bb.817:
	s_or_b32 exec_lo, exec_lo, s31
	s_delay_alu instid0(SALU_CYCLE_1)
	s_and_b32 s27, s27, exec_lo
	s_or_saveexec_b32 s30, s30
	v_mov_b32_e32 v5, 0x7f800001
	s_xor_b32 exec_lo, exec_lo, s30
	s_cbranch_execnz .LBB166_836
.LBB166_818:
	s_or_b32 exec_lo, exec_lo, s30
	s_and_saveexec_b32 s30, s27
	s_cbranch_execz .LBB166_820
.LBB166_819:
	v_and_b32_e32 v5, 0xffff, v4
	s_delay_alu instid0(VALU_DEP_1) | instskip(SKIP_1) | instid1(VALU_DEP_2)
	v_and_b32_e32 v6, 7, v5
	v_bfe_u32 v10, v5, 3, 4
	v_clz_i32_u32_e32 v7, v6
	s_delay_alu instid0(VALU_DEP_2) | instskip(NEXT) | instid1(VALU_DEP_2)
	v_cmp_eq_u32_e32 vcc_lo, 0, v10
	v_min_u32_e32 v7, 32, v7
	s_delay_alu instid0(VALU_DEP_1) | instskip(NEXT) | instid1(VALU_DEP_1)
	v_subrev_nc_u32_e32 v9, 28, v7
	v_dual_lshlrev_b32 v5, v9, v5 :: v_dual_sub_nc_u32 v7, 29, v7
	s_delay_alu instid0(VALU_DEP_1) | instskip(NEXT) | instid1(VALU_DEP_2)
	v_dual_lshlrev_b32 v4, 24, v4 :: v_dual_bitop2_b32 v5, 7, v5 bitop3:0x40
	v_cndmask_b32_e32 v7, v10, v7, vcc_lo
	s_delay_alu instid0(VALU_DEP_2) | instskip(NEXT) | instid1(VALU_DEP_3)
	v_cndmask_b32_e32 v5, v6, v5, vcc_lo
	v_and_b32_e32 v4, 0x80000000, v4
	s_delay_alu instid0(VALU_DEP_3) | instskip(NEXT) | instid1(VALU_DEP_3)
	v_lshl_add_u32 v6, v7, 23, 0x3b800000
	v_lshlrev_b32_e32 v5, 20, v5
	s_delay_alu instid0(VALU_DEP_1)
	v_or3_b32 v5, v4, v6, v5
.LBB166_820:
	s_or_b32 exec_lo, exec_lo, s30
	s_delay_alu instid0(VALU_DEP_1) | instskip(SKIP_1) | instid1(VALU_DEP_2)
	v_bfe_u32 v4, v5, 16, 1
	v_cmp_o_f32_e32 vcc_lo, v5, v5
	v_add3_u32 v4, v5, v4, 0x7fff
	s_delay_alu instid0(VALU_DEP_1) | instskip(NEXT) | instid1(VALU_DEP_1)
	v_lshrrev_b32_e32 v4, 16, v4
	v_cndmask_b32_e32 v4, 0x7fc0, v4, vcc_lo
.LBB166_821:
	s_mov_b32 s27, -1
.LBB166_822:
	s_mov_b32 s30, 0
.LBB166_823:
	s_delay_alu instid0(SALU_CYCLE_1)
	s_and_b32 vcc_lo, exec_lo, s30
	s_cbranch_vccz .LBB166_858
; %bb.824:
	s_cmp_gt_i32 s0, 22
	s_cbranch_scc0 .LBB166_834
; %bb.825:
	s_cmp_lt_i32 s0, 24
	s_cbranch_scc1 .LBB166_837
; %bb.826:
	s_cmp_gt_i32 s0, 24
	s_cbranch_scc0 .LBB166_838
; %bb.827:
	s_wait_loadcnt 0x0
	global_load_u8 v4, v[0:1], off
	s_mov_b32 s27, 0
	s_mov_b32 s30, exec_lo
	s_wait_loadcnt 0x0
	v_cmpx_lt_i16_e32 0x7f, v4
	s_xor_b32 s30, exec_lo, s30
	s_cbranch_execz .LBB166_850
; %bb.828:
	s_mov_b32 s27, -1
	s_mov_b32 s31, exec_lo
	v_cmpx_eq_u16_e32 0x80, v4
; %bb.829:
	s_xor_b32 s27, exec_lo, -1
; %bb.830:
	s_or_b32 exec_lo, exec_lo, s31
	s_delay_alu instid0(SALU_CYCLE_1)
	s_and_b32 s27, s27, exec_lo
	s_or_saveexec_b32 s30, s30
	v_mov_b32_e32 v5, 0x7f800001
	s_xor_b32 exec_lo, exec_lo, s30
	s_cbranch_execnz .LBB166_851
.LBB166_831:
	s_or_b32 exec_lo, exec_lo, s30
	s_and_saveexec_b32 s30, s27
	s_cbranch_execz .LBB166_833
.LBB166_832:
	v_and_b32_e32 v5, 0xffff, v4
	s_delay_alu instid0(VALU_DEP_1) | instskip(SKIP_1) | instid1(VALU_DEP_2)
	v_and_b32_e32 v6, 3, v5
	v_bfe_u32 v10, v5, 2, 5
	v_clz_i32_u32_e32 v7, v6
	s_delay_alu instid0(VALU_DEP_2) | instskip(NEXT) | instid1(VALU_DEP_2)
	v_cmp_eq_u32_e32 vcc_lo, 0, v10
	v_min_u32_e32 v7, 32, v7
	s_delay_alu instid0(VALU_DEP_1) | instskip(NEXT) | instid1(VALU_DEP_1)
	v_subrev_nc_u32_e32 v9, 29, v7
	v_dual_lshlrev_b32 v5, v9, v5 :: v_dual_sub_nc_u32 v7, 30, v7
	s_delay_alu instid0(VALU_DEP_1) | instskip(NEXT) | instid1(VALU_DEP_2)
	v_dual_lshlrev_b32 v4, 24, v4 :: v_dual_bitop2_b32 v5, 3, v5 bitop3:0x40
	v_cndmask_b32_e32 v7, v10, v7, vcc_lo
	s_delay_alu instid0(VALU_DEP_2) | instskip(NEXT) | instid1(VALU_DEP_3)
	v_cndmask_b32_e32 v5, v6, v5, vcc_lo
	v_and_b32_e32 v4, 0x80000000, v4
	s_delay_alu instid0(VALU_DEP_3) | instskip(NEXT) | instid1(VALU_DEP_3)
	v_lshl_add_u32 v6, v7, 23, 0x37800000
	v_lshlrev_b32_e32 v5, 21, v5
	s_delay_alu instid0(VALU_DEP_1)
	v_or3_b32 v5, v4, v6, v5
.LBB166_833:
	s_or_b32 exec_lo, exec_lo, s30
	s_delay_alu instid0(VALU_DEP_1) | instskip(SKIP_2) | instid1(VALU_DEP_2)
	v_bfe_u32 v4, v5, 16, 1
	v_cmp_o_f32_e32 vcc_lo, v5, v5
	s_mov_b32 s27, 0
	v_add3_u32 v4, v5, v4, 0x7fff
	s_delay_alu instid0(VALU_DEP_1) | instskip(NEXT) | instid1(VALU_DEP_1)
	v_lshrrev_b32_e32 v4, 16, v4
	v_cndmask_b32_e32 v4, 0x7fc0, v4, vcc_lo
	s_branch .LBB166_839
.LBB166_834:
	s_mov_b32 s30, -1
                                        ; implicit-def: $vgpr4
	s_branch .LBB166_845
.LBB166_835:
	s_or_saveexec_b32 s30, s30
	v_mov_b32_e32 v5, 0x7f800001
	s_xor_b32 exec_lo, exec_lo, s30
	s_cbranch_execz .LBB166_818
.LBB166_836:
	v_cmp_ne_u16_e32 vcc_lo, 0, v4
	v_mov_b32_e32 v5, 0
	s_and_not1_b32 s27, s27, exec_lo
	s_and_b32 s31, vcc_lo, exec_lo
	s_delay_alu instid0(SALU_CYCLE_1)
	s_or_b32 s27, s27, s31
	s_or_b32 exec_lo, exec_lo, s30
	s_and_saveexec_b32 s30, s27
	s_cbranch_execnz .LBB166_819
	s_branch .LBB166_820
.LBB166_837:
	s_mov_b32 s27, -1
                                        ; implicit-def: $vgpr4
	s_branch .LBB166_842
.LBB166_838:
	s_mov_b32 s27, -1
                                        ; implicit-def: $vgpr4
.LBB166_839:
	s_delay_alu instid0(SALU_CYCLE_1)
	s_and_b32 vcc_lo, exec_lo, s27
	s_cbranch_vccz .LBB166_841
; %bb.840:
	s_wait_loadcnt 0x0
	global_load_u8 v4, v[0:1], off
	s_wait_loadcnt 0x0
	v_lshlrev_b32_e32 v4, 24, v4
	s_delay_alu instid0(VALU_DEP_1) | instskip(NEXT) | instid1(VALU_DEP_1)
	v_and_b32_e32 v5, 0x7f000000, v4
	v_clz_i32_u32_e32 v6, v5
	v_add_nc_u32_e32 v9, 0x1000000, v5
	v_cmp_ne_u32_e32 vcc_lo, 0, v5
	s_delay_alu instid0(VALU_DEP_3) | instskip(NEXT) | instid1(VALU_DEP_1)
	v_min_u32_e32 v6, 32, v6
	v_sub_nc_u32_e64 v6, v6, 4 clamp
	s_delay_alu instid0(VALU_DEP_1) | instskip(NEXT) | instid1(VALU_DEP_1)
	v_dual_lshlrev_b32 v7, v6, v5 :: v_dual_lshlrev_b32 v6, 23, v6
	v_lshrrev_b32_e32 v7, 4, v7
	s_delay_alu instid0(VALU_DEP_1) | instskip(NEXT) | instid1(VALU_DEP_1)
	v_dual_sub_nc_u32 v6, v7, v6 :: v_dual_ashrrev_i32 v7, 8, v9
	v_add_nc_u32_e32 v6, 0x3c000000, v6
	s_delay_alu instid0(VALU_DEP_1) | instskip(NEXT) | instid1(VALU_DEP_1)
	v_and_or_b32 v6, 0x7f800000, v7, v6
	v_cndmask_b32_e32 v5, 0, v6, vcc_lo
	s_delay_alu instid0(VALU_DEP_1) | instskip(SKIP_1) | instid1(VALU_DEP_2)
	v_and_or_b32 v4, 0x80000000, v4, v5
	v_bfe_u32 v5, v5, 16, 1
	v_cmp_o_f32_e32 vcc_lo, v4, v4
	s_delay_alu instid0(VALU_DEP_2) | instskip(NEXT) | instid1(VALU_DEP_1)
	v_add3_u32 v5, v4, v5, 0x7fff
	v_lshrrev_b32_e32 v5, 16, v5
	s_delay_alu instid0(VALU_DEP_1)
	v_cndmask_b32_e32 v4, 0x7fc0, v5, vcc_lo
.LBB166_841:
	s_mov_b32 s27, 0
.LBB166_842:
	s_delay_alu instid0(SALU_CYCLE_1)
	s_and_not1_b32 vcc_lo, exec_lo, s27
	s_cbranch_vccnz .LBB166_844
; %bb.843:
	s_wait_loadcnt 0x0
	global_load_u8 v4, v[0:1], off
	s_wait_loadcnt 0x0
	v_lshlrev_b32_e32 v5, 25, v4
	v_lshlrev_b16 v4, 8, v4
	s_delay_alu instid0(VALU_DEP_1) | instskip(SKIP_1) | instid1(VALU_DEP_2)
	v_and_or_b32 v7, 0x7f00, v4, 0.5
	v_bfe_i32 v4, v4, 0, 16
	v_dual_add_f32 v7, -0.5, v7 :: v_dual_lshrrev_b32 v6, 4, v5
	v_cmp_gt_u32_e32 vcc_lo, 0x8000000, v5
	s_delay_alu instid0(VALU_DEP_2) | instskip(NEXT) | instid1(VALU_DEP_1)
	v_or_b32_e32 v6, 0x70000000, v6
	v_mul_f32_e32 v6, 0x7800000, v6
	s_delay_alu instid0(VALU_DEP_1) | instskip(NEXT) | instid1(VALU_DEP_1)
	v_cndmask_b32_e32 v5, v6, v7, vcc_lo
	v_and_or_b32 v4, 0x80000000, v4, v5
	v_bfe_u32 v5, v5, 16, 1
	s_delay_alu instid0(VALU_DEP_2) | instskip(NEXT) | instid1(VALU_DEP_2)
	v_cmp_o_f32_e32 vcc_lo, v4, v4
	v_add3_u32 v5, v4, v5, 0x7fff
	s_delay_alu instid0(VALU_DEP_1) | instskip(NEXT) | instid1(VALU_DEP_1)
	v_lshrrev_b32_e32 v5, 16, v5
	v_cndmask_b32_e32 v4, 0x7fc0, v5, vcc_lo
.LBB166_844:
	s_mov_b32 s30, 0
	s_mov_b32 s27, -1
.LBB166_845:
	s_and_not1_b32 vcc_lo, exec_lo, s30
	s_cbranch_vccnz .LBB166_858
; %bb.846:
	s_cmp_gt_i32 s0, 14
	s_cbranch_scc0 .LBB166_849
; %bb.847:
	s_cmp_eq_u32 s0, 15
	s_cbranch_scc0 .LBB166_852
; %bb.848:
	s_wait_loadcnt 0x0
	global_load_u16 v4, v[0:1], off
	s_mov_b32 s27, -1
	s_mov_b32 s26, 0
	s_branch .LBB166_853
.LBB166_849:
	s_mov_b32 s30, -1
                                        ; implicit-def: $vgpr4
	s_branch .LBB166_854
.LBB166_850:
	s_or_saveexec_b32 s30, s30
	v_mov_b32_e32 v5, 0x7f800001
	s_xor_b32 exec_lo, exec_lo, s30
	s_cbranch_execz .LBB166_831
.LBB166_851:
	v_cmp_ne_u16_e32 vcc_lo, 0, v4
	v_mov_b32_e32 v5, 0
	s_and_not1_b32 s27, s27, exec_lo
	s_and_b32 s31, vcc_lo, exec_lo
	s_delay_alu instid0(SALU_CYCLE_1)
	s_or_b32 s27, s27, s31
	s_or_b32 exec_lo, exec_lo, s30
	s_and_saveexec_b32 s30, s27
	s_cbranch_execnz .LBB166_832
	s_branch .LBB166_833
.LBB166_852:
	s_mov_b32 s26, -1
                                        ; implicit-def: $vgpr4
.LBB166_853:
	s_mov_b32 s30, 0
.LBB166_854:
	s_delay_alu instid0(SALU_CYCLE_1)
	s_and_b32 vcc_lo, exec_lo, s30
	s_cbranch_vccz .LBB166_858
; %bb.855:
	s_cmp_eq_u32 s0, 11
	s_cbranch_scc0 .LBB166_857
; %bb.856:
	s_wait_loadcnt 0x0
	global_load_u8 v4, v[0:1], off
	s_mov_b32 s26, 0
	s_mov_b32 s27, -1
	s_wait_loadcnt 0x0
	v_cmp_ne_u16_e32 vcc_lo, 0, v4
	v_cndmask_b32_e64 v4, 0, 1.0, vcc_lo
	s_delay_alu instid0(VALU_DEP_1)
	v_lshrrev_b32_e32 v4, 16, v4
	s_branch .LBB166_858
.LBB166_857:
	s_mov_b32 s26, -1
                                        ; implicit-def: $vgpr4
.LBB166_858:
	s_mov_b32 s30, 0
.LBB166_859:
	s_delay_alu instid0(SALU_CYCLE_1)
	s_and_b32 vcc_lo, exec_lo, s30
	s_cbranch_vccz .LBB166_908
; %bb.860:
	s_cmp_lt_i32 s0, 5
	s_cbranch_scc1 .LBB166_865
; %bb.861:
	s_cmp_lt_i32 s0, 8
	s_cbranch_scc1 .LBB166_866
	;; [unrolled: 3-line block ×3, first 2 shown]
; %bb.863:
	s_cmp_gt_i32 s0, 9
	s_cbranch_scc0 .LBB166_868
; %bb.864:
	s_wait_loadcnt 0x0
	global_load_b64 v[4:5], v[0:1], off
	s_mov_b32 s27, 0
	s_wait_loadcnt 0x0
	v_cvt_f32_f64_e32 v4, v[4:5]
	s_delay_alu instid0(VALU_DEP_1) | instskip(SKIP_1) | instid1(VALU_DEP_2)
	v_bfe_u32 v5, v4, 16, 1
	v_cmp_o_f32_e32 vcc_lo, v4, v4
	v_add3_u32 v5, v4, v5, 0x7fff
	s_delay_alu instid0(VALU_DEP_1) | instskip(NEXT) | instid1(VALU_DEP_1)
	v_lshrrev_b32_e32 v5, 16, v5
	v_cndmask_b32_e32 v4, 0x7fc0, v5, vcc_lo
	s_branch .LBB166_869
.LBB166_865:
	s_mov_b32 s27, -1
                                        ; implicit-def: $vgpr4
	s_branch .LBB166_887
.LBB166_866:
	s_mov_b32 s27, -1
                                        ; implicit-def: $vgpr4
	s_branch .LBB166_875
.LBB166_867:
	s_mov_b32 s27, -1
                                        ; implicit-def: $vgpr4
	s_branch .LBB166_872
.LBB166_868:
	s_mov_b32 s27, -1
                                        ; implicit-def: $vgpr4
.LBB166_869:
	s_delay_alu instid0(SALU_CYCLE_1)
	s_and_not1_b32 vcc_lo, exec_lo, s27
	s_cbranch_vccnz .LBB166_871
; %bb.870:
	s_wait_loadcnt 0x0
	global_load_b32 v4, v[0:1], off
	s_wait_loadcnt 0x0
	v_bfe_u32 v5, v4, 16, 1
	v_cmp_o_f32_e32 vcc_lo, v4, v4
	s_delay_alu instid0(VALU_DEP_2) | instskip(NEXT) | instid1(VALU_DEP_1)
	v_add3_u32 v5, v4, v5, 0x7fff
	v_lshrrev_b32_e32 v5, 16, v5
	s_delay_alu instid0(VALU_DEP_1)
	v_cndmask_b32_e32 v4, 0x7fc0, v5, vcc_lo
.LBB166_871:
	s_mov_b32 s27, 0
.LBB166_872:
	s_delay_alu instid0(SALU_CYCLE_1)
	s_and_not1_b32 vcc_lo, exec_lo, s27
	s_cbranch_vccnz .LBB166_874
; %bb.873:
	s_wait_loadcnt 0x0
	global_load_b32 v4, v[0:1], off
	s_wait_loadcnt 0x0
	v_cvt_f32_f16_e32 v5, v4
	v_cmp_o_f16_e32 vcc_lo, v4, v4
	s_delay_alu instid0(VALU_DEP_2) | instskip(NEXT) | instid1(VALU_DEP_1)
	v_bfe_u32 v6, v5, 16, 1
	v_add3_u32 v5, v5, v6, 0x7fff
	s_delay_alu instid0(VALU_DEP_1) | instskip(NEXT) | instid1(VALU_DEP_1)
	v_lshrrev_b32_e32 v5, 16, v5
	v_cndmask_b32_e32 v4, 0x7fc0, v5, vcc_lo
.LBB166_874:
	s_mov_b32 s27, 0
.LBB166_875:
	s_delay_alu instid0(SALU_CYCLE_1)
	s_and_not1_b32 vcc_lo, exec_lo, s27
	s_cbranch_vccnz .LBB166_886
; %bb.876:
	s_cmp_lt_i32 s0, 6
	s_cbranch_scc1 .LBB166_879
; %bb.877:
	s_cmp_gt_i32 s0, 6
	s_cbranch_scc0 .LBB166_880
; %bb.878:
	s_wait_loadcnt 0x0
	global_load_b64 v[4:5], v[0:1], off
	s_mov_b32 s27, 0
	s_wait_loadcnt 0x0
	v_cvt_f32_f64_e32 v4, v[4:5]
	s_delay_alu instid0(VALU_DEP_1) | instskip(SKIP_1) | instid1(VALU_DEP_2)
	v_bfe_u32 v5, v4, 16, 1
	v_cmp_o_f32_e32 vcc_lo, v4, v4
	v_add3_u32 v5, v4, v5, 0x7fff
	s_delay_alu instid0(VALU_DEP_1) | instskip(NEXT) | instid1(VALU_DEP_1)
	v_lshrrev_b32_e32 v5, 16, v5
	v_cndmask_b32_e32 v4, 0x7fc0, v5, vcc_lo
	s_branch .LBB166_881
.LBB166_879:
	s_mov_b32 s27, -1
                                        ; implicit-def: $vgpr4
	s_branch .LBB166_884
.LBB166_880:
	s_mov_b32 s27, -1
                                        ; implicit-def: $vgpr4
.LBB166_881:
	s_delay_alu instid0(SALU_CYCLE_1)
	s_and_not1_b32 vcc_lo, exec_lo, s27
	s_cbranch_vccnz .LBB166_883
; %bb.882:
	s_wait_loadcnt 0x0
	global_load_b32 v4, v[0:1], off
	s_wait_loadcnt 0x0
	v_bfe_u32 v5, v4, 16, 1
	v_cmp_o_f32_e32 vcc_lo, v4, v4
	s_delay_alu instid0(VALU_DEP_2) | instskip(NEXT) | instid1(VALU_DEP_1)
	v_add3_u32 v5, v4, v5, 0x7fff
	v_lshrrev_b32_e32 v5, 16, v5
	s_delay_alu instid0(VALU_DEP_1)
	v_cndmask_b32_e32 v4, 0x7fc0, v5, vcc_lo
.LBB166_883:
	s_mov_b32 s27, 0
.LBB166_884:
	s_delay_alu instid0(SALU_CYCLE_1)
	s_and_not1_b32 vcc_lo, exec_lo, s27
	s_cbranch_vccnz .LBB166_886
; %bb.885:
	s_wait_loadcnt 0x0
	global_load_u16 v4, v[0:1], off
	s_wait_loadcnt 0x0
	v_cvt_f32_f16_e32 v5, v4
	v_cmp_o_f16_e32 vcc_lo, v4, v4
	s_delay_alu instid0(VALU_DEP_2) | instskip(NEXT) | instid1(VALU_DEP_1)
	v_bfe_u32 v6, v5, 16, 1
	v_add3_u32 v5, v5, v6, 0x7fff
	s_delay_alu instid0(VALU_DEP_1) | instskip(NEXT) | instid1(VALU_DEP_1)
	v_lshrrev_b32_e32 v5, 16, v5
	v_cndmask_b32_e32 v4, 0x7fc0, v5, vcc_lo
.LBB166_886:
	s_mov_b32 s27, 0
.LBB166_887:
	s_delay_alu instid0(SALU_CYCLE_1)
	s_and_not1_b32 vcc_lo, exec_lo, s27
	s_cbranch_vccnz .LBB166_907
; %bb.888:
	s_cmp_lt_i32 s0, 2
	s_cbranch_scc1 .LBB166_892
; %bb.889:
	s_cmp_lt_i32 s0, 3
	s_cbranch_scc1 .LBB166_893
; %bb.890:
	s_cmp_gt_i32 s0, 3
	s_cbranch_scc0 .LBB166_894
; %bb.891:
	s_wait_loadcnt 0x0
	global_load_b64 v[4:5], v[0:1], off
	s_mov_b32 s27, 0
	s_wait_loadcnt 0x0
	v_xor_b32_e32 v6, v4, v5
	v_cls_i32_e32 v7, v5
	s_delay_alu instid0(VALU_DEP_2) | instskip(NEXT) | instid1(VALU_DEP_1)
	v_ashrrev_i32_e32 v6, 31, v6
	v_add_nc_u32_e32 v6, 32, v6
	s_delay_alu instid0(VALU_DEP_1) | instskip(NEXT) | instid1(VALU_DEP_1)
	v_add_min_u32_e64 v6, v7, -1, v6
	v_lshlrev_b64_e32 v[4:5], v6, v[4:5]
	s_delay_alu instid0(VALU_DEP_1) | instskip(NEXT) | instid1(VALU_DEP_1)
	v_min_u32_e32 v4, 1, v4
	v_dual_sub_nc_u32 v5, 32, v6 :: v_dual_bitop2_b32 v4, v5, v4 bitop3:0x54
	s_delay_alu instid0(VALU_DEP_1) | instskip(NEXT) | instid1(VALU_DEP_1)
	v_cvt_f32_i32_e32 v4, v4
	v_ldexp_f32 v4, v4, v5
	s_delay_alu instid0(VALU_DEP_1) | instskip(NEXT) | instid1(VALU_DEP_1)
	v_bfe_u32 v5, v4, 16, 1
	v_add3_u32 v4, v4, v5, 0x7fff
	s_delay_alu instid0(VALU_DEP_1)
	v_lshrrev_b32_e32 v4, 16, v4
	s_branch .LBB166_895
.LBB166_892:
	s_mov_b32 s27, -1
                                        ; implicit-def: $vgpr4
	s_branch .LBB166_901
.LBB166_893:
	s_mov_b32 s27, -1
                                        ; implicit-def: $vgpr4
	s_branch .LBB166_898
.LBB166_894:
	s_mov_b32 s27, -1
                                        ; implicit-def: $vgpr4
.LBB166_895:
	s_delay_alu instid0(SALU_CYCLE_1)
	s_and_not1_b32 vcc_lo, exec_lo, s27
	s_cbranch_vccnz .LBB166_897
; %bb.896:
	s_wait_loadcnt 0x0
	global_load_b32 v4, v[0:1], off
	s_wait_loadcnt 0x0
	v_cvt_f32_i32_e32 v4, v4
	s_delay_alu instid0(VALU_DEP_1) | instskip(NEXT) | instid1(VALU_DEP_1)
	v_bfe_u32 v5, v4, 16, 1
	v_add3_u32 v4, v4, v5, 0x7fff
	s_delay_alu instid0(VALU_DEP_1)
	v_lshrrev_b32_e32 v4, 16, v4
.LBB166_897:
	s_mov_b32 s27, 0
.LBB166_898:
	s_delay_alu instid0(SALU_CYCLE_1)
	s_and_not1_b32 vcc_lo, exec_lo, s27
	s_cbranch_vccnz .LBB166_900
; %bb.899:
	s_wait_loadcnt 0x0
	global_load_i16 v4, v[0:1], off
	s_wait_loadcnt 0x0
	v_cvt_f32_i32_e32 v4, v4
	s_delay_alu instid0(VALU_DEP_1) | instskip(NEXT) | instid1(VALU_DEP_1)
	v_bfe_u32 v5, v4, 16, 1
	v_add3_u32 v4, v4, v5, 0x7fff
	s_delay_alu instid0(VALU_DEP_1)
	v_lshrrev_b32_e32 v4, 16, v4
.LBB166_900:
	s_mov_b32 s27, 0
.LBB166_901:
	s_delay_alu instid0(SALU_CYCLE_1)
	s_and_not1_b32 vcc_lo, exec_lo, s27
	s_cbranch_vccnz .LBB166_907
; %bb.902:
	s_cmp_gt_i32 s0, 0
	s_mov_b32 s0, 0
	s_cbranch_scc0 .LBB166_904
; %bb.903:
	s_wait_loadcnt 0x0
	global_load_i8 v4, v[0:1], off
	s_wait_loadcnt 0x0
	v_cvt_f32_i32_e32 v4, v4
	s_delay_alu instid0(VALU_DEP_1) | instskip(NEXT) | instid1(VALU_DEP_1)
	v_bfe_u32 v5, v4, 16, 1
	v_add3_u32 v4, v4, v5, 0x7fff
	s_delay_alu instid0(VALU_DEP_1)
	v_lshrrev_b32_e32 v4, 16, v4
	s_branch .LBB166_905
.LBB166_904:
	s_mov_b32 s0, -1
                                        ; implicit-def: $vgpr4
.LBB166_905:
	s_delay_alu instid0(SALU_CYCLE_1)
	s_and_not1_b32 vcc_lo, exec_lo, s0
	s_cbranch_vccnz .LBB166_907
; %bb.906:
	global_load_u8 v0, v[0:1], off
	s_wait_loadcnt 0x0
	v_cvt_f32_ubyte0_e32 v0, v0
	s_delay_alu instid0(VALU_DEP_1) | instskip(NEXT) | instid1(VALU_DEP_1)
	v_bfe_u32 v1, v0, 16, 1
	v_add3_u32 v0, v0, v1, 0x7fff
	s_delay_alu instid0(VALU_DEP_1)
	v_lshrrev_b32_e32 v4, 16, v0
.LBB166_907:
	s_mov_b32 s27, -1
.LBB166_908:
	s_delay_alu instid0(SALU_CYCLE_1)
	s_and_not1_b32 vcc_lo, exec_lo, s27
	s_cbranch_vccnz .LBB166_916
; %bb.909:
	s_wait_loadcnt 0x0
	v_dual_lshlrev_b32 v5, 16, v3 :: v_dual_lshlrev_b32 v6, 16, v2
	s_wait_xcnt 0x0
	v_mul_lo_u32 v0, v8, s12
	s_and_b32 s27, s2, 0xff
	v_lshlrev_b32_e32 v7, 16, v4
	s_cmp_lt_i32 s27, 11
	v_cmp_gt_f32_e32 vcc_lo, v6, v5
	v_cndmask_b32_e32 v1, v3, v2, vcc_lo
	s_delay_alu instid0(VALU_DEP_1) | instskip(NEXT) | instid1(VALU_DEP_1)
	v_lshlrev_b32_e32 v9, 16, v1
	v_cmp_lt_f32_e32 vcc_lo, v9, v7
	v_cndmask_b32_e32 v1, v4, v1, vcc_lo
	v_cmp_u_f32_e32 vcc_lo, v7, v7
	s_delay_alu instid0(VALU_DEP_2) | instskip(SKIP_1) | instid1(VALU_DEP_2)
	v_cndmask_b32_e32 v4, v1, v4, vcc_lo
	v_cmp_u_f32_e32 vcc_lo, v5, v5
	v_dual_ashrrev_i32 v1, 31, v0 :: v_dual_cndmask_b32 v3, v4, v3, vcc_lo
	v_cmp_u_f32_e32 vcc_lo, v6, v6
	s_delay_alu instid0(VALU_DEP_2) | instskip(NEXT) | instid1(VALU_DEP_3)
	v_add_nc_u64_e32 v[0:1], s[4:5], v[0:1]
	v_cndmask_b32_e32 v2, v3, v2, vcc_lo
	s_cbranch_scc1 .LBB166_917
; %bb.910:
	s_and_b32 s30, 0xffff, s27
	s_delay_alu instid0(SALU_CYCLE_1)
	s_cmp_gt_i32 s30, 25
	s_cbranch_scc0 .LBB166_918
; %bb.911:
	s_cmp_gt_i32 s30, 28
	s_cbranch_scc0 .LBB166_919
; %bb.912:
	;; [unrolled: 3-line block ×4, first 2 shown]
	s_mov_b32 s33, 0
	s_mov_b32 s0, -1
	s_cmp_eq_u32 s30, 46
	s_mov_b32 s31, 0
	s_cbranch_scc0 .LBB166_922
; %bb.915:
	v_and_b32_e32 v3, 0xffff, v2
	s_mov_b32 s31, -1
	s_mov_b32 s0, 0
	global_store_b32 v[0:1], v3, off
	s_branch .LBB166_922
.LBB166_916:
	s_mov_b32 s30, 0
	s_mov_b32 s0, s19
	s_branch .LBB166_1033
.LBB166_917:
	s_mov_b32 s30, -1
	s_mov_b32 s31, 0
	s_mov_b32 s0, s19
	s_branch .LBB166_991
.LBB166_918:
	s_mov_b32 s33, -1
	s_mov_b32 s31, 0
	s_mov_b32 s0, s19
	s_branch .LBB166_949
.LBB166_919:
	s_mov_b32 s33, -1
	s_mov_b32 s31, 0
	s_mov_b32 s0, s19
	s_branch .LBB166_932
.LBB166_920:
	s_mov_b32 s33, -1
	s_mov_b32 s31, 0
	s_mov_b32 s0, s19
	s_branch .LBB166_928
.LBB166_921:
	s_mov_b32 s33, -1
	s_mov_b32 s31, 0
	s_mov_b32 s0, s19
.LBB166_922:
	s_and_b32 vcc_lo, exec_lo, s33
	s_cbranch_vccz .LBB166_927
; %bb.923:
	s_cmp_eq_u32 s30, 44
	s_mov_b32 s0, -1
	s_cbranch_scc0 .LBB166_927
; %bb.924:
	s_wait_xcnt 0x0
	v_and_b32_e32 v3, 0xffff, v2
	v_mov_b32_e32 v4, 0xff
	s_mov_b32 s31, exec_lo
	s_delay_alu instid0(VALU_DEP_2) | instskip(NEXT) | instid1(VALU_DEP_1)
	v_bfe_u32 v5, v3, 7, 8
	v_cmpx_ne_u32_e32 0xff, v5
	s_cbranch_execz .LBB166_926
; %bb.925:
	v_dual_lshlrev_b32 v4, 16, v3 :: v_dual_bitop2_b32 v6, 64, v3 bitop3:0x40
	v_lshrrev_b32_e32 v3, 7, v3
	s_delay_alu instid0(VALU_DEP_2) | instskip(NEXT) | instid1(VALU_DEP_3)
	v_and_or_b32 v4, 0x3f0000, v4, v5
	v_cmp_ne_u32_e32 vcc_lo, 0, v6
	s_delay_alu instid0(VALU_DEP_2) | instskip(SKIP_1) | instid1(SALU_CYCLE_1)
	v_cmp_ne_u32_e64 s0, 0, v4
	s_and_b32 s0, vcc_lo, s0
	v_cndmask_b32_e64 v4, 0, 1, s0
	s_delay_alu instid0(VALU_DEP_1)
	v_add_nc_u32_e32 v4, v3, v4
.LBB166_926:
	s_or_b32 exec_lo, exec_lo, s31
	s_mov_b32 s31, -1
	s_mov_b32 s0, 0
	global_store_b8 v[0:1], v4, off
.LBB166_927:
	s_mov_b32 s33, 0
.LBB166_928:
	s_delay_alu instid0(SALU_CYCLE_1)
	s_and_b32 vcc_lo, exec_lo, s33
	s_cbranch_vccz .LBB166_931
; %bb.929:
	s_cmp_eq_u32 s30, 29
	s_mov_b32 s0, -1
	s_cbranch_scc0 .LBB166_931
; %bb.930:
	s_wait_xcnt 0x0
	v_lshlrev_b32_e32 v3, 16, v2
	s_mov_b32 s31, -1
	s_mov_b32 s0, 0
	s_mov_b32 s33, 0
	s_delay_alu instid0(VALU_DEP_1) | instskip(NEXT) | instid1(VALU_DEP_1)
	v_trunc_f32_e32 v3, v3
	v_mul_f32_e32 v4, 0x2f800000, v3
	s_delay_alu instid0(VALU_DEP_1) | instskip(NEXT) | instid1(VALU_DEP_1)
	v_floor_f32_e32 v4, v4
	v_fmamk_f32 v3, v4, 0xcf800000, v3
	v_cvt_u32_f32_e32 v5, v4
	s_delay_alu instid0(VALU_DEP_2)
	v_cvt_u32_f32_e32 v4, v3
	global_store_b64 v[0:1], v[4:5], off
	s_branch .LBB166_932
.LBB166_931:
	s_mov_b32 s33, 0
.LBB166_932:
	s_delay_alu instid0(SALU_CYCLE_1)
	s_and_b32 vcc_lo, exec_lo, s33
	s_cbranch_vccz .LBB166_948
; %bb.933:
	s_cmp_lt_i32 s30, 27
	s_mov_b32 s31, -1
	s_cbranch_scc1 .LBB166_939
; %bb.934:
	s_cmp_gt_i32 s30, 27
	s_cbranch_scc0 .LBB166_936
; %bb.935:
	s_wait_xcnt 0x0
	v_lshlrev_b32_e32 v3, 16, v2
	s_mov_b32 s31, 0
	s_delay_alu instid0(VALU_DEP_1)
	v_cvt_u32_f32_e32 v3, v3
	global_store_b32 v[0:1], v3, off
.LBB166_936:
	s_and_not1_b32 vcc_lo, exec_lo, s31
	s_cbranch_vccnz .LBB166_938
; %bb.937:
	s_wait_xcnt 0x0
	v_lshlrev_b32_e32 v3, 16, v2
	s_delay_alu instid0(VALU_DEP_1)
	v_cvt_u32_f32_e32 v3, v3
	global_store_b16 v[0:1], v3, off
.LBB166_938:
	s_mov_b32 s31, 0
.LBB166_939:
	s_delay_alu instid0(SALU_CYCLE_1)
	s_and_not1_b32 vcc_lo, exec_lo, s31
	s_cbranch_vccnz .LBB166_947
; %bb.940:
	s_wait_xcnt 0x0
	v_dual_mov_b32 v6, 0x80 :: v_dual_lshlrev_b32 v5, 16, v2
	s_mov_b32 s31, exec_lo
	s_delay_alu instid0(VALU_DEP_1) | instskip(NEXT) | instid1(VALU_DEP_1)
	v_and_b32_e32 v4, 0x7fffffff, v5
	v_cmpx_gt_u32_e32 0x43800000, v4
	s_cbranch_execz .LBB166_946
; %bb.941:
	v_and_b32_e32 v3, 0xffff, v2
	v_cmp_lt_u32_e32 vcc_lo, 0x3bffffff, v4
	s_mov_b32 s33, 0
                                        ; implicit-def: $vgpr4
	s_and_saveexec_b32 s34, vcc_lo
	s_delay_alu instid0(SALU_CYCLE_1)
	s_xor_b32 s34, exec_lo, s34
	s_cbranch_execz .LBB166_1179
; %bb.942:
	v_bfe_u32 v4, v3, 4, 1
	s_mov_b32 s33, exec_lo
	s_delay_alu instid0(VALU_DEP_1) | instskip(NEXT) | instid1(VALU_DEP_1)
	v_add3_u32 v4, v5, v4, 0x487ffff
                                        ; implicit-def: $vgpr5
	v_lshrrev_b32_e32 v4, 20, v4
	s_and_not1_saveexec_b32 s34, s34
	s_cbranch_execnz .LBB166_1180
.LBB166_943:
	s_or_b32 exec_lo, exec_lo, s34
	v_mov_b32_e32 v6, 0
	s_and_saveexec_b32 s34, s33
.LBB166_944:
	v_lshrrev_b32_e32 v3, 8, v3
	s_delay_alu instid0(VALU_DEP_1)
	v_and_or_b32 v6, 0x80, v3, v4
.LBB166_945:
	s_or_b32 exec_lo, exec_lo, s34
.LBB166_946:
	s_delay_alu instid0(SALU_CYCLE_1)
	s_or_b32 exec_lo, exec_lo, s31
	global_store_b8 v[0:1], v6, off
.LBB166_947:
	s_mov_b32 s31, -1
.LBB166_948:
	s_mov_b32 s33, 0
.LBB166_949:
	s_delay_alu instid0(SALU_CYCLE_1)
	s_and_b32 vcc_lo, exec_lo, s33
	s_cbranch_vccz .LBB166_990
; %bb.950:
	s_cmp_gt_i32 s30, 22
	s_mov_b32 s33, -1
	s_cbranch_scc0 .LBB166_982
; %bb.951:
	s_cmp_lt_i32 s30, 24
	s_mov_b32 s31, -1
	s_cbranch_scc1 .LBB166_971
; %bb.952:
	s_cmp_gt_i32 s30, 24
	s_cbranch_scc0 .LBB166_960
; %bb.953:
	s_wait_xcnt 0x0
	v_dual_mov_b32 v6, 0x80 :: v_dual_lshlrev_b32 v5, 16, v2
	s_mov_b32 s31, exec_lo
	s_delay_alu instid0(VALU_DEP_1) | instskip(NEXT) | instid1(VALU_DEP_1)
	v_and_b32_e32 v4, 0x7fffffff, v5
	v_cmpx_gt_u32_e32 0x47800000, v4
	s_cbranch_execz .LBB166_959
; %bb.954:
	v_and_b32_e32 v3, 0xffff, v2
	v_cmp_lt_u32_e32 vcc_lo, 0x37ffffff, v4
	s_mov_b32 s33, 0
                                        ; implicit-def: $vgpr4
	s_and_saveexec_b32 s34, vcc_lo
	s_delay_alu instid0(SALU_CYCLE_1)
	s_xor_b32 s34, exec_lo, s34
	s_cbranch_execz .LBB166_1311
; %bb.955:
	v_bfe_u32 v4, v3, 5, 1
	s_mov_b32 s33, exec_lo
	s_delay_alu instid0(VALU_DEP_1) | instskip(NEXT) | instid1(VALU_DEP_1)
	v_add3_u32 v4, v5, v4, 0x88fffff
                                        ; implicit-def: $vgpr5
	v_lshrrev_b32_e32 v4, 21, v4
	s_and_not1_saveexec_b32 s34, s34
	s_cbranch_execnz .LBB166_1312
.LBB166_956:
	s_or_b32 exec_lo, exec_lo, s34
	v_mov_b32_e32 v6, 0
	s_and_saveexec_b32 s34, s33
.LBB166_957:
	v_lshrrev_b32_e32 v3, 8, v3
	s_delay_alu instid0(VALU_DEP_1)
	v_and_or_b32 v6, 0x80, v3, v4
.LBB166_958:
	s_or_b32 exec_lo, exec_lo, s34
.LBB166_959:
	s_delay_alu instid0(SALU_CYCLE_1)
	s_or_b32 exec_lo, exec_lo, s31
	s_mov_b32 s31, 0
	global_store_b8 v[0:1], v6, off
.LBB166_960:
	s_and_b32 vcc_lo, exec_lo, s31
	s_cbranch_vccz .LBB166_970
; %bb.961:
	s_wait_xcnt 0x0
	v_lshlrev_b32_e32 v5, 16, v2
	v_and_b32_e32 v3, 0xffff, v2
	s_mov_b32 s31, exec_lo
                                        ; implicit-def: $vgpr4
	s_delay_alu instid0(VALU_DEP_2) | instskip(NEXT) | instid1(VALU_DEP_1)
	v_and_b32_e32 v6, 0x7fffffff, v5
	v_cmpx_gt_u32_e32 0x43f00000, v6
	s_xor_b32 s31, exec_lo, s31
	s_cbranch_execz .LBB166_967
; %bb.962:
	s_mov_b32 s33, exec_lo
                                        ; implicit-def: $vgpr4
	v_cmpx_lt_u32_e32 0x3c7fffff, v6
	s_xor_b32 s33, exec_lo, s33
; %bb.963:
	v_bfe_u32 v4, v3, 4, 1
	s_delay_alu instid0(VALU_DEP_1) | instskip(NEXT) | instid1(VALU_DEP_1)
	v_add3_u32 v4, v5, v4, 0x407ffff
	v_and_b32_e32 v5, 0xff00000, v4
	v_lshrrev_b32_e32 v4, 20, v4
	s_delay_alu instid0(VALU_DEP_2) | instskip(NEXT) | instid1(VALU_DEP_2)
	v_cmp_ne_u32_e32 vcc_lo, 0x7f00000, v5
                                        ; implicit-def: $vgpr5
	v_cndmask_b32_e32 v4, 0x7e, v4, vcc_lo
; %bb.964:
	s_and_not1_saveexec_b32 s33, s33
; %bb.965:
	v_add_f32_e64 v4, 0x46800000, |v5|
; %bb.966:
	s_or_b32 exec_lo, exec_lo, s33
                                        ; implicit-def: $vgpr6
.LBB166_967:
	s_and_not1_saveexec_b32 s31, s31
; %bb.968:
	v_mov_b32_e32 v4, 0x7f
	v_cmp_lt_u32_e32 vcc_lo, 0x7f800000, v6
	s_delay_alu instid0(VALU_DEP_2)
	v_cndmask_b32_e32 v4, 0x7e, v4, vcc_lo
; %bb.969:
	s_or_b32 exec_lo, exec_lo, s31
	v_lshrrev_b32_e32 v3, 8, v3
	s_delay_alu instid0(VALU_DEP_1)
	v_and_or_b32 v3, 0x80, v3, v4
	global_store_b8 v[0:1], v3, off
.LBB166_970:
	s_mov_b32 s31, 0
.LBB166_971:
	s_delay_alu instid0(SALU_CYCLE_1)
	s_and_not1_b32 vcc_lo, exec_lo, s31
	s_cbranch_vccnz .LBB166_981
; %bb.972:
	s_wait_xcnt 0x0
	v_lshlrev_b32_e32 v5, 16, v2
	v_and_b32_e32 v3, 0xffff, v2
	s_mov_b32 s31, exec_lo
                                        ; implicit-def: $vgpr4
	s_delay_alu instid0(VALU_DEP_2) | instskip(NEXT) | instid1(VALU_DEP_1)
	v_and_b32_e32 v6, 0x7fffffff, v5
	v_cmpx_gt_u32_e32 0x47800000, v6
	s_xor_b32 s31, exec_lo, s31
	s_cbranch_execz .LBB166_978
; %bb.973:
	s_mov_b32 s33, exec_lo
                                        ; implicit-def: $vgpr4
	v_cmpx_lt_u32_e32 0x387fffff, v6
	s_xor_b32 s33, exec_lo, s33
; %bb.974:
	v_bfe_u32 v4, v3, 5, 1
	s_delay_alu instid0(VALU_DEP_1) | instskip(NEXT) | instid1(VALU_DEP_1)
	v_add3_u32 v4, v5, v4, 0x80fffff
                                        ; implicit-def: $vgpr5
	v_lshrrev_b32_e32 v4, 21, v4
; %bb.975:
	s_and_not1_saveexec_b32 s33, s33
; %bb.976:
	v_add_f32_e64 v4, 0x43000000, |v5|
; %bb.977:
	s_or_b32 exec_lo, exec_lo, s33
                                        ; implicit-def: $vgpr6
.LBB166_978:
	s_and_not1_saveexec_b32 s31, s31
; %bb.979:
	v_mov_b32_e32 v4, 0x7f
	v_cmp_lt_u32_e32 vcc_lo, 0x7f800000, v6
	s_delay_alu instid0(VALU_DEP_2)
	v_cndmask_b32_e32 v4, 0x7c, v4, vcc_lo
; %bb.980:
	s_or_b32 exec_lo, exec_lo, s31
	v_lshrrev_b32_e32 v3, 8, v3
	s_delay_alu instid0(VALU_DEP_1)
	v_and_or_b32 v3, 0x80, v3, v4
	global_store_b8 v[0:1], v3, off
.LBB166_981:
	s_mov_b32 s33, 0
	s_mov_b32 s31, -1
.LBB166_982:
	s_and_not1_b32 vcc_lo, exec_lo, s33
	s_cbranch_vccnz .LBB166_990
; %bb.983:
	s_cmp_gt_i32 s30, 14
	s_mov_b32 s33, -1
	s_cbranch_scc0 .LBB166_987
; %bb.984:
	s_cmp_eq_u32 s30, 15
	s_mov_b32 s0, -1
	s_cbranch_scc0 .LBB166_986
; %bb.985:
	s_mov_b32 s31, -1
	s_mov_b32 s0, 0
	global_store_b16 v[0:1], v2, off
.LBB166_986:
	s_mov_b32 s33, 0
.LBB166_987:
	s_delay_alu instid0(SALU_CYCLE_1)
	s_and_b32 vcc_lo, exec_lo, s33
	s_cbranch_vccz .LBB166_990
; %bb.988:
	s_cmp_eq_u32 s30, 11
	s_mov_b32 s0, -1
	s_cbranch_scc0 .LBB166_990
; %bb.989:
	s_wait_xcnt 0x0
	v_and_b32_e32 v3, 0x7fff, v2
	s_mov_b32 s0, 0
	s_mov_b32 s31, -1
	s_delay_alu instid0(VALU_DEP_1)
	v_cmp_ne_u16_e32 vcc_lo, 0, v3
	v_cndmask_b32_e64 v3, 0, 1, vcc_lo
	global_store_b8 v[0:1], v3, off
.LBB166_990:
	s_mov_b32 s30, 0
.LBB166_991:
	s_delay_alu instid0(SALU_CYCLE_1)
	s_and_b32 vcc_lo, exec_lo, s30
	s_cbranch_vccz .LBB166_1030
; %bb.992:
	s_and_b32 s27, 0xffff, s27
	s_mov_b32 s30, -1
	s_cmp_lt_i32 s27, 5
	s_cbranch_scc1 .LBB166_1013
; %bb.993:
	s_cmp_lt_i32 s27, 8
	s_cbranch_scc1 .LBB166_1003
; %bb.994:
	s_cmp_lt_i32 s27, 9
	s_cbranch_scc1 .LBB166_1000
; %bb.995:
	s_cmp_gt_i32 s27, 9
	s_cbranch_scc0 .LBB166_997
; %bb.996:
	s_wait_xcnt 0x0
	v_dual_mov_b32 v6, 0 :: v_dual_lshlrev_b32 v3, 16, v2
	s_mov_b32 s30, 0
	s_delay_alu instid0(VALU_DEP_1) | instskip(NEXT) | instid1(VALU_DEP_2)
	v_cvt_f64_f32_e32 v[4:5], v3
	v_mov_b32_e32 v7, v6
	global_store_b128 v[0:1], v[4:7], off
.LBB166_997:
	s_and_not1_b32 vcc_lo, exec_lo, s30
	s_cbranch_vccnz .LBB166_999
; %bb.998:
	s_wait_xcnt 0x0
	v_dual_mov_b32 v5, 0 :: v_dual_lshlrev_b32 v4, 16, v2
	global_store_b64 v[0:1], v[4:5], off
.LBB166_999:
	s_mov_b32 s30, 0
.LBB166_1000:
	s_delay_alu instid0(SALU_CYCLE_1)
	s_and_not1_b32 vcc_lo, exec_lo, s30
	s_cbranch_vccnz .LBB166_1002
; %bb.1001:
	s_wait_xcnt 0x0
	v_lshlrev_b32_e32 v3, 16, v2
	s_delay_alu instid0(VALU_DEP_1) | instskip(NEXT) | instid1(VALU_DEP_1)
	v_cvt_f16_f32_e32 v3, v3
	v_and_b32_e32 v3, 0xffff, v3
	global_store_b32 v[0:1], v3, off
.LBB166_1002:
	s_mov_b32 s30, 0
.LBB166_1003:
	s_delay_alu instid0(SALU_CYCLE_1)
	s_and_not1_b32 vcc_lo, exec_lo, s30
	s_cbranch_vccnz .LBB166_1012
; %bb.1004:
	s_cmp_lt_i32 s27, 6
	s_mov_b32 s30, -1
	s_cbranch_scc1 .LBB166_1010
; %bb.1005:
	s_cmp_gt_i32 s27, 6
	s_cbranch_scc0 .LBB166_1007
; %bb.1006:
	s_wait_xcnt 0x0
	v_lshlrev_b32_e32 v3, 16, v2
	s_mov_b32 s30, 0
	s_delay_alu instid0(VALU_DEP_1)
	v_cvt_f64_f32_e32 v[4:5], v3
	global_store_b64 v[0:1], v[4:5], off
.LBB166_1007:
	s_and_not1_b32 vcc_lo, exec_lo, s30
	s_cbranch_vccnz .LBB166_1009
; %bb.1008:
	s_wait_xcnt 0x0
	v_lshlrev_b32_e32 v3, 16, v2
	global_store_b32 v[0:1], v3, off
.LBB166_1009:
	s_mov_b32 s30, 0
.LBB166_1010:
	s_delay_alu instid0(SALU_CYCLE_1)
	s_and_not1_b32 vcc_lo, exec_lo, s30
	s_cbranch_vccnz .LBB166_1012
; %bb.1011:
	s_wait_xcnt 0x0
	v_lshlrev_b32_e32 v3, 16, v2
	s_delay_alu instid0(VALU_DEP_1)
	v_cvt_f16_f32_e32 v3, v3
	global_store_b16 v[0:1], v3, off
.LBB166_1012:
	s_mov_b32 s30, 0
.LBB166_1013:
	s_delay_alu instid0(SALU_CYCLE_1)
	s_and_not1_b32 vcc_lo, exec_lo, s30
	s_cbranch_vccnz .LBB166_1029
; %bb.1014:
	s_cmp_lt_i32 s27, 2
	s_mov_b32 s30, -1
	s_cbranch_scc1 .LBB166_1024
; %bb.1015:
	s_cmp_lt_i32 s27, 3
	s_cbranch_scc1 .LBB166_1021
; %bb.1016:
	s_cmp_gt_i32 s27, 3
	s_cbranch_scc0 .LBB166_1018
; %bb.1017:
	s_wait_xcnt 0x0
	v_lshlrev_b32_e32 v3, 16, v2
	s_mov_b32 s30, 0
	s_delay_alu instid0(VALU_DEP_1) | instskip(NEXT) | instid1(VALU_DEP_1)
	v_trunc_f32_e32 v3, v3
	v_mul_f32_e64 v4, 0x2f800000, |v3|
	s_delay_alu instid0(VALU_DEP_1) | instskip(SKIP_1) | instid1(VALU_DEP_2)
	v_floor_f32_e32 v5, v4
	v_ashrrev_i32_e32 v4, 31, v3
	v_fma_f32 v6, 0xcf800000, v5, |v3|
	v_cvt_u32_f32_e32 v3, v5
	s_delay_alu instid0(VALU_DEP_3) | instskip(NEXT) | instid1(VALU_DEP_3)
	v_mov_b32_e32 v5, v4
	v_cvt_u32_f32_e32 v6, v6
	s_delay_alu instid0(VALU_DEP_3) | instskip(NEXT) | instid1(VALU_DEP_2)
	v_xor_b32_e32 v7, v3, v4
	v_xor_b32_e32 v6, v6, v4
	s_delay_alu instid0(VALU_DEP_1)
	v_sub_nc_u64_e32 v[4:5], v[6:7], v[4:5]
	global_store_b64 v[0:1], v[4:5], off
.LBB166_1018:
	s_and_not1_b32 vcc_lo, exec_lo, s30
	s_cbranch_vccnz .LBB166_1020
; %bb.1019:
	s_wait_xcnt 0x0
	v_lshlrev_b32_e32 v3, 16, v2
	s_delay_alu instid0(VALU_DEP_1)
	v_cvt_i32_f32_e32 v3, v3
	global_store_b32 v[0:1], v3, off
.LBB166_1020:
	s_mov_b32 s30, 0
.LBB166_1021:
	s_delay_alu instid0(SALU_CYCLE_1)
	s_and_not1_b32 vcc_lo, exec_lo, s30
	s_cbranch_vccnz .LBB166_1023
; %bb.1022:
	s_wait_xcnt 0x0
	v_lshlrev_b32_e32 v3, 16, v2
	s_delay_alu instid0(VALU_DEP_1)
	v_cvt_i32_f32_e32 v3, v3
	global_store_b16 v[0:1], v3, off
.LBB166_1023:
	s_mov_b32 s30, 0
.LBB166_1024:
	s_delay_alu instid0(SALU_CYCLE_1)
	s_and_not1_b32 vcc_lo, exec_lo, s30
	s_cbranch_vccnz .LBB166_1029
; %bb.1025:
	s_wait_xcnt 0x0
	v_lshlrev_b32_e32 v2, 16, v2
	s_cmp_gt_i32 s27, 0
	s_mov_b32 s27, -1
	s_cbranch_scc0 .LBB166_1027
; %bb.1026:
	s_delay_alu instid0(VALU_DEP_1)
	v_cvt_i32_f32_e32 v3, v2
	s_mov_b32 s27, 0
	global_store_b8 v[0:1], v3, off
.LBB166_1027:
	s_and_not1_b32 vcc_lo, exec_lo, s27
	s_cbranch_vccnz .LBB166_1029
; %bb.1028:
	v_trunc_f32_e32 v2, v2
	s_wait_xcnt 0x0
	s_delay_alu instid0(VALU_DEP_1) | instskip(NEXT) | instid1(VALU_DEP_1)
	v_mul_f32_e64 v3, 0x2f800000, |v2|
	v_floor_f32_e32 v3, v3
	s_delay_alu instid0(VALU_DEP_1) | instskip(SKIP_1) | instid1(VALU_DEP_2)
	v_fma_f32 v3, 0xcf800000, v3, |v2|
	v_ashrrev_i32_e32 v2, 31, v2
	v_cvt_u32_f32_e32 v3, v3
	s_delay_alu instid0(VALU_DEP_1) | instskip(NEXT) | instid1(VALU_DEP_1)
	v_xor_b32_e32 v3, v3, v2
	v_sub_nc_u32_e32 v2, v3, v2
	global_store_b8 v[0:1], v2, off
.LBB166_1029:
	s_mov_b32 s31, -1
.LBB166_1030:
	s_delay_alu instid0(SALU_CYCLE_1)
	s_and_not1_b32 vcc_lo, exec_lo, s31
	s_cbranch_vccnz .LBB166_1032
; %bb.1031:
	v_add_nc_u32_e32 v8, 0x80, v8
	s_mov_b32 s30, -1
	s_branch .LBB166_1034
.LBB166_1032:
	s_mov_b32 s30, 0
.LBB166_1033:
                                        ; implicit-def: $vgpr8
.LBB166_1034:
	s_and_not1_b32 s27, s19, exec_lo
	s_and_b32 s0, s0, exec_lo
	s_and_not1_b32 s31, s21, exec_lo
	s_and_b32 s33, s26, exec_lo
	s_or_b32 s26, s27, s0
	s_or_b32 s27, s31, s33
	s_and_not1_b32 s0, s22, exec_lo
	s_and_b32 s28, s28, exec_lo
	s_and_not1_b32 s31, s23, exec_lo
	s_and_b32 s25, s25, exec_lo
	s_or_b32 s28, s0, s28
	s_or_b32 s25, s31, s25
	s_or_not1_b32 s31, s30, exec_lo
.LBB166_1035:
	s_wait_xcnt 0x0
	s_or_b32 exec_lo, exec_lo, s29
	s_mov_b32 s30, 0
	s_mov_b32 s33, 0
	;; [unrolled: 1-line block ×3, first 2 shown]
                                        ; implicit-def: $sgpr0
                                        ; implicit-def: $vgpr0_vgpr1
                                        ; implicit-def: $vgpr2
	s_and_saveexec_b32 s29, s31
	s_cbranch_execz .LBB166_1638
; %bb.1036:
	s_mov_b32 s39, -1
	s_mov_b32 s31, s25
	s_mov_b32 s33, s28
	;; [unrolled: 1-line block ×4, first 2 shown]
	s_mov_b32 s30, exec_lo
	v_cmpx_gt_i32_e64 s20, v8
	s_cbranch_execz .LBB166_1556
; %bb.1037:
	v_mul_lo_u32 v0, v8, s13
	s_and_b32 s0, s17, 0xff
	s_delay_alu instid0(SALU_CYCLE_1) | instskip(NEXT) | instid1(VALU_DEP_1)
	s_cmp_lt_i32 s0, 11
	v_ashrrev_i32_e32 v1, 31, v0
	s_delay_alu instid0(VALU_DEP_1)
	v_add_nc_u64_e32 v[0:1], s[6:7], v[0:1]
	s_cbranch_scc1 .LBB166_1044
; %bb.1038:
	s_and_b32 s33, 0xffff, s0
	s_delay_alu instid0(SALU_CYCLE_1)
	s_cmp_gt_i32 s33, 25
	s_cbranch_scc0 .LBB166_1045
; %bb.1039:
	s_cmp_gt_i32 s33, 28
	s_cbranch_scc0 .LBB166_1046
; %bb.1040:
	;; [unrolled: 3-line block ×4, first 2 shown]
	s_cmp_eq_u32 s33, 46
	s_mov_b32 s35, 0
	s_cbranch_scc0 .LBB166_1049
; %bb.1043:
	s_wait_loadcnt 0x0
	global_load_b32 v2, v[0:1], off
	s_mov_b32 s34, -1
	s_mov_b32 s31, 0
	s_branch .LBB166_1051
.LBB166_1044:
	s_mov_b32 s33, -1
	s_mov_b32 s34, 0
	s_mov_b32 s31, s25
                                        ; implicit-def: $vgpr2
	s_branch .LBB166_1116
.LBB166_1045:
	s_mov_b32 s35, -1
	s_mov_b32 s34, 0
	s_mov_b32 s31, s25
                                        ; implicit-def: $vgpr2
	s_branch .LBB166_1080
.LBB166_1046:
	s_mov_b32 s35, -1
	s_mov_b32 s34, 0
	s_mov_b32 s31, s25
                                        ; implicit-def: $vgpr2
	s_branch .LBB166_1061
.LBB166_1047:
	s_mov_b32 s35, -1
	s_mov_b32 s34, 0
	s_mov_b32 s31, s25
                                        ; implicit-def: $vgpr2
	s_branch .LBB166_1056
.LBB166_1048:
	s_mov_b32 s35, -1
	s_mov_b32 s34, 0
	s_mov_b32 s31, s25
	s_branch .LBB166_1050
.LBB166_1049:
	s_mov_b32 s31, -1
	s_mov_b32 s34, 0
.LBB166_1050:
                                        ; implicit-def: $vgpr2
.LBB166_1051:
	s_and_b32 vcc_lo, exec_lo, s35
	s_cbranch_vccz .LBB166_1055
; %bb.1052:
	s_cmp_eq_u32 s33, 44
	s_cbranch_scc0 .LBB166_1054
; %bb.1053:
	s_wait_loadcnt 0x0
	global_load_u8 v2, v[0:1], off
	s_mov_b32 s31, 0
	s_mov_b32 s34, -1
	s_wait_loadcnt 0x0
	v_lshlrev_b32_e32 v3, 23, v2
	v_cmp_ne_u32_e32 vcc_lo, 0xff, v2
	s_delay_alu instid0(VALU_DEP_2) | instskip(SKIP_1) | instid1(VALU_DEP_2)
	v_cndmask_b32_e32 v3, 0x7f800001, v3, vcc_lo
	v_cmp_ne_u32_e32 vcc_lo, 0, v2
	v_cndmask_b32_e32 v2, 0x400000, v3, vcc_lo
	s_delay_alu instid0(VALU_DEP_1) | instskip(NEXT) | instid1(VALU_DEP_1)
	v_add_nc_u32_e32 v3, 0x7fff, v2
	v_lshrrev_b32_e32 v3, 16, v3
	v_cmp_o_f32_e32 vcc_lo, v2, v2
	s_delay_alu instid0(VALU_DEP_2)
	v_cndmask_b32_e32 v2, 0x7fc0, v3, vcc_lo
	s_branch .LBB166_1055
.LBB166_1054:
	s_mov_b32 s31, -1
                                        ; implicit-def: $vgpr2
.LBB166_1055:
	s_mov_b32 s35, 0
.LBB166_1056:
	s_delay_alu instid0(SALU_CYCLE_1)
	s_and_b32 vcc_lo, exec_lo, s35
	s_cbranch_vccz .LBB166_1060
; %bb.1057:
	s_cmp_eq_u32 s33, 29
	s_cbranch_scc0 .LBB166_1059
; %bb.1058:
	s_wait_loadcnt 0x0
	global_load_b64 v[2:3], v[0:1], off
	s_mov_b32 s34, -1
	s_mov_b32 s31, 0
	s_mov_b32 s35, 0
	s_wait_loadcnt 0x0
	v_clz_i32_u32_e32 v4, v3
	s_delay_alu instid0(VALU_DEP_1) | instskip(NEXT) | instid1(VALU_DEP_1)
	v_min_u32_e32 v4, 32, v4
	v_lshlrev_b64_e32 v[2:3], v4, v[2:3]
	s_delay_alu instid0(VALU_DEP_1) | instskip(NEXT) | instid1(VALU_DEP_1)
	v_min_u32_e32 v2, 1, v2
	v_dual_sub_nc_u32 v3, 32, v4 :: v_dual_bitop2_b32 v2, v3, v2 bitop3:0x54
	s_delay_alu instid0(VALU_DEP_1) | instskip(NEXT) | instid1(VALU_DEP_1)
	v_cvt_f32_u32_e32 v2, v2
	v_ldexp_f32 v2, v2, v3
	s_delay_alu instid0(VALU_DEP_1) | instskip(NEXT) | instid1(VALU_DEP_1)
	v_bfe_u32 v3, v2, 16, 1
	v_add3_u32 v2, v2, v3, 0x7fff
	s_delay_alu instid0(VALU_DEP_1)
	v_lshrrev_b32_e32 v2, 16, v2
	s_branch .LBB166_1061
.LBB166_1059:
	s_mov_b32 s31, -1
                                        ; implicit-def: $vgpr2
.LBB166_1060:
	s_mov_b32 s35, 0
.LBB166_1061:
	s_delay_alu instid0(SALU_CYCLE_1)
	s_and_b32 vcc_lo, exec_lo, s35
	s_cbranch_vccz .LBB166_1079
; %bb.1062:
	s_cmp_lt_i32 s33, 27
	s_cbranch_scc1 .LBB166_1065
; %bb.1063:
	s_cmp_gt_i32 s33, 27
	s_cbranch_scc0 .LBB166_1066
; %bb.1064:
	s_wait_loadcnt 0x0
	global_load_b32 v2, v[0:1], off
	s_mov_b32 s34, 0
	s_wait_loadcnt 0x0
	v_cvt_f32_u32_e32 v2, v2
	s_delay_alu instid0(VALU_DEP_1) | instskip(NEXT) | instid1(VALU_DEP_1)
	v_bfe_u32 v3, v2, 16, 1
	v_add3_u32 v2, v2, v3, 0x7fff
	s_delay_alu instid0(VALU_DEP_1)
	v_lshrrev_b32_e32 v2, 16, v2
	s_branch .LBB166_1067
.LBB166_1065:
	s_mov_b32 s34, -1
                                        ; implicit-def: $vgpr2
	s_branch .LBB166_1070
.LBB166_1066:
	s_mov_b32 s34, -1
                                        ; implicit-def: $vgpr2
.LBB166_1067:
	s_delay_alu instid0(SALU_CYCLE_1)
	s_and_not1_b32 vcc_lo, exec_lo, s34
	s_cbranch_vccnz .LBB166_1069
; %bb.1068:
	s_wait_loadcnt 0x0
	global_load_u16 v2, v[0:1], off
	s_wait_loadcnt 0x0
	v_cvt_f32_u32_e32 v2, v2
	s_delay_alu instid0(VALU_DEP_1) | instskip(NEXT) | instid1(VALU_DEP_1)
	v_bfe_u32 v3, v2, 16, 1
	v_add3_u32 v2, v2, v3, 0x7fff
	s_delay_alu instid0(VALU_DEP_1)
	v_lshrrev_b32_e32 v2, 16, v2
.LBB166_1069:
	s_mov_b32 s34, 0
.LBB166_1070:
	s_delay_alu instid0(SALU_CYCLE_1)
	s_and_not1_b32 vcc_lo, exec_lo, s34
	s_cbranch_vccnz .LBB166_1078
; %bb.1071:
	s_wait_loadcnt 0x0
	global_load_u8 v2, v[0:1], off
	s_mov_b32 s34, 0
	s_mov_b32 s35, exec_lo
	s_wait_loadcnt 0x0
	v_cmpx_lt_i16_e32 0x7f, v2
	s_xor_b32 s35, exec_lo, s35
	s_cbranch_execz .LBB166_1092
; %bb.1072:
	s_mov_b32 s34, -1
	s_mov_b32 s36, exec_lo
	v_cmpx_eq_u16_e32 0x80, v2
; %bb.1073:
	s_xor_b32 s34, exec_lo, -1
; %bb.1074:
	s_or_b32 exec_lo, exec_lo, s36
	s_delay_alu instid0(SALU_CYCLE_1)
	s_and_b32 s34, s34, exec_lo
	s_or_saveexec_b32 s35, s35
	v_mov_b32_e32 v3, 0x7f800001
	s_xor_b32 exec_lo, exec_lo, s35
	s_cbranch_execnz .LBB166_1093
.LBB166_1075:
	s_or_b32 exec_lo, exec_lo, s35
	s_and_saveexec_b32 s35, s34
	s_cbranch_execz .LBB166_1077
.LBB166_1076:
	v_and_b32_e32 v3, 0xffff, v2
	s_delay_alu instid0(VALU_DEP_1) | instskip(SKIP_1) | instid1(VALU_DEP_2)
	v_and_b32_e32 v4, 7, v3
	v_bfe_u32 v7, v3, 3, 4
	v_clz_i32_u32_e32 v5, v4
	s_delay_alu instid0(VALU_DEP_2) | instskip(NEXT) | instid1(VALU_DEP_2)
	v_cmp_eq_u32_e32 vcc_lo, 0, v7
	v_min_u32_e32 v5, 32, v5
	s_delay_alu instid0(VALU_DEP_1) | instskip(NEXT) | instid1(VALU_DEP_1)
	v_subrev_nc_u32_e32 v6, 28, v5
	v_dual_lshlrev_b32 v3, v6, v3 :: v_dual_sub_nc_u32 v5, 29, v5
	s_delay_alu instid0(VALU_DEP_1) | instskip(NEXT) | instid1(VALU_DEP_1)
	v_dual_lshlrev_b32 v2, 24, v2 :: v_dual_bitop2_b32 v3, 7, v3 bitop3:0x40
	v_dual_cndmask_b32 v5, v7, v5, vcc_lo :: v_dual_cndmask_b32 v3, v4, v3, vcc_lo
	s_delay_alu instid0(VALU_DEP_2) | instskip(NEXT) | instid1(VALU_DEP_2)
	v_and_b32_e32 v2, 0x80000000, v2
	v_lshl_add_u32 v4, v5, 23, 0x3b800000
	s_delay_alu instid0(VALU_DEP_3) | instskip(NEXT) | instid1(VALU_DEP_1)
	v_lshlrev_b32_e32 v3, 20, v3
	v_or3_b32 v3, v2, v4, v3
.LBB166_1077:
	s_or_b32 exec_lo, exec_lo, s35
	s_delay_alu instid0(VALU_DEP_1) | instskip(SKIP_1) | instid1(VALU_DEP_2)
	v_bfe_u32 v2, v3, 16, 1
	v_cmp_o_f32_e32 vcc_lo, v3, v3
	v_add3_u32 v2, v3, v2, 0x7fff
	s_delay_alu instid0(VALU_DEP_1) | instskip(NEXT) | instid1(VALU_DEP_1)
	v_lshrrev_b32_e32 v2, 16, v2
	v_cndmask_b32_e32 v2, 0x7fc0, v2, vcc_lo
.LBB166_1078:
	s_mov_b32 s34, -1
.LBB166_1079:
	s_mov_b32 s35, 0
.LBB166_1080:
	s_delay_alu instid0(SALU_CYCLE_1)
	s_and_b32 vcc_lo, exec_lo, s35
	s_cbranch_vccz .LBB166_1115
; %bb.1081:
	s_cmp_gt_i32 s33, 22
	s_cbranch_scc0 .LBB166_1091
; %bb.1082:
	s_cmp_lt_i32 s33, 24
	s_cbranch_scc1 .LBB166_1094
; %bb.1083:
	s_cmp_gt_i32 s33, 24
	s_cbranch_scc0 .LBB166_1095
; %bb.1084:
	s_wait_loadcnt 0x0
	global_load_u8 v2, v[0:1], off
	s_mov_b32 s34, 0
	s_mov_b32 s35, exec_lo
	s_wait_loadcnt 0x0
	v_cmpx_lt_i16_e32 0x7f, v2
	s_xor_b32 s35, exec_lo, s35
	s_cbranch_execz .LBB166_1107
; %bb.1085:
	s_mov_b32 s34, -1
	s_mov_b32 s36, exec_lo
	v_cmpx_eq_u16_e32 0x80, v2
; %bb.1086:
	s_xor_b32 s34, exec_lo, -1
; %bb.1087:
	s_or_b32 exec_lo, exec_lo, s36
	s_delay_alu instid0(SALU_CYCLE_1)
	s_and_b32 s34, s34, exec_lo
	s_or_saveexec_b32 s35, s35
	v_mov_b32_e32 v3, 0x7f800001
	s_xor_b32 exec_lo, exec_lo, s35
	s_cbranch_execnz .LBB166_1108
.LBB166_1088:
	s_or_b32 exec_lo, exec_lo, s35
	s_and_saveexec_b32 s35, s34
	s_cbranch_execz .LBB166_1090
.LBB166_1089:
	v_and_b32_e32 v3, 0xffff, v2
	s_delay_alu instid0(VALU_DEP_1) | instskip(SKIP_1) | instid1(VALU_DEP_2)
	v_and_b32_e32 v4, 3, v3
	v_bfe_u32 v7, v3, 2, 5
	v_clz_i32_u32_e32 v5, v4
	s_delay_alu instid0(VALU_DEP_2) | instskip(NEXT) | instid1(VALU_DEP_2)
	v_cmp_eq_u32_e32 vcc_lo, 0, v7
	v_min_u32_e32 v5, 32, v5
	s_delay_alu instid0(VALU_DEP_1) | instskip(NEXT) | instid1(VALU_DEP_1)
	v_subrev_nc_u32_e32 v6, 29, v5
	v_dual_lshlrev_b32 v3, v6, v3 :: v_dual_sub_nc_u32 v5, 30, v5
	s_delay_alu instid0(VALU_DEP_1) | instskip(NEXT) | instid1(VALU_DEP_1)
	v_dual_lshlrev_b32 v2, 24, v2 :: v_dual_bitop2_b32 v3, 3, v3 bitop3:0x40
	v_dual_cndmask_b32 v5, v7, v5, vcc_lo :: v_dual_cndmask_b32 v3, v4, v3, vcc_lo
	s_delay_alu instid0(VALU_DEP_2) | instskip(NEXT) | instid1(VALU_DEP_2)
	v_and_b32_e32 v2, 0x80000000, v2
	v_lshl_add_u32 v4, v5, 23, 0x37800000
	s_delay_alu instid0(VALU_DEP_3) | instskip(NEXT) | instid1(VALU_DEP_1)
	v_lshlrev_b32_e32 v3, 21, v3
	v_or3_b32 v3, v2, v4, v3
.LBB166_1090:
	s_or_b32 exec_lo, exec_lo, s35
	s_delay_alu instid0(VALU_DEP_1) | instskip(SKIP_2) | instid1(VALU_DEP_2)
	v_bfe_u32 v2, v3, 16, 1
	v_cmp_o_f32_e32 vcc_lo, v3, v3
	s_mov_b32 s34, 0
	v_add3_u32 v2, v3, v2, 0x7fff
	s_delay_alu instid0(VALU_DEP_1) | instskip(NEXT) | instid1(VALU_DEP_1)
	v_lshrrev_b32_e32 v2, 16, v2
	v_cndmask_b32_e32 v2, 0x7fc0, v2, vcc_lo
	s_branch .LBB166_1096
.LBB166_1091:
	s_mov_b32 s35, -1
                                        ; implicit-def: $vgpr2
	s_branch .LBB166_1102
.LBB166_1092:
	s_or_saveexec_b32 s35, s35
	v_mov_b32_e32 v3, 0x7f800001
	s_xor_b32 exec_lo, exec_lo, s35
	s_cbranch_execz .LBB166_1075
.LBB166_1093:
	v_cmp_ne_u16_e32 vcc_lo, 0, v2
	v_mov_b32_e32 v3, 0
	s_and_not1_b32 s34, s34, exec_lo
	s_and_b32 s36, vcc_lo, exec_lo
	s_delay_alu instid0(SALU_CYCLE_1)
	s_or_b32 s34, s34, s36
	s_or_b32 exec_lo, exec_lo, s35
	s_and_saveexec_b32 s35, s34
	s_cbranch_execnz .LBB166_1076
	s_branch .LBB166_1077
.LBB166_1094:
	s_mov_b32 s34, -1
                                        ; implicit-def: $vgpr2
	s_branch .LBB166_1099
.LBB166_1095:
	s_mov_b32 s34, -1
                                        ; implicit-def: $vgpr2
.LBB166_1096:
	s_delay_alu instid0(SALU_CYCLE_1)
	s_and_b32 vcc_lo, exec_lo, s34
	s_cbranch_vccz .LBB166_1098
; %bb.1097:
	s_wait_loadcnt 0x0
	global_load_u8 v2, v[0:1], off
	s_wait_loadcnt 0x0
	v_lshlrev_b32_e32 v2, 24, v2
	s_delay_alu instid0(VALU_DEP_1) | instskip(NEXT) | instid1(VALU_DEP_1)
	v_and_b32_e32 v3, 0x7f000000, v2
	v_clz_i32_u32_e32 v4, v3
	v_cmp_ne_u32_e32 vcc_lo, 0, v3
	v_add_nc_u32_e32 v6, 0x1000000, v3
	s_delay_alu instid0(VALU_DEP_3) | instskip(NEXT) | instid1(VALU_DEP_1)
	v_min_u32_e32 v4, 32, v4
	v_sub_nc_u32_e64 v4, v4, 4 clamp
	s_delay_alu instid0(VALU_DEP_1) | instskip(NEXT) | instid1(VALU_DEP_1)
	v_dual_lshlrev_b32 v5, v4, v3 :: v_dual_lshlrev_b32 v4, 23, v4
	v_lshrrev_b32_e32 v5, 4, v5
	s_delay_alu instid0(VALU_DEP_1) | instskip(NEXT) | instid1(VALU_DEP_1)
	v_dual_sub_nc_u32 v4, v5, v4 :: v_dual_ashrrev_i32 v5, 8, v6
	v_add_nc_u32_e32 v4, 0x3c000000, v4
	s_delay_alu instid0(VALU_DEP_1) | instskip(NEXT) | instid1(VALU_DEP_1)
	v_and_or_b32 v4, 0x7f800000, v5, v4
	v_cndmask_b32_e32 v3, 0, v4, vcc_lo
	s_delay_alu instid0(VALU_DEP_1) | instskip(SKIP_1) | instid1(VALU_DEP_2)
	v_and_or_b32 v2, 0x80000000, v2, v3
	v_bfe_u32 v3, v3, 16, 1
	v_cmp_o_f32_e32 vcc_lo, v2, v2
	s_delay_alu instid0(VALU_DEP_2) | instskip(NEXT) | instid1(VALU_DEP_1)
	v_add3_u32 v3, v2, v3, 0x7fff
	v_lshrrev_b32_e32 v3, 16, v3
	s_delay_alu instid0(VALU_DEP_1)
	v_cndmask_b32_e32 v2, 0x7fc0, v3, vcc_lo
.LBB166_1098:
	s_mov_b32 s34, 0
.LBB166_1099:
	s_delay_alu instid0(SALU_CYCLE_1)
	s_and_not1_b32 vcc_lo, exec_lo, s34
	s_cbranch_vccnz .LBB166_1101
; %bb.1100:
	s_wait_loadcnt 0x0
	global_load_u8 v2, v[0:1], off
	s_wait_loadcnt 0x0
	v_lshlrev_b32_e32 v3, 25, v2
	v_lshlrev_b16 v2, 8, v2
	s_delay_alu instid0(VALU_DEP_1) | instskip(SKIP_1) | instid1(VALU_DEP_2)
	v_and_or_b32 v5, 0x7f00, v2, 0.5
	v_bfe_i32 v2, v2, 0, 16
	v_dual_add_f32 v5, -0.5, v5 :: v_dual_lshrrev_b32 v4, 4, v3
	v_cmp_gt_u32_e32 vcc_lo, 0x8000000, v3
	s_delay_alu instid0(VALU_DEP_2) | instskip(NEXT) | instid1(VALU_DEP_1)
	v_or_b32_e32 v4, 0x70000000, v4
	v_mul_f32_e32 v4, 0x7800000, v4
	s_delay_alu instid0(VALU_DEP_1) | instskip(NEXT) | instid1(VALU_DEP_1)
	v_cndmask_b32_e32 v3, v4, v5, vcc_lo
	v_and_or_b32 v2, 0x80000000, v2, v3
	v_bfe_u32 v3, v3, 16, 1
	s_delay_alu instid0(VALU_DEP_2) | instskip(NEXT) | instid1(VALU_DEP_2)
	v_cmp_o_f32_e32 vcc_lo, v2, v2
	v_add3_u32 v3, v2, v3, 0x7fff
	s_delay_alu instid0(VALU_DEP_1) | instskip(NEXT) | instid1(VALU_DEP_1)
	v_lshrrev_b32_e32 v3, 16, v3
	v_cndmask_b32_e32 v2, 0x7fc0, v3, vcc_lo
.LBB166_1101:
	s_mov_b32 s35, 0
	s_mov_b32 s34, -1
.LBB166_1102:
	s_and_not1_b32 vcc_lo, exec_lo, s35
	s_cbranch_vccnz .LBB166_1115
; %bb.1103:
	s_cmp_gt_i32 s33, 14
	s_cbranch_scc0 .LBB166_1106
; %bb.1104:
	s_cmp_eq_u32 s33, 15
	s_cbranch_scc0 .LBB166_1109
; %bb.1105:
	s_wait_loadcnt 0x0
	global_load_u16 v2, v[0:1], off
	s_mov_b32 s34, -1
	s_mov_b32 s31, 0
	s_branch .LBB166_1110
.LBB166_1106:
	s_mov_b32 s35, -1
                                        ; implicit-def: $vgpr2
	s_branch .LBB166_1111
.LBB166_1107:
	s_or_saveexec_b32 s35, s35
	v_mov_b32_e32 v3, 0x7f800001
	s_xor_b32 exec_lo, exec_lo, s35
	s_cbranch_execz .LBB166_1088
.LBB166_1108:
	v_cmp_ne_u16_e32 vcc_lo, 0, v2
	v_mov_b32_e32 v3, 0
	s_and_not1_b32 s34, s34, exec_lo
	s_and_b32 s36, vcc_lo, exec_lo
	s_delay_alu instid0(SALU_CYCLE_1)
	s_or_b32 s34, s34, s36
	s_or_b32 exec_lo, exec_lo, s35
	s_and_saveexec_b32 s35, s34
	s_cbranch_execnz .LBB166_1089
	s_branch .LBB166_1090
.LBB166_1109:
	s_mov_b32 s31, -1
                                        ; implicit-def: $vgpr2
.LBB166_1110:
	s_mov_b32 s35, 0
.LBB166_1111:
	s_delay_alu instid0(SALU_CYCLE_1)
	s_and_b32 vcc_lo, exec_lo, s35
	s_cbranch_vccz .LBB166_1115
; %bb.1112:
	s_cmp_eq_u32 s33, 11
	s_cbranch_scc0 .LBB166_1114
; %bb.1113:
	s_wait_loadcnt 0x0
	global_load_u8 v2, v[0:1], off
	s_mov_b32 s31, 0
	s_mov_b32 s34, -1
	s_wait_loadcnt 0x0
	v_cmp_ne_u16_e32 vcc_lo, 0, v2
	v_cndmask_b32_e64 v2, 0, 1.0, vcc_lo
	s_delay_alu instid0(VALU_DEP_1)
	v_lshrrev_b32_e32 v2, 16, v2
	s_branch .LBB166_1115
.LBB166_1114:
	s_mov_b32 s31, -1
                                        ; implicit-def: $vgpr2
.LBB166_1115:
	s_mov_b32 s33, 0
.LBB166_1116:
	s_delay_alu instid0(SALU_CYCLE_1)
	s_and_b32 vcc_lo, exec_lo, s33
	s_cbranch_vccz .LBB166_1165
; %bb.1117:
	s_and_b32 s0, 0xffff, s0
	s_delay_alu instid0(SALU_CYCLE_1)
	s_cmp_lt_i32 s0, 5
	s_cbranch_scc1 .LBB166_1122
; %bb.1118:
	s_cmp_lt_i32 s0, 8
	s_cbranch_scc1 .LBB166_1123
; %bb.1119:
	s_cmp_lt_i32 s0, 9
	s_cbranch_scc1 .LBB166_1124
; %bb.1120:
	s_cmp_gt_i32 s0, 9
	s_cbranch_scc0 .LBB166_1125
; %bb.1121:
	s_wait_loadcnt 0x0
	global_load_b64 v[2:3], v[0:1], off
	s_mov_b32 s33, 0
	s_wait_loadcnt 0x0
	v_cvt_f32_f64_e32 v2, v[2:3]
	s_delay_alu instid0(VALU_DEP_1) | instskip(SKIP_1) | instid1(VALU_DEP_2)
	v_bfe_u32 v3, v2, 16, 1
	v_cmp_o_f32_e32 vcc_lo, v2, v2
	v_add3_u32 v3, v2, v3, 0x7fff
	s_delay_alu instid0(VALU_DEP_1) | instskip(NEXT) | instid1(VALU_DEP_1)
	v_lshrrev_b32_e32 v3, 16, v3
	v_cndmask_b32_e32 v2, 0x7fc0, v3, vcc_lo
	s_branch .LBB166_1126
.LBB166_1122:
	s_mov_b32 s33, -1
                                        ; implicit-def: $vgpr2
	s_branch .LBB166_1144
.LBB166_1123:
	s_mov_b32 s33, -1
                                        ; implicit-def: $vgpr2
	s_branch .LBB166_1132
.LBB166_1124:
	s_mov_b32 s33, -1
                                        ; implicit-def: $vgpr2
	s_branch .LBB166_1129
.LBB166_1125:
	s_mov_b32 s33, -1
                                        ; implicit-def: $vgpr2
.LBB166_1126:
	s_delay_alu instid0(SALU_CYCLE_1)
	s_and_not1_b32 vcc_lo, exec_lo, s33
	s_cbranch_vccnz .LBB166_1128
; %bb.1127:
	s_wait_loadcnt 0x0
	global_load_b32 v2, v[0:1], off
	s_wait_loadcnt 0x0
	v_bfe_u32 v3, v2, 16, 1
	v_cmp_o_f32_e32 vcc_lo, v2, v2
	s_delay_alu instid0(VALU_DEP_2) | instskip(NEXT) | instid1(VALU_DEP_1)
	v_add3_u32 v3, v2, v3, 0x7fff
	v_lshrrev_b32_e32 v3, 16, v3
	s_delay_alu instid0(VALU_DEP_1)
	v_cndmask_b32_e32 v2, 0x7fc0, v3, vcc_lo
.LBB166_1128:
	s_mov_b32 s33, 0
.LBB166_1129:
	s_delay_alu instid0(SALU_CYCLE_1)
	s_and_not1_b32 vcc_lo, exec_lo, s33
	s_cbranch_vccnz .LBB166_1131
; %bb.1130:
	s_wait_loadcnt 0x0
	global_load_b32 v2, v[0:1], off
	s_wait_loadcnt 0x0
	v_cvt_f32_f16_e32 v3, v2
	v_cmp_o_f16_e32 vcc_lo, v2, v2
	s_delay_alu instid0(VALU_DEP_2) | instskip(NEXT) | instid1(VALU_DEP_1)
	v_bfe_u32 v4, v3, 16, 1
	v_add3_u32 v3, v3, v4, 0x7fff
	s_delay_alu instid0(VALU_DEP_1) | instskip(NEXT) | instid1(VALU_DEP_1)
	v_lshrrev_b32_e32 v3, 16, v3
	v_cndmask_b32_e32 v2, 0x7fc0, v3, vcc_lo
.LBB166_1131:
	s_mov_b32 s33, 0
.LBB166_1132:
	s_delay_alu instid0(SALU_CYCLE_1)
	s_and_not1_b32 vcc_lo, exec_lo, s33
	s_cbranch_vccnz .LBB166_1143
; %bb.1133:
	s_cmp_lt_i32 s0, 6
	s_cbranch_scc1 .LBB166_1136
; %bb.1134:
	s_cmp_gt_i32 s0, 6
	s_cbranch_scc0 .LBB166_1137
; %bb.1135:
	s_wait_loadcnt 0x0
	global_load_b64 v[2:3], v[0:1], off
	s_mov_b32 s33, 0
	s_wait_loadcnt 0x0
	v_cvt_f32_f64_e32 v2, v[2:3]
	s_delay_alu instid0(VALU_DEP_1) | instskip(SKIP_1) | instid1(VALU_DEP_2)
	v_bfe_u32 v3, v2, 16, 1
	v_cmp_o_f32_e32 vcc_lo, v2, v2
	v_add3_u32 v3, v2, v3, 0x7fff
	s_delay_alu instid0(VALU_DEP_1) | instskip(NEXT) | instid1(VALU_DEP_1)
	v_lshrrev_b32_e32 v3, 16, v3
	v_cndmask_b32_e32 v2, 0x7fc0, v3, vcc_lo
	s_branch .LBB166_1138
.LBB166_1136:
	s_mov_b32 s33, -1
                                        ; implicit-def: $vgpr2
	s_branch .LBB166_1141
.LBB166_1137:
	s_mov_b32 s33, -1
                                        ; implicit-def: $vgpr2
.LBB166_1138:
	s_delay_alu instid0(SALU_CYCLE_1)
	s_and_not1_b32 vcc_lo, exec_lo, s33
	s_cbranch_vccnz .LBB166_1140
; %bb.1139:
	s_wait_loadcnt 0x0
	global_load_b32 v2, v[0:1], off
	s_wait_loadcnt 0x0
	v_bfe_u32 v3, v2, 16, 1
	v_cmp_o_f32_e32 vcc_lo, v2, v2
	s_delay_alu instid0(VALU_DEP_2) | instskip(NEXT) | instid1(VALU_DEP_1)
	v_add3_u32 v3, v2, v3, 0x7fff
	v_lshrrev_b32_e32 v3, 16, v3
	s_delay_alu instid0(VALU_DEP_1)
	v_cndmask_b32_e32 v2, 0x7fc0, v3, vcc_lo
.LBB166_1140:
	s_mov_b32 s33, 0
.LBB166_1141:
	s_delay_alu instid0(SALU_CYCLE_1)
	s_and_not1_b32 vcc_lo, exec_lo, s33
	s_cbranch_vccnz .LBB166_1143
; %bb.1142:
	s_wait_loadcnt 0x0
	global_load_u16 v2, v[0:1], off
	s_wait_loadcnt 0x0
	v_cvt_f32_f16_e32 v3, v2
	v_cmp_o_f16_e32 vcc_lo, v2, v2
	s_delay_alu instid0(VALU_DEP_2) | instskip(NEXT) | instid1(VALU_DEP_1)
	v_bfe_u32 v4, v3, 16, 1
	v_add3_u32 v3, v3, v4, 0x7fff
	s_delay_alu instid0(VALU_DEP_1) | instskip(NEXT) | instid1(VALU_DEP_1)
	v_lshrrev_b32_e32 v3, 16, v3
	v_cndmask_b32_e32 v2, 0x7fc0, v3, vcc_lo
.LBB166_1143:
	s_mov_b32 s33, 0
.LBB166_1144:
	s_delay_alu instid0(SALU_CYCLE_1)
	s_and_not1_b32 vcc_lo, exec_lo, s33
	s_cbranch_vccnz .LBB166_1164
; %bb.1145:
	s_cmp_lt_i32 s0, 2
	s_cbranch_scc1 .LBB166_1149
; %bb.1146:
	s_cmp_lt_i32 s0, 3
	s_cbranch_scc1 .LBB166_1150
; %bb.1147:
	s_cmp_gt_i32 s0, 3
	s_cbranch_scc0 .LBB166_1151
; %bb.1148:
	s_wait_loadcnt 0x0
	global_load_b64 v[2:3], v[0:1], off
	s_mov_b32 s33, 0
	s_wait_loadcnt 0x0
	v_xor_b32_e32 v4, v2, v3
	v_cls_i32_e32 v5, v3
	s_delay_alu instid0(VALU_DEP_2) | instskip(NEXT) | instid1(VALU_DEP_1)
	v_ashrrev_i32_e32 v4, 31, v4
	v_add_nc_u32_e32 v4, 32, v4
	s_delay_alu instid0(VALU_DEP_1) | instskip(NEXT) | instid1(VALU_DEP_1)
	v_add_min_u32_e64 v4, v5, -1, v4
	v_lshlrev_b64_e32 v[2:3], v4, v[2:3]
	s_delay_alu instid0(VALU_DEP_1) | instskip(NEXT) | instid1(VALU_DEP_1)
	v_min_u32_e32 v2, 1, v2
	v_dual_sub_nc_u32 v3, 32, v4 :: v_dual_bitop2_b32 v2, v3, v2 bitop3:0x54
	s_delay_alu instid0(VALU_DEP_1) | instskip(NEXT) | instid1(VALU_DEP_1)
	v_cvt_f32_i32_e32 v2, v2
	v_ldexp_f32 v2, v2, v3
	s_delay_alu instid0(VALU_DEP_1) | instskip(NEXT) | instid1(VALU_DEP_1)
	v_bfe_u32 v3, v2, 16, 1
	v_add3_u32 v2, v2, v3, 0x7fff
	s_delay_alu instid0(VALU_DEP_1)
	v_lshrrev_b32_e32 v2, 16, v2
	s_branch .LBB166_1152
.LBB166_1149:
	s_mov_b32 s33, -1
                                        ; implicit-def: $vgpr2
	s_branch .LBB166_1158
.LBB166_1150:
	s_mov_b32 s33, -1
                                        ; implicit-def: $vgpr2
	s_branch .LBB166_1155
.LBB166_1151:
	s_mov_b32 s33, -1
                                        ; implicit-def: $vgpr2
.LBB166_1152:
	s_delay_alu instid0(SALU_CYCLE_1)
	s_and_not1_b32 vcc_lo, exec_lo, s33
	s_cbranch_vccnz .LBB166_1154
; %bb.1153:
	s_wait_loadcnt 0x0
	global_load_b32 v2, v[0:1], off
	s_wait_loadcnt 0x0
	v_cvt_f32_i32_e32 v2, v2
	s_delay_alu instid0(VALU_DEP_1) | instskip(NEXT) | instid1(VALU_DEP_1)
	v_bfe_u32 v3, v2, 16, 1
	v_add3_u32 v2, v2, v3, 0x7fff
	s_delay_alu instid0(VALU_DEP_1)
	v_lshrrev_b32_e32 v2, 16, v2
.LBB166_1154:
	s_mov_b32 s33, 0
.LBB166_1155:
	s_delay_alu instid0(SALU_CYCLE_1)
	s_and_not1_b32 vcc_lo, exec_lo, s33
	s_cbranch_vccnz .LBB166_1157
; %bb.1156:
	s_wait_loadcnt 0x0
	global_load_i16 v2, v[0:1], off
	s_wait_loadcnt 0x0
	v_cvt_f32_i32_e32 v2, v2
	s_delay_alu instid0(VALU_DEP_1) | instskip(NEXT) | instid1(VALU_DEP_1)
	v_bfe_u32 v3, v2, 16, 1
	v_add3_u32 v2, v2, v3, 0x7fff
	s_delay_alu instid0(VALU_DEP_1)
	v_lshrrev_b32_e32 v2, 16, v2
.LBB166_1157:
	s_mov_b32 s33, 0
.LBB166_1158:
	s_delay_alu instid0(SALU_CYCLE_1)
	s_and_not1_b32 vcc_lo, exec_lo, s33
	s_cbranch_vccnz .LBB166_1164
; %bb.1159:
	s_cmp_gt_i32 s0, 0
	s_mov_b32 s0, 0
	s_cbranch_scc0 .LBB166_1161
; %bb.1160:
	s_wait_loadcnt 0x0
	global_load_i8 v2, v[0:1], off
	s_wait_loadcnt 0x0
	v_cvt_f32_i32_e32 v2, v2
	s_delay_alu instid0(VALU_DEP_1) | instskip(NEXT) | instid1(VALU_DEP_1)
	v_bfe_u32 v3, v2, 16, 1
	v_add3_u32 v2, v2, v3, 0x7fff
	s_delay_alu instid0(VALU_DEP_1)
	v_lshrrev_b32_e32 v2, 16, v2
	s_branch .LBB166_1162
.LBB166_1161:
	s_mov_b32 s0, -1
                                        ; implicit-def: $vgpr2
.LBB166_1162:
	s_delay_alu instid0(SALU_CYCLE_1)
	s_and_not1_b32 vcc_lo, exec_lo, s0
	s_cbranch_vccnz .LBB166_1164
; %bb.1163:
	global_load_u8 v0, v[0:1], off
	s_wait_loadcnt 0x0
	v_cvt_f32_ubyte0_e32 v0, v0
	s_delay_alu instid0(VALU_DEP_1) | instskip(NEXT) | instid1(VALU_DEP_1)
	v_bfe_u32 v1, v0, 16, 1
	v_add3_u32 v0, v0, v1, 0x7fff
	s_delay_alu instid0(VALU_DEP_1)
	v_lshrrev_b32_e32 v2, 16, v0
.LBB166_1164:
	s_mov_b32 s34, -1
.LBB166_1165:
	s_delay_alu instid0(SALU_CYCLE_1)
	s_and_not1_b32 vcc_lo, exec_lo, s34
	s_cbranch_vccnz .LBB166_1173
; %bb.1166:
	s_wait_xcnt 0x0
	v_mul_lo_u32 v0, v8, s14
	s_and_b32 s0, s3, 0xff
	s_delay_alu instid0(SALU_CYCLE_1) | instskip(NEXT) | instid1(VALU_DEP_1)
	s_cmp_lt_i32 s0, 11
	v_ashrrev_i32_e32 v1, 31, v0
	s_delay_alu instid0(VALU_DEP_1)
	v_add_nc_u64_e32 v[0:1], s[8:9], v[0:1]
	s_cbranch_scc1 .LBB166_1174
; %bb.1167:
	s_and_b32 s34, 0xffff, s0
	s_delay_alu instid0(SALU_CYCLE_1)
	s_cmp_gt_i32 s34, 25
	s_cbranch_scc0 .LBB166_1175
; %bb.1168:
	s_cmp_gt_i32 s34, 28
	s_cbranch_scc0 .LBB166_1176
; %bb.1169:
	;; [unrolled: 3-line block ×4, first 2 shown]
	s_cmp_eq_u32 s34, 46
	s_mov_b32 s36, 0
	s_cbranch_scc0 .LBB166_1181
; %bb.1172:
	s_wait_loadcnt 0x0
	global_load_b32 v3, v[0:1], off
	s_mov_b32 s35, -1
	s_mov_b32 s33, 0
	s_branch .LBB166_1183
.LBB166_1173:
	s_mov_b32 s36, 0
	s_mov_b32 s0, s26
	;; [unrolled: 1-line block ×4, first 2 shown]
	s_branch .LBB166_1554
.LBB166_1174:
	s_mov_b32 s34, -1
	s_mov_b32 s35, 0
	s_mov_b32 s33, s28
                                        ; implicit-def: $vgpr3
	s_branch .LBB166_1248
.LBB166_1175:
	s_mov_b32 s36, -1
	s_mov_b32 s35, 0
	s_mov_b32 s33, s28
                                        ; implicit-def: $vgpr3
	s_branch .LBB166_1212
.LBB166_1176:
	s_mov_b32 s36, -1
	s_mov_b32 s35, 0
	s_mov_b32 s33, s28
                                        ; implicit-def: $vgpr3
	s_branch .LBB166_1193
.LBB166_1177:
	s_mov_b32 s36, -1
	s_mov_b32 s35, 0
	s_mov_b32 s33, s28
                                        ; implicit-def: $vgpr3
	s_branch .LBB166_1188
.LBB166_1178:
	s_mov_b32 s36, -1
	s_mov_b32 s35, 0
	s_mov_b32 s33, s28
	s_branch .LBB166_1182
.LBB166_1179:
	s_and_not1_saveexec_b32 s34, s34
	s_cbranch_execz .LBB166_943
.LBB166_1180:
	v_add_f32_e64 v4, 0x46000000, |v5|
	s_and_not1_b32 s33, s33, exec_lo
	s_delay_alu instid0(VALU_DEP_1) | instskip(NEXT) | instid1(VALU_DEP_1)
	v_and_b32_e32 v4, 0xff, v4
	v_cmp_ne_u32_e32 vcc_lo, 0, v4
	s_and_b32 s35, vcc_lo, exec_lo
	s_delay_alu instid0(SALU_CYCLE_1)
	s_or_b32 s33, s33, s35
	s_or_b32 exec_lo, exec_lo, s34
	v_mov_b32_e32 v6, 0
	s_and_saveexec_b32 s34, s33
	s_cbranch_execnz .LBB166_944
	s_branch .LBB166_945
.LBB166_1181:
	s_mov_b32 s33, -1
	s_mov_b32 s35, 0
.LBB166_1182:
                                        ; implicit-def: $vgpr3
.LBB166_1183:
	s_and_b32 vcc_lo, exec_lo, s36
	s_cbranch_vccz .LBB166_1187
; %bb.1184:
	s_cmp_eq_u32 s34, 44
	s_cbranch_scc0 .LBB166_1186
; %bb.1185:
	s_wait_loadcnt 0x0
	global_load_u8 v3, v[0:1], off
	s_mov_b32 s33, 0
	s_mov_b32 s35, -1
	s_wait_loadcnt 0x0
	v_lshlrev_b32_e32 v4, 23, v3
	v_cmp_ne_u32_e32 vcc_lo, 0xff, v3
	s_delay_alu instid0(VALU_DEP_2) | instskip(SKIP_1) | instid1(VALU_DEP_2)
	v_cndmask_b32_e32 v4, 0x7f800001, v4, vcc_lo
	v_cmp_ne_u32_e32 vcc_lo, 0, v3
	v_cndmask_b32_e32 v3, 0x400000, v4, vcc_lo
	s_delay_alu instid0(VALU_DEP_1) | instskip(NEXT) | instid1(VALU_DEP_1)
	v_add_nc_u32_e32 v4, 0x7fff, v3
	v_lshrrev_b32_e32 v4, 16, v4
	v_cmp_o_f32_e32 vcc_lo, v3, v3
	s_delay_alu instid0(VALU_DEP_2)
	v_cndmask_b32_e32 v3, 0x7fc0, v4, vcc_lo
	s_branch .LBB166_1187
.LBB166_1186:
	s_mov_b32 s33, -1
                                        ; implicit-def: $vgpr3
.LBB166_1187:
	s_mov_b32 s36, 0
.LBB166_1188:
	s_delay_alu instid0(SALU_CYCLE_1)
	s_and_b32 vcc_lo, exec_lo, s36
	s_cbranch_vccz .LBB166_1192
; %bb.1189:
	s_cmp_eq_u32 s34, 29
	s_cbranch_scc0 .LBB166_1191
; %bb.1190:
	s_wait_loadcnt 0x0
	global_load_b64 v[4:5], v[0:1], off
	s_mov_b32 s35, -1
	s_mov_b32 s33, 0
	s_mov_b32 s36, 0
	s_wait_loadcnt 0x0
	v_clz_i32_u32_e32 v3, v5
	s_delay_alu instid0(VALU_DEP_1) | instskip(NEXT) | instid1(VALU_DEP_1)
	v_min_u32_e32 v3, 32, v3
	v_lshlrev_b64_e32 v[4:5], v3, v[4:5]
	v_sub_nc_u32_e32 v3, 32, v3
	s_delay_alu instid0(VALU_DEP_2) | instskip(NEXT) | instid1(VALU_DEP_1)
	v_min_u32_e32 v4, 1, v4
	v_or_b32_e32 v4, v5, v4
	s_delay_alu instid0(VALU_DEP_1) | instskip(NEXT) | instid1(VALU_DEP_1)
	v_cvt_f32_u32_e32 v4, v4
	v_ldexp_f32 v3, v4, v3
	s_delay_alu instid0(VALU_DEP_1) | instskip(NEXT) | instid1(VALU_DEP_1)
	v_bfe_u32 v4, v3, 16, 1
	v_add3_u32 v3, v3, v4, 0x7fff
	s_delay_alu instid0(VALU_DEP_1)
	v_lshrrev_b32_e32 v3, 16, v3
	s_branch .LBB166_1193
.LBB166_1191:
	s_mov_b32 s33, -1
                                        ; implicit-def: $vgpr3
.LBB166_1192:
	s_mov_b32 s36, 0
.LBB166_1193:
	s_delay_alu instid0(SALU_CYCLE_1)
	s_and_b32 vcc_lo, exec_lo, s36
	s_cbranch_vccz .LBB166_1211
; %bb.1194:
	s_cmp_lt_i32 s34, 27
	s_cbranch_scc1 .LBB166_1197
; %bb.1195:
	s_cmp_gt_i32 s34, 27
	s_cbranch_scc0 .LBB166_1198
; %bb.1196:
	s_wait_loadcnt 0x0
	global_load_b32 v3, v[0:1], off
	s_mov_b32 s35, 0
	s_wait_loadcnt 0x0
	v_cvt_f32_u32_e32 v3, v3
	s_delay_alu instid0(VALU_DEP_1) | instskip(NEXT) | instid1(VALU_DEP_1)
	v_bfe_u32 v4, v3, 16, 1
	v_add3_u32 v3, v3, v4, 0x7fff
	s_delay_alu instid0(VALU_DEP_1)
	v_lshrrev_b32_e32 v3, 16, v3
	s_branch .LBB166_1199
.LBB166_1197:
	s_mov_b32 s35, -1
                                        ; implicit-def: $vgpr3
	s_branch .LBB166_1202
.LBB166_1198:
	s_mov_b32 s35, -1
                                        ; implicit-def: $vgpr3
.LBB166_1199:
	s_delay_alu instid0(SALU_CYCLE_1)
	s_and_not1_b32 vcc_lo, exec_lo, s35
	s_cbranch_vccnz .LBB166_1201
; %bb.1200:
	s_wait_loadcnt 0x0
	global_load_u16 v3, v[0:1], off
	s_wait_loadcnt 0x0
	v_cvt_f32_u32_e32 v3, v3
	s_delay_alu instid0(VALU_DEP_1) | instskip(NEXT) | instid1(VALU_DEP_1)
	v_bfe_u32 v4, v3, 16, 1
	v_add3_u32 v3, v3, v4, 0x7fff
	s_delay_alu instid0(VALU_DEP_1)
	v_lshrrev_b32_e32 v3, 16, v3
.LBB166_1201:
	s_mov_b32 s35, 0
.LBB166_1202:
	s_delay_alu instid0(SALU_CYCLE_1)
	s_and_not1_b32 vcc_lo, exec_lo, s35
	s_cbranch_vccnz .LBB166_1210
; %bb.1203:
	s_wait_loadcnt 0x0
	global_load_u8 v3, v[0:1], off
	s_mov_b32 s35, 0
	s_mov_b32 s36, exec_lo
	s_wait_loadcnt 0x0
	v_cmpx_lt_i16_e32 0x7f, v3
	s_xor_b32 s36, exec_lo, s36
	s_cbranch_execz .LBB166_1224
; %bb.1204:
	s_mov_b32 s35, -1
	s_mov_b32 s37, exec_lo
	v_cmpx_eq_u16_e32 0x80, v3
; %bb.1205:
	s_xor_b32 s35, exec_lo, -1
; %bb.1206:
	s_or_b32 exec_lo, exec_lo, s37
	s_delay_alu instid0(SALU_CYCLE_1)
	s_and_b32 s35, s35, exec_lo
	s_or_saveexec_b32 s36, s36
	v_mov_b32_e32 v4, 0x7f800001
	s_xor_b32 exec_lo, exec_lo, s36
	s_cbranch_execnz .LBB166_1225
.LBB166_1207:
	s_or_b32 exec_lo, exec_lo, s36
	s_and_saveexec_b32 s36, s35
	s_cbranch_execz .LBB166_1209
.LBB166_1208:
	v_and_b32_e32 v4, 0xffff, v3
	s_delay_alu instid0(VALU_DEP_1) | instskip(SKIP_1) | instid1(VALU_DEP_2)
	v_and_b32_e32 v5, 7, v4
	v_bfe_u32 v9, v4, 3, 4
	v_clz_i32_u32_e32 v6, v5
	s_delay_alu instid0(VALU_DEP_2) | instskip(NEXT) | instid1(VALU_DEP_2)
	v_cmp_eq_u32_e32 vcc_lo, 0, v9
	v_min_u32_e32 v6, 32, v6
	s_delay_alu instid0(VALU_DEP_1) | instskip(NEXT) | instid1(VALU_DEP_1)
	v_subrev_nc_u32_e32 v7, 28, v6
	v_dual_lshlrev_b32 v4, v7, v4 :: v_dual_sub_nc_u32 v6, 29, v6
	s_delay_alu instid0(VALU_DEP_1) | instskip(NEXT) | instid1(VALU_DEP_2)
	v_dual_lshlrev_b32 v3, 24, v3 :: v_dual_bitop2_b32 v4, 7, v4 bitop3:0x40
	v_cndmask_b32_e32 v6, v9, v6, vcc_lo
	s_delay_alu instid0(VALU_DEP_2) | instskip(NEXT) | instid1(VALU_DEP_3)
	v_cndmask_b32_e32 v4, v5, v4, vcc_lo
	v_and_b32_e32 v3, 0x80000000, v3
	s_delay_alu instid0(VALU_DEP_3) | instskip(NEXT) | instid1(VALU_DEP_3)
	v_lshl_add_u32 v5, v6, 23, 0x3b800000
	v_lshlrev_b32_e32 v4, 20, v4
	s_delay_alu instid0(VALU_DEP_1)
	v_or3_b32 v4, v3, v5, v4
.LBB166_1209:
	s_or_b32 exec_lo, exec_lo, s36
	s_delay_alu instid0(VALU_DEP_1) | instskip(SKIP_1) | instid1(VALU_DEP_2)
	v_bfe_u32 v3, v4, 16, 1
	v_cmp_o_f32_e32 vcc_lo, v4, v4
	v_add3_u32 v3, v4, v3, 0x7fff
	s_delay_alu instid0(VALU_DEP_1) | instskip(NEXT) | instid1(VALU_DEP_1)
	v_lshrrev_b32_e32 v3, 16, v3
	v_cndmask_b32_e32 v3, 0x7fc0, v3, vcc_lo
.LBB166_1210:
	s_mov_b32 s35, -1
.LBB166_1211:
	s_mov_b32 s36, 0
.LBB166_1212:
	s_delay_alu instid0(SALU_CYCLE_1)
	s_and_b32 vcc_lo, exec_lo, s36
	s_cbranch_vccz .LBB166_1247
; %bb.1213:
	s_cmp_gt_i32 s34, 22
	s_cbranch_scc0 .LBB166_1223
; %bb.1214:
	s_cmp_lt_i32 s34, 24
	s_cbranch_scc1 .LBB166_1226
; %bb.1215:
	s_cmp_gt_i32 s34, 24
	s_cbranch_scc0 .LBB166_1227
; %bb.1216:
	s_wait_loadcnt 0x0
	global_load_u8 v3, v[0:1], off
	s_mov_b32 s35, 0
	s_mov_b32 s36, exec_lo
	s_wait_loadcnt 0x0
	v_cmpx_lt_i16_e32 0x7f, v3
	s_xor_b32 s36, exec_lo, s36
	s_cbranch_execz .LBB166_1239
; %bb.1217:
	s_mov_b32 s35, -1
	s_mov_b32 s37, exec_lo
	v_cmpx_eq_u16_e32 0x80, v3
; %bb.1218:
	s_xor_b32 s35, exec_lo, -1
; %bb.1219:
	s_or_b32 exec_lo, exec_lo, s37
	s_delay_alu instid0(SALU_CYCLE_1)
	s_and_b32 s35, s35, exec_lo
	s_or_saveexec_b32 s36, s36
	v_mov_b32_e32 v4, 0x7f800001
	s_xor_b32 exec_lo, exec_lo, s36
	s_cbranch_execnz .LBB166_1240
.LBB166_1220:
	s_or_b32 exec_lo, exec_lo, s36
	s_and_saveexec_b32 s36, s35
	s_cbranch_execz .LBB166_1222
.LBB166_1221:
	v_and_b32_e32 v4, 0xffff, v3
	s_delay_alu instid0(VALU_DEP_1) | instskip(SKIP_1) | instid1(VALU_DEP_2)
	v_and_b32_e32 v5, 3, v4
	v_bfe_u32 v9, v4, 2, 5
	v_clz_i32_u32_e32 v6, v5
	s_delay_alu instid0(VALU_DEP_2) | instskip(NEXT) | instid1(VALU_DEP_2)
	v_cmp_eq_u32_e32 vcc_lo, 0, v9
	v_min_u32_e32 v6, 32, v6
	s_delay_alu instid0(VALU_DEP_1) | instskip(NEXT) | instid1(VALU_DEP_1)
	v_subrev_nc_u32_e32 v7, 29, v6
	v_dual_lshlrev_b32 v4, v7, v4 :: v_dual_sub_nc_u32 v6, 30, v6
	s_delay_alu instid0(VALU_DEP_1) | instskip(NEXT) | instid1(VALU_DEP_2)
	v_dual_lshlrev_b32 v3, 24, v3 :: v_dual_bitop2_b32 v4, 3, v4 bitop3:0x40
	v_cndmask_b32_e32 v6, v9, v6, vcc_lo
	s_delay_alu instid0(VALU_DEP_2) | instskip(NEXT) | instid1(VALU_DEP_3)
	v_cndmask_b32_e32 v4, v5, v4, vcc_lo
	v_and_b32_e32 v3, 0x80000000, v3
	s_delay_alu instid0(VALU_DEP_3) | instskip(NEXT) | instid1(VALU_DEP_3)
	v_lshl_add_u32 v5, v6, 23, 0x37800000
	v_lshlrev_b32_e32 v4, 21, v4
	s_delay_alu instid0(VALU_DEP_1)
	v_or3_b32 v4, v3, v5, v4
.LBB166_1222:
	s_or_b32 exec_lo, exec_lo, s36
	s_delay_alu instid0(VALU_DEP_1) | instskip(SKIP_2) | instid1(VALU_DEP_2)
	v_bfe_u32 v3, v4, 16, 1
	v_cmp_o_f32_e32 vcc_lo, v4, v4
	s_mov_b32 s35, 0
	v_add3_u32 v3, v4, v3, 0x7fff
	s_delay_alu instid0(VALU_DEP_1) | instskip(NEXT) | instid1(VALU_DEP_1)
	v_lshrrev_b32_e32 v3, 16, v3
	v_cndmask_b32_e32 v3, 0x7fc0, v3, vcc_lo
	s_branch .LBB166_1228
.LBB166_1223:
	s_mov_b32 s36, -1
                                        ; implicit-def: $vgpr3
	s_branch .LBB166_1234
.LBB166_1224:
	s_or_saveexec_b32 s36, s36
	v_mov_b32_e32 v4, 0x7f800001
	s_xor_b32 exec_lo, exec_lo, s36
	s_cbranch_execz .LBB166_1207
.LBB166_1225:
	v_cmp_ne_u16_e32 vcc_lo, 0, v3
	v_mov_b32_e32 v4, 0
	s_and_not1_b32 s35, s35, exec_lo
	s_and_b32 s37, vcc_lo, exec_lo
	s_delay_alu instid0(SALU_CYCLE_1)
	s_or_b32 s35, s35, s37
	s_or_b32 exec_lo, exec_lo, s36
	s_and_saveexec_b32 s36, s35
	s_cbranch_execnz .LBB166_1208
	s_branch .LBB166_1209
.LBB166_1226:
	s_mov_b32 s35, -1
                                        ; implicit-def: $vgpr3
	s_branch .LBB166_1231
.LBB166_1227:
	s_mov_b32 s35, -1
                                        ; implicit-def: $vgpr3
.LBB166_1228:
	s_delay_alu instid0(SALU_CYCLE_1)
	s_and_b32 vcc_lo, exec_lo, s35
	s_cbranch_vccz .LBB166_1230
; %bb.1229:
	s_wait_loadcnt 0x0
	global_load_u8 v3, v[0:1], off
	s_wait_loadcnt 0x0
	v_lshlrev_b32_e32 v3, 24, v3
	s_delay_alu instid0(VALU_DEP_1) | instskip(NEXT) | instid1(VALU_DEP_1)
	v_and_b32_e32 v4, 0x7f000000, v3
	v_clz_i32_u32_e32 v5, v4
	v_cmp_ne_u32_e32 vcc_lo, 0, v4
	v_add_nc_u32_e32 v7, 0x1000000, v4
	s_delay_alu instid0(VALU_DEP_3) | instskip(NEXT) | instid1(VALU_DEP_1)
	v_min_u32_e32 v5, 32, v5
	v_sub_nc_u32_e64 v5, v5, 4 clamp
	s_delay_alu instid0(VALU_DEP_1) | instskip(NEXT) | instid1(VALU_DEP_1)
	v_dual_lshlrev_b32 v6, v5, v4 :: v_dual_lshlrev_b32 v5, 23, v5
	v_lshrrev_b32_e32 v6, 4, v6
	s_delay_alu instid0(VALU_DEP_1) | instskip(NEXT) | instid1(VALU_DEP_1)
	v_dual_sub_nc_u32 v5, v6, v5 :: v_dual_ashrrev_i32 v6, 8, v7
	v_add_nc_u32_e32 v5, 0x3c000000, v5
	s_delay_alu instid0(VALU_DEP_1) | instskip(NEXT) | instid1(VALU_DEP_1)
	v_and_or_b32 v5, 0x7f800000, v6, v5
	v_cndmask_b32_e32 v4, 0, v5, vcc_lo
	s_delay_alu instid0(VALU_DEP_1) | instskip(SKIP_1) | instid1(VALU_DEP_2)
	v_and_or_b32 v3, 0x80000000, v3, v4
	v_bfe_u32 v4, v4, 16, 1
	v_cmp_o_f32_e32 vcc_lo, v3, v3
	s_delay_alu instid0(VALU_DEP_2) | instskip(NEXT) | instid1(VALU_DEP_1)
	v_add3_u32 v4, v3, v4, 0x7fff
	v_lshrrev_b32_e32 v4, 16, v4
	s_delay_alu instid0(VALU_DEP_1)
	v_cndmask_b32_e32 v3, 0x7fc0, v4, vcc_lo
.LBB166_1230:
	s_mov_b32 s35, 0
.LBB166_1231:
	s_delay_alu instid0(SALU_CYCLE_1)
	s_and_not1_b32 vcc_lo, exec_lo, s35
	s_cbranch_vccnz .LBB166_1233
; %bb.1232:
	s_wait_loadcnt 0x0
	global_load_u8 v3, v[0:1], off
	s_wait_loadcnt 0x0
	v_lshlrev_b32_e32 v4, 25, v3
	v_lshlrev_b16 v3, 8, v3
	s_delay_alu instid0(VALU_DEP_1) | instskip(SKIP_1) | instid1(VALU_DEP_2)
	v_and_or_b32 v6, 0x7f00, v3, 0.5
	v_bfe_i32 v3, v3, 0, 16
	v_dual_add_f32 v6, -0.5, v6 :: v_dual_lshrrev_b32 v5, 4, v4
	v_cmp_gt_u32_e32 vcc_lo, 0x8000000, v4
	s_delay_alu instid0(VALU_DEP_2) | instskip(NEXT) | instid1(VALU_DEP_1)
	v_or_b32_e32 v5, 0x70000000, v5
	v_mul_f32_e32 v5, 0x7800000, v5
	s_delay_alu instid0(VALU_DEP_1) | instskip(NEXT) | instid1(VALU_DEP_1)
	v_cndmask_b32_e32 v4, v5, v6, vcc_lo
	v_and_or_b32 v3, 0x80000000, v3, v4
	v_bfe_u32 v4, v4, 16, 1
	s_delay_alu instid0(VALU_DEP_2) | instskip(NEXT) | instid1(VALU_DEP_2)
	v_cmp_o_f32_e32 vcc_lo, v3, v3
	v_add3_u32 v4, v3, v4, 0x7fff
	s_delay_alu instid0(VALU_DEP_1) | instskip(NEXT) | instid1(VALU_DEP_1)
	v_lshrrev_b32_e32 v4, 16, v4
	v_cndmask_b32_e32 v3, 0x7fc0, v4, vcc_lo
.LBB166_1233:
	s_mov_b32 s36, 0
	s_mov_b32 s35, -1
.LBB166_1234:
	s_and_not1_b32 vcc_lo, exec_lo, s36
	s_cbranch_vccnz .LBB166_1247
; %bb.1235:
	s_cmp_gt_i32 s34, 14
	s_cbranch_scc0 .LBB166_1238
; %bb.1236:
	s_cmp_eq_u32 s34, 15
	s_cbranch_scc0 .LBB166_1241
; %bb.1237:
	s_wait_loadcnt 0x0
	global_load_u16 v3, v[0:1], off
	s_mov_b32 s35, -1
	s_mov_b32 s33, 0
	s_branch .LBB166_1242
.LBB166_1238:
	s_mov_b32 s36, -1
                                        ; implicit-def: $vgpr3
	s_branch .LBB166_1243
.LBB166_1239:
	s_or_saveexec_b32 s36, s36
	v_mov_b32_e32 v4, 0x7f800001
	s_xor_b32 exec_lo, exec_lo, s36
	s_cbranch_execz .LBB166_1220
.LBB166_1240:
	v_cmp_ne_u16_e32 vcc_lo, 0, v3
	v_mov_b32_e32 v4, 0
	s_and_not1_b32 s35, s35, exec_lo
	s_and_b32 s37, vcc_lo, exec_lo
	s_delay_alu instid0(SALU_CYCLE_1)
	s_or_b32 s35, s35, s37
	s_or_b32 exec_lo, exec_lo, s36
	s_and_saveexec_b32 s36, s35
	s_cbranch_execnz .LBB166_1221
	s_branch .LBB166_1222
.LBB166_1241:
	s_mov_b32 s33, -1
                                        ; implicit-def: $vgpr3
.LBB166_1242:
	s_mov_b32 s36, 0
.LBB166_1243:
	s_delay_alu instid0(SALU_CYCLE_1)
	s_and_b32 vcc_lo, exec_lo, s36
	s_cbranch_vccz .LBB166_1247
; %bb.1244:
	s_cmp_eq_u32 s34, 11
	s_cbranch_scc0 .LBB166_1246
; %bb.1245:
	s_wait_loadcnt 0x0
	global_load_u8 v3, v[0:1], off
	s_mov_b32 s33, 0
	s_mov_b32 s35, -1
	s_wait_loadcnt 0x0
	v_cmp_ne_u16_e32 vcc_lo, 0, v3
	v_cndmask_b32_e64 v3, 0, 1.0, vcc_lo
	s_delay_alu instid0(VALU_DEP_1)
	v_lshrrev_b32_e32 v3, 16, v3
	s_branch .LBB166_1247
.LBB166_1246:
	s_mov_b32 s33, -1
                                        ; implicit-def: $vgpr3
.LBB166_1247:
	s_mov_b32 s34, 0
.LBB166_1248:
	s_delay_alu instid0(SALU_CYCLE_1)
	s_and_b32 vcc_lo, exec_lo, s34
	s_cbranch_vccz .LBB166_1297
; %bb.1249:
	s_and_b32 s0, 0xffff, s0
	s_delay_alu instid0(SALU_CYCLE_1)
	s_cmp_lt_i32 s0, 5
	s_cbranch_scc1 .LBB166_1254
; %bb.1250:
	s_cmp_lt_i32 s0, 8
	s_cbranch_scc1 .LBB166_1255
; %bb.1251:
	;; [unrolled: 3-line block ×3, first 2 shown]
	s_cmp_gt_i32 s0, 9
	s_cbranch_scc0 .LBB166_1257
; %bb.1253:
	s_wait_loadcnt 0x0
	global_load_b64 v[4:5], v[0:1], off
	s_mov_b32 s34, 0
	s_wait_loadcnt 0x0
	v_cvt_f32_f64_e32 v3, v[4:5]
	s_delay_alu instid0(VALU_DEP_1) | instskip(SKIP_1) | instid1(VALU_DEP_2)
	v_bfe_u32 v4, v3, 16, 1
	v_cmp_o_f32_e32 vcc_lo, v3, v3
	v_add3_u32 v4, v3, v4, 0x7fff
	s_delay_alu instid0(VALU_DEP_1) | instskip(NEXT) | instid1(VALU_DEP_1)
	v_lshrrev_b32_e32 v4, 16, v4
	v_cndmask_b32_e32 v3, 0x7fc0, v4, vcc_lo
	s_branch .LBB166_1258
.LBB166_1254:
	s_mov_b32 s34, -1
                                        ; implicit-def: $vgpr3
	s_branch .LBB166_1276
.LBB166_1255:
	s_mov_b32 s34, -1
                                        ; implicit-def: $vgpr3
	s_branch .LBB166_1264
.LBB166_1256:
	s_mov_b32 s34, -1
                                        ; implicit-def: $vgpr3
	s_branch .LBB166_1261
.LBB166_1257:
	s_mov_b32 s34, -1
                                        ; implicit-def: $vgpr3
.LBB166_1258:
	s_delay_alu instid0(SALU_CYCLE_1)
	s_and_not1_b32 vcc_lo, exec_lo, s34
	s_cbranch_vccnz .LBB166_1260
; %bb.1259:
	s_wait_loadcnt 0x0
	global_load_b32 v3, v[0:1], off
	s_wait_loadcnt 0x0
	v_bfe_u32 v4, v3, 16, 1
	v_cmp_o_f32_e32 vcc_lo, v3, v3
	s_delay_alu instid0(VALU_DEP_2) | instskip(NEXT) | instid1(VALU_DEP_1)
	v_add3_u32 v4, v3, v4, 0x7fff
	v_lshrrev_b32_e32 v4, 16, v4
	s_delay_alu instid0(VALU_DEP_1)
	v_cndmask_b32_e32 v3, 0x7fc0, v4, vcc_lo
.LBB166_1260:
	s_mov_b32 s34, 0
.LBB166_1261:
	s_delay_alu instid0(SALU_CYCLE_1)
	s_and_not1_b32 vcc_lo, exec_lo, s34
	s_cbranch_vccnz .LBB166_1263
; %bb.1262:
	s_wait_loadcnt 0x0
	global_load_b32 v3, v[0:1], off
	s_wait_loadcnt 0x0
	v_cvt_f32_f16_e32 v4, v3
	v_cmp_o_f16_e32 vcc_lo, v3, v3
	s_delay_alu instid0(VALU_DEP_2) | instskip(NEXT) | instid1(VALU_DEP_1)
	v_bfe_u32 v5, v4, 16, 1
	v_add3_u32 v4, v4, v5, 0x7fff
	s_delay_alu instid0(VALU_DEP_1) | instskip(NEXT) | instid1(VALU_DEP_1)
	v_lshrrev_b32_e32 v4, 16, v4
	v_cndmask_b32_e32 v3, 0x7fc0, v4, vcc_lo
.LBB166_1263:
	s_mov_b32 s34, 0
.LBB166_1264:
	s_delay_alu instid0(SALU_CYCLE_1)
	s_and_not1_b32 vcc_lo, exec_lo, s34
	s_cbranch_vccnz .LBB166_1275
; %bb.1265:
	s_cmp_lt_i32 s0, 6
	s_cbranch_scc1 .LBB166_1268
; %bb.1266:
	s_cmp_gt_i32 s0, 6
	s_cbranch_scc0 .LBB166_1269
; %bb.1267:
	s_wait_loadcnt 0x0
	global_load_b64 v[4:5], v[0:1], off
	s_mov_b32 s34, 0
	s_wait_loadcnt 0x0
	v_cvt_f32_f64_e32 v3, v[4:5]
	s_delay_alu instid0(VALU_DEP_1) | instskip(SKIP_1) | instid1(VALU_DEP_2)
	v_bfe_u32 v4, v3, 16, 1
	v_cmp_o_f32_e32 vcc_lo, v3, v3
	v_add3_u32 v4, v3, v4, 0x7fff
	s_delay_alu instid0(VALU_DEP_1) | instskip(NEXT) | instid1(VALU_DEP_1)
	v_lshrrev_b32_e32 v4, 16, v4
	v_cndmask_b32_e32 v3, 0x7fc0, v4, vcc_lo
	s_branch .LBB166_1270
.LBB166_1268:
	s_mov_b32 s34, -1
                                        ; implicit-def: $vgpr3
	s_branch .LBB166_1273
.LBB166_1269:
	s_mov_b32 s34, -1
                                        ; implicit-def: $vgpr3
.LBB166_1270:
	s_delay_alu instid0(SALU_CYCLE_1)
	s_and_not1_b32 vcc_lo, exec_lo, s34
	s_cbranch_vccnz .LBB166_1272
; %bb.1271:
	s_wait_loadcnt 0x0
	global_load_b32 v3, v[0:1], off
	s_wait_loadcnt 0x0
	v_bfe_u32 v4, v3, 16, 1
	v_cmp_o_f32_e32 vcc_lo, v3, v3
	s_delay_alu instid0(VALU_DEP_2) | instskip(NEXT) | instid1(VALU_DEP_1)
	v_add3_u32 v4, v3, v4, 0x7fff
	v_lshrrev_b32_e32 v4, 16, v4
	s_delay_alu instid0(VALU_DEP_1)
	v_cndmask_b32_e32 v3, 0x7fc0, v4, vcc_lo
.LBB166_1272:
	s_mov_b32 s34, 0
.LBB166_1273:
	s_delay_alu instid0(SALU_CYCLE_1)
	s_and_not1_b32 vcc_lo, exec_lo, s34
	s_cbranch_vccnz .LBB166_1275
; %bb.1274:
	s_wait_loadcnt 0x0
	global_load_u16 v3, v[0:1], off
	s_wait_loadcnt 0x0
	v_cvt_f32_f16_e32 v4, v3
	v_cmp_o_f16_e32 vcc_lo, v3, v3
	s_delay_alu instid0(VALU_DEP_2) | instskip(NEXT) | instid1(VALU_DEP_1)
	v_bfe_u32 v5, v4, 16, 1
	v_add3_u32 v4, v4, v5, 0x7fff
	s_delay_alu instid0(VALU_DEP_1) | instskip(NEXT) | instid1(VALU_DEP_1)
	v_lshrrev_b32_e32 v4, 16, v4
	v_cndmask_b32_e32 v3, 0x7fc0, v4, vcc_lo
.LBB166_1275:
	s_mov_b32 s34, 0
.LBB166_1276:
	s_delay_alu instid0(SALU_CYCLE_1)
	s_and_not1_b32 vcc_lo, exec_lo, s34
	s_cbranch_vccnz .LBB166_1296
; %bb.1277:
	s_cmp_lt_i32 s0, 2
	s_cbranch_scc1 .LBB166_1281
; %bb.1278:
	s_cmp_lt_i32 s0, 3
	s_cbranch_scc1 .LBB166_1282
; %bb.1279:
	s_cmp_gt_i32 s0, 3
	s_cbranch_scc0 .LBB166_1283
; %bb.1280:
	s_wait_loadcnt 0x0
	global_load_b64 v[4:5], v[0:1], off
	s_mov_b32 s34, 0
	s_wait_loadcnt 0x0
	v_xor_b32_e32 v3, v4, v5
	v_cls_i32_e32 v6, v5
	s_delay_alu instid0(VALU_DEP_2) | instskip(NEXT) | instid1(VALU_DEP_1)
	v_ashrrev_i32_e32 v3, 31, v3
	v_add_nc_u32_e32 v3, 32, v3
	s_delay_alu instid0(VALU_DEP_1) | instskip(NEXT) | instid1(VALU_DEP_1)
	v_add_min_u32_e64 v3, v6, -1, v3
	v_lshlrev_b64_e32 v[4:5], v3, v[4:5]
	v_sub_nc_u32_e32 v3, 32, v3
	s_delay_alu instid0(VALU_DEP_2) | instskip(NEXT) | instid1(VALU_DEP_1)
	v_min_u32_e32 v4, 1, v4
	v_or_b32_e32 v4, v5, v4
	s_delay_alu instid0(VALU_DEP_1) | instskip(NEXT) | instid1(VALU_DEP_1)
	v_cvt_f32_i32_e32 v4, v4
	v_ldexp_f32 v3, v4, v3
	s_delay_alu instid0(VALU_DEP_1) | instskip(NEXT) | instid1(VALU_DEP_1)
	v_bfe_u32 v4, v3, 16, 1
	v_add3_u32 v3, v3, v4, 0x7fff
	s_delay_alu instid0(VALU_DEP_1)
	v_lshrrev_b32_e32 v3, 16, v3
	s_branch .LBB166_1284
.LBB166_1281:
	s_mov_b32 s34, -1
                                        ; implicit-def: $vgpr3
	s_branch .LBB166_1290
.LBB166_1282:
	s_mov_b32 s34, -1
                                        ; implicit-def: $vgpr3
	s_branch .LBB166_1287
.LBB166_1283:
	s_mov_b32 s34, -1
                                        ; implicit-def: $vgpr3
.LBB166_1284:
	s_delay_alu instid0(SALU_CYCLE_1)
	s_and_not1_b32 vcc_lo, exec_lo, s34
	s_cbranch_vccnz .LBB166_1286
; %bb.1285:
	s_wait_loadcnt 0x0
	global_load_b32 v3, v[0:1], off
	s_wait_loadcnt 0x0
	v_cvt_f32_i32_e32 v3, v3
	s_delay_alu instid0(VALU_DEP_1) | instskip(NEXT) | instid1(VALU_DEP_1)
	v_bfe_u32 v4, v3, 16, 1
	v_add3_u32 v3, v3, v4, 0x7fff
	s_delay_alu instid0(VALU_DEP_1)
	v_lshrrev_b32_e32 v3, 16, v3
.LBB166_1286:
	s_mov_b32 s34, 0
.LBB166_1287:
	s_delay_alu instid0(SALU_CYCLE_1)
	s_and_not1_b32 vcc_lo, exec_lo, s34
	s_cbranch_vccnz .LBB166_1289
; %bb.1288:
	s_wait_loadcnt 0x0
	global_load_i16 v3, v[0:1], off
	s_wait_loadcnt 0x0
	v_cvt_f32_i32_e32 v3, v3
	s_delay_alu instid0(VALU_DEP_1) | instskip(NEXT) | instid1(VALU_DEP_1)
	v_bfe_u32 v4, v3, 16, 1
	v_add3_u32 v3, v3, v4, 0x7fff
	s_delay_alu instid0(VALU_DEP_1)
	v_lshrrev_b32_e32 v3, 16, v3
.LBB166_1289:
	s_mov_b32 s34, 0
.LBB166_1290:
	s_delay_alu instid0(SALU_CYCLE_1)
	s_and_not1_b32 vcc_lo, exec_lo, s34
	s_cbranch_vccnz .LBB166_1296
; %bb.1291:
	s_cmp_gt_i32 s0, 0
	s_mov_b32 s0, 0
	s_cbranch_scc0 .LBB166_1293
; %bb.1292:
	s_wait_loadcnt 0x0
	global_load_i8 v3, v[0:1], off
	s_wait_loadcnt 0x0
	v_cvt_f32_i32_e32 v3, v3
	s_delay_alu instid0(VALU_DEP_1) | instskip(NEXT) | instid1(VALU_DEP_1)
	v_bfe_u32 v4, v3, 16, 1
	v_add3_u32 v3, v3, v4, 0x7fff
	s_delay_alu instid0(VALU_DEP_1)
	v_lshrrev_b32_e32 v3, 16, v3
	s_branch .LBB166_1294
.LBB166_1293:
	s_mov_b32 s0, -1
                                        ; implicit-def: $vgpr3
.LBB166_1294:
	s_delay_alu instid0(SALU_CYCLE_1)
	s_and_not1_b32 vcc_lo, exec_lo, s0
	s_cbranch_vccnz .LBB166_1296
; %bb.1295:
	global_load_u8 v0, v[0:1], off
	s_wait_loadcnt 0x0
	v_cvt_f32_ubyte0_e32 v0, v0
	s_delay_alu instid0(VALU_DEP_1) | instskip(NEXT) | instid1(VALU_DEP_1)
	v_bfe_u32 v1, v0, 16, 1
	v_add3_u32 v0, v0, v1, 0x7fff
	s_delay_alu instid0(VALU_DEP_1)
	v_lshrrev_b32_e32 v3, 16, v0
.LBB166_1296:
	s_mov_b32 s35, -1
.LBB166_1297:
	s_delay_alu instid0(SALU_CYCLE_1)
	s_and_not1_b32 vcc_lo, exec_lo, s35
	s_cbranch_vccnz .LBB166_1305
; %bb.1298:
	s_wait_xcnt 0x0
	v_mul_lo_u32 v0, v8, s15
	s_and_b32 s0, 0xffff, s1
	s_delay_alu instid0(SALU_CYCLE_1) | instskip(NEXT) | instid1(VALU_DEP_1)
	s_cmp_lt_i32 s0, 11
	v_ashrrev_i32_e32 v1, 31, v0
	s_delay_alu instid0(VALU_DEP_1)
	v_add_nc_u64_e32 v[0:1], s[10:11], v[0:1]
	s_cbranch_scc1 .LBB166_1306
; %bb.1299:
	s_cmp_gt_i32 s0, 25
	s_cbranch_scc0 .LBB166_1307
; %bb.1300:
	s_cmp_gt_i32 s0, 28
	s_cbranch_scc0 .LBB166_1308
	;; [unrolled: 3-line block ×4, first 2 shown]
; %bb.1303:
	s_cmp_eq_u32 s0, 46
	s_mov_b32 s36, 0
	s_cbranch_scc0 .LBB166_1313
; %bb.1304:
	s_wait_loadcnt 0x0
	global_load_b32 v4, v[0:1], off
	s_mov_b32 s35, -1
	s_mov_b32 s34, 0
	s_branch .LBB166_1315
.LBB166_1305:
	s_mov_b32 s36, 0
	s_mov_b32 s0, s26
	;; [unrolled: 1-line block ×3, first 2 shown]
	s_branch .LBB166_1554
.LBB166_1306:
	s_mov_b32 s36, -1
	s_mov_b32 s35, 0
	s_mov_b32 s34, s27
                                        ; implicit-def: $vgpr4
	s_branch .LBB166_1380
.LBB166_1307:
	s_mov_b32 s36, -1
	s_mov_b32 s35, 0
	s_mov_b32 s34, s27
                                        ; implicit-def: $vgpr4
	s_branch .LBB166_1344
.LBB166_1308:
	s_mov_b32 s36, -1
	s_mov_b32 s35, 0
	s_mov_b32 s34, s27
                                        ; implicit-def: $vgpr4
	s_branch .LBB166_1325
.LBB166_1309:
	s_mov_b32 s36, -1
	s_mov_b32 s35, 0
	s_mov_b32 s34, s27
                                        ; implicit-def: $vgpr4
	s_branch .LBB166_1320
.LBB166_1310:
	s_mov_b32 s36, -1
	s_mov_b32 s35, 0
	s_mov_b32 s34, s27
	s_branch .LBB166_1314
.LBB166_1311:
	s_and_not1_saveexec_b32 s34, s34
	s_cbranch_execz .LBB166_956
.LBB166_1312:
	v_add_f32_e64 v4, 0x42800000, |v5|
	s_and_not1_b32 s33, s33, exec_lo
	s_delay_alu instid0(VALU_DEP_1) | instskip(NEXT) | instid1(VALU_DEP_1)
	v_and_b32_e32 v4, 0xff, v4
	v_cmp_ne_u32_e32 vcc_lo, 0, v4
	s_and_b32 s35, vcc_lo, exec_lo
	s_delay_alu instid0(SALU_CYCLE_1)
	s_or_b32 s33, s33, s35
	s_or_b32 exec_lo, exec_lo, s34
	v_mov_b32_e32 v6, 0
	s_and_saveexec_b32 s34, s33
	s_cbranch_execnz .LBB166_957
	s_branch .LBB166_958
.LBB166_1313:
	s_mov_b32 s34, -1
	s_mov_b32 s35, 0
.LBB166_1314:
                                        ; implicit-def: $vgpr4
.LBB166_1315:
	s_and_b32 vcc_lo, exec_lo, s36
	s_cbranch_vccz .LBB166_1319
; %bb.1316:
	s_cmp_eq_u32 s0, 44
	s_cbranch_scc0 .LBB166_1318
; %bb.1317:
	s_wait_loadcnt 0x0
	global_load_u8 v4, v[0:1], off
	s_mov_b32 s34, 0
	s_mov_b32 s35, -1
	s_wait_loadcnt 0x0
	v_lshlrev_b32_e32 v5, 23, v4
	v_cmp_ne_u32_e32 vcc_lo, 0xff, v4
	s_delay_alu instid0(VALU_DEP_2) | instskip(SKIP_1) | instid1(VALU_DEP_2)
	v_cndmask_b32_e32 v5, 0x7f800001, v5, vcc_lo
	v_cmp_ne_u32_e32 vcc_lo, 0, v4
	v_cndmask_b32_e32 v4, 0x400000, v5, vcc_lo
	s_delay_alu instid0(VALU_DEP_1) | instskip(NEXT) | instid1(VALU_DEP_1)
	v_add_nc_u32_e32 v5, 0x7fff, v4
	v_lshrrev_b32_e32 v5, 16, v5
	v_cmp_o_f32_e32 vcc_lo, v4, v4
	s_delay_alu instid0(VALU_DEP_2)
	v_cndmask_b32_e32 v4, 0x7fc0, v5, vcc_lo
	s_branch .LBB166_1319
.LBB166_1318:
	s_mov_b32 s34, -1
                                        ; implicit-def: $vgpr4
.LBB166_1319:
	s_mov_b32 s36, 0
.LBB166_1320:
	s_delay_alu instid0(SALU_CYCLE_1)
	s_and_b32 vcc_lo, exec_lo, s36
	s_cbranch_vccz .LBB166_1324
; %bb.1321:
	s_cmp_eq_u32 s0, 29
	s_cbranch_scc0 .LBB166_1323
; %bb.1322:
	s_wait_loadcnt 0x0
	global_load_b64 v[4:5], v[0:1], off
	s_mov_b32 s35, -1
	s_mov_b32 s34, 0
	s_mov_b32 s36, 0
	s_wait_loadcnt 0x0
	v_clz_i32_u32_e32 v6, v5
	s_delay_alu instid0(VALU_DEP_1) | instskip(NEXT) | instid1(VALU_DEP_1)
	v_min_u32_e32 v6, 32, v6
	v_lshlrev_b64_e32 v[4:5], v6, v[4:5]
	s_delay_alu instid0(VALU_DEP_1) | instskip(NEXT) | instid1(VALU_DEP_1)
	v_min_u32_e32 v4, 1, v4
	v_dual_sub_nc_u32 v5, 32, v6 :: v_dual_bitop2_b32 v4, v5, v4 bitop3:0x54
	s_delay_alu instid0(VALU_DEP_1) | instskip(NEXT) | instid1(VALU_DEP_1)
	v_cvt_f32_u32_e32 v4, v4
	v_ldexp_f32 v4, v4, v5
	s_delay_alu instid0(VALU_DEP_1) | instskip(NEXT) | instid1(VALU_DEP_1)
	v_bfe_u32 v5, v4, 16, 1
	v_add3_u32 v4, v4, v5, 0x7fff
	s_delay_alu instid0(VALU_DEP_1)
	v_lshrrev_b32_e32 v4, 16, v4
	s_branch .LBB166_1325
.LBB166_1323:
	s_mov_b32 s34, -1
                                        ; implicit-def: $vgpr4
.LBB166_1324:
	s_mov_b32 s36, 0
.LBB166_1325:
	s_delay_alu instid0(SALU_CYCLE_1)
	s_and_b32 vcc_lo, exec_lo, s36
	s_cbranch_vccz .LBB166_1343
; %bb.1326:
	s_cmp_lt_i32 s0, 27
	s_cbranch_scc1 .LBB166_1329
; %bb.1327:
	s_cmp_gt_i32 s0, 27
	s_cbranch_scc0 .LBB166_1330
; %bb.1328:
	s_wait_loadcnt 0x0
	global_load_b32 v4, v[0:1], off
	s_mov_b32 s35, 0
	s_wait_loadcnt 0x0
	v_cvt_f32_u32_e32 v4, v4
	s_delay_alu instid0(VALU_DEP_1) | instskip(NEXT) | instid1(VALU_DEP_1)
	v_bfe_u32 v5, v4, 16, 1
	v_add3_u32 v4, v4, v5, 0x7fff
	s_delay_alu instid0(VALU_DEP_1)
	v_lshrrev_b32_e32 v4, 16, v4
	s_branch .LBB166_1331
.LBB166_1329:
	s_mov_b32 s35, -1
                                        ; implicit-def: $vgpr4
	s_branch .LBB166_1334
.LBB166_1330:
	s_mov_b32 s35, -1
                                        ; implicit-def: $vgpr4
.LBB166_1331:
	s_delay_alu instid0(SALU_CYCLE_1)
	s_and_not1_b32 vcc_lo, exec_lo, s35
	s_cbranch_vccnz .LBB166_1333
; %bb.1332:
	s_wait_loadcnt 0x0
	global_load_u16 v4, v[0:1], off
	s_wait_loadcnt 0x0
	v_cvt_f32_u32_e32 v4, v4
	s_delay_alu instid0(VALU_DEP_1) | instskip(NEXT) | instid1(VALU_DEP_1)
	v_bfe_u32 v5, v4, 16, 1
	v_add3_u32 v4, v4, v5, 0x7fff
	s_delay_alu instid0(VALU_DEP_1)
	v_lshrrev_b32_e32 v4, 16, v4
.LBB166_1333:
	s_mov_b32 s35, 0
.LBB166_1334:
	s_delay_alu instid0(SALU_CYCLE_1)
	s_and_not1_b32 vcc_lo, exec_lo, s35
	s_cbranch_vccnz .LBB166_1342
; %bb.1335:
	s_wait_loadcnt 0x0
	global_load_u8 v4, v[0:1], off
	s_mov_b32 s35, 0
	s_mov_b32 s36, exec_lo
	s_wait_loadcnt 0x0
	v_cmpx_lt_i16_e32 0x7f, v4
	s_xor_b32 s36, exec_lo, s36
	s_cbranch_execz .LBB166_1356
; %bb.1336:
	s_mov_b32 s35, -1
	s_mov_b32 s37, exec_lo
	v_cmpx_eq_u16_e32 0x80, v4
; %bb.1337:
	s_xor_b32 s35, exec_lo, -1
; %bb.1338:
	s_or_b32 exec_lo, exec_lo, s37
	s_delay_alu instid0(SALU_CYCLE_1)
	s_and_b32 s35, s35, exec_lo
	s_or_saveexec_b32 s36, s36
	v_mov_b32_e32 v5, 0x7f800001
	s_xor_b32 exec_lo, exec_lo, s36
	s_cbranch_execnz .LBB166_1357
.LBB166_1339:
	s_or_b32 exec_lo, exec_lo, s36
	s_and_saveexec_b32 s36, s35
	s_cbranch_execz .LBB166_1341
.LBB166_1340:
	v_and_b32_e32 v5, 0xffff, v4
	s_delay_alu instid0(VALU_DEP_1) | instskip(SKIP_1) | instid1(VALU_DEP_2)
	v_and_b32_e32 v6, 7, v5
	v_bfe_u32 v10, v5, 3, 4
	v_clz_i32_u32_e32 v7, v6
	s_delay_alu instid0(VALU_DEP_2) | instskip(NEXT) | instid1(VALU_DEP_2)
	v_cmp_eq_u32_e32 vcc_lo, 0, v10
	v_min_u32_e32 v7, 32, v7
	s_delay_alu instid0(VALU_DEP_1) | instskip(NEXT) | instid1(VALU_DEP_1)
	v_subrev_nc_u32_e32 v9, 28, v7
	v_dual_lshlrev_b32 v5, v9, v5 :: v_dual_sub_nc_u32 v7, 29, v7
	s_delay_alu instid0(VALU_DEP_1) | instskip(NEXT) | instid1(VALU_DEP_2)
	v_dual_lshlrev_b32 v4, 24, v4 :: v_dual_bitop2_b32 v5, 7, v5 bitop3:0x40
	v_cndmask_b32_e32 v7, v10, v7, vcc_lo
	s_delay_alu instid0(VALU_DEP_2) | instskip(NEXT) | instid1(VALU_DEP_3)
	v_cndmask_b32_e32 v5, v6, v5, vcc_lo
	v_and_b32_e32 v4, 0x80000000, v4
	s_delay_alu instid0(VALU_DEP_3) | instskip(NEXT) | instid1(VALU_DEP_3)
	v_lshl_add_u32 v6, v7, 23, 0x3b800000
	v_lshlrev_b32_e32 v5, 20, v5
	s_delay_alu instid0(VALU_DEP_1)
	v_or3_b32 v5, v4, v6, v5
.LBB166_1341:
	s_or_b32 exec_lo, exec_lo, s36
	s_delay_alu instid0(VALU_DEP_1) | instskip(SKIP_1) | instid1(VALU_DEP_2)
	v_bfe_u32 v4, v5, 16, 1
	v_cmp_o_f32_e32 vcc_lo, v5, v5
	v_add3_u32 v4, v5, v4, 0x7fff
	s_delay_alu instid0(VALU_DEP_1) | instskip(NEXT) | instid1(VALU_DEP_1)
	v_lshrrev_b32_e32 v4, 16, v4
	v_cndmask_b32_e32 v4, 0x7fc0, v4, vcc_lo
.LBB166_1342:
	s_mov_b32 s35, -1
.LBB166_1343:
	s_mov_b32 s36, 0
.LBB166_1344:
	s_delay_alu instid0(SALU_CYCLE_1)
	s_and_b32 vcc_lo, exec_lo, s36
	s_cbranch_vccz .LBB166_1379
; %bb.1345:
	s_cmp_gt_i32 s0, 22
	s_cbranch_scc0 .LBB166_1355
; %bb.1346:
	s_cmp_lt_i32 s0, 24
	s_cbranch_scc1 .LBB166_1358
; %bb.1347:
	s_cmp_gt_i32 s0, 24
	s_cbranch_scc0 .LBB166_1359
; %bb.1348:
	s_wait_loadcnt 0x0
	global_load_u8 v4, v[0:1], off
	s_mov_b32 s35, 0
	s_mov_b32 s36, exec_lo
	s_wait_loadcnt 0x0
	v_cmpx_lt_i16_e32 0x7f, v4
	s_xor_b32 s36, exec_lo, s36
	s_cbranch_execz .LBB166_1371
; %bb.1349:
	s_mov_b32 s35, -1
	s_mov_b32 s37, exec_lo
	v_cmpx_eq_u16_e32 0x80, v4
; %bb.1350:
	s_xor_b32 s35, exec_lo, -1
; %bb.1351:
	s_or_b32 exec_lo, exec_lo, s37
	s_delay_alu instid0(SALU_CYCLE_1)
	s_and_b32 s35, s35, exec_lo
	s_or_saveexec_b32 s36, s36
	v_mov_b32_e32 v5, 0x7f800001
	s_xor_b32 exec_lo, exec_lo, s36
	s_cbranch_execnz .LBB166_1372
.LBB166_1352:
	s_or_b32 exec_lo, exec_lo, s36
	s_and_saveexec_b32 s36, s35
	s_cbranch_execz .LBB166_1354
.LBB166_1353:
	v_and_b32_e32 v5, 0xffff, v4
	s_delay_alu instid0(VALU_DEP_1) | instskip(SKIP_1) | instid1(VALU_DEP_2)
	v_and_b32_e32 v6, 3, v5
	v_bfe_u32 v10, v5, 2, 5
	v_clz_i32_u32_e32 v7, v6
	s_delay_alu instid0(VALU_DEP_2) | instskip(NEXT) | instid1(VALU_DEP_2)
	v_cmp_eq_u32_e32 vcc_lo, 0, v10
	v_min_u32_e32 v7, 32, v7
	s_delay_alu instid0(VALU_DEP_1) | instskip(NEXT) | instid1(VALU_DEP_1)
	v_subrev_nc_u32_e32 v9, 29, v7
	v_dual_lshlrev_b32 v5, v9, v5 :: v_dual_sub_nc_u32 v7, 30, v7
	s_delay_alu instid0(VALU_DEP_1) | instskip(NEXT) | instid1(VALU_DEP_2)
	v_dual_lshlrev_b32 v4, 24, v4 :: v_dual_bitop2_b32 v5, 3, v5 bitop3:0x40
	v_cndmask_b32_e32 v7, v10, v7, vcc_lo
	s_delay_alu instid0(VALU_DEP_2) | instskip(NEXT) | instid1(VALU_DEP_3)
	v_cndmask_b32_e32 v5, v6, v5, vcc_lo
	v_and_b32_e32 v4, 0x80000000, v4
	s_delay_alu instid0(VALU_DEP_3) | instskip(NEXT) | instid1(VALU_DEP_3)
	v_lshl_add_u32 v6, v7, 23, 0x37800000
	v_lshlrev_b32_e32 v5, 21, v5
	s_delay_alu instid0(VALU_DEP_1)
	v_or3_b32 v5, v4, v6, v5
.LBB166_1354:
	s_or_b32 exec_lo, exec_lo, s36
	s_delay_alu instid0(VALU_DEP_1) | instskip(SKIP_2) | instid1(VALU_DEP_2)
	v_bfe_u32 v4, v5, 16, 1
	v_cmp_o_f32_e32 vcc_lo, v5, v5
	s_mov_b32 s35, 0
	v_add3_u32 v4, v5, v4, 0x7fff
	s_delay_alu instid0(VALU_DEP_1) | instskip(NEXT) | instid1(VALU_DEP_1)
	v_lshrrev_b32_e32 v4, 16, v4
	v_cndmask_b32_e32 v4, 0x7fc0, v4, vcc_lo
	s_branch .LBB166_1360
.LBB166_1355:
	s_mov_b32 s36, -1
                                        ; implicit-def: $vgpr4
	s_branch .LBB166_1366
.LBB166_1356:
	s_or_saveexec_b32 s36, s36
	v_mov_b32_e32 v5, 0x7f800001
	s_xor_b32 exec_lo, exec_lo, s36
	s_cbranch_execz .LBB166_1339
.LBB166_1357:
	v_cmp_ne_u16_e32 vcc_lo, 0, v4
	v_mov_b32_e32 v5, 0
	s_and_not1_b32 s35, s35, exec_lo
	s_and_b32 s37, vcc_lo, exec_lo
	s_delay_alu instid0(SALU_CYCLE_1)
	s_or_b32 s35, s35, s37
	s_or_b32 exec_lo, exec_lo, s36
	s_and_saveexec_b32 s36, s35
	s_cbranch_execnz .LBB166_1340
	s_branch .LBB166_1341
.LBB166_1358:
	s_mov_b32 s35, -1
                                        ; implicit-def: $vgpr4
	s_branch .LBB166_1363
.LBB166_1359:
	s_mov_b32 s35, -1
                                        ; implicit-def: $vgpr4
.LBB166_1360:
	s_delay_alu instid0(SALU_CYCLE_1)
	s_and_b32 vcc_lo, exec_lo, s35
	s_cbranch_vccz .LBB166_1362
; %bb.1361:
	s_wait_loadcnt 0x0
	global_load_u8 v4, v[0:1], off
	s_wait_loadcnt 0x0
	v_lshlrev_b32_e32 v4, 24, v4
	s_delay_alu instid0(VALU_DEP_1) | instskip(NEXT) | instid1(VALU_DEP_1)
	v_and_b32_e32 v5, 0x7f000000, v4
	v_clz_i32_u32_e32 v6, v5
	v_add_nc_u32_e32 v9, 0x1000000, v5
	v_cmp_ne_u32_e32 vcc_lo, 0, v5
	s_delay_alu instid0(VALU_DEP_3) | instskip(NEXT) | instid1(VALU_DEP_1)
	v_min_u32_e32 v6, 32, v6
	v_sub_nc_u32_e64 v6, v6, 4 clamp
	s_delay_alu instid0(VALU_DEP_1) | instskip(NEXT) | instid1(VALU_DEP_1)
	v_dual_lshlrev_b32 v7, v6, v5 :: v_dual_lshlrev_b32 v6, 23, v6
	v_lshrrev_b32_e32 v7, 4, v7
	s_delay_alu instid0(VALU_DEP_1) | instskip(NEXT) | instid1(VALU_DEP_1)
	v_dual_sub_nc_u32 v6, v7, v6 :: v_dual_ashrrev_i32 v7, 8, v9
	v_add_nc_u32_e32 v6, 0x3c000000, v6
	s_delay_alu instid0(VALU_DEP_1) | instskip(NEXT) | instid1(VALU_DEP_1)
	v_and_or_b32 v6, 0x7f800000, v7, v6
	v_cndmask_b32_e32 v5, 0, v6, vcc_lo
	s_delay_alu instid0(VALU_DEP_1) | instskip(SKIP_1) | instid1(VALU_DEP_2)
	v_and_or_b32 v4, 0x80000000, v4, v5
	v_bfe_u32 v5, v5, 16, 1
	v_cmp_o_f32_e32 vcc_lo, v4, v4
	s_delay_alu instid0(VALU_DEP_2) | instskip(NEXT) | instid1(VALU_DEP_1)
	v_add3_u32 v5, v4, v5, 0x7fff
	v_lshrrev_b32_e32 v5, 16, v5
	s_delay_alu instid0(VALU_DEP_1)
	v_cndmask_b32_e32 v4, 0x7fc0, v5, vcc_lo
.LBB166_1362:
	s_mov_b32 s35, 0
.LBB166_1363:
	s_delay_alu instid0(SALU_CYCLE_1)
	s_and_not1_b32 vcc_lo, exec_lo, s35
	s_cbranch_vccnz .LBB166_1365
; %bb.1364:
	s_wait_loadcnt 0x0
	global_load_u8 v4, v[0:1], off
	s_wait_loadcnt 0x0
	v_lshlrev_b32_e32 v5, 25, v4
	v_lshlrev_b16 v4, 8, v4
	s_delay_alu instid0(VALU_DEP_1) | instskip(SKIP_1) | instid1(VALU_DEP_2)
	v_and_or_b32 v7, 0x7f00, v4, 0.5
	v_bfe_i32 v4, v4, 0, 16
	v_dual_add_f32 v7, -0.5, v7 :: v_dual_lshrrev_b32 v6, 4, v5
	v_cmp_gt_u32_e32 vcc_lo, 0x8000000, v5
	s_delay_alu instid0(VALU_DEP_2) | instskip(NEXT) | instid1(VALU_DEP_1)
	v_or_b32_e32 v6, 0x70000000, v6
	v_mul_f32_e32 v6, 0x7800000, v6
	s_delay_alu instid0(VALU_DEP_1) | instskip(NEXT) | instid1(VALU_DEP_1)
	v_cndmask_b32_e32 v5, v6, v7, vcc_lo
	v_and_or_b32 v4, 0x80000000, v4, v5
	v_bfe_u32 v5, v5, 16, 1
	s_delay_alu instid0(VALU_DEP_2) | instskip(NEXT) | instid1(VALU_DEP_2)
	v_cmp_o_f32_e32 vcc_lo, v4, v4
	v_add3_u32 v5, v4, v5, 0x7fff
	s_delay_alu instid0(VALU_DEP_1) | instskip(NEXT) | instid1(VALU_DEP_1)
	v_lshrrev_b32_e32 v5, 16, v5
	v_cndmask_b32_e32 v4, 0x7fc0, v5, vcc_lo
.LBB166_1365:
	s_mov_b32 s36, 0
	s_mov_b32 s35, -1
.LBB166_1366:
	s_and_not1_b32 vcc_lo, exec_lo, s36
	s_cbranch_vccnz .LBB166_1379
; %bb.1367:
	s_cmp_gt_i32 s0, 14
	s_cbranch_scc0 .LBB166_1370
; %bb.1368:
	s_cmp_eq_u32 s0, 15
	s_cbranch_scc0 .LBB166_1373
; %bb.1369:
	s_wait_loadcnt 0x0
	global_load_u16 v4, v[0:1], off
	s_mov_b32 s35, -1
	s_mov_b32 s34, 0
	s_branch .LBB166_1374
.LBB166_1370:
	s_mov_b32 s36, -1
                                        ; implicit-def: $vgpr4
	s_branch .LBB166_1375
.LBB166_1371:
	s_or_saveexec_b32 s36, s36
	v_mov_b32_e32 v5, 0x7f800001
	s_xor_b32 exec_lo, exec_lo, s36
	s_cbranch_execz .LBB166_1352
.LBB166_1372:
	v_cmp_ne_u16_e32 vcc_lo, 0, v4
	v_mov_b32_e32 v5, 0
	s_and_not1_b32 s35, s35, exec_lo
	s_and_b32 s37, vcc_lo, exec_lo
	s_delay_alu instid0(SALU_CYCLE_1)
	s_or_b32 s35, s35, s37
	s_or_b32 exec_lo, exec_lo, s36
	s_and_saveexec_b32 s36, s35
	s_cbranch_execnz .LBB166_1353
	s_branch .LBB166_1354
.LBB166_1373:
	s_mov_b32 s34, -1
                                        ; implicit-def: $vgpr4
.LBB166_1374:
	s_mov_b32 s36, 0
.LBB166_1375:
	s_delay_alu instid0(SALU_CYCLE_1)
	s_and_b32 vcc_lo, exec_lo, s36
	s_cbranch_vccz .LBB166_1379
; %bb.1376:
	s_cmp_eq_u32 s0, 11
	s_cbranch_scc0 .LBB166_1378
; %bb.1377:
	s_wait_loadcnt 0x0
	global_load_u8 v4, v[0:1], off
	s_mov_b32 s34, 0
	s_mov_b32 s35, -1
	s_wait_loadcnt 0x0
	v_cmp_ne_u16_e32 vcc_lo, 0, v4
	v_cndmask_b32_e64 v4, 0, 1.0, vcc_lo
	s_delay_alu instid0(VALU_DEP_1)
	v_lshrrev_b32_e32 v4, 16, v4
	s_branch .LBB166_1379
.LBB166_1378:
	s_mov_b32 s34, -1
                                        ; implicit-def: $vgpr4
.LBB166_1379:
	s_mov_b32 s36, 0
.LBB166_1380:
	s_delay_alu instid0(SALU_CYCLE_1)
	s_and_b32 vcc_lo, exec_lo, s36
	s_cbranch_vccz .LBB166_1429
; %bb.1381:
	s_cmp_lt_i32 s0, 5
	s_cbranch_scc1 .LBB166_1386
; %bb.1382:
	s_cmp_lt_i32 s0, 8
	s_cbranch_scc1 .LBB166_1387
	;; [unrolled: 3-line block ×3, first 2 shown]
; %bb.1384:
	s_cmp_gt_i32 s0, 9
	s_cbranch_scc0 .LBB166_1389
; %bb.1385:
	s_wait_loadcnt 0x0
	global_load_b64 v[4:5], v[0:1], off
	s_mov_b32 s35, 0
	s_wait_loadcnt 0x0
	v_cvt_f32_f64_e32 v4, v[4:5]
	s_delay_alu instid0(VALU_DEP_1) | instskip(SKIP_1) | instid1(VALU_DEP_2)
	v_bfe_u32 v5, v4, 16, 1
	v_cmp_o_f32_e32 vcc_lo, v4, v4
	v_add3_u32 v5, v4, v5, 0x7fff
	s_delay_alu instid0(VALU_DEP_1) | instskip(NEXT) | instid1(VALU_DEP_1)
	v_lshrrev_b32_e32 v5, 16, v5
	v_cndmask_b32_e32 v4, 0x7fc0, v5, vcc_lo
	s_branch .LBB166_1390
.LBB166_1386:
	s_mov_b32 s35, -1
                                        ; implicit-def: $vgpr4
	s_branch .LBB166_1408
.LBB166_1387:
	s_mov_b32 s35, -1
                                        ; implicit-def: $vgpr4
	s_branch .LBB166_1396
.LBB166_1388:
	s_mov_b32 s35, -1
                                        ; implicit-def: $vgpr4
	s_branch .LBB166_1393
.LBB166_1389:
	s_mov_b32 s35, -1
                                        ; implicit-def: $vgpr4
.LBB166_1390:
	s_delay_alu instid0(SALU_CYCLE_1)
	s_and_not1_b32 vcc_lo, exec_lo, s35
	s_cbranch_vccnz .LBB166_1392
; %bb.1391:
	s_wait_loadcnt 0x0
	global_load_b32 v4, v[0:1], off
	s_wait_loadcnt 0x0
	v_bfe_u32 v5, v4, 16, 1
	v_cmp_o_f32_e32 vcc_lo, v4, v4
	s_delay_alu instid0(VALU_DEP_2) | instskip(NEXT) | instid1(VALU_DEP_1)
	v_add3_u32 v5, v4, v5, 0x7fff
	v_lshrrev_b32_e32 v5, 16, v5
	s_delay_alu instid0(VALU_DEP_1)
	v_cndmask_b32_e32 v4, 0x7fc0, v5, vcc_lo
.LBB166_1392:
	s_mov_b32 s35, 0
.LBB166_1393:
	s_delay_alu instid0(SALU_CYCLE_1)
	s_and_not1_b32 vcc_lo, exec_lo, s35
	s_cbranch_vccnz .LBB166_1395
; %bb.1394:
	s_wait_loadcnt 0x0
	global_load_b32 v4, v[0:1], off
	s_wait_loadcnt 0x0
	v_cvt_f32_f16_e32 v5, v4
	v_cmp_o_f16_e32 vcc_lo, v4, v4
	s_delay_alu instid0(VALU_DEP_2) | instskip(NEXT) | instid1(VALU_DEP_1)
	v_bfe_u32 v6, v5, 16, 1
	v_add3_u32 v5, v5, v6, 0x7fff
	s_delay_alu instid0(VALU_DEP_1) | instskip(NEXT) | instid1(VALU_DEP_1)
	v_lshrrev_b32_e32 v5, 16, v5
	v_cndmask_b32_e32 v4, 0x7fc0, v5, vcc_lo
.LBB166_1395:
	s_mov_b32 s35, 0
.LBB166_1396:
	s_delay_alu instid0(SALU_CYCLE_1)
	s_and_not1_b32 vcc_lo, exec_lo, s35
	s_cbranch_vccnz .LBB166_1407
; %bb.1397:
	s_cmp_lt_i32 s0, 6
	s_cbranch_scc1 .LBB166_1400
; %bb.1398:
	s_cmp_gt_i32 s0, 6
	s_cbranch_scc0 .LBB166_1401
; %bb.1399:
	s_wait_loadcnt 0x0
	global_load_b64 v[4:5], v[0:1], off
	s_mov_b32 s35, 0
	s_wait_loadcnt 0x0
	v_cvt_f32_f64_e32 v4, v[4:5]
	s_delay_alu instid0(VALU_DEP_1) | instskip(SKIP_1) | instid1(VALU_DEP_2)
	v_bfe_u32 v5, v4, 16, 1
	v_cmp_o_f32_e32 vcc_lo, v4, v4
	v_add3_u32 v5, v4, v5, 0x7fff
	s_delay_alu instid0(VALU_DEP_1) | instskip(NEXT) | instid1(VALU_DEP_1)
	v_lshrrev_b32_e32 v5, 16, v5
	v_cndmask_b32_e32 v4, 0x7fc0, v5, vcc_lo
	s_branch .LBB166_1402
.LBB166_1400:
	s_mov_b32 s35, -1
                                        ; implicit-def: $vgpr4
	s_branch .LBB166_1405
.LBB166_1401:
	s_mov_b32 s35, -1
                                        ; implicit-def: $vgpr4
.LBB166_1402:
	s_delay_alu instid0(SALU_CYCLE_1)
	s_and_not1_b32 vcc_lo, exec_lo, s35
	s_cbranch_vccnz .LBB166_1404
; %bb.1403:
	s_wait_loadcnt 0x0
	global_load_b32 v4, v[0:1], off
	s_wait_loadcnt 0x0
	v_bfe_u32 v5, v4, 16, 1
	v_cmp_o_f32_e32 vcc_lo, v4, v4
	s_delay_alu instid0(VALU_DEP_2) | instskip(NEXT) | instid1(VALU_DEP_1)
	v_add3_u32 v5, v4, v5, 0x7fff
	v_lshrrev_b32_e32 v5, 16, v5
	s_delay_alu instid0(VALU_DEP_1)
	v_cndmask_b32_e32 v4, 0x7fc0, v5, vcc_lo
.LBB166_1404:
	s_mov_b32 s35, 0
.LBB166_1405:
	s_delay_alu instid0(SALU_CYCLE_1)
	s_and_not1_b32 vcc_lo, exec_lo, s35
	s_cbranch_vccnz .LBB166_1407
; %bb.1406:
	s_wait_loadcnt 0x0
	global_load_u16 v4, v[0:1], off
	s_wait_loadcnt 0x0
	v_cvt_f32_f16_e32 v5, v4
	v_cmp_o_f16_e32 vcc_lo, v4, v4
	s_delay_alu instid0(VALU_DEP_2) | instskip(NEXT) | instid1(VALU_DEP_1)
	v_bfe_u32 v6, v5, 16, 1
	v_add3_u32 v5, v5, v6, 0x7fff
	s_delay_alu instid0(VALU_DEP_1) | instskip(NEXT) | instid1(VALU_DEP_1)
	v_lshrrev_b32_e32 v5, 16, v5
	v_cndmask_b32_e32 v4, 0x7fc0, v5, vcc_lo
.LBB166_1407:
	s_mov_b32 s35, 0
.LBB166_1408:
	s_delay_alu instid0(SALU_CYCLE_1)
	s_and_not1_b32 vcc_lo, exec_lo, s35
	s_cbranch_vccnz .LBB166_1428
; %bb.1409:
	s_cmp_lt_i32 s0, 2
	s_cbranch_scc1 .LBB166_1413
; %bb.1410:
	s_cmp_lt_i32 s0, 3
	s_cbranch_scc1 .LBB166_1414
; %bb.1411:
	s_cmp_gt_i32 s0, 3
	s_cbranch_scc0 .LBB166_1415
; %bb.1412:
	s_wait_loadcnt 0x0
	global_load_b64 v[4:5], v[0:1], off
	s_mov_b32 s35, 0
	s_wait_loadcnt 0x0
	v_xor_b32_e32 v6, v4, v5
	v_cls_i32_e32 v7, v5
	s_delay_alu instid0(VALU_DEP_2) | instskip(NEXT) | instid1(VALU_DEP_1)
	v_ashrrev_i32_e32 v6, 31, v6
	v_add_nc_u32_e32 v6, 32, v6
	s_delay_alu instid0(VALU_DEP_1) | instskip(NEXT) | instid1(VALU_DEP_1)
	v_add_min_u32_e64 v6, v7, -1, v6
	v_lshlrev_b64_e32 v[4:5], v6, v[4:5]
	s_delay_alu instid0(VALU_DEP_1) | instskip(NEXT) | instid1(VALU_DEP_1)
	v_min_u32_e32 v4, 1, v4
	v_dual_sub_nc_u32 v5, 32, v6 :: v_dual_bitop2_b32 v4, v5, v4 bitop3:0x54
	s_delay_alu instid0(VALU_DEP_1) | instskip(NEXT) | instid1(VALU_DEP_1)
	v_cvt_f32_i32_e32 v4, v4
	v_ldexp_f32 v4, v4, v5
	s_delay_alu instid0(VALU_DEP_1) | instskip(NEXT) | instid1(VALU_DEP_1)
	v_bfe_u32 v5, v4, 16, 1
	v_add3_u32 v4, v4, v5, 0x7fff
	s_delay_alu instid0(VALU_DEP_1)
	v_lshrrev_b32_e32 v4, 16, v4
	s_branch .LBB166_1416
.LBB166_1413:
	s_mov_b32 s35, -1
                                        ; implicit-def: $vgpr4
	s_branch .LBB166_1422
.LBB166_1414:
	s_mov_b32 s35, -1
                                        ; implicit-def: $vgpr4
	s_branch .LBB166_1419
.LBB166_1415:
	s_mov_b32 s35, -1
                                        ; implicit-def: $vgpr4
.LBB166_1416:
	s_delay_alu instid0(SALU_CYCLE_1)
	s_and_not1_b32 vcc_lo, exec_lo, s35
	s_cbranch_vccnz .LBB166_1418
; %bb.1417:
	s_wait_loadcnt 0x0
	global_load_b32 v4, v[0:1], off
	s_wait_loadcnt 0x0
	v_cvt_f32_i32_e32 v4, v4
	s_delay_alu instid0(VALU_DEP_1) | instskip(NEXT) | instid1(VALU_DEP_1)
	v_bfe_u32 v5, v4, 16, 1
	v_add3_u32 v4, v4, v5, 0x7fff
	s_delay_alu instid0(VALU_DEP_1)
	v_lshrrev_b32_e32 v4, 16, v4
.LBB166_1418:
	s_mov_b32 s35, 0
.LBB166_1419:
	s_delay_alu instid0(SALU_CYCLE_1)
	s_and_not1_b32 vcc_lo, exec_lo, s35
	s_cbranch_vccnz .LBB166_1421
; %bb.1420:
	s_wait_loadcnt 0x0
	global_load_i16 v4, v[0:1], off
	s_wait_loadcnt 0x0
	v_cvt_f32_i32_e32 v4, v4
	s_delay_alu instid0(VALU_DEP_1) | instskip(NEXT) | instid1(VALU_DEP_1)
	v_bfe_u32 v5, v4, 16, 1
	v_add3_u32 v4, v4, v5, 0x7fff
	s_delay_alu instid0(VALU_DEP_1)
	v_lshrrev_b32_e32 v4, 16, v4
.LBB166_1421:
	s_mov_b32 s35, 0
.LBB166_1422:
	s_delay_alu instid0(SALU_CYCLE_1)
	s_and_not1_b32 vcc_lo, exec_lo, s35
	s_cbranch_vccnz .LBB166_1428
; %bb.1423:
	s_cmp_gt_i32 s0, 0
	s_mov_b32 s0, 0
	s_cbranch_scc0 .LBB166_1425
; %bb.1424:
	s_wait_loadcnt 0x0
	global_load_i8 v4, v[0:1], off
	s_wait_loadcnt 0x0
	v_cvt_f32_i32_e32 v4, v4
	s_delay_alu instid0(VALU_DEP_1) | instskip(NEXT) | instid1(VALU_DEP_1)
	v_bfe_u32 v5, v4, 16, 1
	v_add3_u32 v4, v4, v5, 0x7fff
	s_delay_alu instid0(VALU_DEP_1)
	v_lshrrev_b32_e32 v4, 16, v4
	s_branch .LBB166_1426
.LBB166_1425:
	s_mov_b32 s0, -1
                                        ; implicit-def: $vgpr4
.LBB166_1426:
	s_delay_alu instid0(SALU_CYCLE_1)
	s_and_not1_b32 vcc_lo, exec_lo, s0
	s_cbranch_vccnz .LBB166_1428
; %bb.1427:
	global_load_u8 v0, v[0:1], off
	s_wait_loadcnt 0x0
	v_cvt_f32_ubyte0_e32 v0, v0
	s_delay_alu instid0(VALU_DEP_1) | instskip(NEXT) | instid1(VALU_DEP_1)
	v_bfe_u32 v1, v0, 16, 1
	v_add3_u32 v0, v0, v1, 0x7fff
	s_delay_alu instid0(VALU_DEP_1)
	v_lshrrev_b32_e32 v4, 16, v0
.LBB166_1428:
	s_mov_b32 s35, -1
.LBB166_1429:
	s_delay_alu instid0(SALU_CYCLE_1)
	s_and_not1_b32 vcc_lo, exec_lo, s35
	s_cbranch_vccnz .LBB166_1437
; %bb.1430:
	s_wait_loadcnt 0x0
	v_dual_lshlrev_b32 v5, 16, v3 :: v_dual_lshlrev_b32 v6, 16, v2
	s_wait_xcnt 0x0
	v_mul_lo_u32 v0, v8, s12
	s_and_b32 s35, s2, 0xff
	v_lshlrev_b32_e32 v7, 16, v4
	s_cmp_lt_i32 s35, 11
	v_cmp_gt_f32_e32 vcc_lo, v6, v5
	v_cndmask_b32_e32 v1, v3, v2, vcc_lo
	s_delay_alu instid0(VALU_DEP_1) | instskip(NEXT) | instid1(VALU_DEP_1)
	v_lshlrev_b32_e32 v9, 16, v1
	v_cmp_lt_f32_e32 vcc_lo, v9, v7
	v_cndmask_b32_e32 v1, v4, v1, vcc_lo
	v_cmp_u_f32_e32 vcc_lo, v7, v7
	s_delay_alu instid0(VALU_DEP_2) | instskip(SKIP_1) | instid1(VALU_DEP_2)
	v_cndmask_b32_e32 v4, v1, v4, vcc_lo
	v_cmp_u_f32_e32 vcc_lo, v5, v5
	v_dual_ashrrev_i32 v1, 31, v0 :: v_dual_cndmask_b32 v3, v4, v3, vcc_lo
	v_cmp_u_f32_e32 vcc_lo, v6, v6
	s_delay_alu instid0(VALU_DEP_2) | instskip(NEXT) | instid1(VALU_DEP_3)
	v_add_nc_u64_e32 v[0:1], s[4:5], v[0:1]
	v_cndmask_b32_e32 v2, v3, v2, vcc_lo
	s_cbranch_scc1 .LBB166_1438
; %bb.1431:
	s_and_b32 s36, 0xffff, s35
	s_delay_alu instid0(SALU_CYCLE_1)
	s_cmp_gt_i32 s36, 25
	s_cbranch_scc0 .LBB166_1439
; %bb.1432:
	s_cmp_gt_i32 s36, 28
	s_cbranch_scc0 .LBB166_1440
; %bb.1433:
	s_cmp_gt_i32 s36, 43
	s_cbranch_scc0 .LBB166_1441
; %bb.1434:
	s_cmp_gt_i32 s36, 45
	s_cbranch_scc0 .LBB166_1442
; %bb.1435:
	s_mov_b32 s38, 0
	s_mov_b32 s0, -1
	s_cmp_eq_u32 s36, 46
	s_mov_b32 s37, 0
	s_cbranch_scc0 .LBB166_1443
; %bb.1436:
	v_and_b32_e32 v3, 0xffff, v2
	s_mov_b32 s37, -1
	s_mov_b32 s0, 0
	global_store_b32 v[0:1], v3, off
	s_branch .LBB166_1443
.LBB166_1437:
	s_mov_b32 s36, 0
	s_mov_b32 s0, s26
	s_branch .LBB166_1554
.LBB166_1438:
	s_mov_b32 s36, -1
	s_mov_b32 s37, 0
	s_mov_b32 s0, s26
	s_branch .LBB166_1512
.LBB166_1439:
	s_mov_b32 s38, -1
	s_mov_b32 s37, 0
	s_mov_b32 s0, s26
	s_branch .LBB166_1470
.LBB166_1440:
	s_mov_b32 s38, -1
	s_mov_b32 s37, 0
	s_mov_b32 s0, s26
	s_branch .LBB166_1453
.LBB166_1441:
	s_mov_b32 s38, -1
	s_mov_b32 s37, 0
	s_mov_b32 s0, s26
	s_branch .LBB166_1449
.LBB166_1442:
	s_mov_b32 s38, -1
	s_mov_b32 s37, 0
	s_mov_b32 s0, s26
.LBB166_1443:
	s_and_b32 vcc_lo, exec_lo, s38
	s_cbranch_vccz .LBB166_1448
; %bb.1444:
	s_cmp_eq_u32 s36, 44
	s_mov_b32 s0, -1
	s_cbranch_scc0 .LBB166_1448
; %bb.1445:
	s_wait_xcnt 0x0
	v_and_b32_e32 v3, 0xffff, v2
	v_mov_b32_e32 v4, 0xff
	s_mov_b32 s37, exec_lo
	s_delay_alu instid0(VALU_DEP_2) | instskip(NEXT) | instid1(VALU_DEP_1)
	v_bfe_u32 v5, v3, 7, 8
	v_cmpx_ne_u32_e32 0xff, v5
	s_cbranch_execz .LBB166_1447
; %bb.1446:
	v_dual_lshlrev_b32 v4, 16, v3 :: v_dual_bitop2_b32 v6, 64, v3 bitop3:0x40
	v_lshrrev_b32_e32 v3, 7, v3
	s_delay_alu instid0(VALU_DEP_2) | instskip(NEXT) | instid1(VALU_DEP_3)
	v_and_or_b32 v4, 0x3f0000, v4, v5
	v_cmp_ne_u32_e32 vcc_lo, 0, v6
	s_delay_alu instid0(VALU_DEP_2) | instskip(SKIP_1) | instid1(SALU_CYCLE_1)
	v_cmp_ne_u32_e64 s0, 0, v4
	s_and_b32 s0, vcc_lo, s0
	v_cndmask_b32_e64 v4, 0, 1, s0
	s_delay_alu instid0(VALU_DEP_1)
	v_add_nc_u32_e32 v4, v3, v4
.LBB166_1447:
	s_or_b32 exec_lo, exec_lo, s37
	s_mov_b32 s37, -1
	s_mov_b32 s0, 0
	global_store_b8 v[0:1], v4, off
.LBB166_1448:
	s_mov_b32 s38, 0
.LBB166_1449:
	s_delay_alu instid0(SALU_CYCLE_1)
	s_and_b32 vcc_lo, exec_lo, s38
	s_cbranch_vccz .LBB166_1452
; %bb.1450:
	s_cmp_eq_u32 s36, 29
	s_mov_b32 s0, -1
	s_cbranch_scc0 .LBB166_1452
; %bb.1451:
	s_wait_xcnt 0x0
	v_lshlrev_b32_e32 v3, 16, v2
	s_mov_b32 s37, -1
	s_mov_b32 s0, 0
	s_mov_b32 s38, 0
	s_delay_alu instid0(VALU_DEP_1) | instskip(NEXT) | instid1(VALU_DEP_1)
	v_trunc_f32_e32 v3, v3
	v_mul_f32_e32 v4, 0x2f800000, v3
	s_delay_alu instid0(VALU_DEP_1) | instskip(NEXT) | instid1(VALU_DEP_1)
	v_floor_f32_e32 v4, v4
	v_fmamk_f32 v3, v4, 0xcf800000, v3
	v_cvt_u32_f32_e32 v5, v4
	s_delay_alu instid0(VALU_DEP_2)
	v_cvt_u32_f32_e32 v4, v3
	global_store_b64 v[0:1], v[4:5], off
	s_branch .LBB166_1453
.LBB166_1452:
	s_mov_b32 s38, 0
.LBB166_1453:
	s_delay_alu instid0(SALU_CYCLE_1)
	s_and_b32 vcc_lo, exec_lo, s38
	s_cbranch_vccz .LBB166_1469
; %bb.1454:
	s_cmp_lt_i32 s36, 27
	s_mov_b32 s37, -1
	s_cbranch_scc1 .LBB166_1460
; %bb.1455:
	s_cmp_gt_i32 s36, 27
	s_cbranch_scc0 .LBB166_1457
; %bb.1456:
	s_wait_xcnt 0x0
	v_lshlrev_b32_e32 v3, 16, v2
	s_mov_b32 s37, 0
	s_delay_alu instid0(VALU_DEP_1)
	v_cvt_u32_f32_e32 v3, v3
	global_store_b32 v[0:1], v3, off
.LBB166_1457:
	s_and_not1_b32 vcc_lo, exec_lo, s37
	s_cbranch_vccnz .LBB166_1459
; %bb.1458:
	s_wait_xcnt 0x0
	v_lshlrev_b32_e32 v3, 16, v2
	s_delay_alu instid0(VALU_DEP_1)
	v_cvt_u32_f32_e32 v3, v3
	global_store_b16 v[0:1], v3, off
.LBB166_1459:
	s_mov_b32 s37, 0
.LBB166_1460:
	s_delay_alu instid0(SALU_CYCLE_1)
	s_and_not1_b32 vcc_lo, exec_lo, s37
	s_cbranch_vccnz .LBB166_1468
; %bb.1461:
	s_wait_xcnt 0x0
	v_dual_mov_b32 v6, 0x80 :: v_dual_lshlrev_b32 v5, 16, v2
	s_mov_b32 s37, exec_lo
	s_delay_alu instid0(VALU_DEP_1) | instskip(NEXT) | instid1(VALU_DEP_1)
	v_and_b32_e32 v4, 0x7fffffff, v5
	v_cmpx_gt_u32_e32 0x43800000, v4
	s_cbranch_execz .LBB166_1467
; %bb.1462:
	v_and_b32_e32 v3, 0xffff, v2
	v_cmp_lt_u32_e32 vcc_lo, 0x3bffffff, v4
	s_mov_b32 s38, 0
                                        ; implicit-def: $vgpr4
	s_and_saveexec_b32 s39, vcc_lo
	s_delay_alu instid0(SALU_CYCLE_1)
	s_xor_b32 s39, exec_lo, s39
	s_cbranch_execz .LBB166_2724
; %bb.1463:
	v_bfe_u32 v4, v3, 4, 1
	s_mov_b32 s38, exec_lo
	s_delay_alu instid0(VALU_DEP_1) | instskip(NEXT) | instid1(VALU_DEP_1)
	v_add3_u32 v4, v5, v4, 0x487ffff
                                        ; implicit-def: $vgpr5
	v_lshrrev_b32_e32 v4, 20, v4
	s_and_not1_saveexec_b32 s39, s39
	s_cbranch_execnz .LBB166_2725
.LBB166_1464:
	s_or_b32 exec_lo, exec_lo, s39
	v_mov_b32_e32 v6, 0
	s_and_saveexec_b32 s39, s38
.LBB166_1465:
	v_lshrrev_b32_e32 v3, 8, v3
	s_delay_alu instid0(VALU_DEP_1)
	v_and_or_b32 v6, 0x80, v3, v4
.LBB166_1466:
	s_or_b32 exec_lo, exec_lo, s39
.LBB166_1467:
	s_delay_alu instid0(SALU_CYCLE_1)
	s_or_b32 exec_lo, exec_lo, s37
	global_store_b8 v[0:1], v6, off
.LBB166_1468:
	s_mov_b32 s37, -1
.LBB166_1469:
	s_mov_b32 s38, 0
.LBB166_1470:
	s_delay_alu instid0(SALU_CYCLE_1)
	s_and_b32 vcc_lo, exec_lo, s38
	s_cbranch_vccz .LBB166_1511
; %bb.1471:
	s_cmp_gt_i32 s36, 22
	s_mov_b32 s38, -1
	s_cbranch_scc0 .LBB166_1503
; %bb.1472:
	s_cmp_lt_i32 s36, 24
	s_mov_b32 s37, -1
	s_cbranch_scc1 .LBB166_1492
; %bb.1473:
	s_cmp_gt_i32 s36, 24
	s_cbranch_scc0 .LBB166_1481
; %bb.1474:
	s_wait_xcnt 0x0
	v_dual_mov_b32 v6, 0x80 :: v_dual_lshlrev_b32 v5, 16, v2
	s_mov_b32 s37, exec_lo
	s_delay_alu instid0(VALU_DEP_1) | instskip(NEXT) | instid1(VALU_DEP_1)
	v_and_b32_e32 v4, 0x7fffffff, v5
	v_cmpx_gt_u32_e32 0x47800000, v4
	s_cbranch_execz .LBB166_1480
; %bb.1475:
	v_and_b32_e32 v3, 0xffff, v2
	v_cmp_lt_u32_e32 vcc_lo, 0x37ffffff, v4
	s_mov_b32 s38, 0
                                        ; implicit-def: $vgpr4
	s_and_saveexec_b32 s39, vcc_lo
	s_delay_alu instid0(SALU_CYCLE_1)
	s_xor_b32 s39, exec_lo, s39
	s_cbranch_execz .LBB166_2857
; %bb.1476:
	v_bfe_u32 v4, v3, 5, 1
	s_mov_b32 s38, exec_lo
	s_delay_alu instid0(VALU_DEP_1) | instskip(NEXT) | instid1(VALU_DEP_1)
	v_add3_u32 v4, v5, v4, 0x88fffff
                                        ; implicit-def: $vgpr5
	v_lshrrev_b32_e32 v4, 21, v4
	s_and_not1_saveexec_b32 s39, s39
	s_cbranch_execnz .LBB166_2858
.LBB166_1477:
	s_or_b32 exec_lo, exec_lo, s39
	v_mov_b32_e32 v6, 0
	s_and_saveexec_b32 s39, s38
.LBB166_1478:
	v_lshrrev_b32_e32 v3, 8, v3
	s_delay_alu instid0(VALU_DEP_1)
	v_and_or_b32 v6, 0x80, v3, v4
.LBB166_1479:
	s_or_b32 exec_lo, exec_lo, s39
.LBB166_1480:
	s_delay_alu instid0(SALU_CYCLE_1)
	s_or_b32 exec_lo, exec_lo, s37
	s_mov_b32 s37, 0
	global_store_b8 v[0:1], v6, off
.LBB166_1481:
	s_and_b32 vcc_lo, exec_lo, s37
	s_cbranch_vccz .LBB166_1491
; %bb.1482:
	s_wait_xcnt 0x0
	v_lshlrev_b32_e32 v5, 16, v2
	v_and_b32_e32 v3, 0xffff, v2
	s_mov_b32 s37, exec_lo
                                        ; implicit-def: $vgpr4
	s_delay_alu instid0(VALU_DEP_2) | instskip(NEXT) | instid1(VALU_DEP_1)
	v_and_b32_e32 v6, 0x7fffffff, v5
	v_cmpx_gt_u32_e32 0x43f00000, v6
	s_xor_b32 s37, exec_lo, s37
	s_cbranch_execz .LBB166_1488
; %bb.1483:
	s_mov_b32 s38, exec_lo
                                        ; implicit-def: $vgpr4
	v_cmpx_lt_u32_e32 0x3c7fffff, v6
	s_xor_b32 s38, exec_lo, s38
; %bb.1484:
	v_bfe_u32 v4, v3, 4, 1
	s_delay_alu instid0(VALU_DEP_1) | instskip(NEXT) | instid1(VALU_DEP_1)
	v_add3_u32 v4, v5, v4, 0x407ffff
	v_and_b32_e32 v5, 0xff00000, v4
	v_lshrrev_b32_e32 v4, 20, v4
	s_delay_alu instid0(VALU_DEP_2) | instskip(NEXT) | instid1(VALU_DEP_2)
	v_cmp_ne_u32_e32 vcc_lo, 0x7f00000, v5
                                        ; implicit-def: $vgpr5
	v_cndmask_b32_e32 v4, 0x7e, v4, vcc_lo
; %bb.1485:
	s_and_not1_saveexec_b32 s38, s38
; %bb.1486:
	v_add_f32_e64 v4, 0x46800000, |v5|
; %bb.1487:
	s_or_b32 exec_lo, exec_lo, s38
                                        ; implicit-def: $vgpr6
.LBB166_1488:
	s_and_not1_saveexec_b32 s37, s37
; %bb.1489:
	v_mov_b32_e32 v4, 0x7f
	v_cmp_lt_u32_e32 vcc_lo, 0x7f800000, v6
	s_delay_alu instid0(VALU_DEP_2)
	v_cndmask_b32_e32 v4, 0x7e, v4, vcc_lo
; %bb.1490:
	s_or_b32 exec_lo, exec_lo, s37
	v_lshrrev_b32_e32 v3, 8, v3
	s_delay_alu instid0(VALU_DEP_1)
	v_and_or_b32 v3, 0x80, v3, v4
	global_store_b8 v[0:1], v3, off
.LBB166_1491:
	s_mov_b32 s37, 0
.LBB166_1492:
	s_delay_alu instid0(SALU_CYCLE_1)
	s_and_not1_b32 vcc_lo, exec_lo, s37
	s_cbranch_vccnz .LBB166_1502
; %bb.1493:
	s_wait_xcnt 0x0
	v_lshlrev_b32_e32 v5, 16, v2
	v_and_b32_e32 v3, 0xffff, v2
	s_mov_b32 s37, exec_lo
                                        ; implicit-def: $vgpr4
	s_delay_alu instid0(VALU_DEP_2) | instskip(NEXT) | instid1(VALU_DEP_1)
	v_and_b32_e32 v6, 0x7fffffff, v5
	v_cmpx_gt_u32_e32 0x47800000, v6
	s_xor_b32 s37, exec_lo, s37
	s_cbranch_execz .LBB166_1499
; %bb.1494:
	s_mov_b32 s38, exec_lo
                                        ; implicit-def: $vgpr4
	v_cmpx_lt_u32_e32 0x387fffff, v6
	s_xor_b32 s38, exec_lo, s38
; %bb.1495:
	v_bfe_u32 v4, v3, 5, 1
	s_delay_alu instid0(VALU_DEP_1) | instskip(NEXT) | instid1(VALU_DEP_1)
	v_add3_u32 v4, v5, v4, 0x80fffff
                                        ; implicit-def: $vgpr5
	v_lshrrev_b32_e32 v4, 21, v4
; %bb.1496:
	s_and_not1_saveexec_b32 s38, s38
; %bb.1497:
	v_add_f32_e64 v4, 0x43000000, |v5|
; %bb.1498:
	s_or_b32 exec_lo, exec_lo, s38
                                        ; implicit-def: $vgpr6
.LBB166_1499:
	s_and_not1_saveexec_b32 s37, s37
; %bb.1500:
	v_mov_b32_e32 v4, 0x7f
	v_cmp_lt_u32_e32 vcc_lo, 0x7f800000, v6
	s_delay_alu instid0(VALU_DEP_2)
	v_cndmask_b32_e32 v4, 0x7c, v4, vcc_lo
; %bb.1501:
	s_or_b32 exec_lo, exec_lo, s37
	v_lshrrev_b32_e32 v3, 8, v3
	s_delay_alu instid0(VALU_DEP_1)
	v_and_or_b32 v3, 0x80, v3, v4
	global_store_b8 v[0:1], v3, off
.LBB166_1502:
	s_mov_b32 s38, 0
	s_mov_b32 s37, -1
.LBB166_1503:
	s_and_not1_b32 vcc_lo, exec_lo, s38
	s_cbranch_vccnz .LBB166_1511
; %bb.1504:
	s_cmp_gt_i32 s36, 14
	s_mov_b32 s38, -1
	s_cbranch_scc0 .LBB166_1508
; %bb.1505:
	s_cmp_eq_u32 s36, 15
	s_mov_b32 s0, -1
	s_cbranch_scc0 .LBB166_1507
; %bb.1506:
	s_mov_b32 s37, -1
	s_mov_b32 s0, 0
	global_store_b16 v[0:1], v2, off
.LBB166_1507:
	s_mov_b32 s38, 0
.LBB166_1508:
	s_delay_alu instid0(SALU_CYCLE_1)
	s_and_b32 vcc_lo, exec_lo, s38
	s_cbranch_vccz .LBB166_1511
; %bb.1509:
	s_cmp_eq_u32 s36, 11
	s_mov_b32 s0, -1
	s_cbranch_scc0 .LBB166_1511
; %bb.1510:
	s_wait_xcnt 0x0
	v_and_b32_e32 v3, 0x7fff, v2
	s_mov_b32 s0, 0
	s_mov_b32 s37, -1
	s_delay_alu instid0(VALU_DEP_1)
	v_cmp_ne_u16_e32 vcc_lo, 0, v3
	v_cndmask_b32_e64 v3, 0, 1, vcc_lo
	global_store_b8 v[0:1], v3, off
.LBB166_1511:
	s_mov_b32 s36, 0
.LBB166_1512:
	s_delay_alu instid0(SALU_CYCLE_1)
	s_and_b32 vcc_lo, exec_lo, s36
	s_cbranch_vccz .LBB166_1551
; %bb.1513:
	s_and_b32 s35, 0xffff, s35
	s_mov_b32 s36, -1
	s_cmp_lt_i32 s35, 5
	s_cbranch_scc1 .LBB166_1534
; %bb.1514:
	s_cmp_lt_i32 s35, 8
	s_cbranch_scc1 .LBB166_1524
; %bb.1515:
	;; [unrolled: 3-line block ×3, first 2 shown]
	s_cmp_gt_i32 s35, 9
	s_cbranch_scc0 .LBB166_1518
; %bb.1517:
	s_wait_xcnt 0x0
	v_dual_mov_b32 v6, 0 :: v_dual_lshlrev_b32 v3, 16, v2
	s_mov_b32 s36, 0
	s_delay_alu instid0(VALU_DEP_1) | instskip(NEXT) | instid1(VALU_DEP_2)
	v_cvt_f64_f32_e32 v[4:5], v3
	v_mov_b32_e32 v7, v6
	global_store_b128 v[0:1], v[4:7], off
.LBB166_1518:
	s_and_not1_b32 vcc_lo, exec_lo, s36
	s_cbranch_vccnz .LBB166_1520
; %bb.1519:
	s_wait_xcnt 0x0
	v_dual_mov_b32 v5, 0 :: v_dual_lshlrev_b32 v4, 16, v2
	global_store_b64 v[0:1], v[4:5], off
.LBB166_1520:
	s_mov_b32 s36, 0
.LBB166_1521:
	s_delay_alu instid0(SALU_CYCLE_1)
	s_and_not1_b32 vcc_lo, exec_lo, s36
	s_cbranch_vccnz .LBB166_1523
; %bb.1522:
	s_wait_xcnt 0x0
	v_lshlrev_b32_e32 v3, 16, v2
	s_delay_alu instid0(VALU_DEP_1) | instskip(NEXT) | instid1(VALU_DEP_1)
	v_cvt_f16_f32_e32 v3, v3
	v_and_b32_e32 v3, 0xffff, v3
	global_store_b32 v[0:1], v3, off
.LBB166_1523:
	s_mov_b32 s36, 0
.LBB166_1524:
	s_delay_alu instid0(SALU_CYCLE_1)
	s_and_not1_b32 vcc_lo, exec_lo, s36
	s_cbranch_vccnz .LBB166_1533
; %bb.1525:
	s_cmp_lt_i32 s35, 6
	s_mov_b32 s36, -1
	s_cbranch_scc1 .LBB166_1531
; %bb.1526:
	s_cmp_gt_i32 s35, 6
	s_cbranch_scc0 .LBB166_1528
; %bb.1527:
	s_wait_xcnt 0x0
	v_lshlrev_b32_e32 v3, 16, v2
	s_mov_b32 s36, 0
	s_delay_alu instid0(VALU_DEP_1)
	v_cvt_f64_f32_e32 v[4:5], v3
	global_store_b64 v[0:1], v[4:5], off
.LBB166_1528:
	s_and_not1_b32 vcc_lo, exec_lo, s36
	s_cbranch_vccnz .LBB166_1530
; %bb.1529:
	s_wait_xcnt 0x0
	v_lshlrev_b32_e32 v3, 16, v2
	global_store_b32 v[0:1], v3, off
.LBB166_1530:
	s_mov_b32 s36, 0
.LBB166_1531:
	s_delay_alu instid0(SALU_CYCLE_1)
	s_and_not1_b32 vcc_lo, exec_lo, s36
	s_cbranch_vccnz .LBB166_1533
; %bb.1532:
	s_wait_xcnt 0x0
	v_lshlrev_b32_e32 v3, 16, v2
	s_delay_alu instid0(VALU_DEP_1)
	v_cvt_f16_f32_e32 v3, v3
	global_store_b16 v[0:1], v3, off
.LBB166_1533:
	s_mov_b32 s36, 0
.LBB166_1534:
	s_delay_alu instid0(SALU_CYCLE_1)
	s_and_not1_b32 vcc_lo, exec_lo, s36
	s_cbranch_vccnz .LBB166_1550
; %bb.1535:
	s_cmp_lt_i32 s35, 2
	s_mov_b32 s36, -1
	s_cbranch_scc1 .LBB166_1545
; %bb.1536:
	s_cmp_lt_i32 s35, 3
	s_cbranch_scc1 .LBB166_1542
; %bb.1537:
	s_cmp_gt_i32 s35, 3
	s_cbranch_scc0 .LBB166_1539
; %bb.1538:
	s_wait_xcnt 0x0
	v_lshlrev_b32_e32 v3, 16, v2
	s_mov_b32 s36, 0
	s_delay_alu instid0(VALU_DEP_1) | instskip(NEXT) | instid1(VALU_DEP_1)
	v_trunc_f32_e32 v3, v3
	v_mul_f32_e64 v4, 0x2f800000, |v3|
	s_delay_alu instid0(VALU_DEP_1) | instskip(SKIP_1) | instid1(VALU_DEP_2)
	v_floor_f32_e32 v5, v4
	v_ashrrev_i32_e32 v4, 31, v3
	v_fma_f32 v6, 0xcf800000, v5, |v3|
	v_cvt_u32_f32_e32 v3, v5
	s_delay_alu instid0(VALU_DEP_3) | instskip(NEXT) | instid1(VALU_DEP_3)
	v_mov_b32_e32 v5, v4
	v_cvt_u32_f32_e32 v6, v6
	s_delay_alu instid0(VALU_DEP_3) | instskip(NEXT) | instid1(VALU_DEP_2)
	v_xor_b32_e32 v7, v3, v4
	v_xor_b32_e32 v6, v6, v4
	s_delay_alu instid0(VALU_DEP_1)
	v_sub_nc_u64_e32 v[4:5], v[6:7], v[4:5]
	global_store_b64 v[0:1], v[4:5], off
.LBB166_1539:
	s_and_not1_b32 vcc_lo, exec_lo, s36
	s_cbranch_vccnz .LBB166_1541
; %bb.1540:
	s_wait_xcnt 0x0
	v_lshlrev_b32_e32 v3, 16, v2
	s_delay_alu instid0(VALU_DEP_1)
	v_cvt_i32_f32_e32 v3, v3
	global_store_b32 v[0:1], v3, off
.LBB166_1541:
	s_mov_b32 s36, 0
.LBB166_1542:
	s_delay_alu instid0(SALU_CYCLE_1)
	s_and_not1_b32 vcc_lo, exec_lo, s36
	s_cbranch_vccnz .LBB166_1544
; %bb.1543:
	s_wait_xcnt 0x0
	v_lshlrev_b32_e32 v3, 16, v2
	s_delay_alu instid0(VALU_DEP_1)
	v_cvt_i32_f32_e32 v3, v3
	global_store_b16 v[0:1], v3, off
.LBB166_1544:
	s_mov_b32 s36, 0
.LBB166_1545:
	s_delay_alu instid0(SALU_CYCLE_1)
	s_and_not1_b32 vcc_lo, exec_lo, s36
	s_cbranch_vccnz .LBB166_1550
; %bb.1546:
	s_wait_xcnt 0x0
	v_lshlrev_b32_e32 v2, 16, v2
	s_cmp_gt_i32 s35, 0
	s_mov_b32 s35, -1
	s_cbranch_scc0 .LBB166_1548
; %bb.1547:
	s_delay_alu instid0(VALU_DEP_1)
	v_cvt_i32_f32_e32 v3, v2
	s_mov_b32 s35, 0
	global_store_b8 v[0:1], v3, off
.LBB166_1548:
	s_and_not1_b32 vcc_lo, exec_lo, s35
	s_cbranch_vccnz .LBB166_1550
; %bb.1549:
	v_trunc_f32_e32 v2, v2
	s_wait_xcnt 0x0
	s_delay_alu instid0(VALU_DEP_1) | instskip(NEXT) | instid1(VALU_DEP_1)
	v_mul_f32_e64 v3, 0x2f800000, |v2|
	v_floor_f32_e32 v3, v3
	s_delay_alu instid0(VALU_DEP_1) | instskip(SKIP_1) | instid1(VALU_DEP_2)
	v_fma_f32 v3, 0xcf800000, v3, |v2|
	v_ashrrev_i32_e32 v2, 31, v2
	v_cvt_u32_f32_e32 v3, v3
	s_delay_alu instid0(VALU_DEP_1) | instskip(NEXT) | instid1(VALU_DEP_1)
	v_xor_b32_e32 v3, v3, v2
	v_sub_nc_u32_e32 v2, v3, v2
	global_store_b8 v[0:1], v2, off
.LBB166_1550:
	s_mov_b32 s37, -1
.LBB166_1551:
	s_delay_alu instid0(SALU_CYCLE_1)
	s_and_not1_b32 vcc_lo, exec_lo, s37
	s_cbranch_vccnz .LBB166_1553
; %bb.1552:
	v_add_nc_u32_e32 v8, 0x80, v8
	s_mov_b32 s36, -1
	s_branch .LBB166_1555
.LBB166_1553:
	s_mov_b32 s36, 0
.LBB166_1554:
                                        ; implicit-def: $vgpr8
.LBB166_1555:
	s_and_not1_b32 s35, s26, exec_lo
	s_and_b32 s0, s0, exec_lo
	s_and_not1_b32 s37, s27, exec_lo
	s_and_b32 s34, s34, exec_lo
	s_or_b32 s35, s35, s0
	s_or_b32 s34, s37, s34
	s_and_not1_b32 s0, s28, exec_lo
	s_and_b32 s33, s33, exec_lo
	s_and_not1_b32 s37, s25, exec_lo
	s_and_b32 s31, s31, exec_lo
	s_or_b32 s33, s0, s33
	s_or_b32 s31, s37, s31
	s_or_not1_b32 s39, s36, exec_lo
.LBB166_1556:
	s_wait_xcnt 0x0
	s_or_b32 exec_lo, exec_lo, s30
	s_mov_b32 s36, 0
	s_mov_b32 s37, 0
	;; [unrolled: 1-line block ×3, first 2 shown]
                                        ; implicit-def: $sgpr0
                                        ; implicit-def: $vgpr0_vgpr1
                                        ; implicit-def: $vgpr2
	s_and_saveexec_b32 s30, s39
	s_cbranch_execz .LBB166_1637
; %bb.1557:
	v_cmp_gt_i32_e32 vcc_lo, s20, v8
	s_mov_b32 s40, s31
	s_mov_b32 s39, 0
	;; [unrolled: 1-line block ×3, first 2 shown]
                                        ; implicit-def: $sgpr0
                                        ; implicit-def: $vgpr0_vgpr1
                                        ; implicit-def: $vgpr2
	s_and_saveexec_b32 s20, vcc_lo
	s_cbranch_execz .LBB166_1636
; %bb.1558:
	v_mul_lo_u32 v0, v8, s13
	s_and_b32 s0, s17, 0xff
	s_delay_alu instid0(SALU_CYCLE_1) | instskip(NEXT) | instid1(VALU_DEP_1)
	s_cmp_lt_i32 s0, 11
	v_ashrrev_i32_e32 v1, 31, v0
	s_delay_alu instid0(VALU_DEP_1)
	v_add_nc_u64_e32 v[0:1], s[6:7], v[0:1]
	s_cbranch_scc1 .LBB166_1565
; %bb.1559:
	s_and_b32 s36, 0xffff, s0
	s_delay_alu instid0(SALU_CYCLE_1)
	s_cmp_gt_i32 s36, 25
	s_cbranch_scc0 .LBB166_1566
; %bb.1560:
	s_cmp_gt_i32 s36, 28
	s_cbranch_scc0 .LBB166_1567
; %bb.1561:
	;; [unrolled: 3-line block ×4, first 2 shown]
	s_cmp_eq_u32 s36, 46
	s_mov_b32 s40, 0
	s_cbranch_scc0 .LBB166_1570
; %bb.1564:
	s_wait_loadcnt 0x0
	global_load_b32 v2, v[0:1], off
	s_mov_b32 s39, -1
	s_branch .LBB166_1572
.LBB166_1565:
	s_mov_b32 s36, -1
	s_mov_b32 s37, s31
                                        ; implicit-def: $vgpr2
	s_branch .LBB166_1635
.LBB166_1566:
	s_mov_b32 s40, -1
	s_mov_b32 s37, s31
                                        ; implicit-def: $vgpr2
	s_branch .LBB166_1601
.LBB166_1567:
	s_mov_b32 s40, -1
	s_mov_b32 s37, s31
                                        ; implicit-def: $vgpr2
	s_branch .LBB166_1582
.LBB166_1568:
	s_mov_b32 s40, -1
	s_mov_b32 s37, s31
                                        ; implicit-def: $vgpr2
	s_branch .LBB166_1577
.LBB166_1569:
	s_mov_b32 s40, -1
	s_mov_b32 s37, s31
	s_branch .LBB166_1571
.LBB166_1570:
	s_mov_b32 s37, -1
.LBB166_1571:
                                        ; implicit-def: $vgpr2
.LBB166_1572:
	s_and_b32 vcc_lo, exec_lo, s40
	s_cbranch_vccz .LBB166_1576
; %bb.1573:
	s_cmp_eq_u32 s36, 44
	s_cbranch_scc0 .LBB166_1575
; %bb.1574:
	s_wait_loadcnt 0x0
	global_load_u8 v2, v[0:1], off
	s_mov_b32 s37, 0
	s_mov_b32 s39, -1
	s_wait_loadcnt 0x0
	v_lshlrev_b32_e32 v3, 23, v2
	v_cmp_ne_u32_e32 vcc_lo, 0xff, v2
	s_delay_alu instid0(VALU_DEP_2) | instskip(SKIP_1) | instid1(VALU_DEP_2)
	v_cndmask_b32_e32 v3, 0x7f800001, v3, vcc_lo
	v_cmp_ne_u32_e32 vcc_lo, 0, v2
	v_cndmask_b32_e32 v2, 0x400000, v3, vcc_lo
	s_delay_alu instid0(VALU_DEP_1) | instskip(NEXT) | instid1(VALU_DEP_1)
	v_add_nc_u32_e32 v3, 0x7fff, v2
	v_lshrrev_b32_e32 v3, 16, v3
	v_cmp_o_f32_e32 vcc_lo, v2, v2
	s_delay_alu instid0(VALU_DEP_2)
	v_cndmask_b32_e32 v2, 0x7fc0, v3, vcc_lo
	s_branch .LBB166_1576
.LBB166_1575:
	s_mov_b32 s37, -1
                                        ; implicit-def: $vgpr2
.LBB166_1576:
	s_mov_b32 s40, 0
.LBB166_1577:
	s_delay_alu instid0(SALU_CYCLE_1)
	s_and_b32 vcc_lo, exec_lo, s40
	s_cbranch_vccz .LBB166_1581
; %bb.1578:
	s_cmp_eq_u32 s36, 29
	s_cbranch_scc0 .LBB166_1580
; %bb.1579:
	s_wait_loadcnt 0x0
	global_load_b64 v[2:3], v[0:1], off
	s_mov_b32 s37, 0
	s_mov_b32 s39, -1
	s_mov_b32 s40, 0
	s_wait_loadcnt 0x0
	v_clz_i32_u32_e32 v4, v3
	s_delay_alu instid0(VALU_DEP_1) | instskip(NEXT) | instid1(VALU_DEP_1)
	v_min_u32_e32 v4, 32, v4
	v_lshlrev_b64_e32 v[2:3], v4, v[2:3]
	s_delay_alu instid0(VALU_DEP_1) | instskip(NEXT) | instid1(VALU_DEP_1)
	v_min_u32_e32 v2, 1, v2
	v_dual_sub_nc_u32 v3, 32, v4 :: v_dual_bitop2_b32 v2, v3, v2 bitop3:0x54
	s_delay_alu instid0(VALU_DEP_1) | instskip(NEXT) | instid1(VALU_DEP_1)
	v_cvt_f32_u32_e32 v2, v2
	v_ldexp_f32 v2, v2, v3
	s_delay_alu instid0(VALU_DEP_1) | instskip(NEXT) | instid1(VALU_DEP_1)
	v_bfe_u32 v3, v2, 16, 1
	v_add3_u32 v2, v2, v3, 0x7fff
	s_delay_alu instid0(VALU_DEP_1)
	v_lshrrev_b32_e32 v2, 16, v2
	s_branch .LBB166_1582
.LBB166_1580:
	s_mov_b32 s37, -1
                                        ; implicit-def: $vgpr2
.LBB166_1581:
	s_mov_b32 s40, 0
.LBB166_1582:
	s_delay_alu instid0(SALU_CYCLE_1)
	s_and_b32 vcc_lo, exec_lo, s40
	s_cbranch_vccz .LBB166_1600
; %bb.1583:
	s_cmp_lt_i32 s36, 27
	s_cbranch_scc1 .LBB166_1586
; %bb.1584:
	s_cmp_gt_i32 s36, 27
	s_cbranch_scc0 .LBB166_1587
; %bb.1585:
	s_wait_loadcnt 0x0
	global_load_b32 v2, v[0:1], off
	s_mov_b32 s39, 0
	s_wait_loadcnt 0x0
	v_cvt_f32_u32_e32 v2, v2
	s_delay_alu instid0(VALU_DEP_1) | instskip(NEXT) | instid1(VALU_DEP_1)
	v_bfe_u32 v3, v2, 16, 1
	v_add3_u32 v2, v2, v3, 0x7fff
	s_delay_alu instid0(VALU_DEP_1)
	v_lshrrev_b32_e32 v2, 16, v2
	s_branch .LBB166_1588
.LBB166_1586:
	s_mov_b32 s39, -1
                                        ; implicit-def: $vgpr2
	s_branch .LBB166_1591
.LBB166_1587:
	s_mov_b32 s39, -1
                                        ; implicit-def: $vgpr2
.LBB166_1588:
	s_delay_alu instid0(SALU_CYCLE_1)
	s_and_not1_b32 vcc_lo, exec_lo, s39
	s_cbranch_vccnz .LBB166_1590
; %bb.1589:
	s_wait_loadcnt 0x0
	global_load_u16 v2, v[0:1], off
	s_wait_loadcnt 0x0
	v_cvt_f32_u32_e32 v2, v2
	s_delay_alu instid0(VALU_DEP_1) | instskip(NEXT) | instid1(VALU_DEP_1)
	v_bfe_u32 v3, v2, 16, 1
	v_add3_u32 v2, v2, v3, 0x7fff
	s_delay_alu instid0(VALU_DEP_1)
	v_lshrrev_b32_e32 v2, 16, v2
.LBB166_1590:
	s_mov_b32 s39, 0
.LBB166_1591:
	s_delay_alu instid0(SALU_CYCLE_1)
	s_and_not1_b32 vcc_lo, exec_lo, s39
	s_cbranch_vccnz .LBB166_1599
; %bb.1592:
	s_wait_loadcnt 0x0
	global_load_u8 v2, v[0:1], off
	s_mov_b32 s39, 0
	s_mov_b32 s40, exec_lo
	s_wait_loadcnt 0x0
	v_cmpx_lt_i16_e32 0x7f, v2
	s_xor_b32 s40, exec_lo, s40
	s_cbranch_execz .LBB166_1613
; %bb.1593:
	s_mov_b32 s39, -1
	s_mov_b32 s41, exec_lo
	v_cmpx_eq_u16_e32 0x80, v2
; %bb.1594:
	s_xor_b32 s39, exec_lo, -1
; %bb.1595:
	s_or_b32 exec_lo, exec_lo, s41
	s_delay_alu instid0(SALU_CYCLE_1)
	s_and_b32 s39, s39, exec_lo
	s_or_saveexec_b32 s40, s40
	v_mov_b32_e32 v3, 0x7f800001
	s_xor_b32 exec_lo, exec_lo, s40
	s_cbranch_execnz .LBB166_1614
.LBB166_1596:
	s_or_b32 exec_lo, exec_lo, s40
	s_and_saveexec_b32 s40, s39
	s_cbranch_execz .LBB166_1598
.LBB166_1597:
	v_and_b32_e32 v3, 0xffff, v2
	s_delay_alu instid0(VALU_DEP_1) | instskip(SKIP_1) | instid1(VALU_DEP_2)
	v_and_b32_e32 v4, 7, v3
	v_bfe_u32 v7, v3, 3, 4
	v_clz_i32_u32_e32 v5, v4
	s_delay_alu instid0(VALU_DEP_2) | instskip(NEXT) | instid1(VALU_DEP_2)
	v_cmp_eq_u32_e32 vcc_lo, 0, v7
	v_min_u32_e32 v5, 32, v5
	s_delay_alu instid0(VALU_DEP_1) | instskip(NEXT) | instid1(VALU_DEP_1)
	v_subrev_nc_u32_e32 v6, 28, v5
	v_dual_lshlrev_b32 v3, v6, v3 :: v_dual_sub_nc_u32 v5, 29, v5
	s_delay_alu instid0(VALU_DEP_1) | instskip(NEXT) | instid1(VALU_DEP_1)
	v_dual_lshlrev_b32 v2, 24, v2 :: v_dual_bitop2_b32 v3, 7, v3 bitop3:0x40
	v_dual_cndmask_b32 v5, v7, v5, vcc_lo :: v_dual_cndmask_b32 v3, v4, v3, vcc_lo
	s_delay_alu instid0(VALU_DEP_2) | instskip(NEXT) | instid1(VALU_DEP_2)
	v_and_b32_e32 v2, 0x80000000, v2
	v_lshl_add_u32 v4, v5, 23, 0x3b800000
	s_delay_alu instid0(VALU_DEP_3) | instskip(NEXT) | instid1(VALU_DEP_1)
	v_lshlrev_b32_e32 v3, 20, v3
	v_or3_b32 v3, v2, v4, v3
.LBB166_1598:
	s_or_b32 exec_lo, exec_lo, s40
	s_delay_alu instid0(VALU_DEP_1) | instskip(SKIP_1) | instid1(VALU_DEP_2)
	v_bfe_u32 v2, v3, 16, 1
	v_cmp_o_f32_e32 vcc_lo, v3, v3
	v_add3_u32 v2, v3, v2, 0x7fff
	s_delay_alu instid0(VALU_DEP_1) | instskip(NEXT) | instid1(VALU_DEP_1)
	v_lshrrev_b32_e32 v2, 16, v2
	v_cndmask_b32_e32 v2, 0x7fc0, v2, vcc_lo
.LBB166_1599:
	s_mov_b32 s39, -1
.LBB166_1600:
	s_mov_b32 s40, 0
.LBB166_1601:
	s_delay_alu instid0(SALU_CYCLE_1)
	s_and_b32 vcc_lo, exec_lo, s40
	s_cbranch_vccz .LBB166_1634
; %bb.1602:
	s_cmp_gt_i32 s36, 22
	s_cbranch_scc0 .LBB166_1612
; %bb.1603:
	s_cmp_lt_i32 s36, 24
	s_cbranch_scc1 .LBB166_1615
; %bb.1604:
	s_cmp_gt_i32 s36, 24
	s_cbranch_scc0 .LBB166_1616
; %bb.1605:
	s_wait_loadcnt 0x0
	global_load_u8 v2, v[0:1], off
	s_mov_b32 s39, exec_lo
	s_wait_loadcnt 0x0
	v_cmpx_lt_i16_e32 0x7f, v2
	s_xor_b32 s39, exec_lo, s39
	s_cbranch_execz .LBB166_1628
; %bb.1606:
	s_mov_b32 s38, -1
	s_mov_b32 s40, exec_lo
	v_cmpx_eq_u16_e32 0x80, v2
; %bb.1607:
	s_xor_b32 s38, exec_lo, -1
; %bb.1608:
	s_or_b32 exec_lo, exec_lo, s40
	s_delay_alu instid0(SALU_CYCLE_1)
	s_and_b32 s38, s38, exec_lo
	s_or_saveexec_b32 s39, s39
	v_mov_b32_e32 v3, 0x7f800001
	s_xor_b32 exec_lo, exec_lo, s39
	s_cbranch_execnz .LBB166_1629
.LBB166_1609:
	s_or_b32 exec_lo, exec_lo, s39
	s_and_saveexec_b32 s39, s38
	s_cbranch_execz .LBB166_1611
.LBB166_1610:
	v_and_b32_e32 v3, 0xffff, v2
	s_delay_alu instid0(VALU_DEP_1) | instskip(SKIP_1) | instid1(VALU_DEP_2)
	v_and_b32_e32 v4, 3, v3
	v_bfe_u32 v7, v3, 2, 5
	v_clz_i32_u32_e32 v5, v4
	s_delay_alu instid0(VALU_DEP_2) | instskip(NEXT) | instid1(VALU_DEP_2)
	v_cmp_eq_u32_e32 vcc_lo, 0, v7
	v_min_u32_e32 v5, 32, v5
	s_delay_alu instid0(VALU_DEP_1) | instskip(NEXT) | instid1(VALU_DEP_1)
	v_subrev_nc_u32_e32 v6, 29, v5
	v_dual_lshlrev_b32 v3, v6, v3 :: v_dual_sub_nc_u32 v5, 30, v5
	s_delay_alu instid0(VALU_DEP_1) | instskip(NEXT) | instid1(VALU_DEP_1)
	v_dual_lshlrev_b32 v2, 24, v2 :: v_dual_bitop2_b32 v3, 3, v3 bitop3:0x40
	v_dual_cndmask_b32 v5, v7, v5, vcc_lo :: v_dual_cndmask_b32 v3, v4, v3, vcc_lo
	s_delay_alu instid0(VALU_DEP_2) | instskip(NEXT) | instid1(VALU_DEP_2)
	v_and_b32_e32 v2, 0x80000000, v2
	v_lshl_add_u32 v4, v5, 23, 0x37800000
	s_delay_alu instid0(VALU_DEP_3) | instskip(NEXT) | instid1(VALU_DEP_1)
	v_lshlrev_b32_e32 v3, 21, v3
	v_or3_b32 v3, v2, v4, v3
.LBB166_1611:
	s_or_b32 exec_lo, exec_lo, s39
	s_delay_alu instid0(VALU_DEP_1) | instskip(SKIP_2) | instid1(VALU_DEP_2)
	v_bfe_u32 v2, v3, 16, 1
	v_cmp_o_f32_e32 vcc_lo, v3, v3
	s_mov_b32 s38, 0
	v_add3_u32 v2, v3, v2, 0x7fff
	s_delay_alu instid0(VALU_DEP_1) | instskip(NEXT) | instid1(VALU_DEP_1)
	v_lshrrev_b32_e32 v2, 16, v2
	v_cndmask_b32_e32 v2, 0x7fc0, v2, vcc_lo
	s_branch .LBB166_1617
.LBB166_1612:
	s_mov_b32 s38, -1
                                        ; implicit-def: $vgpr2
	s_branch .LBB166_1623
.LBB166_1613:
	s_or_saveexec_b32 s40, s40
	v_mov_b32_e32 v3, 0x7f800001
	s_xor_b32 exec_lo, exec_lo, s40
	s_cbranch_execz .LBB166_1596
.LBB166_1614:
	v_cmp_ne_u16_e32 vcc_lo, 0, v2
	v_mov_b32_e32 v3, 0
	s_and_not1_b32 s39, s39, exec_lo
	s_and_b32 s41, vcc_lo, exec_lo
	s_delay_alu instid0(SALU_CYCLE_1)
	s_or_b32 s39, s39, s41
	s_or_b32 exec_lo, exec_lo, s40
	s_and_saveexec_b32 s40, s39
	s_cbranch_execnz .LBB166_1597
	s_branch .LBB166_1598
.LBB166_1615:
	s_mov_b32 s38, -1
                                        ; implicit-def: $vgpr2
	s_branch .LBB166_1620
.LBB166_1616:
	s_mov_b32 s38, -1
                                        ; implicit-def: $vgpr2
.LBB166_1617:
	s_delay_alu instid0(SALU_CYCLE_1)
	s_and_b32 vcc_lo, exec_lo, s38
	s_cbranch_vccz .LBB166_1619
; %bb.1618:
	s_wait_loadcnt 0x0
	global_load_u8 v2, v[0:1], off
	s_wait_loadcnt 0x0
	v_lshlrev_b32_e32 v2, 24, v2
	s_delay_alu instid0(VALU_DEP_1) | instskip(NEXT) | instid1(VALU_DEP_1)
	v_and_b32_e32 v3, 0x7f000000, v2
	v_clz_i32_u32_e32 v4, v3
	v_cmp_ne_u32_e32 vcc_lo, 0, v3
	v_add_nc_u32_e32 v6, 0x1000000, v3
	s_delay_alu instid0(VALU_DEP_3) | instskip(NEXT) | instid1(VALU_DEP_1)
	v_min_u32_e32 v4, 32, v4
	v_sub_nc_u32_e64 v4, v4, 4 clamp
	s_delay_alu instid0(VALU_DEP_1) | instskip(NEXT) | instid1(VALU_DEP_1)
	v_dual_lshlrev_b32 v5, v4, v3 :: v_dual_lshlrev_b32 v4, 23, v4
	v_lshrrev_b32_e32 v5, 4, v5
	s_delay_alu instid0(VALU_DEP_1) | instskip(NEXT) | instid1(VALU_DEP_1)
	v_dual_sub_nc_u32 v4, v5, v4 :: v_dual_ashrrev_i32 v5, 8, v6
	v_add_nc_u32_e32 v4, 0x3c000000, v4
	s_delay_alu instid0(VALU_DEP_1) | instskip(NEXT) | instid1(VALU_DEP_1)
	v_and_or_b32 v4, 0x7f800000, v5, v4
	v_cndmask_b32_e32 v3, 0, v4, vcc_lo
	s_delay_alu instid0(VALU_DEP_1) | instskip(SKIP_1) | instid1(VALU_DEP_2)
	v_and_or_b32 v2, 0x80000000, v2, v3
	v_bfe_u32 v3, v3, 16, 1
	v_cmp_o_f32_e32 vcc_lo, v2, v2
	s_delay_alu instid0(VALU_DEP_2) | instskip(NEXT) | instid1(VALU_DEP_1)
	v_add3_u32 v3, v2, v3, 0x7fff
	v_lshrrev_b32_e32 v3, 16, v3
	s_delay_alu instid0(VALU_DEP_1)
	v_cndmask_b32_e32 v2, 0x7fc0, v3, vcc_lo
.LBB166_1619:
	s_mov_b32 s38, 0
.LBB166_1620:
	s_delay_alu instid0(SALU_CYCLE_1)
	s_and_not1_b32 vcc_lo, exec_lo, s38
	s_cbranch_vccnz .LBB166_1622
; %bb.1621:
	s_wait_loadcnt 0x0
	global_load_u8 v2, v[0:1], off
	s_wait_loadcnt 0x0
	v_lshlrev_b32_e32 v3, 25, v2
	v_lshlrev_b16 v2, 8, v2
	s_delay_alu instid0(VALU_DEP_1) | instskip(SKIP_1) | instid1(VALU_DEP_2)
	v_and_or_b32 v5, 0x7f00, v2, 0.5
	v_bfe_i32 v2, v2, 0, 16
	v_dual_add_f32 v5, -0.5, v5 :: v_dual_lshrrev_b32 v4, 4, v3
	v_cmp_gt_u32_e32 vcc_lo, 0x8000000, v3
	s_delay_alu instid0(VALU_DEP_2) | instskip(NEXT) | instid1(VALU_DEP_1)
	v_or_b32_e32 v4, 0x70000000, v4
	v_mul_f32_e32 v4, 0x7800000, v4
	s_delay_alu instid0(VALU_DEP_1) | instskip(NEXT) | instid1(VALU_DEP_1)
	v_cndmask_b32_e32 v3, v4, v5, vcc_lo
	v_and_or_b32 v2, 0x80000000, v2, v3
	v_bfe_u32 v3, v3, 16, 1
	s_delay_alu instid0(VALU_DEP_2) | instskip(NEXT) | instid1(VALU_DEP_2)
	v_cmp_o_f32_e32 vcc_lo, v2, v2
	v_add3_u32 v3, v2, v3, 0x7fff
	s_delay_alu instid0(VALU_DEP_1) | instskip(NEXT) | instid1(VALU_DEP_1)
	v_lshrrev_b32_e32 v3, 16, v3
	v_cndmask_b32_e32 v2, 0x7fc0, v3, vcc_lo
.LBB166_1622:
	s_mov_b32 s38, 0
	s_mov_b32 s39, -1
.LBB166_1623:
	s_and_not1_b32 vcc_lo, exec_lo, s38
	s_mov_b32 s38, 0
	s_cbranch_vccnz .LBB166_1634
; %bb.1624:
	s_cmp_gt_i32 s36, 14
	s_cbranch_scc0 .LBB166_1627
; %bb.1625:
	s_cmp_eq_u32 s36, 15
	s_cbranch_scc0 .LBB166_1630
; %bb.1626:
	s_wait_loadcnt 0x0
	global_load_u16 v2, v[0:1], off
	s_mov_b32 s37, 0
	s_mov_b32 s39, -1
	s_branch .LBB166_1632
.LBB166_1627:
	s_mov_b32 s38, -1
	s_branch .LBB166_1631
.LBB166_1628:
	s_or_saveexec_b32 s39, s39
	v_mov_b32_e32 v3, 0x7f800001
	s_xor_b32 exec_lo, exec_lo, s39
	s_cbranch_execz .LBB166_1609
.LBB166_1629:
	v_cmp_ne_u16_e32 vcc_lo, 0, v2
	v_mov_b32_e32 v3, 0
	s_and_not1_b32 s38, s38, exec_lo
	s_and_b32 s40, vcc_lo, exec_lo
	s_delay_alu instid0(SALU_CYCLE_1)
	s_or_b32 s38, s38, s40
	s_or_b32 exec_lo, exec_lo, s39
	s_and_saveexec_b32 s39, s38
	s_cbranch_execnz .LBB166_1610
	s_branch .LBB166_1611
.LBB166_1630:
	s_mov_b32 s37, -1
.LBB166_1631:
                                        ; implicit-def: $vgpr2
.LBB166_1632:
	s_and_b32 vcc_lo, exec_lo, s38
	s_mov_b32 s38, 0
	s_cbranch_vccz .LBB166_1634
; %bb.1633:
	s_cmp_lg_u32 s36, 11
	s_mov_b32 s38, -1
	s_cselect_b32 s36, -1, 0
	s_and_not1_b32 s37, s37, exec_lo
	s_and_b32 s36, s36, exec_lo
	s_delay_alu instid0(SALU_CYCLE_1)
	s_or_b32 s37, s37, s36
.LBB166_1634:
	s_mov_b32 s36, 0
.LBB166_1635:
	s_and_not1_b32 s40, s31, exec_lo
	s_and_b32 s37, s37, exec_lo
	s_and_b32 s41, s39, exec_lo
	;; [unrolled: 1-line block ×4, first 2 shown]
	s_or_b32 s40, s40, s37
.LBB166_1636:
	s_wait_xcnt 0x0
	s_or_b32 exec_lo, exec_lo, s20
	s_delay_alu instid0(SALU_CYCLE_1)
	s_and_not1_b32 s20, s31, exec_lo
	s_and_b32 s31, s40, exec_lo
	s_and_b32 s38, s41, exec_lo
	;; [unrolled: 1-line block ×4, first 2 shown]
	s_or_b32 s31, s20, s31
.LBB166_1637:
	s_or_b32 exec_lo, exec_lo, s30
	s_delay_alu instid0(SALU_CYCLE_1)
	s_and_not1_b32 s20, s26, exec_lo
	s_and_b32 s26, s35, exec_lo
	s_and_not1_b32 s28, s28, exec_lo
	s_or_b32 s26, s20, s26
	s_and_not1_b32 s20, s27, exec_lo
	s_and_b32 s27, s34, exec_lo
	s_and_b32 s30, s33, exec_lo
	s_or_b32 s27, s20, s27
	s_and_not1_b32 s20, s25, exec_lo
	s_and_b32 s25, s31, exec_lo
	s_or_b32 s28, s28, s30
	s_and_b32 s34, s38, exec_lo
	s_and_b32 s33, s37, exec_lo
	;; [unrolled: 1-line block ×3, first 2 shown]
	s_or_b32 s25, s20, s25
.LBB166_1638:
	s_or_b32 exec_lo, exec_lo, s29
	s_delay_alu instid0(SALU_CYCLE_1)
	s_and_not1_b32 s19, s19, exec_lo
	s_and_b32 s20, s26, exec_lo
	s_and_not1_b32 s22, s22, exec_lo
	s_or_b32 s19, s19, s20
	s_and_not1_b32 s20, s21, exec_lo
	s_and_b32 s21, s27, exec_lo
	s_and_b32 s26, s28, exec_lo
	s_or_b32 s21, s20, s21
	s_and_not1_b32 s20, s23, exec_lo
	s_and_b32 s23, s25, exec_lo
	s_or_b32 s22, s22, s26
	s_and_b32 s26, s34, exec_lo
	s_and_b32 s27, s33, exec_lo
	;; [unrolled: 1-line block ×3, first 2 shown]
	s_or_b32 s23, s20, s23
	s_or_b32 exec_lo, exec_lo, s24
	s_mov_b32 s20, 0
	s_and_saveexec_b32 s24, s23
	s_cbranch_execz .LBB166_522
.LBB166_1639:
	s_mov_b32 s20, exec_lo
	s_and_not1_b32 s25, s25, exec_lo
	s_trap 2
	s_or_b32 exec_lo, exec_lo, s24
	s_and_saveexec_b32 s23, s25
	s_delay_alu instid0(SALU_CYCLE_1)
	s_xor_b32 s23, exec_lo, s23
	s_cbranch_execnz .LBB166_523
.LBB166_1640:
	s_or_b32 exec_lo, exec_lo, s23
	s_and_saveexec_b32 s23, s27
	s_cbranch_execz .LBB166_1686
.LBB166_1641:
	s_sext_i32_i16 s24, s0
	s_delay_alu instid0(SALU_CYCLE_1)
	s_cmp_lt_i32 s24, 5
	s_cbranch_scc1 .LBB166_1646
; %bb.1642:
	s_cmp_lt_i32 s24, 8
	s_cbranch_scc1 .LBB166_1647
; %bb.1643:
	;; [unrolled: 3-line block ×3, first 2 shown]
	s_cmp_gt_i32 s24, 9
	s_cbranch_scc0 .LBB166_1649
; %bb.1645:
	s_wait_loadcnt 0x0
	global_load_b64 v[2:3], v[0:1], off
	s_mov_b32 s24, 0
	s_wait_loadcnt 0x0
	v_cvt_f32_f64_e32 v2, v[2:3]
	s_delay_alu instid0(VALU_DEP_1) | instskip(SKIP_1) | instid1(VALU_DEP_2)
	v_bfe_u32 v3, v2, 16, 1
	v_cmp_o_f32_e32 vcc_lo, v2, v2
	v_add3_u32 v3, v2, v3, 0x7fff
	s_delay_alu instid0(VALU_DEP_1) | instskip(NEXT) | instid1(VALU_DEP_1)
	v_lshrrev_b32_e32 v3, 16, v3
	v_cndmask_b32_e32 v2, 0x7fc0, v3, vcc_lo
	s_branch .LBB166_1650
.LBB166_1646:
                                        ; implicit-def: $vgpr2
	s_branch .LBB166_1667
.LBB166_1647:
                                        ; implicit-def: $vgpr2
	s_branch .LBB166_1656
.LBB166_1648:
	s_mov_b32 s24, -1
                                        ; implicit-def: $vgpr2
	s_branch .LBB166_1653
.LBB166_1649:
	s_mov_b32 s24, -1
                                        ; implicit-def: $vgpr2
.LBB166_1650:
	s_delay_alu instid0(SALU_CYCLE_1)
	s_and_not1_b32 vcc_lo, exec_lo, s24
	s_cbranch_vccnz .LBB166_1652
; %bb.1651:
	s_wait_loadcnt 0x0
	global_load_b32 v2, v[0:1], off
	s_wait_loadcnt 0x0
	v_bfe_u32 v3, v2, 16, 1
	v_cmp_o_f32_e32 vcc_lo, v2, v2
	s_delay_alu instid0(VALU_DEP_2) | instskip(NEXT) | instid1(VALU_DEP_1)
	v_add3_u32 v3, v2, v3, 0x7fff
	v_lshrrev_b32_e32 v3, 16, v3
	s_delay_alu instid0(VALU_DEP_1)
	v_cndmask_b32_e32 v2, 0x7fc0, v3, vcc_lo
.LBB166_1652:
	s_mov_b32 s24, 0
.LBB166_1653:
	s_delay_alu instid0(SALU_CYCLE_1)
	s_and_not1_b32 vcc_lo, exec_lo, s24
	s_cbranch_vccnz .LBB166_1655
; %bb.1654:
	s_wait_loadcnt 0x0
	global_load_b32 v2, v[0:1], off
	s_wait_loadcnt 0x0
	v_cvt_f32_f16_e32 v3, v2
	v_cmp_o_f16_e32 vcc_lo, v2, v2
	s_delay_alu instid0(VALU_DEP_2) | instskip(NEXT) | instid1(VALU_DEP_1)
	v_bfe_u32 v4, v3, 16, 1
	v_add3_u32 v3, v3, v4, 0x7fff
	s_delay_alu instid0(VALU_DEP_1) | instskip(NEXT) | instid1(VALU_DEP_1)
	v_lshrrev_b32_e32 v3, 16, v3
	v_cndmask_b32_e32 v2, 0x7fc0, v3, vcc_lo
.LBB166_1655:
	s_cbranch_execnz .LBB166_1666
.LBB166_1656:
	s_sext_i32_i16 s24, s0
	s_delay_alu instid0(SALU_CYCLE_1)
	s_cmp_lt_i32 s24, 6
	s_cbranch_scc1 .LBB166_1659
; %bb.1657:
	s_cmp_gt_i32 s24, 6
	s_cbranch_scc0 .LBB166_1660
; %bb.1658:
	s_wait_loadcnt 0x0
	global_load_b64 v[2:3], v[0:1], off
	s_mov_b32 s24, 0
	s_wait_loadcnt 0x0
	v_cvt_f32_f64_e32 v2, v[2:3]
	s_delay_alu instid0(VALU_DEP_1) | instskip(SKIP_1) | instid1(VALU_DEP_2)
	v_bfe_u32 v3, v2, 16, 1
	v_cmp_o_f32_e32 vcc_lo, v2, v2
	v_add3_u32 v3, v2, v3, 0x7fff
	s_delay_alu instid0(VALU_DEP_1) | instskip(NEXT) | instid1(VALU_DEP_1)
	v_lshrrev_b32_e32 v3, 16, v3
	v_cndmask_b32_e32 v2, 0x7fc0, v3, vcc_lo
	s_branch .LBB166_1661
.LBB166_1659:
	s_mov_b32 s24, -1
                                        ; implicit-def: $vgpr2
	s_branch .LBB166_1664
.LBB166_1660:
	s_mov_b32 s24, -1
                                        ; implicit-def: $vgpr2
.LBB166_1661:
	s_delay_alu instid0(SALU_CYCLE_1)
	s_and_not1_b32 vcc_lo, exec_lo, s24
	s_cbranch_vccnz .LBB166_1663
; %bb.1662:
	s_wait_loadcnt 0x0
	global_load_b32 v2, v[0:1], off
	s_wait_loadcnt 0x0
	v_bfe_u32 v3, v2, 16, 1
	v_cmp_o_f32_e32 vcc_lo, v2, v2
	s_delay_alu instid0(VALU_DEP_2) | instskip(NEXT) | instid1(VALU_DEP_1)
	v_add3_u32 v3, v2, v3, 0x7fff
	v_lshrrev_b32_e32 v3, 16, v3
	s_delay_alu instid0(VALU_DEP_1)
	v_cndmask_b32_e32 v2, 0x7fc0, v3, vcc_lo
.LBB166_1663:
	s_mov_b32 s24, 0
.LBB166_1664:
	s_delay_alu instid0(SALU_CYCLE_1)
	s_and_not1_b32 vcc_lo, exec_lo, s24
	s_cbranch_vccnz .LBB166_1666
; %bb.1665:
	s_wait_loadcnt 0x0
	global_load_u16 v2, v[0:1], off
	s_wait_loadcnt 0x0
	v_cvt_f32_f16_e32 v3, v2
	v_cmp_o_f16_e32 vcc_lo, v2, v2
	s_delay_alu instid0(VALU_DEP_2) | instskip(NEXT) | instid1(VALU_DEP_1)
	v_bfe_u32 v4, v3, 16, 1
	v_add3_u32 v3, v3, v4, 0x7fff
	s_delay_alu instid0(VALU_DEP_1) | instskip(NEXT) | instid1(VALU_DEP_1)
	v_lshrrev_b32_e32 v3, 16, v3
	v_cndmask_b32_e32 v2, 0x7fc0, v3, vcc_lo
.LBB166_1666:
	s_cbranch_execnz .LBB166_1685
.LBB166_1667:
	s_sext_i32_i16 s24, s0
	s_delay_alu instid0(SALU_CYCLE_1)
	s_cmp_lt_i32 s24, 2
	s_cbranch_scc1 .LBB166_1671
; %bb.1668:
	s_cmp_lt_i32 s24, 3
	s_cbranch_scc1 .LBB166_1672
; %bb.1669:
	s_cmp_gt_i32 s24, 3
	s_cbranch_scc0 .LBB166_1673
; %bb.1670:
	s_wait_loadcnt 0x0
	global_load_b64 v[2:3], v[0:1], off
	s_mov_b32 s24, 0
	s_wait_loadcnt 0x0
	v_xor_b32_e32 v4, v2, v3
	v_cls_i32_e32 v5, v3
	s_delay_alu instid0(VALU_DEP_2) | instskip(NEXT) | instid1(VALU_DEP_1)
	v_ashrrev_i32_e32 v4, 31, v4
	v_add_nc_u32_e32 v4, 32, v4
	s_delay_alu instid0(VALU_DEP_1) | instskip(NEXT) | instid1(VALU_DEP_1)
	v_add_min_u32_e64 v4, v5, -1, v4
	v_lshlrev_b64_e32 v[2:3], v4, v[2:3]
	s_delay_alu instid0(VALU_DEP_1) | instskip(NEXT) | instid1(VALU_DEP_1)
	v_min_u32_e32 v2, 1, v2
	v_dual_sub_nc_u32 v3, 32, v4 :: v_dual_bitop2_b32 v2, v3, v2 bitop3:0x54
	s_delay_alu instid0(VALU_DEP_1) | instskip(NEXT) | instid1(VALU_DEP_1)
	v_cvt_f32_i32_e32 v2, v2
	v_ldexp_f32 v2, v2, v3
	s_delay_alu instid0(VALU_DEP_1) | instskip(NEXT) | instid1(VALU_DEP_1)
	v_bfe_u32 v3, v2, 16, 1
	v_add3_u32 v2, v2, v3, 0x7fff
	s_delay_alu instid0(VALU_DEP_1)
	v_lshrrev_b32_e32 v2, 16, v2
	s_branch .LBB166_1674
.LBB166_1671:
                                        ; implicit-def: $vgpr2
	s_branch .LBB166_1680
.LBB166_1672:
	s_mov_b32 s24, -1
                                        ; implicit-def: $vgpr2
	s_branch .LBB166_1677
.LBB166_1673:
	s_mov_b32 s24, -1
                                        ; implicit-def: $vgpr2
.LBB166_1674:
	s_delay_alu instid0(SALU_CYCLE_1)
	s_and_not1_b32 vcc_lo, exec_lo, s24
	s_cbranch_vccnz .LBB166_1676
; %bb.1675:
	s_wait_loadcnt 0x0
	global_load_b32 v2, v[0:1], off
	s_wait_loadcnt 0x0
	v_cvt_f32_i32_e32 v2, v2
	s_delay_alu instid0(VALU_DEP_1) | instskip(NEXT) | instid1(VALU_DEP_1)
	v_bfe_u32 v3, v2, 16, 1
	v_add3_u32 v2, v2, v3, 0x7fff
	s_delay_alu instid0(VALU_DEP_1)
	v_lshrrev_b32_e32 v2, 16, v2
.LBB166_1676:
	s_mov_b32 s24, 0
.LBB166_1677:
	s_delay_alu instid0(SALU_CYCLE_1)
	s_and_not1_b32 vcc_lo, exec_lo, s24
	s_cbranch_vccnz .LBB166_1679
; %bb.1678:
	s_wait_loadcnt 0x0
	global_load_i16 v2, v[0:1], off
	s_wait_loadcnt 0x0
	v_cvt_f32_i32_e32 v2, v2
	s_delay_alu instid0(VALU_DEP_1) | instskip(NEXT) | instid1(VALU_DEP_1)
	v_bfe_u32 v3, v2, 16, 1
	v_add3_u32 v2, v2, v3, 0x7fff
	s_delay_alu instid0(VALU_DEP_1)
	v_lshrrev_b32_e32 v2, 16, v2
.LBB166_1679:
	s_cbranch_execnz .LBB166_1685
.LBB166_1680:
	s_sext_i32_i16 s0, s0
	s_delay_alu instid0(SALU_CYCLE_1)
	s_cmp_gt_i32 s0, 0
	s_mov_b32 s0, 0
	s_cbranch_scc0 .LBB166_1682
; %bb.1681:
	s_wait_loadcnt 0x0
	global_load_i8 v2, v[0:1], off
	s_wait_loadcnt 0x0
	v_cvt_f32_i32_e32 v2, v2
	s_delay_alu instid0(VALU_DEP_1) | instskip(NEXT) | instid1(VALU_DEP_1)
	v_bfe_u32 v3, v2, 16, 1
	v_add3_u32 v2, v2, v3, 0x7fff
	s_delay_alu instid0(VALU_DEP_1)
	v_lshrrev_b32_e32 v2, 16, v2
	s_branch .LBB166_1683
.LBB166_1682:
	s_mov_b32 s0, -1
                                        ; implicit-def: $vgpr2
.LBB166_1683:
	s_delay_alu instid0(SALU_CYCLE_1)
	s_and_not1_b32 vcc_lo, exec_lo, s0
	s_cbranch_vccnz .LBB166_1685
; %bb.1684:
	global_load_u8 v0, v[0:1], off
	s_wait_loadcnt 0x0
	v_cvt_f32_ubyte0_e32 v0, v0
	s_delay_alu instid0(VALU_DEP_1) | instskip(NEXT) | instid1(VALU_DEP_1)
	v_bfe_u32 v1, v0, 16, 1
	v_add3_u32 v0, v0, v1, 0x7fff
	s_delay_alu instid0(VALU_DEP_1)
	v_lshrrev_b32_e32 v2, 16, v0
.LBB166_1685:
	s_or_b32 s26, s26, exec_lo
.LBB166_1686:
	s_wait_xcnt 0x0
	s_or_b32 exec_lo, exec_lo, s23
	s_mov_b32 s25, 0
	s_mov_b32 s27, 0
	;; [unrolled: 1-line block ×3, first 2 shown]
                                        ; implicit-def: $sgpr0
                                        ; implicit-def: $vgpr0_vgpr1
                                        ; implicit-def: $vgpr3
	s_and_saveexec_b32 s23, s26
	s_cbranch_execz .LBB166_1694
; %bb.1687:
	v_mul_lo_u32 v0, v8, s14
	s_and_b32 s0, s3, 0xff
	s_delay_alu instid0(SALU_CYCLE_1) | instskip(NEXT) | instid1(VALU_DEP_1)
	s_cmp_lt_i32 s0, 11
	v_ashrrev_i32_e32 v1, 31, v0
	s_delay_alu instid0(VALU_DEP_1)
	v_add_nc_u64_e32 v[0:1], s[8:9], v[0:1]
	s_cbranch_scc1 .LBB166_1697
; %bb.1688:
	s_and_b32 s24, 0xffff, s0
	s_mov_b32 s26, 0
	s_cmp_gt_i32 s24, 25
	s_cbranch_scc0 .LBB166_1698
; %bb.1689:
	s_cmp_gt_i32 s24, 28
	s_cbranch_scc0 .LBB166_1699
; %bb.1690:
	;; [unrolled: 3-line block ×4, first 2 shown]
	s_cmp_eq_u32 s24, 46
	s_mov_b32 s28, 0
	s_cbranch_scc0 .LBB166_1702
; %bb.1693:
	s_wait_loadcnt 0x0
	global_load_b32 v3, v[0:1], off
	s_mov_b32 s27, -1
	s_branch .LBB166_1704
.LBB166_1694:
	s_or_b32 exec_lo, exec_lo, s23
	s_and_saveexec_b32 s23, s22
	s_cbranch_execnz .LBB166_1767
.LBB166_1695:
	s_or_b32 exec_lo, exec_lo, s23
	s_and_saveexec_b32 s22, s25
	s_delay_alu instid0(SALU_CYCLE_1)
	s_xor_b32 s22, exec_lo, s22
	s_cbranch_execz .LBB166_1768
.LBB166_1696:
	s_wait_loadcnt 0x0
	global_load_u8 v3, v[0:1], off
	s_or_b32 s24, s24, exec_lo
	s_wait_loadcnt 0x0
	v_cmp_ne_u16_e32 vcc_lo, 0, v3
	v_cndmask_b32_e64 v3, 0, 1.0, vcc_lo
	s_delay_alu instid0(VALU_DEP_1)
	v_lshrrev_b32_e32 v3, 16, v3
	s_wait_xcnt 0x0
	s_or_b32 exec_lo, exec_lo, s22
	s_and_saveexec_b32 s22, s27
	s_cbranch_execz .LBB166_1814
	s_branch .LBB166_1769
.LBB166_1697:
	s_mov_b32 s28, -1
	s_mov_b32 s26, 0
	s_mov_b32 s25, s22
                                        ; implicit-def: $vgpr3
	s_branch .LBB166_1766
.LBB166_1698:
	s_mov_b32 s25, s22
                                        ; implicit-def: $vgpr3
	s_cbranch_execnz .LBB166_1733
	s_branch .LBB166_1765
.LBB166_1699:
	s_mov_b32 s28, -1
	s_mov_b32 s25, s22
                                        ; implicit-def: $vgpr3
	s_branch .LBB166_1714
.LBB166_1700:
	s_mov_b32 s28, -1
	s_mov_b32 s25, s22
                                        ; implicit-def: $vgpr3
	s_branch .LBB166_1709
.LBB166_1701:
	s_mov_b32 s28, -1
	s_mov_b32 s25, s22
	s_branch .LBB166_1703
.LBB166_1702:
	s_mov_b32 s25, -1
.LBB166_1703:
                                        ; implicit-def: $vgpr3
.LBB166_1704:
	s_and_b32 vcc_lo, exec_lo, s28
	s_cbranch_vccz .LBB166_1708
; %bb.1705:
	s_cmp_eq_u32 s24, 44
	s_cbranch_scc0 .LBB166_1707
; %bb.1706:
	s_wait_loadcnt 0x0
	global_load_u8 v3, v[0:1], off
	s_mov_b32 s25, 0
	s_mov_b32 s27, -1
	s_wait_loadcnt 0x0
	v_lshlrev_b32_e32 v4, 23, v3
	v_cmp_ne_u32_e32 vcc_lo, 0xff, v3
	s_delay_alu instid0(VALU_DEP_2) | instskip(SKIP_1) | instid1(VALU_DEP_2)
	v_cndmask_b32_e32 v4, 0x7f800001, v4, vcc_lo
	v_cmp_ne_u32_e32 vcc_lo, 0, v3
	v_cndmask_b32_e32 v3, 0x400000, v4, vcc_lo
	s_delay_alu instid0(VALU_DEP_1) | instskip(NEXT) | instid1(VALU_DEP_1)
	v_add_nc_u32_e32 v4, 0x7fff, v3
	v_lshrrev_b32_e32 v4, 16, v4
	v_cmp_o_f32_e32 vcc_lo, v3, v3
	s_delay_alu instid0(VALU_DEP_2)
	v_cndmask_b32_e32 v3, 0x7fc0, v4, vcc_lo
	s_branch .LBB166_1708
.LBB166_1707:
	s_mov_b32 s25, -1
                                        ; implicit-def: $vgpr3
.LBB166_1708:
	s_mov_b32 s28, 0
.LBB166_1709:
	s_delay_alu instid0(SALU_CYCLE_1)
	s_and_b32 vcc_lo, exec_lo, s28
	s_cbranch_vccz .LBB166_1713
; %bb.1710:
	s_cmp_eq_u32 s24, 29
	s_cbranch_scc0 .LBB166_1712
; %bb.1711:
	s_wait_loadcnt 0x0
	global_load_b64 v[4:5], v[0:1], off
	s_mov_b32 s25, 0
	s_mov_b32 s27, -1
	s_mov_b32 s28, 0
	s_wait_loadcnt 0x0
	v_clz_i32_u32_e32 v3, v5
	s_delay_alu instid0(VALU_DEP_1) | instskip(NEXT) | instid1(VALU_DEP_1)
	v_min_u32_e32 v3, 32, v3
	v_lshlrev_b64_e32 v[4:5], v3, v[4:5]
	v_sub_nc_u32_e32 v3, 32, v3
	s_delay_alu instid0(VALU_DEP_2) | instskip(NEXT) | instid1(VALU_DEP_1)
	v_min_u32_e32 v4, 1, v4
	v_or_b32_e32 v4, v5, v4
	s_delay_alu instid0(VALU_DEP_1) | instskip(NEXT) | instid1(VALU_DEP_1)
	v_cvt_f32_u32_e32 v4, v4
	v_ldexp_f32 v3, v4, v3
	s_delay_alu instid0(VALU_DEP_1) | instskip(NEXT) | instid1(VALU_DEP_1)
	v_bfe_u32 v4, v3, 16, 1
	v_add3_u32 v3, v3, v4, 0x7fff
	s_delay_alu instid0(VALU_DEP_1)
	v_lshrrev_b32_e32 v3, 16, v3
	s_branch .LBB166_1714
.LBB166_1712:
	s_mov_b32 s25, -1
                                        ; implicit-def: $vgpr3
.LBB166_1713:
	s_mov_b32 s28, 0
.LBB166_1714:
	s_delay_alu instid0(SALU_CYCLE_1)
	s_and_b32 vcc_lo, exec_lo, s28
	s_cbranch_vccz .LBB166_1732
; %bb.1715:
	s_cmp_lt_i32 s24, 27
	s_cbranch_scc1 .LBB166_1718
; %bb.1716:
	s_cmp_gt_i32 s24, 27
	s_cbranch_scc0 .LBB166_1719
; %bb.1717:
	s_wait_loadcnt 0x0
	global_load_b32 v3, v[0:1], off
	s_mov_b32 s27, 0
	s_wait_loadcnt 0x0
	v_cvt_f32_u32_e32 v3, v3
	s_delay_alu instid0(VALU_DEP_1) | instskip(NEXT) | instid1(VALU_DEP_1)
	v_bfe_u32 v4, v3, 16, 1
	v_add3_u32 v3, v3, v4, 0x7fff
	s_delay_alu instid0(VALU_DEP_1)
	v_lshrrev_b32_e32 v3, 16, v3
	s_branch .LBB166_1720
.LBB166_1718:
	s_mov_b32 s27, -1
                                        ; implicit-def: $vgpr3
	s_branch .LBB166_1723
.LBB166_1719:
	s_mov_b32 s27, -1
                                        ; implicit-def: $vgpr3
.LBB166_1720:
	s_delay_alu instid0(SALU_CYCLE_1)
	s_and_not1_b32 vcc_lo, exec_lo, s27
	s_cbranch_vccnz .LBB166_1722
; %bb.1721:
	s_wait_loadcnt 0x0
	global_load_u16 v3, v[0:1], off
	s_wait_loadcnt 0x0
	v_cvt_f32_u32_e32 v3, v3
	s_delay_alu instid0(VALU_DEP_1) | instskip(NEXT) | instid1(VALU_DEP_1)
	v_bfe_u32 v4, v3, 16, 1
	v_add3_u32 v3, v3, v4, 0x7fff
	s_delay_alu instid0(VALU_DEP_1)
	v_lshrrev_b32_e32 v3, 16, v3
.LBB166_1722:
	s_mov_b32 s27, 0
.LBB166_1723:
	s_delay_alu instid0(SALU_CYCLE_1)
	s_and_not1_b32 vcc_lo, exec_lo, s27
	s_cbranch_vccnz .LBB166_1731
; %bb.1724:
	s_wait_loadcnt 0x0
	global_load_u8 v3, v[0:1], off
	s_mov_b32 s27, 0
	s_mov_b32 s28, exec_lo
	s_wait_loadcnt 0x0
	v_cmpx_lt_i16_e32 0x7f, v3
	s_xor_b32 s28, exec_lo, s28
	s_cbranch_execz .LBB166_1744
; %bb.1725:
	s_mov_b32 s27, -1
	s_mov_b32 s29, exec_lo
	v_cmpx_eq_u16_e32 0x80, v3
; %bb.1726:
	s_xor_b32 s27, exec_lo, -1
; %bb.1727:
	s_or_b32 exec_lo, exec_lo, s29
	s_delay_alu instid0(SALU_CYCLE_1)
	s_and_b32 s27, s27, exec_lo
	s_or_saveexec_b32 s28, s28
	v_mov_b32_e32 v4, 0x7f800001
	s_xor_b32 exec_lo, exec_lo, s28
	s_cbranch_execnz .LBB166_1745
.LBB166_1728:
	s_or_b32 exec_lo, exec_lo, s28
	s_and_saveexec_b32 s28, s27
	s_cbranch_execz .LBB166_1730
.LBB166_1729:
	v_and_b32_e32 v4, 0xffff, v3
	s_delay_alu instid0(VALU_DEP_1) | instskip(SKIP_1) | instid1(VALU_DEP_2)
	v_and_b32_e32 v5, 7, v4
	v_bfe_u32 v9, v4, 3, 4
	v_clz_i32_u32_e32 v6, v5
	s_delay_alu instid0(VALU_DEP_2) | instskip(NEXT) | instid1(VALU_DEP_2)
	v_cmp_eq_u32_e32 vcc_lo, 0, v9
	v_min_u32_e32 v6, 32, v6
	s_delay_alu instid0(VALU_DEP_1) | instskip(NEXT) | instid1(VALU_DEP_1)
	v_subrev_nc_u32_e32 v7, 28, v6
	v_dual_lshlrev_b32 v4, v7, v4 :: v_dual_sub_nc_u32 v6, 29, v6
	s_delay_alu instid0(VALU_DEP_1) | instskip(NEXT) | instid1(VALU_DEP_2)
	v_dual_lshlrev_b32 v3, 24, v3 :: v_dual_bitop2_b32 v4, 7, v4 bitop3:0x40
	v_cndmask_b32_e32 v6, v9, v6, vcc_lo
	s_delay_alu instid0(VALU_DEP_2) | instskip(NEXT) | instid1(VALU_DEP_3)
	v_cndmask_b32_e32 v4, v5, v4, vcc_lo
	v_and_b32_e32 v3, 0x80000000, v3
	s_delay_alu instid0(VALU_DEP_3) | instskip(NEXT) | instid1(VALU_DEP_3)
	v_lshl_add_u32 v5, v6, 23, 0x3b800000
	v_lshlrev_b32_e32 v4, 20, v4
	s_delay_alu instid0(VALU_DEP_1)
	v_or3_b32 v4, v3, v5, v4
.LBB166_1730:
	s_or_b32 exec_lo, exec_lo, s28
	s_delay_alu instid0(VALU_DEP_1) | instskip(SKIP_1) | instid1(VALU_DEP_2)
	v_bfe_u32 v3, v4, 16, 1
	v_cmp_o_f32_e32 vcc_lo, v4, v4
	v_add3_u32 v3, v4, v3, 0x7fff
	s_delay_alu instid0(VALU_DEP_1) | instskip(NEXT) | instid1(VALU_DEP_1)
	v_lshrrev_b32_e32 v3, 16, v3
	v_cndmask_b32_e32 v3, 0x7fc0, v3, vcc_lo
.LBB166_1731:
	s_mov_b32 s27, -1
.LBB166_1732:
	s_branch .LBB166_1765
.LBB166_1733:
	s_cmp_gt_i32 s24, 22
	s_cbranch_scc0 .LBB166_1743
; %bb.1734:
	s_cmp_lt_i32 s24, 24
	s_cbranch_scc1 .LBB166_1746
; %bb.1735:
	s_cmp_gt_i32 s24, 24
	s_cbranch_scc0 .LBB166_1747
; %bb.1736:
	s_wait_loadcnt 0x0
	global_load_u8 v3, v[0:1], off
	s_mov_b32 s27, exec_lo
	s_wait_loadcnt 0x0
	v_cmpx_lt_i16_e32 0x7f, v3
	s_xor_b32 s27, exec_lo, s27
	s_cbranch_execz .LBB166_1759
; %bb.1737:
	s_mov_b32 s26, -1
	s_mov_b32 s28, exec_lo
	v_cmpx_eq_u16_e32 0x80, v3
; %bb.1738:
	s_xor_b32 s26, exec_lo, -1
; %bb.1739:
	s_or_b32 exec_lo, exec_lo, s28
	s_delay_alu instid0(SALU_CYCLE_1)
	s_and_b32 s26, s26, exec_lo
	s_or_saveexec_b32 s27, s27
	v_mov_b32_e32 v4, 0x7f800001
	s_xor_b32 exec_lo, exec_lo, s27
	s_cbranch_execnz .LBB166_1760
.LBB166_1740:
	s_or_b32 exec_lo, exec_lo, s27
	s_and_saveexec_b32 s27, s26
	s_cbranch_execz .LBB166_1742
.LBB166_1741:
	v_and_b32_e32 v4, 0xffff, v3
	s_delay_alu instid0(VALU_DEP_1) | instskip(SKIP_1) | instid1(VALU_DEP_2)
	v_and_b32_e32 v5, 3, v4
	v_bfe_u32 v9, v4, 2, 5
	v_clz_i32_u32_e32 v6, v5
	s_delay_alu instid0(VALU_DEP_2) | instskip(NEXT) | instid1(VALU_DEP_2)
	v_cmp_eq_u32_e32 vcc_lo, 0, v9
	v_min_u32_e32 v6, 32, v6
	s_delay_alu instid0(VALU_DEP_1) | instskip(NEXT) | instid1(VALU_DEP_1)
	v_subrev_nc_u32_e32 v7, 29, v6
	v_dual_lshlrev_b32 v4, v7, v4 :: v_dual_sub_nc_u32 v6, 30, v6
	s_delay_alu instid0(VALU_DEP_1) | instskip(NEXT) | instid1(VALU_DEP_2)
	v_dual_lshlrev_b32 v3, 24, v3 :: v_dual_bitop2_b32 v4, 3, v4 bitop3:0x40
	v_cndmask_b32_e32 v6, v9, v6, vcc_lo
	s_delay_alu instid0(VALU_DEP_2) | instskip(NEXT) | instid1(VALU_DEP_3)
	v_cndmask_b32_e32 v4, v5, v4, vcc_lo
	v_and_b32_e32 v3, 0x80000000, v3
	s_delay_alu instid0(VALU_DEP_3) | instskip(NEXT) | instid1(VALU_DEP_3)
	v_lshl_add_u32 v5, v6, 23, 0x37800000
	v_lshlrev_b32_e32 v4, 21, v4
	s_delay_alu instid0(VALU_DEP_1)
	v_or3_b32 v4, v3, v5, v4
.LBB166_1742:
	s_or_b32 exec_lo, exec_lo, s27
	s_delay_alu instid0(VALU_DEP_1) | instskip(SKIP_2) | instid1(VALU_DEP_2)
	v_bfe_u32 v3, v4, 16, 1
	v_cmp_o_f32_e32 vcc_lo, v4, v4
	s_mov_b32 s26, 0
	v_add3_u32 v3, v4, v3, 0x7fff
	s_delay_alu instid0(VALU_DEP_1) | instskip(NEXT) | instid1(VALU_DEP_1)
	v_lshrrev_b32_e32 v3, 16, v3
	v_cndmask_b32_e32 v3, 0x7fc0, v3, vcc_lo
	s_branch .LBB166_1748
.LBB166_1743:
	s_mov_b32 s26, -1
                                        ; implicit-def: $vgpr3
	s_branch .LBB166_1754
.LBB166_1744:
	s_or_saveexec_b32 s28, s28
	v_mov_b32_e32 v4, 0x7f800001
	s_xor_b32 exec_lo, exec_lo, s28
	s_cbranch_execz .LBB166_1728
.LBB166_1745:
	v_cmp_ne_u16_e32 vcc_lo, 0, v3
	v_mov_b32_e32 v4, 0
	s_and_not1_b32 s27, s27, exec_lo
	s_and_b32 s29, vcc_lo, exec_lo
	s_delay_alu instid0(SALU_CYCLE_1)
	s_or_b32 s27, s27, s29
	s_or_b32 exec_lo, exec_lo, s28
	s_and_saveexec_b32 s28, s27
	s_cbranch_execnz .LBB166_1729
	s_branch .LBB166_1730
.LBB166_1746:
	s_mov_b32 s26, -1
                                        ; implicit-def: $vgpr3
	s_branch .LBB166_1751
.LBB166_1747:
	s_mov_b32 s26, -1
                                        ; implicit-def: $vgpr3
.LBB166_1748:
	s_delay_alu instid0(SALU_CYCLE_1)
	s_and_b32 vcc_lo, exec_lo, s26
	s_cbranch_vccz .LBB166_1750
; %bb.1749:
	s_wait_loadcnt 0x0
	global_load_u8 v3, v[0:1], off
	s_wait_loadcnt 0x0
	v_lshlrev_b32_e32 v3, 24, v3
	s_delay_alu instid0(VALU_DEP_1) | instskip(NEXT) | instid1(VALU_DEP_1)
	v_and_b32_e32 v4, 0x7f000000, v3
	v_clz_i32_u32_e32 v5, v4
	v_cmp_ne_u32_e32 vcc_lo, 0, v4
	v_add_nc_u32_e32 v7, 0x1000000, v4
	s_delay_alu instid0(VALU_DEP_3) | instskip(NEXT) | instid1(VALU_DEP_1)
	v_min_u32_e32 v5, 32, v5
	v_sub_nc_u32_e64 v5, v5, 4 clamp
	s_delay_alu instid0(VALU_DEP_1) | instskip(NEXT) | instid1(VALU_DEP_1)
	v_dual_lshlrev_b32 v6, v5, v4 :: v_dual_lshlrev_b32 v5, 23, v5
	v_lshrrev_b32_e32 v6, 4, v6
	s_delay_alu instid0(VALU_DEP_1) | instskip(NEXT) | instid1(VALU_DEP_1)
	v_dual_sub_nc_u32 v5, v6, v5 :: v_dual_ashrrev_i32 v6, 8, v7
	v_add_nc_u32_e32 v5, 0x3c000000, v5
	s_delay_alu instid0(VALU_DEP_1) | instskip(NEXT) | instid1(VALU_DEP_1)
	v_and_or_b32 v5, 0x7f800000, v6, v5
	v_cndmask_b32_e32 v4, 0, v5, vcc_lo
	s_delay_alu instid0(VALU_DEP_1) | instskip(SKIP_1) | instid1(VALU_DEP_2)
	v_and_or_b32 v3, 0x80000000, v3, v4
	v_bfe_u32 v4, v4, 16, 1
	v_cmp_o_f32_e32 vcc_lo, v3, v3
	s_delay_alu instid0(VALU_DEP_2) | instskip(NEXT) | instid1(VALU_DEP_1)
	v_add3_u32 v4, v3, v4, 0x7fff
	v_lshrrev_b32_e32 v4, 16, v4
	s_delay_alu instid0(VALU_DEP_1)
	v_cndmask_b32_e32 v3, 0x7fc0, v4, vcc_lo
.LBB166_1750:
	s_mov_b32 s26, 0
.LBB166_1751:
	s_delay_alu instid0(SALU_CYCLE_1)
	s_and_not1_b32 vcc_lo, exec_lo, s26
	s_cbranch_vccnz .LBB166_1753
; %bb.1752:
	s_wait_loadcnt 0x0
	global_load_u8 v3, v[0:1], off
	s_wait_loadcnt 0x0
	v_lshlrev_b32_e32 v4, 25, v3
	v_lshlrev_b16 v3, 8, v3
	s_delay_alu instid0(VALU_DEP_1) | instskip(SKIP_1) | instid1(VALU_DEP_2)
	v_and_or_b32 v6, 0x7f00, v3, 0.5
	v_bfe_i32 v3, v3, 0, 16
	v_dual_add_f32 v6, -0.5, v6 :: v_dual_lshrrev_b32 v5, 4, v4
	v_cmp_gt_u32_e32 vcc_lo, 0x8000000, v4
	s_delay_alu instid0(VALU_DEP_2) | instskip(NEXT) | instid1(VALU_DEP_1)
	v_or_b32_e32 v5, 0x70000000, v5
	v_mul_f32_e32 v5, 0x7800000, v5
	s_delay_alu instid0(VALU_DEP_1) | instskip(NEXT) | instid1(VALU_DEP_1)
	v_cndmask_b32_e32 v4, v5, v6, vcc_lo
	v_and_or_b32 v3, 0x80000000, v3, v4
	v_bfe_u32 v4, v4, 16, 1
	s_delay_alu instid0(VALU_DEP_2) | instskip(NEXT) | instid1(VALU_DEP_2)
	v_cmp_o_f32_e32 vcc_lo, v3, v3
	v_add3_u32 v4, v3, v4, 0x7fff
	s_delay_alu instid0(VALU_DEP_1) | instskip(NEXT) | instid1(VALU_DEP_1)
	v_lshrrev_b32_e32 v4, 16, v4
	v_cndmask_b32_e32 v3, 0x7fc0, v4, vcc_lo
.LBB166_1753:
	s_mov_b32 s26, 0
	s_mov_b32 s27, -1
.LBB166_1754:
	s_and_not1_b32 vcc_lo, exec_lo, s26
	s_mov_b32 s26, 0
	s_cbranch_vccnz .LBB166_1765
; %bb.1755:
	s_cmp_gt_i32 s24, 14
	s_cbranch_scc0 .LBB166_1758
; %bb.1756:
	s_cmp_eq_u32 s24, 15
	s_cbranch_scc0 .LBB166_1761
; %bb.1757:
	s_wait_loadcnt 0x0
	global_load_u16 v3, v[0:1], off
	s_mov_b32 s25, 0
	s_mov_b32 s27, -1
	s_branch .LBB166_1763
.LBB166_1758:
	s_mov_b32 s26, -1
	s_branch .LBB166_1762
.LBB166_1759:
	s_or_saveexec_b32 s27, s27
	v_mov_b32_e32 v4, 0x7f800001
	s_xor_b32 exec_lo, exec_lo, s27
	s_cbranch_execz .LBB166_1740
.LBB166_1760:
	v_cmp_ne_u16_e32 vcc_lo, 0, v3
	v_mov_b32_e32 v4, 0
	s_and_not1_b32 s26, s26, exec_lo
	s_and_b32 s28, vcc_lo, exec_lo
	s_delay_alu instid0(SALU_CYCLE_1)
	s_or_b32 s26, s26, s28
	s_or_b32 exec_lo, exec_lo, s27
	s_and_saveexec_b32 s27, s26
	s_cbranch_execnz .LBB166_1741
	s_branch .LBB166_1742
.LBB166_1761:
	s_mov_b32 s25, -1
.LBB166_1762:
                                        ; implicit-def: $vgpr3
.LBB166_1763:
	s_and_b32 vcc_lo, exec_lo, s26
	s_mov_b32 s26, 0
	s_cbranch_vccz .LBB166_1765
; %bb.1764:
	s_cmp_lg_u32 s24, 11
	s_mov_b32 s26, -1
	s_cselect_b32 s24, -1, 0
	s_and_not1_b32 s25, s25, exec_lo
	s_and_b32 s24, s24, exec_lo
	s_delay_alu instid0(SALU_CYCLE_1)
	s_or_b32 s25, s25, s24
.LBB166_1765:
	s_mov_b32 s28, 0
.LBB166_1766:
	s_and_b32 s24, s27, exec_lo
	s_and_b32 s27, s28, exec_lo
	s_and_not1_b32 s22, s22, exec_lo
	s_and_b32 s28, s25, exec_lo
	s_and_b32 s25, s26, exec_lo
	s_or_b32 s22, s22, s28
	s_wait_xcnt 0x0
	s_or_b32 exec_lo, exec_lo, s23
	s_and_saveexec_b32 s23, s22
	s_cbranch_execz .LBB166_1695
.LBB166_1767:
	s_or_b32 s20, s20, exec_lo
	s_and_not1_b32 s25, s25, exec_lo
	s_trap 2
	s_or_b32 exec_lo, exec_lo, s23
	s_and_saveexec_b32 s22, s25
	s_delay_alu instid0(SALU_CYCLE_1)
	s_xor_b32 s22, exec_lo, s22
	s_cbranch_execnz .LBB166_1696
.LBB166_1768:
	s_or_b32 exec_lo, exec_lo, s22
	s_and_saveexec_b32 s22, s27
	s_cbranch_execz .LBB166_1814
.LBB166_1769:
	s_sext_i32_i16 s23, s0
	s_delay_alu instid0(SALU_CYCLE_1)
	s_cmp_lt_i32 s23, 5
	s_cbranch_scc1 .LBB166_1774
; %bb.1770:
	s_cmp_lt_i32 s23, 8
	s_cbranch_scc1 .LBB166_1775
; %bb.1771:
	;; [unrolled: 3-line block ×3, first 2 shown]
	s_cmp_gt_i32 s23, 9
	s_cbranch_scc0 .LBB166_1777
; %bb.1773:
	s_wait_loadcnt 0x0
	global_load_b64 v[4:5], v[0:1], off
	s_mov_b32 s23, 0
	s_wait_loadcnt 0x0
	v_cvt_f32_f64_e32 v3, v[4:5]
	s_delay_alu instid0(VALU_DEP_1) | instskip(SKIP_1) | instid1(VALU_DEP_2)
	v_bfe_u32 v4, v3, 16, 1
	v_cmp_o_f32_e32 vcc_lo, v3, v3
	v_add3_u32 v4, v3, v4, 0x7fff
	s_delay_alu instid0(VALU_DEP_1) | instskip(NEXT) | instid1(VALU_DEP_1)
	v_lshrrev_b32_e32 v4, 16, v4
	v_cndmask_b32_e32 v3, 0x7fc0, v4, vcc_lo
	s_branch .LBB166_1778
.LBB166_1774:
                                        ; implicit-def: $vgpr3
	s_branch .LBB166_1795
.LBB166_1775:
                                        ; implicit-def: $vgpr3
	s_branch .LBB166_1784
.LBB166_1776:
	s_mov_b32 s23, -1
                                        ; implicit-def: $vgpr3
	s_branch .LBB166_1781
.LBB166_1777:
	s_mov_b32 s23, -1
                                        ; implicit-def: $vgpr3
.LBB166_1778:
	s_delay_alu instid0(SALU_CYCLE_1)
	s_and_not1_b32 vcc_lo, exec_lo, s23
	s_cbranch_vccnz .LBB166_1780
; %bb.1779:
	s_wait_loadcnt 0x0
	global_load_b32 v3, v[0:1], off
	s_wait_loadcnt 0x0
	v_bfe_u32 v4, v3, 16, 1
	v_cmp_o_f32_e32 vcc_lo, v3, v3
	s_delay_alu instid0(VALU_DEP_2) | instskip(NEXT) | instid1(VALU_DEP_1)
	v_add3_u32 v4, v3, v4, 0x7fff
	v_lshrrev_b32_e32 v4, 16, v4
	s_delay_alu instid0(VALU_DEP_1)
	v_cndmask_b32_e32 v3, 0x7fc0, v4, vcc_lo
.LBB166_1780:
	s_mov_b32 s23, 0
.LBB166_1781:
	s_delay_alu instid0(SALU_CYCLE_1)
	s_and_not1_b32 vcc_lo, exec_lo, s23
	s_cbranch_vccnz .LBB166_1783
; %bb.1782:
	s_wait_loadcnt 0x0
	global_load_b32 v3, v[0:1], off
	s_wait_loadcnt 0x0
	v_cvt_f32_f16_e32 v4, v3
	v_cmp_o_f16_e32 vcc_lo, v3, v3
	s_delay_alu instid0(VALU_DEP_2) | instskip(NEXT) | instid1(VALU_DEP_1)
	v_bfe_u32 v5, v4, 16, 1
	v_add3_u32 v4, v4, v5, 0x7fff
	s_delay_alu instid0(VALU_DEP_1) | instskip(NEXT) | instid1(VALU_DEP_1)
	v_lshrrev_b32_e32 v4, 16, v4
	v_cndmask_b32_e32 v3, 0x7fc0, v4, vcc_lo
.LBB166_1783:
	s_cbranch_execnz .LBB166_1794
.LBB166_1784:
	s_sext_i32_i16 s23, s0
	s_delay_alu instid0(SALU_CYCLE_1)
	s_cmp_lt_i32 s23, 6
	s_cbranch_scc1 .LBB166_1787
; %bb.1785:
	s_cmp_gt_i32 s23, 6
	s_cbranch_scc0 .LBB166_1788
; %bb.1786:
	s_wait_loadcnt 0x0
	global_load_b64 v[4:5], v[0:1], off
	s_mov_b32 s23, 0
	s_wait_loadcnt 0x0
	v_cvt_f32_f64_e32 v3, v[4:5]
	s_delay_alu instid0(VALU_DEP_1) | instskip(SKIP_1) | instid1(VALU_DEP_2)
	v_bfe_u32 v4, v3, 16, 1
	v_cmp_o_f32_e32 vcc_lo, v3, v3
	v_add3_u32 v4, v3, v4, 0x7fff
	s_delay_alu instid0(VALU_DEP_1) | instskip(NEXT) | instid1(VALU_DEP_1)
	v_lshrrev_b32_e32 v4, 16, v4
	v_cndmask_b32_e32 v3, 0x7fc0, v4, vcc_lo
	s_branch .LBB166_1789
.LBB166_1787:
	s_mov_b32 s23, -1
                                        ; implicit-def: $vgpr3
	s_branch .LBB166_1792
.LBB166_1788:
	s_mov_b32 s23, -1
                                        ; implicit-def: $vgpr3
.LBB166_1789:
	s_delay_alu instid0(SALU_CYCLE_1)
	s_and_not1_b32 vcc_lo, exec_lo, s23
	s_cbranch_vccnz .LBB166_1791
; %bb.1790:
	s_wait_loadcnt 0x0
	global_load_b32 v3, v[0:1], off
	s_wait_loadcnt 0x0
	v_bfe_u32 v4, v3, 16, 1
	v_cmp_o_f32_e32 vcc_lo, v3, v3
	s_delay_alu instid0(VALU_DEP_2) | instskip(NEXT) | instid1(VALU_DEP_1)
	v_add3_u32 v4, v3, v4, 0x7fff
	v_lshrrev_b32_e32 v4, 16, v4
	s_delay_alu instid0(VALU_DEP_1)
	v_cndmask_b32_e32 v3, 0x7fc0, v4, vcc_lo
.LBB166_1791:
	s_mov_b32 s23, 0
.LBB166_1792:
	s_delay_alu instid0(SALU_CYCLE_1)
	s_and_not1_b32 vcc_lo, exec_lo, s23
	s_cbranch_vccnz .LBB166_1794
; %bb.1793:
	s_wait_loadcnt 0x0
	global_load_u16 v3, v[0:1], off
	s_wait_loadcnt 0x0
	v_cvt_f32_f16_e32 v4, v3
	v_cmp_o_f16_e32 vcc_lo, v3, v3
	s_delay_alu instid0(VALU_DEP_2) | instskip(NEXT) | instid1(VALU_DEP_1)
	v_bfe_u32 v5, v4, 16, 1
	v_add3_u32 v4, v4, v5, 0x7fff
	s_delay_alu instid0(VALU_DEP_1) | instskip(NEXT) | instid1(VALU_DEP_1)
	v_lshrrev_b32_e32 v4, 16, v4
	v_cndmask_b32_e32 v3, 0x7fc0, v4, vcc_lo
.LBB166_1794:
	s_cbranch_execnz .LBB166_1813
.LBB166_1795:
	s_sext_i32_i16 s23, s0
	s_delay_alu instid0(SALU_CYCLE_1)
	s_cmp_lt_i32 s23, 2
	s_cbranch_scc1 .LBB166_1799
; %bb.1796:
	s_cmp_lt_i32 s23, 3
	s_cbranch_scc1 .LBB166_1800
; %bb.1797:
	s_cmp_gt_i32 s23, 3
	s_cbranch_scc0 .LBB166_1801
; %bb.1798:
	s_wait_loadcnt 0x0
	global_load_b64 v[4:5], v[0:1], off
	s_mov_b32 s23, 0
	s_wait_loadcnt 0x0
	v_xor_b32_e32 v3, v4, v5
	v_cls_i32_e32 v6, v5
	s_delay_alu instid0(VALU_DEP_2) | instskip(NEXT) | instid1(VALU_DEP_1)
	v_ashrrev_i32_e32 v3, 31, v3
	v_add_nc_u32_e32 v3, 32, v3
	s_delay_alu instid0(VALU_DEP_1) | instskip(NEXT) | instid1(VALU_DEP_1)
	v_add_min_u32_e64 v3, v6, -1, v3
	v_lshlrev_b64_e32 v[4:5], v3, v[4:5]
	v_sub_nc_u32_e32 v3, 32, v3
	s_delay_alu instid0(VALU_DEP_2) | instskip(NEXT) | instid1(VALU_DEP_1)
	v_min_u32_e32 v4, 1, v4
	v_or_b32_e32 v4, v5, v4
	s_delay_alu instid0(VALU_DEP_1) | instskip(NEXT) | instid1(VALU_DEP_1)
	v_cvt_f32_i32_e32 v4, v4
	v_ldexp_f32 v3, v4, v3
	s_delay_alu instid0(VALU_DEP_1) | instskip(NEXT) | instid1(VALU_DEP_1)
	v_bfe_u32 v4, v3, 16, 1
	v_add3_u32 v3, v3, v4, 0x7fff
	s_delay_alu instid0(VALU_DEP_1)
	v_lshrrev_b32_e32 v3, 16, v3
	s_branch .LBB166_1802
.LBB166_1799:
                                        ; implicit-def: $vgpr3
	s_branch .LBB166_1808
.LBB166_1800:
	s_mov_b32 s23, -1
                                        ; implicit-def: $vgpr3
	s_branch .LBB166_1805
.LBB166_1801:
	s_mov_b32 s23, -1
                                        ; implicit-def: $vgpr3
.LBB166_1802:
	s_delay_alu instid0(SALU_CYCLE_1)
	s_and_not1_b32 vcc_lo, exec_lo, s23
	s_cbranch_vccnz .LBB166_1804
; %bb.1803:
	s_wait_loadcnt 0x0
	global_load_b32 v3, v[0:1], off
	s_wait_loadcnt 0x0
	v_cvt_f32_i32_e32 v3, v3
	s_delay_alu instid0(VALU_DEP_1) | instskip(NEXT) | instid1(VALU_DEP_1)
	v_bfe_u32 v4, v3, 16, 1
	v_add3_u32 v3, v3, v4, 0x7fff
	s_delay_alu instid0(VALU_DEP_1)
	v_lshrrev_b32_e32 v3, 16, v3
.LBB166_1804:
	s_mov_b32 s23, 0
.LBB166_1805:
	s_delay_alu instid0(SALU_CYCLE_1)
	s_and_not1_b32 vcc_lo, exec_lo, s23
	s_cbranch_vccnz .LBB166_1807
; %bb.1806:
	s_wait_loadcnt 0x0
	global_load_i16 v3, v[0:1], off
	s_wait_loadcnt 0x0
	v_cvt_f32_i32_e32 v3, v3
	s_delay_alu instid0(VALU_DEP_1) | instskip(NEXT) | instid1(VALU_DEP_1)
	v_bfe_u32 v4, v3, 16, 1
	v_add3_u32 v3, v3, v4, 0x7fff
	s_delay_alu instid0(VALU_DEP_1)
	v_lshrrev_b32_e32 v3, 16, v3
.LBB166_1807:
	s_cbranch_execnz .LBB166_1813
.LBB166_1808:
	s_sext_i32_i16 s0, s0
	s_delay_alu instid0(SALU_CYCLE_1)
	s_cmp_gt_i32 s0, 0
	s_mov_b32 s0, 0
	s_cbranch_scc0 .LBB166_1810
; %bb.1809:
	s_wait_loadcnt 0x0
	global_load_i8 v3, v[0:1], off
	s_wait_loadcnt 0x0
	v_cvt_f32_i32_e32 v3, v3
	s_delay_alu instid0(VALU_DEP_1) | instskip(NEXT) | instid1(VALU_DEP_1)
	v_bfe_u32 v4, v3, 16, 1
	v_add3_u32 v3, v3, v4, 0x7fff
	s_delay_alu instid0(VALU_DEP_1)
	v_lshrrev_b32_e32 v3, 16, v3
	s_branch .LBB166_1811
.LBB166_1810:
	s_mov_b32 s0, -1
                                        ; implicit-def: $vgpr3
.LBB166_1811:
	s_delay_alu instid0(SALU_CYCLE_1)
	s_and_not1_b32 vcc_lo, exec_lo, s0
	s_cbranch_vccnz .LBB166_1813
; %bb.1812:
	global_load_u8 v0, v[0:1], off
	s_wait_loadcnt 0x0
	v_cvt_f32_ubyte0_e32 v0, v0
	s_delay_alu instid0(VALU_DEP_1) | instskip(NEXT) | instid1(VALU_DEP_1)
	v_bfe_u32 v1, v0, 16, 1
	v_add3_u32 v0, v0, v1, 0x7fff
	s_delay_alu instid0(VALU_DEP_1)
	v_lshrrev_b32_e32 v3, 16, v0
.LBB166_1813:
	s_or_b32 s24, s24, exec_lo
.LBB166_1814:
	s_wait_xcnt 0x0
	s_or_b32 exec_lo, exec_lo, s22
	s_mov_b32 s23, 0
	s_mov_b32 s22, 0
	;; [unrolled: 1-line block ×3, first 2 shown]
                                        ; implicit-def: $vgpr0_vgpr1
                                        ; implicit-def: $vgpr5
	s_and_saveexec_b32 s0, s24
	s_cbranch_execz .LBB166_1822
; %bb.1815:
	v_mul_lo_u32 v0, v8, s15
	s_and_b32 s22, 0xffff, s1
	s_delay_alu instid0(SALU_CYCLE_1) | instskip(NEXT) | instid1(VALU_DEP_1)
	s_cmp_lt_i32 s22, 11
	v_ashrrev_i32_e32 v1, 31, v0
	s_delay_alu instid0(VALU_DEP_1)
	v_add_nc_u64_e32 v[0:1], s[10:11], v[0:1]
	s_cbranch_scc1 .LBB166_1825
; %bb.1816:
	s_cmp_gt_i32 s22, 25
	s_mov_b32 s24, 0
	s_cbranch_scc0 .LBB166_1826
; %bb.1817:
	s_cmp_gt_i32 s22, 28
	s_cbranch_scc0 .LBB166_1827
; %bb.1818:
	s_cmp_gt_i32 s22, 43
	;; [unrolled: 3-line block ×3, first 2 shown]
	s_cbranch_scc0 .LBB166_1829
; %bb.1820:
	s_cmp_eq_u32 s22, 46
	s_mov_b32 s26, 0
	s_cbranch_scc0 .LBB166_1830
; %bb.1821:
	global_load_b32 v5, v[0:1], off
	s_mov_b32 s25, -1
	s_branch .LBB166_1832
.LBB166_1822:
	s_or_b32 exec_lo, exec_lo, s0
	s_and_saveexec_b32 s0, s21
	s_cbranch_execnz .LBB166_1895
.LBB166_1823:
	s_or_b32 exec_lo, exec_lo, s0
	s_and_saveexec_b32 s0, s23
	s_delay_alu instid0(SALU_CYCLE_1)
	s_xor_b32 s0, exec_lo, s0
	s_cbranch_execz .LBB166_1896
.LBB166_1824:
	s_wait_loadcnt 0x0
	global_load_u8 v4, v[0:1], off
	s_or_b32 s25, s25, exec_lo
	s_wait_loadcnt 0x0
	v_cmp_ne_u16_e32 vcc_lo, 0, v4
	v_cndmask_b32_e64 v4, 0, 1.0, vcc_lo
	s_delay_alu instid0(VALU_DEP_1)
	v_lshrrev_b32_e32 v5, 16, v4
	s_wait_xcnt 0x0
	s_or_b32 exec_lo, exec_lo, s0
	s_and_saveexec_b32 s0, s22
	s_cbranch_execz .LBB166_1942
	s_branch .LBB166_1897
.LBB166_1825:
	s_mov_b32 s22, -1
	s_mov_b32 s24, 0
	s_mov_b32 s23, s21
                                        ; implicit-def: $vgpr5
	s_branch .LBB166_1894
.LBB166_1826:
	s_mov_b32 s23, s21
                                        ; implicit-def: $vgpr5
	s_cbranch_execnz .LBB166_1861
	s_branch .LBB166_1893
.LBB166_1827:
	s_mov_b32 s26, -1
	s_mov_b32 s23, s21
                                        ; implicit-def: $vgpr5
	s_branch .LBB166_1842
.LBB166_1828:
	s_mov_b32 s26, -1
	s_mov_b32 s23, s21
                                        ; implicit-def: $vgpr5
	s_branch .LBB166_1837
.LBB166_1829:
	s_mov_b32 s26, -1
	s_mov_b32 s23, s21
	s_branch .LBB166_1831
.LBB166_1830:
	s_mov_b32 s23, -1
.LBB166_1831:
                                        ; implicit-def: $vgpr5
.LBB166_1832:
	s_and_b32 vcc_lo, exec_lo, s26
	s_cbranch_vccz .LBB166_1836
; %bb.1833:
	s_cmp_eq_u32 s22, 44
	s_cbranch_scc0 .LBB166_1835
; %bb.1834:
	s_wait_loadcnt 0x0
	global_load_u8 v4, v[0:1], off
	s_mov_b32 s23, 0
	s_mov_b32 s25, -1
	s_wait_loadcnt 0x0
	v_lshlrev_b32_e32 v5, 23, v4
	v_cmp_ne_u32_e32 vcc_lo, 0xff, v4
	s_delay_alu instid0(VALU_DEP_2) | instskip(SKIP_1) | instid1(VALU_DEP_2)
	v_cndmask_b32_e32 v5, 0x7f800001, v5, vcc_lo
	v_cmp_ne_u32_e32 vcc_lo, 0, v4
	v_cndmask_b32_e32 v4, 0x400000, v5, vcc_lo
	s_delay_alu instid0(VALU_DEP_1) | instskip(NEXT) | instid1(VALU_DEP_1)
	v_add_nc_u32_e32 v5, 0x7fff, v4
	v_lshrrev_b32_e32 v5, 16, v5
	v_cmp_o_f32_e32 vcc_lo, v4, v4
	s_delay_alu instid0(VALU_DEP_2)
	v_cndmask_b32_e32 v5, 0x7fc0, v5, vcc_lo
	s_branch .LBB166_1836
.LBB166_1835:
	s_mov_b32 s23, -1
                                        ; implicit-def: $vgpr5
.LBB166_1836:
	s_mov_b32 s26, 0
.LBB166_1837:
	s_delay_alu instid0(SALU_CYCLE_1)
	s_and_b32 vcc_lo, exec_lo, s26
	s_cbranch_vccz .LBB166_1841
; %bb.1838:
	s_cmp_eq_u32 s22, 29
	s_cbranch_scc0 .LBB166_1840
; %bb.1839:
	s_wait_loadcnt 0x0
	global_load_b64 v[4:5], v[0:1], off
	s_mov_b32 s23, 0
	s_mov_b32 s25, -1
	s_mov_b32 s26, 0
	s_wait_loadcnt 0x0
	v_clz_i32_u32_e32 v6, v5
	s_delay_alu instid0(VALU_DEP_1) | instskip(NEXT) | instid1(VALU_DEP_1)
	v_min_u32_e32 v6, 32, v6
	v_lshlrev_b64_e32 v[4:5], v6, v[4:5]
	s_delay_alu instid0(VALU_DEP_1) | instskip(NEXT) | instid1(VALU_DEP_1)
	v_min_u32_e32 v4, 1, v4
	v_dual_sub_nc_u32 v5, 32, v6 :: v_dual_bitop2_b32 v4, v5, v4 bitop3:0x54
	s_delay_alu instid0(VALU_DEP_1) | instskip(NEXT) | instid1(VALU_DEP_1)
	v_cvt_f32_u32_e32 v4, v4
	v_ldexp_f32 v4, v4, v5
	s_delay_alu instid0(VALU_DEP_1) | instskip(NEXT) | instid1(VALU_DEP_1)
	v_bfe_u32 v5, v4, 16, 1
	v_add3_u32 v4, v4, v5, 0x7fff
	s_delay_alu instid0(VALU_DEP_1)
	v_lshrrev_b32_e32 v5, 16, v4
	s_branch .LBB166_1842
.LBB166_1840:
	s_mov_b32 s23, -1
                                        ; implicit-def: $vgpr5
.LBB166_1841:
	s_mov_b32 s26, 0
.LBB166_1842:
	s_delay_alu instid0(SALU_CYCLE_1)
	s_and_b32 vcc_lo, exec_lo, s26
	s_cbranch_vccz .LBB166_1860
; %bb.1843:
	s_cmp_lt_i32 s22, 27
	s_cbranch_scc1 .LBB166_1846
; %bb.1844:
	s_cmp_gt_i32 s22, 27
	s_cbranch_scc0 .LBB166_1847
; %bb.1845:
	s_wait_loadcnt 0x0
	global_load_b32 v4, v[0:1], off
	s_mov_b32 s25, 0
	s_wait_loadcnt 0x0
	v_cvt_f32_u32_e32 v4, v4
	s_delay_alu instid0(VALU_DEP_1) | instskip(NEXT) | instid1(VALU_DEP_1)
	v_bfe_u32 v5, v4, 16, 1
	v_add3_u32 v4, v4, v5, 0x7fff
	s_delay_alu instid0(VALU_DEP_1)
	v_lshrrev_b32_e32 v5, 16, v4
	s_branch .LBB166_1848
.LBB166_1846:
	s_mov_b32 s25, -1
                                        ; implicit-def: $vgpr5
	s_branch .LBB166_1851
.LBB166_1847:
	s_mov_b32 s25, -1
                                        ; implicit-def: $vgpr5
.LBB166_1848:
	s_delay_alu instid0(SALU_CYCLE_1)
	s_and_not1_b32 vcc_lo, exec_lo, s25
	s_cbranch_vccnz .LBB166_1850
; %bb.1849:
	s_wait_loadcnt 0x0
	global_load_u16 v4, v[0:1], off
	s_wait_loadcnt 0x0
	v_cvt_f32_u32_e32 v4, v4
	s_delay_alu instid0(VALU_DEP_1) | instskip(NEXT) | instid1(VALU_DEP_1)
	v_bfe_u32 v5, v4, 16, 1
	v_add3_u32 v4, v4, v5, 0x7fff
	s_delay_alu instid0(VALU_DEP_1)
	v_lshrrev_b32_e32 v5, 16, v4
.LBB166_1850:
	s_mov_b32 s25, 0
.LBB166_1851:
	s_delay_alu instid0(SALU_CYCLE_1)
	s_and_not1_b32 vcc_lo, exec_lo, s25
	s_cbranch_vccnz .LBB166_1859
; %bb.1852:
	s_wait_loadcnt 0x0
	global_load_u8 v4, v[0:1], off
	s_mov_b32 s25, 0
	s_mov_b32 s26, exec_lo
	s_wait_loadcnt 0x0
	v_cmpx_lt_i16_e32 0x7f, v4
	s_xor_b32 s26, exec_lo, s26
	s_cbranch_execz .LBB166_1872
; %bb.1853:
	s_mov_b32 s25, -1
	s_mov_b32 s27, exec_lo
	v_cmpx_eq_u16_e32 0x80, v4
; %bb.1854:
	s_xor_b32 s25, exec_lo, -1
; %bb.1855:
	s_or_b32 exec_lo, exec_lo, s27
	s_delay_alu instid0(SALU_CYCLE_1)
	s_and_b32 s25, s25, exec_lo
	s_or_saveexec_b32 s26, s26
	v_mov_b32_e32 v5, 0x7f800001
	s_xor_b32 exec_lo, exec_lo, s26
	s_cbranch_execnz .LBB166_1873
.LBB166_1856:
	s_or_b32 exec_lo, exec_lo, s26
	s_and_saveexec_b32 s26, s25
	s_cbranch_execz .LBB166_1858
.LBB166_1857:
	v_and_b32_e32 v5, 0xffff, v4
	s_delay_alu instid0(VALU_DEP_1) | instskip(SKIP_1) | instid1(VALU_DEP_2)
	v_and_b32_e32 v6, 7, v5
	v_bfe_u32 v10, v5, 3, 4
	v_clz_i32_u32_e32 v7, v6
	s_delay_alu instid0(VALU_DEP_2) | instskip(NEXT) | instid1(VALU_DEP_2)
	v_cmp_eq_u32_e32 vcc_lo, 0, v10
	v_min_u32_e32 v7, 32, v7
	s_delay_alu instid0(VALU_DEP_1) | instskip(NEXT) | instid1(VALU_DEP_1)
	v_subrev_nc_u32_e32 v9, 28, v7
	v_dual_lshlrev_b32 v5, v9, v5 :: v_dual_sub_nc_u32 v7, 29, v7
	s_delay_alu instid0(VALU_DEP_1) | instskip(NEXT) | instid1(VALU_DEP_2)
	v_dual_lshlrev_b32 v4, 24, v4 :: v_dual_bitop2_b32 v5, 7, v5 bitop3:0x40
	v_cndmask_b32_e32 v7, v10, v7, vcc_lo
	s_delay_alu instid0(VALU_DEP_2) | instskip(NEXT) | instid1(VALU_DEP_3)
	v_cndmask_b32_e32 v5, v6, v5, vcc_lo
	v_and_b32_e32 v4, 0x80000000, v4
	s_delay_alu instid0(VALU_DEP_3) | instskip(NEXT) | instid1(VALU_DEP_3)
	v_lshl_add_u32 v6, v7, 23, 0x3b800000
	v_lshlrev_b32_e32 v5, 20, v5
	s_delay_alu instid0(VALU_DEP_1)
	v_or3_b32 v5, v4, v6, v5
.LBB166_1858:
	s_or_b32 exec_lo, exec_lo, s26
	s_delay_alu instid0(VALU_DEP_1) | instskip(SKIP_1) | instid1(VALU_DEP_2)
	v_bfe_u32 v4, v5, 16, 1
	v_cmp_o_f32_e32 vcc_lo, v5, v5
	v_add3_u32 v4, v5, v4, 0x7fff
	s_delay_alu instid0(VALU_DEP_1) | instskip(NEXT) | instid1(VALU_DEP_1)
	v_lshrrev_b32_e32 v4, 16, v4
	v_cndmask_b32_e32 v5, 0x7fc0, v4, vcc_lo
.LBB166_1859:
	s_mov_b32 s25, -1
.LBB166_1860:
	s_branch .LBB166_1893
.LBB166_1861:
	s_cmp_gt_i32 s22, 22
	s_cbranch_scc0 .LBB166_1871
; %bb.1862:
	s_cmp_lt_i32 s22, 24
	s_cbranch_scc1 .LBB166_1874
; %bb.1863:
	s_cmp_gt_i32 s22, 24
	s_cbranch_scc0 .LBB166_1875
; %bb.1864:
	s_wait_loadcnt 0x0
	global_load_u8 v4, v[0:1], off
	s_mov_b32 s25, exec_lo
	s_wait_loadcnt 0x0
	v_cmpx_lt_i16_e32 0x7f, v4
	s_xor_b32 s25, exec_lo, s25
	s_cbranch_execz .LBB166_1887
; %bb.1865:
	s_mov_b32 s24, -1
	s_mov_b32 s26, exec_lo
	v_cmpx_eq_u16_e32 0x80, v4
; %bb.1866:
	s_xor_b32 s24, exec_lo, -1
; %bb.1867:
	s_or_b32 exec_lo, exec_lo, s26
	s_delay_alu instid0(SALU_CYCLE_1)
	s_and_b32 s24, s24, exec_lo
	s_or_saveexec_b32 s25, s25
	v_mov_b32_e32 v5, 0x7f800001
	s_xor_b32 exec_lo, exec_lo, s25
	s_cbranch_execnz .LBB166_1888
.LBB166_1868:
	s_or_b32 exec_lo, exec_lo, s25
	s_and_saveexec_b32 s25, s24
	s_cbranch_execz .LBB166_1870
.LBB166_1869:
	v_and_b32_e32 v5, 0xffff, v4
	s_delay_alu instid0(VALU_DEP_1) | instskip(SKIP_1) | instid1(VALU_DEP_2)
	v_and_b32_e32 v6, 3, v5
	v_bfe_u32 v10, v5, 2, 5
	v_clz_i32_u32_e32 v7, v6
	s_delay_alu instid0(VALU_DEP_2) | instskip(NEXT) | instid1(VALU_DEP_2)
	v_cmp_eq_u32_e32 vcc_lo, 0, v10
	v_min_u32_e32 v7, 32, v7
	s_delay_alu instid0(VALU_DEP_1) | instskip(NEXT) | instid1(VALU_DEP_1)
	v_subrev_nc_u32_e32 v9, 29, v7
	v_dual_lshlrev_b32 v5, v9, v5 :: v_dual_sub_nc_u32 v7, 30, v7
	s_delay_alu instid0(VALU_DEP_1) | instskip(NEXT) | instid1(VALU_DEP_2)
	v_dual_lshlrev_b32 v4, 24, v4 :: v_dual_bitop2_b32 v5, 3, v5 bitop3:0x40
	v_cndmask_b32_e32 v7, v10, v7, vcc_lo
	s_delay_alu instid0(VALU_DEP_2) | instskip(NEXT) | instid1(VALU_DEP_3)
	v_cndmask_b32_e32 v5, v6, v5, vcc_lo
	v_and_b32_e32 v4, 0x80000000, v4
	s_delay_alu instid0(VALU_DEP_3) | instskip(NEXT) | instid1(VALU_DEP_3)
	v_lshl_add_u32 v6, v7, 23, 0x37800000
	v_lshlrev_b32_e32 v5, 21, v5
	s_delay_alu instid0(VALU_DEP_1)
	v_or3_b32 v5, v4, v6, v5
.LBB166_1870:
	s_or_b32 exec_lo, exec_lo, s25
	s_delay_alu instid0(VALU_DEP_1) | instskip(SKIP_2) | instid1(VALU_DEP_2)
	v_bfe_u32 v4, v5, 16, 1
	v_cmp_o_f32_e32 vcc_lo, v5, v5
	s_mov_b32 s24, 0
	v_add3_u32 v4, v5, v4, 0x7fff
	s_delay_alu instid0(VALU_DEP_1) | instskip(NEXT) | instid1(VALU_DEP_1)
	v_lshrrev_b32_e32 v4, 16, v4
	v_cndmask_b32_e32 v5, 0x7fc0, v4, vcc_lo
	s_branch .LBB166_1876
.LBB166_1871:
	s_mov_b32 s24, -1
                                        ; implicit-def: $vgpr5
	s_branch .LBB166_1882
.LBB166_1872:
	s_or_saveexec_b32 s26, s26
	v_mov_b32_e32 v5, 0x7f800001
	s_xor_b32 exec_lo, exec_lo, s26
	s_cbranch_execz .LBB166_1856
.LBB166_1873:
	v_cmp_ne_u16_e32 vcc_lo, 0, v4
	v_mov_b32_e32 v5, 0
	s_and_not1_b32 s25, s25, exec_lo
	s_and_b32 s27, vcc_lo, exec_lo
	s_delay_alu instid0(SALU_CYCLE_1)
	s_or_b32 s25, s25, s27
	s_or_b32 exec_lo, exec_lo, s26
	s_and_saveexec_b32 s26, s25
	s_cbranch_execnz .LBB166_1857
	s_branch .LBB166_1858
.LBB166_1874:
	s_mov_b32 s24, -1
                                        ; implicit-def: $vgpr5
	s_branch .LBB166_1879
.LBB166_1875:
	s_mov_b32 s24, -1
                                        ; implicit-def: $vgpr5
.LBB166_1876:
	s_delay_alu instid0(SALU_CYCLE_1)
	s_and_b32 vcc_lo, exec_lo, s24
	s_cbranch_vccz .LBB166_1878
; %bb.1877:
	s_wait_loadcnt 0x0
	global_load_u8 v4, v[0:1], off
	s_wait_loadcnt 0x0
	v_lshlrev_b32_e32 v4, 24, v4
	s_delay_alu instid0(VALU_DEP_1) | instskip(NEXT) | instid1(VALU_DEP_1)
	v_and_b32_e32 v5, 0x7f000000, v4
	v_clz_i32_u32_e32 v6, v5
	v_add_nc_u32_e32 v9, 0x1000000, v5
	v_cmp_ne_u32_e32 vcc_lo, 0, v5
	s_delay_alu instid0(VALU_DEP_3) | instskip(NEXT) | instid1(VALU_DEP_1)
	v_min_u32_e32 v6, 32, v6
	v_sub_nc_u32_e64 v6, v6, 4 clamp
	s_delay_alu instid0(VALU_DEP_1) | instskip(NEXT) | instid1(VALU_DEP_1)
	v_dual_lshlrev_b32 v7, v6, v5 :: v_dual_lshlrev_b32 v6, 23, v6
	v_lshrrev_b32_e32 v7, 4, v7
	s_delay_alu instid0(VALU_DEP_1) | instskip(NEXT) | instid1(VALU_DEP_1)
	v_dual_sub_nc_u32 v6, v7, v6 :: v_dual_ashrrev_i32 v7, 8, v9
	v_add_nc_u32_e32 v6, 0x3c000000, v6
	s_delay_alu instid0(VALU_DEP_1) | instskip(NEXT) | instid1(VALU_DEP_1)
	v_and_or_b32 v6, 0x7f800000, v7, v6
	v_cndmask_b32_e32 v5, 0, v6, vcc_lo
	s_delay_alu instid0(VALU_DEP_1) | instskip(SKIP_1) | instid1(VALU_DEP_2)
	v_and_or_b32 v4, 0x80000000, v4, v5
	v_bfe_u32 v5, v5, 16, 1
	v_cmp_o_f32_e32 vcc_lo, v4, v4
	s_delay_alu instid0(VALU_DEP_2) | instskip(NEXT) | instid1(VALU_DEP_1)
	v_add3_u32 v5, v4, v5, 0x7fff
	v_lshrrev_b32_e32 v5, 16, v5
	s_delay_alu instid0(VALU_DEP_1)
	v_cndmask_b32_e32 v5, 0x7fc0, v5, vcc_lo
.LBB166_1878:
	s_mov_b32 s24, 0
.LBB166_1879:
	s_delay_alu instid0(SALU_CYCLE_1)
	s_and_not1_b32 vcc_lo, exec_lo, s24
	s_cbranch_vccnz .LBB166_1881
; %bb.1880:
	s_wait_loadcnt 0x0
	global_load_u8 v4, v[0:1], off
	s_wait_loadcnt 0x0
	v_lshlrev_b32_e32 v5, 25, v4
	v_lshlrev_b16 v4, 8, v4
	s_delay_alu instid0(VALU_DEP_1) | instskip(SKIP_1) | instid1(VALU_DEP_2)
	v_and_or_b32 v7, 0x7f00, v4, 0.5
	v_bfe_i32 v4, v4, 0, 16
	v_dual_add_f32 v7, -0.5, v7 :: v_dual_lshrrev_b32 v6, 4, v5
	v_cmp_gt_u32_e32 vcc_lo, 0x8000000, v5
	s_delay_alu instid0(VALU_DEP_2) | instskip(NEXT) | instid1(VALU_DEP_1)
	v_or_b32_e32 v6, 0x70000000, v6
	v_mul_f32_e32 v6, 0x7800000, v6
	s_delay_alu instid0(VALU_DEP_1) | instskip(NEXT) | instid1(VALU_DEP_1)
	v_cndmask_b32_e32 v5, v6, v7, vcc_lo
	v_and_or_b32 v4, 0x80000000, v4, v5
	v_bfe_u32 v5, v5, 16, 1
	s_delay_alu instid0(VALU_DEP_2) | instskip(NEXT) | instid1(VALU_DEP_2)
	v_cmp_o_f32_e32 vcc_lo, v4, v4
	v_add3_u32 v5, v4, v5, 0x7fff
	s_delay_alu instid0(VALU_DEP_1) | instskip(NEXT) | instid1(VALU_DEP_1)
	v_lshrrev_b32_e32 v5, 16, v5
	v_cndmask_b32_e32 v5, 0x7fc0, v5, vcc_lo
.LBB166_1881:
	s_mov_b32 s24, 0
	s_mov_b32 s25, -1
.LBB166_1882:
	s_and_not1_b32 vcc_lo, exec_lo, s24
	s_mov_b32 s24, 0
	s_cbranch_vccnz .LBB166_1893
; %bb.1883:
	s_cmp_gt_i32 s22, 14
	s_cbranch_scc0 .LBB166_1886
; %bb.1884:
	s_cmp_eq_u32 s22, 15
	s_cbranch_scc0 .LBB166_1889
; %bb.1885:
	s_wait_loadcnt 0x0
	global_load_u16 v5, v[0:1], off
	s_mov_b32 s23, 0
	s_mov_b32 s25, -1
	s_branch .LBB166_1891
.LBB166_1886:
	s_mov_b32 s24, -1
	s_branch .LBB166_1890
.LBB166_1887:
	s_or_saveexec_b32 s25, s25
	v_mov_b32_e32 v5, 0x7f800001
	s_xor_b32 exec_lo, exec_lo, s25
	s_cbranch_execz .LBB166_1868
.LBB166_1888:
	v_cmp_ne_u16_e32 vcc_lo, 0, v4
	v_mov_b32_e32 v5, 0
	s_and_not1_b32 s24, s24, exec_lo
	s_and_b32 s26, vcc_lo, exec_lo
	s_delay_alu instid0(SALU_CYCLE_1)
	s_or_b32 s24, s24, s26
	s_or_b32 exec_lo, exec_lo, s25
	s_and_saveexec_b32 s25, s24
	s_cbranch_execnz .LBB166_1869
	s_branch .LBB166_1870
.LBB166_1889:
	s_mov_b32 s23, -1
.LBB166_1890:
                                        ; implicit-def: $vgpr5
.LBB166_1891:
	s_and_b32 vcc_lo, exec_lo, s24
	s_mov_b32 s24, 0
	s_cbranch_vccz .LBB166_1893
; %bb.1892:
	s_cmp_lg_u32 s22, 11
	s_mov_b32 s24, -1
	s_cselect_b32 s22, -1, 0
	s_and_not1_b32 s23, s23, exec_lo
	s_and_b32 s22, s22, exec_lo
	s_delay_alu instid0(SALU_CYCLE_1)
	s_or_b32 s23, s23, s22
.LBB166_1893:
	s_mov_b32 s22, 0
.LBB166_1894:
	s_and_not1_b32 s21, s21, exec_lo
	s_and_b32 s26, s23, exec_lo
	s_and_b32 s25, s25, exec_lo
	;; [unrolled: 1-line block ×4, first 2 shown]
	s_or_b32 s21, s21, s26
	s_wait_xcnt 0x0
	s_or_b32 exec_lo, exec_lo, s0
	s_and_saveexec_b32 s0, s21
	s_cbranch_execz .LBB166_1823
.LBB166_1895:
	s_or_b32 s20, s20, exec_lo
	s_and_not1_b32 s23, s23, exec_lo
	s_trap 2
	s_or_b32 exec_lo, exec_lo, s0
	s_and_saveexec_b32 s0, s23
	s_delay_alu instid0(SALU_CYCLE_1)
	s_xor_b32 s0, exec_lo, s0
	s_cbranch_execnz .LBB166_1824
.LBB166_1896:
	s_or_b32 exec_lo, exec_lo, s0
	s_and_saveexec_b32 s0, s22
	s_cbranch_execz .LBB166_1942
.LBB166_1897:
	s_sext_i32_i16 s21, s1
	s_delay_alu instid0(SALU_CYCLE_1)
	s_cmp_lt_i32 s21, 5
	s_cbranch_scc1 .LBB166_1902
; %bb.1898:
	s_cmp_lt_i32 s21, 8
	s_cbranch_scc1 .LBB166_1903
; %bb.1899:
	;; [unrolled: 3-line block ×3, first 2 shown]
	s_cmp_gt_i32 s21, 9
	s_cbranch_scc0 .LBB166_1905
; %bb.1901:
	s_wait_loadcnt 0x0
	global_load_b64 v[4:5], v[0:1], off
	s_mov_b32 s21, 0
	s_wait_loadcnt 0x0
	v_cvt_f32_f64_e32 v4, v[4:5]
	s_delay_alu instid0(VALU_DEP_1) | instskip(SKIP_1) | instid1(VALU_DEP_2)
	v_bfe_u32 v5, v4, 16, 1
	v_cmp_o_f32_e32 vcc_lo, v4, v4
	v_add3_u32 v5, v4, v5, 0x7fff
	s_delay_alu instid0(VALU_DEP_1) | instskip(NEXT) | instid1(VALU_DEP_1)
	v_lshrrev_b32_e32 v5, 16, v5
	v_cndmask_b32_e32 v5, 0x7fc0, v5, vcc_lo
	s_branch .LBB166_1906
.LBB166_1902:
                                        ; implicit-def: $vgpr5
	s_branch .LBB166_1923
.LBB166_1903:
                                        ; implicit-def: $vgpr5
	s_branch .LBB166_1912
.LBB166_1904:
	s_mov_b32 s21, -1
                                        ; implicit-def: $vgpr5
	s_branch .LBB166_1909
.LBB166_1905:
	s_mov_b32 s21, -1
                                        ; implicit-def: $vgpr5
.LBB166_1906:
	s_delay_alu instid0(SALU_CYCLE_1)
	s_and_not1_b32 vcc_lo, exec_lo, s21
	s_cbranch_vccnz .LBB166_1908
; %bb.1907:
	s_wait_loadcnt 0x0
	global_load_b32 v4, v[0:1], off
	s_wait_loadcnt 0x0
	v_bfe_u32 v5, v4, 16, 1
	v_cmp_o_f32_e32 vcc_lo, v4, v4
	s_delay_alu instid0(VALU_DEP_2) | instskip(NEXT) | instid1(VALU_DEP_1)
	v_add3_u32 v5, v4, v5, 0x7fff
	v_lshrrev_b32_e32 v5, 16, v5
	s_delay_alu instid0(VALU_DEP_1)
	v_cndmask_b32_e32 v5, 0x7fc0, v5, vcc_lo
.LBB166_1908:
	s_mov_b32 s21, 0
.LBB166_1909:
	s_delay_alu instid0(SALU_CYCLE_1)
	s_and_not1_b32 vcc_lo, exec_lo, s21
	s_cbranch_vccnz .LBB166_1911
; %bb.1910:
	s_wait_loadcnt 0x0
	global_load_b32 v4, v[0:1], off
	s_wait_loadcnt 0x0
	v_cvt_f32_f16_e32 v5, v4
	v_cmp_o_f16_e32 vcc_lo, v4, v4
	s_delay_alu instid0(VALU_DEP_2) | instskip(NEXT) | instid1(VALU_DEP_1)
	v_bfe_u32 v6, v5, 16, 1
	v_add3_u32 v5, v5, v6, 0x7fff
	s_delay_alu instid0(VALU_DEP_1) | instskip(NEXT) | instid1(VALU_DEP_1)
	v_lshrrev_b32_e32 v5, 16, v5
	v_cndmask_b32_e32 v5, 0x7fc0, v5, vcc_lo
.LBB166_1911:
	s_cbranch_execnz .LBB166_1922
.LBB166_1912:
	s_sext_i32_i16 s21, s1
	s_delay_alu instid0(SALU_CYCLE_1)
	s_cmp_lt_i32 s21, 6
	s_cbranch_scc1 .LBB166_1915
; %bb.1913:
	s_cmp_gt_i32 s21, 6
	s_cbranch_scc0 .LBB166_1916
; %bb.1914:
	s_wait_loadcnt 0x0
	global_load_b64 v[4:5], v[0:1], off
	s_mov_b32 s21, 0
	s_wait_loadcnt 0x0
	v_cvt_f32_f64_e32 v4, v[4:5]
	s_delay_alu instid0(VALU_DEP_1) | instskip(SKIP_1) | instid1(VALU_DEP_2)
	v_bfe_u32 v5, v4, 16, 1
	v_cmp_o_f32_e32 vcc_lo, v4, v4
	v_add3_u32 v5, v4, v5, 0x7fff
	s_delay_alu instid0(VALU_DEP_1) | instskip(NEXT) | instid1(VALU_DEP_1)
	v_lshrrev_b32_e32 v5, 16, v5
	v_cndmask_b32_e32 v5, 0x7fc0, v5, vcc_lo
	s_branch .LBB166_1917
.LBB166_1915:
	s_mov_b32 s21, -1
                                        ; implicit-def: $vgpr5
	s_branch .LBB166_1920
.LBB166_1916:
	s_mov_b32 s21, -1
                                        ; implicit-def: $vgpr5
.LBB166_1917:
	s_delay_alu instid0(SALU_CYCLE_1)
	s_and_not1_b32 vcc_lo, exec_lo, s21
	s_cbranch_vccnz .LBB166_1919
; %bb.1918:
	s_wait_loadcnt 0x0
	global_load_b32 v4, v[0:1], off
	s_wait_loadcnt 0x0
	v_bfe_u32 v5, v4, 16, 1
	v_cmp_o_f32_e32 vcc_lo, v4, v4
	s_delay_alu instid0(VALU_DEP_2) | instskip(NEXT) | instid1(VALU_DEP_1)
	v_add3_u32 v5, v4, v5, 0x7fff
	v_lshrrev_b32_e32 v5, 16, v5
	s_delay_alu instid0(VALU_DEP_1)
	v_cndmask_b32_e32 v5, 0x7fc0, v5, vcc_lo
.LBB166_1919:
	s_mov_b32 s21, 0
.LBB166_1920:
	s_delay_alu instid0(SALU_CYCLE_1)
	s_and_not1_b32 vcc_lo, exec_lo, s21
	s_cbranch_vccnz .LBB166_1922
; %bb.1921:
	s_wait_loadcnt 0x0
	global_load_u16 v4, v[0:1], off
	s_wait_loadcnt 0x0
	v_cvt_f32_f16_e32 v5, v4
	v_cmp_o_f16_e32 vcc_lo, v4, v4
	s_delay_alu instid0(VALU_DEP_2) | instskip(NEXT) | instid1(VALU_DEP_1)
	v_bfe_u32 v6, v5, 16, 1
	v_add3_u32 v5, v5, v6, 0x7fff
	s_delay_alu instid0(VALU_DEP_1) | instskip(NEXT) | instid1(VALU_DEP_1)
	v_lshrrev_b32_e32 v5, 16, v5
	v_cndmask_b32_e32 v5, 0x7fc0, v5, vcc_lo
.LBB166_1922:
	s_cbranch_execnz .LBB166_1941
.LBB166_1923:
	s_sext_i32_i16 s21, s1
	s_delay_alu instid0(SALU_CYCLE_1)
	s_cmp_lt_i32 s21, 2
	s_cbranch_scc1 .LBB166_1927
; %bb.1924:
	s_cmp_lt_i32 s21, 3
	s_cbranch_scc1 .LBB166_1928
; %bb.1925:
	s_cmp_gt_i32 s21, 3
	s_cbranch_scc0 .LBB166_1929
; %bb.1926:
	s_wait_loadcnt 0x0
	global_load_b64 v[4:5], v[0:1], off
	s_mov_b32 s21, 0
	s_wait_loadcnt 0x0
	v_xor_b32_e32 v6, v4, v5
	v_cls_i32_e32 v7, v5
	s_delay_alu instid0(VALU_DEP_2) | instskip(NEXT) | instid1(VALU_DEP_1)
	v_ashrrev_i32_e32 v6, 31, v6
	v_add_nc_u32_e32 v6, 32, v6
	s_delay_alu instid0(VALU_DEP_1) | instskip(NEXT) | instid1(VALU_DEP_1)
	v_add_min_u32_e64 v6, v7, -1, v6
	v_lshlrev_b64_e32 v[4:5], v6, v[4:5]
	s_delay_alu instid0(VALU_DEP_1) | instskip(NEXT) | instid1(VALU_DEP_1)
	v_min_u32_e32 v4, 1, v4
	v_dual_sub_nc_u32 v5, 32, v6 :: v_dual_bitop2_b32 v4, v5, v4 bitop3:0x54
	s_delay_alu instid0(VALU_DEP_1) | instskip(NEXT) | instid1(VALU_DEP_1)
	v_cvt_f32_i32_e32 v4, v4
	v_ldexp_f32 v4, v4, v5
	s_delay_alu instid0(VALU_DEP_1) | instskip(NEXT) | instid1(VALU_DEP_1)
	v_bfe_u32 v5, v4, 16, 1
	v_add3_u32 v4, v4, v5, 0x7fff
	s_delay_alu instid0(VALU_DEP_1)
	v_lshrrev_b32_e32 v5, 16, v4
	s_branch .LBB166_1930
.LBB166_1927:
                                        ; implicit-def: $vgpr5
	s_branch .LBB166_1936
.LBB166_1928:
	s_mov_b32 s21, -1
                                        ; implicit-def: $vgpr5
	s_branch .LBB166_1933
.LBB166_1929:
	s_mov_b32 s21, -1
                                        ; implicit-def: $vgpr5
.LBB166_1930:
	s_delay_alu instid0(SALU_CYCLE_1)
	s_and_not1_b32 vcc_lo, exec_lo, s21
	s_cbranch_vccnz .LBB166_1932
; %bb.1931:
	s_wait_loadcnt 0x0
	global_load_b32 v4, v[0:1], off
	s_wait_loadcnt 0x0
	v_cvt_f32_i32_e32 v4, v4
	s_delay_alu instid0(VALU_DEP_1) | instskip(NEXT) | instid1(VALU_DEP_1)
	v_bfe_u32 v5, v4, 16, 1
	v_add3_u32 v4, v4, v5, 0x7fff
	s_delay_alu instid0(VALU_DEP_1)
	v_lshrrev_b32_e32 v5, 16, v4
.LBB166_1932:
	s_mov_b32 s21, 0
.LBB166_1933:
	s_delay_alu instid0(SALU_CYCLE_1)
	s_and_not1_b32 vcc_lo, exec_lo, s21
	s_cbranch_vccnz .LBB166_1935
; %bb.1934:
	s_wait_loadcnt 0x0
	global_load_i16 v4, v[0:1], off
	s_wait_loadcnt 0x0
	v_cvt_f32_i32_e32 v4, v4
	s_delay_alu instid0(VALU_DEP_1) | instskip(NEXT) | instid1(VALU_DEP_1)
	v_bfe_u32 v5, v4, 16, 1
	v_add3_u32 v4, v4, v5, 0x7fff
	s_delay_alu instid0(VALU_DEP_1)
	v_lshrrev_b32_e32 v5, 16, v4
.LBB166_1935:
	s_cbranch_execnz .LBB166_1941
.LBB166_1936:
	s_sext_i32_i16 s21, s1
	s_delay_alu instid0(SALU_CYCLE_1)
	s_cmp_gt_i32 s21, 0
	s_mov_b32 s21, 0
	s_cbranch_scc0 .LBB166_1938
; %bb.1937:
	s_wait_loadcnt 0x0
	global_load_i8 v4, v[0:1], off
	s_wait_loadcnt 0x0
	v_cvt_f32_i32_e32 v4, v4
	s_delay_alu instid0(VALU_DEP_1) | instskip(NEXT) | instid1(VALU_DEP_1)
	v_bfe_u32 v5, v4, 16, 1
	v_add3_u32 v4, v4, v5, 0x7fff
	s_delay_alu instid0(VALU_DEP_1)
	v_lshrrev_b32_e32 v5, 16, v4
	s_branch .LBB166_1939
.LBB166_1938:
	s_mov_b32 s21, -1
                                        ; implicit-def: $vgpr5
.LBB166_1939:
	s_delay_alu instid0(SALU_CYCLE_1)
	s_and_not1_b32 vcc_lo, exec_lo, s21
	s_cbranch_vccnz .LBB166_1941
; %bb.1940:
	global_load_u8 v0, v[0:1], off
	s_wait_loadcnt 0x0
	v_cvt_f32_ubyte0_e32 v0, v0
	s_delay_alu instid0(VALU_DEP_1) | instskip(NEXT) | instid1(VALU_DEP_1)
	v_bfe_u32 v1, v0, 16, 1
	v_add3_u32 v0, v0, v1, 0x7fff
	s_delay_alu instid0(VALU_DEP_1)
	v_lshrrev_b32_e32 v5, 16, v0
.LBB166_1941:
	s_or_b32 s25, s25, exec_lo
.LBB166_1942:
	s_wait_xcnt 0x0
	s_or_b32 exec_lo, exec_lo, s0
	s_mov_b32 s0, 0
	s_mov_b32 s23, 0
                                        ; implicit-def: $sgpr21
                                        ; implicit-def: $vgpr0_vgpr1
                                        ; implicit-def: $vgpr4
	s_and_saveexec_b32 s22, s25
	s_cbranch_execz .LBB166_1950
; %bb.1943:
	s_wait_loadcnt 0x0
	v_dual_lshlrev_b32 v4, 16, v3 :: v_dual_lshlrev_b32 v6, 16, v2
	v_mul_lo_u32 v0, v8, s12
	s_and_b32 s21, s2, 0xff
	v_lshlrev_b32_e32 v7, 16, v5
	s_cmp_lt_i32 s21, 11
	v_cmp_gt_f32_e32 vcc_lo, v6, v4
	v_cndmask_b32_e32 v1, v3, v2, vcc_lo
	s_delay_alu instid0(VALU_DEP_1) | instskip(NEXT) | instid1(VALU_DEP_1)
	v_lshlrev_b32_e32 v9, 16, v1
	v_cmp_lt_f32_e32 vcc_lo, v9, v7
	v_cndmask_b32_e32 v1, v5, v1, vcc_lo
	v_cmp_u_f32_e32 vcc_lo, v7, v7
	s_delay_alu instid0(VALU_DEP_2) | instskip(SKIP_1) | instid1(VALU_DEP_2)
	v_dual_cndmask_b32 v5, v1, v5, vcc_lo :: v_dual_ashrrev_i32 v1, 31, v0
	v_cmp_u_f32_e32 vcc_lo, v4, v4
	v_add_nc_u64_e32 v[0:1], s[4:5], v[0:1]
	s_delay_alu instid0(VALU_DEP_3) | instskip(SKIP_1) | instid1(VALU_DEP_2)
	v_cndmask_b32_e32 v3, v5, v3, vcc_lo
	v_cmp_u_f32_e32 vcc_lo, v6, v6
	v_cndmask_b32_e32 v4, v3, v2, vcc_lo
	s_cbranch_scc1 .LBB166_1953
; %bb.1944:
	s_and_b32 s23, 0xffff, s21
	s_mov_b32 s24, -1
	s_cmp_gt_i32 s23, 25
	s_mov_b32 s0, s19
	s_cbranch_scc0 .LBB166_1981
; %bb.1945:
	s_cmp_gt_i32 s23, 28
	s_mov_b32 s0, s19
	s_cbranch_scc0 .LBB166_1965
; %bb.1946:
	;; [unrolled: 4-line block ×4, first 2 shown]
	s_cmp_eq_u32 s23, 46
	s_mov_b32 s0, -1
	s_cbranch_scc0 .LBB166_1954
; %bb.1949:
	v_and_b32_e32 v2, 0xffff, v4
	s_mov_b32 s0, 0
	s_mov_b32 s24, 0
	global_store_b32 v[0:1], v2, off
	s_branch .LBB166_1955
.LBB166_1950:
	s_or_b32 exec_lo, exec_lo, s22
	s_and_saveexec_b32 s22, s19
	s_cbranch_execnz .LBB166_2023
.LBB166_1951:
	s_or_b32 exec_lo, exec_lo, s22
	s_and_saveexec_b32 s19, s0
	s_delay_alu instid0(SALU_CYCLE_1)
	s_xor_b32 s0, exec_lo, s19
	s_cbranch_execz .LBB166_2024
.LBB166_1952:
	s_wait_loadcnt 0x0
	v_and_b32_e32 v2, 0x7fff, v4
	s_delay_alu instid0(VALU_DEP_1)
	v_cmp_ne_u16_e32 vcc_lo, 0, v2
	v_cndmask_b32_e64 v2, 0, 1, vcc_lo
	global_store_b8 v[0:1], v2, off
	s_wait_xcnt 0x0
	s_or_b32 exec_lo, exec_lo, s0
	s_and_saveexec_b32 s0, s23
	s_delay_alu instid0(SALU_CYCLE_1)
	s_xor_b32 s0, exec_lo, s0
	s_cbranch_execz .LBB166_2062
	s_branch .LBB166_2025
.LBB166_1953:
	s_mov_b32 s25, 0
	s_mov_b32 s24, -1
	s_mov_b32 s0, s19
	s_branch .LBB166_2022
.LBB166_1954:
	s_mov_b32 s24, 0
.LBB166_1955:
	s_delay_alu instid0(SALU_CYCLE_1)
	s_and_b32 vcc_lo, exec_lo, s24
	s_cbranch_vccz .LBB166_1960
; %bb.1956:
	s_cmp_eq_u32 s23, 44
	s_mov_b32 s0, -1
	s_cbranch_scc0 .LBB166_1960
; %bb.1957:
	s_wait_xcnt 0x0
	v_and_b32_e32 v2, 0xffff, v4
	v_mov_b32_e32 v3, 0xff
	s_mov_b32 s24, exec_lo
	s_delay_alu instid0(VALU_DEP_2) | instskip(NEXT) | instid1(VALU_DEP_1)
	v_bfe_u32 v5, v2, 7, 8
	v_cmpx_ne_u32_e32 0xff, v5
	s_cbranch_execz .LBB166_1959
; %bb.1958:
	v_dual_lshlrev_b32 v3, 16, v2 :: v_dual_bitop2_b32 v6, 64, v2 bitop3:0x40
	v_lshrrev_b32_e32 v2, 7, v2
	s_delay_alu instid0(VALU_DEP_2) | instskip(NEXT) | instid1(VALU_DEP_3)
	v_and_or_b32 v3, 0x3f0000, v3, v5
	v_cmp_ne_u32_e32 vcc_lo, 0, v6
	s_delay_alu instid0(VALU_DEP_2) | instskip(SKIP_1) | instid1(SALU_CYCLE_1)
	v_cmp_ne_u32_e64 s0, 0, v3
	s_and_b32 s0, vcc_lo, s0
	v_cndmask_b32_e64 v3, 0, 1, s0
	s_delay_alu instid0(VALU_DEP_1)
	v_add_nc_u32_e32 v3, v2, v3
.LBB166_1959:
	s_or_b32 exec_lo, exec_lo, s24
	s_mov_b32 s0, 0
	global_store_b8 v[0:1], v3, off
.LBB166_1960:
	s_mov_b32 s24, 0
.LBB166_1961:
	s_delay_alu instid0(SALU_CYCLE_1)
	s_and_b32 vcc_lo, exec_lo, s24
	s_cbranch_vccz .LBB166_1964
; %bb.1962:
	s_cmp_eq_u32 s23, 29
	s_mov_b32 s0, -1
	s_cbranch_scc0 .LBB166_1964
; %bb.1963:
	s_wait_xcnt 0x0
	v_lshlrev_b32_e32 v2, 16, v4
	s_mov_b32 s0, 0
	s_mov_b32 s24, 0
	s_delay_alu instid0(VALU_DEP_1) | instskip(NEXT) | instid1(VALU_DEP_1)
	v_trunc_f32_e32 v2, v2
	v_mul_f32_e32 v3, 0x2f800000, v2
	s_delay_alu instid0(VALU_DEP_1) | instskip(NEXT) | instid1(VALU_DEP_1)
	v_floor_f32_e32 v3, v3
	v_fmamk_f32 v2, v3, 0xcf800000, v2
	v_cvt_u32_f32_e32 v3, v3
	s_delay_alu instid0(VALU_DEP_2)
	v_cvt_u32_f32_e32 v2, v2
	global_store_b64 v[0:1], v[2:3], off
	s_branch .LBB166_1965
.LBB166_1964:
	s_mov_b32 s24, 0
.LBB166_1965:
	s_delay_alu instid0(SALU_CYCLE_1)
	s_and_b32 vcc_lo, exec_lo, s24
	s_cbranch_vccz .LBB166_1980
; %bb.1966:
	s_cmp_lt_i32 s23, 27
	s_mov_b32 s24, -1
	s_cbranch_scc1 .LBB166_1972
; %bb.1967:
	s_cmp_gt_i32 s23, 27
	s_cbranch_scc0 .LBB166_1969
; %bb.1968:
	s_wait_xcnt 0x0
	v_lshlrev_b32_e32 v2, 16, v4
	s_mov_b32 s24, 0
	s_delay_alu instid0(VALU_DEP_1)
	v_cvt_u32_f32_e32 v2, v2
	global_store_b32 v[0:1], v2, off
.LBB166_1969:
	s_and_not1_b32 vcc_lo, exec_lo, s24
	s_cbranch_vccnz .LBB166_1971
; %bb.1970:
	s_wait_xcnt 0x0
	v_lshlrev_b32_e32 v2, 16, v4
	s_delay_alu instid0(VALU_DEP_1)
	v_cvt_u32_f32_e32 v2, v2
	global_store_b16 v[0:1], v2, off
.LBB166_1971:
	s_mov_b32 s24, 0
.LBB166_1972:
	s_delay_alu instid0(SALU_CYCLE_1)
	s_and_not1_b32 vcc_lo, exec_lo, s24
	s_cbranch_vccnz .LBB166_1980
; %bb.1973:
	v_dual_mov_b32 v6, 0x80 :: v_dual_lshlrev_b32 v5, 16, v4
	s_mov_b32 s24, exec_lo
	s_wait_xcnt 0x0
	s_delay_alu instid0(VALU_DEP_1) | instskip(NEXT) | instid1(VALU_DEP_1)
	v_and_b32_e32 v3, 0x7fffffff, v5
	v_cmpx_gt_u32_e32 0x43800000, v3
	s_cbranch_execz .LBB166_1979
; %bb.1974:
	v_and_b32_e32 v2, 0xffff, v4
	v_cmp_lt_u32_e32 vcc_lo, 0x3bffffff, v3
	s_mov_b32 s25, 0
                                        ; implicit-def: $vgpr3
	s_and_saveexec_b32 s26, vcc_lo
	s_delay_alu instid0(SALU_CYCLE_1)
	s_xor_b32 s26, exec_lo, s26
	s_cbranch_execz .LBB166_2077
; %bb.1975:
	v_bfe_u32 v3, v2, 4, 1
	s_mov_b32 s25, exec_lo
	s_delay_alu instid0(VALU_DEP_1) | instskip(NEXT) | instid1(VALU_DEP_1)
	v_add3_u32 v3, v5, v3, 0x487ffff
                                        ; implicit-def: $vgpr5
	v_lshrrev_b32_e32 v3, 20, v3
	s_and_not1_saveexec_b32 s26, s26
	s_cbranch_execnz .LBB166_2078
.LBB166_1976:
	s_or_b32 exec_lo, exec_lo, s26
	v_mov_b32_e32 v6, 0
	s_and_saveexec_b32 s26, s25
.LBB166_1977:
	v_lshrrev_b32_e32 v2, 8, v2
	s_delay_alu instid0(VALU_DEP_1)
	v_and_or_b32 v6, 0x80, v2, v3
.LBB166_1978:
	s_or_b32 exec_lo, exec_lo, s26
.LBB166_1979:
	s_delay_alu instid0(SALU_CYCLE_1)
	s_or_b32 exec_lo, exec_lo, s24
	global_store_b8 v[0:1], v6, off
.LBB166_1980:
	s_mov_b32 s24, 0
.LBB166_1981:
	s_delay_alu instid0(SALU_CYCLE_1)
	s_and_b32 vcc_lo, exec_lo, s24
	s_mov_b32 s24, 0
	s_cbranch_vccz .LBB166_2021
; %bb.1982:
	s_cmp_gt_i32 s23, 22
	s_mov_b32 s25, -1
	s_cbranch_scc0 .LBB166_2014
; %bb.1983:
	s_cmp_lt_i32 s23, 24
	s_cbranch_scc1 .LBB166_2003
; %bb.1984:
	s_cmp_gt_i32 s23, 24
	s_cbranch_scc0 .LBB166_1992
; %bb.1985:
	s_wait_xcnt 0x0
	v_dual_mov_b32 v6, 0x80 :: v_dual_lshlrev_b32 v5, 16, v4
	s_mov_b32 s25, exec_lo
	s_delay_alu instid0(VALU_DEP_1) | instskip(NEXT) | instid1(VALU_DEP_1)
	v_and_b32_e32 v3, 0x7fffffff, v5
	v_cmpx_gt_u32_e32 0x47800000, v3
	s_cbranch_execz .LBB166_1991
; %bb.1986:
	v_and_b32_e32 v2, 0xffff, v4
	v_cmp_lt_u32_e32 vcc_lo, 0x37ffffff, v3
	s_mov_b32 s26, 0
                                        ; implicit-def: $vgpr3
	s_and_saveexec_b32 s27, vcc_lo
	s_delay_alu instid0(SALU_CYCLE_1)
	s_xor_b32 s27, exec_lo, s27
	s_cbranch_execz .LBB166_2203
; %bb.1987:
	v_bfe_u32 v3, v2, 5, 1
	s_mov_b32 s26, exec_lo
	s_delay_alu instid0(VALU_DEP_1) | instskip(NEXT) | instid1(VALU_DEP_1)
	v_add3_u32 v3, v5, v3, 0x88fffff
                                        ; implicit-def: $vgpr5
	v_lshrrev_b32_e32 v3, 21, v3
	s_and_not1_saveexec_b32 s27, s27
	s_cbranch_execnz .LBB166_2204
.LBB166_1988:
	s_or_b32 exec_lo, exec_lo, s27
	v_mov_b32_e32 v6, 0
	s_and_saveexec_b32 s27, s26
.LBB166_1989:
	v_lshrrev_b32_e32 v2, 8, v2
	s_delay_alu instid0(VALU_DEP_1)
	v_and_or_b32 v6, 0x80, v2, v3
.LBB166_1990:
	s_or_b32 exec_lo, exec_lo, s27
.LBB166_1991:
	s_delay_alu instid0(SALU_CYCLE_1)
	s_or_b32 exec_lo, exec_lo, s25
	s_mov_b32 s25, 0
	global_store_b8 v[0:1], v6, off
.LBB166_1992:
	s_and_b32 vcc_lo, exec_lo, s25
	s_cbranch_vccz .LBB166_2002
; %bb.1993:
	v_lshlrev_b32_e32 v5, 16, v4
	s_wait_xcnt 0x0
	v_and_b32_e32 v2, 0xffff, v4
	s_mov_b32 s25, exec_lo
                                        ; implicit-def: $vgpr3
	s_delay_alu instid0(VALU_DEP_2) | instskip(NEXT) | instid1(VALU_DEP_1)
	v_and_b32_e32 v6, 0x7fffffff, v5
	v_cmpx_gt_u32_e32 0x43f00000, v6
	s_xor_b32 s25, exec_lo, s25
	s_cbranch_execz .LBB166_1999
; %bb.1994:
	s_mov_b32 s26, exec_lo
                                        ; implicit-def: $vgpr3
	v_cmpx_lt_u32_e32 0x3c7fffff, v6
	s_xor_b32 s26, exec_lo, s26
; %bb.1995:
	v_bfe_u32 v3, v2, 4, 1
	s_delay_alu instid0(VALU_DEP_1) | instskip(NEXT) | instid1(VALU_DEP_1)
	v_add3_u32 v3, v5, v3, 0x407ffff
	v_and_b32_e32 v5, 0xff00000, v3
	v_lshrrev_b32_e32 v3, 20, v3
	s_delay_alu instid0(VALU_DEP_2) | instskip(NEXT) | instid1(VALU_DEP_2)
	v_cmp_ne_u32_e32 vcc_lo, 0x7f00000, v5
                                        ; implicit-def: $vgpr5
	v_cndmask_b32_e32 v3, 0x7e, v3, vcc_lo
; %bb.1996:
	s_and_not1_saveexec_b32 s26, s26
; %bb.1997:
	v_add_f32_e64 v3, 0x46800000, |v5|
; %bb.1998:
	s_or_b32 exec_lo, exec_lo, s26
                                        ; implicit-def: $vgpr6
.LBB166_1999:
	s_and_not1_saveexec_b32 s25, s25
; %bb.2000:
	v_mov_b32_e32 v3, 0x7f
	v_cmp_lt_u32_e32 vcc_lo, 0x7f800000, v6
	s_delay_alu instid0(VALU_DEP_2)
	v_cndmask_b32_e32 v3, 0x7e, v3, vcc_lo
; %bb.2001:
	s_or_b32 exec_lo, exec_lo, s25
	v_lshrrev_b32_e32 v2, 8, v2
	s_delay_alu instid0(VALU_DEP_1)
	v_and_or_b32 v2, 0x80, v2, v3
	global_store_b8 v[0:1], v2, off
.LBB166_2002:
	s_mov_b32 s25, 0
.LBB166_2003:
	s_delay_alu instid0(SALU_CYCLE_1)
	s_and_not1_b32 vcc_lo, exec_lo, s25
	s_cbranch_vccnz .LBB166_2013
; %bb.2004:
	v_lshlrev_b32_e32 v5, 16, v4
	s_wait_xcnt 0x0
	v_and_b32_e32 v2, 0xffff, v4
	s_mov_b32 s25, exec_lo
                                        ; implicit-def: $vgpr3
	s_delay_alu instid0(VALU_DEP_2) | instskip(NEXT) | instid1(VALU_DEP_1)
	v_and_b32_e32 v6, 0x7fffffff, v5
	v_cmpx_gt_u32_e32 0x47800000, v6
	s_xor_b32 s25, exec_lo, s25
	s_cbranch_execz .LBB166_2010
; %bb.2005:
	s_mov_b32 s26, exec_lo
                                        ; implicit-def: $vgpr3
	v_cmpx_lt_u32_e32 0x387fffff, v6
	s_xor_b32 s26, exec_lo, s26
; %bb.2006:
	v_bfe_u32 v3, v2, 5, 1
	s_delay_alu instid0(VALU_DEP_1) | instskip(NEXT) | instid1(VALU_DEP_1)
	v_add3_u32 v3, v5, v3, 0x80fffff
                                        ; implicit-def: $vgpr5
	v_lshrrev_b32_e32 v3, 21, v3
; %bb.2007:
	s_and_not1_saveexec_b32 s26, s26
; %bb.2008:
	v_add_f32_e64 v3, 0x43000000, |v5|
; %bb.2009:
	s_or_b32 exec_lo, exec_lo, s26
                                        ; implicit-def: $vgpr6
.LBB166_2010:
	s_and_not1_saveexec_b32 s25, s25
; %bb.2011:
	v_mov_b32_e32 v3, 0x7f
	v_cmp_lt_u32_e32 vcc_lo, 0x7f800000, v6
	s_delay_alu instid0(VALU_DEP_2)
	v_cndmask_b32_e32 v3, 0x7c, v3, vcc_lo
; %bb.2012:
	s_or_b32 exec_lo, exec_lo, s25
	v_lshrrev_b32_e32 v2, 8, v2
	s_delay_alu instid0(VALU_DEP_1)
	v_and_or_b32 v2, 0x80, v2, v3
	global_store_b8 v[0:1], v2, off
.LBB166_2013:
	s_mov_b32 s25, 0
.LBB166_2014:
	s_delay_alu instid0(SALU_CYCLE_1)
	s_and_not1_b32 vcc_lo, exec_lo, s25
	s_mov_b32 s25, 0
	s_cbranch_vccnz .LBB166_2022
; %bb.2015:
	s_cmp_gt_i32 s23, 14
	s_mov_b32 s25, -1
	s_cbranch_scc0 .LBB166_2019
; %bb.2016:
	s_cmp_eq_u32 s23, 15
	s_mov_b32 s0, -1
	s_cbranch_scc0 .LBB166_2018
; %bb.2017:
	s_mov_b32 s0, 0
	global_store_b16 v[0:1], v4, off
.LBB166_2018:
	s_mov_b32 s25, 0
.LBB166_2019:
	s_delay_alu instid0(SALU_CYCLE_1)
	s_and_b32 vcc_lo, exec_lo, s25
	s_mov_b32 s25, 0
	s_cbranch_vccz .LBB166_2022
; %bb.2020:
	s_cmp_lg_u32 s23, 11
	s_mov_b32 s25, -1
	s_cselect_b32 s23, -1, 0
	s_and_not1_b32 s0, s0, exec_lo
	s_and_b32 s23, s23, exec_lo
	s_delay_alu instid0(SALU_CYCLE_1)
	s_or_b32 s0, s0, s23
	s_branch .LBB166_2022
.LBB166_2021:
	s_mov_b32 s25, 0
.LBB166_2022:
	s_and_b32 s23, s24, exec_lo
	s_and_not1_b32 s19, s19, exec_lo
	s_and_b32 s24, s0, exec_lo
	s_and_b32 s0, s25, exec_lo
	s_or_b32 s19, s19, s24
	s_wait_xcnt 0x0
	s_or_b32 exec_lo, exec_lo, s22
	s_and_saveexec_b32 s22, s19
	s_cbranch_execz .LBB166_1951
.LBB166_2023:
	s_or_b32 s20, s20, exec_lo
	s_and_not1_b32 s0, s0, exec_lo
	s_trap 2
	s_or_b32 exec_lo, exec_lo, s22
	s_and_saveexec_b32 s19, s0
	s_delay_alu instid0(SALU_CYCLE_1)
	s_xor_b32 s0, exec_lo, s19
	s_cbranch_execnz .LBB166_1952
.LBB166_2024:
	s_or_b32 exec_lo, exec_lo, s0
	s_and_saveexec_b32 s0, s23
	s_delay_alu instid0(SALU_CYCLE_1)
	s_xor_b32 s0, exec_lo, s0
	s_cbranch_execz .LBB166_2062
.LBB166_2025:
	s_sext_i32_i16 s22, s21
	s_mov_b32 s19, -1
	s_cmp_lt_i32 s22, 5
	s_cbranch_scc1 .LBB166_2046
; %bb.2026:
	s_cmp_lt_i32 s22, 8
	s_cbranch_scc1 .LBB166_2036
; %bb.2027:
	;; [unrolled: 3-line block ×3, first 2 shown]
	s_cmp_gt_i32 s22, 9
	s_cbranch_scc0 .LBB166_2030
; %bb.2029:
	s_wait_loadcnt 0x0
	v_dual_lshlrev_b32 v2, 16, v4 :: v_dual_mov_b32 v8, 0
	s_mov_b32 s19, 0
	s_delay_alu instid0(VALU_DEP_1) | instskip(NEXT) | instid1(VALU_DEP_2)
	v_cvt_f64_f32_e32 v[6:7], v2
	v_mov_b32_e32 v9, v8
	global_store_b128 v[0:1], v[6:9], off
.LBB166_2030:
	s_and_not1_b32 vcc_lo, exec_lo, s19
	s_cbranch_vccnz .LBB166_2032
; %bb.2031:
	s_wait_loadcnt 0x0
	v_dual_mov_b32 v3, 0 :: v_dual_lshlrev_b32 v2, 16, v4
	global_store_b64 v[0:1], v[2:3], off
.LBB166_2032:
	s_mov_b32 s19, 0
.LBB166_2033:
	s_delay_alu instid0(SALU_CYCLE_1)
	s_and_not1_b32 vcc_lo, exec_lo, s19
	s_cbranch_vccnz .LBB166_2035
; %bb.2034:
	s_wait_loadcnt 0x0
	v_lshlrev_b32_e32 v2, 16, v4
	s_delay_alu instid0(VALU_DEP_1) | instskip(NEXT) | instid1(VALU_DEP_1)
	v_cvt_f16_f32_e32 v2, v2
	v_and_b32_e32 v2, 0xffff, v2
	global_store_b32 v[0:1], v2, off
.LBB166_2035:
	s_mov_b32 s19, 0
.LBB166_2036:
	s_delay_alu instid0(SALU_CYCLE_1)
	s_and_not1_b32 vcc_lo, exec_lo, s19
	s_cbranch_vccnz .LBB166_2045
; %bb.2037:
	s_sext_i32_i16 s22, s21
	s_mov_b32 s19, -1
	s_cmp_lt_i32 s22, 6
	s_cbranch_scc1 .LBB166_2043
; %bb.2038:
	s_cmp_gt_i32 s22, 6
	s_cbranch_scc0 .LBB166_2040
; %bb.2039:
	s_wait_loadcnt 0x0
	v_lshlrev_b32_e32 v2, 16, v4
	s_mov_b32 s19, 0
	s_delay_alu instid0(VALU_DEP_1)
	v_cvt_f64_f32_e32 v[2:3], v2
	global_store_b64 v[0:1], v[2:3], off
.LBB166_2040:
	s_and_not1_b32 vcc_lo, exec_lo, s19
	s_cbranch_vccnz .LBB166_2042
; %bb.2041:
	s_wait_loadcnt 0x0
	v_lshlrev_b32_e32 v2, 16, v4
	global_store_b32 v[0:1], v2, off
.LBB166_2042:
	s_mov_b32 s19, 0
.LBB166_2043:
	s_delay_alu instid0(SALU_CYCLE_1)
	s_and_not1_b32 vcc_lo, exec_lo, s19
	s_cbranch_vccnz .LBB166_2045
; %bb.2044:
	s_wait_loadcnt 0x0
	v_lshlrev_b32_e32 v2, 16, v4
	s_delay_alu instid0(VALU_DEP_1)
	v_cvt_f16_f32_e32 v2, v2
	global_store_b16 v[0:1], v2, off
.LBB166_2045:
	s_mov_b32 s19, 0
.LBB166_2046:
	s_delay_alu instid0(SALU_CYCLE_1)
	s_and_not1_b32 vcc_lo, exec_lo, s19
	s_cbranch_vccnz .LBB166_2062
; %bb.2047:
	s_sext_i32_i16 s22, s21
	s_mov_b32 s19, -1
	s_cmp_lt_i32 s22, 2
	s_cbranch_scc1 .LBB166_2057
; %bb.2048:
	s_cmp_lt_i32 s22, 3
	s_cbranch_scc1 .LBB166_2054
; %bb.2049:
	s_cmp_gt_i32 s22, 3
	s_cbranch_scc0 .LBB166_2051
; %bb.2050:
	s_wait_loadcnt 0x0
	v_lshlrev_b32_e32 v2, 16, v4
	s_mov_b32 s19, 0
	s_delay_alu instid0(VALU_DEP_1) | instskip(NEXT) | instid1(VALU_DEP_1)
	v_trunc_f32_e32 v2, v2
	v_mul_f32_e64 v3, 0x2f800000, |v2|
	s_delay_alu instid0(VALU_DEP_1) | instskip(NEXT) | instid1(VALU_DEP_1)
	v_floor_f32_e32 v3, v3
	v_fma_f32 v5, 0xcf800000, v3, |v2|
	v_ashrrev_i32_e32 v2, 31, v2
	v_cvt_u32_f32_e32 v6, v3
	s_delay_alu instid0(VALU_DEP_3) | instskip(NEXT) | instid1(VALU_DEP_3)
	v_cvt_u32_f32_e32 v5, v5
	v_mov_b32_e32 v3, v2
	s_delay_alu instid0(VALU_DEP_3) | instskip(NEXT) | instid1(VALU_DEP_3)
	v_xor_b32_e32 v7, v6, v2
	v_xor_b32_e32 v6, v5, v2
	s_delay_alu instid0(VALU_DEP_1)
	v_sub_nc_u64_e32 v[2:3], v[6:7], v[2:3]
	global_store_b64 v[0:1], v[2:3], off
.LBB166_2051:
	s_and_not1_b32 vcc_lo, exec_lo, s19
	s_cbranch_vccnz .LBB166_2053
; %bb.2052:
	s_wait_loadcnt 0x0
	v_lshlrev_b32_e32 v2, 16, v4
	s_delay_alu instid0(VALU_DEP_1)
	v_cvt_i32_f32_e32 v2, v2
	global_store_b32 v[0:1], v2, off
.LBB166_2053:
	s_mov_b32 s19, 0
.LBB166_2054:
	s_delay_alu instid0(SALU_CYCLE_1)
	s_and_not1_b32 vcc_lo, exec_lo, s19
	s_cbranch_vccnz .LBB166_2056
; %bb.2055:
	s_wait_loadcnt 0x0
	v_lshlrev_b32_e32 v2, 16, v4
	s_delay_alu instid0(VALU_DEP_1)
	v_cvt_i32_f32_e32 v2, v2
	global_store_b16 v[0:1], v2, off
.LBB166_2056:
	s_mov_b32 s19, 0
.LBB166_2057:
	s_delay_alu instid0(SALU_CYCLE_1)
	s_and_not1_b32 vcc_lo, exec_lo, s19
	s_cbranch_vccnz .LBB166_2062
; %bb.2058:
	s_wait_loadcnt 0x0
	v_lshlrev_b32_e32 v2, 16, v4
	s_sext_i32_i16 s19, s21
	s_delay_alu instid0(SALU_CYCLE_1)
	s_cmp_gt_i32 s19, 0
	s_mov_b32 s19, -1
	s_cbranch_scc0 .LBB166_2060
; %bb.2059:
	v_cvt_i32_f32_e32 v3, v2
	s_mov_b32 s19, 0
	global_store_b8 v[0:1], v3, off
.LBB166_2060:
	s_and_not1_b32 vcc_lo, exec_lo, s19
	s_cbranch_vccnz .LBB166_2062
; %bb.2061:
	v_trunc_f32_e32 v2, v2
	s_wait_xcnt 0x0
	s_delay_alu instid0(VALU_DEP_1) | instskip(NEXT) | instid1(VALU_DEP_1)
	v_mul_f32_e64 v3, 0x2f800000, |v2|
	v_floor_f32_e32 v3, v3
	s_delay_alu instid0(VALU_DEP_1) | instskip(SKIP_1) | instid1(VALU_DEP_2)
	v_fma_f32 v3, 0xcf800000, v3, |v2|
	v_ashrrev_i32_e32 v2, 31, v2
	v_cvt_u32_f32_e32 v3, v3
	s_delay_alu instid0(VALU_DEP_1) | instskip(NEXT) | instid1(VALU_DEP_1)
	v_xor_b32_e32 v3, v3, v2
	v_sub_nc_u32_e32 v2, v3, v2
	global_store_b8 v[0:1], v2, off
.LBB166_2062:
	s_wait_xcnt 0x0
	s_or_b32 exec_lo, exec_lo, s0
	s_delay_alu instid0(SALU_CYCLE_1)
	s_and_b32 s19, s20, exec_lo
                                        ; implicit-def: $vgpr8
.LBB166_2063:
	s_or_saveexec_b32 s18, s18
	s_mov_b32 s0, 0
                                        ; implicit-def: $sgpr20
                                        ; implicit-def: $vgpr0_vgpr1
                                        ; implicit-def: $vgpr4
	s_xor_b32 exec_lo, exec_lo, s18
	s_cbranch_execz .LBB166_4067
; %bb.2064:
	v_mul_lo_u32 v0, s13, v8
	s_and_b32 s17, s17, 0xff
	s_delay_alu instid0(SALU_CYCLE_1) | instskip(NEXT) | instid1(VALU_DEP_1)
	s_cmp_lt_i32 s17, 11
	v_ashrrev_i32_e32 v1, 31, v0
	s_wait_loadcnt 0x0
	s_delay_alu instid0(VALU_DEP_1)
	v_add_nc_u64_e32 v[2:3], s[6:7], v[0:1]
	s_cbranch_scc1 .LBB166_2071
; %bb.2065:
	s_and_b32 s0, 0xffff, s17
	s_mov_b32 s20, 0
	s_cmp_gt_i32 s0, 25
	s_cbranch_scc0 .LBB166_2073
; %bb.2066:
	s_cmp_gt_i32 s0, 28
	s_cbranch_scc0 .LBB166_2074
; %bb.2067:
	;; [unrolled: 3-line block ×4, first 2 shown]
	s_cmp_eq_u32 s0, 46
	s_mov_b32 s22, 0
	s_cbranch_scc0 .LBB166_2079
; %bb.2070:
	global_load_b32 v9, v[2:3], off
	s_mov_b32 s21, -1
	s_branch .LBB166_2081
.LBB166_2071:
	s_mov_b32 s21, 0
	s_mov_b32 s16, s19
                                        ; implicit-def: $vgpr9
	s_cbranch_execnz .LBB166_2144
.LBB166_2072:
	s_and_not1_b32 vcc_lo, exec_lo, s21
	s_cbranch_vccz .LBB166_2189
	s_branch .LBB166_4065
.LBB166_2073:
	s_mov_b32 s21, 0
                                        ; implicit-def: $vgpr9
	s_cbranch_execnz .LBB166_2109
	s_branch .LBB166_2140
.LBB166_2074:
	s_mov_b32 s22, -1
	s_mov_b32 s21, 0
                                        ; implicit-def: $vgpr9
	s_branch .LBB166_2090
.LBB166_2075:
	s_mov_b32 s21, 0
                                        ; implicit-def: $vgpr9
	s_cbranch_execnz .LBB166_2086
	s_branch .LBB166_2089
.LBB166_2076:
	s_mov_b32 s22, -1
	s_branch .LBB166_2080
.LBB166_2077:
	s_and_not1_saveexec_b32 s26, s26
	s_cbranch_execz .LBB166_1976
.LBB166_2078:
	v_add_f32_e64 v3, 0x46000000, |v5|
	s_and_not1_b32 s25, s25, exec_lo
	s_delay_alu instid0(VALU_DEP_1) | instskip(NEXT) | instid1(VALU_DEP_1)
	v_and_b32_e32 v3, 0xff, v3
	v_cmp_ne_u32_e32 vcc_lo, 0, v3
	s_and_b32 s27, vcc_lo, exec_lo
	s_delay_alu instid0(SALU_CYCLE_1)
	s_or_b32 s25, s25, s27
	s_or_b32 exec_lo, exec_lo, s26
	v_mov_b32_e32 v6, 0
	s_and_saveexec_b32 s26, s25
	s_cbranch_execnz .LBB166_1977
	s_branch .LBB166_1978
.LBB166_2079:
	s_mov_b32 s16, -1
.LBB166_2080:
	s_mov_b32 s21, 0
                                        ; implicit-def: $vgpr9
.LBB166_2081:
	s_and_b32 vcc_lo, exec_lo, s22
	s_cbranch_vccz .LBB166_2084
; %bb.2082:
	s_cmp_eq_u32 s0, 44
	s_cbranch_scc0 .LBB166_2085
; %bb.2083:
	global_load_u8 v1, v[2:3], off
	s_mov_b32 s16, 0
	s_mov_b32 s21, -1
	s_wait_loadcnt 0x0
	v_lshlrev_b32_e32 v4, 23, v1
	v_cmp_ne_u32_e32 vcc_lo, 0xff, v1
	s_delay_alu instid0(VALU_DEP_2) | instskip(SKIP_1) | instid1(VALU_DEP_2)
	v_cndmask_b32_e32 v4, 0x7f800001, v4, vcc_lo
	v_cmp_ne_u32_e32 vcc_lo, 0, v1
	v_cndmask_b32_e32 v1, 0x400000, v4, vcc_lo
	s_delay_alu instid0(VALU_DEP_1) | instskip(NEXT) | instid1(VALU_DEP_1)
	v_add_nc_u32_e32 v4, 0x7fff, v1
	v_lshrrev_b32_e32 v4, 16, v4
	v_cmp_o_f32_e32 vcc_lo, v1, v1
	s_delay_alu instid0(VALU_DEP_2)
	v_cndmask_b32_e32 v9, 0x7fc0, v4, vcc_lo
.LBB166_2084:
	s_branch .LBB166_2089
.LBB166_2085:
	s_mov_b32 s16, -1
                                        ; implicit-def: $vgpr9
	s_branch .LBB166_2089
.LBB166_2086:
	s_cmp_eq_u32 s0, 29
	s_cbranch_scc0 .LBB166_2088
; %bb.2087:
	global_load_b64 v[4:5], v[2:3], off
	s_mov_b32 s16, 0
	s_mov_b32 s21, -1
	s_mov_b32 s22, 0
	s_wait_loadcnt 0x0
	v_clz_i32_u32_e32 v1, v5
	s_delay_alu instid0(VALU_DEP_1) | instskip(NEXT) | instid1(VALU_DEP_1)
	v_min_u32_e32 v1, 32, v1
	v_lshlrev_b64_e32 v[4:5], v1, v[4:5]
	v_sub_nc_u32_e32 v1, 32, v1
	s_delay_alu instid0(VALU_DEP_2) | instskip(NEXT) | instid1(VALU_DEP_1)
	v_min_u32_e32 v4, 1, v4
	v_or_b32_e32 v4, v5, v4
	s_delay_alu instid0(VALU_DEP_1) | instskip(NEXT) | instid1(VALU_DEP_1)
	v_cvt_f32_u32_e32 v4, v4
	v_ldexp_f32 v1, v4, v1
	s_delay_alu instid0(VALU_DEP_1) | instskip(NEXT) | instid1(VALU_DEP_1)
	v_bfe_u32 v4, v1, 16, 1
	v_add3_u32 v1, v1, v4, 0x7fff
	s_delay_alu instid0(VALU_DEP_1)
	v_lshrrev_b32_e32 v9, 16, v1
	s_branch .LBB166_2090
.LBB166_2088:
	s_mov_b32 s16, -1
                                        ; implicit-def: $vgpr9
.LBB166_2089:
	s_mov_b32 s22, 0
.LBB166_2090:
	s_delay_alu instid0(SALU_CYCLE_1)
	s_and_b32 vcc_lo, exec_lo, s22
	s_cbranch_vccz .LBB166_2108
; %bb.2091:
	s_cmp_lt_i32 s0, 27
	s_cbranch_scc1 .LBB166_2094
; %bb.2092:
	s_cmp_gt_i32 s0, 27
	s_cbranch_scc0 .LBB166_2095
; %bb.2093:
	global_load_b32 v1, v[2:3], off
	s_mov_b32 s21, 0
	s_wait_loadcnt 0x0
	v_cvt_f32_u32_e32 v1, v1
	s_delay_alu instid0(VALU_DEP_1) | instskip(NEXT) | instid1(VALU_DEP_1)
	v_bfe_u32 v4, v1, 16, 1
	v_add3_u32 v1, v1, v4, 0x7fff
	s_delay_alu instid0(VALU_DEP_1)
	v_lshrrev_b32_e32 v9, 16, v1
	s_branch .LBB166_2096
.LBB166_2094:
	s_mov_b32 s21, -1
                                        ; implicit-def: $vgpr9
	s_branch .LBB166_2099
.LBB166_2095:
	s_mov_b32 s21, -1
                                        ; implicit-def: $vgpr9
.LBB166_2096:
	s_delay_alu instid0(SALU_CYCLE_1)
	s_and_not1_b32 vcc_lo, exec_lo, s21
	s_cbranch_vccnz .LBB166_2098
; %bb.2097:
	global_load_u16 v1, v[2:3], off
	s_wait_loadcnt 0x0
	v_cvt_f32_u32_e32 v1, v1
	s_delay_alu instid0(VALU_DEP_1) | instskip(NEXT) | instid1(VALU_DEP_1)
	v_bfe_u32 v4, v1, 16, 1
	v_add3_u32 v1, v1, v4, 0x7fff
	s_delay_alu instid0(VALU_DEP_1)
	v_lshrrev_b32_e32 v9, 16, v1
.LBB166_2098:
	s_mov_b32 s21, 0
.LBB166_2099:
	s_delay_alu instid0(SALU_CYCLE_1)
	s_and_not1_b32 vcc_lo, exec_lo, s21
	s_cbranch_vccnz .LBB166_2107
; %bb.2100:
	global_load_u8 v1, v[2:3], off
	s_mov_b32 s21, 0
	s_mov_b32 s22, exec_lo
	s_wait_loadcnt 0x0
	v_cmpx_lt_i16_e32 0x7f, v1
	s_xor_b32 s22, exec_lo, s22
	s_cbranch_execz .LBB166_2120
; %bb.2101:
	s_mov_b32 s21, -1
	s_mov_b32 s23, exec_lo
	v_cmpx_eq_u16_e32 0x80, v1
; %bb.2102:
	s_xor_b32 s21, exec_lo, -1
; %bb.2103:
	s_or_b32 exec_lo, exec_lo, s23
	s_delay_alu instid0(SALU_CYCLE_1)
	s_and_b32 s21, s21, exec_lo
	s_or_saveexec_b32 s22, s22
	v_mov_b32_e32 v4, 0x7f800001
	s_xor_b32 exec_lo, exec_lo, s22
	s_cbranch_execnz .LBB166_2121
.LBB166_2104:
	s_or_b32 exec_lo, exec_lo, s22
	s_and_saveexec_b32 s22, s21
	s_cbranch_execz .LBB166_2106
.LBB166_2105:
	v_and_b32_e32 v4, 0xffff, v1
	s_delay_alu instid0(VALU_DEP_1) | instskip(SKIP_1) | instid1(VALU_DEP_2)
	v_and_b32_e32 v5, 7, v4
	v_bfe_u32 v9, v4, 3, 4
	v_clz_i32_u32_e32 v6, v5
	s_delay_alu instid0(VALU_DEP_2) | instskip(NEXT) | instid1(VALU_DEP_2)
	v_cmp_eq_u32_e32 vcc_lo, 0, v9
	v_min_u32_e32 v6, 32, v6
	s_delay_alu instid0(VALU_DEP_1) | instskip(NEXT) | instid1(VALU_DEP_1)
	v_subrev_nc_u32_e32 v7, 28, v6
	v_dual_lshlrev_b32 v4, v7, v4 :: v_dual_sub_nc_u32 v6, 29, v6
	s_delay_alu instid0(VALU_DEP_1) | instskip(NEXT) | instid1(VALU_DEP_2)
	v_dual_lshlrev_b32 v1, 24, v1 :: v_dual_bitop2_b32 v4, 7, v4 bitop3:0x40
	v_cndmask_b32_e32 v6, v9, v6, vcc_lo
	s_delay_alu instid0(VALU_DEP_2) | instskip(NEXT) | instid1(VALU_DEP_3)
	v_cndmask_b32_e32 v4, v5, v4, vcc_lo
	v_and_b32_e32 v1, 0x80000000, v1
	s_delay_alu instid0(VALU_DEP_3) | instskip(NEXT) | instid1(VALU_DEP_3)
	v_lshl_add_u32 v5, v6, 23, 0x3b800000
	v_lshlrev_b32_e32 v4, 20, v4
	s_delay_alu instid0(VALU_DEP_1)
	v_or3_b32 v4, v1, v5, v4
.LBB166_2106:
	s_or_b32 exec_lo, exec_lo, s22
	s_delay_alu instid0(VALU_DEP_1) | instskip(SKIP_1) | instid1(VALU_DEP_2)
	v_bfe_u32 v1, v4, 16, 1
	v_cmp_o_f32_e32 vcc_lo, v4, v4
	v_add3_u32 v1, v4, v1, 0x7fff
	s_delay_alu instid0(VALU_DEP_1) | instskip(NEXT) | instid1(VALU_DEP_1)
	v_lshrrev_b32_e32 v1, 16, v1
	v_cndmask_b32_e32 v9, 0x7fc0, v1, vcc_lo
.LBB166_2107:
	s_mov_b32 s21, -1
.LBB166_2108:
	s_branch .LBB166_2140
.LBB166_2109:
	s_cmp_gt_i32 s0, 22
	s_cbranch_scc0 .LBB166_2119
; %bb.2110:
	s_cmp_lt_i32 s0, 24
	s_cbranch_scc1 .LBB166_2122
; %bb.2111:
	s_cmp_gt_i32 s0, 24
	s_cbranch_scc0 .LBB166_2123
; %bb.2112:
	global_load_u8 v1, v[2:3], off
	s_mov_b32 s21, exec_lo
	s_wait_loadcnt 0x0
	v_cmpx_lt_i16_e32 0x7f, v1
	s_xor_b32 s21, exec_lo, s21
	s_cbranch_execz .LBB166_2134
; %bb.2113:
	s_mov_b32 s20, -1
	s_mov_b32 s22, exec_lo
	v_cmpx_eq_u16_e32 0x80, v1
; %bb.2114:
	s_xor_b32 s20, exec_lo, -1
; %bb.2115:
	s_or_b32 exec_lo, exec_lo, s22
	s_delay_alu instid0(SALU_CYCLE_1)
	s_and_b32 s20, s20, exec_lo
	s_or_saveexec_b32 s21, s21
	v_mov_b32_e32 v4, 0x7f800001
	s_xor_b32 exec_lo, exec_lo, s21
	s_cbranch_execnz .LBB166_2135
.LBB166_2116:
	s_or_b32 exec_lo, exec_lo, s21
	s_and_saveexec_b32 s21, s20
	s_cbranch_execz .LBB166_2118
.LBB166_2117:
	v_and_b32_e32 v4, 0xffff, v1
	s_delay_alu instid0(VALU_DEP_1) | instskip(SKIP_1) | instid1(VALU_DEP_2)
	v_and_b32_e32 v5, 3, v4
	v_bfe_u32 v9, v4, 2, 5
	v_clz_i32_u32_e32 v6, v5
	s_delay_alu instid0(VALU_DEP_2) | instskip(NEXT) | instid1(VALU_DEP_2)
	v_cmp_eq_u32_e32 vcc_lo, 0, v9
	v_min_u32_e32 v6, 32, v6
	s_delay_alu instid0(VALU_DEP_1) | instskip(NEXT) | instid1(VALU_DEP_1)
	v_subrev_nc_u32_e32 v7, 29, v6
	v_dual_lshlrev_b32 v4, v7, v4 :: v_dual_sub_nc_u32 v6, 30, v6
	s_delay_alu instid0(VALU_DEP_1) | instskip(NEXT) | instid1(VALU_DEP_2)
	v_dual_lshlrev_b32 v1, 24, v1 :: v_dual_bitop2_b32 v4, 3, v4 bitop3:0x40
	v_cndmask_b32_e32 v6, v9, v6, vcc_lo
	s_delay_alu instid0(VALU_DEP_2) | instskip(NEXT) | instid1(VALU_DEP_3)
	v_cndmask_b32_e32 v4, v5, v4, vcc_lo
	v_and_b32_e32 v1, 0x80000000, v1
	s_delay_alu instid0(VALU_DEP_3) | instskip(NEXT) | instid1(VALU_DEP_3)
	v_lshl_add_u32 v5, v6, 23, 0x37800000
	v_lshlrev_b32_e32 v4, 21, v4
	s_delay_alu instid0(VALU_DEP_1)
	v_or3_b32 v4, v1, v5, v4
.LBB166_2118:
	s_or_b32 exec_lo, exec_lo, s21
	s_delay_alu instid0(VALU_DEP_1) | instskip(SKIP_2) | instid1(VALU_DEP_2)
	v_bfe_u32 v1, v4, 16, 1
	v_cmp_o_f32_e32 vcc_lo, v4, v4
	s_mov_b32 s20, 0
	v_add3_u32 v1, v4, v1, 0x7fff
	s_delay_alu instid0(VALU_DEP_1) | instskip(NEXT) | instid1(VALU_DEP_1)
	v_lshrrev_b32_e32 v1, 16, v1
	v_cndmask_b32_e32 v9, 0x7fc0, v1, vcc_lo
	s_branch .LBB166_2124
.LBB166_2119:
                                        ; implicit-def: $vgpr9
	s_mov_b32 s20, 0
	s_branch .LBB166_2130
.LBB166_2120:
	s_or_saveexec_b32 s22, s22
	v_mov_b32_e32 v4, 0x7f800001
	s_xor_b32 exec_lo, exec_lo, s22
	s_cbranch_execz .LBB166_2104
.LBB166_2121:
	v_cmp_ne_u16_e32 vcc_lo, 0, v1
	v_mov_b32_e32 v4, 0
	s_and_not1_b32 s21, s21, exec_lo
	s_and_b32 s23, vcc_lo, exec_lo
	s_delay_alu instid0(SALU_CYCLE_1)
	s_or_b32 s21, s21, s23
	s_or_b32 exec_lo, exec_lo, s22
	s_and_saveexec_b32 s22, s21
	s_cbranch_execnz .LBB166_2105
	s_branch .LBB166_2106
.LBB166_2122:
	s_mov_b32 s20, -1
                                        ; implicit-def: $vgpr9
	s_branch .LBB166_2127
.LBB166_2123:
	s_mov_b32 s20, -1
                                        ; implicit-def: $vgpr9
.LBB166_2124:
	s_delay_alu instid0(SALU_CYCLE_1)
	s_and_b32 vcc_lo, exec_lo, s20
	s_cbranch_vccz .LBB166_2126
; %bb.2125:
	global_load_u8 v1, v[2:3], off
	s_wait_loadcnt 0x0
	v_lshlrev_b32_e32 v1, 24, v1
	s_delay_alu instid0(VALU_DEP_1) | instskip(NEXT) | instid1(VALU_DEP_1)
	v_and_b32_e32 v4, 0x7f000000, v1
	v_clz_i32_u32_e32 v5, v4
	v_cmp_ne_u32_e32 vcc_lo, 0, v4
	v_add_nc_u32_e32 v7, 0x1000000, v4
	s_delay_alu instid0(VALU_DEP_3) | instskip(NEXT) | instid1(VALU_DEP_1)
	v_min_u32_e32 v5, 32, v5
	v_sub_nc_u32_e64 v5, v5, 4 clamp
	s_delay_alu instid0(VALU_DEP_1) | instskip(NEXT) | instid1(VALU_DEP_1)
	v_dual_lshlrev_b32 v6, v5, v4 :: v_dual_lshlrev_b32 v5, 23, v5
	v_lshrrev_b32_e32 v6, 4, v6
	s_delay_alu instid0(VALU_DEP_1) | instskip(NEXT) | instid1(VALU_DEP_1)
	v_dual_sub_nc_u32 v5, v6, v5 :: v_dual_ashrrev_i32 v6, 8, v7
	v_add_nc_u32_e32 v5, 0x3c000000, v5
	s_delay_alu instid0(VALU_DEP_1) | instskip(NEXT) | instid1(VALU_DEP_1)
	v_and_or_b32 v5, 0x7f800000, v6, v5
	v_cndmask_b32_e32 v4, 0, v5, vcc_lo
	s_delay_alu instid0(VALU_DEP_1) | instskip(SKIP_1) | instid1(VALU_DEP_2)
	v_and_or_b32 v1, 0x80000000, v1, v4
	v_bfe_u32 v4, v4, 16, 1
	v_cmp_o_f32_e32 vcc_lo, v1, v1
	s_delay_alu instid0(VALU_DEP_2) | instskip(NEXT) | instid1(VALU_DEP_1)
	v_add3_u32 v4, v1, v4, 0x7fff
	v_lshrrev_b32_e32 v4, 16, v4
	s_delay_alu instid0(VALU_DEP_1)
	v_cndmask_b32_e32 v9, 0x7fc0, v4, vcc_lo
.LBB166_2126:
	s_mov_b32 s20, 0
.LBB166_2127:
	s_delay_alu instid0(SALU_CYCLE_1)
	s_and_not1_b32 vcc_lo, exec_lo, s20
	s_cbranch_vccnz .LBB166_2129
; %bb.2128:
	global_load_u8 v1, v[2:3], off
	s_wait_loadcnt 0x0
	v_lshlrev_b32_e32 v4, 25, v1
	v_lshlrev_b16 v1, 8, v1
	s_delay_alu instid0(VALU_DEP_1) | instskip(SKIP_1) | instid1(VALU_DEP_2)
	v_and_or_b32 v6, 0x7f00, v1, 0.5
	v_bfe_i32 v1, v1, 0, 16
	v_dual_add_f32 v6, -0.5, v6 :: v_dual_lshrrev_b32 v5, 4, v4
	v_cmp_gt_u32_e32 vcc_lo, 0x8000000, v4
	s_delay_alu instid0(VALU_DEP_2) | instskip(NEXT) | instid1(VALU_DEP_1)
	v_or_b32_e32 v5, 0x70000000, v5
	v_mul_f32_e32 v5, 0x7800000, v5
	s_delay_alu instid0(VALU_DEP_1) | instskip(NEXT) | instid1(VALU_DEP_1)
	v_cndmask_b32_e32 v4, v5, v6, vcc_lo
	v_and_or_b32 v1, 0x80000000, v1, v4
	v_bfe_u32 v4, v4, 16, 1
	s_delay_alu instid0(VALU_DEP_2) | instskip(NEXT) | instid1(VALU_DEP_2)
	v_cmp_o_f32_e32 vcc_lo, v1, v1
	v_add3_u32 v4, v1, v4, 0x7fff
	s_delay_alu instid0(VALU_DEP_1) | instskip(NEXT) | instid1(VALU_DEP_1)
	v_lshrrev_b32_e32 v4, 16, v4
	v_cndmask_b32_e32 v9, 0x7fc0, v4, vcc_lo
.LBB166_2129:
	s_mov_b32 s21, -1
	s_mov_b32 s20, 0
	s_cbranch_execnz .LBB166_2140
.LBB166_2130:
	s_cmp_gt_i32 s0, 14
	s_cbranch_scc0 .LBB166_2133
; %bb.2131:
	s_cmp_eq_u32 s0, 15
	s_cbranch_scc0 .LBB166_2136
; %bb.2132:
	s_wait_loadcnt 0x0
	global_load_u16 v9, v[2:3], off
	s_mov_b32 s16, 0
	s_mov_b32 s21, -1
	s_branch .LBB166_2138
.LBB166_2133:
	s_mov_b32 s20, -1
	s_branch .LBB166_2137
.LBB166_2134:
	s_or_saveexec_b32 s21, s21
	v_mov_b32_e32 v4, 0x7f800001
	s_xor_b32 exec_lo, exec_lo, s21
	s_cbranch_execz .LBB166_2116
.LBB166_2135:
	v_cmp_ne_u16_e32 vcc_lo, 0, v1
	v_mov_b32_e32 v4, 0
	s_and_not1_b32 s20, s20, exec_lo
	s_and_b32 s22, vcc_lo, exec_lo
	s_delay_alu instid0(SALU_CYCLE_1)
	s_or_b32 s20, s20, s22
	s_or_b32 exec_lo, exec_lo, s21
	s_and_saveexec_b32 s21, s20
	s_cbranch_execnz .LBB166_2117
	s_branch .LBB166_2118
.LBB166_2136:
	s_mov_b32 s16, -1
.LBB166_2137:
                                        ; implicit-def: $vgpr9
.LBB166_2138:
	s_and_b32 vcc_lo, exec_lo, s20
	s_mov_b32 s20, 0
	s_cbranch_vccz .LBB166_2140
; %bb.2139:
	s_cmp_lg_u32 s0, 11
	s_mov_b32 s20, -1
	s_cselect_b32 s16, -1, 0
.LBB166_2140:
	s_delay_alu instid0(SALU_CYCLE_1)
	s_and_b32 vcc_lo, exec_lo, s16
	s_mov_b32 s16, s19
	s_cbranch_vccnz .LBB166_2201
; %bb.2141:
	s_and_not1_b32 vcc_lo, exec_lo, s20
	s_cbranch_vccnz .LBB166_2143
.LBB166_2142:
	global_load_u8 v1, v[2:3], off
	s_mov_b32 s21, -1
	s_wait_loadcnt 0x0
	v_cmp_ne_u16_e32 vcc_lo, 0, v1
	v_cndmask_b32_e64 v1, 0, 1.0, vcc_lo
	s_delay_alu instid0(VALU_DEP_1)
	v_lshrrev_b32_e32 v9, 16, v1
.LBB166_2143:
	s_branch .LBB166_2072
.LBB166_2144:
	s_and_b32 s0, 0xffff, s17
	s_delay_alu instid0(SALU_CYCLE_1)
	s_cmp_lt_i32 s0, 5
	s_cbranch_scc1 .LBB166_2149
; %bb.2145:
	s_cmp_lt_i32 s0, 8
	s_cbranch_scc1 .LBB166_2150
; %bb.2146:
	;; [unrolled: 3-line block ×3, first 2 shown]
	s_cmp_gt_i32 s0, 9
	s_cbranch_scc0 .LBB166_2152
; %bb.2148:
	global_load_b64 v[4:5], v[2:3], off
	s_mov_b32 s20, 0
	s_wait_loadcnt 0x0
	v_cvt_f32_f64_e32 v1, v[4:5]
	s_delay_alu instid0(VALU_DEP_1) | instskip(SKIP_1) | instid1(VALU_DEP_2)
	v_bfe_u32 v4, v1, 16, 1
	v_cmp_o_f32_e32 vcc_lo, v1, v1
	v_add3_u32 v4, v1, v4, 0x7fff
	s_delay_alu instid0(VALU_DEP_1) | instskip(NEXT) | instid1(VALU_DEP_1)
	v_lshrrev_b32_e32 v4, 16, v4
	v_cndmask_b32_e32 v9, 0x7fc0, v4, vcc_lo
	s_branch .LBB166_2153
.LBB166_2149:
                                        ; implicit-def: $vgpr9
	s_branch .LBB166_2170
.LBB166_2150:
                                        ; implicit-def: $vgpr9
	s_branch .LBB166_2159
.LBB166_2151:
	s_mov_b32 s20, -1
                                        ; implicit-def: $vgpr9
	s_branch .LBB166_2156
.LBB166_2152:
	s_mov_b32 s20, -1
                                        ; implicit-def: $vgpr9
.LBB166_2153:
	s_delay_alu instid0(SALU_CYCLE_1)
	s_and_not1_b32 vcc_lo, exec_lo, s20
	s_cbranch_vccnz .LBB166_2155
; %bb.2154:
	global_load_b32 v1, v[2:3], off
	s_wait_loadcnt 0x0
	v_bfe_u32 v4, v1, 16, 1
	v_cmp_o_f32_e32 vcc_lo, v1, v1
	s_delay_alu instid0(VALU_DEP_2) | instskip(NEXT) | instid1(VALU_DEP_1)
	v_add3_u32 v4, v1, v4, 0x7fff
	v_lshrrev_b32_e32 v4, 16, v4
	s_delay_alu instid0(VALU_DEP_1)
	v_cndmask_b32_e32 v9, 0x7fc0, v4, vcc_lo
.LBB166_2155:
	s_mov_b32 s20, 0
.LBB166_2156:
	s_delay_alu instid0(SALU_CYCLE_1)
	s_and_not1_b32 vcc_lo, exec_lo, s20
	s_cbranch_vccnz .LBB166_2158
; %bb.2157:
	global_load_b32 v1, v[2:3], off
	s_wait_loadcnt 0x0
	v_cvt_f32_f16_e32 v4, v1
	v_cmp_o_f16_e32 vcc_lo, v1, v1
	s_delay_alu instid0(VALU_DEP_2) | instskip(NEXT) | instid1(VALU_DEP_1)
	v_bfe_u32 v5, v4, 16, 1
	v_add3_u32 v4, v4, v5, 0x7fff
	s_delay_alu instid0(VALU_DEP_1) | instskip(NEXT) | instid1(VALU_DEP_1)
	v_lshrrev_b32_e32 v4, 16, v4
	v_cndmask_b32_e32 v9, 0x7fc0, v4, vcc_lo
.LBB166_2158:
	s_cbranch_execnz .LBB166_2169
.LBB166_2159:
	s_cmp_lt_i32 s0, 6
	s_cbranch_scc1 .LBB166_2162
; %bb.2160:
	s_cmp_gt_i32 s0, 6
	s_cbranch_scc0 .LBB166_2163
; %bb.2161:
	global_load_b64 v[4:5], v[2:3], off
	s_mov_b32 s20, 0
	s_wait_loadcnt 0x0
	v_cvt_f32_f64_e32 v1, v[4:5]
	s_delay_alu instid0(VALU_DEP_1) | instskip(SKIP_1) | instid1(VALU_DEP_2)
	v_bfe_u32 v4, v1, 16, 1
	v_cmp_o_f32_e32 vcc_lo, v1, v1
	v_add3_u32 v4, v1, v4, 0x7fff
	s_delay_alu instid0(VALU_DEP_1) | instskip(NEXT) | instid1(VALU_DEP_1)
	v_lshrrev_b32_e32 v4, 16, v4
	v_cndmask_b32_e32 v9, 0x7fc0, v4, vcc_lo
	s_branch .LBB166_2164
.LBB166_2162:
	s_mov_b32 s20, -1
                                        ; implicit-def: $vgpr9
	s_branch .LBB166_2167
.LBB166_2163:
	s_mov_b32 s20, -1
                                        ; implicit-def: $vgpr9
.LBB166_2164:
	s_delay_alu instid0(SALU_CYCLE_1)
	s_and_not1_b32 vcc_lo, exec_lo, s20
	s_cbranch_vccnz .LBB166_2166
; %bb.2165:
	global_load_b32 v1, v[2:3], off
	s_wait_loadcnt 0x0
	v_bfe_u32 v4, v1, 16, 1
	v_cmp_o_f32_e32 vcc_lo, v1, v1
	s_delay_alu instid0(VALU_DEP_2) | instskip(NEXT) | instid1(VALU_DEP_1)
	v_add3_u32 v4, v1, v4, 0x7fff
	v_lshrrev_b32_e32 v4, 16, v4
	s_delay_alu instid0(VALU_DEP_1)
	v_cndmask_b32_e32 v9, 0x7fc0, v4, vcc_lo
.LBB166_2166:
	s_mov_b32 s20, 0
.LBB166_2167:
	s_delay_alu instid0(SALU_CYCLE_1)
	s_and_not1_b32 vcc_lo, exec_lo, s20
	s_cbranch_vccnz .LBB166_2169
; %bb.2168:
	global_load_u16 v1, v[2:3], off
	s_wait_loadcnt 0x0
	v_cvt_f32_f16_e32 v4, v1
	v_cmp_o_f16_e32 vcc_lo, v1, v1
	s_delay_alu instid0(VALU_DEP_2) | instskip(NEXT) | instid1(VALU_DEP_1)
	v_bfe_u32 v5, v4, 16, 1
	v_add3_u32 v4, v4, v5, 0x7fff
	s_delay_alu instid0(VALU_DEP_1) | instskip(NEXT) | instid1(VALU_DEP_1)
	v_lshrrev_b32_e32 v4, 16, v4
	v_cndmask_b32_e32 v9, 0x7fc0, v4, vcc_lo
.LBB166_2169:
	s_cbranch_execnz .LBB166_2188
.LBB166_2170:
	s_cmp_lt_i32 s0, 2
	s_cbranch_scc1 .LBB166_2174
; %bb.2171:
	s_cmp_lt_i32 s0, 3
	s_cbranch_scc1 .LBB166_2175
; %bb.2172:
	s_cmp_gt_i32 s0, 3
	s_cbranch_scc0 .LBB166_2176
; %bb.2173:
	global_load_b64 v[4:5], v[2:3], off
	s_mov_b32 s20, 0
	s_wait_loadcnt 0x0
	v_xor_b32_e32 v1, v4, v5
	v_cls_i32_e32 v6, v5
	s_delay_alu instid0(VALU_DEP_2) | instskip(NEXT) | instid1(VALU_DEP_1)
	v_ashrrev_i32_e32 v1, 31, v1
	v_add_nc_u32_e32 v1, 32, v1
	s_delay_alu instid0(VALU_DEP_1) | instskip(NEXT) | instid1(VALU_DEP_1)
	v_add_min_u32_e64 v1, v6, -1, v1
	v_lshlrev_b64_e32 v[4:5], v1, v[4:5]
	v_sub_nc_u32_e32 v1, 32, v1
	s_delay_alu instid0(VALU_DEP_2) | instskip(NEXT) | instid1(VALU_DEP_1)
	v_min_u32_e32 v4, 1, v4
	v_or_b32_e32 v4, v5, v4
	s_delay_alu instid0(VALU_DEP_1) | instskip(NEXT) | instid1(VALU_DEP_1)
	v_cvt_f32_i32_e32 v4, v4
	v_ldexp_f32 v1, v4, v1
	s_delay_alu instid0(VALU_DEP_1) | instskip(NEXT) | instid1(VALU_DEP_1)
	v_bfe_u32 v4, v1, 16, 1
	v_add3_u32 v1, v1, v4, 0x7fff
	s_delay_alu instid0(VALU_DEP_1)
	v_lshrrev_b32_e32 v9, 16, v1
	s_branch .LBB166_2177
.LBB166_2174:
                                        ; implicit-def: $vgpr9
	s_branch .LBB166_2183
.LBB166_2175:
	s_mov_b32 s20, -1
                                        ; implicit-def: $vgpr9
	s_branch .LBB166_2180
.LBB166_2176:
	s_mov_b32 s20, -1
                                        ; implicit-def: $vgpr9
.LBB166_2177:
	s_delay_alu instid0(SALU_CYCLE_1)
	s_and_not1_b32 vcc_lo, exec_lo, s20
	s_cbranch_vccnz .LBB166_2179
; %bb.2178:
	global_load_b32 v1, v[2:3], off
	s_wait_loadcnt 0x0
	v_cvt_f32_i32_e32 v1, v1
	s_delay_alu instid0(VALU_DEP_1) | instskip(NEXT) | instid1(VALU_DEP_1)
	v_bfe_u32 v4, v1, 16, 1
	v_add3_u32 v1, v1, v4, 0x7fff
	s_delay_alu instid0(VALU_DEP_1)
	v_lshrrev_b32_e32 v9, 16, v1
.LBB166_2179:
	s_mov_b32 s20, 0
.LBB166_2180:
	s_delay_alu instid0(SALU_CYCLE_1)
	s_and_not1_b32 vcc_lo, exec_lo, s20
	s_cbranch_vccnz .LBB166_2182
; %bb.2181:
	global_load_i16 v1, v[2:3], off
	s_wait_loadcnt 0x0
	v_cvt_f32_i32_e32 v1, v1
	s_delay_alu instid0(VALU_DEP_1) | instskip(NEXT) | instid1(VALU_DEP_1)
	v_bfe_u32 v4, v1, 16, 1
	v_add3_u32 v1, v1, v4, 0x7fff
	s_delay_alu instid0(VALU_DEP_1)
	v_lshrrev_b32_e32 v9, 16, v1
.LBB166_2182:
	s_cbranch_execnz .LBB166_2188
.LBB166_2183:
	s_cmp_gt_i32 s0, 0
	s_mov_b32 s0, 0
	s_cbranch_scc0 .LBB166_2185
; %bb.2184:
	global_load_i8 v1, v[2:3], off
	s_wait_loadcnt 0x0
	v_cvt_f32_i32_e32 v1, v1
	s_delay_alu instid0(VALU_DEP_1) | instskip(NEXT) | instid1(VALU_DEP_1)
	v_bfe_u32 v4, v1, 16, 1
	v_add3_u32 v1, v1, v4, 0x7fff
	s_delay_alu instid0(VALU_DEP_1)
	v_lshrrev_b32_e32 v9, 16, v1
	s_branch .LBB166_2186
.LBB166_2185:
	s_mov_b32 s0, -1
                                        ; implicit-def: $vgpr9
.LBB166_2186:
	s_delay_alu instid0(SALU_CYCLE_1)
	s_and_not1_b32 vcc_lo, exec_lo, s0
	s_cbranch_vccnz .LBB166_2188
; %bb.2187:
	global_load_u8 v1, v[2:3], off
	s_wait_loadcnt 0x0
	v_cvt_f32_ubyte0_e32 v1, v1
	s_wait_xcnt 0x0
	s_delay_alu instid0(VALU_DEP_1) | instskip(NEXT) | instid1(VALU_DEP_1)
	v_bfe_u32 v2, v1, 16, 1
	v_add3_u32 v1, v1, v2, 0x7fff
	s_delay_alu instid0(VALU_DEP_1)
	v_lshrrev_b32_e32 v9, 16, v1
.LBB166_2188:
.LBB166_2189:
	s_wait_xcnt 0x0
	v_mul_lo_u32 v2, s14, v8
	s_and_b32 s3, s3, 0xff
	s_delay_alu instid0(SALU_CYCLE_1) | instskip(NEXT) | instid1(VALU_DEP_1)
	s_cmp_lt_i32 s3, 11
	v_ashrrev_i32_e32 v3, 31, v2
	s_delay_alu instid0(VALU_DEP_1)
	v_add_nc_u64_e32 v[4:5], s[8:9], v[2:3]
	s_cbranch_scc1 .LBB166_2196
; %bb.2190:
	s_and_b32 s0, 0xffff, s3
	s_mov_b32 s21, 0
	s_cmp_gt_i32 s0, 25
	s_cbranch_scc0 .LBB166_2198
; %bb.2191:
	s_cmp_gt_i32 s0, 28
	s_cbranch_scc0 .LBB166_2199
; %bb.2192:
	;; [unrolled: 3-line block ×4, first 2 shown]
	s_cmp_eq_u32 s0, 46
	s_mov_b32 s23, 0
	s_cbranch_scc0 .LBB166_2205
; %bb.2195:
	global_load_b32 v10, v[4:5], off
	s_mov_b32 s20, 0
	s_mov_b32 s22, -1
	s_branch .LBB166_2207
.LBB166_2196:
	s_mov_b32 s22, 0
                                        ; implicit-def: $vgpr10
	s_cbranch_execnz .LBB166_2272
.LBB166_2197:
	s_and_not1_b32 vcc_lo, exec_lo, s22
	s_cbranch_vccnz .LBB166_4065
	s_branch .LBB166_2319
.LBB166_2198:
	s_mov_b32 s22, 0
	s_mov_b32 s20, 0
                                        ; implicit-def: $vgpr10
	s_cbranch_execnz .LBB166_2236
	s_branch .LBB166_2268
.LBB166_2199:
	s_mov_b32 s23, -1
	s_mov_b32 s22, 0
	s_mov_b32 s20, 0
                                        ; implicit-def: $vgpr10
	s_branch .LBB166_2217
.LBB166_2200:
	s_mov_b32 s23, -1
	s_mov_b32 s22, 0
	s_mov_b32 s20, 0
                                        ; implicit-def: $vgpr10
	s_branch .LBB166_2212
.LBB166_2201:
	s_or_b32 s16, s19, exec_lo
	s_trap 2
	s_cbranch_execz .LBB166_2142
	s_branch .LBB166_2143
.LBB166_2202:
	s_mov_b32 s23, -1
	s_mov_b32 s22, 0
	s_mov_b32 s20, 0
	s_branch .LBB166_2206
.LBB166_2203:
	s_and_not1_saveexec_b32 s27, s27
	s_cbranch_execz .LBB166_1988
.LBB166_2204:
	v_add_f32_e64 v3, 0x42800000, |v5|
	s_and_not1_b32 s26, s26, exec_lo
	s_delay_alu instid0(VALU_DEP_1) | instskip(NEXT) | instid1(VALU_DEP_1)
	v_and_b32_e32 v3, 0xff, v3
	v_cmp_ne_u32_e32 vcc_lo, 0, v3
	s_and_b32 s28, vcc_lo, exec_lo
	s_delay_alu instid0(SALU_CYCLE_1)
	s_or_b32 s26, s26, s28
	s_or_b32 exec_lo, exec_lo, s27
	v_mov_b32_e32 v6, 0
	s_and_saveexec_b32 s27, s26
	s_cbranch_execnz .LBB166_1989
	s_branch .LBB166_1990
.LBB166_2205:
	s_mov_b32 s20, -1
	s_mov_b32 s22, 0
.LBB166_2206:
                                        ; implicit-def: $vgpr10
.LBB166_2207:
	s_and_b32 vcc_lo, exec_lo, s23
	s_cbranch_vccz .LBB166_2211
; %bb.2208:
	s_cmp_eq_u32 s0, 44
	s_cbranch_scc0 .LBB166_2210
; %bb.2209:
	global_load_u8 v1, v[4:5], off
	s_mov_b32 s20, 0
	s_mov_b32 s22, -1
	s_wait_loadcnt 0x0
	v_lshlrev_b32_e32 v3, 23, v1
	v_cmp_ne_u32_e32 vcc_lo, 0xff, v1
	s_delay_alu instid0(VALU_DEP_2) | instskip(SKIP_1) | instid1(VALU_DEP_2)
	v_cndmask_b32_e32 v3, 0x7f800001, v3, vcc_lo
	v_cmp_ne_u32_e32 vcc_lo, 0, v1
	v_cndmask_b32_e32 v1, 0x400000, v3, vcc_lo
	s_delay_alu instid0(VALU_DEP_1) | instskip(SKIP_1) | instid1(VALU_DEP_2)
	v_add_nc_u32_e32 v3, 0x7fff, v1
	v_cmp_o_f32_e32 vcc_lo, v1, v1
	v_lshrrev_b32_e32 v3, 16, v3
	s_delay_alu instid0(VALU_DEP_1)
	v_cndmask_b32_e32 v10, 0x7fc0, v3, vcc_lo
	s_branch .LBB166_2211
.LBB166_2210:
	s_mov_b32 s20, -1
                                        ; implicit-def: $vgpr10
.LBB166_2211:
	s_mov_b32 s23, 0
.LBB166_2212:
	s_delay_alu instid0(SALU_CYCLE_1)
	s_and_b32 vcc_lo, exec_lo, s23
	s_cbranch_vccz .LBB166_2216
; %bb.2213:
	s_cmp_eq_u32 s0, 29
	s_cbranch_scc0 .LBB166_2215
; %bb.2214:
	global_load_b64 v[6:7], v[4:5], off
	s_mov_b32 s20, 0
	s_mov_b32 s22, -1
	s_mov_b32 s23, 0
	s_wait_loadcnt 0x0
	v_clz_i32_u32_e32 v1, v7
	s_delay_alu instid0(VALU_DEP_1) | instskip(NEXT) | instid1(VALU_DEP_1)
	v_min_u32_e32 v1, 32, v1
	v_lshlrev_b64_e32 v[6:7], v1, v[6:7]
	v_sub_nc_u32_e32 v1, 32, v1
	s_delay_alu instid0(VALU_DEP_2) | instskip(NEXT) | instid1(VALU_DEP_1)
	v_min_u32_e32 v3, 1, v6
	v_or_b32_e32 v3, v7, v3
	s_delay_alu instid0(VALU_DEP_1) | instskip(NEXT) | instid1(VALU_DEP_1)
	v_cvt_f32_u32_e32 v3, v3
	v_ldexp_f32 v1, v3, v1
	s_delay_alu instid0(VALU_DEP_1) | instskip(NEXT) | instid1(VALU_DEP_1)
	v_bfe_u32 v3, v1, 16, 1
	v_add3_u32 v1, v1, v3, 0x7fff
	s_delay_alu instid0(VALU_DEP_1)
	v_lshrrev_b32_e32 v10, 16, v1
	s_branch .LBB166_2217
.LBB166_2215:
	s_mov_b32 s20, -1
                                        ; implicit-def: $vgpr10
.LBB166_2216:
	s_mov_b32 s23, 0
.LBB166_2217:
	s_delay_alu instid0(SALU_CYCLE_1)
	s_and_b32 vcc_lo, exec_lo, s23
	s_cbranch_vccz .LBB166_2235
; %bb.2218:
	s_cmp_lt_i32 s0, 27
	s_cbranch_scc1 .LBB166_2221
; %bb.2219:
	s_cmp_gt_i32 s0, 27
	s_cbranch_scc0 .LBB166_2222
; %bb.2220:
	global_load_b32 v1, v[4:5], off
	s_mov_b32 s22, 0
	s_wait_loadcnt 0x0
	v_cvt_f32_u32_e32 v1, v1
	s_delay_alu instid0(VALU_DEP_1) | instskip(NEXT) | instid1(VALU_DEP_1)
	v_bfe_u32 v3, v1, 16, 1
	v_add3_u32 v1, v1, v3, 0x7fff
	s_delay_alu instid0(VALU_DEP_1)
	v_lshrrev_b32_e32 v10, 16, v1
	s_branch .LBB166_2223
.LBB166_2221:
	s_mov_b32 s22, -1
                                        ; implicit-def: $vgpr10
	s_branch .LBB166_2226
.LBB166_2222:
	s_mov_b32 s22, -1
                                        ; implicit-def: $vgpr10
.LBB166_2223:
	s_delay_alu instid0(SALU_CYCLE_1)
	s_and_not1_b32 vcc_lo, exec_lo, s22
	s_cbranch_vccnz .LBB166_2225
; %bb.2224:
	global_load_u16 v1, v[4:5], off
	s_wait_loadcnt 0x0
	v_cvt_f32_u32_e32 v1, v1
	s_delay_alu instid0(VALU_DEP_1) | instskip(NEXT) | instid1(VALU_DEP_1)
	v_bfe_u32 v3, v1, 16, 1
	v_add3_u32 v1, v1, v3, 0x7fff
	s_delay_alu instid0(VALU_DEP_1)
	v_lshrrev_b32_e32 v10, 16, v1
.LBB166_2225:
	s_mov_b32 s22, 0
.LBB166_2226:
	s_delay_alu instid0(SALU_CYCLE_1)
	s_and_not1_b32 vcc_lo, exec_lo, s22
	s_cbranch_vccnz .LBB166_2234
; %bb.2227:
	global_load_u8 v1, v[4:5], off
	s_mov_b32 s22, 0
	s_mov_b32 s23, exec_lo
	s_wait_loadcnt 0x0
	v_cmpx_lt_i16_e32 0x7f, v1
	s_xor_b32 s23, exec_lo, s23
	s_cbranch_execz .LBB166_2247
; %bb.2228:
	s_mov_b32 s22, -1
	s_mov_b32 s24, exec_lo
	v_cmpx_eq_u16_e32 0x80, v1
; %bb.2229:
	s_xor_b32 s22, exec_lo, -1
; %bb.2230:
	s_or_b32 exec_lo, exec_lo, s24
	s_delay_alu instid0(SALU_CYCLE_1)
	s_and_b32 s22, s22, exec_lo
	s_or_saveexec_b32 s23, s23
	v_mov_b32_e32 v3, 0x7f800001
	s_xor_b32 exec_lo, exec_lo, s23
	s_cbranch_execnz .LBB166_2248
.LBB166_2231:
	s_or_b32 exec_lo, exec_lo, s23
	s_and_saveexec_b32 s23, s22
	s_cbranch_execz .LBB166_2233
.LBB166_2232:
	v_and_b32_e32 v3, 0xffff, v1
	s_delay_alu instid0(VALU_DEP_1) | instskip(SKIP_1) | instid1(VALU_DEP_2)
	v_dual_lshlrev_b32 v1, 24, v1 :: v_dual_bitop2_b32 v6, 7, v3 bitop3:0x40
	v_bfe_u32 v11, v3, 3, 4
	v_and_b32_e32 v1, 0x80000000, v1
	s_delay_alu instid0(VALU_DEP_3) | instskip(NEXT) | instid1(VALU_DEP_3)
	v_clz_i32_u32_e32 v7, v6
	v_cmp_eq_u32_e32 vcc_lo, 0, v11
	s_delay_alu instid0(VALU_DEP_2) | instskip(NEXT) | instid1(VALU_DEP_1)
	v_min_u32_e32 v7, 32, v7
	v_subrev_nc_u32_e32 v10, 28, v7
	v_sub_nc_u32_e32 v7, 29, v7
	s_delay_alu instid0(VALU_DEP_2) | instskip(NEXT) | instid1(VALU_DEP_2)
	v_lshlrev_b32_e32 v3, v10, v3
	v_cndmask_b32_e32 v7, v11, v7, vcc_lo
	s_delay_alu instid0(VALU_DEP_2) | instskip(NEXT) | instid1(VALU_DEP_1)
	v_and_b32_e32 v3, 7, v3
	v_cndmask_b32_e32 v3, v6, v3, vcc_lo
	s_delay_alu instid0(VALU_DEP_3) | instskip(NEXT) | instid1(VALU_DEP_2)
	v_lshl_add_u32 v6, v7, 23, 0x3b800000
	v_lshlrev_b32_e32 v3, 20, v3
	s_delay_alu instid0(VALU_DEP_1)
	v_or3_b32 v3, v1, v6, v3
.LBB166_2233:
	s_or_b32 exec_lo, exec_lo, s23
	s_delay_alu instid0(VALU_DEP_1) | instskip(SKIP_1) | instid1(VALU_DEP_2)
	v_bfe_u32 v1, v3, 16, 1
	v_cmp_o_f32_e32 vcc_lo, v3, v3
	v_add3_u32 v1, v3, v1, 0x7fff
	s_delay_alu instid0(VALU_DEP_1) | instskip(NEXT) | instid1(VALU_DEP_1)
	v_lshrrev_b32_e32 v1, 16, v1
	v_cndmask_b32_e32 v10, 0x7fc0, v1, vcc_lo
.LBB166_2234:
	s_mov_b32 s22, -1
.LBB166_2235:
	s_branch .LBB166_2268
.LBB166_2236:
	s_cmp_gt_i32 s0, 22
	s_cbranch_scc0 .LBB166_2246
; %bb.2237:
	s_cmp_lt_i32 s0, 24
	s_cbranch_scc1 .LBB166_2249
; %bb.2238:
	s_cmp_gt_i32 s0, 24
	s_cbranch_scc0 .LBB166_2250
; %bb.2239:
	global_load_u8 v1, v[4:5], off
	s_mov_b32 s22, exec_lo
	s_wait_loadcnt 0x0
	v_cmpx_lt_i16_e32 0x7f, v1
	s_xor_b32 s22, exec_lo, s22
	s_cbranch_execz .LBB166_2262
; %bb.2240:
	s_mov_b32 s21, -1
	s_mov_b32 s23, exec_lo
	v_cmpx_eq_u16_e32 0x80, v1
; %bb.2241:
	s_xor_b32 s21, exec_lo, -1
; %bb.2242:
	s_or_b32 exec_lo, exec_lo, s23
	s_delay_alu instid0(SALU_CYCLE_1)
	s_and_b32 s21, s21, exec_lo
	s_or_saveexec_b32 s22, s22
	v_mov_b32_e32 v3, 0x7f800001
	s_xor_b32 exec_lo, exec_lo, s22
	s_cbranch_execnz .LBB166_2263
.LBB166_2243:
	s_or_b32 exec_lo, exec_lo, s22
	s_and_saveexec_b32 s22, s21
	s_cbranch_execz .LBB166_2245
.LBB166_2244:
	v_and_b32_e32 v3, 0xffff, v1
	s_delay_alu instid0(VALU_DEP_1) | instskip(SKIP_1) | instid1(VALU_DEP_2)
	v_dual_lshlrev_b32 v1, 24, v1 :: v_dual_bitop2_b32 v6, 3, v3 bitop3:0x40
	v_bfe_u32 v11, v3, 2, 5
	v_and_b32_e32 v1, 0x80000000, v1
	s_delay_alu instid0(VALU_DEP_3) | instskip(NEXT) | instid1(VALU_DEP_3)
	v_clz_i32_u32_e32 v7, v6
	v_cmp_eq_u32_e32 vcc_lo, 0, v11
	s_delay_alu instid0(VALU_DEP_2) | instskip(NEXT) | instid1(VALU_DEP_1)
	v_min_u32_e32 v7, 32, v7
	v_subrev_nc_u32_e32 v10, 29, v7
	v_sub_nc_u32_e32 v7, 30, v7
	s_delay_alu instid0(VALU_DEP_2) | instskip(NEXT) | instid1(VALU_DEP_2)
	v_lshlrev_b32_e32 v3, v10, v3
	v_cndmask_b32_e32 v7, v11, v7, vcc_lo
	s_delay_alu instid0(VALU_DEP_2) | instskip(NEXT) | instid1(VALU_DEP_1)
	v_and_b32_e32 v3, 3, v3
	v_cndmask_b32_e32 v3, v6, v3, vcc_lo
	s_delay_alu instid0(VALU_DEP_3) | instskip(NEXT) | instid1(VALU_DEP_2)
	v_lshl_add_u32 v6, v7, 23, 0x37800000
	v_lshlrev_b32_e32 v3, 21, v3
	s_delay_alu instid0(VALU_DEP_1)
	v_or3_b32 v3, v1, v6, v3
.LBB166_2245:
	s_or_b32 exec_lo, exec_lo, s22
	s_delay_alu instid0(VALU_DEP_1) | instskip(SKIP_2) | instid1(VALU_DEP_2)
	v_bfe_u32 v1, v3, 16, 1
	v_cmp_o_f32_e32 vcc_lo, v3, v3
	s_mov_b32 s21, 0
	v_add3_u32 v1, v3, v1, 0x7fff
	s_delay_alu instid0(VALU_DEP_1) | instskip(NEXT) | instid1(VALU_DEP_1)
	v_lshrrev_b32_e32 v1, 16, v1
	v_cndmask_b32_e32 v10, 0x7fc0, v1, vcc_lo
	s_branch .LBB166_2251
.LBB166_2246:
	s_mov_b32 s21, -1
                                        ; implicit-def: $vgpr10
	s_branch .LBB166_2257
.LBB166_2247:
	s_or_saveexec_b32 s23, s23
	v_mov_b32_e32 v3, 0x7f800001
	s_xor_b32 exec_lo, exec_lo, s23
	s_cbranch_execz .LBB166_2231
.LBB166_2248:
	v_cmp_ne_u16_e32 vcc_lo, 0, v1
	v_mov_b32_e32 v3, 0
	s_and_not1_b32 s22, s22, exec_lo
	s_and_b32 s24, vcc_lo, exec_lo
	s_delay_alu instid0(SALU_CYCLE_1)
	s_or_b32 s22, s22, s24
	s_or_b32 exec_lo, exec_lo, s23
	s_and_saveexec_b32 s23, s22
	s_cbranch_execnz .LBB166_2232
	s_branch .LBB166_2233
.LBB166_2249:
	s_mov_b32 s21, -1
                                        ; implicit-def: $vgpr10
	s_branch .LBB166_2254
.LBB166_2250:
	s_mov_b32 s21, -1
                                        ; implicit-def: $vgpr10
.LBB166_2251:
	s_delay_alu instid0(SALU_CYCLE_1)
	s_and_b32 vcc_lo, exec_lo, s21
	s_cbranch_vccz .LBB166_2253
; %bb.2252:
	global_load_u8 v1, v[4:5], off
	s_wait_loadcnt 0x0
	v_lshlrev_b32_e32 v1, 24, v1
	s_delay_alu instid0(VALU_DEP_1) | instskip(NEXT) | instid1(VALU_DEP_1)
	v_and_b32_e32 v3, 0x7f000000, v1
	v_clz_i32_u32_e32 v6, v3
	v_cmp_ne_u32_e32 vcc_lo, 0, v3
	v_add_nc_u32_e32 v10, 0x1000000, v3
	s_delay_alu instid0(VALU_DEP_3) | instskip(NEXT) | instid1(VALU_DEP_1)
	v_min_u32_e32 v6, 32, v6
	v_sub_nc_u32_e64 v6, v6, 4 clamp
	s_delay_alu instid0(VALU_DEP_1) | instskip(NEXT) | instid1(VALU_DEP_1)
	v_dual_lshlrev_b32 v7, v6, v3 :: v_dual_lshlrev_b32 v6, 23, v6
	v_lshrrev_b32_e32 v7, 4, v7
	s_delay_alu instid0(VALU_DEP_1) | instskip(SKIP_1) | instid1(VALU_DEP_2)
	v_sub_nc_u32_e32 v6, v7, v6
	v_ashrrev_i32_e32 v7, 8, v10
	v_add_nc_u32_e32 v6, 0x3c000000, v6
	s_delay_alu instid0(VALU_DEP_1) | instskip(NEXT) | instid1(VALU_DEP_1)
	v_and_or_b32 v6, 0x7f800000, v7, v6
	v_cndmask_b32_e32 v3, 0, v6, vcc_lo
	s_delay_alu instid0(VALU_DEP_1) | instskip(SKIP_1) | instid1(VALU_DEP_2)
	v_and_or_b32 v1, 0x80000000, v1, v3
	v_bfe_u32 v3, v3, 16, 1
	v_cmp_o_f32_e32 vcc_lo, v1, v1
	s_delay_alu instid0(VALU_DEP_2) | instskip(NEXT) | instid1(VALU_DEP_1)
	v_add3_u32 v3, v1, v3, 0x7fff
	v_lshrrev_b32_e32 v3, 16, v3
	s_delay_alu instid0(VALU_DEP_1)
	v_cndmask_b32_e32 v10, 0x7fc0, v3, vcc_lo
.LBB166_2253:
	s_mov_b32 s21, 0
.LBB166_2254:
	s_delay_alu instid0(SALU_CYCLE_1)
	s_and_not1_b32 vcc_lo, exec_lo, s21
	s_cbranch_vccnz .LBB166_2256
; %bb.2255:
	global_load_u8 v1, v[4:5], off
	s_wait_loadcnt 0x0
	v_lshlrev_b32_e32 v3, 25, v1
	v_lshlrev_b16 v1, 8, v1
	s_delay_alu instid0(VALU_DEP_1) | instskip(SKIP_1) | instid1(VALU_DEP_2)
	v_and_or_b32 v7, 0x7f00, v1, 0.5
	v_bfe_i32 v1, v1, 0, 16
	v_add_f32_e32 v7, -0.5, v7
	v_lshrrev_b32_e32 v6, 4, v3
	v_cmp_gt_u32_e32 vcc_lo, 0x8000000, v3
	s_delay_alu instid0(VALU_DEP_2) | instskip(NEXT) | instid1(VALU_DEP_1)
	v_or_b32_e32 v6, 0x70000000, v6
	v_mul_f32_e32 v6, 0x7800000, v6
	s_delay_alu instid0(VALU_DEP_1) | instskip(NEXT) | instid1(VALU_DEP_1)
	v_cndmask_b32_e32 v3, v6, v7, vcc_lo
	v_and_or_b32 v1, 0x80000000, v1, v3
	v_bfe_u32 v3, v3, 16, 1
	s_delay_alu instid0(VALU_DEP_2) | instskip(NEXT) | instid1(VALU_DEP_2)
	v_cmp_o_f32_e32 vcc_lo, v1, v1
	v_add3_u32 v3, v1, v3, 0x7fff
	s_delay_alu instid0(VALU_DEP_1) | instskip(NEXT) | instid1(VALU_DEP_1)
	v_lshrrev_b32_e32 v3, 16, v3
	v_cndmask_b32_e32 v10, 0x7fc0, v3, vcc_lo
.LBB166_2256:
	s_mov_b32 s21, 0
	s_mov_b32 s22, -1
.LBB166_2257:
	s_and_not1_b32 vcc_lo, exec_lo, s21
	s_mov_b32 s21, 0
	s_cbranch_vccnz .LBB166_2268
; %bb.2258:
	s_cmp_gt_i32 s0, 14
	s_cbranch_scc0 .LBB166_2261
; %bb.2259:
	s_cmp_eq_u32 s0, 15
	s_cbranch_scc0 .LBB166_2264
; %bb.2260:
	s_wait_loadcnt 0x0
	global_load_u16 v10, v[4:5], off
	s_mov_b32 s20, 0
	s_mov_b32 s22, -1
	s_branch .LBB166_2266
.LBB166_2261:
	s_mov_b32 s21, -1
	s_branch .LBB166_2265
.LBB166_2262:
	s_or_saveexec_b32 s22, s22
	v_mov_b32_e32 v3, 0x7f800001
	s_xor_b32 exec_lo, exec_lo, s22
	s_cbranch_execz .LBB166_2243
.LBB166_2263:
	v_cmp_ne_u16_e32 vcc_lo, 0, v1
	v_mov_b32_e32 v3, 0
	s_and_not1_b32 s21, s21, exec_lo
	s_and_b32 s23, vcc_lo, exec_lo
	s_delay_alu instid0(SALU_CYCLE_1)
	s_or_b32 s21, s21, s23
	s_or_b32 exec_lo, exec_lo, s22
	s_and_saveexec_b32 s22, s21
	s_cbranch_execnz .LBB166_2244
	s_branch .LBB166_2245
.LBB166_2264:
	s_mov_b32 s20, -1
.LBB166_2265:
                                        ; implicit-def: $vgpr10
.LBB166_2266:
	s_and_b32 vcc_lo, exec_lo, s21
	s_mov_b32 s21, 0
	s_cbranch_vccz .LBB166_2268
; %bb.2267:
	s_cmp_lg_u32 s0, 11
	s_mov_b32 s21, -1
	s_cselect_b32 s20, -1, 0
.LBB166_2268:
	s_delay_alu instid0(SALU_CYCLE_1)
	s_and_b32 vcc_lo, exec_lo, s20
	s_cbranch_vccnz .LBB166_2331
; %bb.2269:
	s_and_not1_b32 vcc_lo, exec_lo, s21
	s_cbranch_vccnz .LBB166_2271
.LBB166_2270:
	global_load_u8 v1, v[4:5], off
	s_mov_b32 s22, -1
	s_wait_loadcnt 0x0
	v_cmp_ne_u16_e32 vcc_lo, 0, v1
	v_cndmask_b32_e64 v1, 0, 1.0, vcc_lo
	s_delay_alu instid0(VALU_DEP_1)
	v_lshrrev_b32_e32 v10, 16, v1
.LBB166_2271:
	s_branch .LBB166_2197
.LBB166_2272:
	s_and_b32 s0, 0xffff, s3
	s_delay_alu instid0(SALU_CYCLE_1)
	s_cmp_lt_i32 s0, 5
	s_cbranch_scc1 .LBB166_2277
; %bb.2273:
	s_cmp_lt_i32 s0, 8
	s_cbranch_scc1 .LBB166_2278
; %bb.2274:
	;; [unrolled: 3-line block ×3, first 2 shown]
	s_cmp_gt_i32 s0, 9
	s_cbranch_scc0 .LBB166_2280
; %bb.2276:
	global_load_b64 v[6:7], v[4:5], off
	s_mov_b32 s20, 0
	s_wait_loadcnt 0x0
	v_cvt_f32_f64_e32 v1, v[6:7]
	s_delay_alu instid0(VALU_DEP_1) | instskip(SKIP_1) | instid1(VALU_DEP_2)
	v_bfe_u32 v3, v1, 16, 1
	v_cmp_o_f32_e32 vcc_lo, v1, v1
	v_add3_u32 v3, v1, v3, 0x7fff
	s_delay_alu instid0(VALU_DEP_1) | instskip(NEXT) | instid1(VALU_DEP_1)
	v_lshrrev_b32_e32 v3, 16, v3
	v_cndmask_b32_e32 v10, 0x7fc0, v3, vcc_lo
	s_branch .LBB166_2281
.LBB166_2277:
                                        ; implicit-def: $vgpr10
	s_branch .LBB166_2299
.LBB166_2278:
	s_mov_b32 s20, -1
                                        ; implicit-def: $vgpr10
	s_branch .LBB166_2287
.LBB166_2279:
	s_mov_b32 s20, -1
                                        ; implicit-def: $vgpr10
	s_branch .LBB166_2284
.LBB166_2280:
	s_mov_b32 s20, -1
                                        ; implicit-def: $vgpr10
.LBB166_2281:
	s_delay_alu instid0(SALU_CYCLE_1)
	s_and_not1_b32 vcc_lo, exec_lo, s20
	s_cbranch_vccnz .LBB166_2283
; %bb.2282:
	global_load_b32 v1, v[4:5], off
	s_wait_loadcnt 0x0
	v_bfe_u32 v3, v1, 16, 1
	v_cmp_o_f32_e32 vcc_lo, v1, v1
	s_delay_alu instid0(VALU_DEP_2) | instskip(NEXT) | instid1(VALU_DEP_1)
	v_add3_u32 v3, v1, v3, 0x7fff
	v_lshrrev_b32_e32 v3, 16, v3
	s_delay_alu instid0(VALU_DEP_1)
	v_cndmask_b32_e32 v10, 0x7fc0, v3, vcc_lo
.LBB166_2283:
	s_mov_b32 s20, 0
.LBB166_2284:
	s_delay_alu instid0(SALU_CYCLE_1)
	s_and_not1_b32 vcc_lo, exec_lo, s20
	s_cbranch_vccnz .LBB166_2286
; %bb.2285:
	global_load_b32 v1, v[4:5], off
	s_wait_loadcnt 0x0
	v_cvt_f32_f16_e32 v3, v1
	v_cmp_o_f16_e32 vcc_lo, v1, v1
	s_delay_alu instid0(VALU_DEP_2) | instskip(NEXT) | instid1(VALU_DEP_1)
	v_bfe_u32 v6, v3, 16, 1
	v_add3_u32 v3, v3, v6, 0x7fff
	s_delay_alu instid0(VALU_DEP_1) | instskip(NEXT) | instid1(VALU_DEP_1)
	v_lshrrev_b32_e32 v3, 16, v3
	v_cndmask_b32_e32 v10, 0x7fc0, v3, vcc_lo
.LBB166_2286:
	s_mov_b32 s20, 0
.LBB166_2287:
	s_delay_alu instid0(SALU_CYCLE_1)
	s_and_not1_b32 vcc_lo, exec_lo, s20
	s_cbranch_vccnz .LBB166_2298
; %bb.2288:
	s_cmp_lt_i32 s0, 6
	s_cbranch_scc1 .LBB166_2291
; %bb.2289:
	s_cmp_gt_i32 s0, 6
	s_cbranch_scc0 .LBB166_2292
; %bb.2290:
	global_load_b64 v[6:7], v[4:5], off
	s_mov_b32 s20, 0
	s_wait_loadcnt 0x0
	v_cvt_f32_f64_e32 v1, v[6:7]
	s_delay_alu instid0(VALU_DEP_1) | instskip(SKIP_1) | instid1(VALU_DEP_2)
	v_bfe_u32 v3, v1, 16, 1
	v_cmp_o_f32_e32 vcc_lo, v1, v1
	v_add3_u32 v3, v1, v3, 0x7fff
	s_delay_alu instid0(VALU_DEP_1) | instskip(NEXT) | instid1(VALU_DEP_1)
	v_lshrrev_b32_e32 v3, 16, v3
	v_cndmask_b32_e32 v10, 0x7fc0, v3, vcc_lo
	s_branch .LBB166_2293
.LBB166_2291:
	s_mov_b32 s20, -1
                                        ; implicit-def: $vgpr10
	s_branch .LBB166_2296
.LBB166_2292:
	s_mov_b32 s20, -1
                                        ; implicit-def: $vgpr10
.LBB166_2293:
	s_delay_alu instid0(SALU_CYCLE_1)
	s_and_not1_b32 vcc_lo, exec_lo, s20
	s_cbranch_vccnz .LBB166_2295
; %bb.2294:
	global_load_b32 v1, v[4:5], off
	s_wait_loadcnt 0x0
	v_bfe_u32 v3, v1, 16, 1
	v_cmp_o_f32_e32 vcc_lo, v1, v1
	s_delay_alu instid0(VALU_DEP_2) | instskip(NEXT) | instid1(VALU_DEP_1)
	v_add3_u32 v3, v1, v3, 0x7fff
	v_lshrrev_b32_e32 v3, 16, v3
	s_delay_alu instid0(VALU_DEP_1)
	v_cndmask_b32_e32 v10, 0x7fc0, v3, vcc_lo
.LBB166_2295:
	s_mov_b32 s20, 0
.LBB166_2296:
	s_delay_alu instid0(SALU_CYCLE_1)
	s_and_not1_b32 vcc_lo, exec_lo, s20
	s_cbranch_vccnz .LBB166_2298
; %bb.2297:
	global_load_u16 v1, v[4:5], off
	s_wait_loadcnt 0x0
	v_cvt_f32_f16_e32 v3, v1
	v_cmp_o_f16_e32 vcc_lo, v1, v1
	s_delay_alu instid0(VALU_DEP_2) | instskip(NEXT) | instid1(VALU_DEP_1)
	v_bfe_u32 v6, v3, 16, 1
	v_add3_u32 v3, v3, v6, 0x7fff
	s_delay_alu instid0(VALU_DEP_1) | instskip(NEXT) | instid1(VALU_DEP_1)
	v_lshrrev_b32_e32 v3, 16, v3
	v_cndmask_b32_e32 v10, 0x7fc0, v3, vcc_lo
.LBB166_2298:
	s_cbranch_execnz .LBB166_2318
.LBB166_2299:
	s_cmp_lt_i32 s0, 2
	s_cbranch_scc1 .LBB166_2303
; %bb.2300:
	s_cmp_lt_i32 s0, 3
	s_cbranch_scc1 .LBB166_2304
; %bb.2301:
	s_cmp_gt_i32 s0, 3
	s_cbranch_scc0 .LBB166_2305
; %bb.2302:
	global_load_b64 v[6:7], v[4:5], off
	s_mov_b32 s20, 0
	s_wait_loadcnt 0x0
	v_xor_b32_e32 v1, v6, v7
	v_cls_i32_e32 v3, v7
	s_delay_alu instid0(VALU_DEP_2) | instskip(NEXT) | instid1(VALU_DEP_1)
	v_ashrrev_i32_e32 v1, 31, v1
	v_add_nc_u32_e32 v1, 32, v1
	s_delay_alu instid0(VALU_DEP_1) | instskip(NEXT) | instid1(VALU_DEP_1)
	v_add_min_u32_e64 v1, v3, -1, v1
	v_lshlrev_b64_e32 v[6:7], v1, v[6:7]
	v_sub_nc_u32_e32 v1, 32, v1
	s_delay_alu instid0(VALU_DEP_2) | instskip(NEXT) | instid1(VALU_DEP_1)
	v_min_u32_e32 v3, 1, v6
	v_or_b32_e32 v3, v7, v3
	s_delay_alu instid0(VALU_DEP_1) | instskip(NEXT) | instid1(VALU_DEP_1)
	v_cvt_f32_i32_e32 v3, v3
	v_ldexp_f32 v1, v3, v1
	s_delay_alu instid0(VALU_DEP_1) | instskip(NEXT) | instid1(VALU_DEP_1)
	v_bfe_u32 v3, v1, 16, 1
	v_add3_u32 v1, v1, v3, 0x7fff
	s_delay_alu instid0(VALU_DEP_1)
	v_lshrrev_b32_e32 v10, 16, v1
	s_branch .LBB166_2306
.LBB166_2303:
	s_mov_b32 s20, -1
                                        ; implicit-def: $vgpr10
	s_branch .LBB166_2312
.LBB166_2304:
	s_mov_b32 s20, -1
                                        ; implicit-def: $vgpr10
	s_branch .LBB166_2309
.LBB166_2305:
	s_mov_b32 s20, -1
                                        ; implicit-def: $vgpr10
.LBB166_2306:
	s_delay_alu instid0(SALU_CYCLE_1)
	s_and_not1_b32 vcc_lo, exec_lo, s20
	s_cbranch_vccnz .LBB166_2308
; %bb.2307:
	global_load_b32 v1, v[4:5], off
	s_wait_loadcnt 0x0
	v_cvt_f32_i32_e32 v1, v1
	s_delay_alu instid0(VALU_DEP_1) | instskip(NEXT) | instid1(VALU_DEP_1)
	v_bfe_u32 v3, v1, 16, 1
	v_add3_u32 v1, v1, v3, 0x7fff
	s_delay_alu instid0(VALU_DEP_1)
	v_lshrrev_b32_e32 v10, 16, v1
.LBB166_2308:
	s_mov_b32 s20, 0
.LBB166_2309:
	s_delay_alu instid0(SALU_CYCLE_1)
	s_and_not1_b32 vcc_lo, exec_lo, s20
	s_cbranch_vccnz .LBB166_2311
; %bb.2310:
	global_load_i16 v1, v[4:5], off
	s_wait_loadcnt 0x0
	v_cvt_f32_i32_e32 v1, v1
	s_delay_alu instid0(VALU_DEP_1) | instskip(NEXT) | instid1(VALU_DEP_1)
	v_bfe_u32 v3, v1, 16, 1
	v_add3_u32 v1, v1, v3, 0x7fff
	s_delay_alu instid0(VALU_DEP_1)
	v_lshrrev_b32_e32 v10, 16, v1
.LBB166_2311:
	s_mov_b32 s20, 0
.LBB166_2312:
	s_delay_alu instid0(SALU_CYCLE_1)
	s_and_not1_b32 vcc_lo, exec_lo, s20
	s_cbranch_vccnz .LBB166_2318
; %bb.2313:
	s_cmp_gt_i32 s0, 0
	s_mov_b32 s0, 0
	s_cbranch_scc0 .LBB166_2315
; %bb.2314:
	global_load_i8 v1, v[4:5], off
	s_wait_loadcnt 0x0
	v_cvt_f32_i32_e32 v1, v1
	s_delay_alu instid0(VALU_DEP_1) | instskip(NEXT) | instid1(VALU_DEP_1)
	v_bfe_u32 v3, v1, 16, 1
	v_add3_u32 v1, v1, v3, 0x7fff
	s_delay_alu instid0(VALU_DEP_1)
	v_lshrrev_b32_e32 v10, 16, v1
	s_branch .LBB166_2316
.LBB166_2315:
	s_mov_b32 s0, -1
                                        ; implicit-def: $vgpr10
.LBB166_2316:
	s_delay_alu instid0(SALU_CYCLE_1)
	s_and_not1_b32 vcc_lo, exec_lo, s0
	s_cbranch_vccnz .LBB166_2318
; %bb.2317:
	global_load_u8 v1, v[4:5], off
	s_wait_loadcnt 0x0
	v_cvt_f32_ubyte0_e32 v1, v1
	s_delay_alu instid0(VALU_DEP_1) | instskip(NEXT) | instid1(VALU_DEP_1)
	v_bfe_u32 v3, v1, 16, 1
	v_add3_u32 v1, v1, v3, 0x7fff
	s_delay_alu instid0(VALU_DEP_1)
	v_lshrrev_b32_e32 v10, 16, v1
.LBB166_2318:
.LBB166_2319:
	s_wait_xcnt 0x0
	v_mul_lo_u32 v4, s15, v8
	s_and_b32 s0, 0xffff, s1
	s_delay_alu instid0(SALU_CYCLE_1) | instskip(NEXT) | instid1(VALU_DEP_1)
	s_cmp_lt_i32 s0, 11
	v_ashrrev_i32_e32 v5, 31, v4
	s_delay_alu instid0(VALU_DEP_1)
	v_add_nc_u64_e32 v[6:7], s[10:11], v[4:5]
	s_cbranch_scc1 .LBB166_2326
; %bb.2320:
	s_cmp_gt_i32 s0, 25
	s_mov_b32 s20, 0
	s_cbranch_scc0 .LBB166_2328
; %bb.2321:
	s_cmp_gt_i32 s0, 28
	s_cbranch_scc0 .LBB166_2329
; %bb.2322:
	s_cmp_gt_i32 s0, 43
	;; [unrolled: 3-line block ×3, first 2 shown]
	s_cbranch_scc0 .LBB166_2332
; %bb.2324:
	s_cmp_eq_u32 s0, 46
	s_mov_b32 s22, 0
	s_cbranch_scc0 .LBB166_2333
; %bb.2325:
	global_load_b32 v11, v[6:7], off
	s_mov_b32 s1, 0
	s_mov_b32 s21, -1
	s_branch .LBB166_2335
.LBB166_2326:
	s_mov_b32 s21, 0
                                        ; implicit-def: $vgpr11
	s_cbranch_execnz .LBB166_2401
.LBB166_2327:
	s_and_not1_b32 vcc_lo, exec_lo, s21
	s_cbranch_vccnz .LBB166_4065
	s_branch .LBB166_2449
.LBB166_2328:
	s_mov_b32 s22, -1
	s_mov_b32 s21, 0
	s_mov_b32 s1, 0
                                        ; implicit-def: $vgpr11
	s_branch .LBB166_2364
.LBB166_2329:
	s_mov_b32 s22, -1
	s_mov_b32 s21, 0
	s_mov_b32 s1, 0
                                        ; implicit-def: $vgpr11
	s_branch .LBB166_2345
.LBB166_2330:
	s_mov_b32 s22, -1
	s_mov_b32 s21, 0
	s_mov_b32 s1, 0
                                        ; implicit-def: $vgpr11
	s_branch .LBB166_2340
.LBB166_2331:
	s_or_b32 s16, s16, exec_lo
	s_trap 2
	s_cbranch_execz .LBB166_2270
	s_branch .LBB166_2271
.LBB166_2332:
	s_mov_b32 s22, -1
	s_mov_b32 s21, 0
	s_mov_b32 s1, 0
	s_branch .LBB166_2334
.LBB166_2333:
	s_mov_b32 s1, -1
	s_mov_b32 s21, 0
.LBB166_2334:
                                        ; implicit-def: $vgpr11
.LBB166_2335:
	s_and_b32 vcc_lo, exec_lo, s22
	s_cbranch_vccz .LBB166_2339
; %bb.2336:
	s_cmp_eq_u32 s0, 44
	s_cbranch_scc0 .LBB166_2338
; %bb.2337:
	global_load_u8 v1, v[6:7], off
	s_mov_b32 s1, 0
	s_mov_b32 s21, -1
	s_wait_loadcnt 0x0
	v_lshlrev_b32_e32 v3, 23, v1
	v_cmp_ne_u32_e32 vcc_lo, 0xff, v1
	s_delay_alu instid0(VALU_DEP_2) | instskip(SKIP_1) | instid1(VALU_DEP_2)
	v_cndmask_b32_e32 v3, 0x7f800001, v3, vcc_lo
	v_cmp_ne_u32_e32 vcc_lo, 0, v1
	v_cndmask_b32_e32 v1, 0x400000, v3, vcc_lo
	s_delay_alu instid0(VALU_DEP_1) | instskip(SKIP_1) | instid1(VALU_DEP_2)
	v_add_nc_u32_e32 v3, 0x7fff, v1
	v_cmp_o_f32_e32 vcc_lo, v1, v1
	v_lshrrev_b32_e32 v3, 16, v3
	s_delay_alu instid0(VALU_DEP_1)
	v_cndmask_b32_e32 v11, 0x7fc0, v3, vcc_lo
	s_branch .LBB166_2339
.LBB166_2338:
	s_mov_b32 s1, -1
                                        ; implicit-def: $vgpr11
.LBB166_2339:
	s_mov_b32 s22, 0
.LBB166_2340:
	s_delay_alu instid0(SALU_CYCLE_1)
	s_and_b32 vcc_lo, exec_lo, s22
	s_cbranch_vccz .LBB166_2344
; %bb.2341:
	s_cmp_eq_u32 s0, 29
	s_cbranch_scc0 .LBB166_2343
; %bb.2342:
	global_load_b64 v[12:13], v[6:7], off
	s_mov_b32 s1, 0
	s_mov_b32 s21, -1
	s_mov_b32 s22, 0
	s_wait_loadcnt 0x0
	v_clz_i32_u32_e32 v1, v13
	s_delay_alu instid0(VALU_DEP_1) | instskip(NEXT) | instid1(VALU_DEP_1)
	v_min_u32_e32 v1, 32, v1
	v_lshlrev_b64_e32 v[12:13], v1, v[12:13]
	v_sub_nc_u32_e32 v1, 32, v1
	s_delay_alu instid0(VALU_DEP_2) | instskip(NEXT) | instid1(VALU_DEP_1)
	v_min_u32_e32 v3, 1, v12
	v_or_b32_e32 v3, v13, v3
	s_delay_alu instid0(VALU_DEP_1) | instskip(NEXT) | instid1(VALU_DEP_1)
	v_cvt_f32_u32_e32 v3, v3
	v_ldexp_f32 v1, v3, v1
	s_delay_alu instid0(VALU_DEP_1) | instskip(NEXT) | instid1(VALU_DEP_1)
	v_bfe_u32 v3, v1, 16, 1
	v_add3_u32 v1, v1, v3, 0x7fff
	s_delay_alu instid0(VALU_DEP_1)
	v_lshrrev_b32_e32 v11, 16, v1
	s_branch .LBB166_2345
.LBB166_2343:
	s_mov_b32 s1, -1
                                        ; implicit-def: $vgpr11
.LBB166_2344:
	s_mov_b32 s22, 0
.LBB166_2345:
	s_delay_alu instid0(SALU_CYCLE_1)
	s_and_b32 vcc_lo, exec_lo, s22
	s_cbranch_vccz .LBB166_2363
; %bb.2346:
	s_cmp_lt_i32 s0, 27
	s_cbranch_scc1 .LBB166_2349
; %bb.2347:
	s_cmp_gt_i32 s0, 27
	s_cbranch_scc0 .LBB166_2350
; %bb.2348:
	global_load_b32 v1, v[6:7], off
	s_mov_b32 s21, 0
	s_wait_loadcnt 0x0
	v_cvt_f32_u32_e32 v1, v1
	s_delay_alu instid0(VALU_DEP_1) | instskip(NEXT) | instid1(VALU_DEP_1)
	v_bfe_u32 v3, v1, 16, 1
	v_add3_u32 v1, v1, v3, 0x7fff
	s_delay_alu instid0(VALU_DEP_1)
	v_lshrrev_b32_e32 v11, 16, v1
	s_branch .LBB166_2351
.LBB166_2349:
	s_mov_b32 s21, -1
                                        ; implicit-def: $vgpr11
	s_branch .LBB166_2354
.LBB166_2350:
	s_mov_b32 s21, -1
                                        ; implicit-def: $vgpr11
.LBB166_2351:
	s_delay_alu instid0(SALU_CYCLE_1)
	s_and_not1_b32 vcc_lo, exec_lo, s21
	s_cbranch_vccnz .LBB166_2353
; %bb.2352:
	global_load_u16 v1, v[6:7], off
	s_wait_loadcnt 0x0
	v_cvt_f32_u32_e32 v1, v1
	s_delay_alu instid0(VALU_DEP_1) | instskip(NEXT) | instid1(VALU_DEP_1)
	v_bfe_u32 v3, v1, 16, 1
	v_add3_u32 v1, v1, v3, 0x7fff
	s_delay_alu instid0(VALU_DEP_1)
	v_lshrrev_b32_e32 v11, 16, v1
.LBB166_2353:
	s_mov_b32 s21, 0
.LBB166_2354:
	s_delay_alu instid0(SALU_CYCLE_1)
	s_and_not1_b32 vcc_lo, exec_lo, s21
	s_cbranch_vccnz .LBB166_2362
; %bb.2355:
	global_load_u8 v1, v[6:7], off
	s_mov_b32 s21, 0
	s_mov_b32 s22, exec_lo
	s_wait_loadcnt 0x0
	v_cmpx_lt_i16_e32 0x7f, v1
	s_xor_b32 s22, exec_lo, s22
	s_cbranch_execz .LBB166_2376
; %bb.2356:
	s_mov_b32 s21, -1
	s_mov_b32 s23, exec_lo
	v_cmpx_eq_u16_e32 0x80, v1
; %bb.2357:
	s_xor_b32 s21, exec_lo, -1
; %bb.2358:
	s_or_b32 exec_lo, exec_lo, s23
	s_delay_alu instid0(SALU_CYCLE_1)
	s_and_b32 s21, s21, exec_lo
	s_or_saveexec_b32 s22, s22
	v_mov_b32_e32 v3, 0x7f800001
	s_xor_b32 exec_lo, exec_lo, s22
	s_cbranch_execnz .LBB166_2377
.LBB166_2359:
	s_or_b32 exec_lo, exec_lo, s22
	s_and_saveexec_b32 s22, s21
	s_cbranch_execz .LBB166_2361
.LBB166_2360:
	v_and_b32_e32 v3, 0xffff, v1
	s_delay_alu instid0(VALU_DEP_1) | instskip(SKIP_1) | instid1(VALU_DEP_2)
	v_dual_lshlrev_b32 v1, 24, v1 :: v_dual_bitop2_b32 v5, 7, v3 bitop3:0x40
	v_bfe_u32 v13, v3, 3, 4
	v_and_b32_e32 v1, 0x80000000, v1
	s_delay_alu instid0(VALU_DEP_3) | instskip(NEXT) | instid1(VALU_DEP_3)
	v_clz_i32_u32_e32 v11, v5
	v_cmp_eq_u32_e32 vcc_lo, 0, v13
	s_delay_alu instid0(VALU_DEP_2) | instskip(NEXT) | instid1(VALU_DEP_1)
	v_min_u32_e32 v11, 32, v11
	v_subrev_nc_u32_e32 v12, 28, v11
	v_sub_nc_u32_e32 v11, 29, v11
	s_delay_alu instid0(VALU_DEP_2) | instskip(NEXT) | instid1(VALU_DEP_2)
	v_lshlrev_b32_e32 v3, v12, v3
	v_cndmask_b32_e32 v11, v13, v11, vcc_lo
	s_delay_alu instid0(VALU_DEP_2) | instskip(NEXT) | instid1(VALU_DEP_1)
	v_and_b32_e32 v3, 7, v3
	v_cndmask_b32_e32 v3, v5, v3, vcc_lo
	s_delay_alu instid0(VALU_DEP_3) | instskip(NEXT) | instid1(VALU_DEP_2)
	v_lshl_add_u32 v5, v11, 23, 0x3b800000
	v_lshlrev_b32_e32 v3, 20, v3
	s_delay_alu instid0(VALU_DEP_1)
	v_or3_b32 v3, v1, v5, v3
.LBB166_2361:
	s_or_b32 exec_lo, exec_lo, s22
	s_delay_alu instid0(VALU_DEP_1) | instskip(SKIP_1) | instid1(VALU_DEP_2)
	v_bfe_u32 v1, v3, 16, 1
	v_cmp_o_f32_e32 vcc_lo, v3, v3
	v_add3_u32 v1, v3, v1, 0x7fff
	s_delay_alu instid0(VALU_DEP_1) | instskip(NEXT) | instid1(VALU_DEP_1)
	v_lshrrev_b32_e32 v1, 16, v1
	v_cndmask_b32_e32 v11, 0x7fc0, v1, vcc_lo
.LBB166_2362:
	s_mov_b32 s21, -1
.LBB166_2363:
	s_mov_b32 s22, 0
.LBB166_2364:
	s_delay_alu instid0(SALU_CYCLE_1)
	s_and_b32 vcc_lo, exec_lo, s22
	s_cbranch_vccz .LBB166_2397
; %bb.2365:
	s_cmp_gt_i32 s0, 22
	s_cbranch_scc0 .LBB166_2375
; %bb.2366:
	s_cmp_lt_i32 s0, 24
	s_cbranch_scc1 .LBB166_2378
; %bb.2367:
	s_cmp_gt_i32 s0, 24
	s_cbranch_scc0 .LBB166_2379
; %bb.2368:
	global_load_u8 v1, v[6:7], off
	s_mov_b32 s21, exec_lo
	s_wait_loadcnt 0x0
	v_cmpx_lt_i16_e32 0x7f, v1
	s_xor_b32 s21, exec_lo, s21
	s_cbranch_execz .LBB166_2391
; %bb.2369:
	s_mov_b32 s20, -1
	s_mov_b32 s22, exec_lo
	v_cmpx_eq_u16_e32 0x80, v1
; %bb.2370:
	s_xor_b32 s20, exec_lo, -1
; %bb.2371:
	s_or_b32 exec_lo, exec_lo, s22
	s_delay_alu instid0(SALU_CYCLE_1)
	s_and_b32 s20, s20, exec_lo
	s_or_saveexec_b32 s21, s21
	v_mov_b32_e32 v3, 0x7f800001
	s_xor_b32 exec_lo, exec_lo, s21
	s_cbranch_execnz .LBB166_2392
.LBB166_2372:
	s_or_b32 exec_lo, exec_lo, s21
	s_and_saveexec_b32 s21, s20
	s_cbranch_execz .LBB166_2374
.LBB166_2373:
	v_and_b32_e32 v3, 0xffff, v1
	s_delay_alu instid0(VALU_DEP_1) | instskip(SKIP_1) | instid1(VALU_DEP_2)
	v_dual_lshlrev_b32 v1, 24, v1 :: v_dual_bitop2_b32 v5, 3, v3 bitop3:0x40
	v_bfe_u32 v13, v3, 2, 5
	v_and_b32_e32 v1, 0x80000000, v1
	s_delay_alu instid0(VALU_DEP_3) | instskip(NEXT) | instid1(VALU_DEP_3)
	v_clz_i32_u32_e32 v11, v5
	v_cmp_eq_u32_e32 vcc_lo, 0, v13
	s_delay_alu instid0(VALU_DEP_2) | instskip(NEXT) | instid1(VALU_DEP_1)
	v_min_u32_e32 v11, 32, v11
	v_subrev_nc_u32_e32 v12, 29, v11
	v_sub_nc_u32_e32 v11, 30, v11
	s_delay_alu instid0(VALU_DEP_2) | instskip(NEXT) | instid1(VALU_DEP_2)
	v_lshlrev_b32_e32 v3, v12, v3
	v_cndmask_b32_e32 v11, v13, v11, vcc_lo
	s_delay_alu instid0(VALU_DEP_2) | instskip(NEXT) | instid1(VALU_DEP_1)
	v_and_b32_e32 v3, 3, v3
	v_cndmask_b32_e32 v3, v5, v3, vcc_lo
	s_delay_alu instid0(VALU_DEP_3) | instskip(NEXT) | instid1(VALU_DEP_2)
	v_lshl_add_u32 v5, v11, 23, 0x37800000
	v_lshlrev_b32_e32 v3, 21, v3
	s_delay_alu instid0(VALU_DEP_1)
	v_or3_b32 v3, v1, v5, v3
.LBB166_2374:
	s_or_b32 exec_lo, exec_lo, s21
	s_delay_alu instid0(VALU_DEP_1) | instskip(SKIP_2) | instid1(VALU_DEP_2)
	v_bfe_u32 v1, v3, 16, 1
	v_cmp_o_f32_e32 vcc_lo, v3, v3
	s_mov_b32 s20, 0
	v_add3_u32 v1, v3, v1, 0x7fff
	s_delay_alu instid0(VALU_DEP_1) | instskip(NEXT) | instid1(VALU_DEP_1)
	v_lshrrev_b32_e32 v1, 16, v1
	v_cndmask_b32_e32 v11, 0x7fc0, v1, vcc_lo
	s_branch .LBB166_2380
.LBB166_2375:
	s_mov_b32 s20, -1
                                        ; implicit-def: $vgpr11
	s_branch .LBB166_2386
.LBB166_2376:
	s_or_saveexec_b32 s22, s22
	v_mov_b32_e32 v3, 0x7f800001
	s_xor_b32 exec_lo, exec_lo, s22
	s_cbranch_execz .LBB166_2359
.LBB166_2377:
	v_cmp_ne_u16_e32 vcc_lo, 0, v1
	v_mov_b32_e32 v3, 0
	s_and_not1_b32 s21, s21, exec_lo
	s_and_b32 s23, vcc_lo, exec_lo
	s_delay_alu instid0(SALU_CYCLE_1)
	s_or_b32 s21, s21, s23
	s_or_b32 exec_lo, exec_lo, s22
	s_and_saveexec_b32 s22, s21
	s_cbranch_execnz .LBB166_2360
	s_branch .LBB166_2361
.LBB166_2378:
	s_mov_b32 s20, -1
                                        ; implicit-def: $vgpr11
	s_branch .LBB166_2383
.LBB166_2379:
	s_mov_b32 s20, -1
                                        ; implicit-def: $vgpr11
.LBB166_2380:
	s_delay_alu instid0(SALU_CYCLE_1)
	s_and_b32 vcc_lo, exec_lo, s20
	s_cbranch_vccz .LBB166_2382
; %bb.2381:
	global_load_u8 v1, v[6:7], off
	s_wait_loadcnt 0x0
	v_lshlrev_b32_e32 v1, 24, v1
	s_delay_alu instid0(VALU_DEP_1) | instskip(NEXT) | instid1(VALU_DEP_1)
	v_and_b32_e32 v3, 0x7f000000, v1
	v_clz_i32_u32_e32 v5, v3
	v_cmp_ne_u32_e32 vcc_lo, 0, v3
	v_add_nc_u32_e32 v12, 0x1000000, v3
	s_delay_alu instid0(VALU_DEP_3) | instskip(NEXT) | instid1(VALU_DEP_1)
	v_min_u32_e32 v5, 32, v5
	v_sub_nc_u32_e64 v5, v5, 4 clamp
	s_delay_alu instid0(VALU_DEP_1) | instskip(NEXT) | instid1(VALU_DEP_1)
	v_dual_lshlrev_b32 v11, v5, v3 :: v_dual_lshlrev_b32 v5, 23, v5
	v_lshrrev_b32_e32 v11, 4, v11
	s_delay_alu instid0(VALU_DEP_1) | instskip(NEXT) | instid1(VALU_DEP_1)
	v_dual_sub_nc_u32 v5, v11, v5 :: v_dual_ashrrev_i32 v11, 8, v12
	v_add_nc_u32_e32 v5, 0x3c000000, v5
	s_delay_alu instid0(VALU_DEP_1) | instskip(NEXT) | instid1(VALU_DEP_1)
	v_and_or_b32 v5, 0x7f800000, v11, v5
	v_cndmask_b32_e32 v3, 0, v5, vcc_lo
	s_delay_alu instid0(VALU_DEP_1) | instskip(SKIP_1) | instid1(VALU_DEP_2)
	v_and_or_b32 v1, 0x80000000, v1, v3
	v_bfe_u32 v3, v3, 16, 1
	v_cmp_o_f32_e32 vcc_lo, v1, v1
	s_delay_alu instid0(VALU_DEP_2) | instskip(NEXT) | instid1(VALU_DEP_1)
	v_add3_u32 v3, v1, v3, 0x7fff
	v_lshrrev_b32_e32 v3, 16, v3
	s_delay_alu instid0(VALU_DEP_1)
	v_cndmask_b32_e32 v11, 0x7fc0, v3, vcc_lo
.LBB166_2382:
	s_mov_b32 s20, 0
.LBB166_2383:
	s_delay_alu instid0(SALU_CYCLE_1)
	s_and_not1_b32 vcc_lo, exec_lo, s20
	s_cbranch_vccnz .LBB166_2385
; %bb.2384:
	global_load_u8 v1, v[6:7], off
	s_wait_loadcnt 0x0
	v_lshlrev_b32_e32 v3, 25, v1
	v_lshlrev_b16 v1, 8, v1
	s_delay_alu instid0(VALU_DEP_1) | instskip(SKIP_1) | instid1(VALU_DEP_2)
	v_and_or_b32 v11, 0x7f00, v1, 0.5
	v_bfe_i32 v1, v1, 0, 16
	v_add_f32_e32 v11, -0.5, v11
	v_lshrrev_b32_e32 v5, 4, v3
	v_cmp_gt_u32_e32 vcc_lo, 0x8000000, v3
	s_delay_alu instid0(VALU_DEP_2) | instskip(NEXT) | instid1(VALU_DEP_1)
	v_or_b32_e32 v5, 0x70000000, v5
	v_mul_f32_e32 v5, 0x7800000, v5
	s_delay_alu instid0(VALU_DEP_1) | instskip(NEXT) | instid1(VALU_DEP_1)
	v_cndmask_b32_e32 v3, v5, v11, vcc_lo
	v_and_or_b32 v1, 0x80000000, v1, v3
	v_bfe_u32 v3, v3, 16, 1
	s_delay_alu instid0(VALU_DEP_2) | instskip(NEXT) | instid1(VALU_DEP_2)
	v_cmp_o_f32_e32 vcc_lo, v1, v1
	v_add3_u32 v3, v1, v3, 0x7fff
	s_delay_alu instid0(VALU_DEP_1) | instskip(NEXT) | instid1(VALU_DEP_1)
	v_lshrrev_b32_e32 v3, 16, v3
	v_cndmask_b32_e32 v11, 0x7fc0, v3, vcc_lo
.LBB166_2385:
	s_mov_b32 s20, 0
	s_mov_b32 s21, -1
.LBB166_2386:
	s_and_not1_b32 vcc_lo, exec_lo, s20
	s_mov_b32 s20, 0
	s_cbranch_vccnz .LBB166_2397
; %bb.2387:
	s_cmp_gt_i32 s0, 14
	s_cbranch_scc0 .LBB166_2390
; %bb.2388:
	s_cmp_eq_u32 s0, 15
	s_cbranch_scc0 .LBB166_2393
; %bb.2389:
	s_wait_loadcnt 0x0
	global_load_u16 v11, v[6:7], off
	s_mov_b32 s1, 0
	s_mov_b32 s21, -1
	s_branch .LBB166_2395
.LBB166_2390:
	s_mov_b32 s20, -1
	s_branch .LBB166_2394
.LBB166_2391:
	s_or_saveexec_b32 s21, s21
	v_mov_b32_e32 v3, 0x7f800001
	s_xor_b32 exec_lo, exec_lo, s21
	s_cbranch_execz .LBB166_2372
.LBB166_2392:
	v_cmp_ne_u16_e32 vcc_lo, 0, v1
	v_mov_b32_e32 v3, 0
	s_and_not1_b32 s20, s20, exec_lo
	s_and_b32 s22, vcc_lo, exec_lo
	s_delay_alu instid0(SALU_CYCLE_1)
	s_or_b32 s20, s20, s22
	s_or_b32 exec_lo, exec_lo, s21
	s_and_saveexec_b32 s21, s20
	s_cbranch_execnz .LBB166_2373
	s_branch .LBB166_2374
.LBB166_2393:
	s_mov_b32 s1, -1
.LBB166_2394:
                                        ; implicit-def: $vgpr11
.LBB166_2395:
	s_and_b32 vcc_lo, exec_lo, s20
	s_mov_b32 s20, 0
	s_cbranch_vccz .LBB166_2397
; %bb.2396:
	s_cmp_lg_u32 s0, 11
	s_mov_b32 s20, -1
	s_cselect_b32 s1, -1, 0
.LBB166_2397:
	s_delay_alu instid0(SALU_CYCLE_1)
	s_and_b32 vcc_lo, exec_lo, s1
	s_cbranch_vccnz .LBB166_2460
; %bb.2398:
	s_and_not1_b32 vcc_lo, exec_lo, s20
	s_cbranch_vccnz .LBB166_2400
.LBB166_2399:
	global_load_u8 v1, v[6:7], off
	s_mov_b32 s21, -1
	s_wait_loadcnt 0x0
	v_cmp_ne_u16_e32 vcc_lo, 0, v1
	v_cndmask_b32_e64 v1, 0, 1.0, vcc_lo
	s_delay_alu instid0(VALU_DEP_1)
	v_lshrrev_b32_e32 v11, 16, v1
.LBB166_2400:
	s_branch .LBB166_2327
.LBB166_2401:
	s_cmp_lt_i32 s0, 5
	s_cbranch_scc1 .LBB166_2406
; %bb.2402:
	s_cmp_lt_i32 s0, 8
	s_cbranch_scc1 .LBB166_2407
; %bb.2403:
	;; [unrolled: 3-line block ×3, first 2 shown]
	s_cmp_gt_i32 s0, 9
	s_cbranch_scc0 .LBB166_2409
; %bb.2405:
	global_load_b64 v[12:13], v[6:7], off
	s_mov_b32 s1, 0
	s_wait_loadcnt 0x0
	v_cvt_f32_f64_e32 v1, v[12:13]
	s_delay_alu instid0(VALU_DEP_1) | instskip(SKIP_1) | instid1(VALU_DEP_2)
	v_bfe_u32 v3, v1, 16, 1
	v_cmp_o_f32_e32 vcc_lo, v1, v1
	v_add3_u32 v3, v1, v3, 0x7fff
	s_delay_alu instid0(VALU_DEP_1) | instskip(NEXT) | instid1(VALU_DEP_1)
	v_lshrrev_b32_e32 v3, 16, v3
	v_cndmask_b32_e32 v11, 0x7fc0, v3, vcc_lo
	s_branch .LBB166_2410
.LBB166_2406:
	s_mov_b32 s1, -1
                                        ; implicit-def: $vgpr11
	s_branch .LBB166_2428
.LBB166_2407:
	s_mov_b32 s1, -1
                                        ; implicit-def: $vgpr11
	s_branch .LBB166_2416
.LBB166_2408:
	s_mov_b32 s1, -1
                                        ; implicit-def: $vgpr11
	s_branch .LBB166_2413
.LBB166_2409:
	s_mov_b32 s1, -1
                                        ; implicit-def: $vgpr11
.LBB166_2410:
	s_delay_alu instid0(SALU_CYCLE_1)
	s_and_not1_b32 vcc_lo, exec_lo, s1
	s_cbranch_vccnz .LBB166_2412
; %bb.2411:
	global_load_b32 v1, v[6:7], off
	s_wait_loadcnt 0x0
	v_bfe_u32 v3, v1, 16, 1
	v_cmp_o_f32_e32 vcc_lo, v1, v1
	s_delay_alu instid0(VALU_DEP_2) | instskip(NEXT) | instid1(VALU_DEP_1)
	v_add3_u32 v3, v1, v3, 0x7fff
	v_lshrrev_b32_e32 v3, 16, v3
	s_delay_alu instid0(VALU_DEP_1)
	v_cndmask_b32_e32 v11, 0x7fc0, v3, vcc_lo
.LBB166_2412:
	s_mov_b32 s1, 0
.LBB166_2413:
	s_delay_alu instid0(SALU_CYCLE_1)
	s_and_not1_b32 vcc_lo, exec_lo, s1
	s_cbranch_vccnz .LBB166_2415
; %bb.2414:
	global_load_b32 v1, v[6:7], off
	s_wait_loadcnt 0x0
	v_cvt_f32_f16_e32 v3, v1
	v_cmp_o_f16_e32 vcc_lo, v1, v1
	s_delay_alu instid0(VALU_DEP_2) | instskip(NEXT) | instid1(VALU_DEP_1)
	v_bfe_u32 v5, v3, 16, 1
	v_add3_u32 v3, v3, v5, 0x7fff
	s_delay_alu instid0(VALU_DEP_1) | instskip(NEXT) | instid1(VALU_DEP_1)
	v_lshrrev_b32_e32 v3, 16, v3
	v_cndmask_b32_e32 v11, 0x7fc0, v3, vcc_lo
.LBB166_2415:
	s_mov_b32 s1, 0
.LBB166_2416:
	s_delay_alu instid0(SALU_CYCLE_1)
	s_and_not1_b32 vcc_lo, exec_lo, s1
	s_cbranch_vccnz .LBB166_2427
; %bb.2417:
	s_cmp_lt_i32 s0, 6
	s_cbranch_scc1 .LBB166_2420
; %bb.2418:
	s_cmp_gt_i32 s0, 6
	s_cbranch_scc0 .LBB166_2421
; %bb.2419:
	global_load_b64 v[12:13], v[6:7], off
	s_mov_b32 s1, 0
	s_wait_loadcnt 0x0
	v_cvt_f32_f64_e32 v1, v[12:13]
	s_delay_alu instid0(VALU_DEP_1) | instskip(SKIP_1) | instid1(VALU_DEP_2)
	v_bfe_u32 v3, v1, 16, 1
	v_cmp_o_f32_e32 vcc_lo, v1, v1
	v_add3_u32 v3, v1, v3, 0x7fff
	s_delay_alu instid0(VALU_DEP_1) | instskip(NEXT) | instid1(VALU_DEP_1)
	v_lshrrev_b32_e32 v3, 16, v3
	v_cndmask_b32_e32 v11, 0x7fc0, v3, vcc_lo
	s_branch .LBB166_2422
.LBB166_2420:
	s_mov_b32 s1, -1
                                        ; implicit-def: $vgpr11
	s_branch .LBB166_2425
.LBB166_2421:
	s_mov_b32 s1, -1
                                        ; implicit-def: $vgpr11
.LBB166_2422:
	s_delay_alu instid0(SALU_CYCLE_1)
	s_and_not1_b32 vcc_lo, exec_lo, s1
	s_cbranch_vccnz .LBB166_2424
; %bb.2423:
	global_load_b32 v1, v[6:7], off
	s_wait_loadcnt 0x0
	v_bfe_u32 v3, v1, 16, 1
	v_cmp_o_f32_e32 vcc_lo, v1, v1
	s_delay_alu instid0(VALU_DEP_2) | instskip(NEXT) | instid1(VALU_DEP_1)
	v_add3_u32 v3, v1, v3, 0x7fff
	v_lshrrev_b32_e32 v3, 16, v3
	s_delay_alu instid0(VALU_DEP_1)
	v_cndmask_b32_e32 v11, 0x7fc0, v3, vcc_lo
.LBB166_2424:
	s_mov_b32 s1, 0
.LBB166_2425:
	s_delay_alu instid0(SALU_CYCLE_1)
	s_and_not1_b32 vcc_lo, exec_lo, s1
	s_cbranch_vccnz .LBB166_2427
; %bb.2426:
	global_load_u16 v1, v[6:7], off
	s_wait_loadcnt 0x0
	v_cvt_f32_f16_e32 v3, v1
	v_cmp_o_f16_e32 vcc_lo, v1, v1
	s_delay_alu instid0(VALU_DEP_2) | instskip(NEXT) | instid1(VALU_DEP_1)
	v_bfe_u32 v5, v3, 16, 1
	v_add3_u32 v3, v3, v5, 0x7fff
	s_delay_alu instid0(VALU_DEP_1) | instskip(NEXT) | instid1(VALU_DEP_1)
	v_lshrrev_b32_e32 v3, 16, v3
	v_cndmask_b32_e32 v11, 0x7fc0, v3, vcc_lo
.LBB166_2427:
	s_mov_b32 s1, 0
.LBB166_2428:
	s_delay_alu instid0(SALU_CYCLE_1)
	s_and_not1_b32 vcc_lo, exec_lo, s1
	s_cbranch_vccnz .LBB166_2448
; %bb.2429:
	s_cmp_lt_i32 s0, 2
	s_cbranch_scc1 .LBB166_2433
; %bb.2430:
	s_cmp_lt_i32 s0, 3
	s_cbranch_scc1 .LBB166_2434
; %bb.2431:
	s_cmp_gt_i32 s0, 3
	s_cbranch_scc0 .LBB166_2435
; %bb.2432:
	global_load_b64 v[12:13], v[6:7], off
	s_mov_b32 s1, 0
	s_wait_loadcnt 0x0
	v_xor_b32_e32 v1, v12, v13
	v_cls_i32_e32 v3, v13
	s_delay_alu instid0(VALU_DEP_2) | instskip(NEXT) | instid1(VALU_DEP_1)
	v_ashrrev_i32_e32 v1, 31, v1
	v_add_nc_u32_e32 v1, 32, v1
	s_delay_alu instid0(VALU_DEP_1) | instskip(NEXT) | instid1(VALU_DEP_1)
	v_add_min_u32_e64 v1, v3, -1, v1
	v_lshlrev_b64_e32 v[12:13], v1, v[12:13]
	v_sub_nc_u32_e32 v1, 32, v1
	s_delay_alu instid0(VALU_DEP_2) | instskip(NEXT) | instid1(VALU_DEP_1)
	v_min_u32_e32 v3, 1, v12
	v_or_b32_e32 v3, v13, v3
	s_delay_alu instid0(VALU_DEP_1) | instskip(NEXT) | instid1(VALU_DEP_1)
	v_cvt_f32_i32_e32 v3, v3
	v_ldexp_f32 v1, v3, v1
	s_delay_alu instid0(VALU_DEP_1) | instskip(NEXT) | instid1(VALU_DEP_1)
	v_bfe_u32 v3, v1, 16, 1
	v_add3_u32 v1, v1, v3, 0x7fff
	s_delay_alu instid0(VALU_DEP_1)
	v_lshrrev_b32_e32 v11, 16, v1
	s_branch .LBB166_2436
.LBB166_2433:
	s_mov_b32 s1, -1
                                        ; implicit-def: $vgpr11
	s_branch .LBB166_2442
.LBB166_2434:
	s_mov_b32 s1, -1
                                        ; implicit-def: $vgpr11
	s_branch .LBB166_2439
.LBB166_2435:
	s_mov_b32 s1, -1
                                        ; implicit-def: $vgpr11
.LBB166_2436:
	s_delay_alu instid0(SALU_CYCLE_1)
	s_and_not1_b32 vcc_lo, exec_lo, s1
	s_cbranch_vccnz .LBB166_2438
; %bb.2437:
	global_load_b32 v1, v[6:7], off
	s_wait_loadcnt 0x0
	v_cvt_f32_i32_e32 v1, v1
	s_delay_alu instid0(VALU_DEP_1) | instskip(NEXT) | instid1(VALU_DEP_1)
	v_bfe_u32 v3, v1, 16, 1
	v_add3_u32 v1, v1, v3, 0x7fff
	s_delay_alu instid0(VALU_DEP_1)
	v_lshrrev_b32_e32 v11, 16, v1
.LBB166_2438:
	s_mov_b32 s1, 0
.LBB166_2439:
	s_delay_alu instid0(SALU_CYCLE_1)
	s_and_not1_b32 vcc_lo, exec_lo, s1
	s_cbranch_vccnz .LBB166_2441
; %bb.2440:
	global_load_i16 v1, v[6:7], off
	s_wait_loadcnt 0x0
	v_cvt_f32_i32_e32 v1, v1
	s_delay_alu instid0(VALU_DEP_1) | instskip(NEXT) | instid1(VALU_DEP_1)
	v_bfe_u32 v3, v1, 16, 1
	v_add3_u32 v1, v1, v3, 0x7fff
	s_delay_alu instid0(VALU_DEP_1)
	v_lshrrev_b32_e32 v11, 16, v1
.LBB166_2441:
	s_mov_b32 s1, 0
.LBB166_2442:
	s_delay_alu instid0(SALU_CYCLE_1)
	s_and_not1_b32 vcc_lo, exec_lo, s1
	s_cbranch_vccnz .LBB166_2448
; %bb.2443:
	s_cmp_gt_i32 s0, 0
	s_mov_b32 s1, 0
	s_cbranch_scc0 .LBB166_2445
; %bb.2444:
	global_load_i8 v1, v[6:7], off
	s_wait_loadcnt 0x0
	v_cvt_f32_i32_e32 v1, v1
	s_delay_alu instid0(VALU_DEP_1) | instskip(NEXT) | instid1(VALU_DEP_1)
	v_bfe_u32 v3, v1, 16, 1
	v_add3_u32 v1, v1, v3, 0x7fff
	s_delay_alu instid0(VALU_DEP_1)
	v_lshrrev_b32_e32 v11, 16, v1
	s_branch .LBB166_2446
.LBB166_2445:
	s_mov_b32 s1, -1
                                        ; implicit-def: $vgpr11
.LBB166_2446:
	s_delay_alu instid0(SALU_CYCLE_1)
	s_and_not1_b32 vcc_lo, exec_lo, s1
	s_cbranch_vccnz .LBB166_2448
; %bb.2447:
	global_load_u8 v1, v[6:7], off
	s_wait_loadcnt 0x0
	v_cvt_f32_ubyte0_e32 v1, v1
	s_delay_alu instid0(VALU_DEP_1) | instskip(NEXT) | instid1(VALU_DEP_1)
	v_bfe_u32 v3, v1, 16, 1
	v_add3_u32 v1, v1, v3, 0x7fff
	s_delay_alu instid0(VALU_DEP_1)
	v_lshrrev_b32_e32 v11, 16, v1
.LBB166_2448:
.LBB166_2449:
	s_lshl_b32 s1, s13, 7
	s_cmp_lt_i32 s17, 11
	v_add_nc_u32_e32 v0, s1, v0
	s_delay_alu instid0(VALU_DEP_1) | instskip(SKIP_1) | instid1(VALU_DEP_1)
	v_ashrrev_i32_e32 v1, 31, v0
	s_wait_xcnt 0x0
	v_add_nc_u64_e32 v[6:7], s[6:7], v[0:1]
	s_cbranch_scc1 .LBB166_2456
; %bb.2450:
	s_and_b32 s13, 0xffff, s17
	s_mov_b32 s21, 0
	s_cmp_gt_i32 s13, 25
	s_cbranch_scc0 .LBB166_2457
; %bb.2451:
	s_cmp_gt_i32 s13, 28
	s_cbranch_scc0 .LBB166_2458
; %bb.2452:
	;; [unrolled: 3-line block ×4, first 2 shown]
	s_cmp_eq_u32 s13, 46
	s_mov_b32 s23, 0
	s_cbranch_scc0 .LBB166_2462
; %bb.2455:
	global_load_b32 v12, v[6:7], off
	s_mov_b32 s20, 0
	s_mov_b32 s22, -1
	s_branch .LBB166_2464
.LBB166_2456:
	s_mov_b32 s13, -1
	s_mov_b32 s22, 0
                                        ; implicit-def: $vgpr12
	s_branch .LBB166_2530
.LBB166_2457:
	s_mov_b32 s23, -1
	s_mov_b32 s22, 0
	s_mov_b32 s20, 0
                                        ; implicit-def: $vgpr12
	s_branch .LBB166_2493
.LBB166_2458:
	s_mov_b32 s23, -1
	s_mov_b32 s22, 0
	s_mov_b32 s20, 0
                                        ; implicit-def: $vgpr12
	s_branch .LBB166_2474
.LBB166_2459:
	s_mov_b32 s23, -1
	s_mov_b32 s22, 0
	s_mov_b32 s20, 0
                                        ; implicit-def: $vgpr12
	s_branch .LBB166_2469
.LBB166_2460:
	s_or_b32 s16, s16, exec_lo
	s_trap 2
	s_cbranch_execz .LBB166_2399
	s_branch .LBB166_2400
.LBB166_2461:
	s_mov_b32 s23, -1
	s_mov_b32 s22, 0
	s_mov_b32 s20, 0
	s_branch .LBB166_2463
.LBB166_2462:
	s_mov_b32 s20, -1
	s_mov_b32 s22, 0
.LBB166_2463:
                                        ; implicit-def: $vgpr12
.LBB166_2464:
	s_and_b32 vcc_lo, exec_lo, s23
	s_cbranch_vccz .LBB166_2468
; %bb.2465:
	s_cmp_eq_u32 s13, 44
	s_cbranch_scc0 .LBB166_2467
; %bb.2466:
	global_load_u8 v1, v[6:7], off
	s_mov_b32 s20, 0
	s_mov_b32 s22, -1
	s_wait_loadcnt 0x0
	v_lshlrev_b32_e32 v3, 23, v1
	v_cmp_ne_u32_e32 vcc_lo, 0xff, v1
	s_delay_alu instid0(VALU_DEP_2) | instskip(SKIP_1) | instid1(VALU_DEP_2)
	v_cndmask_b32_e32 v3, 0x7f800001, v3, vcc_lo
	v_cmp_ne_u32_e32 vcc_lo, 0, v1
	v_cndmask_b32_e32 v1, 0x400000, v3, vcc_lo
	s_delay_alu instid0(VALU_DEP_1) | instskip(SKIP_1) | instid1(VALU_DEP_2)
	v_add_nc_u32_e32 v3, 0x7fff, v1
	v_cmp_o_f32_e32 vcc_lo, v1, v1
	v_lshrrev_b32_e32 v3, 16, v3
	s_delay_alu instid0(VALU_DEP_1)
	v_cndmask_b32_e32 v12, 0x7fc0, v3, vcc_lo
	s_branch .LBB166_2468
.LBB166_2467:
	s_mov_b32 s20, -1
                                        ; implicit-def: $vgpr12
.LBB166_2468:
	s_mov_b32 s23, 0
.LBB166_2469:
	s_delay_alu instid0(SALU_CYCLE_1)
	s_and_b32 vcc_lo, exec_lo, s23
	s_cbranch_vccz .LBB166_2473
; %bb.2470:
	s_cmp_eq_u32 s13, 29
	s_cbranch_scc0 .LBB166_2472
; %bb.2471:
	s_wait_loadcnt 0x0
	global_load_b64 v[12:13], v[6:7], off
	s_mov_b32 s20, 0
	s_mov_b32 s22, -1
	s_mov_b32 s23, 0
	s_wait_loadcnt 0x0
	v_clz_i32_u32_e32 v1, v13
	s_delay_alu instid0(VALU_DEP_1) | instskip(NEXT) | instid1(VALU_DEP_1)
	v_min_u32_e32 v1, 32, v1
	v_lshlrev_b64_e32 v[12:13], v1, v[12:13]
	v_sub_nc_u32_e32 v1, 32, v1
	s_delay_alu instid0(VALU_DEP_2) | instskip(NEXT) | instid1(VALU_DEP_1)
	v_min_u32_e32 v3, 1, v12
	v_or_b32_e32 v3, v13, v3
	s_delay_alu instid0(VALU_DEP_1) | instskip(NEXT) | instid1(VALU_DEP_1)
	v_cvt_f32_u32_e32 v3, v3
	v_ldexp_f32 v1, v3, v1
	s_delay_alu instid0(VALU_DEP_1) | instskip(NEXT) | instid1(VALU_DEP_1)
	v_bfe_u32 v3, v1, 16, 1
	v_add3_u32 v1, v1, v3, 0x7fff
	s_delay_alu instid0(VALU_DEP_1)
	v_lshrrev_b32_e32 v12, 16, v1
	s_branch .LBB166_2474
.LBB166_2472:
	s_mov_b32 s20, -1
                                        ; implicit-def: $vgpr12
.LBB166_2473:
	s_mov_b32 s23, 0
.LBB166_2474:
	s_delay_alu instid0(SALU_CYCLE_1)
	s_and_b32 vcc_lo, exec_lo, s23
	s_cbranch_vccz .LBB166_2492
; %bb.2475:
	s_cmp_lt_i32 s13, 27
	s_cbranch_scc1 .LBB166_2478
; %bb.2476:
	s_cmp_gt_i32 s13, 27
	s_cbranch_scc0 .LBB166_2479
; %bb.2477:
	global_load_b32 v1, v[6:7], off
	s_mov_b32 s22, 0
	s_wait_loadcnt 0x0
	v_cvt_f32_u32_e32 v1, v1
	s_delay_alu instid0(VALU_DEP_1) | instskip(NEXT) | instid1(VALU_DEP_1)
	v_bfe_u32 v3, v1, 16, 1
	v_add3_u32 v1, v1, v3, 0x7fff
	s_delay_alu instid0(VALU_DEP_1)
	v_lshrrev_b32_e32 v12, 16, v1
	s_branch .LBB166_2480
.LBB166_2478:
	s_mov_b32 s22, -1
                                        ; implicit-def: $vgpr12
	s_branch .LBB166_2483
.LBB166_2479:
	s_mov_b32 s22, -1
                                        ; implicit-def: $vgpr12
.LBB166_2480:
	s_delay_alu instid0(SALU_CYCLE_1)
	s_and_not1_b32 vcc_lo, exec_lo, s22
	s_cbranch_vccnz .LBB166_2482
; %bb.2481:
	global_load_u16 v1, v[6:7], off
	s_wait_loadcnt 0x0
	v_cvt_f32_u32_e32 v1, v1
	s_delay_alu instid0(VALU_DEP_1) | instskip(NEXT) | instid1(VALU_DEP_1)
	v_bfe_u32 v3, v1, 16, 1
	v_add3_u32 v1, v1, v3, 0x7fff
	s_delay_alu instid0(VALU_DEP_1)
	v_lshrrev_b32_e32 v12, 16, v1
.LBB166_2482:
	s_mov_b32 s22, 0
.LBB166_2483:
	s_delay_alu instid0(SALU_CYCLE_1)
	s_and_not1_b32 vcc_lo, exec_lo, s22
	s_cbranch_vccnz .LBB166_2491
; %bb.2484:
	global_load_u8 v1, v[6:7], off
	s_mov_b32 s22, 0
	s_mov_b32 s23, exec_lo
	s_wait_loadcnt 0x0
	v_cmpx_lt_i16_e32 0x7f, v1
	s_xor_b32 s23, exec_lo, s23
	s_cbranch_execz .LBB166_2505
; %bb.2485:
	s_mov_b32 s22, -1
	s_mov_b32 s24, exec_lo
	v_cmpx_eq_u16_e32 0x80, v1
; %bb.2486:
	s_xor_b32 s22, exec_lo, -1
; %bb.2487:
	s_or_b32 exec_lo, exec_lo, s24
	s_delay_alu instid0(SALU_CYCLE_1)
	s_and_b32 s22, s22, exec_lo
	s_or_saveexec_b32 s23, s23
	v_mov_b32_e32 v3, 0x7f800001
	s_xor_b32 exec_lo, exec_lo, s23
	s_cbranch_execnz .LBB166_2506
.LBB166_2488:
	s_or_b32 exec_lo, exec_lo, s23
	s_and_saveexec_b32 s23, s22
	s_cbranch_execz .LBB166_2490
.LBB166_2489:
	v_and_b32_e32 v3, 0xffff, v1
	s_delay_alu instid0(VALU_DEP_1) | instskip(SKIP_1) | instid1(VALU_DEP_2)
	v_and_b32_e32 v5, 7, v3
	v_bfe_u32 v14, v3, 3, 4
	v_clz_i32_u32_e32 v12, v5
	s_delay_alu instid0(VALU_DEP_2) | instskip(NEXT) | instid1(VALU_DEP_2)
	v_cmp_eq_u32_e32 vcc_lo, 0, v14
	v_min_u32_e32 v12, 32, v12
	s_delay_alu instid0(VALU_DEP_1) | instskip(NEXT) | instid1(VALU_DEP_1)
	v_subrev_nc_u32_e32 v13, 28, v12
	v_dual_lshlrev_b32 v3, v13, v3 :: v_dual_sub_nc_u32 v12, 29, v12
	s_delay_alu instid0(VALU_DEP_1) | instskip(NEXT) | instid1(VALU_DEP_1)
	v_dual_lshlrev_b32 v1, 24, v1 :: v_dual_bitop2_b32 v3, 7, v3 bitop3:0x40
	v_dual_cndmask_b32 v12, v14, v12 :: v_dual_cndmask_b32 v3, v5, v3
	s_delay_alu instid0(VALU_DEP_2) | instskip(NEXT) | instid1(VALU_DEP_2)
	v_and_b32_e32 v1, 0x80000000, v1
	v_lshl_add_u32 v5, v12, 23, 0x3b800000
	s_delay_alu instid0(VALU_DEP_3) | instskip(NEXT) | instid1(VALU_DEP_1)
	v_lshlrev_b32_e32 v3, 20, v3
	v_or3_b32 v3, v1, v5, v3
.LBB166_2490:
	s_or_b32 exec_lo, exec_lo, s23
	s_delay_alu instid0(VALU_DEP_1) | instskip(SKIP_1) | instid1(VALU_DEP_2)
	v_bfe_u32 v1, v3, 16, 1
	v_cmp_o_f32_e32 vcc_lo, v3, v3
	v_add3_u32 v1, v3, v1, 0x7fff
	s_delay_alu instid0(VALU_DEP_1) | instskip(NEXT) | instid1(VALU_DEP_1)
	v_lshrrev_b32_e32 v1, 16, v1
	v_cndmask_b32_e32 v12, 0x7fc0, v1, vcc_lo
.LBB166_2491:
	s_mov_b32 s22, -1
.LBB166_2492:
	s_mov_b32 s23, 0
.LBB166_2493:
	s_delay_alu instid0(SALU_CYCLE_1)
	s_and_b32 vcc_lo, exec_lo, s23
	s_cbranch_vccz .LBB166_2526
; %bb.2494:
	s_cmp_gt_i32 s13, 22
	s_cbranch_scc0 .LBB166_2504
; %bb.2495:
	s_cmp_lt_i32 s13, 24
	s_cbranch_scc1 .LBB166_2507
; %bb.2496:
	s_cmp_gt_i32 s13, 24
	s_cbranch_scc0 .LBB166_2508
; %bb.2497:
	global_load_u8 v1, v[6:7], off
	s_mov_b32 s22, exec_lo
	s_wait_loadcnt 0x0
	v_cmpx_lt_i16_e32 0x7f, v1
	s_xor_b32 s22, exec_lo, s22
	s_cbranch_execz .LBB166_2520
; %bb.2498:
	s_mov_b32 s21, -1
	s_mov_b32 s23, exec_lo
	v_cmpx_eq_u16_e32 0x80, v1
; %bb.2499:
	s_xor_b32 s21, exec_lo, -1
; %bb.2500:
	s_or_b32 exec_lo, exec_lo, s23
	s_delay_alu instid0(SALU_CYCLE_1)
	s_and_b32 s21, s21, exec_lo
	s_or_saveexec_b32 s22, s22
	v_mov_b32_e32 v3, 0x7f800001
	s_xor_b32 exec_lo, exec_lo, s22
	s_cbranch_execnz .LBB166_2521
.LBB166_2501:
	s_or_b32 exec_lo, exec_lo, s22
	s_and_saveexec_b32 s22, s21
	s_cbranch_execz .LBB166_2503
.LBB166_2502:
	v_and_b32_e32 v3, 0xffff, v1
	s_delay_alu instid0(VALU_DEP_1) | instskip(SKIP_1) | instid1(VALU_DEP_2)
	v_and_b32_e32 v5, 3, v3
	v_bfe_u32 v14, v3, 2, 5
	v_clz_i32_u32_e32 v12, v5
	s_delay_alu instid0(VALU_DEP_2) | instskip(NEXT) | instid1(VALU_DEP_2)
	v_cmp_eq_u32_e32 vcc_lo, 0, v14
	v_min_u32_e32 v12, 32, v12
	s_delay_alu instid0(VALU_DEP_1) | instskip(NEXT) | instid1(VALU_DEP_1)
	v_subrev_nc_u32_e32 v13, 29, v12
	v_dual_lshlrev_b32 v3, v13, v3 :: v_dual_sub_nc_u32 v12, 30, v12
	s_delay_alu instid0(VALU_DEP_1) | instskip(NEXT) | instid1(VALU_DEP_1)
	v_dual_lshlrev_b32 v1, 24, v1 :: v_dual_bitop2_b32 v3, 3, v3 bitop3:0x40
	v_dual_cndmask_b32 v12, v14, v12 :: v_dual_cndmask_b32 v3, v5, v3
	s_delay_alu instid0(VALU_DEP_2) | instskip(NEXT) | instid1(VALU_DEP_2)
	v_and_b32_e32 v1, 0x80000000, v1
	v_lshl_add_u32 v5, v12, 23, 0x37800000
	s_delay_alu instid0(VALU_DEP_3) | instskip(NEXT) | instid1(VALU_DEP_1)
	v_lshlrev_b32_e32 v3, 21, v3
	v_or3_b32 v3, v1, v5, v3
.LBB166_2503:
	s_or_b32 exec_lo, exec_lo, s22
	s_delay_alu instid0(VALU_DEP_1) | instskip(SKIP_2) | instid1(VALU_DEP_2)
	v_bfe_u32 v1, v3, 16, 1
	v_cmp_o_f32_e32 vcc_lo, v3, v3
	s_mov_b32 s21, 0
	v_add3_u32 v1, v3, v1, 0x7fff
	s_delay_alu instid0(VALU_DEP_1) | instskip(NEXT) | instid1(VALU_DEP_1)
	v_lshrrev_b32_e32 v1, 16, v1
	v_cndmask_b32_e32 v12, 0x7fc0, v1, vcc_lo
	s_branch .LBB166_2509
.LBB166_2504:
	s_mov_b32 s21, -1
                                        ; implicit-def: $vgpr12
	s_branch .LBB166_2515
.LBB166_2505:
	s_or_saveexec_b32 s23, s23
	v_mov_b32_e32 v3, 0x7f800001
	s_xor_b32 exec_lo, exec_lo, s23
	s_cbranch_execz .LBB166_2488
.LBB166_2506:
	v_cmp_ne_u16_e32 vcc_lo, 0, v1
	v_mov_b32_e32 v3, 0
	s_and_not1_b32 s22, s22, exec_lo
	s_and_b32 s24, vcc_lo, exec_lo
	s_delay_alu instid0(SALU_CYCLE_1)
	s_or_b32 s22, s22, s24
	s_or_b32 exec_lo, exec_lo, s23
	s_and_saveexec_b32 s23, s22
	s_cbranch_execnz .LBB166_2489
	s_branch .LBB166_2490
.LBB166_2507:
	s_mov_b32 s21, -1
                                        ; implicit-def: $vgpr12
	s_branch .LBB166_2512
.LBB166_2508:
	s_mov_b32 s21, -1
                                        ; implicit-def: $vgpr12
.LBB166_2509:
	s_delay_alu instid0(SALU_CYCLE_1)
	s_and_b32 vcc_lo, exec_lo, s21
	s_cbranch_vccz .LBB166_2511
; %bb.2510:
	global_load_u8 v1, v[6:7], off
	s_wait_loadcnt 0x0
	v_lshlrev_b32_e32 v1, 24, v1
	s_delay_alu instid0(VALU_DEP_1) | instskip(NEXT) | instid1(VALU_DEP_1)
	v_and_b32_e32 v3, 0x7f000000, v1
	v_clz_i32_u32_e32 v5, v3
	v_add_nc_u32_e32 v13, 0x1000000, v3
	v_cmp_ne_u32_e32 vcc_lo, 0, v3
	s_delay_alu instid0(VALU_DEP_3) | instskip(NEXT) | instid1(VALU_DEP_1)
	v_min_u32_e32 v5, 32, v5
	v_sub_nc_u32_e64 v5, v5, 4 clamp
	s_delay_alu instid0(VALU_DEP_1) | instskip(NEXT) | instid1(VALU_DEP_1)
	v_dual_lshlrev_b32 v12, v5, v3 :: v_dual_lshlrev_b32 v5, 23, v5
	v_lshrrev_b32_e32 v12, 4, v12
	s_delay_alu instid0(VALU_DEP_1) | instskip(SKIP_1) | instid1(VALU_DEP_2)
	v_sub_nc_u32_e32 v5, v12, v5
	v_ashrrev_i32_e32 v12, 8, v13
	v_add_nc_u32_e32 v5, 0x3c000000, v5
	s_delay_alu instid0(VALU_DEP_1) | instskip(NEXT) | instid1(VALU_DEP_1)
	v_and_or_b32 v5, 0x7f800000, v12, v5
	v_cndmask_b32_e32 v3, 0, v5, vcc_lo
	s_delay_alu instid0(VALU_DEP_1) | instskip(SKIP_1) | instid1(VALU_DEP_2)
	v_and_or_b32 v1, 0x80000000, v1, v3
	v_bfe_u32 v3, v3, 16, 1
	v_cmp_o_f32_e32 vcc_lo, v1, v1
	s_delay_alu instid0(VALU_DEP_2) | instskip(NEXT) | instid1(VALU_DEP_1)
	v_add3_u32 v3, v1, v3, 0x7fff
	v_lshrrev_b32_e32 v3, 16, v3
	s_delay_alu instid0(VALU_DEP_1)
	v_cndmask_b32_e32 v12, 0x7fc0, v3, vcc_lo
.LBB166_2511:
	s_mov_b32 s21, 0
.LBB166_2512:
	s_delay_alu instid0(SALU_CYCLE_1)
	s_and_not1_b32 vcc_lo, exec_lo, s21
	s_cbranch_vccnz .LBB166_2514
; %bb.2513:
	global_load_u8 v1, v[6:7], off
	s_wait_loadcnt 0x0
	v_lshlrev_b32_e32 v3, 25, v1
	v_lshlrev_b16 v1, 8, v1
	s_delay_alu instid0(VALU_DEP_1) | instskip(SKIP_1) | instid1(VALU_DEP_2)
	v_and_or_b32 v12, 0x7f00, v1, 0.5
	v_bfe_i32 v1, v1, 0, 16
	v_dual_add_f32 v12, -0.5, v12 :: v_dual_lshrrev_b32 v5, 4, v3
	v_cmp_gt_u32_e32 vcc_lo, 0x8000000, v3
	s_delay_alu instid0(VALU_DEP_2) | instskip(NEXT) | instid1(VALU_DEP_1)
	v_or_b32_e32 v5, 0x70000000, v5
	v_mul_f32_e32 v5, 0x7800000, v5
	s_delay_alu instid0(VALU_DEP_1) | instskip(NEXT) | instid1(VALU_DEP_1)
	v_cndmask_b32_e32 v3, v5, v12, vcc_lo
	v_and_or_b32 v1, 0x80000000, v1, v3
	v_bfe_u32 v3, v3, 16, 1
	s_delay_alu instid0(VALU_DEP_2) | instskip(NEXT) | instid1(VALU_DEP_2)
	v_cmp_o_f32_e32 vcc_lo, v1, v1
	v_add3_u32 v3, v1, v3, 0x7fff
	s_delay_alu instid0(VALU_DEP_1) | instskip(NEXT) | instid1(VALU_DEP_1)
	v_lshrrev_b32_e32 v3, 16, v3
	v_cndmask_b32_e32 v12, 0x7fc0, v3, vcc_lo
.LBB166_2514:
	s_mov_b32 s21, 0
	s_mov_b32 s22, -1
.LBB166_2515:
	s_and_not1_b32 vcc_lo, exec_lo, s21
	s_mov_b32 s21, 0
	s_cbranch_vccnz .LBB166_2526
; %bb.2516:
	s_cmp_gt_i32 s13, 14
	s_cbranch_scc0 .LBB166_2519
; %bb.2517:
	s_cmp_eq_u32 s13, 15
	s_cbranch_scc0 .LBB166_2522
; %bb.2518:
	s_wait_loadcnt 0x0
	global_load_u16 v12, v[6:7], off
	s_mov_b32 s20, 0
	s_mov_b32 s22, -1
	s_branch .LBB166_2524
.LBB166_2519:
	s_mov_b32 s21, -1
	s_branch .LBB166_2523
.LBB166_2520:
	s_or_saveexec_b32 s22, s22
	v_mov_b32_e32 v3, 0x7f800001
	s_xor_b32 exec_lo, exec_lo, s22
	s_cbranch_execz .LBB166_2501
.LBB166_2521:
	v_cmp_ne_u16_e32 vcc_lo, 0, v1
	v_mov_b32_e32 v3, 0
	s_and_not1_b32 s21, s21, exec_lo
	s_and_b32 s23, vcc_lo, exec_lo
	s_delay_alu instid0(SALU_CYCLE_1)
	s_or_b32 s21, s21, s23
	s_or_b32 exec_lo, exec_lo, s22
	s_and_saveexec_b32 s22, s21
	s_cbranch_execnz .LBB166_2502
	s_branch .LBB166_2503
.LBB166_2522:
	s_mov_b32 s20, -1
.LBB166_2523:
                                        ; implicit-def: $vgpr12
.LBB166_2524:
	s_and_b32 vcc_lo, exec_lo, s21
	s_mov_b32 s21, 0
	s_cbranch_vccz .LBB166_2526
; %bb.2525:
	s_cmp_lg_u32 s13, 11
	s_mov_b32 s21, -1
	s_cselect_b32 s20, -1, 0
.LBB166_2526:
	s_delay_alu instid0(SALU_CYCLE_1)
	s_and_b32 vcc_lo, exec_lo, s20
	s_cbranch_vccnz .LBB166_2591
; %bb.2527:
	s_and_not1_b32 vcc_lo, exec_lo, s21
	s_cbranch_vccnz .LBB166_2529
.LBB166_2528:
	global_load_u8 v1, v[6:7], off
	s_mov_b32 s22, -1
	s_wait_loadcnt 0x0
	v_cmp_ne_u16_e32 vcc_lo, 0, v1
	v_cndmask_b32_e64 v1, 0, 1.0, vcc_lo
	s_delay_alu instid0(VALU_DEP_1)
	v_lshrrev_b32_e32 v12, 16, v1
.LBB166_2529:
	s_mov_b32 s13, 0
.LBB166_2530:
	s_delay_alu instid0(SALU_CYCLE_1)
	s_and_b32 vcc_lo, exec_lo, s13
	s_cbranch_vccz .LBB166_2579
; %bb.2531:
	s_and_b32 s13, 0xffff, s17
	s_delay_alu instid0(SALU_CYCLE_1)
	s_cmp_lt_i32 s13, 5
	s_cbranch_scc1 .LBB166_2536
; %bb.2532:
	s_cmp_lt_i32 s13, 8
	s_cbranch_scc1 .LBB166_2537
; %bb.2533:
	;; [unrolled: 3-line block ×3, first 2 shown]
	s_cmp_gt_i32 s13, 9
	s_cbranch_scc0 .LBB166_2539
; %bb.2535:
	s_wait_loadcnt 0x0
	global_load_b64 v[12:13], v[6:7], off
	s_mov_b32 s20, 0
	s_wait_loadcnt 0x0
	v_cvt_f32_f64_e32 v1, v[12:13]
	s_delay_alu instid0(VALU_DEP_1) | instskip(SKIP_1) | instid1(VALU_DEP_2)
	v_bfe_u32 v3, v1, 16, 1
	v_cmp_o_f32_e32 vcc_lo, v1, v1
	v_add3_u32 v3, v1, v3, 0x7fff
	s_delay_alu instid0(VALU_DEP_1) | instskip(NEXT) | instid1(VALU_DEP_1)
	v_lshrrev_b32_e32 v3, 16, v3
	v_cndmask_b32_e32 v12, 0x7fc0, v3, vcc_lo
	s_branch .LBB166_2540
.LBB166_2536:
	s_mov_b32 s20, -1
                                        ; implicit-def: $vgpr12
	s_branch .LBB166_2558
.LBB166_2537:
	s_mov_b32 s20, -1
                                        ; implicit-def: $vgpr12
	s_branch .LBB166_2546
.LBB166_2538:
	s_mov_b32 s20, -1
                                        ; implicit-def: $vgpr12
	s_branch .LBB166_2543
.LBB166_2539:
	s_mov_b32 s20, -1
                                        ; implicit-def: $vgpr12
.LBB166_2540:
	s_delay_alu instid0(SALU_CYCLE_1)
	s_and_not1_b32 vcc_lo, exec_lo, s20
	s_cbranch_vccnz .LBB166_2542
; %bb.2541:
	global_load_b32 v1, v[6:7], off
	s_wait_loadcnt 0x0
	v_bfe_u32 v3, v1, 16, 1
	v_cmp_o_f32_e32 vcc_lo, v1, v1
	s_delay_alu instid0(VALU_DEP_2) | instskip(NEXT) | instid1(VALU_DEP_1)
	v_add3_u32 v3, v1, v3, 0x7fff
	v_lshrrev_b32_e32 v3, 16, v3
	s_delay_alu instid0(VALU_DEP_1)
	v_cndmask_b32_e32 v12, 0x7fc0, v3, vcc_lo
.LBB166_2542:
	s_mov_b32 s20, 0
.LBB166_2543:
	s_delay_alu instid0(SALU_CYCLE_1)
	s_and_not1_b32 vcc_lo, exec_lo, s20
	s_cbranch_vccnz .LBB166_2545
; %bb.2544:
	global_load_b32 v1, v[6:7], off
	s_wait_loadcnt 0x0
	v_cvt_f32_f16_e32 v3, v1
	v_cmp_o_f16_e32 vcc_lo, v1, v1
	s_delay_alu instid0(VALU_DEP_2) | instskip(NEXT) | instid1(VALU_DEP_1)
	v_bfe_u32 v5, v3, 16, 1
	v_add3_u32 v3, v3, v5, 0x7fff
	s_delay_alu instid0(VALU_DEP_1) | instskip(NEXT) | instid1(VALU_DEP_1)
	v_lshrrev_b32_e32 v3, 16, v3
	v_cndmask_b32_e32 v12, 0x7fc0, v3, vcc_lo
.LBB166_2545:
	s_mov_b32 s20, 0
.LBB166_2546:
	s_delay_alu instid0(SALU_CYCLE_1)
	s_and_not1_b32 vcc_lo, exec_lo, s20
	s_cbranch_vccnz .LBB166_2557
; %bb.2547:
	s_cmp_lt_i32 s13, 6
	s_cbranch_scc1 .LBB166_2550
; %bb.2548:
	s_cmp_gt_i32 s13, 6
	s_cbranch_scc0 .LBB166_2551
; %bb.2549:
	s_wait_loadcnt 0x0
	global_load_b64 v[12:13], v[6:7], off
	s_mov_b32 s20, 0
	s_wait_loadcnt 0x0
	v_cvt_f32_f64_e32 v1, v[12:13]
	s_delay_alu instid0(VALU_DEP_1) | instskip(SKIP_1) | instid1(VALU_DEP_2)
	v_bfe_u32 v3, v1, 16, 1
	v_cmp_o_f32_e32 vcc_lo, v1, v1
	v_add3_u32 v3, v1, v3, 0x7fff
	s_delay_alu instid0(VALU_DEP_1) | instskip(NEXT) | instid1(VALU_DEP_1)
	v_lshrrev_b32_e32 v3, 16, v3
	v_cndmask_b32_e32 v12, 0x7fc0, v3, vcc_lo
	s_branch .LBB166_2552
.LBB166_2550:
	s_mov_b32 s20, -1
                                        ; implicit-def: $vgpr12
	s_branch .LBB166_2555
.LBB166_2551:
	s_mov_b32 s20, -1
                                        ; implicit-def: $vgpr12
.LBB166_2552:
	s_delay_alu instid0(SALU_CYCLE_1)
	s_and_not1_b32 vcc_lo, exec_lo, s20
	s_cbranch_vccnz .LBB166_2554
; %bb.2553:
	global_load_b32 v1, v[6:7], off
	s_wait_loadcnt 0x0
	v_bfe_u32 v3, v1, 16, 1
	v_cmp_o_f32_e32 vcc_lo, v1, v1
	s_delay_alu instid0(VALU_DEP_2) | instskip(NEXT) | instid1(VALU_DEP_1)
	v_add3_u32 v3, v1, v3, 0x7fff
	v_lshrrev_b32_e32 v3, 16, v3
	s_delay_alu instid0(VALU_DEP_1)
	v_cndmask_b32_e32 v12, 0x7fc0, v3, vcc_lo
.LBB166_2554:
	s_mov_b32 s20, 0
.LBB166_2555:
	s_delay_alu instid0(SALU_CYCLE_1)
	s_and_not1_b32 vcc_lo, exec_lo, s20
	s_cbranch_vccnz .LBB166_2557
; %bb.2556:
	global_load_u16 v1, v[6:7], off
	s_wait_loadcnt 0x0
	v_cvt_f32_f16_e32 v3, v1
	v_cmp_o_f16_e32 vcc_lo, v1, v1
	s_delay_alu instid0(VALU_DEP_2) | instskip(NEXT) | instid1(VALU_DEP_1)
	v_bfe_u32 v5, v3, 16, 1
	v_add3_u32 v3, v3, v5, 0x7fff
	s_delay_alu instid0(VALU_DEP_1) | instskip(NEXT) | instid1(VALU_DEP_1)
	v_lshrrev_b32_e32 v3, 16, v3
	v_cndmask_b32_e32 v12, 0x7fc0, v3, vcc_lo
.LBB166_2557:
	s_mov_b32 s20, 0
.LBB166_2558:
	s_delay_alu instid0(SALU_CYCLE_1)
	s_and_not1_b32 vcc_lo, exec_lo, s20
	s_cbranch_vccnz .LBB166_2578
; %bb.2559:
	s_cmp_lt_i32 s13, 2
	s_cbranch_scc1 .LBB166_2563
; %bb.2560:
	s_cmp_lt_i32 s13, 3
	s_cbranch_scc1 .LBB166_2564
; %bb.2561:
	s_cmp_gt_i32 s13, 3
	s_cbranch_scc0 .LBB166_2565
; %bb.2562:
	s_wait_loadcnt 0x0
	global_load_b64 v[12:13], v[6:7], off
	s_mov_b32 s20, 0
	s_wait_loadcnt 0x0
	v_xor_b32_e32 v1, v12, v13
	v_cls_i32_e32 v3, v13
	s_delay_alu instid0(VALU_DEP_2) | instskip(NEXT) | instid1(VALU_DEP_1)
	v_ashrrev_i32_e32 v1, 31, v1
	v_add_nc_u32_e32 v1, 32, v1
	s_delay_alu instid0(VALU_DEP_1) | instskip(NEXT) | instid1(VALU_DEP_1)
	v_add_min_u32_e64 v1, v3, -1, v1
	v_lshlrev_b64_e32 v[12:13], v1, v[12:13]
	v_sub_nc_u32_e32 v1, 32, v1
	s_delay_alu instid0(VALU_DEP_2) | instskip(NEXT) | instid1(VALU_DEP_1)
	v_min_u32_e32 v3, 1, v12
	v_or_b32_e32 v3, v13, v3
	s_delay_alu instid0(VALU_DEP_1) | instskip(NEXT) | instid1(VALU_DEP_1)
	v_cvt_f32_i32_e32 v3, v3
	v_ldexp_f32 v1, v3, v1
	s_delay_alu instid0(VALU_DEP_1) | instskip(NEXT) | instid1(VALU_DEP_1)
	v_bfe_u32 v3, v1, 16, 1
	v_add3_u32 v1, v1, v3, 0x7fff
	s_delay_alu instid0(VALU_DEP_1)
	v_lshrrev_b32_e32 v12, 16, v1
	s_branch .LBB166_2566
.LBB166_2563:
	s_mov_b32 s20, -1
                                        ; implicit-def: $vgpr12
	s_branch .LBB166_2572
.LBB166_2564:
	s_mov_b32 s20, -1
                                        ; implicit-def: $vgpr12
	s_branch .LBB166_2569
.LBB166_2565:
	s_mov_b32 s20, -1
                                        ; implicit-def: $vgpr12
.LBB166_2566:
	s_delay_alu instid0(SALU_CYCLE_1)
	s_and_not1_b32 vcc_lo, exec_lo, s20
	s_cbranch_vccnz .LBB166_2568
; %bb.2567:
	global_load_b32 v1, v[6:7], off
	s_wait_loadcnt 0x0
	v_cvt_f32_i32_e32 v1, v1
	s_delay_alu instid0(VALU_DEP_1) | instskip(NEXT) | instid1(VALU_DEP_1)
	v_bfe_u32 v3, v1, 16, 1
	v_add3_u32 v1, v1, v3, 0x7fff
	s_delay_alu instid0(VALU_DEP_1)
	v_lshrrev_b32_e32 v12, 16, v1
.LBB166_2568:
	s_mov_b32 s20, 0
.LBB166_2569:
	s_delay_alu instid0(SALU_CYCLE_1)
	s_and_not1_b32 vcc_lo, exec_lo, s20
	s_cbranch_vccnz .LBB166_2571
; %bb.2570:
	global_load_i16 v1, v[6:7], off
	s_wait_loadcnt 0x0
	v_cvt_f32_i32_e32 v1, v1
	s_delay_alu instid0(VALU_DEP_1) | instskip(NEXT) | instid1(VALU_DEP_1)
	v_bfe_u32 v3, v1, 16, 1
	v_add3_u32 v1, v1, v3, 0x7fff
	s_delay_alu instid0(VALU_DEP_1)
	v_lshrrev_b32_e32 v12, 16, v1
.LBB166_2571:
	s_mov_b32 s20, 0
.LBB166_2572:
	s_delay_alu instid0(SALU_CYCLE_1)
	s_and_not1_b32 vcc_lo, exec_lo, s20
	s_cbranch_vccnz .LBB166_2578
; %bb.2573:
	s_cmp_gt_i32 s13, 0
	s_mov_b32 s13, 0
	s_cbranch_scc0 .LBB166_2575
; %bb.2574:
	global_load_i8 v1, v[6:7], off
	s_wait_loadcnt 0x0
	v_cvt_f32_i32_e32 v1, v1
	s_delay_alu instid0(VALU_DEP_1) | instskip(NEXT) | instid1(VALU_DEP_1)
	v_bfe_u32 v3, v1, 16, 1
	v_add3_u32 v1, v1, v3, 0x7fff
	s_delay_alu instid0(VALU_DEP_1)
	v_lshrrev_b32_e32 v12, 16, v1
	s_branch .LBB166_2576
.LBB166_2575:
	s_mov_b32 s13, -1
                                        ; implicit-def: $vgpr12
.LBB166_2576:
	s_delay_alu instid0(SALU_CYCLE_1)
	s_and_not1_b32 vcc_lo, exec_lo, s13
	s_cbranch_vccnz .LBB166_2578
; %bb.2577:
	global_load_u8 v1, v[6:7], off
	s_wait_loadcnt 0x0
	v_cvt_f32_ubyte0_e32 v1, v1
	s_delay_alu instid0(VALU_DEP_1) | instskip(NEXT) | instid1(VALU_DEP_1)
	v_bfe_u32 v3, v1, 16, 1
	v_add3_u32 v1, v1, v3, 0x7fff
	s_delay_alu instid0(VALU_DEP_1)
	v_lshrrev_b32_e32 v12, 16, v1
.LBB166_2578:
	s_mov_b32 s22, -1
.LBB166_2579:
	s_delay_alu instid0(SALU_CYCLE_1)
	s_and_not1_b32 vcc_lo, exec_lo, s22
	s_cbranch_vccnz .LBB166_4065
; %bb.2580:
	s_lshl_b32 s13, s14, 7
	s_cmp_lt_i32 s3, 11
	v_add_nc_u32_e32 v2, s13, v2
	s_delay_alu instid0(VALU_DEP_1) | instskip(SKIP_1) | instid1(VALU_DEP_1)
	v_ashrrev_i32_e32 v3, 31, v2
	s_wait_xcnt 0x0
	v_add_nc_u64_e32 v[6:7], s[8:9], v[2:3]
	s_cbranch_scc1 .LBB166_2587
; %bb.2581:
	s_and_b32 s14, 0xffff, s3
	s_mov_b32 s21, 0
	s_cmp_gt_i32 s14, 25
	s_cbranch_scc0 .LBB166_2588
; %bb.2582:
	s_cmp_gt_i32 s14, 28
	s_cbranch_scc0 .LBB166_2589
; %bb.2583:
	s_cmp_gt_i32 s14, 43
	s_cbranch_scc0 .LBB166_2590
; %bb.2584:
	s_cmp_gt_i32 s14, 45
	s_cbranch_scc0 .LBB166_2592
; %bb.2585:
	s_cmp_eq_u32 s14, 46
	s_mov_b32 s23, 0
	s_cbranch_scc0 .LBB166_2593
; %bb.2586:
	global_load_b32 v13, v[6:7], off
	s_mov_b32 s20, 0
	s_mov_b32 s22, -1
	s_branch .LBB166_2595
.LBB166_2587:
	s_mov_b32 s14, -1
	s_mov_b32 s22, 0
                                        ; implicit-def: $vgpr13
	s_branch .LBB166_2661
.LBB166_2588:
	s_mov_b32 s23, -1
	s_mov_b32 s22, 0
	s_mov_b32 s20, 0
                                        ; implicit-def: $vgpr13
	s_branch .LBB166_2624
.LBB166_2589:
	s_mov_b32 s23, -1
	s_mov_b32 s22, 0
	s_mov_b32 s20, 0
                                        ; implicit-def: $vgpr13
	s_branch .LBB166_2605
.LBB166_2590:
	s_mov_b32 s23, -1
	s_mov_b32 s22, 0
	s_mov_b32 s20, 0
                                        ; implicit-def: $vgpr13
	s_branch .LBB166_2600
.LBB166_2591:
	s_or_b32 s16, s16, exec_lo
	s_trap 2
	s_cbranch_execz .LBB166_2528
	s_branch .LBB166_2529
.LBB166_2592:
	s_mov_b32 s23, -1
	s_mov_b32 s22, 0
	s_mov_b32 s20, 0
	s_branch .LBB166_2594
.LBB166_2593:
	s_mov_b32 s20, -1
	s_mov_b32 s22, 0
.LBB166_2594:
                                        ; implicit-def: $vgpr13
.LBB166_2595:
	s_and_b32 vcc_lo, exec_lo, s23
	s_cbranch_vccz .LBB166_2599
; %bb.2596:
	s_cmp_eq_u32 s14, 44
	s_cbranch_scc0 .LBB166_2598
; %bb.2597:
	global_load_u8 v1, v[6:7], off
	s_mov_b32 s20, 0
	s_mov_b32 s22, -1
	s_wait_loadcnt 0x0
	v_lshlrev_b32_e32 v3, 23, v1
	v_cmp_ne_u32_e32 vcc_lo, 0xff, v1
	s_delay_alu instid0(VALU_DEP_2) | instskip(SKIP_1) | instid1(VALU_DEP_2)
	v_cndmask_b32_e32 v3, 0x7f800001, v3, vcc_lo
	v_cmp_ne_u32_e32 vcc_lo, 0, v1
	v_cndmask_b32_e32 v1, 0x400000, v3, vcc_lo
	s_delay_alu instid0(VALU_DEP_1) | instskip(SKIP_1) | instid1(VALU_DEP_2)
	v_add_nc_u32_e32 v3, 0x7fff, v1
	v_cmp_o_f32_e32 vcc_lo, v1, v1
	v_lshrrev_b32_e32 v3, 16, v3
	s_delay_alu instid0(VALU_DEP_1)
	v_cndmask_b32_e32 v13, 0x7fc0, v3, vcc_lo
	s_branch .LBB166_2599
.LBB166_2598:
	s_mov_b32 s20, -1
                                        ; implicit-def: $vgpr13
.LBB166_2599:
	s_mov_b32 s23, 0
.LBB166_2600:
	s_delay_alu instid0(SALU_CYCLE_1)
	s_and_b32 vcc_lo, exec_lo, s23
	s_cbranch_vccz .LBB166_2604
; %bb.2601:
	s_cmp_eq_u32 s14, 29
	s_cbranch_scc0 .LBB166_2603
; %bb.2602:
	global_load_b64 v[14:15], v[6:7], off
	s_mov_b32 s20, 0
	s_mov_b32 s22, -1
	s_mov_b32 s23, 0
	s_wait_loadcnt 0x0
	v_clz_i32_u32_e32 v1, v15
	s_delay_alu instid0(VALU_DEP_1) | instskip(NEXT) | instid1(VALU_DEP_1)
	v_min_u32_e32 v1, 32, v1
	v_lshlrev_b64_e32 v[14:15], v1, v[14:15]
	v_sub_nc_u32_e32 v1, 32, v1
	s_delay_alu instid0(VALU_DEP_2) | instskip(NEXT) | instid1(VALU_DEP_1)
	v_min_u32_e32 v3, 1, v14
	v_or_b32_e32 v3, v15, v3
	s_delay_alu instid0(VALU_DEP_1) | instskip(NEXT) | instid1(VALU_DEP_1)
	v_cvt_f32_u32_e32 v3, v3
	v_ldexp_f32 v1, v3, v1
	s_delay_alu instid0(VALU_DEP_1) | instskip(NEXT) | instid1(VALU_DEP_1)
	v_bfe_u32 v3, v1, 16, 1
	v_add3_u32 v1, v1, v3, 0x7fff
	s_delay_alu instid0(VALU_DEP_1)
	v_lshrrev_b32_e32 v13, 16, v1
	s_branch .LBB166_2605
.LBB166_2603:
	s_mov_b32 s20, -1
                                        ; implicit-def: $vgpr13
.LBB166_2604:
	s_mov_b32 s23, 0
.LBB166_2605:
	s_delay_alu instid0(SALU_CYCLE_1)
	s_and_b32 vcc_lo, exec_lo, s23
	s_cbranch_vccz .LBB166_2623
; %bb.2606:
	s_cmp_lt_i32 s14, 27
	s_cbranch_scc1 .LBB166_2609
; %bb.2607:
	s_cmp_gt_i32 s14, 27
	s_cbranch_scc0 .LBB166_2610
; %bb.2608:
	global_load_b32 v1, v[6:7], off
	s_mov_b32 s22, 0
	s_wait_loadcnt 0x0
	v_cvt_f32_u32_e32 v1, v1
	s_delay_alu instid0(VALU_DEP_1) | instskip(NEXT) | instid1(VALU_DEP_1)
	v_bfe_u32 v3, v1, 16, 1
	v_add3_u32 v1, v1, v3, 0x7fff
	s_delay_alu instid0(VALU_DEP_1)
	v_lshrrev_b32_e32 v13, 16, v1
	s_branch .LBB166_2611
.LBB166_2609:
	s_mov_b32 s22, -1
                                        ; implicit-def: $vgpr13
	s_branch .LBB166_2614
.LBB166_2610:
	s_mov_b32 s22, -1
                                        ; implicit-def: $vgpr13
.LBB166_2611:
	s_delay_alu instid0(SALU_CYCLE_1)
	s_and_not1_b32 vcc_lo, exec_lo, s22
	s_cbranch_vccnz .LBB166_2613
; %bb.2612:
	global_load_u16 v1, v[6:7], off
	s_wait_loadcnt 0x0
	v_cvt_f32_u32_e32 v1, v1
	s_delay_alu instid0(VALU_DEP_1) | instskip(NEXT) | instid1(VALU_DEP_1)
	v_bfe_u32 v3, v1, 16, 1
	v_add3_u32 v1, v1, v3, 0x7fff
	s_delay_alu instid0(VALU_DEP_1)
	v_lshrrev_b32_e32 v13, 16, v1
.LBB166_2613:
	s_mov_b32 s22, 0
.LBB166_2614:
	s_delay_alu instid0(SALU_CYCLE_1)
	s_and_not1_b32 vcc_lo, exec_lo, s22
	s_cbranch_vccnz .LBB166_2622
; %bb.2615:
	global_load_u8 v1, v[6:7], off
	s_mov_b32 s22, 0
	s_mov_b32 s23, exec_lo
	s_wait_loadcnt 0x0
	v_cmpx_lt_i16_e32 0x7f, v1
	s_xor_b32 s23, exec_lo, s23
	s_cbranch_execz .LBB166_2636
; %bb.2616:
	s_mov_b32 s22, -1
	s_mov_b32 s24, exec_lo
	v_cmpx_eq_u16_e32 0x80, v1
; %bb.2617:
	s_xor_b32 s22, exec_lo, -1
; %bb.2618:
	s_or_b32 exec_lo, exec_lo, s24
	s_delay_alu instid0(SALU_CYCLE_1)
	s_and_b32 s22, s22, exec_lo
	s_or_saveexec_b32 s23, s23
	v_mov_b32_e32 v3, 0x7f800001
	s_xor_b32 exec_lo, exec_lo, s23
	s_cbranch_execnz .LBB166_2637
.LBB166_2619:
	s_or_b32 exec_lo, exec_lo, s23
	s_and_saveexec_b32 s23, s22
	s_cbranch_execz .LBB166_2621
.LBB166_2620:
	v_and_b32_e32 v3, 0xffff, v1
	s_delay_alu instid0(VALU_DEP_1) | instskip(SKIP_1) | instid1(VALU_DEP_2)
	v_and_b32_e32 v5, 7, v3
	v_bfe_u32 v15, v3, 3, 4
	v_clz_i32_u32_e32 v13, v5
	s_delay_alu instid0(VALU_DEP_2) | instskip(NEXT) | instid1(VALU_DEP_2)
	v_cmp_eq_u32_e32 vcc_lo, 0, v15
	v_min_u32_e32 v13, 32, v13
	s_delay_alu instid0(VALU_DEP_1) | instskip(NEXT) | instid1(VALU_DEP_1)
	v_subrev_nc_u32_e32 v14, 28, v13
	v_dual_lshlrev_b32 v3, v14, v3 :: v_dual_sub_nc_u32 v13, 29, v13
	s_delay_alu instid0(VALU_DEP_1) | instskip(NEXT) | instid1(VALU_DEP_1)
	v_dual_lshlrev_b32 v1, 24, v1 :: v_dual_bitop2_b32 v3, 7, v3 bitop3:0x40
	v_dual_cndmask_b32 v3, v5, v3, vcc_lo :: v_dual_cndmask_b32 v13, v15, v13, vcc_lo
	s_delay_alu instid0(VALU_DEP_2) | instskip(NEXT) | instid1(VALU_DEP_2)
	v_and_b32_e32 v1, 0x80000000, v1
	v_lshlrev_b32_e32 v3, 20, v3
	s_delay_alu instid0(VALU_DEP_3) | instskip(NEXT) | instid1(VALU_DEP_1)
	v_lshl_add_u32 v5, v13, 23, 0x3b800000
	v_or3_b32 v3, v1, v5, v3
.LBB166_2621:
	s_or_b32 exec_lo, exec_lo, s23
	s_delay_alu instid0(VALU_DEP_1) | instskip(SKIP_1) | instid1(VALU_DEP_2)
	v_bfe_u32 v1, v3, 16, 1
	v_cmp_o_f32_e32 vcc_lo, v3, v3
	v_add3_u32 v1, v3, v1, 0x7fff
	s_delay_alu instid0(VALU_DEP_1) | instskip(NEXT) | instid1(VALU_DEP_1)
	v_lshrrev_b32_e32 v1, 16, v1
	v_cndmask_b32_e32 v13, 0x7fc0, v1, vcc_lo
.LBB166_2622:
	s_mov_b32 s22, -1
.LBB166_2623:
	s_mov_b32 s23, 0
.LBB166_2624:
	s_delay_alu instid0(SALU_CYCLE_1)
	s_and_b32 vcc_lo, exec_lo, s23
	s_cbranch_vccz .LBB166_2657
; %bb.2625:
	s_cmp_gt_i32 s14, 22
	s_cbranch_scc0 .LBB166_2635
; %bb.2626:
	s_cmp_lt_i32 s14, 24
	s_cbranch_scc1 .LBB166_2638
; %bb.2627:
	s_cmp_gt_i32 s14, 24
	s_cbranch_scc0 .LBB166_2639
; %bb.2628:
	global_load_u8 v1, v[6:7], off
	s_mov_b32 s22, exec_lo
	s_wait_loadcnt 0x0
	v_cmpx_lt_i16_e32 0x7f, v1
	s_xor_b32 s22, exec_lo, s22
	s_cbranch_execz .LBB166_2651
; %bb.2629:
	s_mov_b32 s21, -1
	s_mov_b32 s23, exec_lo
	v_cmpx_eq_u16_e32 0x80, v1
; %bb.2630:
	s_xor_b32 s21, exec_lo, -1
; %bb.2631:
	s_or_b32 exec_lo, exec_lo, s23
	s_delay_alu instid0(SALU_CYCLE_1)
	s_and_b32 s21, s21, exec_lo
	s_or_saveexec_b32 s22, s22
	v_mov_b32_e32 v3, 0x7f800001
	s_xor_b32 exec_lo, exec_lo, s22
	s_cbranch_execnz .LBB166_2652
.LBB166_2632:
	s_or_b32 exec_lo, exec_lo, s22
	s_and_saveexec_b32 s22, s21
	s_cbranch_execz .LBB166_2634
.LBB166_2633:
	v_and_b32_e32 v3, 0xffff, v1
	s_delay_alu instid0(VALU_DEP_1) | instskip(SKIP_1) | instid1(VALU_DEP_2)
	v_and_b32_e32 v5, 3, v3
	v_bfe_u32 v15, v3, 2, 5
	v_clz_i32_u32_e32 v13, v5
	s_delay_alu instid0(VALU_DEP_2) | instskip(NEXT) | instid1(VALU_DEP_2)
	v_cmp_eq_u32_e32 vcc_lo, 0, v15
	v_min_u32_e32 v13, 32, v13
	s_delay_alu instid0(VALU_DEP_1) | instskip(NEXT) | instid1(VALU_DEP_1)
	v_subrev_nc_u32_e32 v14, 29, v13
	v_dual_lshlrev_b32 v3, v14, v3 :: v_dual_sub_nc_u32 v13, 30, v13
	s_delay_alu instid0(VALU_DEP_1) | instskip(NEXT) | instid1(VALU_DEP_1)
	v_dual_lshlrev_b32 v1, 24, v1 :: v_dual_bitop2_b32 v3, 3, v3 bitop3:0x40
	v_dual_cndmask_b32 v3, v5, v3, vcc_lo :: v_dual_cndmask_b32 v13, v15, v13, vcc_lo
	s_delay_alu instid0(VALU_DEP_2) | instskip(NEXT) | instid1(VALU_DEP_2)
	v_and_b32_e32 v1, 0x80000000, v1
	v_lshlrev_b32_e32 v3, 21, v3
	s_delay_alu instid0(VALU_DEP_3) | instskip(NEXT) | instid1(VALU_DEP_1)
	v_lshl_add_u32 v5, v13, 23, 0x37800000
	v_or3_b32 v3, v1, v5, v3
.LBB166_2634:
	s_or_b32 exec_lo, exec_lo, s22
	s_delay_alu instid0(VALU_DEP_1) | instskip(SKIP_2) | instid1(VALU_DEP_2)
	v_bfe_u32 v1, v3, 16, 1
	v_cmp_o_f32_e32 vcc_lo, v3, v3
	s_mov_b32 s21, 0
	v_add3_u32 v1, v3, v1, 0x7fff
	s_delay_alu instid0(VALU_DEP_1) | instskip(NEXT) | instid1(VALU_DEP_1)
	v_lshrrev_b32_e32 v1, 16, v1
	v_cndmask_b32_e32 v13, 0x7fc0, v1, vcc_lo
	s_branch .LBB166_2640
.LBB166_2635:
	s_mov_b32 s21, -1
                                        ; implicit-def: $vgpr13
	s_branch .LBB166_2646
.LBB166_2636:
	s_or_saveexec_b32 s23, s23
	v_mov_b32_e32 v3, 0x7f800001
	s_xor_b32 exec_lo, exec_lo, s23
	s_cbranch_execz .LBB166_2619
.LBB166_2637:
	v_cmp_ne_u16_e32 vcc_lo, 0, v1
	v_mov_b32_e32 v3, 0
	s_and_not1_b32 s22, s22, exec_lo
	s_and_b32 s24, vcc_lo, exec_lo
	s_delay_alu instid0(SALU_CYCLE_1)
	s_or_b32 s22, s22, s24
	s_or_b32 exec_lo, exec_lo, s23
	s_and_saveexec_b32 s23, s22
	s_cbranch_execnz .LBB166_2620
	s_branch .LBB166_2621
.LBB166_2638:
	s_mov_b32 s21, -1
                                        ; implicit-def: $vgpr13
	s_branch .LBB166_2643
.LBB166_2639:
	s_mov_b32 s21, -1
                                        ; implicit-def: $vgpr13
.LBB166_2640:
	s_delay_alu instid0(SALU_CYCLE_1)
	s_and_b32 vcc_lo, exec_lo, s21
	s_cbranch_vccz .LBB166_2642
; %bb.2641:
	global_load_u8 v1, v[6:7], off
	s_wait_loadcnt 0x0
	v_lshlrev_b32_e32 v1, 24, v1
	s_delay_alu instid0(VALU_DEP_1) | instskip(NEXT) | instid1(VALU_DEP_1)
	v_and_b32_e32 v3, 0x7f000000, v1
	v_clz_i32_u32_e32 v5, v3
	v_cmp_ne_u32_e32 vcc_lo, 0, v3
	v_add_nc_u32_e32 v14, 0x1000000, v3
	s_delay_alu instid0(VALU_DEP_3) | instskip(NEXT) | instid1(VALU_DEP_1)
	v_min_u32_e32 v5, 32, v5
	v_sub_nc_u32_e64 v5, v5, 4 clamp
	s_delay_alu instid0(VALU_DEP_1) | instskip(NEXT) | instid1(VALU_DEP_1)
	v_dual_lshlrev_b32 v13, v5, v3 :: v_dual_lshlrev_b32 v5, 23, v5
	v_lshrrev_b32_e32 v13, 4, v13
	s_delay_alu instid0(VALU_DEP_1) | instskip(NEXT) | instid1(VALU_DEP_1)
	v_dual_sub_nc_u32 v5, v13, v5 :: v_dual_ashrrev_i32 v13, 8, v14
	v_add_nc_u32_e32 v5, 0x3c000000, v5
	s_delay_alu instid0(VALU_DEP_1) | instskip(NEXT) | instid1(VALU_DEP_1)
	v_and_or_b32 v5, 0x7f800000, v13, v5
	v_cndmask_b32_e32 v3, 0, v5, vcc_lo
	s_delay_alu instid0(VALU_DEP_1) | instskip(SKIP_1) | instid1(VALU_DEP_2)
	v_and_or_b32 v1, 0x80000000, v1, v3
	v_bfe_u32 v3, v3, 16, 1
	v_cmp_o_f32_e32 vcc_lo, v1, v1
	s_delay_alu instid0(VALU_DEP_2) | instskip(NEXT) | instid1(VALU_DEP_1)
	v_add3_u32 v3, v1, v3, 0x7fff
	v_lshrrev_b32_e32 v3, 16, v3
	s_delay_alu instid0(VALU_DEP_1)
	v_cndmask_b32_e32 v13, 0x7fc0, v3, vcc_lo
.LBB166_2642:
	s_mov_b32 s21, 0
.LBB166_2643:
	s_delay_alu instid0(SALU_CYCLE_1)
	s_and_not1_b32 vcc_lo, exec_lo, s21
	s_cbranch_vccnz .LBB166_2645
; %bb.2644:
	global_load_u8 v1, v[6:7], off
	s_wait_loadcnt 0x0
	v_lshlrev_b32_e32 v3, 25, v1
	v_lshlrev_b16 v1, 8, v1
	s_delay_alu instid0(VALU_DEP_2) | instskip(NEXT) | instid1(VALU_DEP_2)
	v_cmp_gt_u32_e32 vcc_lo, 0x8000000, v3
	v_and_or_b32 v13, 0x7f00, v1, 0.5
	v_lshrrev_b32_e32 v5, 4, v3
	v_bfe_i32 v1, v1, 0, 16
	s_delay_alu instid0(VALU_DEP_3) | instskip(NEXT) | instid1(VALU_DEP_3)
	v_add_f32_e32 v13, -0.5, v13
	v_or_b32_e32 v5, 0x70000000, v5
	s_delay_alu instid0(VALU_DEP_1) | instskip(NEXT) | instid1(VALU_DEP_1)
	v_mul_f32_e32 v5, 0x7800000, v5
	v_cndmask_b32_e32 v3, v5, v13, vcc_lo
	s_delay_alu instid0(VALU_DEP_1) | instskip(SKIP_1) | instid1(VALU_DEP_2)
	v_and_or_b32 v1, 0x80000000, v1, v3
	v_bfe_u32 v3, v3, 16, 1
	v_cmp_o_f32_e32 vcc_lo, v1, v1
	s_delay_alu instid0(VALU_DEP_2) | instskip(NEXT) | instid1(VALU_DEP_1)
	v_add3_u32 v3, v1, v3, 0x7fff
	v_lshrrev_b32_e32 v3, 16, v3
	s_delay_alu instid0(VALU_DEP_1)
	v_cndmask_b32_e32 v13, 0x7fc0, v3, vcc_lo
.LBB166_2645:
	s_mov_b32 s21, 0
	s_mov_b32 s22, -1
.LBB166_2646:
	s_and_not1_b32 vcc_lo, exec_lo, s21
	s_mov_b32 s21, 0
	s_cbranch_vccnz .LBB166_2657
; %bb.2647:
	s_cmp_gt_i32 s14, 14
	s_cbranch_scc0 .LBB166_2650
; %bb.2648:
	s_cmp_eq_u32 s14, 15
	s_cbranch_scc0 .LBB166_2653
; %bb.2649:
	s_wait_loadcnt 0x0
	global_load_u16 v13, v[6:7], off
	s_mov_b32 s20, 0
	s_mov_b32 s22, -1
	s_branch .LBB166_2655
.LBB166_2650:
	s_mov_b32 s21, -1
	s_branch .LBB166_2654
.LBB166_2651:
	s_or_saveexec_b32 s22, s22
	v_mov_b32_e32 v3, 0x7f800001
	s_xor_b32 exec_lo, exec_lo, s22
	s_cbranch_execz .LBB166_2632
.LBB166_2652:
	v_cmp_ne_u16_e32 vcc_lo, 0, v1
	v_mov_b32_e32 v3, 0
	s_and_not1_b32 s21, s21, exec_lo
	s_and_b32 s23, vcc_lo, exec_lo
	s_delay_alu instid0(SALU_CYCLE_1)
	s_or_b32 s21, s21, s23
	s_or_b32 exec_lo, exec_lo, s22
	s_and_saveexec_b32 s22, s21
	s_cbranch_execnz .LBB166_2633
	s_branch .LBB166_2634
.LBB166_2653:
	s_mov_b32 s20, -1
.LBB166_2654:
                                        ; implicit-def: $vgpr13
.LBB166_2655:
	s_and_b32 vcc_lo, exec_lo, s21
	s_mov_b32 s21, 0
	s_cbranch_vccz .LBB166_2657
; %bb.2656:
	s_cmp_lg_u32 s14, 11
	s_mov_b32 s21, -1
	s_cselect_b32 s20, -1, 0
.LBB166_2657:
	s_delay_alu instid0(SALU_CYCLE_1)
	s_and_b32 vcc_lo, exec_lo, s20
	s_cbranch_vccnz .LBB166_2722
; %bb.2658:
	s_and_not1_b32 vcc_lo, exec_lo, s21
	s_cbranch_vccnz .LBB166_2660
.LBB166_2659:
	global_load_u8 v1, v[6:7], off
	s_mov_b32 s22, -1
	s_wait_loadcnt 0x0
	v_cmp_ne_u16_e32 vcc_lo, 0, v1
	v_cndmask_b32_e64 v1, 0, 1.0, vcc_lo
	s_delay_alu instid0(VALU_DEP_1)
	v_lshrrev_b32_e32 v13, 16, v1
.LBB166_2660:
	s_mov_b32 s14, 0
.LBB166_2661:
	s_delay_alu instid0(SALU_CYCLE_1)
	s_and_b32 vcc_lo, exec_lo, s14
	s_cbranch_vccz .LBB166_2710
; %bb.2662:
	s_and_b32 s14, 0xffff, s3
	s_delay_alu instid0(SALU_CYCLE_1)
	s_cmp_lt_i32 s14, 5
	s_cbranch_scc1 .LBB166_2667
; %bb.2663:
	s_cmp_lt_i32 s14, 8
	s_cbranch_scc1 .LBB166_2668
; %bb.2664:
	s_cmp_lt_i32 s14, 9
	s_cbranch_scc1 .LBB166_2669
; %bb.2665:
	s_cmp_gt_i32 s14, 9
	s_cbranch_scc0 .LBB166_2670
; %bb.2666:
	global_load_b64 v[14:15], v[6:7], off
	s_mov_b32 s20, 0
	s_wait_loadcnt 0x0
	v_cvt_f32_f64_e32 v1, v[14:15]
	s_delay_alu instid0(VALU_DEP_1) | instskip(SKIP_1) | instid1(VALU_DEP_2)
	v_bfe_u32 v3, v1, 16, 1
	v_cmp_o_f32_e32 vcc_lo, v1, v1
	v_add3_u32 v3, v1, v3, 0x7fff
	s_delay_alu instid0(VALU_DEP_1) | instskip(NEXT) | instid1(VALU_DEP_1)
	v_lshrrev_b32_e32 v3, 16, v3
	v_cndmask_b32_e32 v13, 0x7fc0, v3, vcc_lo
	s_branch .LBB166_2671
.LBB166_2667:
	s_mov_b32 s20, -1
                                        ; implicit-def: $vgpr13
	s_branch .LBB166_2689
.LBB166_2668:
	s_mov_b32 s20, -1
                                        ; implicit-def: $vgpr13
	s_branch .LBB166_2677
.LBB166_2669:
	s_mov_b32 s20, -1
                                        ; implicit-def: $vgpr13
	s_branch .LBB166_2674
.LBB166_2670:
	s_mov_b32 s20, -1
                                        ; implicit-def: $vgpr13
.LBB166_2671:
	s_delay_alu instid0(SALU_CYCLE_1)
	s_and_not1_b32 vcc_lo, exec_lo, s20
	s_cbranch_vccnz .LBB166_2673
; %bb.2672:
	global_load_b32 v1, v[6:7], off
	s_wait_loadcnt 0x0
	v_bfe_u32 v3, v1, 16, 1
	v_cmp_o_f32_e32 vcc_lo, v1, v1
	s_delay_alu instid0(VALU_DEP_2) | instskip(NEXT) | instid1(VALU_DEP_1)
	v_add3_u32 v3, v1, v3, 0x7fff
	v_lshrrev_b32_e32 v3, 16, v3
	s_delay_alu instid0(VALU_DEP_1)
	v_cndmask_b32_e32 v13, 0x7fc0, v3, vcc_lo
.LBB166_2673:
	s_mov_b32 s20, 0
.LBB166_2674:
	s_delay_alu instid0(SALU_CYCLE_1)
	s_and_not1_b32 vcc_lo, exec_lo, s20
	s_cbranch_vccnz .LBB166_2676
; %bb.2675:
	global_load_b32 v1, v[6:7], off
	s_wait_loadcnt 0x0
	v_cvt_f32_f16_e32 v3, v1
	v_cmp_o_f16_e32 vcc_lo, v1, v1
	s_delay_alu instid0(VALU_DEP_2) | instskip(NEXT) | instid1(VALU_DEP_1)
	v_bfe_u32 v5, v3, 16, 1
	v_add3_u32 v3, v3, v5, 0x7fff
	s_delay_alu instid0(VALU_DEP_1) | instskip(NEXT) | instid1(VALU_DEP_1)
	v_lshrrev_b32_e32 v3, 16, v3
	v_cndmask_b32_e32 v13, 0x7fc0, v3, vcc_lo
.LBB166_2676:
	s_mov_b32 s20, 0
.LBB166_2677:
	s_delay_alu instid0(SALU_CYCLE_1)
	s_and_not1_b32 vcc_lo, exec_lo, s20
	s_cbranch_vccnz .LBB166_2688
; %bb.2678:
	s_cmp_lt_i32 s14, 6
	s_cbranch_scc1 .LBB166_2681
; %bb.2679:
	s_cmp_gt_i32 s14, 6
	s_cbranch_scc0 .LBB166_2682
; %bb.2680:
	global_load_b64 v[14:15], v[6:7], off
	s_mov_b32 s20, 0
	s_wait_loadcnt 0x0
	v_cvt_f32_f64_e32 v1, v[14:15]
	s_delay_alu instid0(VALU_DEP_1) | instskip(SKIP_1) | instid1(VALU_DEP_2)
	v_bfe_u32 v3, v1, 16, 1
	v_cmp_o_f32_e32 vcc_lo, v1, v1
	v_add3_u32 v3, v1, v3, 0x7fff
	s_delay_alu instid0(VALU_DEP_1) | instskip(NEXT) | instid1(VALU_DEP_1)
	v_lshrrev_b32_e32 v3, 16, v3
	v_cndmask_b32_e32 v13, 0x7fc0, v3, vcc_lo
	s_branch .LBB166_2683
.LBB166_2681:
	s_mov_b32 s20, -1
                                        ; implicit-def: $vgpr13
	s_branch .LBB166_2686
.LBB166_2682:
	s_mov_b32 s20, -1
                                        ; implicit-def: $vgpr13
.LBB166_2683:
	s_delay_alu instid0(SALU_CYCLE_1)
	s_and_not1_b32 vcc_lo, exec_lo, s20
	s_cbranch_vccnz .LBB166_2685
; %bb.2684:
	global_load_b32 v1, v[6:7], off
	s_wait_loadcnt 0x0
	v_bfe_u32 v3, v1, 16, 1
	v_cmp_o_f32_e32 vcc_lo, v1, v1
	s_delay_alu instid0(VALU_DEP_2) | instskip(NEXT) | instid1(VALU_DEP_1)
	v_add3_u32 v3, v1, v3, 0x7fff
	v_lshrrev_b32_e32 v3, 16, v3
	s_delay_alu instid0(VALU_DEP_1)
	v_cndmask_b32_e32 v13, 0x7fc0, v3, vcc_lo
.LBB166_2685:
	s_mov_b32 s20, 0
.LBB166_2686:
	s_delay_alu instid0(SALU_CYCLE_1)
	s_and_not1_b32 vcc_lo, exec_lo, s20
	s_cbranch_vccnz .LBB166_2688
; %bb.2687:
	global_load_u16 v1, v[6:7], off
	s_wait_loadcnt 0x0
	v_cvt_f32_f16_e32 v3, v1
	v_cmp_o_f16_e32 vcc_lo, v1, v1
	s_delay_alu instid0(VALU_DEP_2) | instskip(NEXT) | instid1(VALU_DEP_1)
	v_bfe_u32 v5, v3, 16, 1
	v_add3_u32 v3, v3, v5, 0x7fff
	s_delay_alu instid0(VALU_DEP_1) | instskip(NEXT) | instid1(VALU_DEP_1)
	v_lshrrev_b32_e32 v3, 16, v3
	v_cndmask_b32_e32 v13, 0x7fc0, v3, vcc_lo
.LBB166_2688:
	s_mov_b32 s20, 0
.LBB166_2689:
	s_delay_alu instid0(SALU_CYCLE_1)
	s_and_not1_b32 vcc_lo, exec_lo, s20
	s_cbranch_vccnz .LBB166_2709
; %bb.2690:
	s_cmp_lt_i32 s14, 2
	s_cbranch_scc1 .LBB166_2694
; %bb.2691:
	s_cmp_lt_i32 s14, 3
	s_cbranch_scc1 .LBB166_2695
; %bb.2692:
	s_cmp_gt_i32 s14, 3
	s_cbranch_scc0 .LBB166_2696
; %bb.2693:
	global_load_b64 v[14:15], v[6:7], off
	s_mov_b32 s20, 0
	s_wait_loadcnt 0x0
	v_xor_b32_e32 v1, v14, v15
	v_cls_i32_e32 v3, v15
	s_delay_alu instid0(VALU_DEP_2) | instskip(NEXT) | instid1(VALU_DEP_1)
	v_ashrrev_i32_e32 v1, 31, v1
	v_add_nc_u32_e32 v1, 32, v1
	s_delay_alu instid0(VALU_DEP_1) | instskip(NEXT) | instid1(VALU_DEP_1)
	v_add_min_u32_e64 v1, v3, -1, v1
	v_lshlrev_b64_e32 v[14:15], v1, v[14:15]
	v_sub_nc_u32_e32 v1, 32, v1
	s_delay_alu instid0(VALU_DEP_2) | instskip(NEXT) | instid1(VALU_DEP_1)
	v_min_u32_e32 v3, 1, v14
	v_or_b32_e32 v3, v15, v3
	s_delay_alu instid0(VALU_DEP_1) | instskip(NEXT) | instid1(VALU_DEP_1)
	v_cvt_f32_i32_e32 v3, v3
	v_ldexp_f32 v1, v3, v1
	s_delay_alu instid0(VALU_DEP_1) | instskip(NEXT) | instid1(VALU_DEP_1)
	v_bfe_u32 v3, v1, 16, 1
	v_add3_u32 v1, v1, v3, 0x7fff
	s_delay_alu instid0(VALU_DEP_1)
	v_lshrrev_b32_e32 v13, 16, v1
	s_branch .LBB166_2697
.LBB166_2694:
	s_mov_b32 s20, -1
                                        ; implicit-def: $vgpr13
	s_branch .LBB166_2703
.LBB166_2695:
	s_mov_b32 s20, -1
                                        ; implicit-def: $vgpr13
	s_branch .LBB166_2700
.LBB166_2696:
	s_mov_b32 s20, -1
                                        ; implicit-def: $vgpr13
.LBB166_2697:
	s_delay_alu instid0(SALU_CYCLE_1)
	s_and_not1_b32 vcc_lo, exec_lo, s20
	s_cbranch_vccnz .LBB166_2699
; %bb.2698:
	global_load_b32 v1, v[6:7], off
	s_wait_loadcnt 0x0
	v_cvt_f32_i32_e32 v1, v1
	s_delay_alu instid0(VALU_DEP_1) | instskip(NEXT) | instid1(VALU_DEP_1)
	v_bfe_u32 v3, v1, 16, 1
	v_add3_u32 v1, v1, v3, 0x7fff
	s_delay_alu instid0(VALU_DEP_1)
	v_lshrrev_b32_e32 v13, 16, v1
.LBB166_2699:
	s_mov_b32 s20, 0
.LBB166_2700:
	s_delay_alu instid0(SALU_CYCLE_1)
	s_and_not1_b32 vcc_lo, exec_lo, s20
	s_cbranch_vccnz .LBB166_2702
; %bb.2701:
	global_load_i16 v1, v[6:7], off
	s_wait_loadcnt 0x0
	v_cvt_f32_i32_e32 v1, v1
	s_delay_alu instid0(VALU_DEP_1) | instskip(NEXT) | instid1(VALU_DEP_1)
	v_bfe_u32 v3, v1, 16, 1
	v_add3_u32 v1, v1, v3, 0x7fff
	s_delay_alu instid0(VALU_DEP_1)
	v_lshrrev_b32_e32 v13, 16, v1
.LBB166_2702:
	s_mov_b32 s20, 0
.LBB166_2703:
	s_delay_alu instid0(SALU_CYCLE_1)
	s_and_not1_b32 vcc_lo, exec_lo, s20
	s_cbranch_vccnz .LBB166_2709
; %bb.2704:
	s_cmp_gt_i32 s14, 0
	s_mov_b32 s14, 0
	s_cbranch_scc0 .LBB166_2706
; %bb.2705:
	global_load_i8 v1, v[6:7], off
	s_wait_loadcnt 0x0
	v_cvt_f32_i32_e32 v1, v1
	s_delay_alu instid0(VALU_DEP_1) | instskip(NEXT) | instid1(VALU_DEP_1)
	v_bfe_u32 v3, v1, 16, 1
	v_add3_u32 v1, v1, v3, 0x7fff
	s_delay_alu instid0(VALU_DEP_1)
	v_lshrrev_b32_e32 v13, 16, v1
	s_branch .LBB166_2707
.LBB166_2706:
	s_mov_b32 s14, -1
                                        ; implicit-def: $vgpr13
.LBB166_2707:
	s_delay_alu instid0(SALU_CYCLE_1)
	s_and_not1_b32 vcc_lo, exec_lo, s14
	s_cbranch_vccnz .LBB166_2709
; %bb.2708:
	global_load_u8 v1, v[6:7], off
	s_wait_loadcnt 0x0
	v_cvt_f32_ubyte0_e32 v1, v1
	s_delay_alu instid0(VALU_DEP_1) | instskip(NEXT) | instid1(VALU_DEP_1)
	v_bfe_u32 v3, v1, 16, 1
	v_add3_u32 v1, v1, v3, 0x7fff
	s_delay_alu instid0(VALU_DEP_1)
	v_lshrrev_b32_e32 v13, 16, v1
.LBB166_2709:
	s_mov_b32 s22, -1
.LBB166_2710:
	s_delay_alu instid0(SALU_CYCLE_1)
	s_and_not1_b32 vcc_lo, exec_lo, s22
	s_cbranch_vccnz .LBB166_4065
; %bb.2711:
	s_lshl_b32 s14, s15, 7
	s_cmp_lt_i32 s0, 11
	v_add_nc_u32_e32 v4, s14, v4
	s_delay_alu instid0(VALU_DEP_1) | instskip(SKIP_1) | instid1(VALU_DEP_1)
	v_ashrrev_i32_e32 v5, 31, v4
	s_wait_xcnt 0x0
	v_add_nc_u64_e32 v[6:7], s[10:11], v[4:5]
	s_cbranch_scc1 .LBB166_2718
; %bb.2712:
	s_cmp_gt_i32 s0, 25
	s_mov_b32 s20, 0
	s_cbranch_scc0 .LBB166_2719
; %bb.2713:
	s_cmp_gt_i32 s0, 28
	s_cbranch_scc0 .LBB166_2720
; %bb.2714:
	s_cmp_gt_i32 s0, 43
	;; [unrolled: 3-line block ×3, first 2 shown]
	s_cbranch_scc0 .LBB166_2723
; %bb.2716:
	s_cmp_eq_u32 s0, 46
	s_mov_b32 s22, 0
	s_cbranch_scc0 .LBB166_2726
; %bb.2717:
	global_load_b32 v14, v[6:7], off
	s_mov_b32 s15, 0
	s_mov_b32 s21, -1
	s_branch .LBB166_2728
.LBB166_2718:
	s_mov_b32 s15, -1
	s_mov_b32 s21, 0
                                        ; implicit-def: $vgpr14
	s_branch .LBB166_2794
.LBB166_2719:
	s_mov_b32 s22, -1
	s_mov_b32 s21, 0
	s_mov_b32 s15, 0
                                        ; implicit-def: $vgpr14
	s_branch .LBB166_2757
.LBB166_2720:
	s_mov_b32 s22, -1
	s_mov_b32 s21, 0
	s_mov_b32 s15, 0
                                        ; implicit-def: $vgpr14
	s_branch .LBB166_2738
.LBB166_2721:
	s_mov_b32 s22, -1
	s_mov_b32 s21, 0
	s_mov_b32 s15, 0
                                        ; implicit-def: $vgpr14
	s_branch .LBB166_2733
.LBB166_2722:
	s_or_b32 s16, s16, exec_lo
	s_trap 2
	s_cbranch_execz .LBB166_2659
	s_branch .LBB166_2660
.LBB166_2723:
	s_mov_b32 s22, -1
	s_mov_b32 s21, 0
	s_mov_b32 s15, 0
	s_branch .LBB166_2727
.LBB166_2724:
	s_and_not1_saveexec_b32 s39, s39
	s_cbranch_execz .LBB166_1464
.LBB166_2725:
	v_add_f32_e64 v4, 0x46000000, |v5|
	s_and_not1_b32 s38, s38, exec_lo
	s_delay_alu instid0(VALU_DEP_1) | instskip(NEXT) | instid1(VALU_DEP_1)
	v_and_b32_e32 v4, 0xff, v4
	v_cmp_ne_u32_e32 vcc_lo, 0, v4
	s_and_b32 s40, vcc_lo, exec_lo
	s_delay_alu instid0(SALU_CYCLE_1)
	s_or_b32 s38, s38, s40
	s_or_b32 exec_lo, exec_lo, s39
	v_mov_b32_e32 v6, 0
	s_and_saveexec_b32 s39, s38
	s_cbranch_execnz .LBB166_1465
	s_branch .LBB166_1466
.LBB166_2726:
	s_mov_b32 s15, -1
	s_mov_b32 s21, 0
.LBB166_2727:
                                        ; implicit-def: $vgpr14
.LBB166_2728:
	s_and_b32 vcc_lo, exec_lo, s22
	s_cbranch_vccz .LBB166_2732
; %bb.2729:
	s_cmp_eq_u32 s0, 44
	s_cbranch_scc0 .LBB166_2731
; %bb.2730:
	global_load_u8 v1, v[6:7], off
	s_mov_b32 s15, 0
	s_mov_b32 s21, -1
	s_wait_loadcnt 0x0
	v_lshlrev_b32_e32 v3, 23, v1
	v_cmp_ne_u32_e32 vcc_lo, 0xff, v1
	s_delay_alu instid0(VALU_DEP_2) | instskip(SKIP_1) | instid1(VALU_DEP_2)
	v_cndmask_b32_e32 v3, 0x7f800001, v3, vcc_lo
	v_cmp_ne_u32_e32 vcc_lo, 0, v1
	v_cndmask_b32_e32 v1, 0x400000, v3, vcc_lo
	s_delay_alu instid0(VALU_DEP_1) | instskip(SKIP_1) | instid1(VALU_DEP_2)
	v_add_nc_u32_e32 v3, 0x7fff, v1
	v_cmp_o_f32_e32 vcc_lo, v1, v1
	v_lshrrev_b32_e32 v3, 16, v3
	s_delay_alu instid0(VALU_DEP_1)
	v_cndmask_b32_e32 v14, 0x7fc0, v3, vcc_lo
	s_branch .LBB166_2732
.LBB166_2731:
	s_mov_b32 s15, -1
                                        ; implicit-def: $vgpr14
.LBB166_2732:
	s_mov_b32 s22, 0
.LBB166_2733:
	s_delay_alu instid0(SALU_CYCLE_1)
	s_and_b32 vcc_lo, exec_lo, s22
	s_cbranch_vccz .LBB166_2737
; %bb.2734:
	s_cmp_eq_u32 s0, 29
	s_cbranch_scc0 .LBB166_2736
; %bb.2735:
	s_wait_loadcnt 0x0
	global_load_b64 v[14:15], v[6:7], off
	s_mov_b32 s15, 0
	s_mov_b32 s21, -1
	s_mov_b32 s22, 0
	s_wait_loadcnt 0x0
	v_clz_i32_u32_e32 v1, v15
	s_delay_alu instid0(VALU_DEP_1) | instskip(NEXT) | instid1(VALU_DEP_1)
	v_min_u32_e32 v1, 32, v1
	v_lshlrev_b64_e32 v[14:15], v1, v[14:15]
	v_sub_nc_u32_e32 v1, 32, v1
	s_delay_alu instid0(VALU_DEP_2) | instskip(NEXT) | instid1(VALU_DEP_1)
	v_min_u32_e32 v3, 1, v14
	v_or_b32_e32 v3, v15, v3
	s_delay_alu instid0(VALU_DEP_1) | instskip(NEXT) | instid1(VALU_DEP_1)
	v_cvt_f32_u32_e32 v3, v3
	v_ldexp_f32 v1, v3, v1
	s_delay_alu instid0(VALU_DEP_1) | instskip(NEXT) | instid1(VALU_DEP_1)
	v_bfe_u32 v3, v1, 16, 1
	v_add3_u32 v1, v1, v3, 0x7fff
	s_delay_alu instid0(VALU_DEP_1)
	v_lshrrev_b32_e32 v14, 16, v1
	s_branch .LBB166_2738
.LBB166_2736:
	s_mov_b32 s15, -1
                                        ; implicit-def: $vgpr14
.LBB166_2737:
	s_mov_b32 s22, 0
.LBB166_2738:
	s_delay_alu instid0(SALU_CYCLE_1)
	s_and_b32 vcc_lo, exec_lo, s22
	s_cbranch_vccz .LBB166_2756
; %bb.2739:
	s_cmp_lt_i32 s0, 27
	s_cbranch_scc1 .LBB166_2742
; %bb.2740:
	s_cmp_gt_i32 s0, 27
	s_cbranch_scc0 .LBB166_2743
; %bb.2741:
	global_load_b32 v1, v[6:7], off
	s_mov_b32 s21, 0
	s_wait_loadcnt 0x0
	v_cvt_f32_u32_e32 v1, v1
	s_delay_alu instid0(VALU_DEP_1) | instskip(NEXT) | instid1(VALU_DEP_1)
	v_bfe_u32 v3, v1, 16, 1
	v_add3_u32 v1, v1, v3, 0x7fff
	s_delay_alu instid0(VALU_DEP_1)
	v_lshrrev_b32_e32 v14, 16, v1
	s_branch .LBB166_2744
.LBB166_2742:
	s_mov_b32 s21, -1
                                        ; implicit-def: $vgpr14
	s_branch .LBB166_2747
.LBB166_2743:
	s_mov_b32 s21, -1
                                        ; implicit-def: $vgpr14
.LBB166_2744:
	s_delay_alu instid0(SALU_CYCLE_1)
	s_and_not1_b32 vcc_lo, exec_lo, s21
	s_cbranch_vccnz .LBB166_2746
; %bb.2745:
	global_load_u16 v1, v[6:7], off
	s_wait_loadcnt 0x0
	v_cvt_f32_u32_e32 v1, v1
	s_delay_alu instid0(VALU_DEP_1) | instskip(NEXT) | instid1(VALU_DEP_1)
	v_bfe_u32 v3, v1, 16, 1
	v_add3_u32 v1, v1, v3, 0x7fff
	s_delay_alu instid0(VALU_DEP_1)
	v_lshrrev_b32_e32 v14, 16, v1
.LBB166_2746:
	s_mov_b32 s21, 0
.LBB166_2747:
	s_delay_alu instid0(SALU_CYCLE_1)
	s_and_not1_b32 vcc_lo, exec_lo, s21
	s_cbranch_vccnz .LBB166_2755
; %bb.2748:
	global_load_u8 v1, v[6:7], off
	s_mov_b32 s21, 0
	s_mov_b32 s22, exec_lo
	s_wait_loadcnt 0x0
	v_cmpx_lt_i16_e32 0x7f, v1
	s_xor_b32 s22, exec_lo, s22
	s_cbranch_execz .LBB166_2769
; %bb.2749:
	s_mov_b32 s21, -1
	s_mov_b32 s23, exec_lo
	v_cmpx_eq_u16_e32 0x80, v1
; %bb.2750:
	s_xor_b32 s21, exec_lo, -1
; %bb.2751:
	s_or_b32 exec_lo, exec_lo, s23
	s_delay_alu instid0(SALU_CYCLE_1)
	s_and_b32 s21, s21, exec_lo
	s_or_saveexec_b32 s22, s22
	v_mov_b32_e32 v3, 0x7f800001
	s_xor_b32 exec_lo, exec_lo, s22
	s_cbranch_execnz .LBB166_2770
.LBB166_2752:
	s_or_b32 exec_lo, exec_lo, s22
	s_and_saveexec_b32 s22, s21
	s_cbranch_execz .LBB166_2754
.LBB166_2753:
	v_and_b32_e32 v3, 0xffff, v1
	s_delay_alu instid0(VALU_DEP_1) | instskip(SKIP_1) | instid1(VALU_DEP_2)
	v_and_b32_e32 v5, 7, v3
	v_bfe_u32 v16, v3, 3, 4
	v_clz_i32_u32_e32 v14, v5
	s_delay_alu instid0(VALU_DEP_2) | instskip(NEXT) | instid1(VALU_DEP_2)
	v_cmp_eq_u32_e32 vcc_lo, 0, v16
	v_min_u32_e32 v14, 32, v14
	s_delay_alu instid0(VALU_DEP_1) | instskip(NEXT) | instid1(VALU_DEP_1)
	v_subrev_nc_u32_e32 v15, 28, v14
	v_dual_lshlrev_b32 v3, v15, v3 :: v_dual_sub_nc_u32 v14, 29, v14
	s_delay_alu instid0(VALU_DEP_1) | instskip(NEXT) | instid1(VALU_DEP_1)
	v_dual_lshlrev_b32 v1, 24, v1 :: v_dual_bitop2_b32 v3, 7, v3 bitop3:0x40
	v_dual_cndmask_b32 v14, v16, v14 :: v_dual_cndmask_b32 v3, v5, v3
	s_delay_alu instid0(VALU_DEP_2) | instskip(NEXT) | instid1(VALU_DEP_2)
	v_and_b32_e32 v1, 0x80000000, v1
	v_lshl_add_u32 v5, v14, 23, 0x3b800000
	s_delay_alu instid0(VALU_DEP_3) | instskip(NEXT) | instid1(VALU_DEP_1)
	v_lshlrev_b32_e32 v3, 20, v3
	v_or3_b32 v3, v1, v5, v3
.LBB166_2754:
	s_or_b32 exec_lo, exec_lo, s22
	s_delay_alu instid0(VALU_DEP_1) | instskip(SKIP_1) | instid1(VALU_DEP_2)
	v_bfe_u32 v1, v3, 16, 1
	v_cmp_o_f32_e32 vcc_lo, v3, v3
	v_add3_u32 v1, v3, v1, 0x7fff
	s_delay_alu instid0(VALU_DEP_1) | instskip(NEXT) | instid1(VALU_DEP_1)
	v_lshrrev_b32_e32 v1, 16, v1
	v_cndmask_b32_e32 v14, 0x7fc0, v1, vcc_lo
.LBB166_2755:
	s_mov_b32 s21, -1
.LBB166_2756:
	s_mov_b32 s22, 0
.LBB166_2757:
	s_delay_alu instid0(SALU_CYCLE_1)
	s_and_b32 vcc_lo, exec_lo, s22
	s_cbranch_vccz .LBB166_2790
; %bb.2758:
	s_cmp_gt_i32 s0, 22
	s_cbranch_scc0 .LBB166_2768
; %bb.2759:
	s_cmp_lt_i32 s0, 24
	s_cbranch_scc1 .LBB166_2771
; %bb.2760:
	s_cmp_gt_i32 s0, 24
	s_cbranch_scc0 .LBB166_2772
; %bb.2761:
	global_load_u8 v1, v[6:7], off
	s_mov_b32 s21, exec_lo
	s_wait_loadcnt 0x0
	v_cmpx_lt_i16_e32 0x7f, v1
	s_xor_b32 s21, exec_lo, s21
	s_cbranch_execz .LBB166_2784
; %bb.2762:
	s_mov_b32 s20, -1
	s_mov_b32 s22, exec_lo
	v_cmpx_eq_u16_e32 0x80, v1
; %bb.2763:
	s_xor_b32 s20, exec_lo, -1
; %bb.2764:
	s_or_b32 exec_lo, exec_lo, s22
	s_delay_alu instid0(SALU_CYCLE_1)
	s_and_b32 s20, s20, exec_lo
	s_or_saveexec_b32 s21, s21
	v_mov_b32_e32 v3, 0x7f800001
	s_xor_b32 exec_lo, exec_lo, s21
	s_cbranch_execnz .LBB166_2785
.LBB166_2765:
	s_or_b32 exec_lo, exec_lo, s21
	s_and_saveexec_b32 s21, s20
	s_cbranch_execz .LBB166_2767
.LBB166_2766:
	v_and_b32_e32 v3, 0xffff, v1
	s_delay_alu instid0(VALU_DEP_1) | instskip(SKIP_1) | instid1(VALU_DEP_2)
	v_and_b32_e32 v5, 3, v3
	v_bfe_u32 v16, v3, 2, 5
	v_clz_i32_u32_e32 v14, v5
	s_delay_alu instid0(VALU_DEP_2) | instskip(NEXT) | instid1(VALU_DEP_2)
	v_cmp_eq_u32_e32 vcc_lo, 0, v16
	v_min_u32_e32 v14, 32, v14
	s_delay_alu instid0(VALU_DEP_1) | instskip(NEXT) | instid1(VALU_DEP_1)
	v_subrev_nc_u32_e32 v15, 29, v14
	v_dual_lshlrev_b32 v3, v15, v3 :: v_dual_sub_nc_u32 v14, 30, v14
	s_delay_alu instid0(VALU_DEP_1) | instskip(NEXT) | instid1(VALU_DEP_1)
	v_dual_lshlrev_b32 v1, 24, v1 :: v_dual_bitop2_b32 v3, 3, v3 bitop3:0x40
	v_dual_cndmask_b32 v14, v16, v14 :: v_dual_cndmask_b32 v3, v5, v3
	s_delay_alu instid0(VALU_DEP_2) | instskip(NEXT) | instid1(VALU_DEP_2)
	v_and_b32_e32 v1, 0x80000000, v1
	v_lshl_add_u32 v5, v14, 23, 0x37800000
	s_delay_alu instid0(VALU_DEP_3) | instskip(NEXT) | instid1(VALU_DEP_1)
	v_lshlrev_b32_e32 v3, 21, v3
	v_or3_b32 v3, v1, v5, v3
.LBB166_2767:
	s_or_b32 exec_lo, exec_lo, s21
	s_delay_alu instid0(VALU_DEP_1) | instskip(SKIP_2) | instid1(VALU_DEP_2)
	v_bfe_u32 v1, v3, 16, 1
	v_cmp_o_f32_e32 vcc_lo, v3, v3
	s_mov_b32 s20, 0
	v_add3_u32 v1, v3, v1, 0x7fff
	s_delay_alu instid0(VALU_DEP_1) | instskip(NEXT) | instid1(VALU_DEP_1)
	v_lshrrev_b32_e32 v1, 16, v1
	v_cndmask_b32_e32 v14, 0x7fc0, v1, vcc_lo
	s_branch .LBB166_2773
.LBB166_2768:
	s_mov_b32 s20, -1
                                        ; implicit-def: $vgpr14
	s_branch .LBB166_2779
.LBB166_2769:
	s_or_saveexec_b32 s22, s22
	v_mov_b32_e32 v3, 0x7f800001
	s_xor_b32 exec_lo, exec_lo, s22
	s_cbranch_execz .LBB166_2752
.LBB166_2770:
	v_cmp_ne_u16_e32 vcc_lo, 0, v1
	v_mov_b32_e32 v3, 0
	s_and_not1_b32 s21, s21, exec_lo
	s_and_b32 s23, vcc_lo, exec_lo
	s_delay_alu instid0(SALU_CYCLE_1)
	s_or_b32 s21, s21, s23
	s_or_b32 exec_lo, exec_lo, s22
	s_and_saveexec_b32 s22, s21
	s_cbranch_execnz .LBB166_2753
	s_branch .LBB166_2754
.LBB166_2771:
	s_mov_b32 s20, -1
                                        ; implicit-def: $vgpr14
	s_branch .LBB166_2776
.LBB166_2772:
	s_mov_b32 s20, -1
                                        ; implicit-def: $vgpr14
.LBB166_2773:
	s_delay_alu instid0(SALU_CYCLE_1)
	s_and_b32 vcc_lo, exec_lo, s20
	s_cbranch_vccz .LBB166_2775
; %bb.2774:
	global_load_u8 v1, v[6:7], off
	s_wait_loadcnt 0x0
	v_lshlrev_b32_e32 v1, 24, v1
	s_delay_alu instid0(VALU_DEP_1) | instskip(NEXT) | instid1(VALU_DEP_1)
	v_and_b32_e32 v3, 0x7f000000, v1
	v_clz_i32_u32_e32 v5, v3
	v_add_nc_u32_e32 v15, 0x1000000, v3
	v_cmp_ne_u32_e32 vcc_lo, 0, v3
	s_delay_alu instid0(VALU_DEP_3) | instskip(NEXT) | instid1(VALU_DEP_1)
	v_min_u32_e32 v5, 32, v5
	v_sub_nc_u32_e64 v5, v5, 4 clamp
	s_delay_alu instid0(VALU_DEP_1) | instskip(NEXT) | instid1(VALU_DEP_1)
	v_dual_lshlrev_b32 v14, v5, v3 :: v_dual_lshlrev_b32 v5, 23, v5
	v_lshrrev_b32_e32 v14, 4, v14
	s_delay_alu instid0(VALU_DEP_1) | instskip(NEXT) | instid1(VALU_DEP_1)
	v_dual_sub_nc_u32 v5, v14, v5 :: v_dual_ashrrev_i32 v14, 8, v15
	v_add_nc_u32_e32 v5, 0x3c000000, v5
	s_delay_alu instid0(VALU_DEP_1) | instskip(NEXT) | instid1(VALU_DEP_1)
	v_and_or_b32 v5, 0x7f800000, v14, v5
	v_cndmask_b32_e32 v3, 0, v5, vcc_lo
	s_delay_alu instid0(VALU_DEP_1) | instskip(SKIP_1) | instid1(VALU_DEP_2)
	v_and_or_b32 v1, 0x80000000, v1, v3
	v_bfe_u32 v3, v3, 16, 1
	v_cmp_o_f32_e32 vcc_lo, v1, v1
	s_delay_alu instid0(VALU_DEP_2) | instskip(NEXT) | instid1(VALU_DEP_1)
	v_add3_u32 v3, v1, v3, 0x7fff
	v_lshrrev_b32_e32 v3, 16, v3
	s_delay_alu instid0(VALU_DEP_1)
	v_cndmask_b32_e32 v14, 0x7fc0, v3, vcc_lo
.LBB166_2775:
	s_mov_b32 s20, 0
.LBB166_2776:
	s_delay_alu instid0(SALU_CYCLE_1)
	s_and_not1_b32 vcc_lo, exec_lo, s20
	s_cbranch_vccnz .LBB166_2778
; %bb.2777:
	global_load_u8 v1, v[6:7], off
	s_wait_loadcnt 0x0
	v_lshlrev_b32_e32 v3, 25, v1
	v_lshlrev_b16 v1, 8, v1
	s_delay_alu instid0(VALU_DEP_1) | instskip(SKIP_1) | instid1(VALU_DEP_2)
	v_and_or_b32 v14, 0x7f00, v1, 0.5
	v_bfe_i32 v1, v1, 0, 16
	v_dual_add_f32 v14, -0.5, v14 :: v_dual_lshrrev_b32 v5, 4, v3
	v_cmp_gt_u32_e32 vcc_lo, 0x8000000, v3
	s_delay_alu instid0(VALU_DEP_2) | instskip(NEXT) | instid1(VALU_DEP_1)
	v_or_b32_e32 v5, 0x70000000, v5
	v_mul_f32_e32 v5, 0x7800000, v5
	s_delay_alu instid0(VALU_DEP_1) | instskip(NEXT) | instid1(VALU_DEP_1)
	v_cndmask_b32_e32 v3, v5, v14, vcc_lo
	v_and_or_b32 v1, 0x80000000, v1, v3
	v_bfe_u32 v3, v3, 16, 1
	s_delay_alu instid0(VALU_DEP_2) | instskip(NEXT) | instid1(VALU_DEP_2)
	v_cmp_o_f32_e32 vcc_lo, v1, v1
	v_add3_u32 v3, v1, v3, 0x7fff
	s_delay_alu instid0(VALU_DEP_1) | instskip(NEXT) | instid1(VALU_DEP_1)
	v_lshrrev_b32_e32 v3, 16, v3
	v_cndmask_b32_e32 v14, 0x7fc0, v3, vcc_lo
.LBB166_2778:
	s_mov_b32 s20, 0
	s_mov_b32 s21, -1
.LBB166_2779:
	s_and_not1_b32 vcc_lo, exec_lo, s20
	s_mov_b32 s20, 0
	s_cbranch_vccnz .LBB166_2790
; %bb.2780:
	s_cmp_gt_i32 s0, 14
	s_cbranch_scc0 .LBB166_2783
; %bb.2781:
	s_cmp_eq_u32 s0, 15
	s_cbranch_scc0 .LBB166_2786
; %bb.2782:
	s_wait_loadcnt 0x0
	global_load_u16 v14, v[6:7], off
	s_mov_b32 s15, 0
	s_mov_b32 s21, -1
	s_branch .LBB166_2788
.LBB166_2783:
	s_mov_b32 s20, -1
	s_branch .LBB166_2787
.LBB166_2784:
	s_or_saveexec_b32 s21, s21
	v_mov_b32_e32 v3, 0x7f800001
	s_xor_b32 exec_lo, exec_lo, s21
	s_cbranch_execz .LBB166_2765
.LBB166_2785:
	v_cmp_ne_u16_e32 vcc_lo, 0, v1
	v_mov_b32_e32 v3, 0
	s_and_not1_b32 s20, s20, exec_lo
	s_and_b32 s22, vcc_lo, exec_lo
	s_delay_alu instid0(SALU_CYCLE_1)
	s_or_b32 s20, s20, s22
	s_or_b32 exec_lo, exec_lo, s21
	s_and_saveexec_b32 s21, s20
	s_cbranch_execnz .LBB166_2766
	s_branch .LBB166_2767
.LBB166_2786:
	s_mov_b32 s15, -1
.LBB166_2787:
                                        ; implicit-def: $vgpr14
.LBB166_2788:
	s_and_b32 vcc_lo, exec_lo, s20
	s_mov_b32 s20, 0
	s_cbranch_vccz .LBB166_2790
; %bb.2789:
	s_cmp_lg_u32 s0, 11
	s_mov_b32 s20, -1
	s_cselect_b32 s15, -1, 0
.LBB166_2790:
	s_delay_alu instid0(SALU_CYCLE_1)
	s_and_b32 vcc_lo, exec_lo, s15
	s_cbranch_vccnz .LBB166_2855
; %bb.2791:
	s_and_not1_b32 vcc_lo, exec_lo, s20
	s_cbranch_vccnz .LBB166_2793
.LBB166_2792:
	global_load_u8 v1, v[6:7], off
	s_mov_b32 s21, -1
	s_wait_loadcnt 0x0
	v_cmp_ne_u16_e32 vcc_lo, 0, v1
	v_cndmask_b32_e64 v1, 0, 1.0, vcc_lo
	s_delay_alu instid0(VALU_DEP_1)
	v_lshrrev_b32_e32 v14, 16, v1
.LBB166_2793:
	s_mov_b32 s15, 0
.LBB166_2794:
	s_delay_alu instid0(SALU_CYCLE_1)
	s_and_b32 vcc_lo, exec_lo, s15
	s_cbranch_vccz .LBB166_2843
; %bb.2795:
	s_cmp_lt_i32 s0, 5
	s_cbranch_scc1 .LBB166_2800
; %bb.2796:
	s_cmp_lt_i32 s0, 8
	s_cbranch_scc1 .LBB166_2801
	;; [unrolled: 3-line block ×3, first 2 shown]
; %bb.2798:
	s_cmp_gt_i32 s0, 9
	s_cbranch_scc0 .LBB166_2803
; %bb.2799:
	s_wait_loadcnt 0x0
	global_load_b64 v[14:15], v[6:7], off
	s_mov_b32 s15, 0
	s_wait_loadcnt 0x0
	v_cvt_f32_f64_e32 v1, v[14:15]
	s_delay_alu instid0(VALU_DEP_1) | instskip(SKIP_1) | instid1(VALU_DEP_2)
	v_bfe_u32 v3, v1, 16, 1
	v_cmp_o_f32_e32 vcc_lo, v1, v1
	v_add3_u32 v3, v1, v3, 0x7fff
	s_delay_alu instid0(VALU_DEP_1) | instskip(NEXT) | instid1(VALU_DEP_1)
	v_lshrrev_b32_e32 v3, 16, v3
	v_cndmask_b32_e32 v14, 0x7fc0, v3, vcc_lo
	s_branch .LBB166_2804
.LBB166_2800:
	s_mov_b32 s15, -1
                                        ; implicit-def: $vgpr14
	s_branch .LBB166_2822
.LBB166_2801:
	s_mov_b32 s15, -1
                                        ; implicit-def: $vgpr14
	s_branch .LBB166_2810
.LBB166_2802:
	s_mov_b32 s15, -1
                                        ; implicit-def: $vgpr14
	s_branch .LBB166_2807
.LBB166_2803:
	s_mov_b32 s15, -1
                                        ; implicit-def: $vgpr14
.LBB166_2804:
	s_delay_alu instid0(SALU_CYCLE_1)
	s_and_not1_b32 vcc_lo, exec_lo, s15
	s_cbranch_vccnz .LBB166_2806
; %bb.2805:
	global_load_b32 v1, v[6:7], off
	s_wait_loadcnt 0x0
	v_bfe_u32 v3, v1, 16, 1
	v_cmp_o_f32_e32 vcc_lo, v1, v1
	s_delay_alu instid0(VALU_DEP_2) | instskip(NEXT) | instid1(VALU_DEP_1)
	v_add3_u32 v3, v1, v3, 0x7fff
	v_lshrrev_b32_e32 v3, 16, v3
	s_delay_alu instid0(VALU_DEP_1)
	v_cndmask_b32_e32 v14, 0x7fc0, v3, vcc_lo
.LBB166_2806:
	s_mov_b32 s15, 0
.LBB166_2807:
	s_delay_alu instid0(SALU_CYCLE_1)
	s_and_not1_b32 vcc_lo, exec_lo, s15
	s_cbranch_vccnz .LBB166_2809
; %bb.2808:
	global_load_b32 v1, v[6:7], off
	s_wait_loadcnt 0x0
	v_cvt_f32_f16_e32 v3, v1
	v_cmp_o_f16_e32 vcc_lo, v1, v1
	s_delay_alu instid0(VALU_DEP_2) | instskip(NEXT) | instid1(VALU_DEP_1)
	v_bfe_u32 v5, v3, 16, 1
	v_add3_u32 v3, v3, v5, 0x7fff
	s_delay_alu instid0(VALU_DEP_1) | instskip(NEXT) | instid1(VALU_DEP_1)
	v_lshrrev_b32_e32 v3, 16, v3
	v_cndmask_b32_e32 v14, 0x7fc0, v3, vcc_lo
.LBB166_2809:
	s_mov_b32 s15, 0
.LBB166_2810:
	s_delay_alu instid0(SALU_CYCLE_1)
	s_and_not1_b32 vcc_lo, exec_lo, s15
	s_cbranch_vccnz .LBB166_2821
; %bb.2811:
	s_cmp_lt_i32 s0, 6
	s_cbranch_scc1 .LBB166_2814
; %bb.2812:
	s_cmp_gt_i32 s0, 6
	s_cbranch_scc0 .LBB166_2815
; %bb.2813:
	s_wait_loadcnt 0x0
	global_load_b64 v[14:15], v[6:7], off
	s_mov_b32 s15, 0
	s_wait_loadcnt 0x0
	v_cvt_f32_f64_e32 v1, v[14:15]
	s_delay_alu instid0(VALU_DEP_1) | instskip(SKIP_1) | instid1(VALU_DEP_2)
	v_bfe_u32 v3, v1, 16, 1
	v_cmp_o_f32_e32 vcc_lo, v1, v1
	v_add3_u32 v3, v1, v3, 0x7fff
	s_delay_alu instid0(VALU_DEP_1) | instskip(NEXT) | instid1(VALU_DEP_1)
	v_lshrrev_b32_e32 v3, 16, v3
	v_cndmask_b32_e32 v14, 0x7fc0, v3, vcc_lo
	s_branch .LBB166_2816
.LBB166_2814:
	s_mov_b32 s15, -1
                                        ; implicit-def: $vgpr14
	s_branch .LBB166_2819
.LBB166_2815:
	s_mov_b32 s15, -1
                                        ; implicit-def: $vgpr14
.LBB166_2816:
	s_delay_alu instid0(SALU_CYCLE_1)
	s_and_not1_b32 vcc_lo, exec_lo, s15
	s_cbranch_vccnz .LBB166_2818
; %bb.2817:
	global_load_b32 v1, v[6:7], off
	s_wait_loadcnt 0x0
	v_bfe_u32 v3, v1, 16, 1
	v_cmp_o_f32_e32 vcc_lo, v1, v1
	s_delay_alu instid0(VALU_DEP_2) | instskip(NEXT) | instid1(VALU_DEP_1)
	v_add3_u32 v3, v1, v3, 0x7fff
	v_lshrrev_b32_e32 v3, 16, v3
	s_delay_alu instid0(VALU_DEP_1)
	v_cndmask_b32_e32 v14, 0x7fc0, v3, vcc_lo
.LBB166_2818:
	s_mov_b32 s15, 0
.LBB166_2819:
	s_delay_alu instid0(SALU_CYCLE_1)
	s_and_not1_b32 vcc_lo, exec_lo, s15
	s_cbranch_vccnz .LBB166_2821
; %bb.2820:
	global_load_u16 v1, v[6:7], off
	s_wait_loadcnt 0x0
	v_cvt_f32_f16_e32 v3, v1
	v_cmp_o_f16_e32 vcc_lo, v1, v1
	s_delay_alu instid0(VALU_DEP_2) | instskip(NEXT) | instid1(VALU_DEP_1)
	v_bfe_u32 v5, v3, 16, 1
	v_add3_u32 v3, v3, v5, 0x7fff
	s_delay_alu instid0(VALU_DEP_1) | instskip(NEXT) | instid1(VALU_DEP_1)
	v_lshrrev_b32_e32 v3, 16, v3
	v_cndmask_b32_e32 v14, 0x7fc0, v3, vcc_lo
.LBB166_2821:
	s_mov_b32 s15, 0
.LBB166_2822:
	s_delay_alu instid0(SALU_CYCLE_1)
	s_and_not1_b32 vcc_lo, exec_lo, s15
	s_cbranch_vccnz .LBB166_2842
; %bb.2823:
	s_cmp_lt_i32 s0, 2
	s_cbranch_scc1 .LBB166_2827
; %bb.2824:
	s_cmp_lt_i32 s0, 3
	s_cbranch_scc1 .LBB166_2828
; %bb.2825:
	s_cmp_gt_i32 s0, 3
	s_cbranch_scc0 .LBB166_2829
; %bb.2826:
	s_wait_loadcnt 0x0
	global_load_b64 v[14:15], v[6:7], off
	s_mov_b32 s15, 0
	s_wait_loadcnt 0x0
	v_xor_b32_e32 v1, v14, v15
	v_cls_i32_e32 v3, v15
	s_delay_alu instid0(VALU_DEP_2) | instskip(NEXT) | instid1(VALU_DEP_1)
	v_ashrrev_i32_e32 v1, 31, v1
	v_add_nc_u32_e32 v1, 32, v1
	s_delay_alu instid0(VALU_DEP_1) | instskip(NEXT) | instid1(VALU_DEP_1)
	v_add_min_u32_e64 v1, v3, -1, v1
	v_lshlrev_b64_e32 v[14:15], v1, v[14:15]
	v_sub_nc_u32_e32 v1, 32, v1
	s_delay_alu instid0(VALU_DEP_2) | instskip(NEXT) | instid1(VALU_DEP_1)
	v_min_u32_e32 v3, 1, v14
	v_or_b32_e32 v3, v15, v3
	s_delay_alu instid0(VALU_DEP_1) | instskip(NEXT) | instid1(VALU_DEP_1)
	v_cvt_f32_i32_e32 v3, v3
	v_ldexp_f32 v1, v3, v1
	s_delay_alu instid0(VALU_DEP_1) | instskip(NEXT) | instid1(VALU_DEP_1)
	v_bfe_u32 v3, v1, 16, 1
	v_add3_u32 v1, v1, v3, 0x7fff
	s_delay_alu instid0(VALU_DEP_1)
	v_lshrrev_b32_e32 v14, 16, v1
	s_branch .LBB166_2830
.LBB166_2827:
	s_mov_b32 s15, -1
                                        ; implicit-def: $vgpr14
	s_branch .LBB166_2836
.LBB166_2828:
	s_mov_b32 s15, -1
                                        ; implicit-def: $vgpr14
	s_branch .LBB166_2833
.LBB166_2829:
	s_mov_b32 s15, -1
                                        ; implicit-def: $vgpr14
.LBB166_2830:
	s_delay_alu instid0(SALU_CYCLE_1)
	s_and_not1_b32 vcc_lo, exec_lo, s15
	s_cbranch_vccnz .LBB166_2832
; %bb.2831:
	global_load_b32 v1, v[6:7], off
	s_wait_loadcnt 0x0
	v_cvt_f32_i32_e32 v1, v1
	s_delay_alu instid0(VALU_DEP_1) | instskip(NEXT) | instid1(VALU_DEP_1)
	v_bfe_u32 v3, v1, 16, 1
	v_add3_u32 v1, v1, v3, 0x7fff
	s_delay_alu instid0(VALU_DEP_1)
	v_lshrrev_b32_e32 v14, 16, v1
.LBB166_2832:
	s_mov_b32 s15, 0
.LBB166_2833:
	s_delay_alu instid0(SALU_CYCLE_1)
	s_and_not1_b32 vcc_lo, exec_lo, s15
	s_cbranch_vccnz .LBB166_2835
; %bb.2834:
	global_load_i16 v1, v[6:7], off
	s_wait_loadcnt 0x0
	v_cvt_f32_i32_e32 v1, v1
	s_delay_alu instid0(VALU_DEP_1) | instskip(NEXT) | instid1(VALU_DEP_1)
	v_bfe_u32 v3, v1, 16, 1
	v_add3_u32 v1, v1, v3, 0x7fff
	s_delay_alu instid0(VALU_DEP_1)
	v_lshrrev_b32_e32 v14, 16, v1
.LBB166_2835:
	s_mov_b32 s15, 0
.LBB166_2836:
	s_delay_alu instid0(SALU_CYCLE_1)
	s_and_not1_b32 vcc_lo, exec_lo, s15
	s_cbranch_vccnz .LBB166_2842
; %bb.2837:
	s_cmp_gt_i32 s0, 0
	s_mov_b32 s15, 0
	s_cbranch_scc0 .LBB166_2839
; %bb.2838:
	global_load_i8 v1, v[6:7], off
	s_wait_loadcnt 0x0
	v_cvt_f32_i32_e32 v1, v1
	s_delay_alu instid0(VALU_DEP_1) | instskip(NEXT) | instid1(VALU_DEP_1)
	v_bfe_u32 v3, v1, 16, 1
	v_add3_u32 v1, v1, v3, 0x7fff
	s_delay_alu instid0(VALU_DEP_1)
	v_lshrrev_b32_e32 v14, 16, v1
	s_branch .LBB166_2840
.LBB166_2839:
	s_mov_b32 s15, -1
                                        ; implicit-def: $vgpr14
.LBB166_2840:
	s_delay_alu instid0(SALU_CYCLE_1)
	s_and_not1_b32 vcc_lo, exec_lo, s15
	s_cbranch_vccnz .LBB166_2842
; %bb.2841:
	global_load_u8 v1, v[6:7], off
	s_wait_loadcnt 0x0
	v_cvt_f32_ubyte0_e32 v1, v1
	s_delay_alu instid0(VALU_DEP_1) | instskip(NEXT) | instid1(VALU_DEP_1)
	v_bfe_u32 v3, v1, 16, 1
	v_add3_u32 v1, v1, v3, 0x7fff
	s_delay_alu instid0(VALU_DEP_1)
	v_lshrrev_b32_e32 v14, 16, v1
.LBB166_2842:
	s_mov_b32 s21, -1
.LBB166_2843:
	s_delay_alu instid0(SALU_CYCLE_1)
	s_and_not1_b32 vcc_lo, exec_lo, s21
	s_cbranch_vccnz .LBB166_4065
; %bb.2844:
	v_add_nc_u32_e32 v0, s1, v0
	s_cmp_lt_i32 s17, 11
	s_delay_alu instid0(VALU_DEP_1) | instskip(SKIP_1) | instid1(VALU_DEP_1)
	v_ashrrev_i32_e32 v1, 31, v0
	s_wait_xcnt 0x0
	v_add_nc_u64_e32 v[6:7], s[6:7], v[0:1]
	s_cbranch_scc1 .LBB166_2851
; %bb.2845:
	s_and_b32 s15, 0xffff, s17
	s_mov_b32 s21, 0
	s_cmp_gt_i32 s15, 25
	s_cbranch_scc0 .LBB166_2852
; %bb.2846:
	s_cmp_gt_i32 s15, 28
	s_cbranch_scc0 .LBB166_2853
; %bb.2847:
	;; [unrolled: 3-line block ×4, first 2 shown]
	s_cmp_eq_u32 s15, 46
	s_mov_b32 s23, 0
	s_cbranch_scc0 .LBB166_2859
; %bb.2850:
	global_load_b32 v15, v[6:7], off
	s_mov_b32 s20, 0
	s_mov_b32 s22, -1
	s_branch .LBB166_2861
.LBB166_2851:
	s_mov_b32 s15, -1
	s_mov_b32 s22, 0
                                        ; implicit-def: $vgpr15
	s_branch .LBB166_2927
.LBB166_2852:
	s_mov_b32 s23, -1
	s_mov_b32 s22, 0
	s_mov_b32 s20, 0
                                        ; implicit-def: $vgpr15
	s_branch .LBB166_2890
.LBB166_2853:
	s_mov_b32 s23, -1
	s_mov_b32 s22, 0
	s_mov_b32 s20, 0
                                        ; implicit-def: $vgpr15
	s_branch .LBB166_2871
.LBB166_2854:
	s_mov_b32 s23, -1
	s_mov_b32 s22, 0
	s_mov_b32 s20, 0
                                        ; implicit-def: $vgpr15
	s_branch .LBB166_2866
.LBB166_2855:
	s_or_b32 s16, s16, exec_lo
	s_trap 2
	s_cbranch_execz .LBB166_2792
	s_branch .LBB166_2793
.LBB166_2856:
	s_mov_b32 s23, -1
	s_mov_b32 s22, 0
	s_mov_b32 s20, 0
	s_branch .LBB166_2860
.LBB166_2857:
	s_and_not1_saveexec_b32 s39, s39
	s_cbranch_execz .LBB166_1477
.LBB166_2858:
	v_add_f32_e64 v4, 0x42800000, |v5|
	s_and_not1_b32 s38, s38, exec_lo
	s_delay_alu instid0(VALU_DEP_1) | instskip(NEXT) | instid1(VALU_DEP_1)
	v_and_b32_e32 v4, 0xff, v4
	v_cmp_ne_u32_e32 vcc_lo, 0, v4
	s_and_b32 s40, vcc_lo, exec_lo
	s_delay_alu instid0(SALU_CYCLE_1)
	s_or_b32 s38, s38, s40
	s_or_b32 exec_lo, exec_lo, s39
	v_mov_b32_e32 v6, 0
	s_and_saveexec_b32 s39, s38
	s_cbranch_execnz .LBB166_1478
	s_branch .LBB166_1479
.LBB166_2859:
	s_mov_b32 s20, -1
	s_mov_b32 s22, 0
.LBB166_2860:
                                        ; implicit-def: $vgpr15
.LBB166_2861:
	s_and_b32 vcc_lo, exec_lo, s23
	s_cbranch_vccz .LBB166_2865
; %bb.2862:
	s_cmp_eq_u32 s15, 44
	s_cbranch_scc0 .LBB166_2864
; %bb.2863:
	global_load_u8 v1, v[6:7], off
	s_mov_b32 s20, 0
	s_mov_b32 s22, -1
	s_wait_loadcnt 0x0
	v_lshlrev_b32_e32 v3, 23, v1
	v_cmp_ne_u32_e32 vcc_lo, 0xff, v1
	s_delay_alu instid0(VALU_DEP_2) | instskip(SKIP_1) | instid1(VALU_DEP_2)
	v_cndmask_b32_e32 v3, 0x7f800001, v3, vcc_lo
	v_cmp_ne_u32_e32 vcc_lo, 0, v1
	v_cndmask_b32_e32 v1, 0x400000, v3, vcc_lo
	s_delay_alu instid0(VALU_DEP_1) | instskip(SKIP_1) | instid1(VALU_DEP_2)
	v_add_nc_u32_e32 v3, 0x7fff, v1
	v_cmp_o_f32_e32 vcc_lo, v1, v1
	v_lshrrev_b32_e32 v3, 16, v3
	s_delay_alu instid0(VALU_DEP_1)
	v_cndmask_b32_e32 v15, 0x7fc0, v3, vcc_lo
	s_branch .LBB166_2865
.LBB166_2864:
	s_mov_b32 s20, -1
                                        ; implicit-def: $vgpr15
.LBB166_2865:
	s_mov_b32 s23, 0
.LBB166_2866:
	s_delay_alu instid0(SALU_CYCLE_1)
	s_and_b32 vcc_lo, exec_lo, s23
	s_cbranch_vccz .LBB166_2870
; %bb.2867:
	s_cmp_eq_u32 s15, 29
	s_cbranch_scc0 .LBB166_2869
; %bb.2868:
	global_load_b64 v[16:17], v[6:7], off
	s_mov_b32 s20, 0
	s_mov_b32 s22, -1
	s_mov_b32 s23, 0
	s_wait_loadcnt 0x0
	v_clz_i32_u32_e32 v1, v17
	s_delay_alu instid0(VALU_DEP_1) | instskip(NEXT) | instid1(VALU_DEP_1)
	v_min_u32_e32 v1, 32, v1
	v_lshlrev_b64_e32 v[16:17], v1, v[16:17]
	v_sub_nc_u32_e32 v1, 32, v1
	s_delay_alu instid0(VALU_DEP_2) | instskip(NEXT) | instid1(VALU_DEP_1)
	v_min_u32_e32 v3, 1, v16
	v_or_b32_e32 v3, v17, v3
	s_delay_alu instid0(VALU_DEP_1) | instskip(NEXT) | instid1(VALU_DEP_1)
	v_cvt_f32_u32_e32 v3, v3
	v_ldexp_f32 v1, v3, v1
	s_delay_alu instid0(VALU_DEP_1) | instskip(NEXT) | instid1(VALU_DEP_1)
	v_bfe_u32 v3, v1, 16, 1
	v_add3_u32 v1, v1, v3, 0x7fff
	s_delay_alu instid0(VALU_DEP_1)
	v_lshrrev_b32_e32 v15, 16, v1
	s_branch .LBB166_2871
.LBB166_2869:
	s_mov_b32 s20, -1
                                        ; implicit-def: $vgpr15
.LBB166_2870:
	s_mov_b32 s23, 0
.LBB166_2871:
	s_delay_alu instid0(SALU_CYCLE_1)
	s_and_b32 vcc_lo, exec_lo, s23
	s_cbranch_vccz .LBB166_2889
; %bb.2872:
	s_cmp_lt_i32 s15, 27
	s_cbranch_scc1 .LBB166_2875
; %bb.2873:
	s_cmp_gt_i32 s15, 27
	s_cbranch_scc0 .LBB166_2876
; %bb.2874:
	global_load_b32 v1, v[6:7], off
	s_mov_b32 s22, 0
	s_wait_loadcnt 0x0
	v_cvt_f32_u32_e32 v1, v1
	s_delay_alu instid0(VALU_DEP_1) | instskip(NEXT) | instid1(VALU_DEP_1)
	v_bfe_u32 v3, v1, 16, 1
	v_add3_u32 v1, v1, v3, 0x7fff
	s_delay_alu instid0(VALU_DEP_1)
	v_lshrrev_b32_e32 v15, 16, v1
	s_branch .LBB166_2877
.LBB166_2875:
	s_mov_b32 s22, -1
                                        ; implicit-def: $vgpr15
	s_branch .LBB166_2880
.LBB166_2876:
	s_mov_b32 s22, -1
                                        ; implicit-def: $vgpr15
.LBB166_2877:
	s_delay_alu instid0(SALU_CYCLE_1)
	s_and_not1_b32 vcc_lo, exec_lo, s22
	s_cbranch_vccnz .LBB166_2879
; %bb.2878:
	global_load_u16 v1, v[6:7], off
	s_wait_loadcnt 0x0
	v_cvt_f32_u32_e32 v1, v1
	s_delay_alu instid0(VALU_DEP_1) | instskip(NEXT) | instid1(VALU_DEP_1)
	v_bfe_u32 v3, v1, 16, 1
	v_add3_u32 v1, v1, v3, 0x7fff
	s_delay_alu instid0(VALU_DEP_1)
	v_lshrrev_b32_e32 v15, 16, v1
.LBB166_2879:
	s_mov_b32 s22, 0
.LBB166_2880:
	s_delay_alu instid0(SALU_CYCLE_1)
	s_and_not1_b32 vcc_lo, exec_lo, s22
	s_cbranch_vccnz .LBB166_2888
; %bb.2881:
	global_load_u8 v1, v[6:7], off
	s_mov_b32 s22, 0
	s_mov_b32 s23, exec_lo
	s_wait_loadcnt 0x0
	v_cmpx_lt_i16_e32 0x7f, v1
	s_xor_b32 s23, exec_lo, s23
	s_cbranch_execz .LBB166_2902
; %bb.2882:
	s_mov_b32 s22, -1
	s_mov_b32 s24, exec_lo
	v_cmpx_eq_u16_e32 0x80, v1
; %bb.2883:
	s_xor_b32 s22, exec_lo, -1
; %bb.2884:
	s_or_b32 exec_lo, exec_lo, s24
	s_delay_alu instid0(SALU_CYCLE_1)
	s_and_b32 s22, s22, exec_lo
	s_or_saveexec_b32 s23, s23
	v_mov_b32_e32 v3, 0x7f800001
	s_xor_b32 exec_lo, exec_lo, s23
	s_cbranch_execnz .LBB166_2903
.LBB166_2885:
	s_or_b32 exec_lo, exec_lo, s23
	s_and_saveexec_b32 s23, s22
	s_cbranch_execz .LBB166_2887
.LBB166_2886:
	v_and_b32_e32 v3, 0xffff, v1
	s_delay_alu instid0(VALU_DEP_1) | instskip(SKIP_1) | instid1(VALU_DEP_2)
	v_dual_lshlrev_b32 v1, 24, v1 :: v_dual_bitop2_b32 v5, 7, v3 bitop3:0x40
	v_bfe_u32 v17, v3, 3, 4
	v_and_b32_e32 v1, 0x80000000, v1
	s_delay_alu instid0(VALU_DEP_3) | instskip(NEXT) | instid1(VALU_DEP_3)
	v_clz_i32_u32_e32 v15, v5
	v_cmp_eq_u32_e32 vcc_lo, 0, v17
	s_delay_alu instid0(VALU_DEP_2) | instskip(NEXT) | instid1(VALU_DEP_1)
	v_min_u32_e32 v15, 32, v15
	v_subrev_nc_u32_e32 v16, 28, v15
	v_sub_nc_u32_e32 v15, 29, v15
	s_delay_alu instid0(VALU_DEP_2) | instskip(NEXT) | instid1(VALU_DEP_2)
	v_lshlrev_b32_e32 v3, v16, v3
	v_cndmask_b32_e32 v15, v17, v15, vcc_lo
	s_delay_alu instid0(VALU_DEP_2) | instskip(NEXT) | instid1(VALU_DEP_1)
	v_and_b32_e32 v3, 7, v3
	v_cndmask_b32_e32 v3, v5, v3, vcc_lo
	s_delay_alu instid0(VALU_DEP_3) | instskip(NEXT) | instid1(VALU_DEP_2)
	v_lshl_add_u32 v5, v15, 23, 0x3b800000
	v_lshlrev_b32_e32 v3, 20, v3
	s_delay_alu instid0(VALU_DEP_1)
	v_or3_b32 v3, v1, v5, v3
.LBB166_2887:
	s_or_b32 exec_lo, exec_lo, s23
	s_delay_alu instid0(VALU_DEP_1) | instskip(SKIP_1) | instid1(VALU_DEP_2)
	v_bfe_u32 v1, v3, 16, 1
	v_cmp_o_f32_e32 vcc_lo, v3, v3
	v_add3_u32 v1, v3, v1, 0x7fff
	s_delay_alu instid0(VALU_DEP_1) | instskip(NEXT) | instid1(VALU_DEP_1)
	v_lshrrev_b32_e32 v1, 16, v1
	v_cndmask_b32_e32 v15, 0x7fc0, v1, vcc_lo
.LBB166_2888:
	s_mov_b32 s22, -1
.LBB166_2889:
	s_mov_b32 s23, 0
.LBB166_2890:
	s_delay_alu instid0(SALU_CYCLE_1)
	s_and_b32 vcc_lo, exec_lo, s23
	s_cbranch_vccz .LBB166_2923
; %bb.2891:
	s_cmp_gt_i32 s15, 22
	s_cbranch_scc0 .LBB166_2901
; %bb.2892:
	s_cmp_lt_i32 s15, 24
	s_cbranch_scc1 .LBB166_2904
; %bb.2893:
	s_cmp_gt_i32 s15, 24
	s_cbranch_scc0 .LBB166_2905
; %bb.2894:
	global_load_u8 v1, v[6:7], off
	s_mov_b32 s22, exec_lo
	s_wait_loadcnt 0x0
	v_cmpx_lt_i16_e32 0x7f, v1
	s_xor_b32 s22, exec_lo, s22
	s_cbranch_execz .LBB166_2917
; %bb.2895:
	s_mov_b32 s21, -1
	s_mov_b32 s23, exec_lo
	v_cmpx_eq_u16_e32 0x80, v1
; %bb.2896:
	s_xor_b32 s21, exec_lo, -1
; %bb.2897:
	s_or_b32 exec_lo, exec_lo, s23
	s_delay_alu instid0(SALU_CYCLE_1)
	s_and_b32 s21, s21, exec_lo
	s_or_saveexec_b32 s22, s22
	v_mov_b32_e32 v3, 0x7f800001
	s_xor_b32 exec_lo, exec_lo, s22
	s_cbranch_execnz .LBB166_2918
.LBB166_2898:
	s_or_b32 exec_lo, exec_lo, s22
	s_and_saveexec_b32 s22, s21
	s_cbranch_execz .LBB166_2900
.LBB166_2899:
	v_and_b32_e32 v3, 0xffff, v1
	s_delay_alu instid0(VALU_DEP_1) | instskip(SKIP_1) | instid1(VALU_DEP_2)
	v_dual_lshlrev_b32 v1, 24, v1 :: v_dual_bitop2_b32 v5, 3, v3 bitop3:0x40
	v_bfe_u32 v17, v3, 2, 5
	v_and_b32_e32 v1, 0x80000000, v1
	s_delay_alu instid0(VALU_DEP_3) | instskip(NEXT) | instid1(VALU_DEP_3)
	v_clz_i32_u32_e32 v15, v5
	v_cmp_eq_u32_e32 vcc_lo, 0, v17
	s_delay_alu instid0(VALU_DEP_2) | instskip(NEXT) | instid1(VALU_DEP_1)
	v_min_u32_e32 v15, 32, v15
	v_subrev_nc_u32_e32 v16, 29, v15
	v_sub_nc_u32_e32 v15, 30, v15
	s_delay_alu instid0(VALU_DEP_2) | instskip(NEXT) | instid1(VALU_DEP_2)
	v_lshlrev_b32_e32 v3, v16, v3
	v_cndmask_b32_e32 v15, v17, v15, vcc_lo
	s_delay_alu instid0(VALU_DEP_2) | instskip(NEXT) | instid1(VALU_DEP_1)
	v_and_b32_e32 v3, 3, v3
	v_cndmask_b32_e32 v3, v5, v3, vcc_lo
	s_delay_alu instid0(VALU_DEP_3) | instskip(NEXT) | instid1(VALU_DEP_2)
	v_lshl_add_u32 v5, v15, 23, 0x37800000
	v_lshlrev_b32_e32 v3, 21, v3
	s_delay_alu instid0(VALU_DEP_1)
	v_or3_b32 v3, v1, v5, v3
.LBB166_2900:
	s_or_b32 exec_lo, exec_lo, s22
	s_delay_alu instid0(VALU_DEP_1) | instskip(SKIP_2) | instid1(VALU_DEP_2)
	v_bfe_u32 v1, v3, 16, 1
	v_cmp_o_f32_e32 vcc_lo, v3, v3
	s_mov_b32 s21, 0
	v_add3_u32 v1, v3, v1, 0x7fff
	s_delay_alu instid0(VALU_DEP_1) | instskip(NEXT) | instid1(VALU_DEP_1)
	v_lshrrev_b32_e32 v1, 16, v1
	v_cndmask_b32_e32 v15, 0x7fc0, v1, vcc_lo
	s_branch .LBB166_2906
.LBB166_2901:
	s_mov_b32 s21, -1
                                        ; implicit-def: $vgpr15
	s_branch .LBB166_2912
.LBB166_2902:
	s_or_saveexec_b32 s23, s23
	v_mov_b32_e32 v3, 0x7f800001
	s_xor_b32 exec_lo, exec_lo, s23
	s_cbranch_execz .LBB166_2885
.LBB166_2903:
	v_cmp_ne_u16_e32 vcc_lo, 0, v1
	v_mov_b32_e32 v3, 0
	s_and_not1_b32 s22, s22, exec_lo
	s_and_b32 s24, vcc_lo, exec_lo
	s_delay_alu instid0(SALU_CYCLE_1)
	s_or_b32 s22, s22, s24
	s_or_b32 exec_lo, exec_lo, s23
	s_and_saveexec_b32 s23, s22
	s_cbranch_execnz .LBB166_2886
	s_branch .LBB166_2887
.LBB166_2904:
	s_mov_b32 s21, -1
                                        ; implicit-def: $vgpr15
	s_branch .LBB166_2909
.LBB166_2905:
	s_mov_b32 s21, -1
                                        ; implicit-def: $vgpr15
.LBB166_2906:
	s_delay_alu instid0(SALU_CYCLE_1)
	s_and_b32 vcc_lo, exec_lo, s21
	s_cbranch_vccz .LBB166_2908
; %bb.2907:
	global_load_u8 v1, v[6:7], off
	s_wait_loadcnt 0x0
	v_lshlrev_b32_e32 v1, 24, v1
	s_delay_alu instid0(VALU_DEP_1) | instskip(NEXT) | instid1(VALU_DEP_1)
	v_and_b32_e32 v3, 0x7f000000, v1
	v_clz_i32_u32_e32 v5, v3
	v_cmp_ne_u32_e32 vcc_lo, 0, v3
	v_add_nc_u32_e32 v16, 0x1000000, v3
	s_delay_alu instid0(VALU_DEP_3) | instskip(NEXT) | instid1(VALU_DEP_1)
	v_min_u32_e32 v5, 32, v5
	v_sub_nc_u32_e64 v5, v5, 4 clamp
	s_delay_alu instid0(VALU_DEP_1) | instskip(NEXT) | instid1(VALU_DEP_1)
	v_dual_lshlrev_b32 v15, v5, v3 :: v_dual_lshlrev_b32 v5, 23, v5
	v_lshrrev_b32_e32 v15, 4, v15
	s_delay_alu instid0(VALU_DEP_1) | instskip(NEXT) | instid1(VALU_DEP_1)
	v_dual_sub_nc_u32 v5, v15, v5 :: v_dual_ashrrev_i32 v15, 8, v16
	v_add_nc_u32_e32 v5, 0x3c000000, v5
	s_delay_alu instid0(VALU_DEP_1) | instskip(NEXT) | instid1(VALU_DEP_1)
	v_and_or_b32 v5, 0x7f800000, v15, v5
	v_cndmask_b32_e32 v3, 0, v5, vcc_lo
	s_delay_alu instid0(VALU_DEP_1) | instskip(SKIP_1) | instid1(VALU_DEP_2)
	v_and_or_b32 v1, 0x80000000, v1, v3
	v_bfe_u32 v3, v3, 16, 1
	v_cmp_o_f32_e32 vcc_lo, v1, v1
	s_delay_alu instid0(VALU_DEP_2) | instskip(NEXT) | instid1(VALU_DEP_1)
	v_add3_u32 v3, v1, v3, 0x7fff
	v_lshrrev_b32_e32 v3, 16, v3
	s_delay_alu instid0(VALU_DEP_1)
	v_cndmask_b32_e32 v15, 0x7fc0, v3, vcc_lo
.LBB166_2908:
	s_mov_b32 s21, 0
.LBB166_2909:
	s_delay_alu instid0(SALU_CYCLE_1)
	s_and_not1_b32 vcc_lo, exec_lo, s21
	s_cbranch_vccnz .LBB166_2911
; %bb.2910:
	global_load_u8 v1, v[6:7], off
	s_wait_loadcnt 0x0
	v_lshlrev_b32_e32 v3, 25, v1
	v_lshlrev_b16 v1, 8, v1
	s_delay_alu instid0(VALU_DEP_1) | instskip(SKIP_1) | instid1(VALU_DEP_2)
	v_and_or_b32 v15, 0x7f00, v1, 0.5
	v_bfe_i32 v1, v1, 0, 16
	v_add_f32_e32 v15, -0.5, v15
	v_lshrrev_b32_e32 v5, 4, v3
	v_cmp_gt_u32_e32 vcc_lo, 0x8000000, v3
	s_delay_alu instid0(VALU_DEP_2) | instskip(NEXT) | instid1(VALU_DEP_1)
	v_or_b32_e32 v5, 0x70000000, v5
	v_mul_f32_e32 v5, 0x7800000, v5
	s_delay_alu instid0(VALU_DEP_1) | instskip(NEXT) | instid1(VALU_DEP_1)
	v_cndmask_b32_e32 v3, v5, v15, vcc_lo
	v_and_or_b32 v1, 0x80000000, v1, v3
	v_bfe_u32 v3, v3, 16, 1
	s_delay_alu instid0(VALU_DEP_2) | instskip(NEXT) | instid1(VALU_DEP_2)
	v_cmp_o_f32_e32 vcc_lo, v1, v1
	v_add3_u32 v3, v1, v3, 0x7fff
	s_delay_alu instid0(VALU_DEP_1) | instskip(NEXT) | instid1(VALU_DEP_1)
	v_lshrrev_b32_e32 v3, 16, v3
	v_cndmask_b32_e32 v15, 0x7fc0, v3, vcc_lo
.LBB166_2911:
	s_mov_b32 s21, 0
	s_mov_b32 s22, -1
.LBB166_2912:
	s_and_not1_b32 vcc_lo, exec_lo, s21
	s_mov_b32 s21, 0
	s_cbranch_vccnz .LBB166_2923
; %bb.2913:
	s_cmp_gt_i32 s15, 14
	s_cbranch_scc0 .LBB166_2916
; %bb.2914:
	s_cmp_eq_u32 s15, 15
	s_cbranch_scc0 .LBB166_2919
; %bb.2915:
	s_wait_loadcnt 0x0
	global_load_u16 v15, v[6:7], off
	s_mov_b32 s20, 0
	s_mov_b32 s22, -1
	s_branch .LBB166_2921
.LBB166_2916:
	s_mov_b32 s21, -1
	s_branch .LBB166_2920
.LBB166_2917:
	s_or_saveexec_b32 s22, s22
	v_mov_b32_e32 v3, 0x7f800001
	s_xor_b32 exec_lo, exec_lo, s22
	s_cbranch_execz .LBB166_2898
.LBB166_2918:
	v_cmp_ne_u16_e32 vcc_lo, 0, v1
	v_mov_b32_e32 v3, 0
	s_and_not1_b32 s21, s21, exec_lo
	s_and_b32 s23, vcc_lo, exec_lo
	s_delay_alu instid0(SALU_CYCLE_1)
	s_or_b32 s21, s21, s23
	s_or_b32 exec_lo, exec_lo, s22
	s_and_saveexec_b32 s22, s21
	s_cbranch_execnz .LBB166_2899
	s_branch .LBB166_2900
.LBB166_2919:
	s_mov_b32 s20, -1
.LBB166_2920:
                                        ; implicit-def: $vgpr15
.LBB166_2921:
	s_and_b32 vcc_lo, exec_lo, s21
	s_mov_b32 s21, 0
	s_cbranch_vccz .LBB166_2923
; %bb.2922:
	s_cmp_lg_u32 s15, 11
	s_mov_b32 s21, -1
	s_cselect_b32 s20, -1, 0
.LBB166_2923:
	s_delay_alu instid0(SALU_CYCLE_1)
	s_and_b32 vcc_lo, exec_lo, s20
	s_cbranch_vccnz .LBB166_2988
; %bb.2924:
	s_and_not1_b32 vcc_lo, exec_lo, s21
	s_cbranch_vccnz .LBB166_2926
.LBB166_2925:
	global_load_u8 v1, v[6:7], off
	s_mov_b32 s22, -1
	s_wait_loadcnt 0x0
	v_cmp_ne_u16_e32 vcc_lo, 0, v1
	v_cndmask_b32_e64 v1, 0, 1.0, vcc_lo
	s_delay_alu instid0(VALU_DEP_1)
	v_lshrrev_b32_e32 v15, 16, v1
.LBB166_2926:
	s_mov_b32 s15, 0
.LBB166_2927:
	s_delay_alu instid0(SALU_CYCLE_1)
	s_and_b32 vcc_lo, exec_lo, s15
	s_cbranch_vccz .LBB166_2976
; %bb.2928:
	s_and_b32 s15, 0xffff, s17
	s_delay_alu instid0(SALU_CYCLE_1)
	s_cmp_lt_i32 s15, 5
	s_cbranch_scc1 .LBB166_2933
; %bb.2929:
	s_cmp_lt_i32 s15, 8
	s_cbranch_scc1 .LBB166_2934
; %bb.2930:
	;; [unrolled: 3-line block ×3, first 2 shown]
	s_cmp_gt_i32 s15, 9
	s_cbranch_scc0 .LBB166_2936
; %bb.2932:
	global_load_b64 v[16:17], v[6:7], off
	s_mov_b32 s20, 0
	s_wait_loadcnt 0x0
	v_cvt_f32_f64_e32 v1, v[16:17]
	s_delay_alu instid0(VALU_DEP_1) | instskip(SKIP_1) | instid1(VALU_DEP_2)
	v_bfe_u32 v3, v1, 16, 1
	v_cmp_o_f32_e32 vcc_lo, v1, v1
	v_add3_u32 v3, v1, v3, 0x7fff
	s_delay_alu instid0(VALU_DEP_1) | instskip(NEXT) | instid1(VALU_DEP_1)
	v_lshrrev_b32_e32 v3, 16, v3
	v_cndmask_b32_e32 v15, 0x7fc0, v3, vcc_lo
	s_branch .LBB166_2937
.LBB166_2933:
	s_mov_b32 s20, -1
                                        ; implicit-def: $vgpr15
	s_branch .LBB166_2955
.LBB166_2934:
	s_mov_b32 s20, -1
                                        ; implicit-def: $vgpr15
	s_branch .LBB166_2943
.LBB166_2935:
	s_mov_b32 s20, -1
                                        ; implicit-def: $vgpr15
	s_branch .LBB166_2940
.LBB166_2936:
	s_mov_b32 s20, -1
                                        ; implicit-def: $vgpr15
.LBB166_2937:
	s_delay_alu instid0(SALU_CYCLE_1)
	s_and_not1_b32 vcc_lo, exec_lo, s20
	s_cbranch_vccnz .LBB166_2939
; %bb.2938:
	global_load_b32 v1, v[6:7], off
	s_wait_loadcnt 0x0
	v_bfe_u32 v3, v1, 16, 1
	v_cmp_o_f32_e32 vcc_lo, v1, v1
	s_delay_alu instid0(VALU_DEP_2) | instskip(NEXT) | instid1(VALU_DEP_1)
	v_add3_u32 v3, v1, v3, 0x7fff
	v_lshrrev_b32_e32 v3, 16, v3
	s_delay_alu instid0(VALU_DEP_1)
	v_cndmask_b32_e32 v15, 0x7fc0, v3, vcc_lo
.LBB166_2939:
	s_mov_b32 s20, 0
.LBB166_2940:
	s_delay_alu instid0(SALU_CYCLE_1)
	s_and_not1_b32 vcc_lo, exec_lo, s20
	s_cbranch_vccnz .LBB166_2942
; %bb.2941:
	global_load_b32 v1, v[6:7], off
	s_wait_loadcnt 0x0
	v_cvt_f32_f16_e32 v3, v1
	v_cmp_o_f16_e32 vcc_lo, v1, v1
	s_delay_alu instid0(VALU_DEP_2) | instskip(NEXT) | instid1(VALU_DEP_1)
	v_bfe_u32 v5, v3, 16, 1
	v_add3_u32 v3, v3, v5, 0x7fff
	s_delay_alu instid0(VALU_DEP_1) | instskip(NEXT) | instid1(VALU_DEP_1)
	v_lshrrev_b32_e32 v3, 16, v3
	v_cndmask_b32_e32 v15, 0x7fc0, v3, vcc_lo
.LBB166_2942:
	s_mov_b32 s20, 0
.LBB166_2943:
	s_delay_alu instid0(SALU_CYCLE_1)
	s_and_not1_b32 vcc_lo, exec_lo, s20
	s_cbranch_vccnz .LBB166_2954
; %bb.2944:
	s_cmp_lt_i32 s15, 6
	s_cbranch_scc1 .LBB166_2947
; %bb.2945:
	s_cmp_gt_i32 s15, 6
	s_cbranch_scc0 .LBB166_2948
; %bb.2946:
	global_load_b64 v[16:17], v[6:7], off
	s_mov_b32 s20, 0
	s_wait_loadcnt 0x0
	v_cvt_f32_f64_e32 v1, v[16:17]
	s_delay_alu instid0(VALU_DEP_1) | instskip(SKIP_1) | instid1(VALU_DEP_2)
	v_bfe_u32 v3, v1, 16, 1
	v_cmp_o_f32_e32 vcc_lo, v1, v1
	v_add3_u32 v3, v1, v3, 0x7fff
	s_delay_alu instid0(VALU_DEP_1) | instskip(NEXT) | instid1(VALU_DEP_1)
	v_lshrrev_b32_e32 v3, 16, v3
	v_cndmask_b32_e32 v15, 0x7fc0, v3, vcc_lo
	s_branch .LBB166_2949
.LBB166_2947:
	s_mov_b32 s20, -1
                                        ; implicit-def: $vgpr15
	s_branch .LBB166_2952
.LBB166_2948:
	s_mov_b32 s20, -1
                                        ; implicit-def: $vgpr15
.LBB166_2949:
	s_delay_alu instid0(SALU_CYCLE_1)
	s_and_not1_b32 vcc_lo, exec_lo, s20
	s_cbranch_vccnz .LBB166_2951
; %bb.2950:
	global_load_b32 v1, v[6:7], off
	s_wait_loadcnt 0x0
	v_bfe_u32 v3, v1, 16, 1
	v_cmp_o_f32_e32 vcc_lo, v1, v1
	s_delay_alu instid0(VALU_DEP_2) | instskip(NEXT) | instid1(VALU_DEP_1)
	v_add3_u32 v3, v1, v3, 0x7fff
	v_lshrrev_b32_e32 v3, 16, v3
	s_delay_alu instid0(VALU_DEP_1)
	v_cndmask_b32_e32 v15, 0x7fc0, v3, vcc_lo
.LBB166_2951:
	s_mov_b32 s20, 0
.LBB166_2952:
	s_delay_alu instid0(SALU_CYCLE_1)
	s_and_not1_b32 vcc_lo, exec_lo, s20
	s_cbranch_vccnz .LBB166_2954
; %bb.2953:
	global_load_u16 v1, v[6:7], off
	s_wait_loadcnt 0x0
	v_cvt_f32_f16_e32 v3, v1
	v_cmp_o_f16_e32 vcc_lo, v1, v1
	s_delay_alu instid0(VALU_DEP_2) | instskip(NEXT) | instid1(VALU_DEP_1)
	v_bfe_u32 v5, v3, 16, 1
	v_add3_u32 v3, v3, v5, 0x7fff
	s_delay_alu instid0(VALU_DEP_1) | instskip(NEXT) | instid1(VALU_DEP_1)
	v_lshrrev_b32_e32 v3, 16, v3
	v_cndmask_b32_e32 v15, 0x7fc0, v3, vcc_lo
.LBB166_2954:
	s_mov_b32 s20, 0
.LBB166_2955:
	s_delay_alu instid0(SALU_CYCLE_1)
	s_and_not1_b32 vcc_lo, exec_lo, s20
	s_cbranch_vccnz .LBB166_2975
; %bb.2956:
	s_cmp_lt_i32 s15, 2
	s_cbranch_scc1 .LBB166_2960
; %bb.2957:
	s_cmp_lt_i32 s15, 3
	s_cbranch_scc1 .LBB166_2961
; %bb.2958:
	s_cmp_gt_i32 s15, 3
	s_cbranch_scc0 .LBB166_2962
; %bb.2959:
	global_load_b64 v[16:17], v[6:7], off
	s_mov_b32 s20, 0
	s_wait_loadcnt 0x0
	v_xor_b32_e32 v1, v16, v17
	v_cls_i32_e32 v3, v17
	s_delay_alu instid0(VALU_DEP_2) | instskip(NEXT) | instid1(VALU_DEP_1)
	v_ashrrev_i32_e32 v1, 31, v1
	v_add_nc_u32_e32 v1, 32, v1
	s_delay_alu instid0(VALU_DEP_1) | instskip(NEXT) | instid1(VALU_DEP_1)
	v_add_min_u32_e64 v1, v3, -1, v1
	v_lshlrev_b64_e32 v[16:17], v1, v[16:17]
	v_sub_nc_u32_e32 v1, 32, v1
	s_delay_alu instid0(VALU_DEP_2) | instskip(NEXT) | instid1(VALU_DEP_1)
	v_min_u32_e32 v3, 1, v16
	v_or_b32_e32 v3, v17, v3
	s_delay_alu instid0(VALU_DEP_1) | instskip(NEXT) | instid1(VALU_DEP_1)
	v_cvt_f32_i32_e32 v3, v3
	v_ldexp_f32 v1, v3, v1
	s_delay_alu instid0(VALU_DEP_1) | instskip(NEXT) | instid1(VALU_DEP_1)
	v_bfe_u32 v3, v1, 16, 1
	v_add3_u32 v1, v1, v3, 0x7fff
	s_delay_alu instid0(VALU_DEP_1)
	v_lshrrev_b32_e32 v15, 16, v1
	s_branch .LBB166_2963
.LBB166_2960:
	s_mov_b32 s20, -1
                                        ; implicit-def: $vgpr15
	s_branch .LBB166_2969
.LBB166_2961:
	s_mov_b32 s20, -1
                                        ; implicit-def: $vgpr15
	s_branch .LBB166_2966
.LBB166_2962:
	s_mov_b32 s20, -1
                                        ; implicit-def: $vgpr15
.LBB166_2963:
	s_delay_alu instid0(SALU_CYCLE_1)
	s_and_not1_b32 vcc_lo, exec_lo, s20
	s_cbranch_vccnz .LBB166_2965
; %bb.2964:
	global_load_b32 v1, v[6:7], off
	s_wait_loadcnt 0x0
	v_cvt_f32_i32_e32 v1, v1
	s_delay_alu instid0(VALU_DEP_1) | instskip(NEXT) | instid1(VALU_DEP_1)
	v_bfe_u32 v3, v1, 16, 1
	v_add3_u32 v1, v1, v3, 0x7fff
	s_delay_alu instid0(VALU_DEP_1)
	v_lshrrev_b32_e32 v15, 16, v1
.LBB166_2965:
	s_mov_b32 s20, 0
.LBB166_2966:
	s_delay_alu instid0(SALU_CYCLE_1)
	s_and_not1_b32 vcc_lo, exec_lo, s20
	s_cbranch_vccnz .LBB166_2968
; %bb.2967:
	global_load_i16 v1, v[6:7], off
	s_wait_loadcnt 0x0
	v_cvt_f32_i32_e32 v1, v1
	s_delay_alu instid0(VALU_DEP_1) | instskip(NEXT) | instid1(VALU_DEP_1)
	v_bfe_u32 v3, v1, 16, 1
	v_add3_u32 v1, v1, v3, 0x7fff
	s_delay_alu instid0(VALU_DEP_1)
	v_lshrrev_b32_e32 v15, 16, v1
.LBB166_2968:
	s_mov_b32 s20, 0
.LBB166_2969:
	s_delay_alu instid0(SALU_CYCLE_1)
	s_and_not1_b32 vcc_lo, exec_lo, s20
	s_cbranch_vccnz .LBB166_2975
; %bb.2970:
	s_cmp_gt_i32 s15, 0
	s_mov_b32 s15, 0
	s_cbranch_scc0 .LBB166_2972
; %bb.2971:
	global_load_i8 v1, v[6:7], off
	s_wait_loadcnt 0x0
	v_cvt_f32_i32_e32 v1, v1
	s_delay_alu instid0(VALU_DEP_1) | instskip(NEXT) | instid1(VALU_DEP_1)
	v_bfe_u32 v3, v1, 16, 1
	v_add3_u32 v1, v1, v3, 0x7fff
	s_delay_alu instid0(VALU_DEP_1)
	v_lshrrev_b32_e32 v15, 16, v1
	s_branch .LBB166_2973
.LBB166_2972:
	s_mov_b32 s15, -1
                                        ; implicit-def: $vgpr15
.LBB166_2973:
	s_delay_alu instid0(SALU_CYCLE_1)
	s_and_not1_b32 vcc_lo, exec_lo, s15
	s_cbranch_vccnz .LBB166_2975
; %bb.2974:
	global_load_u8 v1, v[6:7], off
	s_wait_loadcnt 0x0
	v_cvt_f32_ubyte0_e32 v1, v1
	s_delay_alu instid0(VALU_DEP_1) | instskip(NEXT) | instid1(VALU_DEP_1)
	v_bfe_u32 v3, v1, 16, 1
	v_add3_u32 v1, v1, v3, 0x7fff
	s_delay_alu instid0(VALU_DEP_1)
	v_lshrrev_b32_e32 v15, 16, v1
.LBB166_2975:
	s_mov_b32 s22, -1
.LBB166_2976:
	s_delay_alu instid0(SALU_CYCLE_1)
	s_and_not1_b32 vcc_lo, exec_lo, s22
	s_cbranch_vccnz .LBB166_4065
; %bb.2977:
	v_add_nc_u32_e32 v2, s13, v2
	s_cmp_lt_i32 s3, 11
	s_delay_alu instid0(VALU_DEP_1) | instskip(SKIP_1) | instid1(VALU_DEP_1)
	v_ashrrev_i32_e32 v3, 31, v2
	s_wait_xcnt 0x0
	v_add_nc_u64_e32 v[6:7], s[8:9], v[2:3]
	s_cbranch_scc1 .LBB166_2984
; %bb.2978:
	s_and_b32 s15, 0xffff, s3
	s_mov_b32 s21, 0
	s_cmp_gt_i32 s15, 25
	s_cbranch_scc0 .LBB166_2985
; %bb.2979:
	s_cmp_gt_i32 s15, 28
	s_cbranch_scc0 .LBB166_2986
; %bb.2980:
	;; [unrolled: 3-line block ×4, first 2 shown]
	s_cmp_eq_u32 s15, 46
	s_mov_b32 s23, 0
	s_cbranch_scc0 .LBB166_2990
; %bb.2983:
	global_load_b32 v16, v[6:7], off
	s_mov_b32 s20, 0
	s_mov_b32 s22, -1
	s_branch .LBB166_2992
.LBB166_2984:
	s_mov_b32 s15, -1
	s_mov_b32 s22, 0
                                        ; implicit-def: $vgpr16
	s_branch .LBB166_3058
.LBB166_2985:
	s_mov_b32 s23, -1
	s_mov_b32 s22, 0
	s_mov_b32 s20, 0
                                        ; implicit-def: $vgpr16
	s_branch .LBB166_3021
.LBB166_2986:
	s_mov_b32 s23, -1
	s_mov_b32 s22, 0
	s_mov_b32 s20, 0
                                        ; implicit-def: $vgpr16
	s_branch .LBB166_3002
.LBB166_2987:
	s_mov_b32 s23, -1
	s_mov_b32 s22, 0
	s_mov_b32 s20, 0
                                        ; implicit-def: $vgpr16
	s_branch .LBB166_2997
.LBB166_2988:
	s_or_b32 s16, s16, exec_lo
	s_trap 2
	s_cbranch_execz .LBB166_2925
	s_branch .LBB166_2926
.LBB166_2989:
	s_mov_b32 s23, -1
	s_mov_b32 s22, 0
	s_mov_b32 s20, 0
	s_branch .LBB166_2991
.LBB166_2990:
	s_mov_b32 s20, -1
	s_mov_b32 s22, 0
.LBB166_2991:
                                        ; implicit-def: $vgpr16
.LBB166_2992:
	s_and_b32 vcc_lo, exec_lo, s23
	s_cbranch_vccz .LBB166_2996
; %bb.2993:
	s_cmp_eq_u32 s15, 44
	s_cbranch_scc0 .LBB166_2995
; %bb.2994:
	global_load_u8 v1, v[6:7], off
	s_mov_b32 s20, 0
	s_mov_b32 s22, -1
	s_wait_loadcnt 0x0
	v_lshlrev_b32_e32 v3, 23, v1
	v_cmp_ne_u32_e32 vcc_lo, 0xff, v1
	s_delay_alu instid0(VALU_DEP_2) | instskip(SKIP_1) | instid1(VALU_DEP_2)
	v_cndmask_b32_e32 v3, 0x7f800001, v3, vcc_lo
	v_cmp_ne_u32_e32 vcc_lo, 0, v1
	v_cndmask_b32_e32 v1, 0x400000, v3, vcc_lo
	s_delay_alu instid0(VALU_DEP_1) | instskip(SKIP_1) | instid1(VALU_DEP_2)
	v_add_nc_u32_e32 v3, 0x7fff, v1
	v_cmp_o_f32_e32 vcc_lo, v1, v1
	v_lshrrev_b32_e32 v3, 16, v3
	s_delay_alu instid0(VALU_DEP_1)
	v_cndmask_b32_e32 v16, 0x7fc0, v3, vcc_lo
	s_branch .LBB166_2996
.LBB166_2995:
	s_mov_b32 s20, -1
                                        ; implicit-def: $vgpr16
.LBB166_2996:
	s_mov_b32 s23, 0
.LBB166_2997:
	s_delay_alu instid0(SALU_CYCLE_1)
	s_and_b32 vcc_lo, exec_lo, s23
	s_cbranch_vccz .LBB166_3001
; %bb.2998:
	s_cmp_eq_u32 s15, 29
	s_cbranch_scc0 .LBB166_3000
; %bb.2999:
	s_wait_loadcnt 0x0
	global_load_b64 v[16:17], v[6:7], off
	s_mov_b32 s20, 0
	s_mov_b32 s22, -1
	s_mov_b32 s23, 0
	s_wait_loadcnt 0x0
	v_clz_i32_u32_e32 v1, v17
	s_delay_alu instid0(VALU_DEP_1) | instskip(NEXT) | instid1(VALU_DEP_1)
	v_min_u32_e32 v1, 32, v1
	v_lshlrev_b64_e32 v[16:17], v1, v[16:17]
	v_sub_nc_u32_e32 v1, 32, v1
	s_delay_alu instid0(VALU_DEP_2) | instskip(NEXT) | instid1(VALU_DEP_1)
	v_min_u32_e32 v3, 1, v16
	v_or_b32_e32 v3, v17, v3
	s_delay_alu instid0(VALU_DEP_1) | instskip(NEXT) | instid1(VALU_DEP_1)
	v_cvt_f32_u32_e32 v3, v3
	v_ldexp_f32 v1, v3, v1
	s_delay_alu instid0(VALU_DEP_1) | instskip(NEXT) | instid1(VALU_DEP_1)
	v_bfe_u32 v3, v1, 16, 1
	v_add3_u32 v1, v1, v3, 0x7fff
	s_delay_alu instid0(VALU_DEP_1)
	v_lshrrev_b32_e32 v16, 16, v1
	s_branch .LBB166_3002
.LBB166_3000:
	s_mov_b32 s20, -1
                                        ; implicit-def: $vgpr16
.LBB166_3001:
	s_mov_b32 s23, 0
.LBB166_3002:
	s_delay_alu instid0(SALU_CYCLE_1)
	s_and_b32 vcc_lo, exec_lo, s23
	s_cbranch_vccz .LBB166_3020
; %bb.3003:
	s_cmp_lt_i32 s15, 27
	s_cbranch_scc1 .LBB166_3006
; %bb.3004:
	s_cmp_gt_i32 s15, 27
	s_cbranch_scc0 .LBB166_3007
; %bb.3005:
	global_load_b32 v1, v[6:7], off
	s_mov_b32 s22, 0
	s_wait_loadcnt 0x0
	v_cvt_f32_u32_e32 v1, v1
	s_delay_alu instid0(VALU_DEP_1) | instskip(NEXT) | instid1(VALU_DEP_1)
	v_bfe_u32 v3, v1, 16, 1
	v_add3_u32 v1, v1, v3, 0x7fff
	s_delay_alu instid0(VALU_DEP_1)
	v_lshrrev_b32_e32 v16, 16, v1
	s_branch .LBB166_3008
.LBB166_3006:
	s_mov_b32 s22, -1
                                        ; implicit-def: $vgpr16
	s_branch .LBB166_3011
.LBB166_3007:
	s_mov_b32 s22, -1
                                        ; implicit-def: $vgpr16
.LBB166_3008:
	s_delay_alu instid0(SALU_CYCLE_1)
	s_and_not1_b32 vcc_lo, exec_lo, s22
	s_cbranch_vccnz .LBB166_3010
; %bb.3009:
	global_load_u16 v1, v[6:7], off
	s_wait_loadcnt 0x0
	v_cvt_f32_u32_e32 v1, v1
	s_delay_alu instid0(VALU_DEP_1) | instskip(NEXT) | instid1(VALU_DEP_1)
	v_bfe_u32 v3, v1, 16, 1
	v_add3_u32 v1, v1, v3, 0x7fff
	s_delay_alu instid0(VALU_DEP_1)
	v_lshrrev_b32_e32 v16, 16, v1
.LBB166_3010:
	s_mov_b32 s22, 0
.LBB166_3011:
	s_delay_alu instid0(SALU_CYCLE_1)
	s_and_not1_b32 vcc_lo, exec_lo, s22
	s_cbranch_vccnz .LBB166_3019
; %bb.3012:
	global_load_u8 v1, v[6:7], off
	s_mov_b32 s22, 0
	s_mov_b32 s23, exec_lo
	s_wait_loadcnt 0x0
	v_cmpx_lt_i16_e32 0x7f, v1
	s_xor_b32 s23, exec_lo, s23
	s_cbranch_execz .LBB166_3033
; %bb.3013:
	s_mov_b32 s22, -1
	s_mov_b32 s24, exec_lo
	v_cmpx_eq_u16_e32 0x80, v1
; %bb.3014:
	s_xor_b32 s22, exec_lo, -1
; %bb.3015:
	s_or_b32 exec_lo, exec_lo, s24
	s_delay_alu instid0(SALU_CYCLE_1)
	s_and_b32 s22, s22, exec_lo
	s_or_saveexec_b32 s23, s23
	v_mov_b32_e32 v3, 0x7f800001
	s_xor_b32 exec_lo, exec_lo, s23
	s_cbranch_execnz .LBB166_3034
.LBB166_3016:
	s_or_b32 exec_lo, exec_lo, s23
	s_and_saveexec_b32 s23, s22
	s_cbranch_execz .LBB166_3018
.LBB166_3017:
	v_and_b32_e32 v3, 0xffff, v1
	s_delay_alu instid0(VALU_DEP_1) | instskip(SKIP_1) | instid1(VALU_DEP_2)
	v_and_b32_e32 v5, 7, v3
	v_bfe_u32 v18, v3, 3, 4
	v_clz_i32_u32_e32 v16, v5
	s_delay_alu instid0(VALU_DEP_2) | instskip(NEXT) | instid1(VALU_DEP_2)
	v_cmp_eq_u32_e32 vcc_lo, 0, v18
	v_min_u32_e32 v16, 32, v16
	s_delay_alu instid0(VALU_DEP_1) | instskip(NEXT) | instid1(VALU_DEP_1)
	v_subrev_nc_u32_e32 v17, 28, v16
	v_dual_lshlrev_b32 v3, v17, v3 :: v_dual_sub_nc_u32 v16, 29, v16
	s_delay_alu instid0(VALU_DEP_1) | instskip(NEXT) | instid1(VALU_DEP_1)
	v_dual_lshlrev_b32 v1, 24, v1 :: v_dual_bitop2_b32 v3, 7, v3 bitop3:0x40
	v_dual_cndmask_b32 v16, v18, v16 :: v_dual_cndmask_b32 v3, v5, v3
	s_delay_alu instid0(VALU_DEP_2) | instskip(NEXT) | instid1(VALU_DEP_2)
	v_and_b32_e32 v1, 0x80000000, v1
	v_lshl_add_u32 v5, v16, 23, 0x3b800000
	s_delay_alu instid0(VALU_DEP_3) | instskip(NEXT) | instid1(VALU_DEP_1)
	v_lshlrev_b32_e32 v3, 20, v3
	v_or3_b32 v3, v1, v5, v3
.LBB166_3018:
	s_or_b32 exec_lo, exec_lo, s23
	s_delay_alu instid0(VALU_DEP_1) | instskip(SKIP_1) | instid1(VALU_DEP_2)
	v_bfe_u32 v1, v3, 16, 1
	v_cmp_o_f32_e32 vcc_lo, v3, v3
	v_add3_u32 v1, v3, v1, 0x7fff
	s_delay_alu instid0(VALU_DEP_1) | instskip(NEXT) | instid1(VALU_DEP_1)
	v_lshrrev_b32_e32 v1, 16, v1
	v_cndmask_b32_e32 v16, 0x7fc0, v1, vcc_lo
.LBB166_3019:
	s_mov_b32 s22, -1
.LBB166_3020:
	s_mov_b32 s23, 0
.LBB166_3021:
	s_delay_alu instid0(SALU_CYCLE_1)
	s_and_b32 vcc_lo, exec_lo, s23
	s_cbranch_vccz .LBB166_3054
; %bb.3022:
	s_cmp_gt_i32 s15, 22
	s_cbranch_scc0 .LBB166_3032
; %bb.3023:
	s_cmp_lt_i32 s15, 24
	s_cbranch_scc1 .LBB166_3035
; %bb.3024:
	s_cmp_gt_i32 s15, 24
	s_cbranch_scc0 .LBB166_3036
; %bb.3025:
	global_load_u8 v1, v[6:7], off
	s_mov_b32 s22, exec_lo
	s_wait_loadcnt 0x0
	v_cmpx_lt_i16_e32 0x7f, v1
	s_xor_b32 s22, exec_lo, s22
	s_cbranch_execz .LBB166_3048
; %bb.3026:
	s_mov_b32 s21, -1
	s_mov_b32 s23, exec_lo
	v_cmpx_eq_u16_e32 0x80, v1
; %bb.3027:
	s_xor_b32 s21, exec_lo, -1
; %bb.3028:
	s_or_b32 exec_lo, exec_lo, s23
	s_delay_alu instid0(SALU_CYCLE_1)
	s_and_b32 s21, s21, exec_lo
	s_or_saveexec_b32 s22, s22
	v_mov_b32_e32 v3, 0x7f800001
	s_xor_b32 exec_lo, exec_lo, s22
	s_cbranch_execnz .LBB166_3049
.LBB166_3029:
	s_or_b32 exec_lo, exec_lo, s22
	s_and_saveexec_b32 s22, s21
	s_cbranch_execz .LBB166_3031
.LBB166_3030:
	v_and_b32_e32 v3, 0xffff, v1
	s_delay_alu instid0(VALU_DEP_1) | instskip(SKIP_1) | instid1(VALU_DEP_2)
	v_and_b32_e32 v5, 3, v3
	v_bfe_u32 v18, v3, 2, 5
	v_clz_i32_u32_e32 v16, v5
	s_delay_alu instid0(VALU_DEP_2) | instskip(NEXT) | instid1(VALU_DEP_2)
	v_cmp_eq_u32_e32 vcc_lo, 0, v18
	v_min_u32_e32 v16, 32, v16
	s_delay_alu instid0(VALU_DEP_1) | instskip(NEXT) | instid1(VALU_DEP_1)
	v_subrev_nc_u32_e32 v17, 29, v16
	v_dual_lshlrev_b32 v3, v17, v3 :: v_dual_sub_nc_u32 v16, 30, v16
	s_delay_alu instid0(VALU_DEP_1) | instskip(NEXT) | instid1(VALU_DEP_1)
	v_dual_lshlrev_b32 v1, 24, v1 :: v_dual_bitop2_b32 v3, 3, v3 bitop3:0x40
	v_dual_cndmask_b32 v16, v18, v16 :: v_dual_cndmask_b32 v3, v5, v3
	s_delay_alu instid0(VALU_DEP_2) | instskip(NEXT) | instid1(VALU_DEP_2)
	v_and_b32_e32 v1, 0x80000000, v1
	v_lshl_add_u32 v5, v16, 23, 0x37800000
	s_delay_alu instid0(VALU_DEP_3) | instskip(NEXT) | instid1(VALU_DEP_1)
	v_lshlrev_b32_e32 v3, 21, v3
	v_or3_b32 v3, v1, v5, v3
.LBB166_3031:
	s_or_b32 exec_lo, exec_lo, s22
	s_delay_alu instid0(VALU_DEP_1) | instskip(SKIP_2) | instid1(VALU_DEP_2)
	v_bfe_u32 v1, v3, 16, 1
	v_cmp_o_f32_e32 vcc_lo, v3, v3
	s_mov_b32 s21, 0
	v_add3_u32 v1, v3, v1, 0x7fff
	s_delay_alu instid0(VALU_DEP_1) | instskip(NEXT) | instid1(VALU_DEP_1)
	v_lshrrev_b32_e32 v1, 16, v1
	v_cndmask_b32_e32 v16, 0x7fc0, v1, vcc_lo
	s_branch .LBB166_3037
.LBB166_3032:
	s_mov_b32 s21, -1
                                        ; implicit-def: $vgpr16
	s_branch .LBB166_3043
.LBB166_3033:
	s_or_saveexec_b32 s23, s23
	v_mov_b32_e32 v3, 0x7f800001
	s_xor_b32 exec_lo, exec_lo, s23
	s_cbranch_execz .LBB166_3016
.LBB166_3034:
	v_cmp_ne_u16_e32 vcc_lo, 0, v1
	v_mov_b32_e32 v3, 0
	s_and_not1_b32 s22, s22, exec_lo
	s_and_b32 s24, vcc_lo, exec_lo
	s_delay_alu instid0(SALU_CYCLE_1)
	s_or_b32 s22, s22, s24
	s_or_b32 exec_lo, exec_lo, s23
	s_and_saveexec_b32 s23, s22
	s_cbranch_execnz .LBB166_3017
	s_branch .LBB166_3018
.LBB166_3035:
	s_mov_b32 s21, -1
                                        ; implicit-def: $vgpr16
	s_branch .LBB166_3040
.LBB166_3036:
	s_mov_b32 s21, -1
                                        ; implicit-def: $vgpr16
.LBB166_3037:
	s_delay_alu instid0(SALU_CYCLE_1)
	s_and_b32 vcc_lo, exec_lo, s21
	s_cbranch_vccz .LBB166_3039
; %bb.3038:
	global_load_u8 v1, v[6:7], off
	s_wait_loadcnt 0x0
	v_lshlrev_b32_e32 v1, 24, v1
	s_delay_alu instid0(VALU_DEP_1) | instskip(NEXT) | instid1(VALU_DEP_1)
	v_and_b32_e32 v3, 0x7f000000, v1
	v_clz_i32_u32_e32 v5, v3
	v_add_nc_u32_e32 v17, 0x1000000, v3
	v_cmp_ne_u32_e32 vcc_lo, 0, v3
	s_delay_alu instid0(VALU_DEP_3) | instskip(NEXT) | instid1(VALU_DEP_1)
	v_min_u32_e32 v5, 32, v5
	v_sub_nc_u32_e64 v5, v5, 4 clamp
	s_delay_alu instid0(VALU_DEP_1) | instskip(NEXT) | instid1(VALU_DEP_1)
	v_dual_lshlrev_b32 v16, v5, v3 :: v_dual_lshlrev_b32 v5, 23, v5
	v_lshrrev_b32_e32 v16, 4, v16
	s_delay_alu instid0(VALU_DEP_1) | instskip(SKIP_1) | instid1(VALU_DEP_2)
	v_sub_nc_u32_e32 v5, v16, v5
	v_ashrrev_i32_e32 v16, 8, v17
	v_add_nc_u32_e32 v5, 0x3c000000, v5
	s_delay_alu instid0(VALU_DEP_1) | instskip(NEXT) | instid1(VALU_DEP_1)
	v_and_or_b32 v5, 0x7f800000, v16, v5
	v_cndmask_b32_e32 v3, 0, v5, vcc_lo
	s_delay_alu instid0(VALU_DEP_1) | instskip(SKIP_1) | instid1(VALU_DEP_2)
	v_and_or_b32 v1, 0x80000000, v1, v3
	v_bfe_u32 v3, v3, 16, 1
	v_cmp_o_f32_e32 vcc_lo, v1, v1
	s_delay_alu instid0(VALU_DEP_2) | instskip(NEXT) | instid1(VALU_DEP_1)
	v_add3_u32 v3, v1, v3, 0x7fff
	v_lshrrev_b32_e32 v3, 16, v3
	s_delay_alu instid0(VALU_DEP_1)
	v_cndmask_b32_e32 v16, 0x7fc0, v3, vcc_lo
.LBB166_3039:
	s_mov_b32 s21, 0
.LBB166_3040:
	s_delay_alu instid0(SALU_CYCLE_1)
	s_and_not1_b32 vcc_lo, exec_lo, s21
	s_cbranch_vccnz .LBB166_3042
; %bb.3041:
	global_load_u8 v1, v[6:7], off
	s_wait_loadcnt 0x0
	v_lshlrev_b32_e32 v3, 25, v1
	v_lshlrev_b16 v1, 8, v1
	s_delay_alu instid0(VALU_DEP_1) | instskip(SKIP_1) | instid1(VALU_DEP_2)
	v_and_or_b32 v16, 0x7f00, v1, 0.5
	v_bfe_i32 v1, v1, 0, 16
	v_dual_add_f32 v16, -0.5, v16 :: v_dual_lshrrev_b32 v5, 4, v3
	v_cmp_gt_u32_e32 vcc_lo, 0x8000000, v3
	s_delay_alu instid0(VALU_DEP_2) | instskip(NEXT) | instid1(VALU_DEP_1)
	v_or_b32_e32 v5, 0x70000000, v5
	v_mul_f32_e32 v5, 0x7800000, v5
	s_delay_alu instid0(VALU_DEP_1) | instskip(NEXT) | instid1(VALU_DEP_1)
	v_cndmask_b32_e32 v3, v5, v16, vcc_lo
	v_and_or_b32 v1, 0x80000000, v1, v3
	v_bfe_u32 v3, v3, 16, 1
	s_delay_alu instid0(VALU_DEP_2) | instskip(NEXT) | instid1(VALU_DEP_2)
	v_cmp_o_f32_e32 vcc_lo, v1, v1
	v_add3_u32 v3, v1, v3, 0x7fff
	s_delay_alu instid0(VALU_DEP_1) | instskip(NEXT) | instid1(VALU_DEP_1)
	v_lshrrev_b32_e32 v3, 16, v3
	v_cndmask_b32_e32 v16, 0x7fc0, v3, vcc_lo
.LBB166_3042:
	s_mov_b32 s21, 0
	s_mov_b32 s22, -1
.LBB166_3043:
	s_and_not1_b32 vcc_lo, exec_lo, s21
	s_mov_b32 s21, 0
	s_cbranch_vccnz .LBB166_3054
; %bb.3044:
	s_cmp_gt_i32 s15, 14
	s_cbranch_scc0 .LBB166_3047
; %bb.3045:
	s_cmp_eq_u32 s15, 15
	s_cbranch_scc0 .LBB166_3050
; %bb.3046:
	s_wait_loadcnt 0x0
	global_load_u16 v16, v[6:7], off
	s_mov_b32 s20, 0
	s_mov_b32 s22, -1
	s_branch .LBB166_3052
.LBB166_3047:
	s_mov_b32 s21, -1
	s_branch .LBB166_3051
.LBB166_3048:
	s_or_saveexec_b32 s22, s22
	v_mov_b32_e32 v3, 0x7f800001
	s_xor_b32 exec_lo, exec_lo, s22
	s_cbranch_execz .LBB166_3029
.LBB166_3049:
	v_cmp_ne_u16_e32 vcc_lo, 0, v1
	v_mov_b32_e32 v3, 0
	s_and_not1_b32 s21, s21, exec_lo
	s_and_b32 s23, vcc_lo, exec_lo
	s_delay_alu instid0(SALU_CYCLE_1)
	s_or_b32 s21, s21, s23
	s_or_b32 exec_lo, exec_lo, s22
	s_and_saveexec_b32 s22, s21
	s_cbranch_execnz .LBB166_3030
	s_branch .LBB166_3031
.LBB166_3050:
	s_mov_b32 s20, -1
.LBB166_3051:
                                        ; implicit-def: $vgpr16
.LBB166_3052:
	s_and_b32 vcc_lo, exec_lo, s21
	s_mov_b32 s21, 0
	s_cbranch_vccz .LBB166_3054
; %bb.3053:
	s_cmp_lg_u32 s15, 11
	s_mov_b32 s21, -1
	s_cselect_b32 s20, -1, 0
.LBB166_3054:
	s_delay_alu instid0(SALU_CYCLE_1)
	s_and_b32 vcc_lo, exec_lo, s20
	s_cbranch_vccnz .LBB166_3119
; %bb.3055:
	s_and_not1_b32 vcc_lo, exec_lo, s21
	s_cbranch_vccnz .LBB166_3057
.LBB166_3056:
	global_load_u8 v1, v[6:7], off
	s_mov_b32 s22, -1
	s_wait_loadcnt 0x0
	v_cmp_ne_u16_e32 vcc_lo, 0, v1
	v_cndmask_b32_e64 v1, 0, 1.0, vcc_lo
	s_delay_alu instid0(VALU_DEP_1)
	v_lshrrev_b32_e32 v16, 16, v1
.LBB166_3057:
	s_mov_b32 s15, 0
.LBB166_3058:
	s_delay_alu instid0(SALU_CYCLE_1)
	s_and_b32 vcc_lo, exec_lo, s15
	s_cbranch_vccz .LBB166_3107
; %bb.3059:
	s_and_b32 s15, 0xffff, s3
	s_delay_alu instid0(SALU_CYCLE_1)
	s_cmp_lt_i32 s15, 5
	s_cbranch_scc1 .LBB166_3064
; %bb.3060:
	s_cmp_lt_i32 s15, 8
	s_cbranch_scc1 .LBB166_3065
; %bb.3061:
	;; [unrolled: 3-line block ×3, first 2 shown]
	s_cmp_gt_i32 s15, 9
	s_cbranch_scc0 .LBB166_3067
; %bb.3063:
	s_wait_loadcnt 0x0
	global_load_b64 v[16:17], v[6:7], off
	s_mov_b32 s20, 0
	s_wait_loadcnt 0x0
	v_cvt_f32_f64_e32 v1, v[16:17]
	s_delay_alu instid0(VALU_DEP_1) | instskip(SKIP_1) | instid1(VALU_DEP_2)
	v_bfe_u32 v3, v1, 16, 1
	v_cmp_o_f32_e32 vcc_lo, v1, v1
	v_add3_u32 v3, v1, v3, 0x7fff
	s_delay_alu instid0(VALU_DEP_1) | instskip(NEXT) | instid1(VALU_DEP_1)
	v_lshrrev_b32_e32 v3, 16, v3
	v_cndmask_b32_e32 v16, 0x7fc0, v3, vcc_lo
	s_branch .LBB166_3068
.LBB166_3064:
	s_mov_b32 s20, -1
                                        ; implicit-def: $vgpr16
	s_branch .LBB166_3086
.LBB166_3065:
	s_mov_b32 s20, -1
                                        ; implicit-def: $vgpr16
	s_branch .LBB166_3074
.LBB166_3066:
	s_mov_b32 s20, -1
                                        ; implicit-def: $vgpr16
	s_branch .LBB166_3071
.LBB166_3067:
	s_mov_b32 s20, -1
                                        ; implicit-def: $vgpr16
.LBB166_3068:
	s_delay_alu instid0(SALU_CYCLE_1)
	s_and_not1_b32 vcc_lo, exec_lo, s20
	s_cbranch_vccnz .LBB166_3070
; %bb.3069:
	global_load_b32 v1, v[6:7], off
	s_wait_loadcnt 0x0
	v_bfe_u32 v3, v1, 16, 1
	v_cmp_o_f32_e32 vcc_lo, v1, v1
	s_delay_alu instid0(VALU_DEP_2) | instskip(NEXT) | instid1(VALU_DEP_1)
	v_add3_u32 v3, v1, v3, 0x7fff
	v_lshrrev_b32_e32 v3, 16, v3
	s_delay_alu instid0(VALU_DEP_1)
	v_cndmask_b32_e32 v16, 0x7fc0, v3, vcc_lo
.LBB166_3070:
	s_mov_b32 s20, 0
.LBB166_3071:
	s_delay_alu instid0(SALU_CYCLE_1)
	s_and_not1_b32 vcc_lo, exec_lo, s20
	s_cbranch_vccnz .LBB166_3073
; %bb.3072:
	global_load_b32 v1, v[6:7], off
	s_wait_loadcnt 0x0
	v_cvt_f32_f16_e32 v3, v1
	v_cmp_o_f16_e32 vcc_lo, v1, v1
	s_delay_alu instid0(VALU_DEP_2) | instskip(NEXT) | instid1(VALU_DEP_1)
	v_bfe_u32 v5, v3, 16, 1
	v_add3_u32 v3, v3, v5, 0x7fff
	s_delay_alu instid0(VALU_DEP_1) | instskip(NEXT) | instid1(VALU_DEP_1)
	v_lshrrev_b32_e32 v3, 16, v3
	v_cndmask_b32_e32 v16, 0x7fc0, v3, vcc_lo
.LBB166_3073:
	s_mov_b32 s20, 0
.LBB166_3074:
	s_delay_alu instid0(SALU_CYCLE_1)
	s_and_not1_b32 vcc_lo, exec_lo, s20
	s_cbranch_vccnz .LBB166_3085
; %bb.3075:
	s_cmp_lt_i32 s15, 6
	s_cbranch_scc1 .LBB166_3078
; %bb.3076:
	s_cmp_gt_i32 s15, 6
	s_cbranch_scc0 .LBB166_3079
; %bb.3077:
	s_wait_loadcnt 0x0
	global_load_b64 v[16:17], v[6:7], off
	s_mov_b32 s20, 0
	s_wait_loadcnt 0x0
	v_cvt_f32_f64_e32 v1, v[16:17]
	s_delay_alu instid0(VALU_DEP_1) | instskip(SKIP_1) | instid1(VALU_DEP_2)
	v_bfe_u32 v3, v1, 16, 1
	v_cmp_o_f32_e32 vcc_lo, v1, v1
	v_add3_u32 v3, v1, v3, 0x7fff
	s_delay_alu instid0(VALU_DEP_1) | instskip(NEXT) | instid1(VALU_DEP_1)
	v_lshrrev_b32_e32 v3, 16, v3
	v_cndmask_b32_e32 v16, 0x7fc0, v3, vcc_lo
	s_branch .LBB166_3080
.LBB166_3078:
	s_mov_b32 s20, -1
                                        ; implicit-def: $vgpr16
	s_branch .LBB166_3083
.LBB166_3079:
	s_mov_b32 s20, -1
                                        ; implicit-def: $vgpr16
.LBB166_3080:
	s_delay_alu instid0(SALU_CYCLE_1)
	s_and_not1_b32 vcc_lo, exec_lo, s20
	s_cbranch_vccnz .LBB166_3082
; %bb.3081:
	global_load_b32 v1, v[6:7], off
	s_wait_loadcnt 0x0
	v_bfe_u32 v3, v1, 16, 1
	v_cmp_o_f32_e32 vcc_lo, v1, v1
	s_delay_alu instid0(VALU_DEP_2) | instskip(NEXT) | instid1(VALU_DEP_1)
	v_add3_u32 v3, v1, v3, 0x7fff
	v_lshrrev_b32_e32 v3, 16, v3
	s_delay_alu instid0(VALU_DEP_1)
	v_cndmask_b32_e32 v16, 0x7fc0, v3, vcc_lo
.LBB166_3082:
	s_mov_b32 s20, 0
.LBB166_3083:
	s_delay_alu instid0(SALU_CYCLE_1)
	s_and_not1_b32 vcc_lo, exec_lo, s20
	s_cbranch_vccnz .LBB166_3085
; %bb.3084:
	global_load_u16 v1, v[6:7], off
	s_wait_loadcnt 0x0
	v_cvt_f32_f16_e32 v3, v1
	v_cmp_o_f16_e32 vcc_lo, v1, v1
	s_delay_alu instid0(VALU_DEP_2) | instskip(NEXT) | instid1(VALU_DEP_1)
	v_bfe_u32 v5, v3, 16, 1
	v_add3_u32 v3, v3, v5, 0x7fff
	s_delay_alu instid0(VALU_DEP_1) | instskip(NEXT) | instid1(VALU_DEP_1)
	v_lshrrev_b32_e32 v3, 16, v3
	v_cndmask_b32_e32 v16, 0x7fc0, v3, vcc_lo
.LBB166_3085:
	s_mov_b32 s20, 0
.LBB166_3086:
	s_delay_alu instid0(SALU_CYCLE_1)
	s_and_not1_b32 vcc_lo, exec_lo, s20
	s_cbranch_vccnz .LBB166_3106
; %bb.3087:
	s_cmp_lt_i32 s15, 2
	s_cbranch_scc1 .LBB166_3091
; %bb.3088:
	s_cmp_lt_i32 s15, 3
	s_cbranch_scc1 .LBB166_3092
; %bb.3089:
	s_cmp_gt_i32 s15, 3
	s_cbranch_scc0 .LBB166_3093
; %bb.3090:
	s_wait_loadcnt 0x0
	global_load_b64 v[16:17], v[6:7], off
	s_mov_b32 s20, 0
	s_wait_loadcnt 0x0
	v_xor_b32_e32 v1, v16, v17
	v_cls_i32_e32 v3, v17
	s_delay_alu instid0(VALU_DEP_2) | instskip(NEXT) | instid1(VALU_DEP_1)
	v_ashrrev_i32_e32 v1, 31, v1
	v_add_nc_u32_e32 v1, 32, v1
	s_delay_alu instid0(VALU_DEP_1) | instskip(NEXT) | instid1(VALU_DEP_1)
	v_add_min_u32_e64 v1, v3, -1, v1
	v_lshlrev_b64_e32 v[16:17], v1, v[16:17]
	v_sub_nc_u32_e32 v1, 32, v1
	s_delay_alu instid0(VALU_DEP_2) | instskip(NEXT) | instid1(VALU_DEP_1)
	v_min_u32_e32 v3, 1, v16
	v_or_b32_e32 v3, v17, v3
	s_delay_alu instid0(VALU_DEP_1) | instskip(NEXT) | instid1(VALU_DEP_1)
	v_cvt_f32_i32_e32 v3, v3
	v_ldexp_f32 v1, v3, v1
	s_delay_alu instid0(VALU_DEP_1) | instskip(NEXT) | instid1(VALU_DEP_1)
	v_bfe_u32 v3, v1, 16, 1
	v_add3_u32 v1, v1, v3, 0x7fff
	s_delay_alu instid0(VALU_DEP_1)
	v_lshrrev_b32_e32 v16, 16, v1
	s_branch .LBB166_3094
.LBB166_3091:
	s_mov_b32 s20, -1
                                        ; implicit-def: $vgpr16
	s_branch .LBB166_3100
.LBB166_3092:
	s_mov_b32 s20, -1
                                        ; implicit-def: $vgpr16
	s_branch .LBB166_3097
.LBB166_3093:
	s_mov_b32 s20, -1
                                        ; implicit-def: $vgpr16
.LBB166_3094:
	s_delay_alu instid0(SALU_CYCLE_1)
	s_and_not1_b32 vcc_lo, exec_lo, s20
	s_cbranch_vccnz .LBB166_3096
; %bb.3095:
	global_load_b32 v1, v[6:7], off
	s_wait_loadcnt 0x0
	v_cvt_f32_i32_e32 v1, v1
	s_delay_alu instid0(VALU_DEP_1) | instskip(NEXT) | instid1(VALU_DEP_1)
	v_bfe_u32 v3, v1, 16, 1
	v_add3_u32 v1, v1, v3, 0x7fff
	s_delay_alu instid0(VALU_DEP_1)
	v_lshrrev_b32_e32 v16, 16, v1
.LBB166_3096:
	s_mov_b32 s20, 0
.LBB166_3097:
	s_delay_alu instid0(SALU_CYCLE_1)
	s_and_not1_b32 vcc_lo, exec_lo, s20
	s_cbranch_vccnz .LBB166_3099
; %bb.3098:
	global_load_i16 v1, v[6:7], off
	s_wait_loadcnt 0x0
	v_cvt_f32_i32_e32 v1, v1
	s_delay_alu instid0(VALU_DEP_1) | instskip(NEXT) | instid1(VALU_DEP_1)
	v_bfe_u32 v3, v1, 16, 1
	v_add3_u32 v1, v1, v3, 0x7fff
	s_delay_alu instid0(VALU_DEP_1)
	v_lshrrev_b32_e32 v16, 16, v1
.LBB166_3099:
	s_mov_b32 s20, 0
.LBB166_3100:
	s_delay_alu instid0(SALU_CYCLE_1)
	s_and_not1_b32 vcc_lo, exec_lo, s20
	s_cbranch_vccnz .LBB166_3106
; %bb.3101:
	s_cmp_gt_i32 s15, 0
	s_mov_b32 s15, 0
	s_cbranch_scc0 .LBB166_3103
; %bb.3102:
	global_load_i8 v1, v[6:7], off
	s_wait_loadcnt 0x0
	v_cvt_f32_i32_e32 v1, v1
	s_delay_alu instid0(VALU_DEP_1) | instskip(NEXT) | instid1(VALU_DEP_1)
	v_bfe_u32 v3, v1, 16, 1
	v_add3_u32 v1, v1, v3, 0x7fff
	s_delay_alu instid0(VALU_DEP_1)
	v_lshrrev_b32_e32 v16, 16, v1
	s_branch .LBB166_3104
.LBB166_3103:
	s_mov_b32 s15, -1
                                        ; implicit-def: $vgpr16
.LBB166_3104:
	s_delay_alu instid0(SALU_CYCLE_1)
	s_and_not1_b32 vcc_lo, exec_lo, s15
	s_cbranch_vccnz .LBB166_3106
; %bb.3105:
	global_load_u8 v1, v[6:7], off
	s_wait_loadcnt 0x0
	v_cvt_f32_ubyte0_e32 v1, v1
	s_delay_alu instid0(VALU_DEP_1) | instskip(NEXT) | instid1(VALU_DEP_1)
	v_bfe_u32 v3, v1, 16, 1
	v_add3_u32 v1, v1, v3, 0x7fff
	s_delay_alu instid0(VALU_DEP_1)
	v_lshrrev_b32_e32 v16, 16, v1
.LBB166_3106:
	s_mov_b32 s22, -1
.LBB166_3107:
	s_delay_alu instid0(SALU_CYCLE_1)
	s_and_not1_b32 vcc_lo, exec_lo, s22
	s_cbranch_vccnz .LBB166_4065
; %bb.3108:
	v_add_nc_u32_e32 v4, s14, v4
	s_cmp_lt_i32 s0, 11
	s_delay_alu instid0(VALU_DEP_1) | instskip(SKIP_1) | instid1(VALU_DEP_1)
	v_ashrrev_i32_e32 v5, 31, v4
	s_wait_xcnt 0x0
	v_add_nc_u64_e32 v[6:7], s[10:11], v[4:5]
	s_cbranch_scc1 .LBB166_3115
; %bb.3109:
	s_cmp_gt_i32 s0, 25
	s_mov_b32 s20, 0
	s_cbranch_scc0 .LBB166_3116
; %bb.3110:
	s_cmp_gt_i32 s0, 28
	s_cbranch_scc0 .LBB166_3117
; %bb.3111:
	s_cmp_gt_i32 s0, 43
	s_cbranch_scc0 .LBB166_3118
; %bb.3112:
	s_cmp_gt_i32 s0, 45
	s_cbranch_scc0 .LBB166_3120
; %bb.3113:
	s_cmp_eq_u32 s0, 46
	s_mov_b32 s22, 0
	s_cbranch_scc0 .LBB166_3121
; %bb.3114:
	global_load_b32 v5, v[6:7], off
	s_mov_b32 s15, 0
	s_mov_b32 s21, -1
	s_branch .LBB166_3123
.LBB166_3115:
	s_mov_b32 s15, -1
	s_mov_b32 s21, 0
                                        ; implicit-def: $vgpr5
	s_branch .LBB166_3189
.LBB166_3116:
	s_mov_b32 s22, -1
	s_mov_b32 s21, 0
	s_mov_b32 s15, 0
                                        ; implicit-def: $vgpr5
	s_branch .LBB166_3152
.LBB166_3117:
	s_mov_b32 s22, -1
	s_mov_b32 s21, 0
	s_mov_b32 s15, 0
                                        ; implicit-def: $vgpr5
	s_branch .LBB166_3133
.LBB166_3118:
	s_mov_b32 s22, -1
	s_mov_b32 s21, 0
	s_mov_b32 s15, 0
                                        ; implicit-def: $vgpr5
	s_branch .LBB166_3128
.LBB166_3119:
	s_or_b32 s16, s16, exec_lo
	s_trap 2
	s_cbranch_execz .LBB166_3056
	s_branch .LBB166_3057
.LBB166_3120:
	s_mov_b32 s22, -1
	s_mov_b32 s21, 0
	s_mov_b32 s15, 0
	s_branch .LBB166_3122
.LBB166_3121:
	s_mov_b32 s15, -1
	s_mov_b32 s21, 0
.LBB166_3122:
                                        ; implicit-def: $vgpr5
.LBB166_3123:
	s_and_b32 vcc_lo, exec_lo, s22
	s_cbranch_vccz .LBB166_3127
; %bb.3124:
	s_cmp_eq_u32 s0, 44
	s_cbranch_scc0 .LBB166_3126
; %bb.3125:
	global_load_u8 v1, v[6:7], off
	s_mov_b32 s15, 0
	s_mov_b32 s21, -1
	s_wait_loadcnt 0x0
	v_lshlrev_b32_e32 v3, 23, v1
	v_cmp_ne_u32_e32 vcc_lo, 0xff, v1
	s_delay_alu instid0(VALU_DEP_2) | instskip(SKIP_1) | instid1(VALU_DEP_2)
	v_cndmask_b32_e32 v3, 0x7f800001, v3, vcc_lo
	v_cmp_ne_u32_e32 vcc_lo, 0, v1
	v_cndmask_b32_e32 v1, 0x400000, v3, vcc_lo
	s_delay_alu instid0(VALU_DEP_1) | instskip(SKIP_1) | instid1(VALU_DEP_2)
	v_add_nc_u32_e32 v3, 0x7fff, v1
	v_cmp_o_f32_e32 vcc_lo, v1, v1
	v_lshrrev_b32_e32 v3, 16, v3
	s_delay_alu instid0(VALU_DEP_1)
	v_cndmask_b32_e32 v5, 0x7fc0, v3, vcc_lo
	s_branch .LBB166_3127
.LBB166_3126:
	s_mov_b32 s15, -1
                                        ; implicit-def: $vgpr5
.LBB166_3127:
	s_mov_b32 s22, 0
.LBB166_3128:
	s_delay_alu instid0(SALU_CYCLE_1)
	s_and_b32 vcc_lo, exec_lo, s22
	s_cbranch_vccz .LBB166_3132
; %bb.3129:
	s_cmp_eq_u32 s0, 29
	s_cbranch_scc0 .LBB166_3131
; %bb.3130:
	global_load_b64 v[18:19], v[6:7], off
	s_mov_b32 s15, 0
	s_mov_b32 s21, -1
	s_mov_b32 s22, 0
	s_wait_loadcnt 0x0
	v_clz_i32_u32_e32 v1, v19
	s_delay_alu instid0(VALU_DEP_1) | instskip(NEXT) | instid1(VALU_DEP_1)
	v_min_u32_e32 v1, 32, v1
	v_lshlrev_b64_e32 v[18:19], v1, v[18:19]
	v_sub_nc_u32_e32 v1, 32, v1
	s_delay_alu instid0(VALU_DEP_2) | instskip(NEXT) | instid1(VALU_DEP_1)
	v_min_u32_e32 v3, 1, v18
	v_or_b32_e32 v3, v19, v3
	s_delay_alu instid0(VALU_DEP_1) | instskip(NEXT) | instid1(VALU_DEP_1)
	v_cvt_f32_u32_e32 v3, v3
	v_ldexp_f32 v1, v3, v1
	s_delay_alu instid0(VALU_DEP_1) | instskip(NEXT) | instid1(VALU_DEP_1)
	v_bfe_u32 v3, v1, 16, 1
	v_add3_u32 v1, v1, v3, 0x7fff
	s_delay_alu instid0(VALU_DEP_1)
	v_lshrrev_b32_e32 v5, 16, v1
	s_branch .LBB166_3133
.LBB166_3131:
	s_mov_b32 s15, -1
                                        ; implicit-def: $vgpr5
.LBB166_3132:
	s_mov_b32 s22, 0
.LBB166_3133:
	s_delay_alu instid0(SALU_CYCLE_1)
	s_and_b32 vcc_lo, exec_lo, s22
	s_cbranch_vccz .LBB166_3151
; %bb.3134:
	s_cmp_lt_i32 s0, 27
	s_cbranch_scc1 .LBB166_3137
; %bb.3135:
	s_cmp_gt_i32 s0, 27
	s_cbranch_scc0 .LBB166_3138
; %bb.3136:
	global_load_b32 v1, v[6:7], off
	s_mov_b32 s21, 0
	s_wait_loadcnt 0x0
	v_cvt_f32_u32_e32 v1, v1
	s_delay_alu instid0(VALU_DEP_1) | instskip(NEXT) | instid1(VALU_DEP_1)
	v_bfe_u32 v3, v1, 16, 1
	v_add3_u32 v1, v1, v3, 0x7fff
	s_delay_alu instid0(VALU_DEP_1)
	v_lshrrev_b32_e32 v5, 16, v1
	s_branch .LBB166_3139
.LBB166_3137:
	s_mov_b32 s21, -1
                                        ; implicit-def: $vgpr5
	s_branch .LBB166_3142
.LBB166_3138:
	s_mov_b32 s21, -1
                                        ; implicit-def: $vgpr5
.LBB166_3139:
	s_delay_alu instid0(SALU_CYCLE_1)
	s_and_not1_b32 vcc_lo, exec_lo, s21
	s_cbranch_vccnz .LBB166_3141
; %bb.3140:
	global_load_u16 v1, v[6:7], off
	s_wait_loadcnt 0x0
	v_cvt_f32_u32_e32 v1, v1
	s_delay_alu instid0(VALU_DEP_1) | instskip(NEXT) | instid1(VALU_DEP_1)
	v_bfe_u32 v3, v1, 16, 1
	v_add3_u32 v1, v1, v3, 0x7fff
	s_delay_alu instid0(VALU_DEP_1)
	v_lshrrev_b32_e32 v5, 16, v1
.LBB166_3141:
	s_mov_b32 s21, 0
.LBB166_3142:
	s_delay_alu instid0(SALU_CYCLE_1)
	s_and_not1_b32 vcc_lo, exec_lo, s21
	s_cbranch_vccnz .LBB166_3150
; %bb.3143:
	global_load_u8 v1, v[6:7], off
	s_mov_b32 s21, 0
	s_mov_b32 s22, exec_lo
	s_wait_loadcnt 0x0
	v_cmpx_lt_i16_e32 0x7f, v1
	s_xor_b32 s22, exec_lo, s22
	s_cbranch_execz .LBB166_3164
; %bb.3144:
	s_mov_b32 s21, -1
	s_mov_b32 s23, exec_lo
	v_cmpx_eq_u16_e32 0x80, v1
; %bb.3145:
	s_xor_b32 s21, exec_lo, -1
; %bb.3146:
	s_or_b32 exec_lo, exec_lo, s23
	s_delay_alu instid0(SALU_CYCLE_1)
	s_and_b32 s21, s21, exec_lo
	s_or_saveexec_b32 s22, s22
	v_mov_b32_e32 v3, 0x7f800001
	s_xor_b32 exec_lo, exec_lo, s22
	s_cbranch_execnz .LBB166_3165
.LBB166_3147:
	s_or_b32 exec_lo, exec_lo, s22
	s_and_saveexec_b32 s22, s21
	s_cbranch_execz .LBB166_3149
.LBB166_3148:
	v_and_b32_e32 v3, 0xffff, v1
	s_delay_alu instid0(VALU_DEP_1) | instskip(SKIP_1) | instid1(VALU_DEP_2)
	v_and_b32_e32 v5, 7, v3
	v_bfe_u32 v19, v3, 3, 4
	v_clz_i32_u32_e32 v17, v5
	s_delay_alu instid0(VALU_DEP_2) | instskip(NEXT) | instid1(VALU_DEP_2)
	v_cmp_eq_u32_e32 vcc_lo, 0, v19
	v_min_u32_e32 v17, 32, v17
	s_delay_alu instid0(VALU_DEP_1) | instskip(NEXT) | instid1(VALU_DEP_1)
	v_subrev_nc_u32_e32 v18, 28, v17
	v_dual_lshlrev_b32 v3, v18, v3 :: v_dual_sub_nc_u32 v17, 29, v17
	s_delay_alu instid0(VALU_DEP_1) | instskip(NEXT) | instid1(VALU_DEP_1)
	v_dual_lshlrev_b32 v1, 24, v1 :: v_dual_bitop2_b32 v3, 7, v3 bitop3:0x40
	v_dual_cndmask_b32 v3, v5, v3, vcc_lo :: v_dual_cndmask_b32 v17, v19, v17, vcc_lo
	s_delay_alu instid0(VALU_DEP_2) | instskip(NEXT) | instid1(VALU_DEP_2)
	v_and_b32_e32 v1, 0x80000000, v1
	v_lshlrev_b32_e32 v3, 20, v3
	s_delay_alu instid0(VALU_DEP_3) | instskip(NEXT) | instid1(VALU_DEP_1)
	v_lshl_add_u32 v5, v17, 23, 0x3b800000
	v_or3_b32 v3, v1, v5, v3
.LBB166_3149:
	s_or_b32 exec_lo, exec_lo, s22
	s_delay_alu instid0(VALU_DEP_1) | instskip(SKIP_1) | instid1(VALU_DEP_2)
	v_bfe_u32 v1, v3, 16, 1
	v_cmp_o_f32_e32 vcc_lo, v3, v3
	v_add3_u32 v1, v3, v1, 0x7fff
	s_delay_alu instid0(VALU_DEP_1) | instskip(NEXT) | instid1(VALU_DEP_1)
	v_lshrrev_b32_e32 v1, 16, v1
	v_cndmask_b32_e32 v5, 0x7fc0, v1, vcc_lo
.LBB166_3150:
	s_mov_b32 s21, -1
.LBB166_3151:
	s_mov_b32 s22, 0
.LBB166_3152:
	s_delay_alu instid0(SALU_CYCLE_1)
	s_and_b32 vcc_lo, exec_lo, s22
	s_cbranch_vccz .LBB166_3185
; %bb.3153:
	s_cmp_gt_i32 s0, 22
	s_cbranch_scc0 .LBB166_3163
; %bb.3154:
	s_cmp_lt_i32 s0, 24
	s_cbranch_scc1 .LBB166_3166
; %bb.3155:
	s_cmp_gt_i32 s0, 24
	s_cbranch_scc0 .LBB166_3167
; %bb.3156:
	global_load_u8 v1, v[6:7], off
	s_mov_b32 s21, exec_lo
	s_wait_loadcnt 0x0
	v_cmpx_lt_i16_e32 0x7f, v1
	s_xor_b32 s21, exec_lo, s21
	s_cbranch_execz .LBB166_3179
; %bb.3157:
	s_mov_b32 s20, -1
	s_mov_b32 s22, exec_lo
	v_cmpx_eq_u16_e32 0x80, v1
; %bb.3158:
	s_xor_b32 s20, exec_lo, -1
; %bb.3159:
	s_or_b32 exec_lo, exec_lo, s22
	s_delay_alu instid0(SALU_CYCLE_1)
	s_and_b32 s20, s20, exec_lo
	s_or_saveexec_b32 s21, s21
	v_mov_b32_e32 v3, 0x7f800001
	s_xor_b32 exec_lo, exec_lo, s21
	s_cbranch_execnz .LBB166_3180
.LBB166_3160:
	s_or_b32 exec_lo, exec_lo, s21
	s_and_saveexec_b32 s21, s20
	s_cbranch_execz .LBB166_3162
.LBB166_3161:
	v_and_b32_e32 v3, 0xffff, v1
	s_delay_alu instid0(VALU_DEP_1) | instskip(SKIP_1) | instid1(VALU_DEP_2)
	v_and_b32_e32 v5, 3, v3
	v_bfe_u32 v19, v3, 2, 5
	v_clz_i32_u32_e32 v17, v5
	s_delay_alu instid0(VALU_DEP_2) | instskip(NEXT) | instid1(VALU_DEP_2)
	v_cmp_eq_u32_e32 vcc_lo, 0, v19
	v_min_u32_e32 v17, 32, v17
	s_delay_alu instid0(VALU_DEP_1) | instskip(NEXT) | instid1(VALU_DEP_1)
	v_subrev_nc_u32_e32 v18, 29, v17
	v_dual_lshlrev_b32 v3, v18, v3 :: v_dual_sub_nc_u32 v17, 30, v17
	s_delay_alu instid0(VALU_DEP_1) | instskip(NEXT) | instid1(VALU_DEP_1)
	v_dual_lshlrev_b32 v1, 24, v1 :: v_dual_bitop2_b32 v3, 3, v3 bitop3:0x40
	v_dual_cndmask_b32 v3, v5, v3, vcc_lo :: v_dual_cndmask_b32 v17, v19, v17, vcc_lo
	s_delay_alu instid0(VALU_DEP_2) | instskip(NEXT) | instid1(VALU_DEP_2)
	v_and_b32_e32 v1, 0x80000000, v1
	v_lshlrev_b32_e32 v3, 21, v3
	s_delay_alu instid0(VALU_DEP_3) | instskip(NEXT) | instid1(VALU_DEP_1)
	v_lshl_add_u32 v5, v17, 23, 0x37800000
	v_or3_b32 v3, v1, v5, v3
.LBB166_3162:
	s_or_b32 exec_lo, exec_lo, s21
	s_delay_alu instid0(VALU_DEP_1) | instskip(SKIP_2) | instid1(VALU_DEP_2)
	v_bfe_u32 v1, v3, 16, 1
	v_cmp_o_f32_e32 vcc_lo, v3, v3
	s_mov_b32 s20, 0
	v_add3_u32 v1, v3, v1, 0x7fff
	s_delay_alu instid0(VALU_DEP_1) | instskip(NEXT) | instid1(VALU_DEP_1)
	v_lshrrev_b32_e32 v1, 16, v1
	v_cndmask_b32_e32 v5, 0x7fc0, v1, vcc_lo
	s_branch .LBB166_3168
.LBB166_3163:
	s_mov_b32 s20, -1
                                        ; implicit-def: $vgpr5
	s_branch .LBB166_3174
.LBB166_3164:
	s_or_saveexec_b32 s22, s22
	v_mov_b32_e32 v3, 0x7f800001
	s_xor_b32 exec_lo, exec_lo, s22
	s_cbranch_execz .LBB166_3147
.LBB166_3165:
	v_cmp_ne_u16_e32 vcc_lo, 0, v1
	v_mov_b32_e32 v3, 0
	s_and_not1_b32 s21, s21, exec_lo
	s_and_b32 s23, vcc_lo, exec_lo
	s_delay_alu instid0(SALU_CYCLE_1)
	s_or_b32 s21, s21, s23
	s_or_b32 exec_lo, exec_lo, s22
	s_and_saveexec_b32 s22, s21
	s_cbranch_execnz .LBB166_3148
	s_branch .LBB166_3149
.LBB166_3166:
	s_mov_b32 s20, -1
                                        ; implicit-def: $vgpr5
	s_branch .LBB166_3171
.LBB166_3167:
	s_mov_b32 s20, -1
                                        ; implicit-def: $vgpr5
.LBB166_3168:
	s_delay_alu instid0(SALU_CYCLE_1)
	s_and_b32 vcc_lo, exec_lo, s20
	s_cbranch_vccz .LBB166_3170
; %bb.3169:
	global_load_u8 v1, v[6:7], off
	s_wait_loadcnt 0x0
	v_lshlrev_b32_e32 v1, 24, v1
	s_delay_alu instid0(VALU_DEP_1) | instskip(NEXT) | instid1(VALU_DEP_1)
	v_and_b32_e32 v3, 0x7f000000, v1
	v_clz_i32_u32_e32 v5, v3
	v_cmp_ne_u32_e32 vcc_lo, 0, v3
	v_add_nc_u32_e32 v18, 0x1000000, v3
	s_delay_alu instid0(VALU_DEP_3) | instskip(NEXT) | instid1(VALU_DEP_1)
	v_min_u32_e32 v5, 32, v5
	v_sub_nc_u32_e64 v5, v5, 4 clamp
	s_delay_alu instid0(VALU_DEP_1) | instskip(NEXT) | instid1(VALU_DEP_1)
	v_dual_lshlrev_b32 v17, v5, v3 :: v_dual_lshlrev_b32 v5, 23, v5
	v_lshrrev_b32_e32 v17, 4, v17
	s_delay_alu instid0(VALU_DEP_1) | instskip(NEXT) | instid1(VALU_DEP_1)
	v_dual_sub_nc_u32 v5, v17, v5 :: v_dual_ashrrev_i32 v17, 8, v18
	v_add_nc_u32_e32 v5, 0x3c000000, v5
	s_delay_alu instid0(VALU_DEP_1) | instskip(NEXT) | instid1(VALU_DEP_1)
	v_and_or_b32 v5, 0x7f800000, v17, v5
	v_cndmask_b32_e32 v3, 0, v5, vcc_lo
	s_delay_alu instid0(VALU_DEP_1) | instskip(SKIP_1) | instid1(VALU_DEP_2)
	v_and_or_b32 v1, 0x80000000, v1, v3
	v_bfe_u32 v3, v3, 16, 1
	v_cmp_o_f32_e32 vcc_lo, v1, v1
	s_delay_alu instid0(VALU_DEP_2) | instskip(NEXT) | instid1(VALU_DEP_1)
	v_add3_u32 v3, v1, v3, 0x7fff
	v_lshrrev_b32_e32 v3, 16, v3
	s_delay_alu instid0(VALU_DEP_1)
	v_cndmask_b32_e32 v5, 0x7fc0, v3, vcc_lo
.LBB166_3170:
	s_mov_b32 s20, 0
.LBB166_3171:
	s_delay_alu instid0(SALU_CYCLE_1)
	s_and_not1_b32 vcc_lo, exec_lo, s20
	s_cbranch_vccnz .LBB166_3173
; %bb.3172:
	global_load_u8 v1, v[6:7], off
	s_wait_loadcnt 0x0
	v_lshlrev_b32_e32 v3, 25, v1
	v_lshlrev_b16 v1, 8, v1
	s_delay_alu instid0(VALU_DEP_2) | instskip(NEXT) | instid1(VALU_DEP_2)
	v_cmp_gt_u32_e32 vcc_lo, 0x8000000, v3
	v_and_or_b32 v17, 0x7f00, v1, 0.5
	v_lshrrev_b32_e32 v5, 4, v3
	v_bfe_i32 v1, v1, 0, 16
	s_delay_alu instid0(VALU_DEP_3) | instskip(NEXT) | instid1(VALU_DEP_3)
	v_add_f32_e32 v17, -0.5, v17
	v_or_b32_e32 v5, 0x70000000, v5
	s_delay_alu instid0(VALU_DEP_1) | instskip(NEXT) | instid1(VALU_DEP_1)
	v_mul_f32_e32 v5, 0x7800000, v5
	v_cndmask_b32_e32 v3, v5, v17, vcc_lo
	s_delay_alu instid0(VALU_DEP_1) | instskip(SKIP_1) | instid1(VALU_DEP_2)
	v_and_or_b32 v1, 0x80000000, v1, v3
	v_bfe_u32 v3, v3, 16, 1
	v_cmp_o_f32_e32 vcc_lo, v1, v1
	s_delay_alu instid0(VALU_DEP_2) | instskip(NEXT) | instid1(VALU_DEP_1)
	v_add3_u32 v3, v1, v3, 0x7fff
	v_lshrrev_b32_e32 v3, 16, v3
	s_delay_alu instid0(VALU_DEP_1)
	v_cndmask_b32_e32 v5, 0x7fc0, v3, vcc_lo
.LBB166_3173:
	s_mov_b32 s20, 0
	s_mov_b32 s21, -1
.LBB166_3174:
	s_and_not1_b32 vcc_lo, exec_lo, s20
	s_mov_b32 s20, 0
	s_cbranch_vccnz .LBB166_3185
; %bb.3175:
	s_cmp_gt_i32 s0, 14
	s_cbranch_scc0 .LBB166_3178
; %bb.3176:
	s_cmp_eq_u32 s0, 15
	s_cbranch_scc0 .LBB166_3181
; %bb.3177:
	s_wait_loadcnt 0x0
	global_load_u16 v5, v[6:7], off
	s_mov_b32 s15, 0
	s_mov_b32 s21, -1
	s_branch .LBB166_3183
.LBB166_3178:
	s_mov_b32 s20, -1
	s_branch .LBB166_3182
.LBB166_3179:
	s_or_saveexec_b32 s21, s21
	v_mov_b32_e32 v3, 0x7f800001
	s_xor_b32 exec_lo, exec_lo, s21
	s_cbranch_execz .LBB166_3160
.LBB166_3180:
	v_cmp_ne_u16_e32 vcc_lo, 0, v1
	v_mov_b32_e32 v3, 0
	s_and_not1_b32 s20, s20, exec_lo
	s_and_b32 s22, vcc_lo, exec_lo
	s_delay_alu instid0(SALU_CYCLE_1)
	s_or_b32 s20, s20, s22
	s_or_b32 exec_lo, exec_lo, s21
	s_and_saveexec_b32 s21, s20
	s_cbranch_execnz .LBB166_3161
	s_branch .LBB166_3162
.LBB166_3181:
	s_mov_b32 s15, -1
.LBB166_3182:
                                        ; implicit-def: $vgpr5
.LBB166_3183:
	s_and_b32 vcc_lo, exec_lo, s20
	s_mov_b32 s20, 0
	s_cbranch_vccz .LBB166_3185
; %bb.3184:
	s_cmp_lg_u32 s0, 11
	s_mov_b32 s20, -1
	s_cselect_b32 s15, -1, 0
.LBB166_3185:
	s_delay_alu instid0(SALU_CYCLE_1)
	s_and_b32 vcc_lo, exec_lo, s15
	s_cbranch_vccnz .LBB166_3250
; %bb.3186:
	s_and_not1_b32 vcc_lo, exec_lo, s20
	s_cbranch_vccnz .LBB166_3188
.LBB166_3187:
	global_load_u8 v1, v[6:7], off
	s_mov_b32 s21, -1
	s_wait_loadcnt 0x0
	v_cmp_ne_u16_e32 vcc_lo, 0, v1
	v_cndmask_b32_e64 v1, 0, 1.0, vcc_lo
	s_delay_alu instid0(VALU_DEP_1)
	v_lshrrev_b32_e32 v5, 16, v1
.LBB166_3188:
	s_mov_b32 s15, 0
.LBB166_3189:
	s_delay_alu instid0(SALU_CYCLE_1)
	s_and_b32 vcc_lo, exec_lo, s15
	s_cbranch_vccz .LBB166_3238
; %bb.3190:
	s_cmp_lt_i32 s0, 5
	s_cbranch_scc1 .LBB166_3195
; %bb.3191:
	s_cmp_lt_i32 s0, 8
	s_cbranch_scc1 .LBB166_3196
	;; [unrolled: 3-line block ×3, first 2 shown]
; %bb.3193:
	s_cmp_gt_i32 s0, 9
	s_cbranch_scc0 .LBB166_3198
; %bb.3194:
	global_load_b64 v[18:19], v[6:7], off
	s_mov_b32 s15, 0
	s_wait_loadcnt 0x0
	v_cvt_f32_f64_e32 v1, v[18:19]
	s_delay_alu instid0(VALU_DEP_1) | instskip(SKIP_1) | instid1(VALU_DEP_2)
	v_bfe_u32 v3, v1, 16, 1
	v_cmp_o_f32_e32 vcc_lo, v1, v1
	v_add3_u32 v3, v1, v3, 0x7fff
	s_delay_alu instid0(VALU_DEP_1) | instskip(NEXT) | instid1(VALU_DEP_1)
	v_lshrrev_b32_e32 v3, 16, v3
	v_cndmask_b32_e32 v5, 0x7fc0, v3, vcc_lo
	s_branch .LBB166_3199
.LBB166_3195:
	s_mov_b32 s15, -1
                                        ; implicit-def: $vgpr5
	s_branch .LBB166_3217
.LBB166_3196:
	s_mov_b32 s15, -1
                                        ; implicit-def: $vgpr5
	s_branch .LBB166_3205
.LBB166_3197:
	s_mov_b32 s15, -1
                                        ; implicit-def: $vgpr5
	s_branch .LBB166_3202
.LBB166_3198:
	s_mov_b32 s15, -1
                                        ; implicit-def: $vgpr5
.LBB166_3199:
	s_delay_alu instid0(SALU_CYCLE_1)
	s_and_not1_b32 vcc_lo, exec_lo, s15
	s_cbranch_vccnz .LBB166_3201
; %bb.3200:
	global_load_b32 v1, v[6:7], off
	s_wait_loadcnt 0x0
	v_bfe_u32 v3, v1, 16, 1
	v_cmp_o_f32_e32 vcc_lo, v1, v1
	s_delay_alu instid0(VALU_DEP_2) | instskip(NEXT) | instid1(VALU_DEP_1)
	v_add3_u32 v3, v1, v3, 0x7fff
	v_lshrrev_b32_e32 v3, 16, v3
	s_delay_alu instid0(VALU_DEP_1)
	v_cndmask_b32_e32 v5, 0x7fc0, v3, vcc_lo
.LBB166_3201:
	s_mov_b32 s15, 0
.LBB166_3202:
	s_delay_alu instid0(SALU_CYCLE_1)
	s_and_not1_b32 vcc_lo, exec_lo, s15
	s_cbranch_vccnz .LBB166_3204
; %bb.3203:
	global_load_b32 v1, v[6:7], off
	s_wait_loadcnt 0x0
	v_cvt_f32_f16_e32 v3, v1
	v_cmp_o_f16_e32 vcc_lo, v1, v1
	s_delay_alu instid0(VALU_DEP_2) | instskip(NEXT) | instid1(VALU_DEP_1)
	v_bfe_u32 v5, v3, 16, 1
	v_add3_u32 v3, v3, v5, 0x7fff
	s_delay_alu instid0(VALU_DEP_1) | instskip(NEXT) | instid1(VALU_DEP_1)
	v_lshrrev_b32_e32 v3, 16, v3
	v_cndmask_b32_e32 v5, 0x7fc0, v3, vcc_lo
.LBB166_3204:
	s_mov_b32 s15, 0
.LBB166_3205:
	s_delay_alu instid0(SALU_CYCLE_1)
	s_and_not1_b32 vcc_lo, exec_lo, s15
	s_cbranch_vccnz .LBB166_3216
; %bb.3206:
	s_cmp_lt_i32 s0, 6
	s_cbranch_scc1 .LBB166_3209
; %bb.3207:
	s_cmp_gt_i32 s0, 6
	s_cbranch_scc0 .LBB166_3210
; %bb.3208:
	global_load_b64 v[18:19], v[6:7], off
	s_mov_b32 s15, 0
	s_wait_loadcnt 0x0
	v_cvt_f32_f64_e32 v1, v[18:19]
	s_delay_alu instid0(VALU_DEP_1) | instskip(SKIP_1) | instid1(VALU_DEP_2)
	v_bfe_u32 v3, v1, 16, 1
	v_cmp_o_f32_e32 vcc_lo, v1, v1
	v_add3_u32 v3, v1, v3, 0x7fff
	s_delay_alu instid0(VALU_DEP_1) | instskip(NEXT) | instid1(VALU_DEP_1)
	v_lshrrev_b32_e32 v3, 16, v3
	v_cndmask_b32_e32 v5, 0x7fc0, v3, vcc_lo
	s_branch .LBB166_3211
.LBB166_3209:
	s_mov_b32 s15, -1
                                        ; implicit-def: $vgpr5
	s_branch .LBB166_3214
.LBB166_3210:
	s_mov_b32 s15, -1
                                        ; implicit-def: $vgpr5
.LBB166_3211:
	s_delay_alu instid0(SALU_CYCLE_1)
	s_and_not1_b32 vcc_lo, exec_lo, s15
	s_cbranch_vccnz .LBB166_3213
; %bb.3212:
	global_load_b32 v1, v[6:7], off
	s_wait_loadcnt 0x0
	v_bfe_u32 v3, v1, 16, 1
	v_cmp_o_f32_e32 vcc_lo, v1, v1
	s_delay_alu instid0(VALU_DEP_2) | instskip(NEXT) | instid1(VALU_DEP_1)
	v_add3_u32 v3, v1, v3, 0x7fff
	v_lshrrev_b32_e32 v3, 16, v3
	s_delay_alu instid0(VALU_DEP_1)
	v_cndmask_b32_e32 v5, 0x7fc0, v3, vcc_lo
.LBB166_3213:
	s_mov_b32 s15, 0
.LBB166_3214:
	s_delay_alu instid0(SALU_CYCLE_1)
	s_and_not1_b32 vcc_lo, exec_lo, s15
	s_cbranch_vccnz .LBB166_3216
; %bb.3215:
	global_load_u16 v1, v[6:7], off
	s_wait_loadcnt 0x0
	v_cvt_f32_f16_e32 v3, v1
	v_cmp_o_f16_e32 vcc_lo, v1, v1
	s_delay_alu instid0(VALU_DEP_2) | instskip(NEXT) | instid1(VALU_DEP_1)
	v_bfe_u32 v5, v3, 16, 1
	v_add3_u32 v3, v3, v5, 0x7fff
	s_delay_alu instid0(VALU_DEP_1) | instskip(NEXT) | instid1(VALU_DEP_1)
	v_lshrrev_b32_e32 v3, 16, v3
	v_cndmask_b32_e32 v5, 0x7fc0, v3, vcc_lo
.LBB166_3216:
	s_mov_b32 s15, 0
.LBB166_3217:
	s_delay_alu instid0(SALU_CYCLE_1)
	s_and_not1_b32 vcc_lo, exec_lo, s15
	s_cbranch_vccnz .LBB166_3237
; %bb.3218:
	s_cmp_lt_i32 s0, 2
	s_cbranch_scc1 .LBB166_3222
; %bb.3219:
	s_cmp_lt_i32 s0, 3
	s_cbranch_scc1 .LBB166_3223
; %bb.3220:
	s_cmp_gt_i32 s0, 3
	s_cbranch_scc0 .LBB166_3224
; %bb.3221:
	global_load_b64 v[18:19], v[6:7], off
	s_mov_b32 s15, 0
	s_wait_loadcnt 0x0
	v_xor_b32_e32 v1, v18, v19
	v_cls_i32_e32 v3, v19
	s_delay_alu instid0(VALU_DEP_2) | instskip(NEXT) | instid1(VALU_DEP_1)
	v_ashrrev_i32_e32 v1, 31, v1
	v_add_nc_u32_e32 v1, 32, v1
	s_delay_alu instid0(VALU_DEP_1) | instskip(NEXT) | instid1(VALU_DEP_1)
	v_add_min_u32_e64 v1, v3, -1, v1
	v_lshlrev_b64_e32 v[18:19], v1, v[18:19]
	v_sub_nc_u32_e32 v1, 32, v1
	s_delay_alu instid0(VALU_DEP_2) | instskip(NEXT) | instid1(VALU_DEP_1)
	v_min_u32_e32 v3, 1, v18
	v_or_b32_e32 v3, v19, v3
	s_delay_alu instid0(VALU_DEP_1) | instskip(NEXT) | instid1(VALU_DEP_1)
	v_cvt_f32_i32_e32 v3, v3
	v_ldexp_f32 v1, v3, v1
	s_delay_alu instid0(VALU_DEP_1) | instskip(NEXT) | instid1(VALU_DEP_1)
	v_bfe_u32 v3, v1, 16, 1
	v_add3_u32 v1, v1, v3, 0x7fff
	s_delay_alu instid0(VALU_DEP_1)
	v_lshrrev_b32_e32 v5, 16, v1
	s_branch .LBB166_3225
.LBB166_3222:
	s_mov_b32 s15, -1
                                        ; implicit-def: $vgpr5
	s_branch .LBB166_3231
.LBB166_3223:
	s_mov_b32 s15, -1
                                        ; implicit-def: $vgpr5
	s_branch .LBB166_3228
.LBB166_3224:
	s_mov_b32 s15, -1
                                        ; implicit-def: $vgpr5
.LBB166_3225:
	s_delay_alu instid0(SALU_CYCLE_1)
	s_and_not1_b32 vcc_lo, exec_lo, s15
	s_cbranch_vccnz .LBB166_3227
; %bb.3226:
	global_load_b32 v1, v[6:7], off
	s_wait_loadcnt 0x0
	v_cvt_f32_i32_e32 v1, v1
	s_delay_alu instid0(VALU_DEP_1) | instskip(NEXT) | instid1(VALU_DEP_1)
	v_bfe_u32 v3, v1, 16, 1
	v_add3_u32 v1, v1, v3, 0x7fff
	s_delay_alu instid0(VALU_DEP_1)
	v_lshrrev_b32_e32 v5, 16, v1
.LBB166_3227:
	s_mov_b32 s15, 0
.LBB166_3228:
	s_delay_alu instid0(SALU_CYCLE_1)
	s_and_not1_b32 vcc_lo, exec_lo, s15
	s_cbranch_vccnz .LBB166_3230
; %bb.3229:
	global_load_i16 v1, v[6:7], off
	s_wait_loadcnt 0x0
	v_cvt_f32_i32_e32 v1, v1
	s_delay_alu instid0(VALU_DEP_1) | instskip(NEXT) | instid1(VALU_DEP_1)
	v_bfe_u32 v3, v1, 16, 1
	v_add3_u32 v1, v1, v3, 0x7fff
	s_delay_alu instid0(VALU_DEP_1)
	v_lshrrev_b32_e32 v5, 16, v1
.LBB166_3230:
	s_mov_b32 s15, 0
.LBB166_3231:
	s_delay_alu instid0(SALU_CYCLE_1)
	s_and_not1_b32 vcc_lo, exec_lo, s15
	s_cbranch_vccnz .LBB166_3237
; %bb.3232:
	s_cmp_gt_i32 s0, 0
	s_mov_b32 s15, 0
	s_cbranch_scc0 .LBB166_3234
; %bb.3233:
	global_load_i8 v1, v[6:7], off
	s_wait_loadcnt 0x0
	v_cvt_f32_i32_e32 v1, v1
	s_delay_alu instid0(VALU_DEP_1) | instskip(NEXT) | instid1(VALU_DEP_1)
	v_bfe_u32 v3, v1, 16, 1
	v_add3_u32 v1, v1, v3, 0x7fff
	s_delay_alu instid0(VALU_DEP_1)
	v_lshrrev_b32_e32 v5, 16, v1
	s_branch .LBB166_3235
.LBB166_3234:
	s_mov_b32 s15, -1
                                        ; implicit-def: $vgpr5
.LBB166_3235:
	s_delay_alu instid0(SALU_CYCLE_1)
	s_and_not1_b32 vcc_lo, exec_lo, s15
	s_cbranch_vccnz .LBB166_3237
; %bb.3236:
	global_load_u8 v1, v[6:7], off
	s_wait_loadcnt 0x0
	v_cvt_f32_ubyte0_e32 v1, v1
	s_delay_alu instid0(VALU_DEP_1) | instskip(NEXT) | instid1(VALU_DEP_1)
	v_bfe_u32 v3, v1, 16, 1
	v_add3_u32 v1, v1, v3, 0x7fff
	s_delay_alu instid0(VALU_DEP_1)
	v_lshrrev_b32_e32 v5, 16, v1
.LBB166_3237:
	s_mov_b32 s21, -1
.LBB166_3238:
	s_delay_alu instid0(SALU_CYCLE_1)
	s_and_not1_b32 vcc_lo, exec_lo, s21
	s_cbranch_vccnz .LBB166_4065
; %bb.3239:
	v_add_nc_u32_e32 v0, s1, v0
	s_cmp_lt_i32 s17, 11
	s_delay_alu instid0(VALU_DEP_1) | instskip(NEXT) | instid1(VALU_DEP_1)
	v_ashrrev_i32_e32 v1, 31, v0
	v_add_nc_u64_e32 v[0:1], s[6:7], v[0:1]
	s_cbranch_scc1 .LBB166_3246
; %bb.3240:
	s_and_b32 s1, 0xffff, s17
	s_mov_b32 s7, 0
	s_cmp_gt_i32 s1, 25
	s_cbranch_scc0 .LBB166_3247
; %bb.3241:
	s_cmp_gt_i32 s1, 28
	s_cbranch_scc0 .LBB166_3248
; %bb.3242:
	;; [unrolled: 3-line block ×4, first 2 shown]
	s_cmp_eq_u32 s1, 46
	s_mov_b32 s20, 0
	s_cbranch_scc0 .LBB166_3252
; %bb.3245:
	global_load_b32 v6, v[0:1], off
	s_mov_b32 s6, 0
	s_mov_b32 s15, -1
	s_branch .LBB166_3254
.LBB166_3246:
	s_mov_b32 s1, -1
	s_mov_b32 s15, 0
                                        ; implicit-def: $vgpr6
	s_branch .LBB166_3320
.LBB166_3247:
	s_mov_b32 s20, -1
	s_mov_b32 s15, 0
	s_mov_b32 s6, 0
                                        ; implicit-def: $vgpr6
	s_branch .LBB166_3283
.LBB166_3248:
	s_mov_b32 s20, -1
	s_mov_b32 s15, 0
	s_mov_b32 s6, 0
                                        ; implicit-def: $vgpr6
	s_branch .LBB166_3264
.LBB166_3249:
	s_mov_b32 s20, -1
	s_mov_b32 s15, 0
	s_mov_b32 s6, 0
                                        ; implicit-def: $vgpr6
	s_branch .LBB166_3259
.LBB166_3250:
	s_or_b32 s16, s16, exec_lo
	s_trap 2
	s_cbranch_execz .LBB166_3187
	s_branch .LBB166_3188
.LBB166_3251:
	s_mov_b32 s20, -1
	s_mov_b32 s15, 0
	s_mov_b32 s6, 0
	s_branch .LBB166_3253
.LBB166_3252:
	s_mov_b32 s6, -1
	s_mov_b32 s15, 0
.LBB166_3253:
                                        ; implicit-def: $vgpr6
.LBB166_3254:
	s_and_b32 vcc_lo, exec_lo, s20
	s_cbranch_vccz .LBB166_3258
; %bb.3255:
	s_cmp_eq_u32 s1, 44
	s_cbranch_scc0 .LBB166_3257
; %bb.3256:
	global_load_u8 v3, v[0:1], off
	s_mov_b32 s6, 0
	s_mov_b32 s15, -1
	s_wait_loadcnt 0x0
	s_wait_xcnt 0x1
	v_lshlrev_b32_e32 v6, 23, v3
	v_cmp_ne_u32_e32 vcc_lo, 0xff, v3
	s_delay_alu instid0(VALU_DEP_2) | instskip(SKIP_1) | instid1(VALU_DEP_2)
	v_cndmask_b32_e32 v6, 0x7f800001, v6, vcc_lo
	v_cmp_ne_u32_e32 vcc_lo, 0, v3
	v_cndmask_b32_e32 v3, 0x400000, v6, vcc_lo
	s_delay_alu instid0(VALU_DEP_1) | instskip(NEXT) | instid1(VALU_DEP_1)
	v_add_nc_u32_e32 v6, 0x7fff, v3
	v_lshrrev_b32_e32 v6, 16, v6
	v_cmp_o_f32_e32 vcc_lo, v3, v3
	s_delay_alu instid0(VALU_DEP_2)
	v_cndmask_b32_e32 v6, 0x7fc0, v6, vcc_lo
	s_branch .LBB166_3258
.LBB166_3257:
	s_mov_b32 s6, -1
                                        ; implicit-def: $vgpr6
.LBB166_3258:
	s_mov_b32 s20, 0
.LBB166_3259:
	s_delay_alu instid0(SALU_CYCLE_1)
	s_and_b32 vcc_lo, exec_lo, s20
	s_cbranch_vccz .LBB166_3263
; %bb.3260:
	s_cmp_eq_u32 s1, 29
	s_cbranch_scc0 .LBB166_3262
; %bb.3261:
	s_wait_loadcnt 0x0
	global_load_b64 v[6:7], v[0:1], off
	s_mov_b32 s6, 0
	s_mov_b32 s15, -1
	s_mov_b32 s20, 0
	s_wait_loadcnt 0x0
	v_clz_i32_u32_e32 v3, v7
	s_delay_alu instid0(VALU_DEP_1) | instskip(NEXT) | instid1(VALU_DEP_1)
	v_min_u32_e32 v3, 32, v3
	v_lshlrev_b64_e32 v[6:7], v3, v[6:7]
	v_sub_nc_u32_e32 v3, 32, v3
	s_delay_alu instid0(VALU_DEP_2) | instskip(NEXT) | instid1(VALU_DEP_1)
	v_min_u32_e32 v6, 1, v6
	v_or_b32_e32 v6, v7, v6
	s_delay_alu instid0(VALU_DEP_1) | instskip(NEXT) | instid1(VALU_DEP_1)
	v_cvt_f32_u32_e32 v6, v6
	v_ldexp_f32 v3, v6, v3
	s_delay_alu instid0(VALU_DEP_1) | instskip(NEXT) | instid1(VALU_DEP_1)
	v_bfe_u32 v6, v3, 16, 1
	v_add3_u32 v3, v3, v6, 0x7fff
	s_delay_alu instid0(VALU_DEP_1)
	v_lshrrev_b32_e32 v6, 16, v3
	s_branch .LBB166_3264
.LBB166_3262:
	s_mov_b32 s6, -1
                                        ; implicit-def: $vgpr6
.LBB166_3263:
	s_mov_b32 s20, 0
.LBB166_3264:
	s_delay_alu instid0(SALU_CYCLE_1)
	s_and_b32 vcc_lo, exec_lo, s20
	s_cbranch_vccz .LBB166_3282
; %bb.3265:
	s_cmp_lt_i32 s1, 27
	s_cbranch_scc1 .LBB166_3268
; %bb.3266:
	s_cmp_gt_i32 s1, 27
	s_cbranch_scc0 .LBB166_3269
; %bb.3267:
	global_load_b32 v3, v[0:1], off
	s_mov_b32 s15, 0
	s_wait_loadcnt 0x0
	v_cvt_f32_u32_e32 v3, v3
	s_wait_xcnt 0x1
	s_delay_alu instid0(VALU_DEP_1) | instskip(NEXT) | instid1(VALU_DEP_1)
	v_bfe_u32 v6, v3, 16, 1
	v_add3_u32 v3, v3, v6, 0x7fff
	s_delay_alu instid0(VALU_DEP_1)
	v_lshrrev_b32_e32 v6, 16, v3
	s_branch .LBB166_3270
.LBB166_3268:
	s_mov_b32 s15, -1
                                        ; implicit-def: $vgpr6
	s_branch .LBB166_3273
.LBB166_3269:
	s_mov_b32 s15, -1
                                        ; implicit-def: $vgpr6
.LBB166_3270:
	s_delay_alu instid0(SALU_CYCLE_1)
	s_and_not1_b32 vcc_lo, exec_lo, s15
	s_cbranch_vccnz .LBB166_3272
; %bb.3271:
	global_load_u16 v3, v[0:1], off
	s_wait_loadcnt 0x0
	v_cvt_f32_u32_e32 v3, v3
	s_wait_xcnt 0x1
	s_delay_alu instid0(VALU_DEP_1) | instskip(NEXT) | instid1(VALU_DEP_1)
	v_bfe_u32 v6, v3, 16, 1
	v_add3_u32 v3, v3, v6, 0x7fff
	s_delay_alu instid0(VALU_DEP_1)
	v_lshrrev_b32_e32 v6, 16, v3
.LBB166_3272:
	s_mov_b32 s15, 0
.LBB166_3273:
	s_delay_alu instid0(SALU_CYCLE_1)
	s_and_not1_b32 vcc_lo, exec_lo, s15
	s_cbranch_vccnz .LBB166_3281
; %bb.3274:
	global_load_u8 v3, v[0:1], off
	s_mov_b32 s15, 0
	s_mov_b32 s20, exec_lo
	s_wait_loadcnt 0x0
	v_cmpx_lt_i16_e32 0x7f, v3
	s_xor_b32 s20, exec_lo, s20
	s_cbranch_execz .LBB166_3295
; %bb.3275:
	s_mov_b32 s15, -1
	s_mov_b32 s21, exec_lo
	v_cmpx_eq_u16_e32 0x80, v3
; %bb.3276:
	s_xor_b32 s15, exec_lo, -1
; %bb.3277:
	s_or_b32 exec_lo, exec_lo, s21
	s_delay_alu instid0(SALU_CYCLE_1)
	s_and_b32 s15, s15, exec_lo
	s_or_saveexec_b32 s20, s20
	v_mov_b32_e32 v6, 0x7f800001
	s_xor_b32 exec_lo, exec_lo, s20
	s_cbranch_execnz .LBB166_3296
.LBB166_3278:
	s_or_b32 exec_lo, exec_lo, s20
	s_and_saveexec_b32 s20, s15
	s_cbranch_execz .LBB166_3280
.LBB166_3279:
	v_and_b32_e32 v6, 0xffff, v3
	s_delay_alu instid0(VALU_DEP_1) | instskip(SKIP_1) | instid1(VALU_DEP_2)
	v_and_b32_e32 v7, 7, v6
	v_bfe_u32 v19, v6, 3, 4
	v_clz_i32_u32_e32 v17, v7
	s_delay_alu instid0(VALU_DEP_2) | instskip(NEXT) | instid1(VALU_DEP_2)
	v_cmp_eq_u32_e32 vcc_lo, 0, v19
	v_min_u32_e32 v17, 32, v17
	s_delay_alu instid0(VALU_DEP_1) | instskip(NEXT) | instid1(VALU_DEP_1)
	v_subrev_nc_u32_e32 v18, 28, v17
	v_dual_lshlrev_b32 v6, v18, v6 :: v_dual_sub_nc_u32 v17, 29, v17
	s_delay_alu instid0(VALU_DEP_1) | instskip(NEXT) | instid1(VALU_DEP_2)
	v_dual_lshlrev_b32 v3, 24, v3 :: v_dual_bitop2_b32 v6, 7, v6 bitop3:0x40
	v_cndmask_b32_e32 v17, v19, v17, vcc_lo
	s_delay_alu instid0(VALU_DEP_2) | instskip(NEXT) | instid1(VALU_DEP_3)
	v_cndmask_b32_e32 v6, v7, v6, vcc_lo
	v_and_b32_e32 v3, 0x80000000, v3
	s_delay_alu instid0(VALU_DEP_3) | instskip(NEXT) | instid1(VALU_DEP_3)
	v_lshl_add_u32 v7, v17, 23, 0x3b800000
	v_lshlrev_b32_e32 v6, 20, v6
	s_delay_alu instid0(VALU_DEP_1)
	v_or3_b32 v6, v3, v7, v6
.LBB166_3280:
	s_or_b32 exec_lo, exec_lo, s20
	s_delay_alu instid0(VALU_DEP_1) | instskip(SKIP_1) | instid1(VALU_DEP_2)
	v_bfe_u32 v3, v6, 16, 1
	v_cmp_o_f32_e32 vcc_lo, v6, v6
	v_add3_u32 v3, v6, v3, 0x7fff
	s_delay_alu instid0(VALU_DEP_1) | instskip(NEXT) | instid1(VALU_DEP_1)
	v_lshrrev_b32_e32 v3, 16, v3
	v_cndmask_b32_e32 v6, 0x7fc0, v3, vcc_lo
.LBB166_3281:
	s_mov_b32 s15, -1
.LBB166_3282:
	s_mov_b32 s20, 0
.LBB166_3283:
	s_delay_alu instid0(SALU_CYCLE_1)
	s_and_b32 vcc_lo, exec_lo, s20
	s_cbranch_vccz .LBB166_3316
; %bb.3284:
	s_cmp_gt_i32 s1, 22
	s_cbranch_scc0 .LBB166_3294
; %bb.3285:
	s_cmp_lt_i32 s1, 24
	s_cbranch_scc1 .LBB166_3297
; %bb.3286:
	s_cmp_gt_i32 s1, 24
	s_cbranch_scc0 .LBB166_3298
; %bb.3287:
	global_load_u8 v3, v[0:1], off
	s_mov_b32 s15, exec_lo
	s_wait_loadcnt 0x0
	v_cmpx_lt_i16_e32 0x7f, v3
	s_xor_b32 s15, exec_lo, s15
	s_cbranch_execz .LBB166_3310
; %bb.3288:
	s_mov_b32 s7, -1
	s_mov_b32 s20, exec_lo
	v_cmpx_eq_u16_e32 0x80, v3
; %bb.3289:
	s_xor_b32 s7, exec_lo, -1
; %bb.3290:
	s_or_b32 exec_lo, exec_lo, s20
	s_delay_alu instid0(SALU_CYCLE_1)
	s_and_b32 s7, s7, exec_lo
	s_or_saveexec_b32 s15, s15
	v_mov_b32_e32 v6, 0x7f800001
	s_xor_b32 exec_lo, exec_lo, s15
	s_cbranch_execnz .LBB166_3311
.LBB166_3291:
	s_or_b32 exec_lo, exec_lo, s15
	s_and_saveexec_b32 s15, s7
	s_cbranch_execz .LBB166_3293
.LBB166_3292:
	v_and_b32_e32 v6, 0xffff, v3
	s_delay_alu instid0(VALU_DEP_1) | instskip(SKIP_1) | instid1(VALU_DEP_2)
	v_and_b32_e32 v7, 3, v6
	v_bfe_u32 v19, v6, 2, 5
	v_clz_i32_u32_e32 v17, v7
	s_delay_alu instid0(VALU_DEP_2) | instskip(NEXT) | instid1(VALU_DEP_2)
	v_cmp_eq_u32_e32 vcc_lo, 0, v19
	v_min_u32_e32 v17, 32, v17
	s_delay_alu instid0(VALU_DEP_1) | instskip(NEXT) | instid1(VALU_DEP_1)
	v_subrev_nc_u32_e32 v18, 29, v17
	v_dual_lshlrev_b32 v6, v18, v6 :: v_dual_sub_nc_u32 v17, 30, v17
	s_delay_alu instid0(VALU_DEP_1) | instskip(NEXT) | instid1(VALU_DEP_2)
	v_dual_lshlrev_b32 v3, 24, v3 :: v_dual_bitop2_b32 v6, 3, v6 bitop3:0x40
	v_cndmask_b32_e32 v17, v19, v17, vcc_lo
	s_delay_alu instid0(VALU_DEP_2) | instskip(NEXT) | instid1(VALU_DEP_3)
	v_cndmask_b32_e32 v6, v7, v6, vcc_lo
	v_and_b32_e32 v3, 0x80000000, v3
	s_delay_alu instid0(VALU_DEP_3) | instskip(NEXT) | instid1(VALU_DEP_3)
	v_lshl_add_u32 v7, v17, 23, 0x37800000
	v_lshlrev_b32_e32 v6, 21, v6
	s_delay_alu instid0(VALU_DEP_1)
	v_or3_b32 v6, v3, v7, v6
.LBB166_3293:
	s_or_b32 exec_lo, exec_lo, s15
	s_delay_alu instid0(VALU_DEP_1) | instskip(SKIP_2) | instid1(VALU_DEP_2)
	v_bfe_u32 v3, v6, 16, 1
	v_cmp_o_f32_e32 vcc_lo, v6, v6
	s_mov_b32 s7, 0
	v_add3_u32 v3, v6, v3, 0x7fff
	s_delay_alu instid0(VALU_DEP_1) | instskip(NEXT) | instid1(VALU_DEP_1)
	v_lshrrev_b32_e32 v3, 16, v3
	v_cndmask_b32_e32 v6, 0x7fc0, v3, vcc_lo
	s_branch .LBB166_3299
.LBB166_3294:
	s_mov_b32 s7, -1
                                        ; implicit-def: $vgpr6
	s_branch .LBB166_3305
.LBB166_3295:
	s_or_saveexec_b32 s20, s20
	v_mov_b32_e32 v6, 0x7f800001
	s_xor_b32 exec_lo, exec_lo, s20
	s_cbranch_execz .LBB166_3278
.LBB166_3296:
	v_cmp_ne_u16_e32 vcc_lo, 0, v3
	v_mov_b32_e32 v6, 0
	s_and_not1_b32 s15, s15, exec_lo
	s_and_b32 s21, vcc_lo, exec_lo
	s_delay_alu instid0(SALU_CYCLE_1)
	s_or_b32 s15, s15, s21
	s_or_b32 exec_lo, exec_lo, s20
	s_and_saveexec_b32 s20, s15
	s_cbranch_execnz .LBB166_3279
	s_branch .LBB166_3280
.LBB166_3297:
	s_mov_b32 s7, -1
                                        ; implicit-def: $vgpr6
	s_branch .LBB166_3302
.LBB166_3298:
	s_mov_b32 s7, -1
                                        ; implicit-def: $vgpr6
.LBB166_3299:
	s_delay_alu instid0(SALU_CYCLE_1)
	s_and_b32 vcc_lo, exec_lo, s7
	s_cbranch_vccz .LBB166_3301
; %bb.3300:
	global_load_u8 v3, v[0:1], off
	s_wait_loadcnt 0x0
	v_lshlrev_b32_e32 v3, 24, v3
	s_wait_xcnt 0x1
	s_delay_alu instid0(VALU_DEP_1) | instskip(NEXT) | instid1(VALU_DEP_1)
	v_and_b32_e32 v6, 0x7f000000, v3
	v_clz_i32_u32_e32 v7, v6
	v_add_nc_u32_e32 v18, 0x1000000, v6
	v_cmp_ne_u32_e32 vcc_lo, 0, v6
	s_delay_alu instid0(VALU_DEP_3) | instskip(NEXT) | instid1(VALU_DEP_1)
	v_min_u32_e32 v7, 32, v7
	v_sub_nc_u32_e64 v7, v7, 4 clamp
	s_delay_alu instid0(VALU_DEP_1) | instskip(NEXT) | instid1(VALU_DEP_1)
	v_dual_lshlrev_b32 v17, v7, v6 :: v_dual_lshlrev_b32 v7, 23, v7
	v_lshrrev_b32_e32 v17, 4, v17
	s_delay_alu instid0(VALU_DEP_1) | instskip(NEXT) | instid1(VALU_DEP_1)
	v_dual_sub_nc_u32 v7, v17, v7 :: v_dual_ashrrev_i32 v17, 8, v18
	v_add_nc_u32_e32 v7, 0x3c000000, v7
	s_delay_alu instid0(VALU_DEP_1) | instskip(NEXT) | instid1(VALU_DEP_1)
	v_and_or_b32 v7, 0x7f800000, v17, v7
	v_cndmask_b32_e32 v6, 0, v7, vcc_lo
	s_delay_alu instid0(VALU_DEP_1) | instskip(SKIP_1) | instid1(VALU_DEP_2)
	v_and_or_b32 v3, 0x80000000, v3, v6
	v_bfe_u32 v6, v6, 16, 1
	v_cmp_o_f32_e32 vcc_lo, v3, v3
	s_delay_alu instid0(VALU_DEP_2) | instskip(NEXT) | instid1(VALU_DEP_1)
	v_add3_u32 v6, v3, v6, 0x7fff
	v_lshrrev_b32_e32 v6, 16, v6
	s_delay_alu instid0(VALU_DEP_1)
	v_cndmask_b32_e32 v6, 0x7fc0, v6, vcc_lo
.LBB166_3301:
	s_mov_b32 s7, 0
.LBB166_3302:
	s_delay_alu instid0(SALU_CYCLE_1)
	s_and_not1_b32 vcc_lo, exec_lo, s7
	s_cbranch_vccnz .LBB166_3304
; %bb.3303:
	global_load_u8 v3, v[0:1], off
	s_wait_loadcnt 0x0
	s_wait_xcnt 0x1
	v_lshlrev_b32_e32 v6, 25, v3
	v_lshlrev_b16 v3, 8, v3
	s_delay_alu instid0(VALU_DEP_1) | instskip(SKIP_1) | instid1(VALU_DEP_2)
	v_and_or_b32 v17, 0x7f00, v3, 0.5
	v_bfe_i32 v3, v3, 0, 16
	v_dual_add_f32 v17, -0.5, v17 :: v_dual_lshrrev_b32 v7, 4, v6
	v_cmp_gt_u32_e32 vcc_lo, 0x8000000, v6
	s_delay_alu instid0(VALU_DEP_2) | instskip(NEXT) | instid1(VALU_DEP_1)
	v_or_b32_e32 v7, 0x70000000, v7
	v_mul_f32_e32 v7, 0x7800000, v7
	s_delay_alu instid0(VALU_DEP_1) | instskip(NEXT) | instid1(VALU_DEP_1)
	v_cndmask_b32_e32 v6, v7, v17, vcc_lo
	v_and_or_b32 v3, 0x80000000, v3, v6
	v_bfe_u32 v6, v6, 16, 1
	s_delay_alu instid0(VALU_DEP_2) | instskip(NEXT) | instid1(VALU_DEP_2)
	v_cmp_o_f32_e32 vcc_lo, v3, v3
	v_add3_u32 v6, v3, v6, 0x7fff
	s_delay_alu instid0(VALU_DEP_1) | instskip(NEXT) | instid1(VALU_DEP_1)
	v_lshrrev_b32_e32 v6, 16, v6
	v_cndmask_b32_e32 v6, 0x7fc0, v6, vcc_lo
.LBB166_3304:
	s_mov_b32 s7, 0
	s_mov_b32 s15, -1
.LBB166_3305:
	s_and_not1_b32 vcc_lo, exec_lo, s7
	s_mov_b32 s7, 0
	s_cbranch_vccnz .LBB166_3316
; %bb.3306:
	s_cmp_gt_i32 s1, 14
	s_cbranch_scc0 .LBB166_3309
; %bb.3307:
	s_cmp_eq_u32 s1, 15
	s_cbranch_scc0 .LBB166_3312
; %bb.3308:
	s_wait_loadcnt 0x0
	global_load_u16 v6, v[0:1], off
	s_mov_b32 s6, 0
	s_mov_b32 s15, -1
	s_branch .LBB166_3314
.LBB166_3309:
	s_mov_b32 s7, -1
	s_branch .LBB166_3313
.LBB166_3310:
	s_or_saveexec_b32 s15, s15
	v_mov_b32_e32 v6, 0x7f800001
	s_xor_b32 exec_lo, exec_lo, s15
	s_cbranch_execz .LBB166_3291
.LBB166_3311:
	v_cmp_ne_u16_e32 vcc_lo, 0, v3
	v_mov_b32_e32 v6, 0
	s_and_not1_b32 s7, s7, exec_lo
	s_and_b32 s20, vcc_lo, exec_lo
	s_delay_alu instid0(SALU_CYCLE_1)
	s_or_b32 s7, s7, s20
	s_or_b32 exec_lo, exec_lo, s15
	s_and_saveexec_b32 s15, s7
	s_cbranch_execnz .LBB166_3292
	s_branch .LBB166_3293
.LBB166_3312:
	s_mov_b32 s6, -1
.LBB166_3313:
                                        ; implicit-def: $vgpr6
.LBB166_3314:
	s_and_b32 vcc_lo, exec_lo, s7
	s_mov_b32 s7, 0
	s_cbranch_vccz .LBB166_3316
; %bb.3315:
	s_cmp_lg_u32 s1, 11
	s_mov_b32 s7, -1
	s_cselect_b32 s6, -1, 0
.LBB166_3316:
	s_delay_alu instid0(SALU_CYCLE_1)
	s_and_b32 vcc_lo, exec_lo, s6
	s_cbranch_vccnz .LBB166_3381
; %bb.3317:
	s_and_not1_b32 vcc_lo, exec_lo, s7
	s_cbranch_vccnz .LBB166_3319
.LBB166_3318:
	global_load_u8 v3, v[0:1], off
	s_mov_b32 s15, -1
	s_wait_loadcnt 0x0
	v_cmp_ne_u16_e32 vcc_lo, 0, v3
	v_cndmask_b32_e64 v3, 0, 1.0, vcc_lo
	s_wait_xcnt 0x1
	s_delay_alu instid0(VALU_DEP_1)
	v_lshrrev_b32_e32 v6, 16, v3
.LBB166_3319:
	s_mov_b32 s1, 0
.LBB166_3320:
	s_delay_alu instid0(SALU_CYCLE_1)
	s_and_b32 vcc_lo, exec_lo, s1
	s_cbranch_vccz .LBB166_3369
; %bb.3321:
	s_and_b32 s1, 0xffff, s17
	s_delay_alu instid0(SALU_CYCLE_1)
	s_cmp_lt_i32 s1, 5
	s_cbranch_scc1 .LBB166_3326
; %bb.3322:
	s_cmp_lt_i32 s1, 8
	s_cbranch_scc1 .LBB166_3327
; %bb.3323:
	;; [unrolled: 3-line block ×3, first 2 shown]
	s_cmp_gt_i32 s1, 9
	s_cbranch_scc0 .LBB166_3329
; %bb.3325:
	s_wait_loadcnt 0x0
	global_load_b64 v[6:7], v[0:1], off
	s_mov_b32 s6, 0
	s_wait_loadcnt 0x0
	v_cvt_f32_f64_e32 v3, v[6:7]
	s_delay_alu instid0(VALU_DEP_1) | instskip(SKIP_1) | instid1(VALU_DEP_2)
	v_bfe_u32 v6, v3, 16, 1
	v_cmp_o_f32_e32 vcc_lo, v3, v3
	v_add3_u32 v6, v3, v6, 0x7fff
	s_delay_alu instid0(VALU_DEP_1) | instskip(NEXT) | instid1(VALU_DEP_1)
	v_lshrrev_b32_e32 v6, 16, v6
	v_cndmask_b32_e32 v6, 0x7fc0, v6, vcc_lo
	s_branch .LBB166_3330
.LBB166_3326:
	s_mov_b32 s6, -1
                                        ; implicit-def: $vgpr6
	s_branch .LBB166_3348
.LBB166_3327:
	s_mov_b32 s6, -1
                                        ; implicit-def: $vgpr6
	s_branch .LBB166_3336
.LBB166_3328:
	s_mov_b32 s6, -1
                                        ; implicit-def: $vgpr6
	s_branch .LBB166_3333
.LBB166_3329:
	s_mov_b32 s6, -1
                                        ; implicit-def: $vgpr6
.LBB166_3330:
	s_delay_alu instid0(SALU_CYCLE_1)
	s_and_not1_b32 vcc_lo, exec_lo, s6
	s_cbranch_vccnz .LBB166_3332
; %bb.3331:
	global_load_b32 v3, v[0:1], off
	s_wait_loadcnt 0x0
	s_wait_xcnt 0x1
	v_bfe_u32 v6, v3, 16, 1
	v_cmp_o_f32_e32 vcc_lo, v3, v3
	s_delay_alu instid0(VALU_DEP_2) | instskip(NEXT) | instid1(VALU_DEP_1)
	v_add3_u32 v6, v3, v6, 0x7fff
	v_lshrrev_b32_e32 v6, 16, v6
	s_delay_alu instid0(VALU_DEP_1)
	v_cndmask_b32_e32 v6, 0x7fc0, v6, vcc_lo
.LBB166_3332:
	s_mov_b32 s6, 0
.LBB166_3333:
	s_delay_alu instid0(SALU_CYCLE_1)
	s_and_not1_b32 vcc_lo, exec_lo, s6
	s_cbranch_vccnz .LBB166_3335
; %bb.3334:
	global_load_b32 v3, v[0:1], off
	s_wait_loadcnt 0x0
	s_wait_xcnt 0x1
	v_cvt_f32_f16_e32 v6, v3
	v_cmp_o_f16_e32 vcc_lo, v3, v3
	s_delay_alu instid0(VALU_DEP_2) | instskip(NEXT) | instid1(VALU_DEP_1)
	v_bfe_u32 v7, v6, 16, 1
	v_add3_u32 v6, v6, v7, 0x7fff
	s_delay_alu instid0(VALU_DEP_1) | instskip(NEXT) | instid1(VALU_DEP_1)
	v_lshrrev_b32_e32 v6, 16, v6
	v_cndmask_b32_e32 v6, 0x7fc0, v6, vcc_lo
.LBB166_3335:
	s_mov_b32 s6, 0
.LBB166_3336:
	s_delay_alu instid0(SALU_CYCLE_1)
	s_and_not1_b32 vcc_lo, exec_lo, s6
	s_cbranch_vccnz .LBB166_3347
; %bb.3337:
	s_cmp_lt_i32 s1, 6
	s_cbranch_scc1 .LBB166_3340
; %bb.3338:
	s_cmp_gt_i32 s1, 6
	s_cbranch_scc0 .LBB166_3341
; %bb.3339:
	s_wait_loadcnt 0x0
	global_load_b64 v[6:7], v[0:1], off
	s_mov_b32 s6, 0
	s_wait_loadcnt 0x0
	v_cvt_f32_f64_e32 v3, v[6:7]
	s_delay_alu instid0(VALU_DEP_1) | instskip(SKIP_1) | instid1(VALU_DEP_2)
	v_bfe_u32 v6, v3, 16, 1
	v_cmp_o_f32_e32 vcc_lo, v3, v3
	v_add3_u32 v6, v3, v6, 0x7fff
	s_delay_alu instid0(VALU_DEP_1) | instskip(NEXT) | instid1(VALU_DEP_1)
	v_lshrrev_b32_e32 v6, 16, v6
	v_cndmask_b32_e32 v6, 0x7fc0, v6, vcc_lo
	s_branch .LBB166_3342
.LBB166_3340:
	s_mov_b32 s6, -1
                                        ; implicit-def: $vgpr6
	s_branch .LBB166_3345
.LBB166_3341:
	s_mov_b32 s6, -1
                                        ; implicit-def: $vgpr6
.LBB166_3342:
	s_delay_alu instid0(SALU_CYCLE_1)
	s_and_not1_b32 vcc_lo, exec_lo, s6
	s_cbranch_vccnz .LBB166_3344
; %bb.3343:
	global_load_b32 v3, v[0:1], off
	s_wait_loadcnt 0x0
	s_wait_xcnt 0x1
	v_bfe_u32 v6, v3, 16, 1
	v_cmp_o_f32_e32 vcc_lo, v3, v3
	s_delay_alu instid0(VALU_DEP_2) | instskip(NEXT) | instid1(VALU_DEP_1)
	v_add3_u32 v6, v3, v6, 0x7fff
	v_lshrrev_b32_e32 v6, 16, v6
	s_delay_alu instid0(VALU_DEP_1)
	v_cndmask_b32_e32 v6, 0x7fc0, v6, vcc_lo
.LBB166_3344:
	s_mov_b32 s6, 0
.LBB166_3345:
	s_delay_alu instid0(SALU_CYCLE_1)
	s_and_not1_b32 vcc_lo, exec_lo, s6
	s_cbranch_vccnz .LBB166_3347
; %bb.3346:
	global_load_u16 v3, v[0:1], off
	s_wait_loadcnt 0x0
	s_wait_xcnt 0x1
	v_cvt_f32_f16_e32 v6, v3
	v_cmp_o_f16_e32 vcc_lo, v3, v3
	s_delay_alu instid0(VALU_DEP_2) | instskip(NEXT) | instid1(VALU_DEP_1)
	v_bfe_u32 v7, v6, 16, 1
	v_add3_u32 v6, v6, v7, 0x7fff
	s_delay_alu instid0(VALU_DEP_1) | instskip(NEXT) | instid1(VALU_DEP_1)
	v_lshrrev_b32_e32 v6, 16, v6
	v_cndmask_b32_e32 v6, 0x7fc0, v6, vcc_lo
.LBB166_3347:
	s_mov_b32 s6, 0
.LBB166_3348:
	s_delay_alu instid0(SALU_CYCLE_1)
	s_and_not1_b32 vcc_lo, exec_lo, s6
	s_cbranch_vccnz .LBB166_3368
; %bb.3349:
	s_cmp_lt_i32 s1, 2
	s_cbranch_scc1 .LBB166_3353
; %bb.3350:
	s_cmp_lt_i32 s1, 3
	s_cbranch_scc1 .LBB166_3354
; %bb.3351:
	s_cmp_gt_i32 s1, 3
	s_cbranch_scc0 .LBB166_3355
; %bb.3352:
	s_wait_loadcnt 0x0
	global_load_b64 v[6:7], v[0:1], off
	s_mov_b32 s6, 0
	s_wait_loadcnt 0x0
	v_xor_b32_e32 v3, v6, v7
	v_cls_i32_e32 v17, v7
	s_delay_alu instid0(VALU_DEP_2) | instskip(NEXT) | instid1(VALU_DEP_1)
	v_ashrrev_i32_e32 v3, 31, v3
	v_add_nc_u32_e32 v3, 32, v3
	s_delay_alu instid0(VALU_DEP_1) | instskip(NEXT) | instid1(VALU_DEP_1)
	v_add_min_u32_e64 v3, v17, -1, v3
	v_lshlrev_b64_e32 v[6:7], v3, v[6:7]
	v_sub_nc_u32_e32 v3, 32, v3
	s_delay_alu instid0(VALU_DEP_2) | instskip(NEXT) | instid1(VALU_DEP_1)
	v_min_u32_e32 v6, 1, v6
	v_or_b32_e32 v6, v7, v6
	s_delay_alu instid0(VALU_DEP_1) | instskip(NEXT) | instid1(VALU_DEP_1)
	v_cvt_f32_i32_e32 v6, v6
	v_ldexp_f32 v3, v6, v3
	s_delay_alu instid0(VALU_DEP_1) | instskip(NEXT) | instid1(VALU_DEP_1)
	v_bfe_u32 v6, v3, 16, 1
	v_add3_u32 v3, v3, v6, 0x7fff
	s_delay_alu instid0(VALU_DEP_1)
	v_lshrrev_b32_e32 v6, 16, v3
	s_branch .LBB166_3356
.LBB166_3353:
	s_mov_b32 s6, -1
                                        ; implicit-def: $vgpr6
	s_branch .LBB166_3362
.LBB166_3354:
	s_mov_b32 s6, -1
                                        ; implicit-def: $vgpr6
	s_branch .LBB166_3359
.LBB166_3355:
	s_mov_b32 s6, -1
                                        ; implicit-def: $vgpr6
.LBB166_3356:
	s_delay_alu instid0(SALU_CYCLE_1)
	s_and_not1_b32 vcc_lo, exec_lo, s6
	s_cbranch_vccnz .LBB166_3358
; %bb.3357:
	global_load_b32 v3, v[0:1], off
	s_wait_loadcnt 0x0
	v_cvt_f32_i32_e32 v3, v3
	s_wait_xcnt 0x1
	s_delay_alu instid0(VALU_DEP_1) | instskip(NEXT) | instid1(VALU_DEP_1)
	v_bfe_u32 v6, v3, 16, 1
	v_add3_u32 v3, v3, v6, 0x7fff
	s_delay_alu instid0(VALU_DEP_1)
	v_lshrrev_b32_e32 v6, 16, v3
.LBB166_3358:
	s_mov_b32 s6, 0
.LBB166_3359:
	s_delay_alu instid0(SALU_CYCLE_1)
	s_and_not1_b32 vcc_lo, exec_lo, s6
	s_cbranch_vccnz .LBB166_3361
; %bb.3360:
	global_load_i16 v3, v[0:1], off
	s_wait_loadcnt 0x0
	v_cvt_f32_i32_e32 v3, v3
	s_wait_xcnt 0x1
	s_delay_alu instid0(VALU_DEP_1) | instskip(NEXT) | instid1(VALU_DEP_1)
	v_bfe_u32 v6, v3, 16, 1
	v_add3_u32 v3, v3, v6, 0x7fff
	s_delay_alu instid0(VALU_DEP_1)
	v_lshrrev_b32_e32 v6, 16, v3
.LBB166_3361:
	s_mov_b32 s6, 0
.LBB166_3362:
	s_delay_alu instid0(SALU_CYCLE_1)
	s_and_not1_b32 vcc_lo, exec_lo, s6
	s_cbranch_vccnz .LBB166_3368
; %bb.3363:
	s_cmp_gt_i32 s1, 0
	s_mov_b32 s1, 0
	s_cbranch_scc0 .LBB166_3365
; %bb.3364:
	global_load_i8 v3, v[0:1], off
	s_wait_loadcnt 0x0
	v_cvt_f32_i32_e32 v3, v3
	s_wait_xcnt 0x1
	s_delay_alu instid0(VALU_DEP_1) | instskip(NEXT) | instid1(VALU_DEP_1)
	v_bfe_u32 v6, v3, 16, 1
	v_add3_u32 v3, v3, v6, 0x7fff
	s_delay_alu instid0(VALU_DEP_1)
	v_lshrrev_b32_e32 v6, 16, v3
	s_branch .LBB166_3366
.LBB166_3365:
	s_mov_b32 s1, -1
                                        ; implicit-def: $vgpr6
.LBB166_3366:
	s_delay_alu instid0(SALU_CYCLE_1)
	s_and_not1_b32 vcc_lo, exec_lo, s1
	s_cbranch_vccnz .LBB166_3368
; %bb.3367:
	global_load_u8 v0, v[0:1], off
	s_wait_loadcnt 0x0
	v_cvt_f32_ubyte0_e32 v0, v0
	s_delay_alu instid0(VALU_DEP_1) | instskip(NEXT) | instid1(VALU_DEP_1)
	v_bfe_u32 v1, v0, 16, 1
	v_add3_u32 v0, v0, v1, 0x7fff
	s_delay_alu instid0(VALU_DEP_1)
	v_lshrrev_b32_e32 v6, 16, v0
.LBB166_3368:
	s_mov_b32 s15, -1
.LBB166_3369:
	s_delay_alu instid0(SALU_CYCLE_1)
	s_and_not1_b32 vcc_lo, exec_lo, s15
	s_cbranch_vccnz .LBB166_4065
; %bb.3370:
	s_wait_xcnt 0x0
	v_add_nc_u32_e32 v0, s13, v2
	s_cmp_lt_i32 s3, 11
	s_delay_alu instid0(VALU_DEP_1) | instskip(NEXT) | instid1(VALU_DEP_1)
	v_ashrrev_i32_e32 v1, 31, v0
	v_add_nc_u64_e32 v[0:1], s[8:9], v[0:1]
	s_cbranch_scc1 .LBB166_3377
; %bb.3371:
	s_and_b32 s1, 0xffff, s3
	s_mov_b32 s7, 0
	s_cmp_gt_i32 s1, 25
	s_cbranch_scc0 .LBB166_3378
; %bb.3372:
	s_cmp_gt_i32 s1, 28
	s_cbranch_scc0 .LBB166_3379
; %bb.3373:
	;; [unrolled: 3-line block ×4, first 2 shown]
	s_cmp_eq_u32 s1, 46
	s_mov_b32 s9, 0
	s_cbranch_scc0 .LBB166_3383
; %bb.3376:
	global_load_b32 v7, v[0:1], off
	s_mov_b32 s6, 0
	s_mov_b32 s8, -1
	s_branch .LBB166_3385
.LBB166_3377:
	s_mov_b32 s1, -1
	s_mov_b32 s8, 0
                                        ; implicit-def: $vgpr7
	s_branch .LBB166_3451
.LBB166_3378:
	s_mov_b32 s9, -1
	s_mov_b32 s8, 0
	s_mov_b32 s6, 0
                                        ; implicit-def: $vgpr7
	s_branch .LBB166_3414
.LBB166_3379:
	s_mov_b32 s9, -1
	s_mov_b32 s8, 0
	s_mov_b32 s6, 0
                                        ; implicit-def: $vgpr7
	s_branch .LBB166_3395
.LBB166_3380:
	s_mov_b32 s9, -1
	s_mov_b32 s8, 0
	s_mov_b32 s6, 0
                                        ; implicit-def: $vgpr7
	s_branch .LBB166_3390
.LBB166_3381:
	s_or_b32 s16, s16, exec_lo
	s_trap 2
	s_cbranch_execz .LBB166_3318
	s_branch .LBB166_3319
.LBB166_3382:
	s_mov_b32 s9, -1
	s_mov_b32 s8, 0
	s_mov_b32 s6, 0
	s_branch .LBB166_3384
.LBB166_3383:
	s_mov_b32 s6, -1
	s_mov_b32 s8, 0
.LBB166_3384:
                                        ; implicit-def: $vgpr7
.LBB166_3385:
	s_and_b32 vcc_lo, exec_lo, s9
	s_cbranch_vccz .LBB166_3389
; %bb.3386:
	s_cmp_eq_u32 s1, 44
	s_cbranch_scc0 .LBB166_3388
; %bb.3387:
	global_load_u8 v2, v[0:1], off
	s_mov_b32 s6, 0
	s_mov_b32 s8, -1
	s_wait_loadcnt 0x0
	v_lshlrev_b32_e32 v3, 23, v2
	v_cmp_ne_u32_e32 vcc_lo, 0xff, v2
	s_delay_alu instid0(VALU_DEP_2) | instskip(SKIP_1) | instid1(VALU_DEP_2)
	v_cndmask_b32_e32 v3, 0x7f800001, v3, vcc_lo
	v_cmp_ne_u32_e32 vcc_lo, 0, v2
	v_cndmask_b32_e32 v2, 0x400000, v3, vcc_lo
	s_delay_alu instid0(VALU_DEP_1) | instskip(NEXT) | instid1(VALU_DEP_1)
	v_add_nc_u32_e32 v3, 0x7fff, v2
	v_lshrrev_b32_e32 v3, 16, v3
	v_cmp_o_f32_e32 vcc_lo, v2, v2
	s_delay_alu instid0(VALU_DEP_2)
	v_cndmask_b32_e32 v7, 0x7fc0, v3, vcc_lo
	s_branch .LBB166_3389
.LBB166_3388:
	s_mov_b32 s6, -1
                                        ; implicit-def: $vgpr7
.LBB166_3389:
	s_mov_b32 s9, 0
.LBB166_3390:
	s_delay_alu instid0(SALU_CYCLE_1)
	s_and_b32 vcc_lo, exec_lo, s9
	s_cbranch_vccz .LBB166_3394
; %bb.3391:
	s_cmp_eq_u32 s1, 29
	s_cbranch_scc0 .LBB166_3393
; %bb.3392:
	global_load_b64 v[2:3], v[0:1], off
	s_mov_b32 s6, 0
	s_mov_b32 s8, -1
	s_mov_b32 s9, 0
	s_wait_loadcnt 0x0
	v_clz_i32_u32_e32 v7, v3
	s_delay_alu instid0(VALU_DEP_1) | instskip(NEXT) | instid1(VALU_DEP_1)
	v_min_u32_e32 v7, 32, v7
	v_lshlrev_b64_e32 v[2:3], v7, v[2:3]
	s_delay_alu instid0(VALU_DEP_1) | instskip(NEXT) | instid1(VALU_DEP_1)
	v_min_u32_e32 v2, 1, v2
	v_dual_sub_nc_u32 v3, 32, v7 :: v_dual_bitop2_b32 v2, v3, v2 bitop3:0x54
	s_delay_alu instid0(VALU_DEP_1) | instskip(NEXT) | instid1(VALU_DEP_1)
	v_cvt_f32_u32_e32 v2, v2
	v_ldexp_f32 v2, v2, v3
	s_delay_alu instid0(VALU_DEP_1) | instskip(NEXT) | instid1(VALU_DEP_1)
	v_bfe_u32 v3, v2, 16, 1
	v_add3_u32 v2, v2, v3, 0x7fff
	s_delay_alu instid0(VALU_DEP_1)
	v_lshrrev_b32_e32 v7, 16, v2
	s_branch .LBB166_3395
.LBB166_3393:
	s_mov_b32 s6, -1
                                        ; implicit-def: $vgpr7
.LBB166_3394:
	s_mov_b32 s9, 0
.LBB166_3395:
	s_delay_alu instid0(SALU_CYCLE_1)
	s_and_b32 vcc_lo, exec_lo, s9
	s_cbranch_vccz .LBB166_3413
; %bb.3396:
	s_cmp_lt_i32 s1, 27
	s_cbranch_scc1 .LBB166_3399
; %bb.3397:
	s_cmp_gt_i32 s1, 27
	s_cbranch_scc0 .LBB166_3400
; %bb.3398:
	global_load_b32 v2, v[0:1], off
	s_mov_b32 s8, 0
	s_wait_loadcnt 0x0
	v_cvt_f32_u32_e32 v2, v2
	s_delay_alu instid0(VALU_DEP_1) | instskip(NEXT) | instid1(VALU_DEP_1)
	v_bfe_u32 v3, v2, 16, 1
	v_add3_u32 v2, v2, v3, 0x7fff
	s_delay_alu instid0(VALU_DEP_1)
	v_lshrrev_b32_e32 v7, 16, v2
	s_branch .LBB166_3401
.LBB166_3399:
	s_mov_b32 s8, -1
                                        ; implicit-def: $vgpr7
	s_branch .LBB166_3404
.LBB166_3400:
	s_mov_b32 s8, -1
                                        ; implicit-def: $vgpr7
.LBB166_3401:
	s_delay_alu instid0(SALU_CYCLE_1)
	s_and_not1_b32 vcc_lo, exec_lo, s8
	s_cbranch_vccnz .LBB166_3403
; %bb.3402:
	global_load_u16 v2, v[0:1], off
	s_wait_loadcnt 0x0
	v_cvt_f32_u32_e32 v2, v2
	s_delay_alu instid0(VALU_DEP_1) | instskip(NEXT) | instid1(VALU_DEP_1)
	v_bfe_u32 v3, v2, 16, 1
	v_add3_u32 v2, v2, v3, 0x7fff
	s_delay_alu instid0(VALU_DEP_1)
	v_lshrrev_b32_e32 v7, 16, v2
.LBB166_3403:
	s_mov_b32 s8, 0
.LBB166_3404:
	s_delay_alu instid0(SALU_CYCLE_1)
	s_and_not1_b32 vcc_lo, exec_lo, s8
	s_cbranch_vccnz .LBB166_3412
; %bb.3405:
	global_load_u8 v2, v[0:1], off
	s_mov_b32 s8, 0
	s_mov_b32 s9, exec_lo
	s_wait_loadcnt 0x0
	v_cmpx_lt_i16_e32 0x7f, v2
	s_xor_b32 s9, exec_lo, s9
	s_cbranch_execz .LBB166_3426
; %bb.3406:
	s_mov_b32 s8, -1
	s_mov_b32 s13, exec_lo
	v_cmpx_eq_u16_e32 0x80, v2
; %bb.3407:
	s_xor_b32 s8, exec_lo, -1
; %bb.3408:
	s_or_b32 exec_lo, exec_lo, s13
	s_delay_alu instid0(SALU_CYCLE_1)
	s_and_b32 s8, s8, exec_lo
	s_or_saveexec_b32 s9, s9
	v_mov_b32_e32 v3, 0x7f800001
	s_xor_b32 exec_lo, exec_lo, s9
	s_cbranch_execnz .LBB166_3427
.LBB166_3409:
	s_or_b32 exec_lo, exec_lo, s9
	s_and_saveexec_b32 s9, s8
	s_cbranch_execz .LBB166_3411
.LBB166_3410:
	v_and_b32_e32 v3, 0xffff, v2
	s_delay_alu instid0(VALU_DEP_1) | instskip(SKIP_1) | instid1(VALU_DEP_2)
	v_and_b32_e32 v7, 7, v3
	v_bfe_u32 v19, v3, 3, 4
	v_clz_i32_u32_e32 v17, v7
	s_delay_alu instid0(VALU_DEP_2) | instskip(NEXT) | instid1(VALU_DEP_2)
	v_cmp_eq_u32_e32 vcc_lo, 0, v19
	v_min_u32_e32 v17, 32, v17
	s_delay_alu instid0(VALU_DEP_1) | instskip(NEXT) | instid1(VALU_DEP_1)
	v_subrev_nc_u32_e32 v18, 28, v17
	v_dual_lshlrev_b32 v3, v18, v3 :: v_dual_sub_nc_u32 v17, 29, v17
	s_delay_alu instid0(VALU_DEP_1) | instskip(NEXT) | instid1(VALU_DEP_2)
	v_dual_lshlrev_b32 v2, 24, v2 :: v_dual_bitop2_b32 v3, 7, v3 bitop3:0x40
	v_cndmask_b32_e32 v17, v19, v17, vcc_lo
	s_delay_alu instid0(VALU_DEP_2) | instskip(NEXT) | instid1(VALU_DEP_3)
	v_cndmask_b32_e32 v3, v7, v3, vcc_lo
	v_and_b32_e32 v2, 0x80000000, v2
	s_delay_alu instid0(VALU_DEP_3) | instskip(NEXT) | instid1(VALU_DEP_3)
	v_lshl_add_u32 v7, v17, 23, 0x3b800000
	v_lshlrev_b32_e32 v3, 20, v3
	s_delay_alu instid0(VALU_DEP_1)
	v_or3_b32 v3, v2, v7, v3
.LBB166_3411:
	s_or_b32 exec_lo, exec_lo, s9
	s_delay_alu instid0(VALU_DEP_1) | instskip(SKIP_1) | instid1(VALU_DEP_2)
	v_bfe_u32 v2, v3, 16, 1
	v_cmp_o_f32_e32 vcc_lo, v3, v3
	v_add3_u32 v2, v3, v2, 0x7fff
	s_delay_alu instid0(VALU_DEP_1) | instskip(NEXT) | instid1(VALU_DEP_1)
	v_lshrrev_b32_e32 v2, 16, v2
	v_cndmask_b32_e32 v7, 0x7fc0, v2, vcc_lo
.LBB166_3412:
	s_mov_b32 s8, -1
.LBB166_3413:
	s_mov_b32 s9, 0
.LBB166_3414:
	s_delay_alu instid0(SALU_CYCLE_1)
	s_and_b32 vcc_lo, exec_lo, s9
	s_cbranch_vccz .LBB166_3447
; %bb.3415:
	s_cmp_gt_i32 s1, 22
	s_cbranch_scc0 .LBB166_3425
; %bb.3416:
	s_cmp_lt_i32 s1, 24
	s_cbranch_scc1 .LBB166_3428
; %bb.3417:
	s_cmp_gt_i32 s1, 24
	s_cbranch_scc0 .LBB166_3429
; %bb.3418:
	global_load_u8 v2, v[0:1], off
	s_mov_b32 s8, exec_lo
	s_wait_loadcnt 0x0
	v_cmpx_lt_i16_e32 0x7f, v2
	s_xor_b32 s8, exec_lo, s8
	s_cbranch_execz .LBB166_3441
; %bb.3419:
	s_mov_b32 s7, -1
	s_mov_b32 s9, exec_lo
	v_cmpx_eq_u16_e32 0x80, v2
; %bb.3420:
	s_xor_b32 s7, exec_lo, -1
; %bb.3421:
	s_or_b32 exec_lo, exec_lo, s9
	s_delay_alu instid0(SALU_CYCLE_1)
	s_and_b32 s7, s7, exec_lo
	s_or_saveexec_b32 s8, s8
	v_mov_b32_e32 v3, 0x7f800001
	s_xor_b32 exec_lo, exec_lo, s8
	s_cbranch_execnz .LBB166_3442
.LBB166_3422:
	s_or_b32 exec_lo, exec_lo, s8
	s_and_saveexec_b32 s8, s7
	s_cbranch_execz .LBB166_3424
.LBB166_3423:
	v_and_b32_e32 v3, 0xffff, v2
	s_delay_alu instid0(VALU_DEP_1) | instskip(SKIP_1) | instid1(VALU_DEP_2)
	v_and_b32_e32 v7, 3, v3
	v_bfe_u32 v19, v3, 2, 5
	v_clz_i32_u32_e32 v17, v7
	s_delay_alu instid0(VALU_DEP_2) | instskip(NEXT) | instid1(VALU_DEP_2)
	v_cmp_eq_u32_e32 vcc_lo, 0, v19
	v_min_u32_e32 v17, 32, v17
	s_delay_alu instid0(VALU_DEP_1) | instskip(NEXT) | instid1(VALU_DEP_1)
	v_subrev_nc_u32_e32 v18, 29, v17
	v_dual_lshlrev_b32 v3, v18, v3 :: v_dual_sub_nc_u32 v17, 30, v17
	s_delay_alu instid0(VALU_DEP_1) | instskip(NEXT) | instid1(VALU_DEP_2)
	v_dual_lshlrev_b32 v2, 24, v2 :: v_dual_bitop2_b32 v3, 3, v3 bitop3:0x40
	v_cndmask_b32_e32 v17, v19, v17, vcc_lo
	s_delay_alu instid0(VALU_DEP_2) | instskip(NEXT) | instid1(VALU_DEP_3)
	v_cndmask_b32_e32 v3, v7, v3, vcc_lo
	v_and_b32_e32 v2, 0x80000000, v2
	s_delay_alu instid0(VALU_DEP_3) | instskip(NEXT) | instid1(VALU_DEP_3)
	v_lshl_add_u32 v7, v17, 23, 0x37800000
	v_lshlrev_b32_e32 v3, 21, v3
	s_delay_alu instid0(VALU_DEP_1)
	v_or3_b32 v3, v2, v7, v3
.LBB166_3424:
	s_or_b32 exec_lo, exec_lo, s8
	s_delay_alu instid0(VALU_DEP_1) | instskip(SKIP_2) | instid1(VALU_DEP_2)
	v_bfe_u32 v2, v3, 16, 1
	v_cmp_o_f32_e32 vcc_lo, v3, v3
	s_mov_b32 s7, 0
	v_add3_u32 v2, v3, v2, 0x7fff
	s_delay_alu instid0(VALU_DEP_1) | instskip(NEXT) | instid1(VALU_DEP_1)
	v_lshrrev_b32_e32 v2, 16, v2
	v_cndmask_b32_e32 v7, 0x7fc0, v2, vcc_lo
	s_branch .LBB166_3430
.LBB166_3425:
	s_mov_b32 s7, -1
                                        ; implicit-def: $vgpr7
	s_branch .LBB166_3436
.LBB166_3426:
	s_or_saveexec_b32 s9, s9
	v_mov_b32_e32 v3, 0x7f800001
	s_xor_b32 exec_lo, exec_lo, s9
	s_cbranch_execz .LBB166_3409
.LBB166_3427:
	v_cmp_ne_u16_e32 vcc_lo, 0, v2
	v_mov_b32_e32 v3, 0
	s_and_not1_b32 s8, s8, exec_lo
	s_and_b32 s13, vcc_lo, exec_lo
	s_delay_alu instid0(SALU_CYCLE_1)
	s_or_b32 s8, s8, s13
	s_or_b32 exec_lo, exec_lo, s9
	s_and_saveexec_b32 s9, s8
	s_cbranch_execnz .LBB166_3410
	s_branch .LBB166_3411
.LBB166_3428:
	s_mov_b32 s7, -1
                                        ; implicit-def: $vgpr7
	s_branch .LBB166_3433
.LBB166_3429:
	s_mov_b32 s7, -1
                                        ; implicit-def: $vgpr7
.LBB166_3430:
	s_delay_alu instid0(SALU_CYCLE_1)
	s_and_b32 vcc_lo, exec_lo, s7
	s_cbranch_vccz .LBB166_3432
; %bb.3431:
	global_load_u8 v2, v[0:1], off
	s_wait_loadcnt 0x0
	v_lshlrev_b32_e32 v2, 24, v2
	s_delay_alu instid0(VALU_DEP_1) | instskip(NEXT) | instid1(VALU_DEP_1)
	v_and_b32_e32 v3, 0x7f000000, v2
	v_clz_i32_u32_e32 v7, v3
	v_add_nc_u32_e32 v18, 0x1000000, v3
	v_cmp_ne_u32_e32 vcc_lo, 0, v3
	s_delay_alu instid0(VALU_DEP_3) | instskip(NEXT) | instid1(VALU_DEP_1)
	v_min_u32_e32 v7, 32, v7
	v_sub_nc_u32_e64 v7, v7, 4 clamp
	s_delay_alu instid0(VALU_DEP_1) | instskip(NEXT) | instid1(VALU_DEP_1)
	v_lshlrev_b32_e32 v17, v7, v3
	v_dual_lshlrev_b32 v7, 23, v7 :: v_dual_lshrrev_b32 v17, 4, v17
	s_delay_alu instid0(VALU_DEP_1) | instskip(NEXT) | instid1(VALU_DEP_1)
	v_dual_sub_nc_u32 v7, v17, v7 :: v_dual_ashrrev_i32 v17, 8, v18
	v_add_nc_u32_e32 v7, 0x3c000000, v7
	s_delay_alu instid0(VALU_DEP_1) | instskip(NEXT) | instid1(VALU_DEP_1)
	v_and_or_b32 v7, 0x7f800000, v17, v7
	v_cndmask_b32_e32 v3, 0, v7, vcc_lo
	s_delay_alu instid0(VALU_DEP_1) | instskip(SKIP_1) | instid1(VALU_DEP_2)
	v_and_or_b32 v2, 0x80000000, v2, v3
	v_bfe_u32 v3, v3, 16, 1
	v_cmp_o_f32_e32 vcc_lo, v2, v2
	s_delay_alu instid0(VALU_DEP_2) | instskip(NEXT) | instid1(VALU_DEP_1)
	v_add3_u32 v3, v2, v3, 0x7fff
	v_lshrrev_b32_e32 v3, 16, v3
	s_delay_alu instid0(VALU_DEP_1)
	v_cndmask_b32_e32 v7, 0x7fc0, v3, vcc_lo
.LBB166_3432:
	s_mov_b32 s7, 0
.LBB166_3433:
	s_delay_alu instid0(SALU_CYCLE_1)
	s_and_not1_b32 vcc_lo, exec_lo, s7
	s_cbranch_vccnz .LBB166_3435
; %bb.3434:
	global_load_u8 v2, v[0:1], off
	s_wait_loadcnt 0x0
	v_lshlrev_b32_e32 v3, 25, v2
	v_lshlrev_b16 v2, 8, v2
	s_delay_alu instid0(VALU_DEP_1) | instskip(SKIP_1) | instid1(VALU_DEP_2)
	v_and_or_b32 v17, 0x7f00, v2, 0.5
	v_bfe_i32 v2, v2, 0, 16
	v_dual_add_f32 v17, -0.5, v17 :: v_dual_lshrrev_b32 v7, 4, v3
	v_cmp_gt_u32_e32 vcc_lo, 0x8000000, v3
	s_delay_alu instid0(VALU_DEP_2) | instskip(NEXT) | instid1(VALU_DEP_1)
	v_or_b32_e32 v7, 0x70000000, v7
	v_mul_f32_e32 v7, 0x7800000, v7
	s_delay_alu instid0(VALU_DEP_1) | instskip(NEXT) | instid1(VALU_DEP_1)
	v_cndmask_b32_e32 v3, v7, v17, vcc_lo
	v_and_or_b32 v2, 0x80000000, v2, v3
	v_bfe_u32 v3, v3, 16, 1
	s_delay_alu instid0(VALU_DEP_2) | instskip(NEXT) | instid1(VALU_DEP_2)
	v_cmp_o_f32_e32 vcc_lo, v2, v2
	v_add3_u32 v3, v2, v3, 0x7fff
	s_delay_alu instid0(VALU_DEP_1) | instskip(NEXT) | instid1(VALU_DEP_1)
	v_lshrrev_b32_e32 v3, 16, v3
	v_cndmask_b32_e32 v7, 0x7fc0, v3, vcc_lo
.LBB166_3435:
	s_mov_b32 s7, 0
	s_mov_b32 s8, -1
.LBB166_3436:
	s_and_not1_b32 vcc_lo, exec_lo, s7
	s_mov_b32 s7, 0
	s_cbranch_vccnz .LBB166_3447
; %bb.3437:
	s_cmp_gt_i32 s1, 14
	s_cbranch_scc0 .LBB166_3440
; %bb.3438:
	s_cmp_eq_u32 s1, 15
	s_cbranch_scc0 .LBB166_3443
; %bb.3439:
	s_wait_loadcnt 0x0
	global_load_u16 v7, v[0:1], off
	s_mov_b32 s6, 0
	s_mov_b32 s8, -1
	s_branch .LBB166_3445
.LBB166_3440:
	s_mov_b32 s7, -1
	s_branch .LBB166_3444
.LBB166_3441:
	s_or_saveexec_b32 s8, s8
	v_mov_b32_e32 v3, 0x7f800001
	s_xor_b32 exec_lo, exec_lo, s8
	s_cbranch_execz .LBB166_3422
.LBB166_3442:
	v_cmp_ne_u16_e32 vcc_lo, 0, v2
	v_mov_b32_e32 v3, 0
	s_and_not1_b32 s7, s7, exec_lo
	s_and_b32 s9, vcc_lo, exec_lo
	s_delay_alu instid0(SALU_CYCLE_1)
	s_or_b32 s7, s7, s9
	s_or_b32 exec_lo, exec_lo, s8
	s_and_saveexec_b32 s8, s7
	s_cbranch_execnz .LBB166_3423
	s_branch .LBB166_3424
.LBB166_3443:
	s_mov_b32 s6, -1
.LBB166_3444:
                                        ; implicit-def: $vgpr7
.LBB166_3445:
	s_and_b32 vcc_lo, exec_lo, s7
	s_mov_b32 s7, 0
	s_cbranch_vccz .LBB166_3447
; %bb.3446:
	s_cmp_lg_u32 s1, 11
	s_mov_b32 s7, -1
	s_cselect_b32 s6, -1, 0
.LBB166_3447:
	s_delay_alu instid0(SALU_CYCLE_1)
	s_and_b32 vcc_lo, exec_lo, s6
	s_cbranch_vccnz .LBB166_3512
; %bb.3448:
	s_and_not1_b32 vcc_lo, exec_lo, s7
	s_cbranch_vccnz .LBB166_3450
.LBB166_3449:
	global_load_u8 v2, v[0:1], off
	s_mov_b32 s8, -1
	s_wait_loadcnt 0x0
	v_cmp_ne_u16_e32 vcc_lo, 0, v2
	v_cndmask_b32_e64 v2, 0, 1.0, vcc_lo
	s_delay_alu instid0(VALU_DEP_1)
	v_lshrrev_b32_e32 v7, 16, v2
.LBB166_3450:
	s_mov_b32 s1, 0
.LBB166_3451:
	s_delay_alu instid0(SALU_CYCLE_1)
	s_and_b32 vcc_lo, exec_lo, s1
	s_cbranch_vccz .LBB166_3500
; %bb.3452:
	s_and_b32 s1, 0xffff, s3
	s_delay_alu instid0(SALU_CYCLE_1)
	s_cmp_lt_i32 s1, 5
	s_cbranch_scc1 .LBB166_3457
; %bb.3453:
	s_cmp_lt_i32 s1, 8
	s_cbranch_scc1 .LBB166_3458
; %bb.3454:
	;; [unrolled: 3-line block ×3, first 2 shown]
	s_cmp_gt_i32 s1, 9
	s_cbranch_scc0 .LBB166_3460
; %bb.3456:
	global_load_b64 v[2:3], v[0:1], off
	s_mov_b32 s3, 0
	s_wait_loadcnt 0x0
	v_cvt_f32_f64_e32 v2, v[2:3]
	s_delay_alu instid0(VALU_DEP_1) | instskip(SKIP_1) | instid1(VALU_DEP_2)
	v_bfe_u32 v3, v2, 16, 1
	v_cmp_o_f32_e32 vcc_lo, v2, v2
	v_add3_u32 v3, v2, v3, 0x7fff
	s_delay_alu instid0(VALU_DEP_1) | instskip(NEXT) | instid1(VALU_DEP_1)
	v_lshrrev_b32_e32 v3, 16, v3
	v_cndmask_b32_e32 v7, 0x7fc0, v3, vcc_lo
	s_branch .LBB166_3461
.LBB166_3457:
	s_mov_b32 s3, -1
                                        ; implicit-def: $vgpr7
	s_branch .LBB166_3479
.LBB166_3458:
	s_mov_b32 s3, -1
                                        ; implicit-def: $vgpr7
	s_branch .LBB166_3467
.LBB166_3459:
	s_mov_b32 s3, -1
                                        ; implicit-def: $vgpr7
	s_branch .LBB166_3464
.LBB166_3460:
	s_mov_b32 s3, -1
                                        ; implicit-def: $vgpr7
.LBB166_3461:
	s_delay_alu instid0(SALU_CYCLE_1)
	s_and_not1_b32 vcc_lo, exec_lo, s3
	s_cbranch_vccnz .LBB166_3463
; %bb.3462:
	global_load_b32 v2, v[0:1], off
	s_wait_loadcnt 0x0
	v_bfe_u32 v3, v2, 16, 1
	v_cmp_o_f32_e32 vcc_lo, v2, v2
	s_delay_alu instid0(VALU_DEP_2) | instskip(NEXT) | instid1(VALU_DEP_1)
	v_add3_u32 v3, v2, v3, 0x7fff
	v_lshrrev_b32_e32 v3, 16, v3
	s_delay_alu instid0(VALU_DEP_1)
	v_cndmask_b32_e32 v7, 0x7fc0, v3, vcc_lo
.LBB166_3463:
	s_mov_b32 s3, 0
.LBB166_3464:
	s_delay_alu instid0(SALU_CYCLE_1)
	s_and_not1_b32 vcc_lo, exec_lo, s3
	s_cbranch_vccnz .LBB166_3466
; %bb.3465:
	global_load_b32 v2, v[0:1], off
	s_wait_loadcnt 0x0
	v_cvt_f32_f16_e32 v3, v2
	v_cmp_o_f16_e32 vcc_lo, v2, v2
	s_delay_alu instid0(VALU_DEP_2) | instskip(NEXT) | instid1(VALU_DEP_1)
	v_bfe_u32 v7, v3, 16, 1
	v_add3_u32 v3, v3, v7, 0x7fff
	s_delay_alu instid0(VALU_DEP_1) | instskip(NEXT) | instid1(VALU_DEP_1)
	v_lshrrev_b32_e32 v3, 16, v3
	v_cndmask_b32_e32 v7, 0x7fc0, v3, vcc_lo
.LBB166_3466:
	s_mov_b32 s3, 0
.LBB166_3467:
	s_delay_alu instid0(SALU_CYCLE_1)
	s_and_not1_b32 vcc_lo, exec_lo, s3
	s_cbranch_vccnz .LBB166_3478
; %bb.3468:
	s_cmp_lt_i32 s1, 6
	s_cbranch_scc1 .LBB166_3471
; %bb.3469:
	s_cmp_gt_i32 s1, 6
	s_cbranch_scc0 .LBB166_3472
; %bb.3470:
	global_load_b64 v[2:3], v[0:1], off
	s_mov_b32 s3, 0
	s_wait_loadcnt 0x0
	v_cvt_f32_f64_e32 v2, v[2:3]
	s_delay_alu instid0(VALU_DEP_1) | instskip(SKIP_1) | instid1(VALU_DEP_2)
	v_bfe_u32 v3, v2, 16, 1
	v_cmp_o_f32_e32 vcc_lo, v2, v2
	v_add3_u32 v3, v2, v3, 0x7fff
	s_delay_alu instid0(VALU_DEP_1) | instskip(NEXT) | instid1(VALU_DEP_1)
	v_lshrrev_b32_e32 v3, 16, v3
	v_cndmask_b32_e32 v7, 0x7fc0, v3, vcc_lo
	s_branch .LBB166_3473
.LBB166_3471:
	s_mov_b32 s3, -1
                                        ; implicit-def: $vgpr7
	s_branch .LBB166_3476
.LBB166_3472:
	s_mov_b32 s3, -1
                                        ; implicit-def: $vgpr7
.LBB166_3473:
	s_delay_alu instid0(SALU_CYCLE_1)
	s_and_not1_b32 vcc_lo, exec_lo, s3
	s_cbranch_vccnz .LBB166_3475
; %bb.3474:
	global_load_b32 v2, v[0:1], off
	s_wait_loadcnt 0x0
	v_bfe_u32 v3, v2, 16, 1
	v_cmp_o_f32_e32 vcc_lo, v2, v2
	s_delay_alu instid0(VALU_DEP_2) | instskip(NEXT) | instid1(VALU_DEP_1)
	v_add3_u32 v3, v2, v3, 0x7fff
	v_lshrrev_b32_e32 v3, 16, v3
	s_delay_alu instid0(VALU_DEP_1)
	v_cndmask_b32_e32 v7, 0x7fc0, v3, vcc_lo
.LBB166_3475:
	s_mov_b32 s3, 0
.LBB166_3476:
	s_delay_alu instid0(SALU_CYCLE_1)
	s_and_not1_b32 vcc_lo, exec_lo, s3
	s_cbranch_vccnz .LBB166_3478
; %bb.3477:
	global_load_u16 v2, v[0:1], off
	s_wait_loadcnt 0x0
	v_cvt_f32_f16_e32 v3, v2
	v_cmp_o_f16_e32 vcc_lo, v2, v2
	s_delay_alu instid0(VALU_DEP_2) | instskip(NEXT) | instid1(VALU_DEP_1)
	v_bfe_u32 v7, v3, 16, 1
	v_add3_u32 v3, v3, v7, 0x7fff
	s_delay_alu instid0(VALU_DEP_1) | instskip(NEXT) | instid1(VALU_DEP_1)
	v_lshrrev_b32_e32 v3, 16, v3
	v_cndmask_b32_e32 v7, 0x7fc0, v3, vcc_lo
.LBB166_3478:
	s_mov_b32 s3, 0
.LBB166_3479:
	s_delay_alu instid0(SALU_CYCLE_1)
	s_and_not1_b32 vcc_lo, exec_lo, s3
	s_cbranch_vccnz .LBB166_3499
; %bb.3480:
	s_cmp_lt_i32 s1, 2
	s_cbranch_scc1 .LBB166_3484
; %bb.3481:
	s_cmp_lt_i32 s1, 3
	s_cbranch_scc1 .LBB166_3485
; %bb.3482:
	s_cmp_gt_i32 s1, 3
	s_cbranch_scc0 .LBB166_3486
; %bb.3483:
	global_load_b64 v[2:3], v[0:1], off
	s_mov_b32 s3, 0
	s_wait_loadcnt 0x0
	v_xor_b32_e32 v7, v2, v3
	v_cls_i32_e32 v17, v3
	s_delay_alu instid0(VALU_DEP_2) | instskip(NEXT) | instid1(VALU_DEP_1)
	v_ashrrev_i32_e32 v7, 31, v7
	v_add_nc_u32_e32 v7, 32, v7
	s_delay_alu instid0(VALU_DEP_1) | instskip(NEXT) | instid1(VALU_DEP_1)
	v_add_min_u32_e64 v7, v17, -1, v7
	v_lshlrev_b64_e32 v[2:3], v7, v[2:3]
	s_delay_alu instid0(VALU_DEP_1) | instskip(NEXT) | instid1(VALU_DEP_1)
	v_min_u32_e32 v2, 1, v2
	v_dual_sub_nc_u32 v3, 32, v7 :: v_dual_bitop2_b32 v2, v3, v2 bitop3:0x54
	s_delay_alu instid0(VALU_DEP_1) | instskip(NEXT) | instid1(VALU_DEP_1)
	v_cvt_f32_i32_e32 v2, v2
	v_ldexp_f32 v2, v2, v3
	s_delay_alu instid0(VALU_DEP_1) | instskip(NEXT) | instid1(VALU_DEP_1)
	v_bfe_u32 v3, v2, 16, 1
	v_add3_u32 v2, v2, v3, 0x7fff
	s_delay_alu instid0(VALU_DEP_1)
	v_lshrrev_b32_e32 v7, 16, v2
	s_branch .LBB166_3487
.LBB166_3484:
	s_mov_b32 s3, -1
                                        ; implicit-def: $vgpr7
	s_branch .LBB166_3493
.LBB166_3485:
	s_mov_b32 s3, -1
                                        ; implicit-def: $vgpr7
	s_branch .LBB166_3490
.LBB166_3486:
	s_mov_b32 s3, -1
                                        ; implicit-def: $vgpr7
.LBB166_3487:
	s_delay_alu instid0(SALU_CYCLE_1)
	s_and_not1_b32 vcc_lo, exec_lo, s3
	s_cbranch_vccnz .LBB166_3489
; %bb.3488:
	global_load_b32 v2, v[0:1], off
	s_wait_loadcnt 0x0
	v_cvt_f32_i32_e32 v2, v2
	s_delay_alu instid0(VALU_DEP_1) | instskip(NEXT) | instid1(VALU_DEP_1)
	v_bfe_u32 v3, v2, 16, 1
	v_add3_u32 v2, v2, v3, 0x7fff
	s_delay_alu instid0(VALU_DEP_1)
	v_lshrrev_b32_e32 v7, 16, v2
.LBB166_3489:
	s_mov_b32 s3, 0
.LBB166_3490:
	s_delay_alu instid0(SALU_CYCLE_1)
	s_and_not1_b32 vcc_lo, exec_lo, s3
	s_cbranch_vccnz .LBB166_3492
; %bb.3491:
	global_load_i16 v2, v[0:1], off
	s_wait_loadcnt 0x0
	v_cvt_f32_i32_e32 v2, v2
	s_delay_alu instid0(VALU_DEP_1) | instskip(NEXT) | instid1(VALU_DEP_1)
	v_bfe_u32 v3, v2, 16, 1
	v_add3_u32 v2, v2, v3, 0x7fff
	s_delay_alu instid0(VALU_DEP_1)
	v_lshrrev_b32_e32 v7, 16, v2
.LBB166_3492:
	s_mov_b32 s3, 0
.LBB166_3493:
	s_delay_alu instid0(SALU_CYCLE_1)
	s_and_not1_b32 vcc_lo, exec_lo, s3
	s_cbranch_vccnz .LBB166_3499
; %bb.3494:
	s_cmp_gt_i32 s1, 0
	s_mov_b32 s1, 0
	s_cbranch_scc0 .LBB166_3496
; %bb.3495:
	global_load_i8 v2, v[0:1], off
	s_wait_loadcnt 0x0
	v_cvt_f32_i32_e32 v2, v2
	s_delay_alu instid0(VALU_DEP_1) | instskip(NEXT) | instid1(VALU_DEP_1)
	v_bfe_u32 v3, v2, 16, 1
	v_add3_u32 v2, v2, v3, 0x7fff
	s_delay_alu instid0(VALU_DEP_1)
	v_lshrrev_b32_e32 v7, 16, v2
	s_branch .LBB166_3497
.LBB166_3496:
	s_mov_b32 s1, -1
                                        ; implicit-def: $vgpr7
.LBB166_3497:
	s_delay_alu instid0(SALU_CYCLE_1)
	s_and_not1_b32 vcc_lo, exec_lo, s1
	s_cbranch_vccnz .LBB166_3499
; %bb.3498:
	global_load_u8 v0, v[0:1], off
	s_wait_loadcnt 0x0
	v_cvt_f32_ubyte0_e32 v0, v0
	s_delay_alu instid0(VALU_DEP_1) | instskip(NEXT) | instid1(VALU_DEP_1)
	v_bfe_u32 v1, v0, 16, 1
	v_add3_u32 v0, v0, v1, 0x7fff
	s_delay_alu instid0(VALU_DEP_1)
	v_lshrrev_b32_e32 v7, 16, v0
.LBB166_3499:
	s_mov_b32 s8, -1
.LBB166_3500:
	s_delay_alu instid0(SALU_CYCLE_1)
	s_and_not1_b32 vcc_lo, exec_lo, s8
	s_cbranch_vccnz .LBB166_4065
; %bb.3501:
	s_wait_xcnt 0x0
	v_add_nc_u32_e32 v0, s14, v4
	s_cmp_lt_i32 s0, 11
	s_delay_alu instid0(VALU_DEP_1) | instskip(NEXT) | instid1(VALU_DEP_1)
	v_ashrrev_i32_e32 v1, 31, v0
	v_add_nc_u64_e32 v[0:1], s[10:11], v[0:1]
	s_cbranch_scc1 .LBB166_3508
; %bb.3502:
	s_cmp_gt_i32 s0, 25
	s_mov_b32 s3, 0
	s_cbranch_scc0 .LBB166_3509
; %bb.3503:
	s_cmp_gt_i32 s0, 28
	s_cbranch_scc0 .LBB166_3510
; %bb.3504:
	s_cmp_gt_i32 s0, 43
	;; [unrolled: 3-line block ×3, first 2 shown]
	s_cbranch_scc0 .LBB166_3513
; %bb.3506:
	s_cmp_eq_u32 s0, 46
	s_mov_b32 s7, 0
	s_cbranch_scc0 .LBB166_3514
; %bb.3507:
	global_load_b32 v4, v[0:1], off
	s_mov_b32 s1, 0
	s_mov_b32 s6, -1
	s_branch .LBB166_3516
.LBB166_3508:
	s_mov_b32 s1, -1
	s_mov_b32 s6, 0
                                        ; implicit-def: $vgpr4
	s_branch .LBB166_3582
.LBB166_3509:
	s_mov_b32 s7, -1
	s_mov_b32 s6, 0
	s_mov_b32 s1, 0
                                        ; implicit-def: $vgpr4
	s_branch .LBB166_3545
.LBB166_3510:
	s_mov_b32 s7, -1
	s_mov_b32 s6, 0
	s_mov_b32 s1, 0
                                        ; implicit-def: $vgpr4
	s_branch .LBB166_3526
.LBB166_3511:
	s_mov_b32 s7, -1
	s_mov_b32 s6, 0
	s_mov_b32 s1, 0
                                        ; implicit-def: $vgpr4
	s_branch .LBB166_3521
.LBB166_3512:
	s_or_b32 s16, s16, exec_lo
	s_trap 2
	s_cbranch_execz .LBB166_3449
	s_branch .LBB166_3450
.LBB166_3513:
	s_mov_b32 s7, -1
	s_mov_b32 s6, 0
	s_mov_b32 s1, 0
	s_branch .LBB166_3515
.LBB166_3514:
	s_mov_b32 s1, -1
	s_mov_b32 s6, 0
.LBB166_3515:
                                        ; implicit-def: $vgpr4
.LBB166_3516:
	s_and_b32 vcc_lo, exec_lo, s7
	s_cbranch_vccz .LBB166_3520
; %bb.3517:
	s_cmp_eq_u32 s0, 44
	s_cbranch_scc0 .LBB166_3519
; %bb.3518:
	global_load_u8 v2, v[0:1], off
	s_mov_b32 s1, 0
	s_mov_b32 s6, -1
	s_wait_loadcnt 0x0
	v_lshlrev_b32_e32 v3, 23, v2
	v_cmp_ne_u32_e32 vcc_lo, 0xff, v2
	s_delay_alu instid0(VALU_DEP_2) | instskip(SKIP_1) | instid1(VALU_DEP_2)
	v_cndmask_b32_e32 v3, 0x7f800001, v3, vcc_lo
	v_cmp_ne_u32_e32 vcc_lo, 0, v2
	v_cndmask_b32_e32 v2, 0x400000, v3, vcc_lo
	s_delay_alu instid0(VALU_DEP_1) | instskip(NEXT) | instid1(VALU_DEP_1)
	v_add_nc_u32_e32 v3, 0x7fff, v2
	v_lshrrev_b32_e32 v3, 16, v3
	v_cmp_o_f32_e32 vcc_lo, v2, v2
	s_delay_alu instid0(VALU_DEP_2)
	v_cndmask_b32_e32 v4, 0x7fc0, v3, vcc_lo
	s_branch .LBB166_3520
.LBB166_3519:
	s_mov_b32 s1, -1
                                        ; implicit-def: $vgpr4
.LBB166_3520:
	s_mov_b32 s7, 0
.LBB166_3521:
	s_delay_alu instid0(SALU_CYCLE_1)
	s_and_b32 vcc_lo, exec_lo, s7
	s_cbranch_vccz .LBB166_3525
; %bb.3522:
	s_cmp_eq_u32 s0, 29
	s_cbranch_scc0 .LBB166_3524
; %bb.3523:
	global_load_b64 v[2:3], v[0:1], off
	s_mov_b32 s1, 0
	s_mov_b32 s6, -1
	s_mov_b32 s7, 0
	s_wait_loadcnt 0x0
	v_clz_i32_u32_e32 v4, v3
	s_delay_alu instid0(VALU_DEP_1) | instskip(NEXT) | instid1(VALU_DEP_1)
	v_min_u32_e32 v4, 32, v4
	v_lshlrev_b64_e32 v[2:3], v4, v[2:3]
	s_delay_alu instid0(VALU_DEP_1) | instskip(NEXT) | instid1(VALU_DEP_1)
	v_min_u32_e32 v2, 1, v2
	v_dual_sub_nc_u32 v3, 32, v4 :: v_dual_bitop2_b32 v2, v3, v2 bitop3:0x54
	s_delay_alu instid0(VALU_DEP_1) | instskip(NEXT) | instid1(VALU_DEP_1)
	v_cvt_f32_u32_e32 v2, v2
	v_ldexp_f32 v2, v2, v3
	s_delay_alu instid0(VALU_DEP_1) | instskip(NEXT) | instid1(VALU_DEP_1)
	v_bfe_u32 v3, v2, 16, 1
	v_add3_u32 v2, v2, v3, 0x7fff
	s_delay_alu instid0(VALU_DEP_1)
	v_lshrrev_b32_e32 v4, 16, v2
	s_branch .LBB166_3526
.LBB166_3524:
	s_mov_b32 s1, -1
                                        ; implicit-def: $vgpr4
.LBB166_3525:
	s_mov_b32 s7, 0
.LBB166_3526:
	s_delay_alu instid0(SALU_CYCLE_1)
	s_and_b32 vcc_lo, exec_lo, s7
	s_cbranch_vccz .LBB166_3544
; %bb.3527:
	s_cmp_lt_i32 s0, 27
	s_cbranch_scc1 .LBB166_3530
; %bb.3528:
	s_cmp_gt_i32 s0, 27
	s_cbranch_scc0 .LBB166_3531
; %bb.3529:
	global_load_b32 v2, v[0:1], off
	s_mov_b32 s6, 0
	s_wait_loadcnt 0x0
	v_cvt_f32_u32_e32 v2, v2
	s_delay_alu instid0(VALU_DEP_1) | instskip(NEXT) | instid1(VALU_DEP_1)
	v_bfe_u32 v3, v2, 16, 1
	v_add3_u32 v2, v2, v3, 0x7fff
	s_delay_alu instid0(VALU_DEP_1)
	v_lshrrev_b32_e32 v4, 16, v2
	s_branch .LBB166_3532
.LBB166_3530:
	s_mov_b32 s6, -1
                                        ; implicit-def: $vgpr4
	s_branch .LBB166_3535
.LBB166_3531:
	s_mov_b32 s6, -1
                                        ; implicit-def: $vgpr4
.LBB166_3532:
	s_delay_alu instid0(SALU_CYCLE_1)
	s_and_not1_b32 vcc_lo, exec_lo, s6
	s_cbranch_vccnz .LBB166_3534
; %bb.3533:
	global_load_u16 v2, v[0:1], off
	s_wait_loadcnt 0x0
	v_cvt_f32_u32_e32 v2, v2
	s_delay_alu instid0(VALU_DEP_1) | instskip(NEXT) | instid1(VALU_DEP_1)
	v_bfe_u32 v3, v2, 16, 1
	v_add3_u32 v2, v2, v3, 0x7fff
	s_delay_alu instid0(VALU_DEP_1)
	v_lshrrev_b32_e32 v4, 16, v2
.LBB166_3534:
	s_mov_b32 s6, 0
.LBB166_3535:
	s_delay_alu instid0(SALU_CYCLE_1)
	s_and_not1_b32 vcc_lo, exec_lo, s6
	s_cbranch_vccnz .LBB166_3543
; %bb.3536:
	global_load_u8 v2, v[0:1], off
	s_mov_b32 s6, 0
	s_mov_b32 s7, exec_lo
	s_wait_loadcnt 0x0
	v_cmpx_lt_i16_e32 0x7f, v2
	s_xor_b32 s7, exec_lo, s7
	s_cbranch_execz .LBB166_3557
; %bb.3537:
	s_mov_b32 s6, -1
	s_mov_b32 s8, exec_lo
	v_cmpx_eq_u16_e32 0x80, v2
; %bb.3538:
	s_xor_b32 s6, exec_lo, -1
; %bb.3539:
	s_or_b32 exec_lo, exec_lo, s8
	s_delay_alu instid0(SALU_CYCLE_1)
	s_and_b32 s6, s6, exec_lo
	s_or_saveexec_b32 s7, s7
	v_mov_b32_e32 v3, 0x7f800001
	s_xor_b32 exec_lo, exec_lo, s7
	s_cbranch_execnz .LBB166_3558
.LBB166_3540:
	s_or_b32 exec_lo, exec_lo, s7
	s_and_saveexec_b32 s7, s6
	s_cbranch_execz .LBB166_3542
.LBB166_3541:
	v_and_b32_e32 v3, 0xffff, v2
	s_delay_alu instid0(VALU_DEP_1) | instskip(SKIP_1) | instid1(VALU_DEP_2)
	v_and_b32_e32 v4, 7, v3
	v_bfe_u32 v19, v3, 3, 4
	v_clz_i32_u32_e32 v17, v4
	s_delay_alu instid0(VALU_DEP_2) | instskip(NEXT) | instid1(VALU_DEP_2)
	v_cmp_eq_u32_e32 vcc_lo, 0, v19
	v_min_u32_e32 v17, 32, v17
	s_delay_alu instid0(VALU_DEP_1) | instskip(NEXT) | instid1(VALU_DEP_1)
	v_subrev_nc_u32_e32 v18, 28, v17
	v_dual_lshlrev_b32 v3, v18, v3 :: v_dual_sub_nc_u32 v17, 29, v17
	s_delay_alu instid0(VALU_DEP_1) | instskip(NEXT) | instid1(VALU_DEP_1)
	v_dual_lshlrev_b32 v2, 24, v2 :: v_dual_bitop2_b32 v3, 7, v3 bitop3:0x40
	v_dual_cndmask_b32 v17, v19, v17, vcc_lo :: v_dual_cndmask_b32 v3, v4, v3, vcc_lo
	s_delay_alu instid0(VALU_DEP_2) | instskip(NEXT) | instid1(VALU_DEP_2)
	v_and_b32_e32 v2, 0x80000000, v2
	v_lshl_add_u32 v4, v17, 23, 0x3b800000
	s_delay_alu instid0(VALU_DEP_3) | instskip(NEXT) | instid1(VALU_DEP_1)
	v_lshlrev_b32_e32 v3, 20, v3
	v_or3_b32 v3, v2, v4, v3
.LBB166_3542:
	s_or_b32 exec_lo, exec_lo, s7
	s_delay_alu instid0(VALU_DEP_1) | instskip(SKIP_1) | instid1(VALU_DEP_2)
	v_bfe_u32 v2, v3, 16, 1
	v_cmp_o_f32_e32 vcc_lo, v3, v3
	v_add3_u32 v2, v3, v2, 0x7fff
	s_delay_alu instid0(VALU_DEP_1) | instskip(NEXT) | instid1(VALU_DEP_1)
	v_lshrrev_b32_e32 v2, 16, v2
	v_cndmask_b32_e32 v4, 0x7fc0, v2, vcc_lo
.LBB166_3543:
	s_mov_b32 s6, -1
.LBB166_3544:
	s_mov_b32 s7, 0
.LBB166_3545:
	s_delay_alu instid0(SALU_CYCLE_1)
	s_and_b32 vcc_lo, exec_lo, s7
	s_cbranch_vccz .LBB166_3578
; %bb.3546:
	s_cmp_gt_i32 s0, 22
	s_cbranch_scc0 .LBB166_3556
; %bb.3547:
	s_cmp_lt_i32 s0, 24
	s_cbranch_scc1 .LBB166_3559
; %bb.3548:
	s_cmp_gt_i32 s0, 24
	s_cbranch_scc0 .LBB166_3560
; %bb.3549:
	global_load_u8 v2, v[0:1], off
	s_mov_b32 s6, exec_lo
	s_wait_loadcnt 0x0
	v_cmpx_lt_i16_e32 0x7f, v2
	s_xor_b32 s6, exec_lo, s6
	s_cbranch_execz .LBB166_3572
; %bb.3550:
	s_mov_b32 s3, -1
	s_mov_b32 s7, exec_lo
	v_cmpx_eq_u16_e32 0x80, v2
; %bb.3551:
	s_xor_b32 s3, exec_lo, -1
; %bb.3552:
	s_or_b32 exec_lo, exec_lo, s7
	s_delay_alu instid0(SALU_CYCLE_1)
	s_and_b32 s3, s3, exec_lo
	s_or_saveexec_b32 s6, s6
	v_mov_b32_e32 v3, 0x7f800001
	s_xor_b32 exec_lo, exec_lo, s6
	s_cbranch_execnz .LBB166_3573
.LBB166_3553:
	s_or_b32 exec_lo, exec_lo, s6
	s_and_saveexec_b32 s6, s3
	s_cbranch_execz .LBB166_3555
.LBB166_3554:
	v_and_b32_e32 v3, 0xffff, v2
	s_delay_alu instid0(VALU_DEP_1) | instskip(SKIP_1) | instid1(VALU_DEP_2)
	v_and_b32_e32 v4, 3, v3
	v_bfe_u32 v19, v3, 2, 5
	v_clz_i32_u32_e32 v17, v4
	s_delay_alu instid0(VALU_DEP_2) | instskip(NEXT) | instid1(VALU_DEP_2)
	v_cmp_eq_u32_e32 vcc_lo, 0, v19
	v_min_u32_e32 v17, 32, v17
	s_delay_alu instid0(VALU_DEP_1) | instskip(NEXT) | instid1(VALU_DEP_1)
	v_subrev_nc_u32_e32 v18, 29, v17
	v_dual_lshlrev_b32 v3, v18, v3 :: v_dual_sub_nc_u32 v17, 30, v17
	s_delay_alu instid0(VALU_DEP_1) | instskip(NEXT) | instid1(VALU_DEP_1)
	v_dual_lshlrev_b32 v2, 24, v2 :: v_dual_bitop2_b32 v3, 3, v3 bitop3:0x40
	v_dual_cndmask_b32 v17, v19, v17, vcc_lo :: v_dual_cndmask_b32 v3, v4, v3, vcc_lo
	s_delay_alu instid0(VALU_DEP_2) | instskip(NEXT) | instid1(VALU_DEP_2)
	v_and_b32_e32 v2, 0x80000000, v2
	v_lshl_add_u32 v4, v17, 23, 0x37800000
	s_delay_alu instid0(VALU_DEP_3) | instskip(NEXT) | instid1(VALU_DEP_1)
	v_lshlrev_b32_e32 v3, 21, v3
	v_or3_b32 v3, v2, v4, v3
.LBB166_3555:
	s_or_b32 exec_lo, exec_lo, s6
	s_delay_alu instid0(VALU_DEP_1) | instskip(SKIP_2) | instid1(VALU_DEP_2)
	v_bfe_u32 v2, v3, 16, 1
	v_cmp_o_f32_e32 vcc_lo, v3, v3
	s_mov_b32 s3, 0
	v_add3_u32 v2, v3, v2, 0x7fff
	s_delay_alu instid0(VALU_DEP_1) | instskip(NEXT) | instid1(VALU_DEP_1)
	v_lshrrev_b32_e32 v2, 16, v2
	v_cndmask_b32_e32 v4, 0x7fc0, v2, vcc_lo
	s_branch .LBB166_3561
.LBB166_3556:
	s_mov_b32 s3, -1
                                        ; implicit-def: $vgpr4
	s_branch .LBB166_3567
.LBB166_3557:
	s_or_saveexec_b32 s7, s7
	v_mov_b32_e32 v3, 0x7f800001
	s_xor_b32 exec_lo, exec_lo, s7
	s_cbranch_execz .LBB166_3540
.LBB166_3558:
	v_cmp_ne_u16_e32 vcc_lo, 0, v2
	v_mov_b32_e32 v3, 0
	s_and_not1_b32 s6, s6, exec_lo
	s_and_b32 s8, vcc_lo, exec_lo
	s_delay_alu instid0(SALU_CYCLE_1)
	s_or_b32 s6, s6, s8
	s_or_b32 exec_lo, exec_lo, s7
	s_and_saveexec_b32 s7, s6
	s_cbranch_execnz .LBB166_3541
	s_branch .LBB166_3542
.LBB166_3559:
	s_mov_b32 s3, -1
                                        ; implicit-def: $vgpr4
	s_branch .LBB166_3564
.LBB166_3560:
	s_mov_b32 s3, -1
                                        ; implicit-def: $vgpr4
.LBB166_3561:
	s_delay_alu instid0(SALU_CYCLE_1)
	s_and_b32 vcc_lo, exec_lo, s3
	s_cbranch_vccz .LBB166_3563
; %bb.3562:
	global_load_u8 v2, v[0:1], off
	s_wait_loadcnt 0x0
	v_lshlrev_b32_e32 v2, 24, v2
	s_delay_alu instid0(VALU_DEP_1) | instskip(NEXT) | instid1(VALU_DEP_1)
	v_and_b32_e32 v3, 0x7f000000, v2
	v_clz_i32_u32_e32 v4, v3
	v_cmp_ne_u32_e32 vcc_lo, 0, v3
	v_add_nc_u32_e32 v18, 0x1000000, v3
	s_delay_alu instid0(VALU_DEP_3) | instskip(NEXT) | instid1(VALU_DEP_1)
	v_min_u32_e32 v4, 32, v4
	v_sub_nc_u32_e64 v4, v4, 4 clamp
	s_delay_alu instid0(VALU_DEP_1) | instskip(NEXT) | instid1(VALU_DEP_1)
	v_dual_lshlrev_b32 v17, v4, v3 :: v_dual_lshlrev_b32 v4, 23, v4
	v_lshrrev_b32_e32 v17, 4, v17
	s_delay_alu instid0(VALU_DEP_1) | instskip(NEXT) | instid1(VALU_DEP_1)
	v_dual_sub_nc_u32 v4, v17, v4 :: v_dual_ashrrev_i32 v17, 8, v18
	v_add_nc_u32_e32 v4, 0x3c000000, v4
	s_delay_alu instid0(VALU_DEP_1) | instskip(NEXT) | instid1(VALU_DEP_1)
	v_and_or_b32 v4, 0x7f800000, v17, v4
	v_cndmask_b32_e32 v3, 0, v4, vcc_lo
	s_delay_alu instid0(VALU_DEP_1) | instskip(SKIP_1) | instid1(VALU_DEP_2)
	v_and_or_b32 v2, 0x80000000, v2, v3
	v_bfe_u32 v3, v3, 16, 1
	v_cmp_o_f32_e32 vcc_lo, v2, v2
	s_delay_alu instid0(VALU_DEP_2) | instskip(NEXT) | instid1(VALU_DEP_1)
	v_add3_u32 v3, v2, v3, 0x7fff
	v_lshrrev_b32_e32 v3, 16, v3
	s_delay_alu instid0(VALU_DEP_1)
	v_cndmask_b32_e32 v4, 0x7fc0, v3, vcc_lo
.LBB166_3563:
	s_mov_b32 s3, 0
.LBB166_3564:
	s_delay_alu instid0(SALU_CYCLE_1)
	s_and_not1_b32 vcc_lo, exec_lo, s3
	s_cbranch_vccnz .LBB166_3566
; %bb.3565:
	global_load_u8 v2, v[0:1], off
	s_wait_loadcnt 0x0
	v_lshlrev_b32_e32 v3, 25, v2
	v_lshlrev_b16 v2, 8, v2
	s_delay_alu instid0(VALU_DEP_1) | instskip(SKIP_1) | instid1(VALU_DEP_2)
	v_and_or_b32 v17, 0x7f00, v2, 0.5
	v_bfe_i32 v2, v2, 0, 16
	v_dual_add_f32 v17, -0.5, v17 :: v_dual_lshrrev_b32 v4, 4, v3
	v_cmp_gt_u32_e32 vcc_lo, 0x8000000, v3
	s_delay_alu instid0(VALU_DEP_2) | instskip(NEXT) | instid1(VALU_DEP_1)
	v_or_b32_e32 v4, 0x70000000, v4
	v_mul_f32_e32 v4, 0x7800000, v4
	s_delay_alu instid0(VALU_DEP_1) | instskip(NEXT) | instid1(VALU_DEP_1)
	v_cndmask_b32_e32 v3, v4, v17, vcc_lo
	v_and_or_b32 v2, 0x80000000, v2, v3
	v_bfe_u32 v3, v3, 16, 1
	s_delay_alu instid0(VALU_DEP_2) | instskip(NEXT) | instid1(VALU_DEP_2)
	v_cmp_o_f32_e32 vcc_lo, v2, v2
	v_add3_u32 v3, v2, v3, 0x7fff
	s_delay_alu instid0(VALU_DEP_1) | instskip(NEXT) | instid1(VALU_DEP_1)
	v_lshrrev_b32_e32 v3, 16, v3
	v_cndmask_b32_e32 v4, 0x7fc0, v3, vcc_lo
.LBB166_3566:
	s_mov_b32 s3, 0
	s_mov_b32 s6, -1
.LBB166_3567:
	s_and_not1_b32 vcc_lo, exec_lo, s3
	s_mov_b32 s3, 0
	s_cbranch_vccnz .LBB166_3578
; %bb.3568:
	s_cmp_gt_i32 s0, 14
	s_cbranch_scc0 .LBB166_3571
; %bb.3569:
	s_cmp_eq_u32 s0, 15
	s_cbranch_scc0 .LBB166_3574
; %bb.3570:
	s_wait_loadcnt 0x0
	global_load_u16 v4, v[0:1], off
	s_mov_b32 s1, 0
	s_mov_b32 s6, -1
	s_branch .LBB166_3576
.LBB166_3571:
	s_mov_b32 s3, -1
	s_branch .LBB166_3575
.LBB166_3572:
	s_or_saveexec_b32 s6, s6
	v_mov_b32_e32 v3, 0x7f800001
	s_xor_b32 exec_lo, exec_lo, s6
	s_cbranch_execz .LBB166_3553
.LBB166_3573:
	v_cmp_ne_u16_e32 vcc_lo, 0, v2
	v_mov_b32_e32 v3, 0
	s_and_not1_b32 s3, s3, exec_lo
	s_and_b32 s7, vcc_lo, exec_lo
	s_delay_alu instid0(SALU_CYCLE_1)
	s_or_b32 s3, s3, s7
	s_or_b32 exec_lo, exec_lo, s6
	s_and_saveexec_b32 s6, s3
	s_cbranch_execnz .LBB166_3554
	s_branch .LBB166_3555
.LBB166_3574:
	s_mov_b32 s1, -1
.LBB166_3575:
                                        ; implicit-def: $vgpr4
.LBB166_3576:
	s_and_b32 vcc_lo, exec_lo, s3
	s_mov_b32 s3, 0
	s_cbranch_vccz .LBB166_3578
; %bb.3577:
	s_cmp_lg_u32 s0, 11
	s_mov_b32 s3, -1
	s_cselect_b32 s1, -1, 0
.LBB166_3578:
	s_delay_alu instid0(SALU_CYCLE_1)
	s_and_b32 vcc_lo, exec_lo, s1
	s_cbranch_vccnz .LBB166_4111
; %bb.3579:
	s_and_not1_b32 vcc_lo, exec_lo, s3
	s_cbranch_vccnz .LBB166_3581
.LBB166_3580:
	global_load_u8 v2, v[0:1], off
	s_mov_b32 s6, -1
	s_wait_loadcnt 0x0
	v_cmp_ne_u16_e32 vcc_lo, 0, v2
	v_cndmask_b32_e64 v2, 0, 1.0, vcc_lo
	s_delay_alu instid0(VALU_DEP_1)
	v_lshrrev_b32_e32 v4, 16, v2
.LBB166_3581:
	s_mov_b32 s1, 0
.LBB166_3582:
	s_delay_alu instid0(SALU_CYCLE_1)
	s_and_b32 vcc_lo, exec_lo, s1
	s_cbranch_vccz .LBB166_3631
; %bb.3583:
	s_cmp_lt_i32 s0, 5
	s_cbranch_scc1 .LBB166_3588
; %bb.3584:
	s_cmp_lt_i32 s0, 8
	s_cbranch_scc1 .LBB166_3589
	;; [unrolled: 3-line block ×3, first 2 shown]
; %bb.3586:
	s_cmp_gt_i32 s0, 9
	s_cbranch_scc0 .LBB166_3591
; %bb.3587:
	global_load_b64 v[2:3], v[0:1], off
	s_mov_b32 s1, 0
	s_wait_loadcnt 0x0
	v_cvt_f32_f64_e32 v2, v[2:3]
	s_delay_alu instid0(VALU_DEP_1) | instskip(SKIP_1) | instid1(VALU_DEP_2)
	v_bfe_u32 v3, v2, 16, 1
	v_cmp_o_f32_e32 vcc_lo, v2, v2
	v_add3_u32 v3, v2, v3, 0x7fff
	s_delay_alu instid0(VALU_DEP_1) | instskip(NEXT) | instid1(VALU_DEP_1)
	v_lshrrev_b32_e32 v3, 16, v3
	v_cndmask_b32_e32 v4, 0x7fc0, v3, vcc_lo
	s_branch .LBB166_3592
.LBB166_3588:
	s_mov_b32 s1, -1
                                        ; implicit-def: $vgpr4
	s_branch .LBB166_3610
.LBB166_3589:
	s_mov_b32 s1, -1
                                        ; implicit-def: $vgpr4
	s_branch .LBB166_3598
.LBB166_3590:
	s_mov_b32 s1, -1
                                        ; implicit-def: $vgpr4
	s_branch .LBB166_3595
.LBB166_3591:
	s_mov_b32 s1, -1
                                        ; implicit-def: $vgpr4
.LBB166_3592:
	s_delay_alu instid0(SALU_CYCLE_1)
	s_and_not1_b32 vcc_lo, exec_lo, s1
	s_cbranch_vccnz .LBB166_3594
; %bb.3593:
	global_load_b32 v2, v[0:1], off
	s_wait_loadcnt 0x0
	v_bfe_u32 v3, v2, 16, 1
	v_cmp_o_f32_e32 vcc_lo, v2, v2
	s_delay_alu instid0(VALU_DEP_2) | instskip(NEXT) | instid1(VALU_DEP_1)
	v_add3_u32 v3, v2, v3, 0x7fff
	v_lshrrev_b32_e32 v3, 16, v3
	s_delay_alu instid0(VALU_DEP_1)
	v_cndmask_b32_e32 v4, 0x7fc0, v3, vcc_lo
.LBB166_3594:
	s_mov_b32 s1, 0
.LBB166_3595:
	s_delay_alu instid0(SALU_CYCLE_1)
	s_and_not1_b32 vcc_lo, exec_lo, s1
	s_cbranch_vccnz .LBB166_3597
; %bb.3596:
	global_load_b32 v2, v[0:1], off
	s_wait_loadcnt 0x0
	v_cvt_f32_f16_e32 v3, v2
	v_cmp_o_f16_e32 vcc_lo, v2, v2
	s_delay_alu instid0(VALU_DEP_2) | instskip(NEXT) | instid1(VALU_DEP_1)
	v_bfe_u32 v4, v3, 16, 1
	v_add3_u32 v3, v3, v4, 0x7fff
	s_delay_alu instid0(VALU_DEP_1) | instskip(NEXT) | instid1(VALU_DEP_1)
	v_lshrrev_b32_e32 v3, 16, v3
	v_cndmask_b32_e32 v4, 0x7fc0, v3, vcc_lo
.LBB166_3597:
	s_mov_b32 s1, 0
.LBB166_3598:
	s_delay_alu instid0(SALU_CYCLE_1)
	s_and_not1_b32 vcc_lo, exec_lo, s1
	s_cbranch_vccnz .LBB166_3609
; %bb.3599:
	s_cmp_lt_i32 s0, 6
	s_cbranch_scc1 .LBB166_3602
; %bb.3600:
	s_cmp_gt_i32 s0, 6
	s_cbranch_scc0 .LBB166_3603
; %bb.3601:
	global_load_b64 v[2:3], v[0:1], off
	s_mov_b32 s1, 0
	s_wait_loadcnt 0x0
	v_cvt_f32_f64_e32 v2, v[2:3]
	s_delay_alu instid0(VALU_DEP_1) | instskip(SKIP_1) | instid1(VALU_DEP_2)
	v_bfe_u32 v3, v2, 16, 1
	v_cmp_o_f32_e32 vcc_lo, v2, v2
	v_add3_u32 v3, v2, v3, 0x7fff
	s_delay_alu instid0(VALU_DEP_1) | instskip(NEXT) | instid1(VALU_DEP_1)
	v_lshrrev_b32_e32 v3, 16, v3
	v_cndmask_b32_e32 v4, 0x7fc0, v3, vcc_lo
	s_branch .LBB166_3604
.LBB166_3602:
	s_mov_b32 s1, -1
                                        ; implicit-def: $vgpr4
	s_branch .LBB166_3607
.LBB166_3603:
	s_mov_b32 s1, -1
                                        ; implicit-def: $vgpr4
.LBB166_3604:
	s_delay_alu instid0(SALU_CYCLE_1)
	s_and_not1_b32 vcc_lo, exec_lo, s1
	s_cbranch_vccnz .LBB166_3606
; %bb.3605:
	global_load_b32 v2, v[0:1], off
	s_wait_loadcnt 0x0
	v_bfe_u32 v3, v2, 16, 1
	v_cmp_o_f32_e32 vcc_lo, v2, v2
	s_delay_alu instid0(VALU_DEP_2) | instskip(NEXT) | instid1(VALU_DEP_1)
	v_add3_u32 v3, v2, v3, 0x7fff
	v_lshrrev_b32_e32 v3, 16, v3
	s_delay_alu instid0(VALU_DEP_1)
	v_cndmask_b32_e32 v4, 0x7fc0, v3, vcc_lo
.LBB166_3606:
	s_mov_b32 s1, 0
.LBB166_3607:
	s_delay_alu instid0(SALU_CYCLE_1)
	s_and_not1_b32 vcc_lo, exec_lo, s1
	s_cbranch_vccnz .LBB166_3609
; %bb.3608:
	global_load_u16 v2, v[0:1], off
	s_wait_loadcnt 0x0
	v_cvt_f32_f16_e32 v3, v2
	v_cmp_o_f16_e32 vcc_lo, v2, v2
	s_delay_alu instid0(VALU_DEP_2) | instskip(NEXT) | instid1(VALU_DEP_1)
	v_bfe_u32 v4, v3, 16, 1
	v_add3_u32 v3, v3, v4, 0x7fff
	s_delay_alu instid0(VALU_DEP_1) | instskip(NEXT) | instid1(VALU_DEP_1)
	v_lshrrev_b32_e32 v3, 16, v3
	v_cndmask_b32_e32 v4, 0x7fc0, v3, vcc_lo
.LBB166_3609:
	s_mov_b32 s1, 0
.LBB166_3610:
	s_delay_alu instid0(SALU_CYCLE_1)
	s_and_not1_b32 vcc_lo, exec_lo, s1
	s_cbranch_vccnz .LBB166_3630
; %bb.3611:
	s_cmp_lt_i32 s0, 2
	s_cbranch_scc1 .LBB166_3615
; %bb.3612:
	s_cmp_lt_i32 s0, 3
	s_cbranch_scc1 .LBB166_3616
; %bb.3613:
	s_cmp_gt_i32 s0, 3
	s_cbranch_scc0 .LBB166_3617
; %bb.3614:
	global_load_b64 v[2:3], v[0:1], off
	s_mov_b32 s1, 0
	s_wait_loadcnt 0x0
	v_xor_b32_e32 v4, v2, v3
	v_cls_i32_e32 v17, v3
	s_delay_alu instid0(VALU_DEP_2) | instskip(NEXT) | instid1(VALU_DEP_1)
	v_ashrrev_i32_e32 v4, 31, v4
	v_add_nc_u32_e32 v4, 32, v4
	s_delay_alu instid0(VALU_DEP_1) | instskip(NEXT) | instid1(VALU_DEP_1)
	v_add_min_u32_e64 v4, v17, -1, v4
	v_lshlrev_b64_e32 v[2:3], v4, v[2:3]
	s_delay_alu instid0(VALU_DEP_1) | instskip(NEXT) | instid1(VALU_DEP_1)
	v_min_u32_e32 v2, 1, v2
	v_dual_sub_nc_u32 v3, 32, v4 :: v_dual_bitop2_b32 v2, v3, v2 bitop3:0x54
	s_delay_alu instid0(VALU_DEP_1) | instskip(NEXT) | instid1(VALU_DEP_1)
	v_cvt_f32_i32_e32 v2, v2
	v_ldexp_f32 v2, v2, v3
	s_delay_alu instid0(VALU_DEP_1) | instskip(NEXT) | instid1(VALU_DEP_1)
	v_bfe_u32 v3, v2, 16, 1
	v_add3_u32 v2, v2, v3, 0x7fff
	s_delay_alu instid0(VALU_DEP_1)
	v_lshrrev_b32_e32 v4, 16, v2
	s_branch .LBB166_3618
.LBB166_3615:
	s_mov_b32 s1, -1
                                        ; implicit-def: $vgpr4
	s_branch .LBB166_3624
.LBB166_3616:
	s_mov_b32 s1, -1
                                        ; implicit-def: $vgpr4
	s_branch .LBB166_3621
.LBB166_3617:
	s_mov_b32 s1, -1
                                        ; implicit-def: $vgpr4
.LBB166_3618:
	s_delay_alu instid0(SALU_CYCLE_1)
	s_and_not1_b32 vcc_lo, exec_lo, s1
	s_cbranch_vccnz .LBB166_3620
; %bb.3619:
	global_load_b32 v2, v[0:1], off
	s_wait_loadcnt 0x0
	v_cvt_f32_i32_e32 v2, v2
	s_delay_alu instid0(VALU_DEP_1) | instskip(NEXT) | instid1(VALU_DEP_1)
	v_bfe_u32 v3, v2, 16, 1
	v_add3_u32 v2, v2, v3, 0x7fff
	s_delay_alu instid0(VALU_DEP_1)
	v_lshrrev_b32_e32 v4, 16, v2
.LBB166_3620:
	s_mov_b32 s1, 0
.LBB166_3621:
	s_delay_alu instid0(SALU_CYCLE_1)
	s_and_not1_b32 vcc_lo, exec_lo, s1
	s_cbranch_vccnz .LBB166_3623
; %bb.3622:
	global_load_i16 v2, v[0:1], off
	s_wait_loadcnt 0x0
	v_cvt_f32_i32_e32 v2, v2
	s_delay_alu instid0(VALU_DEP_1) | instskip(NEXT) | instid1(VALU_DEP_1)
	v_bfe_u32 v3, v2, 16, 1
	v_add3_u32 v2, v2, v3, 0x7fff
	s_delay_alu instid0(VALU_DEP_1)
	v_lshrrev_b32_e32 v4, 16, v2
.LBB166_3623:
	s_mov_b32 s1, 0
.LBB166_3624:
	s_delay_alu instid0(SALU_CYCLE_1)
	s_and_not1_b32 vcc_lo, exec_lo, s1
	s_cbranch_vccnz .LBB166_3630
; %bb.3625:
	s_cmp_gt_i32 s0, 0
	s_mov_b32 s0, 0
	s_cbranch_scc0 .LBB166_3627
; %bb.3626:
	global_load_i8 v2, v[0:1], off
	s_wait_loadcnt 0x0
	v_cvt_f32_i32_e32 v2, v2
	s_delay_alu instid0(VALU_DEP_1) | instskip(NEXT) | instid1(VALU_DEP_1)
	v_bfe_u32 v3, v2, 16, 1
	v_add3_u32 v2, v2, v3, 0x7fff
	s_delay_alu instid0(VALU_DEP_1)
	v_lshrrev_b32_e32 v4, 16, v2
	s_branch .LBB166_3628
.LBB166_3627:
	s_mov_b32 s0, -1
                                        ; implicit-def: $vgpr4
.LBB166_3628:
	s_delay_alu instid0(SALU_CYCLE_1)
	s_and_not1_b32 vcc_lo, exec_lo, s0
	s_cbranch_vccnz .LBB166_3630
; %bb.3629:
	global_load_u8 v0, v[0:1], off
	s_wait_loadcnt 0x0
	v_cvt_f32_ubyte0_e32 v0, v0
	s_delay_alu instid0(VALU_DEP_1) | instskip(NEXT) | instid1(VALU_DEP_1)
	v_bfe_u32 v1, v0, 16, 1
	v_add3_u32 v0, v0, v1, 0x7fff
	s_delay_alu instid0(VALU_DEP_1)
	v_lshrrev_b32_e32 v4, 16, v0
.LBB166_3630:
	s_mov_b32 s6, -1
.LBB166_3631:
	s_delay_alu instid0(SALU_CYCLE_1)
	s_and_not1_b32 vcc_lo, exec_lo, s6
	s_cbranch_vccnz .LBB166_4065
; %bb.3632:
	s_wait_loadcnt 0x0
	v_dual_lshlrev_b32 v2, 16, v10 :: v_dual_lshlrev_b32 v17, 16, v9
	s_wait_xcnt 0x0
	v_mul_lo_u32 v0, s12, v8
	s_and_b32 s20, s2, 0xff
	v_lshlrev_b32_e32 v3, 16, v11
	s_cmp_lt_i32 s20, 11
	v_cmp_gt_f32_e32 vcc_lo, v17, v2
	v_cndmask_b32_e32 v1, v10, v9, vcc_lo
	s_delay_alu instid0(VALU_DEP_1) | instskip(NEXT) | instid1(VALU_DEP_1)
	v_lshlrev_b32_e32 v18, 16, v1
	v_cmp_lt_f32_e32 vcc_lo, v18, v3
	v_cndmask_b32_e32 v1, v11, v1, vcc_lo
	v_cmp_u_f32_e32 vcc_lo, v3, v3
	s_delay_alu instid0(VALU_DEP_2) | instskip(SKIP_1) | instid1(VALU_DEP_2)
	v_dual_cndmask_b32 v3, v1, v11, vcc_lo :: v_dual_ashrrev_i32 v1, 31, v0
	v_cmp_u_f32_e32 vcc_lo, v2, v2
	v_cndmask_b32_e32 v8, v3, v10, vcc_lo
	v_cmp_u_f32_e32 vcc_lo, v17, v17
	s_delay_alu instid0(VALU_DEP_4) | instskip(NEXT) | instid1(VALU_DEP_3)
	v_add_nc_u64_e32 v[2:3], s[4:5], v[0:1]
	v_cndmask_b32_e32 v1, v8, v9, vcc_lo
	s_cbranch_scc1 .LBB166_3710
; %bb.3633:
	s_and_b32 s1, 0xffff, s20
	s_mov_b32 s6, -1
	s_mov_b32 s2, 0
	s_cmp_gt_i32 s1, 25
	s_mov_b32 s3, 0
	s_mov_b32 s0, 0
	s_cbranch_scc0 .LBB166_3666
; %bb.3634:
	s_cmp_gt_i32 s1, 28
	s_cbranch_scc0 .LBB166_3649
; %bb.3635:
	s_cmp_gt_i32 s1, 43
	;; [unrolled: 3-line block ×3, first 2 shown]
	s_cbranch_scc0 .LBB166_3639
; %bb.3637:
	s_mov_b32 s0, -1
	s_mov_b32 s6, 0
	s_cmp_eq_u32 s1, 46
	s_cbranch_scc0 .LBB166_3639
; %bb.3638:
	v_and_b32_e32 v8, 0xffff, v1
	s_mov_b32 s0, 0
	s_mov_b32 s3, -1
	global_store_b32 v[2:3], v8, off
.LBB166_3639:
	s_and_b32 vcc_lo, exec_lo, s6
	s_cbranch_vccz .LBB166_3644
; %bb.3640:
	s_cmp_eq_u32 s1, 44
	s_mov_b32 s0, -1
	s_cbranch_scc0 .LBB166_3644
; %bb.3641:
	s_wait_xcnt 0x0
	v_and_b32_e32 v8, 0xffff, v1
	v_mov_b32_e32 v9, 0xff
	s_mov_b32 s3, exec_lo
	s_delay_alu instid0(VALU_DEP_2) | instskip(NEXT) | instid1(VALU_DEP_1)
	v_bfe_u32 v10, v8, 7, 8
	v_cmpx_ne_u32_e32 0xff, v10
	s_cbranch_execz .LBB166_3643
; %bb.3642:
	v_dual_lshlrev_b32 v9, 16, v8 :: v_dual_bitop2_b32 v11, 64, v8 bitop3:0x40
	v_lshrrev_b32_e32 v8, 7, v8
	s_delay_alu instid0(VALU_DEP_2) | instskip(NEXT) | instid1(VALU_DEP_3)
	v_and_or_b32 v9, 0x3f0000, v9, v10
	v_cmp_ne_u32_e32 vcc_lo, 0, v11
	s_delay_alu instid0(VALU_DEP_2) | instskip(SKIP_1) | instid1(SALU_CYCLE_1)
	v_cmp_ne_u32_e64 s0, 0, v9
	s_and_b32 s0, vcc_lo, s0
	v_cndmask_b32_e64 v9, 0, 1, s0
	s_delay_alu instid0(VALU_DEP_1)
	v_add_nc_u32_e32 v9, v8, v9
.LBB166_3643:
	s_or_b32 exec_lo, exec_lo, s3
	s_mov_b32 s0, 0
	s_mov_b32 s3, -1
	global_store_b8 v[2:3], v9, off
.LBB166_3644:
	s_mov_b32 s6, 0
.LBB166_3645:
	s_delay_alu instid0(SALU_CYCLE_1)
	s_and_b32 vcc_lo, exec_lo, s6
	s_cbranch_vccz .LBB166_3648
; %bb.3646:
	s_cmp_eq_u32 s1, 29
	s_mov_b32 s0, -1
	s_cbranch_scc0 .LBB166_3648
; %bb.3647:
	s_wait_xcnt 0x0
	v_lshlrev_b32_e32 v8, 16, v1
	s_mov_b32 s0, 0
	s_mov_b32 s3, -1
	s_delay_alu instid0(VALU_DEP_1) | instskip(NEXT) | instid1(VALU_DEP_1)
	v_trunc_f32_e32 v8, v8
	v_mul_f32_e32 v9, 0x2f800000, v8
	s_delay_alu instid0(VALU_DEP_1) | instskip(NEXT) | instid1(VALU_DEP_1)
	v_floor_f32_e32 v9, v9
	v_fmamk_f32 v8, v9, 0xcf800000, v8
	v_cvt_u32_f32_e32 v9, v9
	s_delay_alu instid0(VALU_DEP_2)
	v_cvt_u32_f32_e32 v8, v8
	global_store_b64 v[2:3], v[8:9], off
.LBB166_3648:
	s_mov_b32 s6, 0
.LBB166_3649:
	s_delay_alu instid0(SALU_CYCLE_1)
	s_and_b32 vcc_lo, exec_lo, s6
	s_cbranch_vccz .LBB166_3665
; %bb.3650:
	s_cmp_lt_i32 s1, 27
	s_mov_b32 s3, -1
	s_cbranch_scc1 .LBB166_3656
; %bb.3651:
	s_cmp_gt_i32 s1, 27
	s_cbranch_scc0 .LBB166_3653
; %bb.3652:
	s_wait_xcnt 0x0
	v_lshlrev_b32_e32 v8, 16, v1
	s_mov_b32 s3, 0
	s_delay_alu instid0(VALU_DEP_1)
	v_cvt_u32_f32_e32 v8, v8
	global_store_b32 v[2:3], v8, off
.LBB166_3653:
	s_and_not1_b32 vcc_lo, exec_lo, s3
	s_cbranch_vccnz .LBB166_3655
; %bb.3654:
	s_wait_xcnt 0x0
	v_lshlrev_b32_e32 v8, 16, v1
	s_delay_alu instid0(VALU_DEP_1)
	v_cvt_u32_f32_e32 v8, v8
	global_store_b16 v[2:3], v8, off
.LBB166_3655:
	s_mov_b32 s3, 0
.LBB166_3656:
	s_delay_alu instid0(SALU_CYCLE_1)
	s_and_not1_b32 vcc_lo, exec_lo, s3
	s_cbranch_vccnz .LBB166_3664
; %bb.3657:
	v_dual_mov_b32 v11, 0x80 :: v_dual_lshlrev_b32 v10, 16, v1
	s_mov_b32 s3, exec_lo
	s_wait_xcnt 0x0
	s_delay_alu instid0(VALU_DEP_1) | instskip(NEXT) | instid1(VALU_DEP_1)
	v_and_b32_e32 v9, 0x7fffffff, v10
	v_cmpx_gt_u32_e32 0x43800000, v9
	s_cbranch_execz .LBB166_3663
; %bb.3658:
	v_and_b32_e32 v8, 0xffff, v1
	v_cmp_lt_u32_e32 vcc_lo, 0x3bffffff, v9
	s_mov_b32 s6, 0
                                        ; implicit-def: $vgpr9
	s_and_saveexec_b32 s7, vcc_lo
	s_delay_alu instid0(SALU_CYCLE_1)
	s_xor_b32 s7, exec_lo, s7
	s_cbranch_execz .LBB166_4112
; %bb.3659:
	v_bfe_u32 v9, v8, 4, 1
	s_mov_b32 s6, exec_lo
	s_delay_alu instid0(VALU_DEP_1) | instskip(NEXT) | instid1(VALU_DEP_1)
	v_add3_u32 v9, v10, v9, 0x487ffff
                                        ; implicit-def: $vgpr10
	v_lshrrev_b32_e32 v9, 20, v9
	s_and_not1_saveexec_b32 s7, s7
	s_cbranch_execnz .LBB166_4113
.LBB166_3660:
	s_or_b32 exec_lo, exec_lo, s7
	v_mov_b32_e32 v11, 0
	s_and_saveexec_b32 s7, s6
.LBB166_3661:
	v_lshrrev_b32_e32 v8, 8, v8
	s_delay_alu instid0(VALU_DEP_1)
	v_and_or_b32 v11, 0x80, v8, v9
.LBB166_3662:
	s_or_b32 exec_lo, exec_lo, s7
.LBB166_3663:
	s_delay_alu instid0(SALU_CYCLE_1)
	s_or_b32 exec_lo, exec_lo, s3
	global_store_b8 v[2:3], v11, off
.LBB166_3664:
	s_mov_b32 s3, -1
.LBB166_3665:
	s_mov_b32 s6, 0
.LBB166_3666:
	s_delay_alu instid0(SALU_CYCLE_1)
	s_and_b32 vcc_lo, exec_lo, s6
	s_cbranch_vccz .LBB166_3706
; %bb.3667:
	s_cmp_gt_i32 s1, 22
	s_mov_b32 s2, -1
	s_cbranch_scc0 .LBB166_3699
; %bb.3668:
	s_cmp_lt_i32 s1, 24
	s_cbranch_scc1 .LBB166_3688
; %bb.3669:
	s_cmp_gt_i32 s1, 24
	s_cbranch_scc0 .LBB166_3677
; %bb.3670:
	s_wait_xcnt 0x0
	v_dual_mov_b32 v11, 0x80 :: v_dual_lshlrev_b32 v10, 16, v1
	s_mov_b32 s2, exec_lo
	s_delay_alu instid0(VALU_DEP_1) | instskip(NEXT) | instid1(VALU_DEP_1)
	v_and_b32_e32 v9, 0x7fffffff, v10
	v_cmpx_gt_u32_e32 0x47800000, v9
	s_cbranch_execz .LBB166_3676
; %bb.3671:
	v_and_b32_e32 v8, 0xffff, v1
	v_cmp_lt_u32_e32 vcc_lo, 0x37ffffff, v9
	s_mov_b32 s3, 0
                                        ; implicit-def: $vgpr9
	s_and_saveexec_b32 s6, vcc_lo
	s_delay_alu instid0(SALU_CYCLE_1)
	s_xor_b32 s6, exec_lo, s6
	s_cbranch_execz .LBB166_4115
; %bb.3672:
	v_bfe_u32 v9, v8, 5, 1
	s_mov_b32 s3, exec_lo
	s_delay_alu instid0(VALU_DEP_1) | instskip(NEXT) | instid1(VALU_DEP_1)
	v_add3_u32 v9, v10, v9, 0x88fffff
                                        ; implicit-def: $vgpr10
	v_lshrrev_b32_e32 v9, 21, v9
	s_and_not1_saveexec_b32 s6, s6
	s_cbranch_execnz .LBB166_4116
.LBB166_3673:
	s_or_b32 exec_lo, exec_lo, s6
	v_mov_b32_e32 v11, 0
	s_and_saveexec_b32 s6, s3
.LBB166_3674:
	v_lshrrev_b32_e32 v8, 8, v8
	s_delay_alu instid0(VALU_DEP_1)
	v_and_or_b32 v11, 0x80, v8, v9
.LBB166_3675:
	s_or_b32 exec_lo, exec_lo, s6
.LBB166_3676:
	s_delay_alu instid0(SALU_CYCLE_1)
	s_or_b32 exec_lo, exec_lo, s2
	s_mov_b32 s2, 0
	global_store_b8 v[2:3], v11, off
.LBB166_3677:
	s_and_b32 vcc_lo, exec_lo, s2
	s_cbranch_vccz .LBB166_3687
; %bb.3678:
	v_lshlrev_b32_e32 v10, 16, v1
	s_wait_xcnt 0x0
	v_and_b32_e32 v8, 0xffff, v1
	s_mov_b32 s2, exec_lo
                                        ; implicit-def: $vgpr9
	s_delay_alu instid0(VALU_DEP_2) | instskip(NEXT) | instid1(VALU_DEP_1)
	v_and_b32_e32 v11, 0x7fffffff, v10
	v_cmpx_gt_u32_e32 0x43f00000, v11
	s_xor_b32 s2, exec_lo, s2
	s_cbranch_execz .LBB166_3684
; %bb.3679:
	s_mov_b32 s3, exec_lo
                                        ; implicit-def: $vgpr9
	v_cmpx_lt_u32_e32 0x3c7fffff, v11
	s_xor_b32 s3, exec_lo, s3
; %bb.3680:
	v_bfe_u32 v9, v8, 4, 1
	s_delay_alu instid0(VALU_DEP_1) | instskip(NEXT) | instid1(VALU_DEP_1)
	v_add3_u32 v9, v10, v9, 0x407ffff
	v_and_b32_e32 v10, 0xff00000, v9
	v_lshrrev_b32_e32 v9, 20, v9
	s_delay_alu instid0(VALU_DEP_2) | instskip(NEXT) | instid1(VALU_DEP_2)
	v_cmp_ne_u32_e32 vcc_lo, 0x7f00000, v10
                                        ; implicit-def: $vgpr10
	v_cndmask_b32_e32 v9, 0x7e, v9, vcc_lo
; %bb.3681:
	s_and_not1_saveexec_b32 s3, s3
; %bb.3682:
	v_add_f32_e64 v9, 0x46800000, |v10|
; %bb.3683:
	s_or_b32 exec_lo, exec_lo, s3
                                        ; implicit-def: $vgpr11
.LBB166_3684:
	s_and_not1_saveexec_b32 s2, s2
; %bb.3685:
	v_mov_b32_e32 v9, 0x7f
	v_cmp_lt_u32_e32 vcc_lo, 0x7f800000, v11
	s_delay_alu instid0(VALU_DEP_2)
	v_cndmask_b32_e32 v9, 0x7e, v9, vcc_lo
; %bb.3686:
	s_or_b32 exec_lo, exec_lo, s2
	v_lshrrev_b32_e32 v8, 8, v8
	s_delay_alu instid0(VALU_DEP_1)
	v_and_or_b32 v8, 0x80, v8, v9
	global_store_b8 v[2:3], v8, off
.LBB166_3687:
	s_mov_b32 s2, 0
.LBB166_3688:
	s_delay_alu instid0(SALU_CYCLE_1)
	s_and_not1_b32 vcc_lo, exec_lo, s2
	s_cbranch_vccnz .LBB166_3698
; %bb.3689:
	v_lshlrev_b32_e32 v10, 16, v1
	s_wait_xcnt 0x0
	v_and_b32_e32 v8, 0xffff, v1
	s_mov_b32 s2, exec_lo
                                        ; implicit-def: $vgpr9
	s_delay_alu instid0(VALU_DEP_2) | instskip(NEXT) | instid1(VALU_DEP_1)
	v_and_b32_e32 v11, 0x7fffffff, v10
	v_cmpx_gt_u32_e32 0x47800000, v11
	s_xor_b32 s2, exec_lo, s2
	s_cbranch_execz .LBB166_3695
; %bb.3690:
	s_mov_b32 s3, exec_lo
                                        ; implicit-def: $vgpr9
	v_cmpx_lt_u32_e32 0x387fffff, v11
	s_xor_b32 s3, exec_lo, s3
; %bb.3691:
	v_bfe_u32 v9, v8, 5, 1
	s_delay_alu instid0(VALU_DEP_1) | instskip(NEXT) | instid1(VALU_DEP_1)
	v_add3_u32 v9, v10, v9, 0x80fffff
                                        ; implicit-def: $vgpr10
	v_lshrrev_b32_e32 v9, 21, v9
; %bb.3692:
	s_and_not1_saveexec_b32 s3, s3
; %bb.3693:
	v_add_f32_e64 v9, 0x43000000, |v10|
; %bb.3694:
	s_or_b32 exec_lo, exec_lo, s3
                                        ; implicit-def: $vgpr11
.LBB166_3695:
	s_and_not1_saveexec_b32 s2, s2
; %bb.3696:
	v_mov_b32_e32 v9, 0x7f
	v_cmp_lt_u32_e32 vcc_lo, 0x7f800000, v11
	s_delay_alu instid0(VALU_DEP_2)
	v_cndmask_b32_e32 v9, 0x7c, v9, vcc_lo
; %bb.3697:
	s_or_b32 exec_lo, exec_lo, s2
	v_lshrrev_b32_e32 v8, 8, v8
	s_delay_alu instid0(VALU_DEP_1)
	v_and_or_b32 v8, 0x80, v8, v9
	global_store_b8 v[2:3], v8, off
.LBB166_3698:
	s_mov_b32 s2, 0
	s_mov_b32 s3, -1
.LBB166_3699:
	s_and_not1_b32 vcc_lo, exec_lo, s2
	s_mov_b32 s2, 0
	s_cbranch_vccnz .LBB166_3706
; %bb.3700:
	s_cmp_gt_i32 s1, 14
	s_mov_b32 s2, -1
	s_cbranch_scc0 .LBB166_3704
; %bb.3701:
	s_cmp_eq_u32 s1, 15
	s_mov_b32 s0, -1
	s_cbranch_scc0 .LBB166_3703
; %bb.3702:
	s_mov_b32 s0, 0
	s_mov_b32 s3, -1
	global_store_b16 v[2:3], v1, off
.LBB166_3703:
	s_mov_b32 s2, 0
.LBB166_3704:
	s_delay_alu instid0(SALU_CYCLE_1)
	s_and_b32 vcc_lo, exec_lo, s2
	s_mov_b32 s2, 0
	s_cbranch_vccz .LBB166_3706
; %bb.3705:
	s_cmp_lg_u32 s1, 11
	s_mov_b32 s2, -1
	s_cselect_b32 s0, -1, 0
.LBB166_3706:
	s_delay_alu instid0(SALU_CYCLE_1)
	s_and_b32 vcc_lo, exec_lo, s0
	s_cbranch_vccnz .LBB166_4114
; %bb.3707:
	s_and_not1_b32 vcc_lo, exec_lo, s2
	s_cbranch_vccnz .LBB166_3709
.LBB166_3708:
	s_wait_xcnt 0x0
	v_and_b32_e32 v8, 0x7fff, v1
	s_mov_b32 s3, -1
	s_delay_alu instid0(VALU_DEP_1)
	v_cmp_ne_u16_e32 vcc_lo, 0, v8
	v_cndmask_b32_e64 v8, 0, 1, vcc_lo
	global_store_b8 v[2:3], v8, off
.LBB166_3709:
	s_mov_b32 s0, 0
	s_branch .LBB166_3711
.LBB166_3710:
	s_mov_b32 s0, -1
	s_mov_b32 s3, 0
.LBB166_3711:
	s_and_b32 vcc_lo, exec_lo, s0
	s_cbranch_vccz .LBB166_3750
; %bb.3712:
	s_and_b32 s0, 0xffff, s20
	s_mov_b32 s1, -1
	s_cmp_lt_i32 s0, 5
	s_cbranch_scc1 .LBB166_3733
; %bb.3713:
	s_cmp_lt_i32 s0, 8
	s_cbranch_scc1 .LBB166_3723
; %bb.3714:
	;; [unrolled: 3-line block ×3, first 2 shown]
	s_cmp_gt_i32 s0, 9
	s_cbranch_scc0 .LBB166_3717
; %bb.3716:
	s_wait_xcnt 0x0
	v_dual_lshlrev_b32 v8, 16, v1 :: v_dual_mov_b32 v10, 0
	s_mov_b32 s1, 0
	s_delay_alu instid0(VALU_DEP_1) | instskip(NEXT) | instid1(VALU_DEP_2)
	v_cvt_f64_f32_e32 v[8:9], v8
	v_mov_b32_e32 v11, v10
	global_store_b128 v[2:3], v[8:11], off
.LBB166_3717:
	s_and_not1_b32 vcc_lo, exec_lo, s1
	s_cbranch_vccnz .LBB166_3719
; %bb.3718:
	s_wait_xcnt 0x0
	v_dual_mov_b32 v9, 0 :: v_dual_lshlrev_b32 v8, 16, v1
	global_store_b64 v[2:3], v[8:9], off
.LBB166_3719:
	s_mov_b32 s1, 0
.LBB166_3720:
	s_delay_alu instid0(SALU_CYCLE_1)
	s_and_not1_b32 vcc_lo, exec_lo, s1
	s_cbranch_vccnz .LBB166_3722
; %bb.3721:
	s_wait_xcnt 0x0
	v_lshlrev_b32_e32 v8, 16, v1
	s_delay_alu instid0(VALU_DEP_1) | instskip(NEXT) | instid1(VALU_DEP_1)
	v_cvt_f16_f32_e32 v8, v8
	v_and_b32_e32 v8, 0xffff, v8
	global_store_b32 v[2:3], v8, off
.LBB166_3722:
	s_mov_b32 s1, 0
.LBB166_3723:
	s_delay_alu instid0(SALU_CYCLE_1)
	s_and_not1_b32 vcc_lo, exec_lo, s1
	s_cbranch_vccnz .LBB166_3732
; %bb.3724:
	s_cmp_lt_i32 s0, 6
	s_mov_b32 s1, -1
	s_cbranch_scc1 .LBB166_3730
; %bb.3725:
	s_cmp_gt_i32 s0, 6
	s_cbranch_scc0 .LBB166_3727
; %bb.3726:
	s_wait_xcnt 0x0
	v_lshlrev_b32_e32 v8, 16, v1
	s_mov_b32 s1, 0
	s_delay_alu instid0(VALU_DEP_1)
	v_cvt_f64_f32_e32 v[8:9], v8
	global_store_b64 v[2:3], v[8:9], off
.LBB166_3727:
	s_and_not1_b32 vcc_lo, exec_lo, s1
	s_cbranch_vccnz .LBB166_3729
; %bb.3728:
	s_wait_xcnt 0x0
	v_lshlrev_b32_e32 v8, 16, v1
	global_store_b32 v[2:3], v8, off
.LBB166_3729:
	s_mov_b32 s1, 0
.LBB166_3730:
	s_delay_alu instid0(SALU_CYCLE_1)
	s_and_not1_b32 vcc_lo, exec_lo, s1
	s_cbranch_vccnz .LBB166_3732
; %bb.3731:
	s_wait_xcnt 0x0
	v_lshlrev_b32_e32 v8, 16, v1
	s_delay_alu instid0(VALU_DEP_1)
	v_cvt_f16_f32_e32 v8, v8
	global_store_b16 v[2:3], v8, off
.LBB166_3732:
	s_mov_b32 s1, 0
.LBB166_3733:
	s_delay_alu instid0(SALU_CYCLE_1)
	s_and_not1_b32 vcc_lo, exec_lo, s1
	s_cbranch_vccnz .LBB166_3749
; %bb.3734:
	s_cmp_lt_i32 s0, 2
	s_mov_b32 s1, -1
	s_cbranch_scc1 .LBB166_3744
; %bb.3735:
	s_cmp_lt_i32 s0, 3
	s_cbranch_scc1 .LBB166_3741
; %bb.3736:
	s_cmp_gt_i32 s0, 3
	s_cbranch_scc0 .LBB166_3738
; %bb.3737:
	s_wait_xcnt 0x0
	v_lshlrev_b32_e32 v8, 16, v1
	s_mov_b32 s1, 0
	s_delay_alu instid0(VALU_DEP_1) | instskip(NEXT) | instid1(VALU_DEP_1)
	v_trunc_f32_e32 v8, v8
	v_mul_f32_e64 v9, 0x2f800000, |v8|
	s_delay_alu instid0(VALU_DEP_1) | instskip(NEXT) | instid1(VALU_DEP_1)
	v_floor_f32_e32 v9, v9
	v_fma_f32 v10, 0xcf800000, v9, |v8|
	v_ashrrev_i32_e32 v8, 31, v8
	v_cvt_u32_f32_e32 v11, v9
	s_delay_alu instid0(VALU_DEP_3) | instskip(NEXT) | instid1(VALU_DEP_2)
	v_cvt_u32_f32_e32 v10, v10
	v_dual_mov_b32 v9, v8 :: v_dual_bitop2_b32 v11, v11, v8 bitop3:0x14
	s_delay_alu instid0(VALU_DEP_2) | instskip(NEXT) | instid1(VALU_DEP_1)
	v_xor_b32_e32 v10, v10, v8
	v_sub_nc_u64_e32 v[8:9], v[10:11], v[8:9]
	global_store_b64 v[2:3], v[8:9], off
.LBB166_3738:
	s_and_not1_b32 vcc_lo, exec_lo, s1
	s_cbranch_vccnz .LBB166_3740
; %bb.3739:
	s_wait_xcnt 0x0
	v_lshlrev_b32_e32 v8, 16, v1
	s_delay_alu instid0(VALU_DEP_1)
	v_cvt_i32_f32_e32 v8, v8
	global_store_b32 v[2:3], v8, off
.LBB166_3740:
	s_mov_b32 s1, 0
.LBB166_3741:
	s_delay_alu instid0(SALU_CYCLE_1)
	s_and_not1_b32 vcc_lo, exec_lo, s1
	s_cbranch_vccnz .LBB166_3743
; %bb.3742:
	s_wait_xcnt 0x0
	v_lshlrev_b32_e32 v8, 16, v1
	s_delay_alu instid0(VALU_DEP_1)
	v_cvt_i32_f32_e32 v8, v8
	global_store_b16 v[2:3], v8, off
.LBB166_3743:
	s_mov_b32 s1, 0
.LBB166_3744:
	s_delay_alu instid0(SALU_CYCLE_1)
	s_and_not1_b32 vcc_lo, exec_lo, s1
	s_cbranch_vccnz .LBB166_3749
; %bb.3745:
	s_wait_xcnt 0x0
	v_lshlrev_b32_e32 v1, 16, v1
	s_cmp_gt_i32 s0, 0
	s_mov_b32 s0, -1
	s_cbranch_scc0 .LBB166_3747
; %bb.3746:
	s_delay_alu instid0(VALU_DEP_1)
	v_cvt_i32_f32_e32 v8, v1
	s_mov_b32 s0, 0
	global_store_b8 v[2:3], v8, off
.LBB166_3747:
	s_and_not1_b32 vcc_lo, exec_lo, s0
	s_cbranch_vccnz .LBB166_3749
; %bb.3748:
	v_trunc_f32_e32 v1, v1
	s_wait_xcnt 0x0
	s_delay_alu instid0(VALU_DEP_1) | instskip(NEXT) | instid1(VALU_DEP_1)
	v_mul_f32_e64 v8, 0x2f800000, |v1|
	v_floor_f32_e32 v8, v8
	s_delay_alu instid0(VALU_DEP_1) | instskip(SKIP_1) | instid1(VALU_DEP_2)
	v_fma_f32 v8, 0xcf800000, v8, |v1|
	v_ashrrev_i32_e32 v1, 31, v1
	v_cvt_u32_f32_e32 v8, v8
	s_delay_alu instid0(VALU_DEP_1) | instskip(NEXT) | instid1(VALU_DEP_1)
	v_xor_b32_e32 v8, v8, v1
	v_sub_nc_u32_e32 v1, v8, v1
	global_store_b8 v[2:3], v1, off
.LBB166_3749:
	s_mov_b32 s3, -1
.LBB166_3750:
	s_delay_alu instid0(SALU_CYCLE_1)
	s_and_not1_b32 vcc_lo, exec_lo, s3
	s_cbranch_vccnz .LBB166_4065
; %bb.3751:
	s_wait_xcnt 0x0
	v_dual_lshlrev_b32 v2, 16, v13 :: v_dual_lshlrev_b32 v8, 16, v12
	s_lshl_b32 s1, s12, 7
	s_cmp_lt_i32 s20, 11
	v_lshlrev_b32_e32 v3, 16, v14
	s_delay_alu instid0(VALU_DEP_2) | instskip(SKIP_1) | instid1(VALU_DEP_1)
	v_cmp_gt_f32_e32 vcc_lo, v8, v2
	v_cndmask_b32_e32 v1, v13, v12, vcc_lo
	v_lshlrev_b32_e32 v9, 16, v1
	s_delay_alu instid0(VALU_DEP_1) | instskip(SKIP_2) | instid1(VALU_DEP_2)
	v_cmp_lt_f32_e32 vcc_lo, v9, v3
	v_cndmask_b32_e32 v1, v14, v1, vcc_lo
	v_cmp_u_f32_e32 vcc_lo, v3, v3
	v_dual_cndmask_b32 v3, v1, v14 :: v_dual_add_nc_u32 v0, s1, v0
	v_cmp_u_f32_e32 vcc_lo, v2, v2
	s_delay_alu instid0(VALU_DEP_2) | instskip(SKIP_1) | instid1(VALU_DEP_2)
	v_dual_ashrrev_i32 v1, 31, v0 :: v_dual_cndmask_b32 v9, v3, v13, vcc_lo
	v_cmp_u_f32_e32 vcc_lo, v8, v8
	v_add_nc_u64_e32 v[2:3], s[4:5], v[0:1]
	s_delay_alu instid0(VALU_DEP_3)
	v_cndmask_b32_e32 v1, v9, v12, vcc_lo
	s_cbranch_scc1 .LBB166_3829
; %bb.3752:
	s_and_b32 s2, 0xffff, s20
	s_mov_b32 s7, -1
	s_mov_b32 s3, 0
	s_cmp_gt_i32 s2, 25
	s_mov_b32 s6, 0
	s_mov_b32 s0, 0
	s_cbranch_scc0 .LBB166_3785
; %bb.3753:
	s_cmp_gt_i32 s2, 28
	s_cbranch_scc0 .LBB166_3768
; %bb.3754:
	s_cmp_gt_i32 s2, 43
	;; [unrolled: 3-line block ×3, first 2 shown]
	s_cbranch_scc0 .LBB166_3758
; %bb.3756:
	s_mov_b32 s0, -1
	s_mov_b32 s7, 0
	s_cmp_eq_u32 s2, 46
	s_cbranch_scc0 .LBB166_3758
; %bb.3757:
	v_and_b32_e32 v8, 0xffff, v1
	s_mov_b32 s0, 0
	s_mov_b32 s6, -1
	global_store_b32 v[2:3], v8, off
.LBB166_3758:
	s_and_b32 vcc_lo, exec_lo, s7
	s_cbranch_vccz .LBB166_3763
; %bb.3759:
	s_cmp_eq_u32 s2, 44
	s_mov_b32 s0, -1
	s_cbranch_scc0 .LBB166_3763
; %bb.3760:
	s_wait_xcnt 0x0
	v_and_b32_e32 v8, 0xffff, v1
	v_mov_b32_e32 v9, 0xff
	s_mov_b32 s6, exec_lo
	s_delay_alu instid0(VALU_DEP_2) | instskip(NEXT) | instid1(VALU_DEP_1)
	v_bfe_u32 v10, v8, 7, 8
	v_cmpx_ne_u32_e32 0xff, v10
	s_cbranch_execz .LBB166_3762
; %bb.3761:
	v_dual_lshlrev_b32 v9, 16, v8 :: v_dual_bitop2_b32 v11, 64, v8 bitop3:0x40
	v_lshrrev_b32_e32 v8, 7, v8
	s_delay_alu instid0(VALU_DEP_2) | instskip(NEXT) | instid1(VALU_DEP_3)
	v_and_or_b32 v9, 0x3f0000, v9, v10
	v_cmp_ne_u32_e32 vcc_lo, 0, v11
	s_delay_alu instid0(VALU_DEP_2) | instskip(SKIP_1) | instid1(SALU_CYCLE_1)
	v_cmp_ne_u32_e64 s0, 0, v9
	s_and_b32 s0, vcc_lo, s0
	v_cndmask_b32_e64 v9, 0, 1, s0
	s_delay_alu instid0(VALU_DEP_1)
	v_add_nc_u32_e32 v9, v8, v9
.LBB166_3762:
	s_or_b32 exec_lo, exec_lo, s6
	s_mov_b32 s0, 0
	s_mov_b32 s6, -1
	global_store_b8 v[2:3], v9, off
.LBB166_3763:
	s_mov_b32 s7, 0
.LBB166_3764:
	s_delay_alu instid0(SALU_CYCLE_1)
	s_and_b32 vcc_lo, exec_lo, s7
	s_cbranch_vccz .LBB166_3767
; %bb.3765:
	s_cmp_eq_u32 s2, 29
	s_mov_b32 s0, -1
	s_cbranch_scc0 .LBB166_3767
; %bb.3766:
	s_wait_xcnt 0x0
	v_lshlrev_b32_e32 v8, 16, v1
	s_mov_b32 s0, 0
	s_mov_b32 s6, -1
	s_delay_alu instid0(VALU_DEP_1) | instskip(NEXT) | instid1(VALU_DEP_1)
	v_trunc_f32_e32 v8, v8
	v_mul_f32_e32 v9, 0x2f800000, v8
	s_delay_alu instid0(VALU_DEP_1) | instskip(NEXT) | instid1(VALU_DEP_1)
	v_floor_f32_e32 v9, v9
	v_fmamk_f32 v8, v9, 0xcf800000, v8
	v_cvt_u32_f32_e32 v9, v9
	s_delay_alu instid0(VALU_DEP_2)
	v_cvt_u32_f32_e32 v8, v8
	global_store_b64 v[2:3], v[8:9], off
.LBB166_3767:
	s_mov_b32 s7, 0
.LBB166_3768:
	s_delay_alu instid0(SALU_CYCLE_1)
	s_and_b32 vcc_lo, exec_lo, s7
	s_cbranch_vccz .LBB166_3784
; %bb.3769:
	s_cmp_lt_i32 s2, 27
	s_mov_b32 s6, -1
	s_cbranch_scc1 .LBB166_3775
; %bb.3770:
	s_cmp_gt_i32 s2, 27
	s_cbranch_scc0 .LBB166_3772
; %bb.3771:
	s_wait_xcnt 0x0
	v_lshlrev_b32_e32 v8, 16, v1
	s_mov_b32 s6, 0
	s_delay_alu instid0(VALU_DEP_1)
	v_cvt_u32_f32_e32 v8, v8
	global_store_b32 v[2:3], v8, off
.LBB166_3772:
	s_and_not1_b32 vcc_lo, exec_lo, s6
	s_cbranch_vccnz .LBB166_3774
; %bb.3773:
	s_wait_xcnt 0x0
	v_lshlrev_b32_e32 v8, 16, v1
	s_delay_alu instid0(VALU_DEP_1)
	v_cvt_u32_f32_e32 v8, v8
	global_store_b16 v[2:3], v8, off
.LBB166_3774:
	s_mov_b32 s6, 0
.LBB166_3775:
	s_delay_alu instid0(SALU_CYCLE_1)
	s_and_not1_b32 vcc_lo, exec_lo, s6
	s_cbranch_vccnz .LBB166_3783
; %bb.3776:
	v_dual_mov_b32 v11, 0x80 :: v_dual_lshlrev_b32 v10, 16, v1
	s_mov_b32 s6, exec_lo
	s_wait_xcnt 0x0
	s_delay_alu instid0(VALU_DEP_1) | instskip(NEXT) | instid1(VALU_DEP_1)
	v_and_b32_e32 v9, 0x7fffffff, v10
	v_cmpx_gt_u32_e32 0x43800000, v9
	s_cbranch_execz .LBB166_3782
; %bb.3777:
	v_and_b32_e32 v8, 0xffff, v1
	v_cmp_lt_u32_e32 vcc_lo, 0x3bffffff, v9
	s_mov_b32 s7, 0
                                        ; implicit-def: $vgpr9
	s_and_saveexec_b32 s8, vcc_lo
	s_delay_alu instid0(SALU_CYCLE_1)
	s_xor_b32 s8, exec_lo, s8
	s_cbranch_execz .LBB166_4117
; %bb.3778:
	v_bfe_u32 v9, v8, 4, 1
	s_mov_b32 s7, exec_lo
	s_delay_alu instid0(VALU_DEP_1) | instskip(NEXT) | instid1(VALU_DEP_1)
	v_add3_u32 v9, v10, v9, 0x487ffff
                                        ; implicit-def: $vgpr10
	v_lshrrev_b32_e32 v9, 20, v9
	s_and_not1_saveexec_b32 s8, s8
	s_cbranch_execnz .LBB166_4118
.LBB166_3779:
	s_or_b32 exec_lo, exec_lo, s8
	v_mov_b32_e32 v11, 0
	s_and_saveexec_b32 s8, s7
.LBB166_3780:
	v_lshrrev_b32_e32 v8, 8, v8
	s_delay_alu instid0(VALU_DEP_1)
	v_and_or_b32 v11, 0x80, v8, v9
.LBB166_3781:
	s_or_b32 exec_lo, exec_lo, s8
.LBB166_3782:
	s_delay_alu instid0(SALU_CYCLE_1)
	s_or_b32 exec_lo, exec_lo, s6
	global_store_b8 v[2:3], v11, off
.LBB166_3783:
	s_mov_b32 s6, -1
.LBB166_3784:
	s_mov_b32 s7, 0
.LBB166_3785:
	s_delay_alu instid0(SALU_CYCLE_1)
	s_and_b32 vcc_lo, exec_lo, s7
	s_cbranch_vccz .LBB166_3825
; %bb.3786:
	s_cmp_gt_i32 s2, 22
	s_mov_b32 s3, -1
	s_cbranch_scc0 .LBB166_3818
; %bb.3787:
	s_cmp_lt_i32 s2, 24
	s_cbranch_scc1 .LBB166_3807
; %bb.3788:
	s_cmp_gt_i32 s2, 24
	s_cbranch_scc0 .LBB166_3796
; %bb.3789:
	s_wait_xcnt 0x0
	v_dual_mov_b32 v11, 0x80 :: v_dual_lshlrev_b32 v10, 16, v1
	s_mov_b32 s3, exec_lo
	s_delay_alu instid0(VALU_DEP_1) | instskip(NEXT) | instid1(VALU_DEP_1)
	v_and_b32_e32 v9, 0x7fffffff, v10
	v_cmpx_gt_u32_e32 0x47800000, v9
	s_cbranch_execz .LBB166_3795
; %bb.3790:
	v_and_b32_e32 v8, 0xffff, v1
	v_cmp_lt_u32_e32 vcc_lo, 0x37ffffff, v9
	s_mov_b32 s6, 0
                                        ; implicit-def: $vgpr9
	s_and_saveexec_b32 s7, vcc_lo
	s_delay_alu instid0(SALU_CYCLE_1)
	s_xor_b32 s7, exec_lo, s7
	s_cbranch_execz .LBB166_4120
; %bb.3791:
	v_bfe_u32 v9, v8, 5, 1
	s_mov_b32 s6, exec_lo
	s_delay_alu instid0(VALU_DEP_1) | instskip(NEXT) | instid1(VALU_DEP_1)
	v_add3_u32 v9, v10, v9, 0x88fffff
                                        ; implicit-def: $vgpr10
	v_lshrrev_b32_e32 v9, 21, v9
	s_and_not1_saveexec_b32 s7, s7
	s_cbranch_execnz .LBB166_4121
.LBB166_3792:
	s_or_b32 exec_lo, exec_lo, s7
	v_mov_b32_e32 v11, 0
	s_and_saveexec_b32 s7, s6
.LBB166_3793:
	v_lshrrev_b32_e32 v8, 8, v8
	s_delay_alu instid0(VALU_DEP_1)
	v_and_or_b32 v11, 0x80, v8, v9
.LBB166_3794:
	s_or_b32 exec_lo, exec_lo, s7
.LBB166_3795:
	s_delay_alu instid0(SALU_CYCLE_1)
	s_or_b32 exec_lo, exec_lo, s3
	s_mov_b32 s3, 0
	global_store_b8 v[2:3], v11, off
.LBB166_3796:
	s_and_b32 vcc_lo, exec_lo, s3
	s_cbranch_vccz .LBB166_3806
; %bb.3797:
	v_lshlrev_b32_e32 v10, 16, v1
	s_wait_xcnt 0x0
	v_and_b32_e32 v8, 0xffff, v1
	s_mov_b32 s3, exec_lo
                                        ; implicit-def: $vgpr9
	s_delay_alu instid0(VALU_DEP_2) | instskip(NEXT) | instid1(VALU_DEP_1)
	v_and_b32_e32 v11, 0x7fffffff, v10
	v_cmpx_gt_u32_e32 0x43f00000, v11
	s_xor_b32 s3, exec_lo, s3
	s_cbranch_execz .LBB166_3803
; %bb.3798:
	s_mov_b32 s6, exec_lo
                                        ; implicit-def: $vgpr9
	v_cmpx_lt_u32_e32 0x3c7fffff, v11
	s_xor_b32 s6, exec_lo, s6
; %bb.3799:
	v_bfe_u32 v9, v8, 4, 1
	s_delay_alu instid0(VALU_DEP_1) | instskip(NEXT) | instid1(VALU_DEP_1)
	v_add3_u32 v9, v10, v9, 0x407ffff
	v_and_b32_e32 v10, 0xff00000, v9
	v_lshrrev_b32_e32 v9, 20, v9
	s_delay_alu instid0(VALU_DEP_2) | instskip(NEXT) | instid1(VALU_DEP_2)
	v_cmp_ne_u32_e32 vcc_lo, 0x7f00000, v10
                                        ; implicit-def: $vgpr10
	v_cndmask_b32_e32 v9, 0x7e, v9, vcc_lo
; %bb.3800:
	s_and_not1_saveexec_b32 s6, s6
; %bb.3801:
	v_add_f32_e64 v9, 0x46800000, |v10|
; %bb.3802:
	s_or_b32 exec_lo, exec_lo, s6
                                        ; implicit-def: $vgpr11
.LBB166_3803:
	s_and_not1_saveexec_b32 s3, s3
; %bb.3804:
	v_mov_b32_e32 v9, 0x7f
	v_cmp_lt_u32_e32 vcc_lo, 0x7f800000, v11
	s_delay_alu instid0(VALU_DEP_2)
	v_cndmask_b32_e32 v9, 0x7e, v9, vcc_lo
; %bb.3805:
	s_or_b32 exec_lo, exec_lo, s3
	v_lshrrev_b32_e32 v8, 8, v8
	s_delay_alu instid0(VALU_DEP_1)
	v_and_or_b32 v8, 0x80, v8, v9
	global_store_b8 v[2:3], v8, off
.LBB166_3806:
	s_mov_b32 s3, 0
.LBB166_3807:
	s_delay_alu instid0(SALU_CYCLE_1)
	s_and_not1_b32 vcc_lo, exec_lo, s3
	s_cbranch_vccnz .LBB166_3817
; %bb.3808:
	v_lshlrev_b32_e32 v10, 16, v1
	s_wait_xcnt 0x0
	v_and_b32_e32 v8, 0xffff, v1
	s_mov_b32 s3, exec_lo
                                        ; implicit-def: $vgpr9
	s_delay_alu instid0(VALU_DEP_2) | instskip(NEXT) | instid1(VALU_DEP_1)
	v_and_b32_e32 v11, 0x7fffffff, v10
	v_cmpx_gt_u32_e32 0x47800000, v11
	s_xor_b32 s3, exec_lo, s3
	s_cbranch_execz .LBB166_3814
; %bb.3809:
	s_mov_b32 s6, exec_lo
                                        ; implicit-def: $vgpr9
	v_cmpx_lt_u32_e32 0x387fffff, v11
	s_xor_b32 s6, exec_lo, s6
; %bb.3810:
	v_bfe_u32 v9, v8, 5, 1
	s_delay_alu instid0(VALU_DEP_1) | instskip(NEXT) | instid1(VALU_DEP_1)
	v_add3_u32 v9, v10, v9, 0x80fffff
                                        ; implicit-def: $vgpr10
	v_lshrrev_b32_e32 v9, 21, v9
; %bb.3811:
	s_and_not1_saveexec_b32 s6, s6
; %bb.3812:
	v_add_f32_e64 v9, 0x43000000, |v10|
; %bb.3813:
	s_or_b32 exec_lo, exec_lo, s6
                                        ; implicit-def: $vgpr11
.LBB166_3814:
	s_and_not1_saveexec_b32 s3, s3
; %bb.3815:
	v_mov_b32_e32 v9, 0x7f
	v_cmp_lt_u32_e32 vcc_lo, 0x7f800000, v11
	s_delay_alu instid0(VALU_DEP_2)
	v_cndmask_b32_e32 v9, 0x7c, v9, vcc_lo
; %bb.3816:
	s_or_b32 exec_lo, exec_lo, s3
	v_lshrrev_b32_e32 v8, 8, v8
	s_delay_alu instid0(VALU_DEP_1)
	v_and_or_b32 v8, 0x80, v8, v9
	global_store_b8 v[2:3], v8, off
.LBB166_3817:
	s_mov_b32 s3, 0
	s_mov_b32 s6, -1
.LBB166_3818:
	s_and_not1_b32 vcc_lo, exec_lo, s3
	s_mov_b32 s3, 0
	s_cbranch_vccnz .LBB166_3825
; %bb.3819:
	s_cmp_gt_i32 s2, 14
	s_mov_b32 s3, -1
	s_cbranch_scc0 .LBB166_3823
; %bb.3820:
	s_cmp_eq_u32 s2, 15
	s_mov_b32 s0, -1
	s_cbranch_scc0 .LBB166_3822
; %bb.3821:
	s_mov_b32 s0, 0
	s_mov_b32 s6, -1
	global_store_b16 v[2:3], v1, off
.LBB166_3822:
	s_mov_b32 s3, 0
.LBB166_3823:
	s_delay_alu instid0(SALU_CYCLE_1)
	s_and_b32 vcc_lo, exec_lo, s3
	s_mov_b32 s3, 0
	s_cbranch_vccz .LBB166_3825
; %bb.3824:
	s_cmp_lg_u32 s2, 11
	s_mov_b32 s3, -1
	s_cselect_b32 s0, -1, 0
.LBB166_3825:
	s_delay_alu instid0(SALU_CYCLE_1)
	s_and_b32 vcc_lo, exec_lo, s0
	s_cbranch_vccnz .LBB166_4119
; %bb.3826:
	s_and_not1_b32 vcc_lo, exec_lo, s3
	s_cbranch_vccnz .LBB166_3828
.LBB166_3827:
	s_wait_xcnt 0x0
	v_and_b32_e32 v8, 0x7fff, v1
	s_mov_b32 s6, -1
	s_delay_alu instid0(VALU_DEP_1)
	v_cmp_ne_u16_e32 vcc_lo, 0, v8
	v_cndmask_b32_e64 v8, 0, 1, vcc_lo
	global_store_b8 v[2:3], v8, off
.LBB166_3828:
	s_mov_b32 s0, 0
	s_branch .LBB166_3830
.LBB166_3829:
	s_mov_b32 s0, -1
	s_mov_b32 s6, 0
.LBB166_3830:
	s_and_b32 vcc_lo, exec_lo, s0
	s_cbranch_vccz .LBB166_3869
; %bb.3831:
	s_and_b32 s0, 0xffff, s20
	s_mov_b32 s2, -1
	s_cmp_lt_i32 s0, 5
	s_cbranch_scc1 .LBB166_3852
; %bb.3832:
	s_cmp_lt_i32 s0, 8
	s_cbranch_scc1 .LBB166_3842
; %bb.3833:
	;; [unrolled: 3-line block ×3, first 2 shown]
	s_cmp_gt_i32 s0, 9
	s_cbranch_scc0 .LBB166_3836
; %bb.3835:
	s_wait_xcnt 0x0
	v_dual_lshlrev_b32 v8, 16, v1 :: v_dual_mov_b32 v10, 0
	s_mov_b32 s2, 0
	s_delay_alu instid0(VALU_DEP_1) | instskip(NEXT) | instid1(VALU_DEP_2)
	v_cvt_f64_f32_e32 v[8:9], v8
	v_mov_b32_e32 v11, v10
	global_store_b128 v[2:3], v[8:11], off
.LBB166_3836:
	s_and_not1_b32 vcc_lo, exec_lo, s2
	s_cbranch_vccnz .LBB166_3838
; %bb.3837:
	s_wait_xcnt 0x0
	v_dual_mov_b32 v9, 0 :: v_dual_lshlrev_b32 v8, 16, v1
	global_store_b64 v[2:3], v[8:9], off
.LBB166_3838:
	s_mov_b32 s2, 0
.LBB166_3839:
	s_delay_alu instid0(SALU_CYCLE_1)
	s_and_not1_b32 vcc_lo, exec_lo, s2
	s_cbranch_vccnz .LBB166_3841
; %bb.3840:
	s_wait_xcnt 0x0
	v_lshlrev_b32_e32 v8, 16, v1
	s_delay_alu instid0(VALU_DEP_1) | instskip(NEXT) | instid1(VALU_DEP_1)
	v_cvt_f16_f32_e32 v8, v8
	v_and_b32_e32 v8, 0xffff, v8
	global_store_b32 v[2:3], v8, off
.LBB166_3841:
	s_mov_b32 s2, 0
.LBB166_3842:
	s_delay_alu instid0(SALU_CYCLE_1)
	s_and_not1_b32 vcc_lo, exec_lo, s2
	s_cbranch_vccnz .LBB166_3851
; %bb.3843:
	s_cmp_lt_i32 s0, 6
	s_mov_b32 s2, -1
	s_cbranch_scc1 .LBB166_3849
; %bb.3844:
	s_cmp_gt_i32 s0, 6
	s_cbranch_scc0 .LBB166_3846
; %bb.3845:
	s_wait_xcnt 0x0
	v_lshlrev_b32_e32 v8, 16, v1
	s_mov_b32 s2, 0
	s_delay_alu instid0(VALU_DEP_1)
	v_cvt_f64_f32_e32 v[8:9], v8
	global_store_b64 v[2:3], v[8:9], off
.LBB166_3846:
	s_and_not1_b32 vcc_lo, exec_lo, s2
	s_cbranch_vccnz .LBB166_3848
; %bb.3847:
	s_wait_xcnt 0x0
	v_lshlrev_b32_e32 v8, 16, v1
	global_store_b32 v[2:3], v8, off
.LBB166_3848:
	s_mov_b32 s2, 0
.LBB166_3849:
	s_delay_alu instid0(SALU_CYCLE_1)
	s_and_not1_b32 vcc_lo, exec_lo, s2
	s_cbranch_vccnz .LBB166_3851
; %bb.3850:
	s_wait_xcnt 0x0
	v_lshlrev_b32_e32 v8, 16, v1
	s_delay_alu instid0(VALU_DEP_1)
	v_cvt_f16_f32_e32 v8, v8
	global_store_b16 v[2:3], v8, off
.LBB166_3851:
	s_mov_b32 s2, 0
.LBB166_3852:
	s_delay_alu instid0(SALU_CYCLE_1)
	s_and_not1_b32 vcc_lo, exec_lo, s2
	s_cbranch_vccnz .LBB166_3868
; %bb.3853:
	s_cmp_lt_i32 s0, 2
	s_mov_b32 s2, -1
	s_cbranch_scc1 .LBB166_3863
; %bb.3854:
	s_cmp_lt_i32 s0, 3
	s_cbranch_scc1 .LBB166_3860
; %bb.3855:
	s_cmp_gt_i32 s0, 3
	s_cbranch_scc0 .LBB166_3857
; %bb.3856:
	s_wait_xcnt 0x0
	v_lshlrev_b32_e32 v8, 16, v1
	s_mov_b32 s2, 0
	s_delay_alu instid0(VALU_DEP_1) | instskip(NEXT) | instid1(VALU_DEP_1)
	v_trunc_f32_e32 v8, v8
	v_mul_f32_e64 v9, 0x2f800000, |v8|
	s_delay_alu instid0(VALU_DEP_1) | instskip(NEXT) | instid1(VALU_DEP_1)
	v_floor_f32_e32 v9, v9
	v_fma_f32 v10, 0xcf800000, v9, |v8|
	v_ashrrev_i32_e32 v8, 31, v8
	v_cvt_u32_f32_e32 v11, v9
	s_delay_alu instid0(VALU_DEP_3) | instskip(NEXT) | instid1(VALU_DEP_2)
	v_cvt_u32_f32_e32 v10, v10
	v_dual_mov_b32 v9, v8 :: v_dual_bitop2_b32 v11, v11, v8 bitop3:0x14
	s_delay_alu instid0(VALU_DEP_2) | instskip(NEXT) | instid1(VALU_DEP_1)
	v_xor_b32_e32 v10, v10, v8
	v_sub_nc_u64_e32 v[8:9], v[10:11], v[8:9]
	global_store_b64 v[2:3], v[8:9], off
.LBB166_3857:
	s_and_not1_b32 vcc_lo, exec_lo, s2
	s_cbranch_vccnz .LBB166_3859
; %bb.3858:
	s_wait_xcnt 0x0
	v_lshlrev_b32_e32 v8, 16, v1
	s_delay_alu instid0(VALU_DEP_1)
	v_cvt_i32_f32_e32 v8, v8
	global_store_b32 v[2:3], v8, off
.LBB166_3859:
	s_mov_b32 s2, 0
.LBB166_3860:
	s_delay_alu instid0(SALU_CYCLE_1)
	s_and_not1_b32 vcc_lo, exec_lo, s2
	s_cbranch_vccnz .LBB166_3862
; %bb.3861:
	s_wait_xcnt 0x0
	v_lshlrev_b32_e32 v8, 16, v1
	s_delay_alu instid0(VALU_DEP_1)
	v_cvt_i32_f32_e32 v8, v8
	global_store_b16 v[2:3], v8, off
.LBB166_3862:
	s_mov_b32 s2, 0
.LBB166_3863:
	s_delay_alu instid0(SALU_CYCLE_1)
	s_and_not1_b32 vcc_lo, exec_lo, s2
	s_cbranch_vccnz .LBB166_3868
; %bb.3864:
	s_wait_xcnt 0x0
	v_lshlrev_b32_e32 v1, 16, v1
	s_cmp_gt_i32 s0, 0
	s_mov_b32 s0, -1
	s_cbranch_scc0 .LBB166_3866
; %bb.3865:
	s_delay_alu instid0(VALU_DEP_1)
	v_cvt_i32_f32_e32 v8, v1
	s_mov_b32 s0, 0
	global_store_b8 v[2:3], v8, off
.LBB166_3866:
	s_and_not1_b32 vcc_lo, exec_lo, s0
	s_cbranch_vccnz .LBB166_3868
; %bb.3867:
	v_trunc_f32_e32 v1, v1
	s_wait_xcnt 0x0
	s_delay_alu instid0(VALU_DEP_1) | instskip(NEXT) | instid1(VALU_DEP_1)
	v_mul_f32_e64 v8, 0x2f800000, |v1|
	v_floor_f32_e32 v8, v8
	s_delay_alu instid0(VALU_DEP_1) | instskip(SKIP_1) | instid1(VALU_DEP_2)
	v_fma_f32 v8, 0xcf800000, v8, |v1|
	v_ashrrev_i32_e32 v1, 31, v1
	v_cvt_u32_f32_e32 v8, v8
	s_delay_alu instid0(VALU_DEP_1) | instskip(NEXT) | instid1(VALU_DEP_1)
	v_xor_b32_e32 v8, v8, v1
	v_sub_nc_u32_e32 v1, v8, v1
	global_store_b8 v[2:3], v1, off
.LBB166_3868:
	s_mov_b32 s6, -1
.LBB166_3869:
	s_delay_alu instid0(SALU_CYCLE_1)
	s_and_not1_b32 vcc_lo, exec_lo, s6
	s_cbranch_vccnz .LBB166_4065
; %bb.3870:
	s_wait_xcnt 0x0
	v_dual_lshlrev_b32 v2, 16, v16 :: v_dual_lshlrev_b32 v8, 16, v15
	s_cmp_lt_i32 s20, 11
	v_lshlrev_b32_e32 v3, 16, v5
	s_delay_alu instid0(VALU_DEP_2) | instskip(SKIP_1) | instid1(VALU_DEP_1)
	v_cmp_gt_f32_e32 vcc_lo, v8, v2
	v_cndmask_b32_e32 v1, v16, v15, vcc_lo
	v_lshlrev_b32_e32 v9, 16, v1
	s_delay_alu instid0(VALU_DEP_1) | instskip(SKIP_2) | instid1(VALU_DEP_2)
	v_cmp_lt_f32_e32 vcc_lo, v9, v3
	v_cndmask_b32_e32 v1, v5, v1, vcc_lo
	v_cmp_u_f32_e32 vcc_lo, v3, v3
	v_dual_cndmask_b32 v3, v1, v5 :: v_dual_add_nc_u32 v0, s1, v0
	v_cmp_u_f32_e32 vcc_lo, v2, v2
	s_delay_alu instid0(VALU_DEP_2) | instskip(NEXT) | instid1(VALU_DEP_3)
	v_ashrrev_i32_e32 v1, 31, v0
	v_cndmask_b32_e32 v5, v3, v16, vcc_lo
	v_cmp_u_f32_e32 vcc_lo, v8, v8
	s_delay_alu instid0(VALU_DEP_3) | instskip(NEXT) | instid1(VALU_DEP_3)
	v_add_nc_u64_e32 v[2:3], s[4:5], v[0:1]
	v_cndmask_b32_e32 v1, v5, v15, vcc_lo
	s_cbranch_scc1 .LBB166_3948
; %bb.3871:
	s_and_b32 s2, 0xffff, s20
	s_mov_b32 s7, -1
	s_mov_b32 s3, 0
	s_cmp_gt_i32 s2, 25
	s_mov_b32 s6, 0
	s_mov_b32 s0, 0
	s_cbranch_scc0 .LBB166_3904
; %bb.3872:
	s_cmp_gt_i32 s2, 28
	s_cbranch_scc0 .LBB166_3887
; %bb.3873:
	s_cmp_gt_i32 s2, 43
	;; [unrolled: 3-line block ×3, first 2 shown]
	s_cbranch_scc0 .LBB166_3877
; %bb.3875:
	s_mov_b32 s0, -1
	s_mov_b32 s7, 0
	s_cmp_eq_u32 s2, 46
	s_cbranch_scc0 .LBB166_3877
; %bb.3876:
	v_and_b32_e32 v5, 0xffff, v1
	s_mov_b32 s0, 0
	s_mov_b32 s6, -1
	global_store_b32 v[2:3], v5, off
.LBB166_3877:
	s_and_b32 vcc_lo, exec_lo, s7
	s_cbranch_vccz .LBB166_3882
; %bb.3878:
	s_cmp_eq_u32 s2, 44
	s_mov_b32 s0, -1
	s_cbranch_scc0 .LBB166_3882
; %bb.3879:
	s_wait_xcnt 0x0
	v_and_b32_e32 v5, 0xffff, v1
	v_mov_b32_e32 v8, 0xff
	s_mov_b32 s6, exec_lo
	s_delay_alu instid0(VALU_DEP_2) | instskip(NEXT) | instid1(VALU_DEP_1)
	v_bfe_u32 v9, v5, 7, 8
	v_cmpx_ne_u32_e32 0xff, v9
	s_cbranch_execz .LBB166_3881
; %bb.3880:
	v_dual_lshlrev_b32 v8, 16, v5 :: v_dual_bitop2_b32 v10, 64, v5 bitop3:0x40
	v_lshrrev_b32_e32 v5, 7, v5
	s_delay_alu instid0(VALU_DEP_2) | instskip(NEXT) | instid1(VALU_DEP_3)
	v_and_or_b32 v8, 0x3f0000, v8, v9
	v_cmp_ne_u32_e32 vcc_lo, 0, v10
	s_delay_alu instid0(VALU_DEP_2) | instskip(SKIP_1) | instid1(SALU_CYCLE_1)
	v_cmp_ne_u32_e64 s0, 0, v8
	s_and_b32 s0, vcc_lo, s0
	v_cndmask_b32_e64 v8, 0, 1, s0
	s_delay_alu instid0(VALU_DEP_1)
	v_add_nc_u32_e32 v8, v5, v8
.LBB166_3881:
	s_or_b32 exec_lo, exec_lo, s6
	s_mov_b32 s0, 0
	s_mov_b32 s6, -1
	global_store_b8 v[2:3], v8, off
.LBB166_3882:
	s_mov_b32 s7, 0
.LBB166_3883:
	s_delay_alu instid0(SALU_CYCLE_1)
	s_and_b32 vcc_lo, exec_lo, s7
	s_cbranch_vccz .LBB166_3886
; %bb.3884:
	s_cmp_eq_u32 s2, 29
	s_mov_b32 s0, -1
	s_cbranch_scc0 .LBB166_3886
; %bb.3885:
	s_wait_xcnt 0x0
	v_lshlrev_b32_e32 v5, 16, v1
	s_mov_b32 s0, 0
	s_mov_b32 s6, -1
	s_delay_alu instid0(VALU_DEP_1) | instskip(NEXT) | instid1(VALU_DEP_1)
	v_trunc_f32_e32 v5, v5
	v_mul_f32_e32 v8, 0x2f800000, v5
	s_delay_alu instid0(VALU_DEP_1) | instskip(NEXT) | instid1(VALU_DEP_1)
	v_floor_f32_e32 v8, v8
	v_fmamk_f32 v5, v8, 0xcf800000, v5
	v_cvt_u32_f32_e32 v9, v8
	s_delay_alu instid0(VALU_DEP_2)
	v_cvt_u32_f32_e32 v8, v5
	global_store_b64 v[2:3], v[8:9], off
.LBB166_3886:
	s_mov_b32 s7, 0
.LBB166_3887:
	s_delay_alu instid0(SALU_CYCLE_1)
	s_and_b32 vcc_lo, exec_lo, s7
	s_cbranch_vccz .LBB166_3903
; %bb.3888:
	s_cmp_lt_i32 s2, 27
	s_mov_b32 s6, -1
	s_cbranch_scc1 .LBB166_3894
; %bb.3889:
	s_cmp_gt_i32 s2, 27
	s_cbranch_scc0 .LBB166_3891
; %bb.3890:
	s_wait_xcnt 0x0
	v_lshlrev_b32_e32 v5, 16, v1
	s_mov_b32 s6, 0
	s_delay_alu instid0(VALU_DEP_1)
	v_cvt_u32_f32_e32 v5, v5
	global_store_b32 v[2:3], v5, off
.LBB166_3891:
	s_and_not1_b32 vcc_lo, exec_lo, s6
	s_cbranch_vccnz .LBB166_3893
; %bb.3892:
	s_wait_xcnt 0x0
	v_lshlrev_b32_e32 v5, 16, v1
	s_delay_alu instid0(VALU_DEP_1)
	v_cvt_u32_f32_e32 v5, v5
	global_store_b16 v[2:3], v5, off
.LBB166_3893:
	s_mov_b32 s6, 0
.LBB166_3894:
	s_delay_alu instid0(SALU_CYCLE_1)
	s_and_not1_b32 vcc_lo, exec_lo, s6
	s_cbranch_vccnz .LBB166_3902
; %bb.3895:
	s_wait_xcnt 0x0
	v_dual_mov_b32 v10, 0x80 :: v_dual_lshlrev_b32 v9, 16, v1
	s_mov_b32 s6, exec_lo
	s_delay_alu instid0(VALU_DEP_1) | instskip(NEXT) | instid1(VALU_DEP_1)
	v_and_b32_e32 v8, 0x7fffffff, v9
	v_cmpx_gt_u32_e32 0x43800000, v8
	s_cbranch_execz .LBB166_3901
; %bb.3896:
	v_and_b32_e32 v5, 0xffff, v1
	v_cmp_lt_u32_e32 vcc_lo, 0x3bffffff, v8
	s_mov_b32 s7, 0
                                        ; implicit-def: $vgpr8
	s_and_saveexec_b32 s8, vcc_lo
	s_delay_alu instid0(SALU_CYCLE_1)
	s_xor_b32 s8, exec_lo, s8
	s_cbranch_execz .LBB166_4122
; %bb.3897:
	v_bfe_u32 v8, v5, 4, 1
	s_mov_b32 s7, exec_lo
	s_delay_alu instid0(VALU_DEP_1) | instskip(NEXT) | instid1(VALU_DEP_1)
	v_add3_u32 v8, v9, v8, 0x487ffff
                                        ; implicit-def: $vgpr9
	v_lshrrev_b32_e32 v8, 20, v8
	s_and_not1_saveexec_b32 s8, s8
	s_cbranch_execnz .LBB166_4123
.LBB166_3898:
	s_or_b32 exec_lo, exec_lo, s8
	v_mov_b32_e32 v10, 0
	s_and_saveexec_b32 s8, s7
.LBB166_3899:
	v_lshrrev_b32_e32 v5, 8, v5
	s_delay_alu instid0(VALU_DEP_1)
	v_and_or_b32 v10, 0x80, v5, v8
.LBB166_3900:
	s_or_b32 exec_lo, exec_lo, s8
.LBB166_3901:
	s_delay_alu instid0(SALU_CYCLE_1)
	s_or_b32 exec_lo, exec_lo, s6
	global_store_b8 v[2:3], v10, off
.LBB166_3902:
	s_mov_b32 s6, -1
.LBB166_3903:
	s_mov_b32 s7, 0
.LBB166_3904:
	s_delay_alu instid0(SALU_CYCLE_1)
	s_and_b32 vcc_lo, exec_lo, s7
	s_cbranch_vccz .LBB166_3944
; %bb.3905:
	s_cmp_gt_i32 s2, 22
	s_mov_b32 s3, -1
	s_cbranch_scc0 .LBB166_3937
; %bb.3906:
	s_cmp_lt_i32 s2, 24
	s_cbranch_scc1 .LBB166_3926
; %bb.3907:
	s_cmp_gt_i32 s2, 24
	s_cbranch_scc0 .LBB166_3915
; %bb.3908:
	s_wait_xcnt 0x0
	v_dual_mov_b32 v10, 0x80 :: v_dual_lshlrev_b32 v9, 16, v1
	s_mov_b32 s3, exec_lo
	s_delay_alu instid0(VALU_DEP_1) | instskip(NEXT) | instid1(VALU_DEP_1)
	v_and_b32_e32 v8, 0x7fffffff, v9
	v_cmpx_gt_u32_e32 0x47800000, v8
	s_cbranch_execz .LBB166_3914
; %bb.3909:
	v_and_b32_e32 v5, 0xffff, v1
	v_cmp_lt_u32_e32 vcc_lo, 0x37ffffff, v8
	s_mov_b32 s6, 0
                                        ; implicit-def: $vgpr8
	s_and_saveexec_b32 s7, vcc_lo
	s_delay_alu instid0(SALU_CYCLE_1)
	s_xor_b32 s7, exec_lo, s7
	s_cbranch_execz .LBB166_4125
; %bb.3910:
	v_bfe_u32 v8, v5, 5, 1
	s_mov_b32 s6, exec_lo
	s_delay_alu instid0(VALU_DEP_1) | instskip(NEXT) | instid1(VALU_DEP_1)
	v_add3_u32 v8, v9, v8, 0x88fffff
                                        ; implicit-def: $vgpr9
	v_lshrrev_b32_e32 v8, 21, v8
	s_and_not1_saveexec_b32 s7, s7
	s_cbranch_execnz .LBB166_4126
.LBB166_3911:
	s_or_b32 exec_lo, exec_lo, s7
	v_mov_b32_e32 v10, 0
	s_and_saveexec_b32 s7, s6
.LBB166_3912:
	v_lshrrev_b32_e32 v5, 8, v5
	s_delay_alu instid0(VALU_DEP_1)
	v_and_or_b32 v10, 0x80, v5, v8
.LBB166_3913:
	s_or_b32 exec_lo, exec_lo, s7
.LBB166_3914:
	s_delay_alu instid0(SALU_CYCLE_1)
	s_or_b32 exec_lo, exec_lo, s3
	s_mov_b32 s3, 0
	global_store_b8 v[2:3], v10, off
.LBB166_3915:
	s_and_b32 vcc_lo, exec_lo, s3
	s_cbranch_vccz .LBB166_3925
; %bb.3916:
	s_wait_xcnt 0x0
	v_lshlrev_b32_e32 v9, 16, v1
	v_and_b32_e32 v5, 0xffff, v1
	s_mov_b32 s3, exec_lo
                                        ; implicit-def: $vgpr8
	s_delay_alu instid0(VALU_DEP_2) | instskip(NEXT) | instid1(VALU_DEP_1)
	v_and_b32_e32 v10, 0x7fffffff, v9
	v_cmpx_gt_u32_e32 0x43f00000, v10
	s_xor_b32 s3, exec_lo, s3
	s_cbranch_execz .LBB166_3922
; %bb.3917:
	s_mov_b32 s6, exec_lo
                                        ; implicit-def: $vgpr8
	v_cmpx_lt_u32_e32 0x3c7fffff, v10
	s_xor_b32 s6, exec_lo, s6
; %bb.3918:
	v_bfe_u32 v8, v5, 4, 1
	s_delay_alu instid0(VALU_DEP_1) | instskip(NEXT) | instid1(VALU_DEP_1)
	v_add3_u32 v8, v9, v8, 0x407ffff
	v_and_b32_e32 v9, 0xff00000, v8
	v_lshrrev_b32_e32 v8, 20, v8
	s_delay_alu instid0(VALU_DEP_2) | instskip(NEXT) | instid1(VALU_DEP_2)
	v_cmp_ne_u32_e32 vcc_lo, 0x7f00000, v9
                                        ; implicit-def: $vgpr9
	v_cndmask_b32_e32 v8, 0x7e, v8, vcc_lo
; %bb.3919:
	s_and_not1_saveexec_b32 s6, s6
; %bb.3920:
	v_add_f32_e64 v8, 0x46800000, |v9|
; %bb.3921:
	s_or_b32 exec_lo, exec_lo, s6
                                        ; implicit-def: $vgpr10
.LBB166_3922:
	s_and_not1_saveexec_b32 s3, s3
; %bb.3923:
	v_mov_b32_e32 v8, 0x7f
	v_cmp_lt_u32_e32 vcc_lo, 0x7f800000, v10
	s_delay_alu instid0(VALU_DEP_2)
	v_cndmask_b32_e32 v8, 0x7e, v8, vcc_lo
; %bb.3924:
	s_or_b32 exec_lo, exec_lo, s3
	v_lshrrev_b32_e32 v5, 8, v5
	s_delay_alu instid0(VALU_DEP_1)
	v_and_or_b32 v5, 0x80, v5, v8
	global_store_b8 v[2:3], v5, off
.LBB166_3925:
	s_mov_b32 s3, 0
.LBB166_3926:
	s_delay_alu instid0(SALU_CYCLE_1)
	s_and_not1_b32 vcc_lo, exec_lo, s3
	s_cbranch_vccnz .LBB166_3936
; %bb.3927:
	s_wait_xcnt 0x0
	v_lshlrev_b32_e32 v9, 16, v1
	v_and_b32_e32 v5, 0xffff, v1
	s_mov_b32 s3, exec_lo
                                        ; implicit-def: $vgpr8
	s_delay_alu instid0(VALU_DEP_2) | instskip(NEXT) | instid1(VALU_DEP_1)
	v_and_b32_e32 v10, 0x7fffffff, v9
	v_cmpx_gt_u32_e32 0x47800000, v10
	s_xor_b32 s3, exec_lo, s3
	s_cbranch_execz .LBB166_3933
; %bb.3928:
	s_mov_b32 s6, exec_lo
                                        ; implicit-def: $vgpr8
	v_cmpx_lt_u32_e32 0x387fffff, v10
	s_xor_b32 s6, exec_lo, s6
; %bb.3929:
	v_bfe_u32 v8, v5, 5, 1
	s_delay_alu instid0(VALU_DEP_1) | instskip(NEXT) | instid1(VALU_DEP_1)
	v_add3_u32 v8, v9, v8, 0x80fffff
                                        ; implicit-def: $vgpr9
	v_lshrrev_b32_e32 v8, 21, v8
; %bb.3930:
	s_and_not1_saveexec_b32 s6, s6
; %bb.3931:
	v_add_f32_e64 v8, 0x43000000, |v9|
; %bb.3932:
	s_or_b32 exec_lo, exec_lo, s6
                                        ; implicit-def: $vgpr10
.LBB166_3933:
	s_and_not1_saveexec_b32 s3, s3
; %bb.3934:
	v_mov_b32_e32 v8, 0x7f
	v_cmp_lt_u32_e32 vcc_lo, 0x7f800000, v10
	s_delay_alu instid0(VALU_DEP_2)
	v_cndmask_b32_e32 v8, 0x7c, v8, vcc_lo
; %bb.3935:
	s_or_b32 exec_lo, exec_lo, s3
	v_lshrrev_b32_e32 v5, 8, v5
	s_delay_alu instid0(VALU_DEP_1)
	v_and_or_b32 v5, 0x80, v5, v8
	global_store_b8 v[2:3], v5, off
.LBB166_3936:
	s_mov_b32 s3, 0
	s_mov_b32 s6, -1
.LBB166_3937:
	s_and_not1_b32 vcc_lo, exec_lo, s3
	s_mov_b32 s3, 0
	s_cbranch_vccnz .LBB166_3944
; %bb.3938:
	s_cmp_gt_i32 s2, 14
	s_mov_b32 s3, -1
	s_cbranch_scc0 .LBB166_3942
; %bb.3939:
	s_cmp_eq_u32 s2, 15
	s_mov_b32 s0, -1
	s_cbranch_scc0 .LBB166_3941
; %bb.3940:
	s_mov_b32 s0, 0
	s_mov_b32 s6, -1
	global_store_b16 v[2:3], v1, off
.LBB166_3941:
	s_mov_b32 s3, 0
.LBB166_3942:
	s_delay_alu instid0(SALU_CYCLE_1)
	s_and_b32 vcc_lo, exec_lo, s3
	s_mov_b32 s3, 0
	s_cbranch_vccz .LBB166_3944
; %bb.3943:
	s_cmp_lg_u32 s2, 11
	s_mov_b32 s3, -1
	s_cselect_b32 s0, -1, 0
.LBB166_3944:
	s_delay_alu instid0(SALU_CYCLE_1)
	s_and_b32 vcc_lo, exec_lo, s0
	s_cbranch_vccnz .LBB166_4124
; %bb.3945:
	s_and_not1_b32 vcc_lo, exec_lo, s3
	s_cbranch_vccnz .LBB166_3947
.LBB166_3946:
	s_wait_xcnt 0x0
	v_and_b32_e32 v5, 0x7fff, v1
	s_mov_b32 s6, -1
	s_delay_alu instid0(VALU_DEP_1)
	v_cmp_ne_u16_e32 vcc_lo, 0, v5
	v_cndmask_b32_e64 v5, 0, 1, vcc_lo
	global_store_b8 v[2:3], v5, off
.LBB166_3947:
	s_mov_b32 s0, 0
	s_branch .LBB166_3949
.LBB166_3948:
	s_mov_b32 s0, -1
	s_mov_b32 s6, 0
.LBB166_3949:
	s_and_b32 vcc_lo, exec_lo, s0
	s_cbranch_vccz .LBB166_3988
; %bb.3950:
	s_and_b32 s0, 0xffff, s20
	s_mov_b32 s2, -1
	s_cmp_lt_i32 s0, 5
	s_cbranch_scc1 .LBB166_3971
; %bb.3951:
	s_cmp_lt_i32 s0, 8
	s_cbranch_scc1 .LBB166_3961
; %bb.3952:
	;; [unrolled: 3-line block ×3, first 2 shown]
	s_cmp_gt_i32 s0, 9
	s_cbranch_scc0 .LBB166_3955
; %bb.3954:
	s_wait_xcnt 0x0
	v_dual_mov_b32 v10, 0 :: v_dual_lshlrev_b32 v5, 16, v1
	s_mov_b32 s2, 0
	s_delay_alu instid0(VALU_DEP_1) | instskip(NEXT) | instid1(VALU_DEP_2)
	v_cvt_f64_f32_e32 v[8:9], v5
	v_mov_b32_e32 v11, v10
	global_store_b128 v[2:3], v[8:11], off
.LBB166_3955:
	s_and_not1_b32 vcc_lo, exec_lo, s2
	s_cbranch_vccnz .LBB166_3957
; %bb.3956:
	s_wait_xcnt 0x0
	v_dual_mov_b32 v9, 0 :: v_dual_lshlrev_b32 v8, 16, v1
	global_store_b64 v[2:3], v[8:9], off
.LBB166_3957:
	s_mov_b32 s2, 0
.LBB166_3958:
	s_delay_alu instid0(SALU_CYCLE_1)
	s_and_not1_b32 vcc_lo, exec_lo, s2
	s_cbranch_vccnz .LBB166_3960
; %bb.3959:
	s_wait_xcnt 0x0
	v_lshlrev_b32_e32 v5, 16, v1
	s_delay_alu instid0(VALU_DEP_1) | instskip(NEXT) | instid1(VALU_DEP_1)
	v_cvt_f16_f32_e32 v5, v5
	v_and_b32_e32 v5, 0xffff, v5
	global_store_b32 v[2:3], v5, off
.LBB166_3960:
	s_mov_b32 s2, 0
.LBB166_3961:
	s_delay_alu instid0(SALU_CYCLE_1)
	s_and_not1_b32 vcc_lo, exec_lo, s2
	s_cbranch_vccnz .LBB166_3970
; %bb.3962:
	s_cmp_lt_i32 s0, 6
	s_mov_b32 s2, -1
	s_cbranch_scc1 .LBB166_3968
; %bb.3963:
	s_cmp_gt_i32 s0, 6
	s_cbranch_scc0 .LBB166_3965
; %bb.3964:
	s_wait_xcnt 0x0
	v_lshlrev_b32_e32 v5, 16, v1
	s_mov_b32 s2, 0
	s_delay_alu instid0(VALU_DEP_1)
	v_cvt_f64_f32_e32 v[8:9], v5
	global_store_b64 v[2:3], v[8:9], off
.LBB166_3965:
	s_and_not1_b32 vcc_lo, exec_lo, s2
	s_cbranch_vccnz .LBB166_3967
; %bb.3966:
	s_wait_xcnt 0x0
	v_lshlrev_b32_e32 v5, 16, v1
	global_store_b32 v[2:3], v5, off
.LBB166_3967:
	s_mov_b32 s2, 0
.LBB166_3968:
	s_delay_alu instid0(SALU_CYCLE_1)
	s_and_not1_b32 vcc_lo, exec_lo, s2
	s_cbranch_vccnz .LBB166_3970
; %bb.3969:
	s_wait_xcnt 0x0
	v_lshlrev_b32_e32 v5, 16, v1
	s_delay_alu instid0(VALU_DEP_1)
	v_cvt_f16_f32_e32 v5, v5
	global_store_b16 v[2:3], v5, off
.LBB166_3970:
	s_mov_b32 s2, 0
.LBB166_3971:
	s_delay_alu instid0(SALU_CYCLE_1)
	s_and_not1_b32 vcc_lo, exec_lo, s2
	s_cbranch_vccnz .LBB166_3987
; %bb.3972:
	s_cmp_lt_i32 s0, 2
	s_mov_b32 s2, -1
	s_cbranch_scc1 .LBB166_3982
; %bb.3973:
	s_cmp_lt_i32 s0, 3
	s_cbranch_scc1 .LBB166_3979
; %bb.3974:
	s_cmp_gt_i32 s0, 3
	s_cbranch_scc0 .LBB166_3976
; %bb.3975:
	s_wait_xcnt 0x0
	v_lshlrev_b32_e32 v5, 16, v1
	s_mov_b32 s2, 0
	s_delay_alu instid0(VALU_DEP_1) | instskip(NEXT) | instid1(VALU_DEP_1)
	v_trunc_f32_e32 v5, v5
	v_mul_f32_e64 v8, 0x2f800000, |v5|
	s_delay_alu instid0(VALU_DEP_1) | instskip(SKIP_1) | instid1(VALU_DEP_2)
	v_floor_f32_e32 v9, v8
	v_ashrrev_i32_e32 v8, 31, v5
	v_fma_f32 v10, 0xcf800000, v9, |v5|
	v_cvt_u32_f32_e32 v5, v9
	s_delay_alu instid0(VALU_DEP_3) | instskip(NEXT) | instid1(VALU_DEP_3)
	v_mov_b32_e32 v9, v8
	v_cvt_u32_f32_e32 v10, v10
	s_delay_alu instid0(VALU_DEP_3) | instskip(NEXT) | instid1(VALU_DEP_2)
	v_xor_b32_e32 v11, v5, v8
	v_xor_b32_e32 v10, v10, v8
	s_delay_alu instid0(VALU_DEP_1)
	v_sub_nc_u64_e32 v[8:9], v[10:11], v[8:9]
	global_store_b64 v[2:3], v[8:9], off
.LBB166_3976:
	s_and_not1_b32 vcc_lo, exec_lo, s2
	s_cbranch_vccnz .LBB166_3978
; %bb.3977:
	s_wait_xcnt 0x0
	v_lshlrev_b32_e32 v5, 16, v1
	s_delay_alu instid0(VALU_DEP_1)
	v_cvt_i32_f32_e32 v5, v5
	global_store_b32 v[2:3], v5, off
.LBB166_3978:
	s_mov_b32 s2, 0
.LBB166_3979:
	s_delay_alu instid0(SALU_CYCLE_1)
	s_and_not1_b32 vcc_lo, exec_lo, s2
	s_cbranch_vccnz .LBB166_3981
; %bb.3980:
	s_wait_xcnt 0x0
	v_lshlrev_b32_e32 v5, 16, v1
	s_delay_alu instid0(VALU_DEP_1)
	v_cvt_i32_f32_e32 v5, v5
	global_store_b16 v[2:3], v5, off
.LBB166_3981:
	s_mov_b32 s2, 0
.LBB166_3982:
	s_delay_alu instid0(SALU_CYCLE_1)
	s_and_not1_b32 vcc_lo, exec_lo, s2
	s_cbranch_vccnz .LBB166_3987
; %bb.3983:
	s_wait_xcnt 0x0
	v_lshlrev_b32_e32 v1, 16, v1
	s_cmp_gt_i32 s0, 0
	s_mov_b32 s0, -1
	s_cbranch_scc0 .LBB166_3985
; %bb.3984:
	s_delay_alu instid0(VALU_DEP_1)
	v_cvt_i32_f32_e32 v5, v1
	s_mov_b32 s0, 0
	global_store_b8 v[2:3], v5, off
.LBB166_3985:
	s_and_not1_b32 vcc_lo, exec_lo, s0
	s_cbranch_vccnz .LBB166_3987
; %bb.3986:
	v_trunc_f32_e32 v1, v1
	s_wait_xcnt 0x0
	s_delay_alu instid0(VALU_DEP_1) | instskip(NEXT) | instid1(VALU_DEP_1)
	v_mul_f32_e64 v5, 0x2f800000, |v1|
	v_floor_f32_e32 v5, v5
	s_delay_alu instid0(VALU_DEP_1) | instskip(SKIP_1) | instid1(VALU_DEP_2)
	v_fma_f32 v5, 0xcf800000, v5, |v1|
	v_ashrrev_i32_e32 v1, 31, v1
	v_cvt_u32_f32_e32 v5, v5
	s_delay_alu instid0(VALU_DEP_1) | instskip(NEXT) | instid1(VALU_DEP_1)
	v_xor_b32_e32 v5, v5, v1
	v_sub_nc_u32_e32 v1, v5, v1
	global_store_b8 v[2:3], v1, off
.LBB166_3987:
	s_mov_b32 s6, -1
.LBB166_3988:
	s_delay_alu instid0(SALU_CYCLE_1)
	s_and_not1_b32 vcc_lo, exec_lo, s6
	s_cbranch_vccnz .LBB166_4065
; %bb.3989:
	s_wait_xcnt 0x0
	v_dual_lshlrev_b32 v2, 16, v7 :: v_dual_lshlrev_b32 v3, 16, v6
	s_cmp_lt_i32 s20, 11
	v_lshlrev_b32_e32 v5, 16, v4
	s_delay_alu instid0(VALU_DEP_2) | instskip(SKIP_1) | instid1(VALU_DEP_1)
	v_cmp_gt_f32_e32 vcc_lo, v3, v2
	v_cndmask_b32_e32 v1, v7, v6, vcc_lo
	v_lshlrev_b32_e32 v8, 16, v1
	s_delay_alu instid0(VALU_DEP_1) | instskip(SKIP_2) | instid1(VALU_DEP_2)
	v_cmp_lt_f32_e32 vcc_lo, v8, v5
	v_cndmask_b32_e32 v1, v4, v1, vcc_lo
	v_cmp_u_f32_e32 vcc_lo, v5, v5
	v_cndmask_b32_e32 v4, v1, v4, vcc_lo
	v_cmp_u_f32_e32 vcc_lo, v2, v2
	s_delay_alu instid0(VALU_DEP_2) | instskip(SKIP_1) | instid1(VALU_DEP_2)
	v_dual_add_nc_u32 v0, s1, v0 :: v_dual_cndmask_b32 v2, v4, v7, vcc_lo
	v_cmp_u_f32_e32 vcc_lo, v3, v3
	v_dual_cndmask_b32 v4, v2, v6 :: v_dual_ashrrev_i32 v1, 31, v0
	s_delay_alu instid0(VALU_DEP_1)
	v_add_nc_u64_e32 v[0:1], s[4:5], v[0:1]
	s_cbranch_scc1 .LBB166_4110
; %bb.3990:
	s_and_b32 s2, 0xffff, s20
	s_mov_b32 s3, -1
	s_mov_b32 s1, 0
	s_cmp_gt_i32 s2, 25
	s_mov_b32 s0, 0
	s_cbranch_scc0 .LBB166_4023
; %bb.3991:
	s_cmp_gt_i32 s2, 28
	s_cbranch_scc0 .LBB166_4007
; %bb.3992:
	s_cmp_gt_i32 s2, 43
	;; [unrolled: 3-line block ×3, first 2 shown]
	s_cbranch_scc0 .LBB166_3997
; %bb.3994:
	s_cmp_eq_u32 s2, 46
	s_mov_b32 s0, -1
	s_cbranch_scc0 .LBB166_3996
; %bb.3995:
	v_and_b32_e32 v2, 0xffff, v4
	s_mov_b32 s0, 0
	global_store_b32 v[0:1], v2, off
.LBB166_3996:
	s_mov_b32 s3, 0
.LBB166_3997:
	s_delay_alu instid0(SALU_CYCLE_1)
	s_and_b32 vcc_lo, exec_lo, s3
	s_cbranch_vccz .LBB166_4002
; %bb.3998:
	s_cmp_eq_u32 s2, 44
	s_mov_b32 s0, -1
	s_cbranch_scc0 .LBB166_4002
; %bb.3999:
	s_wait_xcnt 0x0
	v_and_b32_e32 v2, 0xffff, v4
	v_mov_b32_e32 v3, 0xff
	s_mov_b32 s3, exec_lo
	s_delay_alu instid0(VALU_DEP_2) | instskip(NEXT) | instid1(VALU_DEP_1)
	v_bfe_u32 v5, v2, 7, 8
	v_cmpx_ne_u32_e32 0xff, v5
	s_cbranch_execz .LBB166_4001
; %bb.4000:
	v_dual_lshlrev_b32 v3, 16, v2 :: v_dual_bitop2_b32 v6, 64, v2 bitop3:0x40
	v_lshrrev_b32_e32 v2, 7, v2
	s_delay_alu instid0(VALU_DEP_2) | instskip(NEXT) | instid1(VALU_DEP_3)
	v_and_or_b32 v3, 0x3f0000, v3, v5
	v_cmp_ne_u32_e32 vcc_lo, 0, v6
	s_delay_alu instid0(VALU_DEP_2) | instskip(SKIP_1) | instid1(SALU_CYCLE_1)
	v_cmp_ne_u32_e64 s0, 0, v3
	s_and_b32 s0, vcc_lo, s0
	v_cndmask_b32_e64 v3, 0, 1, s0
	s_delay_alu instid0(VALU_DEP_1)
	v_add_nc_u32_e32 v3, v2, v3
.LBB166_4001:
	s_or_b32 exec_lo, exec_lo, s3
	s_mov_b32 s0, 0
	global_store_b8 v[0:1], v3, off
.LBB166_4002:
	s_mov_b32 s3, 0
.LBB166_4003:
	s_delay_alu instid0(SALU_CYCLE_1)
	s_and_b32 vcc_lo, exec_lo, s3
	s_cbranch_vccz .LBB166_4006
; %bb.4004:
	s_cmp_eq_u32 s2, 29
	s_mov_b32 s0, -1
	s_cbranch_scc0 .LBB166_4006
; %bb.4005:
	s_wait_xcnt 0x0
	v_lshlrev_b32_e32 v2, 16, v4
	s_mov_b32 s0, 0
	s_delay_alu instid0(VALU_DEP_1) | instskip(NEXT) | instid1(VALU_DEP_1)
	v_trunc_f32_e32 v2, v2
	v_mul_f32_e32 v3, 0x2f800000, v2
	s_delay_alu instid0(VALU_DEP_1) | instskip(NEXT) | instid1(VALU_DEP_1)
	v_floor_f32_e32 v3, v3
	v_fmamk_f32 v2, v3, 0xcf800000, v2
	v_cvt_u32_f32_e32 v3, v3
	s_delay_alu instid0(VALU_DEP_2)
	v_cvt_u32_f32_e32 v2, v2
	global_store_b64 v[0:1], v[2:3], off
.LBB166_4006:
	s_mov_b32 s3, 0
.LBB166_4007:
	s_delay_alu instid0(SALU_CYCLE_1)
	s_and_b32 vcc_lo, exec_lo, s3
	s_cbranch_vccz .LBB166_4022
; %bb.4008:
	s_cmp_lt_i32 s2, 27
	s_mov_b32 s3, -1
	s_cbranch_scc1 .LBB166_4014
; %bb.4009:
	s_cmp_gt_i32 s2, 27
	s_cbranch_scc0 .LBB166_4011
; %bb.4010:
	s_wait_xcnt 0x0
	v_lshlrev_b32_e32 v2, 16, v4
	s_mov_b32 s3, 0
	s_delay_alu instid0(VALU_DEP_1)
	v_cvt_u32_f32_e32 v2, v2
	global_store_b32 v[0:1], v2, off
.LBB166_4011:
	s_and_not1_b32 vcc_lo, exec_lo, s3
	s_cbranch_vccnz .LBB166_4013
; %bb.4012:
	s_wait_xcnt 0x0
	v_lshlrev_b32_e32 v2, 16, v4
	s_delay_alu instid0(VALU_DEP_1)
	v_cvt_u32_f32_e32 v2, v2
	global_store_b16 v[0:1], v2, off
.LBB166_4013:
	s_mov_b32 s3, 0
.LBB166_4014:
	s_delay_alu instid0(SALU_CYCLE_1)
	s_and_not1_b32 vcc_lo, exec_lo, s3
	s_cbranch_vccnz .LBB166_4022
; %bb.4015:
	v_dual_mov_b32 v6, 0x80 :: v_dual_lshlrev_b32 v5, 16, v4
	s_mov_b32 s3, exec_lo
	s_wait_xcnt 0x0
	s_delay_alu instid0(VALU_DEP_1) | instskip(NEXT) | instid1(VALU_DEP_1)
	v_and_b32_e32 v3, 0x7fffffff, v5
	v_cmpx_gt_u32_e32 0x43800000, v3
	s_cbranch_execz .LBB166_4021
; %bb.4016:
	v_and_b32_e32 v2, 0xffff, v4
	v_cmp_lt_u32_e32 vcc_lo, 0x3bffffff, v3
	s_mov_b32 s4, 0
                                        ; implicit-def: $vgpr3
	s_and_saveexec_b32 s5, vcc_lo
	s_delay_alu instid0(SALU_CYCLE_1)
	s_xor_b32 s5, exec_lo, s5
	s_cbranch_execz .LBB166_4127
; %bb.4017:
	v_bfe_u32 v3, v2, 4, 1
	s_mov_b32 s4, exec_lo
	s_delay_alu instid0(VALU_DEP_1) | instskip(NEXT) | instid1(VALU_DEP_1)
	v_add3_u32 v3, v5, v3, 0x487ffff
                                        ; implicit-def: $vgpr5
	v_lshrrev_b32_e32 v3, 20, v3
	s_and_not1_saveexec_b32 s5, s5
	s_cbranch_execnz .LBB166_4128
.LBB166_4018:
	s_or_b32 exec_lo, exec_lo, s5
	v_mov_b32_e32 v6, 0
	s_and_saveexec_b32 s5, s4
.LBB166_4019:
	v_lshrrev_b32_e32 v2, 8, v2
	s_delay_alu instid0(VALU_DEP_1)
	v_and_or_b32 v6, 0x80, v2, v3
.LBB166_4020:
	s_or_b32 exec_lo, exec_lo, s5
.LBB166_4021:
	s_delay_alu instid0(SALU_CYCLE_1)
	s_or_b32 exec_lo, exec_lo, s3
	global_store_b8 v[0:1], v6, off
.LBB166_4022:
	s_mov_b32 s3, 0
.LBB166_4023:
	s_delay_alu instid0(SALU_CYCLE_1)
	s_and_b32 vcc_lo, exec_lo, s3
	s_cbranch_vccz .LBB166_4063
; %bb.4024:
	s_cmp_gt_i32 s2, 22
	s_mov_b32 s1, -1
	s_cbranch_scc0 .LBB166_4056
; %bb.4025:
	s_cmp_lt_i32 s2, 24
	s_cbranch_scc1 .LBB166_4045
; %bb.4026:
	s_cmp_gt_i32 s2, 24
	s_cbranch_scc0 .LBB166_4034
; %bb.4027:
	s_wait_xcnt 0x0
	v_dual_mov_b32 v6, 0x80 :: v_dual_lshlrev_b32 v5, 16, v4
	s_mov_b32 s1, exec_lo
	s_delay_alu instid0(VALU_DEP_1) | instskip(NEXT) | instid1(VALU_DEP_1)
	v_and_b32_e32 v3, 0x7fffffff, v5
	v_cmpx_gt_u32_e32 0x47800000, v3
	s_cbranch_execz .LBB166_4033
; %bb.4028:
	v_and_b32_e32 v2, 0xffff, v4
	v_cmp_lt_u32_e32 vcc_lo, 0x37ffffff, v3
	s_mov_b32 s3, 0
                                        ; implicit-def: $vgpr3
	s_and_saveexec_b32 s4, vcc_lo
	s_delay_alu instid0(SALU_CYCLE_1)
	s_xor_b32 s4, exec_lo, s4
	s_cbranch_execz .LBB166_4130
; %bb.4029:
	v_bfe_u32 v3, v2, 5, 1
	s_mov_b32 s3, exec_lo
	s_delay_alu instid0(VALU_DEP_1) | instskip(NEXT) | instid1(VALU_DEP_1)
	v_add3_u32 v3, v5, v3, 0x88fffff
                                        ; implicit-def: $vgpr5
	v_lshrrev_b32_e32 v3, 21, v3
	s_and_not1_saveexec_b32 s4, s4
	s_cbranch_execnz .LBB166_4131
.LBB166_4030:
	s_or_b32 exec_lo, exec_lo, s4
	v_mov_b32_e32 v6, 0
	s_and_saveexec_b32 s4, s3
.LBB166_4031:
	v_lshrrev_b32_e32 v2, 8, v2
	s_delay_alu instid0(VALU_DEP_1)
	v_and_or_b32 v6, 0x80, v2, v3
.LBB166_4032:
	s_or_b32 exec_lo, exec_lo, s4
.LBB166_4033:
	s_delay_alu instid0(SALU_CYCLE_1)
	s_or_b32 exec_lo, exec_lo, s1
	s_mov_b32 s1, 0
	global_store_b8 v[0:1], v6, off
.LBB166_4034:
	s_and_b32 vcc_lo, exec_lo, s1
	s_cbranch_vccz .LBB166_4044
; %bb.4035:
	v_lshlrev_b32_e32 v5, 16, v4
	s_wait_xcnt 0x0
	v_and_b32_e32 v2, 0xffff, v4
	s_mov_b32 s1, exec_lo
                                        ; implicit-def: $vgpr3
	s_delay_alu instid0(VALU_DEP_2) | instskip(NEXT) | instid1(VALU_DEP_1)
	v_and_b32_e32 v6, 0x7fffffff, v5
	v_cmpx_gt_u32_e32 0x43f00000, v6
	s_xor_b32 s1, exec_lo, s1
	s_cbranch_execz .LBB166_4041
; %bb.4036:
	s_mov_b32 s3, exec_lo
                                        ; implicit-def: $vgpr3
	v_cmpx_lt_u32_e32 0x3c7fffff, v6
	s_xor_b32 s3, exec_lo, s3
; %bb.4037:
	v_bfe_u32 v3, v2, 4, 1
	s_delay_alu instid0(VALU_DEP_1) | instskip(NEXT) | instid1(VALU_DEP_1)
	v_add3_u32 v3, v5, v3, 0x407ffff
	v_and_b32_e32 v5, 0xff00000, v3
	v_lshrrev_b32_e32 v3, 20, v3
	s_delay_alu instid0(VALU_DEP_2) | instskip(NEXT) | instid1(VALU_DEP_2)
	v_cmp_ne_u32_e32 vcc_lo, 0x7f00000, v5
                                        ; implicit-def: $vgpr5
	v_cndmask_b32_e32 v3, 0x7e, v3, vcc_lo
; %bb.4038:
	s_and_not1_saveexec_b32 s3, s3
; %bb.4039:
	v_add_f32_e64 v3, 0x46800000, |v5|
; %bb.4040:
	s_or_b32 exec_lo, exec_lo, s3
                                        ; implicit-def: $vgpr6
.LBB166_4041:
	s_and_not1_saveexec_b32 s1, s1
; %bb.4042:
	v_mov_b32_e32 v3, 0x7f
	v_cmp_lt_u32_e32 vcc_lo, 0x7f800000, v6
	s_delay_alu instid0(VALU_DEP_2)
	v_cndmask_b32_e32 v3, 0x7e, v3, vcc_lo
; %bb.4043:
	s_or_b32 exec_lo, exec_lo, s1
	v_lshrrev_b32_e32 v2, 8, v2
	s_delay_alu instid0(VALU_DEP_1)
	v_and_or_b32 v2, 0x80, v2, v3
	global_store_b8 v[0:1], v2, off
.LBB166_4044:
	s_mov_b32 s1, 0
.LBB166_4045:
	s_delay_alu instid0(SALU_CYCLE_1)
	s_and_not1_b32 vcc_lo, exec_lo, s1
	s_cbranch_vccnz .LBB166_4055
; %bb.4046:
	v_lshlrev_b32_e32 v5, 16, v4
	s_wait_xcnt 0x0
	v_and_b32_e32 v2, 0xffff, v4
	s_mov_b32 s1, exec_lo
                                        ; implicit-def: $vgpr3
	s_delay_alu instid0(VALU_DEP_2) | instskip(NEXT) | instid1(VALU_DEP_1)
	v_and_b32_e32 v6, 0x7fffffff, v5
	v_cmpx_gt_u32_e32 0x47800000, v6
	s_xor_b32 s1, exec_lo, s1
	s_cbranch_execz .LBB166_4052
; %bb.4047:
	s_mov_b32 s3, exec_lo
                                        ; implicit-def: $vgpr3
	v_cmpx_lt_u32_e32 0x387fffff, v6
	s_xor_b32 s3, exec_lo, s3
; %bb.4048:
	v_bfe_u32 v3, v2, 5, 1
	s_delay_alu instid0(VALU_DEP_1) | instskip(NEXT) | instid1(VALU_DEP_1)
	v_add3_u32 v3, v5, v3, 0x80fffff
                                        ; implicit-def: $vgpr5
	v_lshrrev_b32_e32 v3, 21, v3
; %bb.4049:
	s_and_not1_saveexec_b32 s3, s3
; %bb.4050:
	v_add_f32_e64 v3, 0x43000000, |v5|
; %bb.4051:
	s_or_b32 exec_lo, exec_lo, s3
                                        ; implicit-def: $vgpr6
.LBB166_4052:
	s_and_not1_saveexec_b32 s1, s1
; %bb.4053:
	v_mov_b32_e32 v3, 0x7f
	v_cmp_lt_u32_e32 vcc_lo, 0x7f800000, v6
	s_delay_alu instid0(VALU_DEP_2)
	v_cndmask_b32_e32 v3, 0x7c, v3, vcc_lo
; %bb.4054:
	s_or_b32 exec_lo, exec_lo, s1
	v_lshrrev_b32_e32 v2, 8, v2
	s_delay_alu instid0(VALU_DEP_1)
	v_and_or_b32 v2, 0x80, v2, v3
	global_store_b8 v[0:1], v2, off
.LBB166_4055:
	s_mov_b32 s1, 0
.LBB166_4056:
	s_delay_alu instid0(SALU_CYCLE_1)
	s_and_not1_b32 vcc_lo, exec_lo, s1
	s_mov_b32 s1, 0
	s_cbranch_vccnz .LBB166_4063
; %bb.4057:
	s_cmp_gt_i32 s2, 14
	s_mov_b32 s1, -1
	s_cbranch_scc0 .LBB166_4061
; %bb.4058:
	s_cmp_eq_u32 s2, 15
	s_mov_b32 s0, -1
	s_cbranch_scc0 .LBB166_4060
; %bb.4059:
	s_mov_b32 s0, 0
	global_store_b16 v[0:1], v4, off
.LBB166_4060:
	s_mov_b32 s1, 0
.LBB166_4061:
	s_delay_alu instid0(SALU_CYCLE_1)
	s_and_b32 vcc_lo, exec_lo, s1
	s_mov_b32 s1, 0
	s_cbranch_vccz .LBB166_4063
; %bb.4062:
	s_cmp_lg_u32 s2, 11
	s_mov_b32 s1, -1
	s_cselect_b32 s0, -1, 0
.LBB166_4063:
	s_delay_alu instid0(SALU_CYCLE_1)
	s_and_b32 vcc_lo, exec_lo, s0
	s_cbranch_vccnz .LBB166_4129
.LBB166_4064:
	s_mov_b32 s0, 0
	s_branch .LBB166_4066
.LBB166_4065:
	s_mov_b32 s0, 0
	s_mov_b32 s1, 0
                                        ; implicit-def: $sgpr20
                                        ; implicit-def: $vgpr0_vgpr1
                                        ; implicit-def: $vgpr4
.LBB166_4066:
	s_and_not1_b32 s2, s19, exec_lo
	s_and_b32 s3, s16, exec_lo
	s_and_b32 s0, s0, exec_lo
	;; [unrolled: 1-line block ×3, first 2 shown]
	s_or_b32 s19, s2, s3
.LBB166_4067:
	s_wait_xcnt 0x0
	s_or_b32 exec_lo, exec_lo, s18
	s_and_saveexec_b32 s1, s19
	s_cbranch_execz .LBB166_4070
; %bb.4068:
	; divergent unreachable
	s_or_b32 exec_lo, exec_lo, s1
	s_and_saveexec_b32 s1, s16
	s_delay_alu instid0(SALU_CYCLE_1)
	s_xor_b32 s1, exec_lo, s1
	s_cbranch_execnz .LBB166_4071
.LBB166_4069:
	s_or_b32 exec_lo, exec_lo, s1
	s_and_saveexec_b32 s1, s0
	s_cbranch_execnz .LBB166_4072
	s_branch .LBB166_4109
.LBB166_4070:
	s_or_b32 exec_lo, exec_lo, s1
	s_and_saveexec_b32 s1, s16
	s_delay_alu instid0(SALU_CYCLE_1)
	s_xor_b32 s1, exec_lo, s1
	s_cbranch_execz .LBB166_4069
.LBB166_4071:
	s_wait_loadcnt 0x0
	v_and_b32_e32 v2, 0x7fff, v4
	s_delay_alu instid0(VALU_DEP_1)
	v_cmp_ne_u16_e32 vcc_lo, 0, v2
	v_cndmask_b32_e64 v2, 0, 1, vcc_lo
	global_store_b8 v[0:1], v2, off
	s_wait_xcnt 0x0
	s_or_b32 exec_lo, exec_lo, s1
	s_and_saveexec_b32 s1, s0
	s_cbranch_execz .LBB166_4109
.LBB166_4072:
	s_sext_i32_i16 s1, s20
	s_mov_b32 s0, -1
	s_cmp_lt_i32 s1, 5
	s_cbranch_scc1 .LBB166_4093
; %bb.4073:
	s_cmp_lt_i32 s1, 8
	s_cbranch_scc1 .LBB166_4083
; %bb.4074:
	s_cmp_lt_i32 s1, 9
	s_cbranch_scc1 .LBB166_4080
; %bb.4075:
	s_wait_loadcnt 0x0
	v_lshlrev_b32_e32 v2, 16, v4
	s_cmp_gt_i32 s1, 9
	s_cbranch_scc0 .LBB166_4077
; %bb.4076:
	s_delay_alu instid0(VALU_DEP_1) | instskip(SKIP_2) | instid1(VALU_DEP_1)
	v_cvt_f64_f32_e32 v[6:7], v2
	v_mov_b32_e32 v8, 0
	s_mov_b32 s0, 0
	v_mov_b32_e32 v9, v8
	global_store_b128 v[0:1], v[6:9], off
.LBB166_4077:
	s_and_not1_b32 vcc_lo, exec_lo, s0
	s_cbranch_vccnz .LBB166_4079
; %bb.4078:
	v_mov_b32_e32 v3, 0
	global_store_b64 v[0:1], v[2:3], off
.LBB166_4079:
	s_mov_b32 s0, 0
.LBB166_4080:
	s_delay_alu instid0(SALU_CYCLE_1)
	s_and_not1_b32 vcc_lo, exec_lo, s0
	s_cbranch_vccnz .LBB166_4082
; %bb.4081:
	s_wait_loadcnt 0x0
	v_lshlrev_b32_e32 v2, 16, v4
	s_delay_alu instid0(VALU_DEP_1) | instskip(NEXT) | instid1(VALU_DEP_1)
	v_cvt_f16_f32_e32 v2, v2
	v_and_b32_e32 v2, 0xffff, v2
	global_store_b32 v[0:1], v2, off
.LBB166_4082:
	s_mov_b32 s0, 0
.LBB166_4083:
	s_delay_alu instid0(SALU_CYCLE_1)
	s_and_not1_b32 vcc_lo, exec_lo, s0
	s_cbranch_vccnz .LBB166_4092
; %bb.4084:
	s_sext_i32_i16 s1, s20
	s_mov_b32 s0, -1
	s_cmp_lt_i32 s1, 6
	s_cbranch_scc1 .LBB166_4090
; %bb.4085:
	s_wait_loadcnt 0x0
	v_lshlrev_b32_e32 v2, 16, v4
	s_cmp_gt_i32 s1, 6
	s_cbranch_scc0 .LBB166_4087
; %bb.4086:
	s_delay_alu instid0(VALU_DEP_1)
	v_cvt_f64_f32_e32 v[6:7], v2
	s_mov_b32 s0, 0
	global_store_b64 v[0:1], v[6:7], off
.LBB166_4087:
	s_and_not1_b32 vcc_lo, exec_lo, s0
	s_cbranch_vccnz .LBB166_4089
; %bb.4088:
	global_store_b32 v[0:1], v2, off
.LBB166_4089:
	s_mov_b32 s0, 0
.LBB166_4090:
	s_delay_alu instid0(SALU_CYCLE_1)
	s_and_not1_b32 vcc_lo, exec_lo, s0
	s_cbranch_vccnz .LBB166_4092
; %bb.4091:
	s_wait_loadcnt 0x0
	v_lshlrev_b32_e32 v2, 16, v4
	s_delay_alu instid0(VALU_DEP_1)
	v_cvt_f16_f32_e32 v2, v2
	global_store_b16 v[0:1], v2, off
.LBB166_4092:
	s_mov_b32 s0, 0
.LBB166_4093:
	s_delay_alu instid0(SALU_CYCLE_1)
	s_and_not1_b32 vcc_lo, exec_lo, s0
	s_cbranch_vccnz .LBB166_4109
; %bb.4094:
	s_sext_i32_i16 s1, s20
	s_mov_b32 s0, -1
	s_cmp_lt_i32 s1, 2
	s_cbranch_scc1 .LBB166_4104
; %bb.4095:
	s_cmp_lt_i32 s1, 3
	s_cbranch_scc1 .LBB166_4101
; %bb.4096:
	s_wait_loadcnt 0x0
	v_lshlrev_b32_e32 v2, 16, v4
	s_cmp_gt_i32 s1, 3
	s_cbranch_scc0 .LBB166_4098
; %bb.4097:
	s_delay_alu instid0(VALU_DEP_1) | instskip(SKIP_1) | instid1(VALU_DEP_1)
	v_trunc_f32_e32 v3, v2
	s_mov_b32 s0, 0
	v_mul_f32_e64 v5, 0x2f800000, |v3|
	v_ashrrev_i32_e32 v6, 31, v3
	s_delay_alu instid0(VALU_DEP_2) | instskip(NEXT) | instid1(VALU_DEP_1)
	v_floor_f32_e32 v5, v5
	v_fma_f32 v7, 0xcf800000, v5, |v3|
	v_cvt_u32_f32_e32 v3, v5
	s_delay_alu instid0(VALU_DEP_2) | instskip(NEXT) | instid1(VALU_DEP_2)
	v_cvt_u32_f32_e32 v5, v7
	v_dual_mov_b32 v7, v6 :: v_dual_bitop2_b32 v9, v3, v6 bitop3:0x14
	s_delay_alu instid0(VALU_DEP_2) | instskip(NEXT) | instid1(VALU_DEP_1)
	v_xor_b32_e32 v8, v5, v6
	v_sub_nc_u64_e32 v[6:7], v[8:9], v[6:7]
	global_store_b64 v[0:1], v[6:7], off
.LBB166_4098:
	s_and_not1_b32 vcc_lo, exec_lo, s0
	s_cbranch_vccnz .LBB166_4100
; %bb.4099:
	v_cvt_i32_f32_e32 v2, v2
	global_store_b32 v[0:1], v2, off
.LBB166_4100:
	s_mov_b32 s0, 0
.LBB166_4101:
	s_delay_alu instid0(SALU_CYCLE_1)
	s_and_not1_b32 vcc_lo, exec_lo, s0
	s_cbranch_vccnz .LBB166_4103
; %bb.4102:
	s_wait_loadcnt 0x0
	v_lshlrev_b32_e32 v2, 16, v4
	s_delay_alu instid0(VALU_DEP_1)
	v_cvt_i32_f32_e32 v2, v2
	global_store_b16 v[0:1], v2, off
.LBB166_4103:
	s_mov_b32 s0, 0
.LBB166_4104:
	s_delay_alu instid0(SALU_CYCLE_1)
	s_and_not1_b32 vcc_lo, exec_lo, s0
	s_cbranch_vccnz .LBB166_4109
; %bb.4105:
	s_wait_loadcnt 0x0
	v_lshlrev_b32_e32 v2, 16, v4
	s_sext_i32_i16 s0, s20
	s_delay_alu instid0(SALU_CYCLE_1)
	s_cmp_gt_i32 s0, 0
	s_mov_b32 s0, -1
	s_cbranch_scc0 .LBB166_4107
; %bb.4106:
	v_cvt_i32_f32_e32 v3, v2
	s_mov_b32 s0, 0
	global_store_b8 v[0:1], v3, off
.LBB166_4107:
	s_and_not1_b32 vcc_lo, exec_lo, s0
	s_cbranch_vccnz .LBB166_4109
; %bb.4108:
	v_trunc_f32_e32 v2, v2
	s_wait_xcnt 0x0
	s_delay_alu instid0(VALU_DEP_1) | instskip(NEXT) | instid1(VALU_DEP_1)
	v_mul_f32_e64 v3, 0x2f800000, |v2|
	v_floor_f32_e32 v3, v3
	s_delay_alu instid0(VALU_DEP_1) | instskip(SKIP_1) | instid1(VALU_DEP_2)
	v_fma_f32 v3, 0xcf800000, v3, |v2|
	v_ashrrev_i32_e32 v2, 31, v2
	v_cvt_u32_f32_e32 v3, v3
	s_delay_alu instid0(VALU_DEP_1) | instskip(NEXT) | instid1(VALU_DEP_1)
	v_xor_b32_e32 v3, v3, v2
	v_sub_nc_u32_e32 v2, v3, v2
	global_store_b8 v[0:1], v2, off
	s_endpgm
.LBB166_4109:
	s_endpgm
.LBB166_4110:
	s_mov_b32 s1, 0
	s_mov_b32 s0, -1
	s_branch .LBB166_4066
.LBB166_4111:
	s_or_b32 s16, s16, exec_lo
	s_trap 2
	s_cbranch_execz .LBB166_3580
	s_branch .LBB166_3581
.LBB166_4112:
	s_and_not1_saveexec_b32 s7, s7
	s_cbranch_execz .LBB166_3660
.LBB166_4113:
	v_add_f32_e64 v9, 0x46000000, |v10|
	s_and_not1_b32 s6, s6, exec_lo
	s_delay_alu instid0(VALU_DEP_1) | instskip(NEXT) | instid1(VALU_DEP_1)
	v_and_b32_e32 v9, 0xff, v9
	v_cmp_ne_u32_e32 vcc_lo, 0, v9
	s_and_b32 s8, vcc_lo, exec_lo
	s_delay_alu instid0(SALU_CYCLE_1)
	s_or_b32 s6, s6, s8
	s_or_b32 exec_lo, exec_lo, s7
	v_mov_b32_e32 v11, 0
	s_and_saveexec_b32 s7, s6
	s_cbranch_execnz .LBB166_3661
	s_branch .LBB166_3662
.LBB166_4114:
	s_or_b32 s16, s16, exec_lo
	s_trap 2
	s_cbranch_execz .LBB166_3708
	s_branch .LBB166_3709
.LBB166_4115:
	s_and_not1_saveexec_b32 s6, s6
	s_cbranch_execz .LBB166_3673
.LBB166_4116:
	v_add_f32_e64 v9, 0x42800000, |v10|
	s_and_not1_b32 s3, s3, exec_lo
	s_delay_alu instid0(VALU_DEP_1) | instskip(NEXT) | instid1(VALU_DEP_1)
	v_and_b32_e32 v9, 0xff, v9
	v_cmp_ne_u32_e32 vcc_lo, 0, v9
	s_and_b32 s7, vcc_lo, exec_lo
	s_delay_alu instid0(SALU_CYCLE_1)
	s_or_b32 s3, s3, s7
	s_or_b32 exec_lo, exec_lo, s6
	v_mov_b32_e32 v11, 0
	s_and_saveexec_b32 s6, s3
	s_cbranch_execnz .LBB166_3674
	s_branch .LBB166_3675
.LBB166_4117:
	s_and_not1_saveexec_b32 s8, s8
	s_cbranch_execz .LBB166_3779
.LBB166_4118:
	v_add_f32_e64 v9, 0x46000000, |v10|
	s_and_not1_b32 s7, s7, exec_lo
	s_delay_alu instid0(VALU_DEP_1) | instskip(NEXT) | instid1(VALU_DEP_1)
	v_and_b32_e32 v9, 0xff, v9
	v_cmp_ne_u32_e32 vcc_lo, 0, v9
	s_and_b32 s9, vcc_lo, exec_lo
	s_delay_alu instid0(SALU_CYCLE_1)
	s_or_b32 s7, s7, s9
	s_or_b32 exec_lo, exec_lo, s8
	v_mov_b32_e32 v11, 0
	s_and_saveexec_b32 s8, s7
	s_cbranch_execnz .LBB166_3780
	s_branch .LBB166_3781
.LBB166_4119:
	s_or_b32 s16, s16, exec_lo
	s_trap 2
	s_cbranch_execz .LBB166_3827
	s_branch .LBB166_3828
.LBB166_4120:
	s_and_not1_saveexec_b32 s7, s7
	s_cbranch_execz .LBB166_3792
.LBB166_4121:
	v_add_f32_e64 v9, 0x42800000, |v10|
	s_and_not1_b32 s6, s6, exec_lo
	s_delay_alu instid0(VALU_DEP_1) | instskip(NEXT) | instid1(VALU_DEP_1)
	v_and_b32_e32 v9, 0xff, v9
	v_cmp_ne_u32_e32 vcc_lo, 0, v9
	s_and_b32 s8, vcc_lo, exec_lo
	s_delay_alu instid0(SALU_CYCLE_1)
	s_or_b32 s6, s6, s8
	s_or_b32 exec_lo, exec_lo, s7
	v_mov_b32_e32 v11, 0
	s_and_saveexec_b32 s7, s6
	s_cbranch_execnz .LBB166_3793
	s_branch .LBB166_3794
.LBB166_4122:
	s_and_not1_saveexec_b32 s8, s8
	s_cbranch_execz .LBB166_3898
.LBB166_4123:
	v_add_f32_e64 v8, 0x46000000, |v9|
	s_and_not1_b32 s7, s7, exec_lo
	s_delay_alu instid0(VALU_DEP_1) | instskip(NEXT) | instid1(VALU_DEP_1)
	v_and_b32_e32 v8, 0xff, v8
	v_cmp_ne_u32_e32 vcc_lo, 0, v8
	s_and_b32 s9, vcc_lo, exec_lo
	s_delay_alu instid0(SALU_CYCLE_1)
	s_or_b32 s7, s7, s9
	s_or_b32 exec_lo, exec_lo, s8
	v_mov_b32_e32 v10, 0
	s_and_saveexec_b32 s8, s7
	s_cbranch_execnz .LBB166_3899
	s_branch .LBB166_3900
.LBB166_4124:
	s_or_b32 s16, s16, exec_lo
	s_trap 2
	s_cbranch_execz .LBB166_3946
	s_branch .LBB166_3947
.LBB166_4125:
	s_and_not1_saveexec_b32 s7, s7
	s_cbranch_execz .LBB166_3911
.LBB166_4126:
	v_add_f32_e64 v8, 0x42800000, |v9|
	s_and_not1_b32 s6, s6, exec_lo
	s_delay_alu instid0(VALU_DEP_1) | instskip(NEXT) | instid1(VALU_DEP_1)
	v_and_b32_e32 v8, 0xff, v8
	v_cmp_ne_u32_e32 vcc_lo, 0, v8
	s_and_b32 s8, vcc_lo, exec_lo
	s_delay_alu instid0(SALU_CYCLE_1)
	s_or_b32 s6, s6, s8
	s_or_b32 exec_lo, exec_lo, s7
	v_mov_b32_e32 v10, 0
	s_and_saveexec_b32 s7, s6
	s_cbranch_execnz .LBB166_3912
	s_branch .LBB166_3913
.LBB166_4127:
	s_and_not1_saveexec_b32 s5, s5
	s_cbranch_execz .LBB166_4018
.LBB166_4128:
	v_add_f32_e64 v3, 0x46000000, |v5|
	s_and_not1_b32 s4, s4, exec_lo
	s_delay_alu instid0(VALU_DEP_1) | instskip(NEXT) | instid1(VALU_DEP_1)
	v_and_b32_e32 v3, 0xff, v3
	v_cmp_ne_u32_e32 vcc_lo, 0, v3
	s_and_b32 s6, vcc_lo, exec_lo
	s_delay_alu instid0(SALU_CYCLE_1)
	s_or_b32 s4, s4, s6
	s_or_b32 exec_lo, exec_lo, s5
	v_mov_b32_e32 v6, 0
	s_and_saveexec_b32 s5, s4
	s_cbranch_execnz .LBB166_4019
	s_branch .LBB166_4020
.LBB166_4129:
	s_mov_b32 s1, 0
	s_or_b32 s16, s16, exec_lo
	s_trap 2
	s_branch .LBB166_4064
.LBB166_4130:
	s_and_not1_saveexec_b32 s4, s4
	s_cbranch_execz .LBB166_4030
.LBB166_4131:
	v_add_f32_e64 v3, 0x42800000, |v5|
	s_and_not1_b32 s3, s3, exec_lo
	s_delay_alu instid0(VALU_DEP_1) | instskip(NEXT) | instid1(VALU_DEP_1)
	v_and_b32_e32 v3, 0xff, v3
	v_cmp_ne_u32_e32 vcc_lo, 0, v3
	s_and_b32 s5, vcc_lo, exec_lo
	s_delay_alu instid0(SALU_CYCLE_1)
	s_or_b32 s3, s3, s5
	s_or_b32 exec_lo, exec_lo, s4
	v_mov_b32_e32 v6, 0
	s_and_saveexec_b32 s4, s3
	s_cbranch_execnz .LBB166_4031
	s_branch .LBB166_4032
	.section	.rodata,"a",@progbits
	.p2align	6, 0x0
	.amdhsa_kernel _ZN2at6native32elementwise_kernel_manual_unrollILi128ELi4EZNS0_15gpu_kernel_implIZZZNS0_12_GLOBAL__N_117clamp_kernel_implERNS_18TensorIteratorBaseEENKUlvE_clEvENKUlvE7_clEvEUlN3c108BFloat16ES9_S9_E_EEvS5_RKT_EUlibE_EEviT1_
		.amdhsa_group_segment_fixed_size 0
		.amdhsa_private_segment_fixed_size 0
		.amdhsa_kernarg_size 64
		.amdhsa_user_sgpr_count 2
		.amdhsa_user_sgpr_dispatch_ptr 0
		.amdhsa_user_sgpr_queue_ptr 0
		.amdhsa_user_sgpr_kernarg_segment_ptr 1
		.amdhsa_user_sgpr_dispatch_id 0
		.amdhsa_user_sgpr_kernarg_preload_length 0
		.amdhsa_user_sgpr_kernarg_preload_offset 0
		.amdhsa_user_sgpr_private_segment_size 0
		.amdhsa_wavefront_size32 1
		.amdhsa_uses_dynamic_stack 0
		.amdhsa_enable_private_segment 0
		.amdhsa_system_sgpr_workgroup_id_x 1
		.amdhsa_system_sgpr_workgroup_id_y 0
		.amdhsa_system_sgpr_workgroup_id_z 0
		.amdhsa_system_sgpr_workgroup_info 0
		.amdhsa_system_vgpr_workitem_id 0
		.amdhsa_next_free_vgpr 20
		.amdhsa_next_free_sgpr 42
		.amdhsa_named_barrier_count 0
		.amdhsa_reserve_vcc 1
		.amdhsa_float_round_mode_32 0
		.amdhsa_float_round_mode_16_64 0
		.amdhsa_float_denorm_mode_32 3
		.amdhsa_float_denorm_mode_16_64 3
		.amdhsa_fp16_overflow 0
		.amdhsa_memory_ordered 1
		.amdhsa_forward_progress 1
		.amdhsa_inst_pref_size 255
		.amdhsa_round_robin_scheduling 0
		.amdhsa_exception_fp_ieee_invalid_op 0
		.amdhsa_exception_fp_denorm_src 0
		.amdhsa_exception_fp_ieee_div_zero 0
		.amdhsa_exception_fp_ieee_overflow 0
		.amdhsa_exception_fp_ieee_underflow 0
		.amdhsa_exception_fp_ieee_inexact 0
		.amdhsa_exception_int_div_zero 0
	.end_amdhsa_kernel
	.section	.text._ZN2at6native32elementwise_kernel_manual_unrollILi128ELi4EZNS0_15gpu_kernel_implIZZZNS0_12_GLOBAL__N_117clamp_kernel_implERNS_18TensorIteratorBaseEENKUlvE_clEvENKUlvE7_clEvEUlN3c108BFloat16ES9_S9_E_EEvS5_RKT_EUlibE_EEviT1_,"axG",@progbits,_ZN2at6native32elementwise_kernel_manual_unrollILi128ELi4EZNS0_15gpu_kernel_implIZZZNS0_12_GLOBAL__N_117clamp_kernel_implERNS_18TensorIteratorBaseEENKUlvE_clEvENKUlvE7_clEvEUlN3c108BFloat16ES9_S9_E_EEvS5_RKT_EUlibE_EEviT1_,comdat
.Lfunc_end166:
	.size	_ZN2at6native32elementwise_kernel_manual_unrollILi128ELi4EZNS0_15gpu_kernel_implIZZZNS0_12_GLOBAL__N_117clamp_kernel_implERNS_18TensorIteratorBaseEENKUlvE_clEvENKUlvE7_clEvEUlN3c108BFloat16ES9_S9_E_EEvS5_RKT_EUlibE_EEviT1_, .Lfunc_end166-_ZN2at6native32elementwise_kernel_manual_unrollILi128ELi4EZNS0_15gpu_kernel_implIZZZNS0_12_GLOBAL__N_117clamp_kernel_implERNS_18TensorIteratorBaseEENKUlvE_clEvENKUlvE7_clEvEUlN3c108BFloat16ES9_S9_E_EEvS5_RKT_EUlibE_EEviT1_
                                        ; -- End function
	.set _ZN2at6native32elementwise_kernel_manual_unrollILi128ELi4EZNS0_15gpu_kernel_implIZZZNS0_12_GLOBAL__N_117clamp_kernel_implERNS_18TensorIteratorBaseEENKUlvE_clEvENKUlvE7_clEvEUlN3c108BFloat16ES9_S9_E_EEvS5_RKT_EUlibE_EEviT1_.num_vgpr, 20
	.set _ZN2at6native32elementwise_kernel_manual_unrollILi128ELi4EZNS0_15gpu_kernel_implIZZZNS0_12_GLOBAL__N_117clamp_kernel_implERNS_18TensorIteratorBaseEENKUlvE_clEvENKUlvE7_clEvEUlN3c108BFloat16ES9_S9_E_EEvS5_RKT_EUlibE_EEviT1_.num_agpr, 0
	.set _ZN2at6native32elementwise_kernel_manual_unrollILi128ELi4EZNS0_15gpu_kernel_implIZZZNS0_12_GLOBAL__N_117clamp_kernel_implERNS_18TensorIteratorBaseEENKUlvE_clEvENKUlvE7_clEvEUlN3c108BFloat16ES9_S9_E_EEvS5_RKT_EUlibE_EEviT1_.numbered_sgpr, 42
	.set _ZN2at6native32elementwise_kernel_manual_unrollILi128ELi4EZNS0_15gpu_kernel_implIZZZNS0_12_GLOBAL__N_117clamp_kernel_implERNS_18TensorIteratorBaseEENKUlvE_clEvENKUlvE7_clEvEUlN3c108BFloat16ES9_S9_E_EEvS5_RKT_EUlibE_EEviT1_.num_named_barrier, 0
	.set _ZN2at6native32elementwise_kernel_manual_unrollILi128ELi4EZNS0_15gpu_kernel_implIZZZNS0_12_GLOBAL__N_117clamp_kernel_implERNS_18TensorIteratorBaseEENKUlvE_clEvENKUlvE7_clEvEUlN3c108BFloat16ES9_S9_E_EEvS5_RKT_EUlibE_EEviT1_.private_seg_size, 0
	.set _ZN2at6native32elementwise_kernel_manual_unrollILi128ELi4EZNS0_15gpu_kernel_implIZZZNS0_12_GLOBAL__N_117clamp_kernel_implERNS_18TensorIteratorBaseEENKUlvE_clEvENKUlvE7_clEvEUlN3c108BFloat16ES9_S9_E_EEvS5_RKT_EUlibE_EEviT1_.uses_vcc, 1
	.set _ZN2at6native32elementwise_kernel_manual_unrollILi128ELi4EZNS0_15gpu_kernel_implIZZZNS0_12_GLOBAL__N_117clamp_kernel_implERNS_18TensorIteratorBaseEENKUlvE_clEvENKUlvE7_clEvEUlN3c108BFloat16ES9_S9_E_EEvS5_RKT_EUlibE_EEviT1_.uses_flat_scratch, 0
	.set _ZN2at6native32elementwise_kernel_manual_unrollILi128ELi4EZNS0_15gpu_kernel_implIZZZNS0_12_GLOBAL__N_117clamp_kernel_implERNS_18TensorIteratorBaseEENKUlvE_clEvENKUlvE7_clEvEUlN3c108BFloat16ES9_S9_E_EEvS5_RKT_EUlibE_EEviT1_.has_dyn_sized_stack, 0
	.set _ZN2at6native32elementwise_kernel_manual_unrollILi128ELi4EZNS0_15gpu_kernel_implIZZZNS0_12_GLOBAL__N_117clamp_kernel_implERNS_18TensorIteratorBaseEENKUlvE_clEvENKUlvE7_clEvEUlN3c108BFloat16ES9_S9_E_EEvS5_RKT_EUlibE_EEviT1_.has_recursion, 0
	.set _ZN2at6native32elementwise_kernel_manual_unrollILi128ELi4EZNS0_15gpu_kernel_implIZZZNS0_12_GLOBAL__N_117clamp_kernel_implERNS_18TensorIteratorBaseEENKUlvE_clEvENKUlvE7_clEvEUlN3c108BFloat16ES9_S9_E_EEvS5_RKT_EUlibE_EEviT1_.has_indirect_call, 0
	.section	.AMDGPU.csdata,"",@progbits
; Kernel info:
; codeLenInByte = 93276
; TotalNumSgprs: 44
; NumVgprs: 20
; ScratchSize: 0
; MemoryBound: 0
; FloatMode: 240
; IeeeMode: 1
; LDSByteSize: 0 bytes/workgroup (compile time only)
; SGPRBlocks: 0
; VGPRBlocks: 1
; NumSGPRsForWavesPerEU: 44
; NumVGPRsForWavesPerEU: 20
; NamedBarCnt: 0
; Occupancy: 16
; WaveLimiterHint : 0
; COMPUTE_PGM_RSRC2:SCRATCH_EN: 0
; COMPUTE_PGM_RSRC2:USER_SGPR: 2
; COMPUTE_PGM_RSRC2:TRAP_HANDLER: 0
; COMPUTE_PGM_RSRC2:TGID_X_EN: 1
; COMPUTE_PGM_RSRC2:TGID_Y_EN: 0
; COMPUTE_PGM_RSRC2:TGID_Z_EN: 0
; COMPUTE_PGM_RSRC2:TIDIG_COMP_CNT: 0
	.section	.text._ZN2at6native32elementwise_kernel_manual_unrollILi128ELi4EZNS0_15gpu_kernel_implIZZZNS0_12_GLOBAL__N_117clamp_kernel_implERNS_18TensorIteratorBaseEENKUlvE_clEvENKUlvE7_clEvEUlN3c108BFloat16ES9_S9_E_EEvS5_RKT_EUlibE0_EEviT1_,"axG",@progbits,_ZN2at6native32elementwise_kernel_manual_unrollILi128ELi4EZNS0_15gpu_kernel_implIZZZNS0_12_GLOBAL__N_117clamp_kernel_implERNS_18TensorIteratorBaseEENKUlvE_clEvENKUlvE7_clEvEUlN3c108BFloat16ES9_S9_E_EEvS5_RKT_EUlibE0_EEviT1_,comdat
	.globl	_ZN2at6native32elementwise_kernel_manual_unrollILi128ELi4EZNS0_15gpu_kernel_implIZZZNS0_12_GLOBAL__N_117clamp_kernel_implERNS_18TensorIteratorBaseEENKUlvE_clEvENKUlvE7_clEvEUlN3c108BFloat16ES9_S9_E_EEvS5_RKT_EUlibE0_EEviT1_ ; -- Begin function _ZN2at6native32elementwise_kernel_manual_unrollILi128ELi4EZNS0_15gpu_kernel_implIZZZNS0_12_GLOBAL__N_117clamp_kernel_implERNS_18TensorIteratorBaseEENKUlvE_clEvENKUlvE7_clEvEUlN3c108BFloat16ES9_S9_E_EEvS5_RKT_EUlibE0_EEviT1_
	.p2align	8
	.type	_ZN2at6native32elementwise_kernel_manual_unrollILi128ELi4EZNS0_15gpu_kernel_implIZZZNS0_12_GLOBAL__N_117clamp_kernel_implERNS_18TensorIteratorBaseEENKUlvE_clEvENKUlvE7_clEvEUlN3c108BFloat16ES9_S9_E_EEvS5_RKT_EUlibE0_EEviT1_,@function
_ZN2at6native32elementwise_kernel_manual_unrollILi128ELi4EZNS0_15gpu_kernel_implIZZZNS0_12_GLOBAL__N_117clamp_kernel_implERNS_18TensorIteratorBaseEENKUlvE_clEvENKUlvE7_clEvEUlN3c108BFloat16ES9_S9_E_EEvS5_RKT_EUlibE0_EEviT1_: ; @_ZN2at6native32elementwise_kernel_manual_unrollILi128ELi4EZNS0_15gpu_kernel_implIZZZNS0_12_GLOBAL__N_117clamp_kernel_implERNS_18TensorIteratorBaseEENKUlvE_clEvENKUlvE7_clEvEUlN3c108BFloat16ES9_S9_E_EEvS5_RKT_EUlibE0_EEviT1_
; %bb.0:
	s_clause 0x1
	s_load_b32 s33, s[0:1], 0x8
	s_load_b32 s44, s[0:1], 0x0
	s_bfe_u32 s2, ttmp6, 0x4000c
	s_and_b32 s3, ttmp6, 15
	s_add_co_i32 s2, s2, 1
	s_getreg_b32 s4, hwreg(HW_REG_IB_STS2, 6, 4)
	s_mul_i32 s2, ttmp9, s2
	s_mov_b32 s35, 0
	s_add_co_i32 s3, s3, s2
	s_cmp_eq_u32 s4, 0
	s_mov_b32 s29, -1
	s_cselect_b32 s2, ttmp9, s3
	s_mov_b32 s10, 0
	v_lshl_or_b32 v0, s2, 9, v0
	s_add_nc_u64 s[2:3], s[0:1], 8
	s_wait_xcnt 0x0
	s_mov_b32 s0, exec_lo
	s_delay_alu instid0(VALU_DEP_1) | instskip(SKIP_2) | instid1(SALU_CYCLE_1)
	v_or_b32_e32 v5, 0x180, v0
	s_wait_kmcnt 0x0
	s_add_co_i32 s34, s33, -1
	s_cmp_gt_u32 s34, 1
	s_cselect_b32 s36, -1, 0
	v_cmpx_le_i32_e64 s44, v5
	s_xor_b32 s37, exec_lo, s0
	s_cbranch_execz .LBB167_2109
; %bb.1:
	v_mov_b32_e32 v1, 0
	s_clause 0x3
	s_load_b128 s[20:23], s[2:3], 0x4
	s_load_b64 s[0:1], s[2:3], 0x14
	s_load_b256 s[12:19], s[2:3], 0xc4
	s_load_b256 s[4:11], s[2:3], 0x1c8
	s_cmp_lg_u32 s33, 0
	s_mov_b32 s25, 0
	s_cselect_b32 s45, -1, 0
	global_load_b32 v1, v1, s[2:3] offset:489
	s_min_u32 s42, s34, 15
	s_cmp_gt_u32 s33, 1
	s_mov_b32 s27, s25
	s_mov_b32 s48, s25
	s_mov_b32 s47, s25
	s_mov_b32 s46, s25
	s_cselect_b32 s41, -1, 0
	s_mov_b32 s43, s25
	s_mov_b32 s49, exec_lo
	s_wait_kmcnt 0x0
	s_mov_b32 s24, s21
	s_mov_b32 s26, s0
	s_wait_loadcnt 0x0
	v_readfirstlane_b32 s38, v1
	s_lshr_b32 s39, s38, 16
	s_lshr_b32 s40, s38, 8
	;; [unrolled: 1-line block ×3, first 2 shown]
	v_cmpx_gt_i32_e64 s44, v0
	s_cbranch_execz .LBB167_523
; %bb.2:
	s_and_not1_b32 vcc_lo, exec_lo, s36
	s_cbranch_vccnz .LBB167_8
; %bb.3:
	s_and_not1_b32 vcc_lo, exec_lo, s45
	s_cbranch_vccnz .LBB167_9
; %bb.4:
	v_dual_mov_b32 v6, 0 :: v_dual_mov_b32 v1, v0
	v_dual_mov_b32 v4, 0 :: v_dual_mov_b32 v2, 0
	v_mov_b32_e32 v8, 0
	s_add_co_i32 s0, s42, 1
	s_mov_b64 s[28:29], 0xffffffffffffffe0
	s_and_b32 s0, s0, 30
	s_add_nc_u64 s[28:29], s[2:3], s[28:29]
	s_mov_b64 s[30:31], s[2:3]
.LBB167_5:                              ; =>This Inner Loop Header: Depth=1
	s_clause 0x1
	s_load_b128 s[60:63], s[30:31], 0x4
	s_load_b64 s[46:47], s[30:31], 0x14
	s_load_b256 s[52:59], s[28:29], 0xe4
	s_add_co_i32 s0, s0, -2
	s_wait_xcnt 0x0
	s_add_nc_u64 s[30:31], s[30:31], 24
	s_cmp_lg_u32 s0, 0
	s_add_nc_u64 s[28:29], s[28:29], 32
	s_wait_kmcnt 0x0
	v_mul_hi_u32 v3, s61, v1
	s_delay_alu instid0(VALU_DEP_1) | instskip(NEXT) | instid1(VALU_DEP_1)
	v_add_nc_u32_e32 v3, v1, v3
	v_lshrrev_b32_e32 v3, s62, v3
	s_delay_alu instid0(VALU_DEP_1) | instskip(SKIP_1) | instid1(VALU_DEP_1)
	v_mul_hi_u32 v5, s46, v3
	v_mul_lo_u32 v7, v3, s60
	v_dual_add_nc_u32 v5, v3, v5 :: v_dual_sub_nc_u32 v7, v1, v7
	s_delay_alu instid0(VALU_DEP_1) | instskip(NEXT) | instid1(VALU_DEP_2)
	v_lshrrev_b32_e32 v1, s47, v5
	v_mad_u32 v8, v7, s53, v8
	v_mad_u32 v2, v7, s52, v2
	;; [unrolled: 1-line block ×4, first 2 shown]
	v_mul_lo_u32 v5, v1, s63
	s_delay_alu instid0(VALU_DEP_1) | instskip(NEXT) | instid1(VALU_DEP_1)
	v_sub_nc_u32_e32 v3, v3, v5
	v_mad_u32 v8, v3, s57, v8
	v_mad_u32 v2, v3, s56, v2
	;; [unrolled: 1-line block ×4, first 2 shown]
	s_cbranch_scc1 .LBB167_5
; %bb.6:
	s_bitcmp1_b32 s42, 0
	s_cselect_b32 s0, -1, 0
	s_delay_alu instid0(SALU_CYCLE_1)
	s_and_b32 vcc_lo, exec_lo, s0
	s_cbranch_vccnz .LBB167_10
; %bb.7:
	s_load_b96 s[56:58], s[30:31], 0x4
	s_load_b128 s[52:55], s[28:29], 0xe4
	s_wait_kmcnt 0x0
	v_mul_hi_u32 v3, s57, v1
	s_delay_alu instid0(VALU_DEP_1) | instskip(NEXT) | instid1(VALU_DEP_1)
	v_add_nc_u32_e32 v3, v1, v3
	v_lshrrev_b32_e32 v3, s58, v3
	s_delay_alu instid0(VALU_DEP_1) | instskip(NEXT) | instid1(VALU_DEP_1)
	v_mul_lo_u32 v3, v3, s56
	v_sub_nc_u32_e32 v1, v1, v3
	s_delay_alu instid0(VALU_DEP_1)
	v_mad_u32 v2, v1, s52, v2
	v_mad_u32 v8, v1, s53, v8
	;; [unrolled: 1-line block ×4, first 2 shown]
	s_cbranch_execz .LBB167_11
	s_branch .LBB167_13
.LBB167_8:
                                        ; implicit-def: $vgpr8
                                        ; implicit-def: $vgpr2
                                        ; implicit-def: $vgpr4
                                        ; implicit-def: $vgpr6
	s_branch .LBB167_11
.LBB167_9:
	v_dual_mov_b32 v8, 0 :: v_dual_mov_b32 v2, 0
	v_dual_mov_b32 v4, 0 :: v_dual_mov_b32 v6, 0
.LBB167_10:
	s_cbranch_execnz .LBB167_13
.LBB167_11:
	v_mov_b32_e32 v1, 0
	s_and_not1_b32 vcc_lo, exec_lo, s41
	s_delay_alu instid0(VALU_DEP_1) | instskip(NEXT) | instid1(VALU_DEP_1)
	v_mul_u64_e32 v[2:3], s[24:25], v[0:1]
	v_add_nc_u32_e32 v2, v0, v3
	s_delay_alu instid0(VALU_DEP_1) | instskip(NEXT) | instid1(VALU_DEP_1)
	v_lshrrev_b32_e32 v10, s22, v2
	v_mul_lo_u32 v2, v10, s20
	s_delay_alu instid0(VALU_DEP_1) | instskip(NEXT) | instid1(VALU_DEP_1)
	v_sub_nc_u32_e32 v3, v0, v2
	v_mul_lo_u32 v8, v3, s13
	v_mul_lo_u32 v2, v3, s12
	;; [unrolled: 1-line block ×4, first 2 shown]
	s_cbranch_vccnz .LBB167_13
; %bb.12:
	v_mov_b32_e32 v11, v1
	s_delay_alu instid0(VALU_DEP_1) | instskip(NEXT) | instid1(VALU_DEP_1)
	v_mul_u64_e32 v[12:13], s[26:27], v[10:11]
	v_add_nc_u32_e32 v1, v10, v13
	s_delay_alu instid0(VALU_DEP_1) | instskip(NEXT) | instid1(VALU_DEP_1)
	v_lshrrev_b32_e32 v1, s1, v1
	v_mul_lo_u32 v1, v1, s23
	s_delay_alu instid0(VALU_DEP_1) | instskip(NEXT) | instid1(VALU_DEP_1)
	v_sub_nc_u32_e32 v1, v10, v1
	v_mad_u32 v2, v1, s16, v2
	v_mad_u32 v8, v1, s17, v8
	;; [unrolled: 1-line block ×4, first 2 shown]
.LBB167_13:
	v_mov_b32_e32 v9, 0
	s_and_b32 s0, s40, 0xff
	s_delay_alu instid0(SALU_CYCLE_1) | instskip(NEXT) | instid1(VALU_DEP_1)
	s_cmp_lt_i32 s0, 11
	v_add_nc_u64_e32 v[8:9], s[6:7], v[8:9]
	s_cbranch_scc1 .LBB167_20
; %bb.14:
	s_and_b32 s29, 0xffff, s0
	s_delay_alu instid0(SALU_CYCLE_1)
	s_cmp_gt_i32 s29, 25
	s_cbranch_scc0 .LBB167_29
; %bb.15:
	s_cmp_gt_i32 s29, 28
	s_cbranch_scc0 .LBB167_39
; %bb.16:
	;; [unrolled: 3-line block ×4, first 2 shown]
	s_cmp_eq_u32 s29, 46
	s_mov_b32 s31, 0
	s_cbranch_scc0 .LBB167_48
; %bb.19:
	global_load_b32 v1, v[8:9], off
	s_mov_b32 s30, -1
	s_mov_b32 s28, 0
	s_branch .LBB167_50
.LBB167_20:
	s_mov_b32 s28, 0
	s_mov_b32 s30, 0
                                        ; implicit-def: $vgpr1
	s_cbranch_execnz .LBB167_116
.LBB167_21:
	s_and_not1_b32 vcc_lo, exec_lo, s30
	s_cbranch_vccnz .LBB167_163
.LBB167_22:
	v_mov_b32_e32 v7, 0
	s_and_b32 s0, s39, 0xff
	s_delay_alu instid0(SALU_CYCLE_1) | instskip(NEXT) | instid1(VALU_DEP_1)
	s_cmp_lt_i32 s0, 11
	v_add_nc_u64_e32 v[6:7], s[8:9], v[6:7]
	s_cbranch_scc1 .LBB167_30
; %bb.23:
	s_and_b32 s30, 0xffff, s0
	s_delay_alu instid0(SALU_CYCLE_1)
	s_cmp_gt_i32 s30, 25
	s_cbranch_scc0 .LBB167_40
; %bb.24:
	s_cmp_gt_i32 s30, 28
	s_cbranch_scc0 .LBB167_43
; %bb.25:
	;; [unrolled: 3-line block ×4, first 2 shown]
	s_cmp_eq_u32 s30, 46
	s_mov_b32 s43, 0
	s_cbranch_scc0 .LBB167_164
; %bb.28:
	global_load_b32 v8, v[6:7], off
	s_mov_b32 s31, -1
	s_mov_b32 s29, 0
	s_branch .LBB167_166
.LBB167_29:
	s_mov_b32 s28, 0
	s_mov_b32 s30, 0
                                        ; implicit-def: $vgpr1
	s_cbranch_execnz .LBB167_81
	s_branch .LBB167_115
.LBB167_30:
	s_mov_b32 s29, 0
	s_mov_b32 s31, 0
                                        ; implicit-def: $vgpr8
	s_cbranch_execnz .LBB167_232
.LBB167_31:
	s_and_not1_b32 vcc_lo, exec_lo, s31
	s_cbranch_vccnz .LBB167_280
.LBB167_32:
	v_mov_b32_e32 v5, 0
	s_and_b32 s0, 0xffff, s21
	s_delay_alu instid0(SALU_CYCLE_1) | instskip(NEXT) | instid1(VALU_DEP_1)
	s_cmp_lt_i32 s0, 11
	v_add_nc_u64_e32 v[4:5], s[10:11], v[4:5]
	s_cbranch_scc1 .LBB167_41
; %bb.33:
	s_cmp_gt_i32 s0, 25
	s_cbranch_scc0 .LBB167_44
; %bb.34:
	s_cmp_gt_i32 s0, 28
	s_cbranch_scc0 .LBB167_47
; %bb.35:
	s_cmp_gt_i32 s0, 43
	s_cbranch_scc0 .LBB167_54
; %bb.36:
	s_cmp_gt_i32 s0, 45
	s_cbranch_scc0 .LBB167_169
; %bb.37:
	s_cmp_eq_u32 s0, 46
	s_mov_b32 s43, 0
	s_cbranch_scc0 .LBB167_281
; %bb.38:
	global_load_b32 v3, v[4:5], off
	s_mov_b32 s31, -1
	s_mov_b32 s30, 0
	s_branch .LBB167_283
.LBB167_39:
	s_mov_b32 s31, -1
	s_mov_b32 s28, 0
	s_mov_b32 s30, 0
                                        ; implicit-def: $vgpr1
	s_branch .LBB167_62
.LBB167_40:
	s_mov_b32 s43, -1
	s_mov_b32 s29, 0
	s_mov_b32 s31, 0
                                        ; implicit-def: $vgpr8
	s_branch .LBB167_196
.LBB167_41:
	s_mov_b32 s43, -1
	s_mov_b32 s30, 0
	s_mov_b32 s31, 0
                                        ; implicit-def: $vgpr3
	s_branch .LBB167_348
.LBB167_42:
	s_mov_b32 s31, -1
	s_mov_b32 s28, 0
	s_mov_b32 s30, 0
                                        ; implicit-def: $vgpr1
	s_branch .LBB167_57
.LBB167_43:
	s_mov_b32 s43, -1
	s_mov_b32 s29, 0
	s_mov_b32 s31, 0
                                        ; implicit-def: $vgpr8
	s_branch .LBB167_177
.LBB167_44:
	s_mov_b32 s43, -1
	s_mov_b32 s30, 0
	s_mov_b32 s31, 0
                                        ; implicit-def: $vgpr3
	s_branch .LBB167_312
.LBB167_45:
	s_mov_b32 s31, -1
	s_mov_b32 s28, 0
	s_branch .LBB167_49
.LBB167_46:
	s_mov_b32 s43, -1
	s_mov_b32 s29, 0
	s_mov_b32 s31, 0
                                        ; implicit-def: $vgpr8
	s_branch .LBB167_172
.LBB167_47:
	s_mov_b32 s43, -1
	s_mov_b32 s30, 0
	s_mov_b32 s31, 0
                                        ; implicit-def: $vgpr3
	s_branch .LBB167_293
.LBB167_48:
	s_mov_b32 s28, -1
.LBB167_49:
	s_mov_b32 s30, 0
                                        ; implicit-def: $vgpr1
.LBB167_50:
	s_and_b32 vcc_lo, exec_lo, s31
	s_cbranch_vccz .LBB167_56
; %bb.51:
	s_cmp_eq_u32 s29, 44
	s_cbranch_scc0 .LBB167_55
; %bb.52:
	s_wait_loadcnt 0x0
	global_load_u8 v1, v[8:9], off
	s_mov_b32 s28, 0
	s_mov_b32 s30, -1
	s_wait_loadcnt 0x0
	v_lshlrev_b32_e32 v3, 23, v1
	v_cmp_ne_u32_e32 vcc_lo, 0xff, v1
	s_delay_alu instid0(VALU_DEP_2) | instskip(SKIP_1) | instid1(VALU_DEP_2)
	v_cndmask_b32_e32 v3, 0x7f800001, v3, vcc_lo
	v_cmp_ne_u32_e32 vcc_lo, 0, v1
	v_cndmask_b32_e32 v1, 0x400000, v3, vcc_lo
	s_delay_alu instid0(VALU_DEP_1) | instskip(SKIP_1) | instid1(VALU_DEP_2)
	v_add_nc_u32_e32 v3, 0x7fff, v1
	v_cmp_o_f32_e32 vcc_lo, v1, v1
	v_lshrrev_b32_e32 v3, 16, v3
	s_delay_alu instid0(VALU_DEP_1)
	v_cndmask_b32_e32 v1, 0x7fc0, v3, vcc_lo
	s_branch .LBB167_56
.LBB167_53:
	s_mov_b32 s43, -1
	s_mov_b32 s29, 0
	s_branch .LBB167_165
.LBB167_54:
	s_mov_b32 s43, -1
	s_mov_b32 s30, 0
	s_mov_b32 s31, 0
                                        ; implicit-def: $vgpr3
	s_branch .LBB167_288
.LBB167_55:
	s_mov_b32 s28, -1
                                        ; implicit-def: $vgpr1
.LBB167_56:
	s_mov_b32 s31, 0
.LBB167_57:
	s_delay_alu instid0(SALU_CYCLE_1)
	s_and_b32 vcc_lo, exec_lo, s31
	s_cbranch_vccz .LBB167_61
; %bb.58:
	s_cmp_eq_u32 s29, 29
	s_cbranch_scc0 .LBB167_60
; %bb.59:
	global_load_b64 v[10:11], v[8:9], off
	s_mov_b32 s30, -1
	s_mov_b32 s28, 0
	s_mov_b32 s31, 0
	s_wait_loadcnt 0x0
	v_clz_i32_u32_e32 v1, v11
	s_delay_alu instid0(VALU_DEP_1) | instskip(NEXT) | instid1(VALU_DEP_1)
	v_min_u32_e32 v1, 32, v1
	v_lshlrev_b64_e32 v[10:11], v1, v[10:11]
	v_sub_nc_u32_e32 v1, 32, v1
	s_delay_alu instid0(VALU_DEP_2) | instskip(NEXT) | instid1(VALU_DEP_1)
	v_min_u32_e32 v3, 1, v10
	v_or_b32_e32 v3, v11, v3
	s_delay_alu instid0(VALU_DEP_1) | instskip(NEXT) | instid1(VALU_DEP_1)
	v_cvt_f32_u32_e32 v3, v3
	v_ldexp_f32 v1, v3, v1
	s_delay_alu instid0(VALU_DEP_1) | instskip(NEXT) | instid1(VALU_DEP_1)
	v_bfe_u32 v3, v1, 16, 1
	v_add3_u32 v1, v1, v3, 0x7fff
	s_delay_alu instid0(VALU_DEP_1)
	v_lshrrev_b32_e32 v1, 16, v1
	s_branch .LBB167_62
.LBB167_60:
	s_mov_b32 s28, -1
                                        ; implicit-def: $vgpr1
.LBB167_61:
	s_mov_b32 s31, 0
.LBB167_62:
	s_delay_alu instid0(SALU_CYCLE_1)
	s_and_b32 vcc_lo, exec_lo, s31
	s_cbranch_vccz .LBB167_80
; %bb.63:
	s_cmp_lt_i32 s29, 27
	s_cbranch_scc1 .LBB167_66
; %bb.64:
	s_cmp_gt_i32 s29, 27
	s_cbranch_scc0 .LBB167_67
; %bb.65:
	s_wait_loadcnt 0x0
	global_load_b32 v1, v[8:9], off
	s_mov_b32 s30, 0
	s_wait_loadcnt 0x0
	v_cvt_f32_u32_e32 v1, v1
	s_delay_alu instid0(VALU_DEP_1) | instskip(NEXT) | instid1(VALU_DEP_1)
	v_bfe_u32 v3, v1, 16, 1
	v_add3_u32 v1, v1, v3, 0x7fff
	s_delay_alu instid0(VALU_DEP_1)
	v_lshrrev_b32_e32 v1, 16, v1
	s_branch .LBB167_68
.LBB167_66:
	s_mov_b32 s30, -1
                                        ; implicit-def: $vgpr1
	s_branch .LBB167_71
.LBB167_67:
	s_mov_b32 s30, -1
                                        ; implicit-def: $vgpr1
.LBB167_68:
	s_delay_alu instid0(SALU_CYCLE_1)
	s_and_not1_b32 vcc_lo, exec_lo, s30
	s_cbranch_vccnz .LBB167_70
; %bb.69:
	s_wait_loadcnt 0x0
	global_load_u16 v1, v[8:9], off
	s_wait_loadcnt 0x0
	v_cvt_f32_u32_e32 v1, v1
	s_delay_alu instid0(VALU_DEP_1) | instskip(NEXT) | instid1(VALU_DEP_1)
	v_bfe_u32 v3, v1, 16, 1
	v_add3_u32 v1, v1, v3, 0x7fff
	s_delay_alu instid0(VALU_DEP_1)
	v_lshrrev_b32_e32 v1, 16, v1
.LBB167_70:
	s_mov_b32 s30, 0
.LBB167_71:
	s_delay_alu instid0(SALU_CYCLE_1)
	s_and_not1_b32 vcc_lo, exec_lo, s30
	s_cbranch_vccnz .LBB167_79
; %bb.72:
	s_wait_loadcnt 0x0
	global_load_u8 v1, v[8:9], off
	s_mov_b32 s30, 0
	s_mov_b32 s31, exec_lo
	s_wait_loadcnt 0x0
	v_cmpx_lt_i16_e32 0x7f, v1
	s_xor_b32 s31, exec_lo, s31
	s_cbranch_execz .LBB167_92
; %bb.73:
	s_mov_b32 s30, -1
	s_mov_b32 s43, exec_lo
	v_cmpx_eq_u16_e32 0x80, v1
; %bb.74:
	s_xor_b32 s30, exec_lo, -1
; %bb.75:
	s_or_b32 exec_lo, exec_lo, s43
	s_delay_alu instid0(SALU_CYCLE_1)
	s_and_b32 s30, s30, exec_lo
	s_or_saveexec_b32 s31, s31
	v_mov_b32_e32 v3, 0x7f800001
	s_xor_b32 exec_lo, exec_lo, s31
	s_cbranch_execnz .LBB167_93
.LBB167_76:
	s_or_b32 exec_lo, exec_lo, s31
	s_and_saveexec_b32 s31, s30
	s_cbranch_execz .LBB167_78
.LBB167_77:
	v_and_b32_e32 v3, 0xffff, v1
	s_delay_alu instid0(VALU_DEP_1) | instskip(SKIP_1) | instid1(VALU_DEP_2)
	v_dual_lshlrev_b32 v1, 24, v1 :: v_dual_bitop2_b32 v5, 7, v3 bitop3:0x40
	v_bfe_u32 v11, v3, 3, 4
	v_and_b32_e32 v1, 0x80000000, v1
	s_delay_alu instid0(VALU_DEP_3) | instskip(NEXT) | instid1(VALU_DEP_3)
	v_clz_i32_u32_e32 v7, v5
	v_cmp_eq_u32_e32 vcc_lo, 0, v11
	s_delay_alu instid0(VALU_DEP_2) | instskip(NEXT) | instid1(VALU_DEP_1)
	v_min_u32_e32 v7, 32, v7
	v_subrev_nc_u32_e32 v10, 28, v7
	v_sub_nc_u32_e32 v7, 29, v7
	s_delay_alu instid0(VALU_DEP_2) | instskip(NEXT) | instid1(VALU_DEP_2)
	v_lshlrev_b32_e32 v3, v10, v3
	v_cndmask_b32_e32 v7, v11, v7, vcc_lo
	s_delay_alu instid0(VALU_DEP_2) | instskip(NEXT) | instid1(VALU_DEP_1)
	v_and_b32_e32 v3, 7, v3
	v_cndmask_b32_e32 v3, v5, v3, vcc_lo
	s_delay_alu instid0(VALU_DEP_3) | instskip(NEXT) | instid1(VALU_DEP_2)
	v_lshl_add_u32 v5, v7, 23, 0x3b800000
	v_lshlrev_b32_e32 v3, 20, v3
	s_delay_alu instid0(VALU_DEP_1)
	v_or3_b32 v3, v1, v5, v3
.LBB167_78:
	s_or_b32 exec_lo, exec_lo, s31
	s_delay_alu instid0(VALU_DEP_1) | instskip(SKIP_1) | instid1(VALU_DEP_2)
	v_bfe_u32 v1, v3, 16, 1
	v_cmp_o_f32_e32 vcc_lo, v3, v3
	v_add3_u32 v1, v3, v1, 0x7fff
	s_delay_alu instid0(VALU_DEP_1) | instskip(NEXT) | instid1(VALU_DEP_1)
	v_lshrrev_b32_e32 v1, 16, v1
	v_cndmask_b32_e32 v1, 0x7fc0, v1, vcc_lo
.LBB167_79:
	s_mov_b32 s30, -1
.LBB167_80:
	s_branch .LBB167_115
.LBB167_81:
	s_cmp_gt_i32 s29, 22
	s_cbranch_scc0 .LBB167_91
; %bb.82:
	s_cmp_lt_i32 s29, 24
	s_cbranch_scc1 .LBB167_94
; %bb.83:
	s_cmp_gt_i32 s29, 24
	s_cbranch_scc0 .LBB167_95
; %bb.84:
	s_wait_loadcnt 0x0
	global_load_u8 v1, v[8:9], off
	s_mov_b32 s30, 0
	s_mov_b32 s31, exec_lo
	s_wait_loadcnt 0x0
	v_cmpx_lt_i16_e32 0x7f, v1
	s_xor_b32 s31, exec_lo, s31
	s_cbranch_execz .LBB167_107
; %bb.85:
	s_mov_b32 s30, -1
	s_mov_b32 s43, exec_lo
	v_cmpx_eq_u16_e32 0x80, v1
; %bb.86:
	s_xor_b32 s30, exec_lo, -1
; %bb.87:
	s_or_b32 exec_lo, exec_lo, s43
	s_delay_alu instid0(SALU_CYCLE_1)
	s_and_b32 s30, s30, exec_lo
	s_or_saveexec_b32 s31, s31
	v_mov_b32_e32 v3, 0x7f800001
	s_xor_b32 exec_lo, exec_lo, s31
	s_cbranch_execnz .LBB167_108
.LBB167_88:
	s_or_b32 exec_lo, exec_lo, s31
	s_and_saveexec_b32 s31, s30
	s_cbranch_execz .LBB167_90
.LBB167_89:
	v_and_b32_e32 v3, 0xffff, v1
	s_delay_alu instid0(VALU_DEP_1) | instskip(SKIP_1) | instid1(VALU_DEP_2)
	v_dual_lshlrev_b32 v1, 24, v1 :: v_dual_bitop2_b32 v5, 3, v3 bitop3:0x40
	v_bfe_u32 v11, v3, 2, 5
	v_and_b32_e32 v1, 0x80000000, v1
	s_delay_alu instid0(VALU_DEP_3) | instskip(NEXT) | instid1(VALU_DEP_3)
	v_clz_i32_u32_e32 v7, v5
	v_cmp_eq_u32_e32 vcc_lo, 0, v11
	s_delay_alu instid0(VALU_DEP_2) | instskip(NEXT) | instid1(VALU_DEP_1)
	v_min_u32_e32 v7, 32, v7
	v_subrev_nc_u32_e32 v10, 29, v7
	v_sub_nc_u32_e32 v7, 30, v7
	s_delay_alu instid0(VALU_DEP_2) | instskip(NEXT) | instid1(VALU_DEP_2)
	v_lshlrev_b32_e32 v3, v10, v3
	v_cndmask_b32_e32 v7, v11, v7, vcc_lo
	s_delay_alu instid0(VALU_DEP_2) | instskip(NEXT) | instid1(VALU_DEP_1)
	v_and_b32_e32 v3, 3, v3
	v_cndmask_b32_e32 v3, v5, v3, vcc_lo
	s_delay_alu instid0(VALU_DEP_3) | instskip(NEXT) | instid1(VALU_DEP_2)
	v_lshl_add_u32 v5, v7, 23, 0x37800000
	v_lshlrev_b32_e32 v3, 21, v3
	s_delay_alu instid0(VALU_DEP_1)
	v_or3_b32 v3, v1, v5, v3
.LBB167_90:
	s_or_b32 exec_lo, exec_lo, s31
	s_delay_alu instid0(VALU_DEP_1) | instskip(SKIP_2) | instid1(VALU_DEP_2)
	v_bfe_u32 v1, v3, 16, 1
	v_cmp_o_f32_e32 vcc_lo, v3, v3
	s_mov_b32 s30, 0
	v_add3_u32 v1, v3, v1, 0x7fff
	s_delay_alu instid0(VALU_DEP_1) | instskip(NEXT) | instid1(VALU_DEP_1)
	v_lshrrev_b32_e32 v1, 16, v1
	v_cndmask_b32_e32 v1, 0x7fc0, v1, vcc_lo
	s_branch .LBB167_96
.LBB167_91:
	s_mov_b32 s31, -1
                                        ; implicit-def: $vgpr1
	s_branch .LBB167_102
.LBB167_92:
	s_or_saveexec_b32 s31, s31
	v_mov_b32_e32 v3, 0x7f800001
	s_xor_b32 exec_lo, exec_lo, s31
	s_cbranch_execz .LBB167_76
.LBB167_93:
	v_cmp_ne_u16_e32 vcc_lo, 0, v1
	v_mov_b32_e32 v3, 0
	s_and_not1_b32 s30, s30, exec_lo
	s_and_b32 s43, vcc_lo, exec_lo
	s_delay_alu instid0(SALU_CYCLE_1)
	s_or_b32 s30, s30, s43
	s_or_b32 exec_lo, exec_lo, s31
	s_and_saveexec_b32 s31, s30
	s_cbranch_execnz .LBB167_77
	s_branch .LBB167_78
.LBB167_94:
	s_mov_b32 s30, -1
                                        ; implicit-def: $vgpr1
	s_branch .LBB167_99
.LBB167_95:
	s_mov_b32 s30, -1
                                        ; implicit-def: $vgpr1
.LBB167_96:
	s_delay_alu instid0(SALU_CYCLE_1)
	s_and_b32 vcc_lo, exec_lo, s30
	s_cbranch_vccz .LBB167_98
; %bb.97:
	s_wait_loadcnt 0x0
	global_load_u8 v1, v[8:9], off
	s_wait_loadcnt 0x0
	v_lshlrev_b32_e32 v1, 24, v1
	s_delay_alu instid0(VALU_DEP_1) | instskip(NEXT) | instid1(VALU_DEP_1)
	v_and_b32_e32 v3, 0x7f000000, v1
	v_clz_i32_u32_e32 v5, v3
	v_cmp_ne_u32_e32 vcc_lo, 0, v3
	v_add_nc_u32_e32 v10, 0x1000000, v3
	s_delay_alu instid0(VALU_DEP_3) | instskip(NEXT) | instid1(VALU_DEP_1)
	v_min_u32_e32 v5, 32, v5
	v_sub_nc_u32_e64 v5, v5, 4 clamp
	s_delay_alu instid0(VALU_DEP_1) | instskip(NEXT) | instid1(VALU_DEP_1)
	v_dual_lshlrev_b32 v7, v5, v3 :: v_dual_lshlrev_b32 v5, 23, v5
	v_lshrrev_b32_e32 v7, 4, v7
	s_delay_alu instid0(VALU_DEP_1) | instskip(NEXT) | instid1(VALU_DEP_1)
	v_dual_sub_nc_u32 v5, v7, v5 :: v_dual_ashrrev_i32 v7, 8, v10
	v_add_nc_u32_e32 v5, 0x3c000000, v5
	s_delay_alu instid0(VALU_DEP_1) | instskip(NEXT) | instid1(VALU_DEP_1)
	v_and_or_b32 v5, 0x7f800000, v7, v5
	v_cndmask_b32_e32 v3, 0, v5, vcc_lo
	s_delay_alu instid0(VALU_DEP_1) | instskip(SKIP_1) | instid1(VALU_DEP_2)
	v_and_or_b32 v1, 0x80000000, v1, v3
	v_bfe_u32 v3, v3, 16, 1
	v_cmp_o_f32_e32 vcc_lo, v1, v1
	s_delay_alu instid0(VALU_DEP_2) | instskip(NEXT) | instid1(VALU_DEP_1)
	v_add3_u32 v3, v1, v3, 0x7fff
	v_lshrrev_b32_e32 v3, 16, v3
	s_delay_alu instid0(VALU_DEP_1)
	v_cndmask_b32_e32 v1, 0x7fc0, v3, vcc_lo
.LBB167_98:
	s_mov_b32 s30, 0
.LBB167_99:
	s_delay_alu instid0(SALU_CYCLE_1)
	s_and_not1_b32 vcc_lo, exec_lo, s30
	s_cbranch_vccnz .LBB167_101
; %bb.100:
	s_wait_loadcnt 0x0
	global_load_u8 v1, v[8:9], off
	s_wait_loadcnt 0x0
	v_lshlrev_b32_e32 v3, 25, v1
	v_lshlrev_b16 v1, 8, v1
	s_delay_alu instid0(VALU_DEP_1) | instskip(SKIP_1) | instid1(VALU_DEP_2)
	v_and_or_b32 v7, 0x7f00, v1, 0.5
	v_bfe_i32 v1, v1, 0, 16
	v_add_f32_e32 v7, -0.5, v7
	v_lshrrev_b32_e32 v5, 4, v3
	v_cmp_gt_u32_e32 vcc_lo, 0x8000000, v3
	s_delay_alu instid0(VALU_DEP_2) | instskip(NEXT) | instid1(VALU_DEP_1)
	v_or_b32_e32 v5, 0x70000000, v5
	v_mul_f32_e32 v5, 0x7800000, v5
	s_delay_alu instid0(VALU_DEP_1) | instskip(NEXT) | instid1(VALU_DEP_1)
	v_cndmask_b32_e32 v3, v5, v7, vcc_lo
	v_and_or_b32 v1, 0x80000000, v1, v3
	v_bfe_u32 v3, v3, 16, 1
	s_delay_alu instid0(VALU_DEP_2) | instskip(NEXT) | instid1(VALU_DEP_2)
	v_cmp_o_f32_e32 vcc_lo, v1, v1
	v_add3_u32 v3, v1, v3, 0x7fff
	s_delay_alu instid0(VALU_DEP_1) | instskip(NEXT) | instid1(VALU_DEP_1)
	v_lshrrev_b32_e32 v3, 16, v3
	v_cndmask_b32_e32 v1, 0x7fc0, v3, vcc_lo
.LBB167_101:
	s_mov_b32 s31, 0
	s_mov_b32 s30, -1
.LBB167_102:
	s_and_not1_b32 vcc_lo, exec_lo, s31
	s_cbranch_vccnz .LBB167_115
; %bb.103:
	s_cmp_gt_i32 s29, 14
	s_cbranch_scc0 .LBB167_106
; %bb.104:
	s_cmp_eq_u32 s29, 15
	s_cbranch_scc0 .LBB167_109
; %bb.105:
	s_wait_loadcnt 0x0
	global_load_u16 v1, v[8:9], off
	s_mov_b32 s30, -1
	s_mov_b32 s28, 0
	s_branch .LBB167_110
.LBB167_106:
	s_mov_b32 s31, -1
                                        ; implicit-def: $vgpr1
	s_branch .LBB167_111
.LBB167_107:
	s_or_saveexec_b32 s31, s31
	v_mov_b32_e32 v3, 0x7f800001
	s_xor_b32 exec_lo, exec_lo, s31
	s_cbranch_execz .LBB167_88
.LBB167_108:
	v_cmp_ne_u16_e32 vcc_lo, 0, v1
	v_mov_b32_e32 v3, 0
	s_and_not1_b32 s30, s30, exec_lo
	s_and_b32 s43, vcc_lo, exec_lo
	s_delay_alu instid0(SALU_CYCLE_1)
	s_or_b32 s30, s30, s43
	s_or_b32 exec_lo, exec_lo, s31
	s_and_saveexec_b32 s31, s30
	s_cbranch_execnz .LBB167_89
	s_branch .LBB167_90
.LBB167_109:
	s_mov_b32 s28, -1
                                        ; implicit-def: $vgpr1
.LBB167_110:
	s_mov_b32 s31, 0
.LBB167_111:
	s_delay_alu instid0(SALU_CYCLE_1)
	s_and_b32 vcc_lo, exec_lo, s31
	s_cbranch_vccz .LBB167_115
; %bb.112:
	s_cmp_eq_u32 s29, 11
	s_cbranch_scc0 .LBB167_114
; %bb.113:
	s_wait_loadcnt 0x0
	global_load_u8 v1, v[8:9], off
	s_mov_b32 s28, 0
	s_mov_b32 s30, -1
	s_wait_loadcnt 0x0
	v_cmp_ne_u16_e32 vcc_lo, 0, v1
	v_cndmask_b32_e64 v1, 0, 1.0, vcc_lo
	s_delay_alu instid0(VALU_DEP_1)
	v_lshrrev_b32_e32 v1, 16, v1
	s_branch .LBB167_115
.LBB167_114:
	s_mov_b32 s28, -1
                                        ; implicit-def: $vgpr1
.LBB167_115:
	s_branch .LBB167_21
.LBB167_116:
	s_and_b32 s0, 0xffff, s0
	s_delay_alu instid0(SALU_CYCLE_1)
	s_cmp_lt_i32 s0, 5
	s_cbranch_scc1 .LBB167_121
; %bb.117:
	s_cmp_lt_i32 s0, 8
	s_cbranch_scc1 .LBB167_122
; %bb.118:
	;; [unrolled: 3-line block ×3, first 2 shown]
	s_cmp_gt_i32 s0, 9
	s_cbranch_scc0 .LBB167_124
; %bb.120:
	global_load_b64 v[10:11], v[8:9], off
	s_mov_b32 s29, 0
	s_wait_loadcnt 0x0
	v_cvt_f32_f64_e32 v1, v[10:11]
	s_delay_alu instid0(VALU_DEP_1) | instskip(SKIP_1) | instid1(VALU_DEP_2)
	v_bfe_u32 v3, v1, 16, 1
	v_cmp_o_f32_e32 vcc_lo, v1, v1
	v_add3_u32 v3, v1, v3, 0x7fff
	s_delay_alu instid0(VALU_DEP_1) | instskip(NEXT) | instid1(VALU_DEP_1)
	v_lshrrev_b32_e32 v3, 16, v3
	v_cndmask_b32_e32 v1, 0x7fc0, v3, vcc_lo
	s_branch .LBB167_125
.LBB167_121:
                                        ; implicit-def: $vgpr1
	s_branch .LBB167_143
.LBB167_122:
	s_mov_b32 s29, -1
                                        ; implicit-def: $vgpr1
	s_branch .LBB167_131
.LBB167_123:
	s_mov_b32 s29, -1
                                        ; implicit-def: $vgpr1
	s_branch .LBB167_128
.LBB167_124:
	s_mov_b32 s29, -1
                                        ; implicit-def: $vgpr1
.LBB167_125:
	s_delay_alu instid0(SALU_CYCLE_1)
	s_and_not1_b32 vcc_lo, exec_lo, s29
	s_cbranch_vccnz .LBB167_127
; %bb.126:
	s_wait_loadcnt 0x0
	global_load_b32 v1, v[8:9], off
	s_wait_loadcnt 0x0
	v_bfe_u32 v3, v1, 16, 1
	v_cmp_o_f32_e32 vcc_lo, v1, v1
	s_delay_alu instid0(VALU_DEP_2) | instskip(NEXT) | instid1(VALU_DEP_1)
	v_add3_u32 v3, v1, v3, 0x7fff
	v_lshrrev_b32_e32 v3, 16, v3
	s_delay_alu instid0(VALU_DEP_1)
	v_cndmask_b32_e32 v1, 0x7fc0, v3, vcc_lo
.LBB167_127:
	s_mov_b32 s29, 0
.LBB167_128:
	s_delay_alu instid0(SALU_CYCLE_1)
	s_and_not1_b32 vcc_lo, exec_lo, s29
	s_cbranch_vccnz .LBB167_130
; %bb.129:
	s_wait_loadcnt 0x0
	global_load_b32 v1, v[8:9], off
	s_wait_loadcnt 0x0
	v_cvt_f32_f16_e32 v3, v1
	v_cmp_o_f16_e32 vcc_lo, v1, v1
	s_delay_alu instid0(VALU_DEP_2) | instskip(NEXT) | instid1(VALU_DEP_1)
	v_bfe_u32 v5, v3, 16, 1
	v_add3_u32 v3, v3, v5, 0x7fff
	s_delay_alu instid0(VALU_DEP_1) | instskip(NEXT) | instid1(VALU_DEP_1)
	v_lshrrev_b32_e32 v3, 16, v3
	v_cndmask_b32_e32 v1, 0x7fc0, v3, vcc_lo
.LBB167_130:
	s_mov_b32 s29, 0
.LBB167_131:
	s_delay_alu instid0(SALU_CYCLE_1)
	s_and_not1_b32 vcc_lo, exec_lo, s29
	s_cbranch_vccnz .LBB167_142
; %bb.132:
	s_cmp_lt_i32 s0, 6
	s_cbranch_scc1 .LBB167_135
; %bb.133:
	s_cmp_gt_i32 s0, 6
	s_cbranch_scc0 .LBB167_136
; %bb.134:
	global_load_b64 v[10:11], v[8:9], off
	s_mov_b32 s29, 0
	s_wait_loadcnt 0x0
	v_cvt_f32_f64_e32 v1, v[10:11]
	s_delay_alu instid0(VALU_DEP_1) | instskip(SKIP_1) | instid1(VALU_DEP_2)
	v_bfe_u32 v3, v1, 16, 1
	v_cmp_o_f32_e32 vcc_lo, v1, v1
	v_add3_u32 v3, v1, v3, 0x7fff
	s_delay_alu instid0(VALU_DEP_1) | instskip(NEXT) | instid1(VALU_DEP_1)
	v_lshrrev_b32_e32 v3, 16, v3
	v_cndmask_b32_e32 v1, 0x7fc0, v3, vcc_lo
	s_branch .LBB167_137
.LBB167_135:
	s_mov_b32 s29, -1
                                        ; implicit-def: $vgpr1
	s_branch .LBB167_140
.LBB167_136:
	s_mov_b32 s29, -1
                                        ; implicit-def: $vgpr1
.LBB167_137:
	s_delay_alu instid0(SALU_CYCLE_1)
	s_and_not1_b32 vcc_lo, exec_lo, s29
	s_cbranch_vccnz .LBB167_139
; %bb.138:
	s_wait_loadcnt 0x0
	global_load_b32 v1, v[8:9], off
	s_wait_loadcnt 0x0
	v_bfe_u32 v3, v1, 16, 1
	v_cmp_o_f32_e32 vcc_lo, v1, v1
	s_delay_alu instid0(VALU_DEP_2) | instskip(NEXT) | instid1(VALU_DEP_1)
	v_add3_u32 v3, v1, v3, 0x7fff
	v_lshrrev_b32_e32 v3, 16, v3
	s_delay_alu instid0(VALU_DEP_1)
	v_cndmask_b32_e32 v1, 0x7fc0, v3, vcc_lo
.LBB167_139:
	s_mov_b32 s29, 0
.LBB167_140:
	s_delay_alu instid0(SALU_CYCLE_1)
	s_and_not1_b32 vcc_lo, exec_lo, s29
	s_cbranch_vccnz .LBB167_142
; %bb.141:
	s_wait_loadcnt 0x0
	global_load_u16 v1, v[8:9], off
	s_wait_loadcnt 0x0
	v_cvt_f32_f16_e32 v3, v1
	v_cmp_o_f16_e32 vcc_lo, v1, v1
	s_delay_alu instid0(VALU_DEP_2) | instskip(NEXT) | instid1(VALU_DEP_1)
	v_bfe_u32 v5, v3, 16, 1
	v_add3_u32 v3, v3, v5, 0x7fff
	s_delay_alu instid0(VALU_DEP_1) | instskip(NEXT) | instid1(VALU_DEP_1)
	v_lshrrev_b32_e32 v3, 16, v3
	v_cndmask_b32_e32 v1, 0x7fc0, v3, vcc_lo
.LBB167_142:
	s_cbranch_execnz .LBB167_162
.LBB167_143:
	s_cmp_lt_i32 s0, 2
	s_cbranch_scc1 .LBB167_147
; %bb.144:
	s_cmp_lt_i32 s0, 3
	s_cbranch_scc1 .LBB167_148
; %bb.145:
	s_cmp_gt_i32 s0, 3
	s_cbranch_scc0 .LBB167_149
; %bb.146:
	global_load_b64 v[10:11], v[8:9], off
	s_mov_b32 s29, 0
	s_wait_loadcnt 0x0
	v_xor_b32_e32 v1, v10, v11
	v_cls_i32_e32 v3, v11
	s_delay_alu instid0(VALU_DEP_2) | instskip(NEXT) | instid1(VALU_DEP_1)
	v_ashrrev_i32_e32 v1, 31, v1
	v_add_nc_u32_e32 v1, 32, v1
	s_delay_alu instid0(VALU_DEP_1) | instskip(NEXT) | instid1(VALU_DEP_1)
	v_add_min_u32_e64 v1, v3, -1, v1
	v_lshlrev_b64_e32 v[10:11], v1, v[10:11]
	v_sub_nc_u32_e32 v1, 32, v1
	s_delay_alu instid0(VALU_DEP_2) | instskip(NEXT) | instid1(VALU_DEP_1)
	v_min_u32_e32 v3, 1, v10
	v_or_b32_e32 v3, v11, v3
	s_delay_alu instid0(VALU_DEP_1) | instskip(NEXT) | instid1(VALU_DEP_1)
	v_cvt_f32_i32_e32 v3, v3
	v_ldexp_f32 v1, v3, v1
	s_delay_alu instid0(VALU_DEP_1) | instskip(NEXT) | instid1(VALU_DEP_1)
	v_bfe_u32 v3, v1, 16, 1
	v_add3_u32 v1, v1, v3, 0x7fff
	s_delay_alu instid0(VALU_DEP_1)
	v_lshrrev_b32_e32 v1, 16, v1
	s_branch .LBB167_150
.LBB167_147:
	s_mov_b32 s29, -1
                                        ; implicit-def: $vgpr1
	s_branch .LBB167_156
.LBB167_148:
	s_mov_b32 s29, -1
                                        ; implicit-def: $vgpr1
	s_branch .LBB167_153
.LBB167_149:
	s_mov_b32 s29, -1
                                        ; implicit-def: $vgpr1
.LBB167_150:
	s_delay_alu instid0(SALU_CYCLE_1)
	s_and_not1_b32 vcc_lo, exec_lo, s29
	s_cbranch_vccnz .LBB167_152
; %bb.151:
	s_wait_loadcnt 0x0
	global_load_b32 v1, v[8:9], off
	s_wait_loadcnt 0x0
	v_cvt_f32_i32_e32 v1, v1
	s_delay_alu instid0(VALU_DEP_1) | instskip(NEXT) | instid1(VALU_DEP_1)
	v_bfe_u32 v3, v1, 16, 1
	v_add3_u32 v1, v1, v3, 0x7fff
	s_delay_alu instid0(VALU_DEP_1)
	v_lshrrev_b32_e32 v1, 16, v1
.LBB167_152:
	s_mov_b32 s29, 0
.LBB167_153:
	s_delay_alu instid0(SALU_CYCLE_1)
	s_and_not1_b32 vcc_lo, exec_lo, s29
	s_cbranch_vccnz .LBB167_155
; %bb.154:
	s_wait_loadcnt 0x0
	global_load_i16 v1, v[8:9], off
	s_wait_loadcnt 0x0
	v_cvt_f32_i32_e32 v1, v1
	s_delay_alu instid0(VALU_DEP_1) | instskip(NEXT) | instid1(VALU_DEP_1)
	v_bfe_u32 v3, v1, 16, 1
	v_add3_u32 v1, v1, v3, 0x7fff
	s_delay_alu instid0(VALU_DEP_1)
	v_lshrrev_b32_e32 v1, 16, v1
.LBB167_155:
	s_mov_b32 s29, 0
.LBB167_156:
	s_delay_alu instid0(SALU_CYCLE_1)
	s_and_not1_b32 vcc_lo, exec_lo, s29
	s_cbranch_vccnz .LBB167_162
; %bb.157:
	s_cmp_gt_i32 s0, 0
	s_mov_b32 s0, 0
	s_cbranch_scc0 .LBB167_159
; %bb.158:
	s_wait_loadcnt 0x0
	global_load_i8 v1, v[8:9], off
	s_wait_loadcnt 0x0
	v_cvt_f32_i32_e32 v1, v1
	s_delay_alu instid0(VALU_DEP_1) | instskip(NEXT) | instid1(VALU_DEP_1)
	v_bfe_u32 v3, v1, 16, 1
	v_add3_u32 v1, v1, v3, 0x7fff
	s_delay_alu instid0(VALU_DEP_1)
	v_lshrrev_b32_e32 v1, 16, v1
	s_branch .LBB167_160
.LBB167_159:
	s_mov_b32 s0, -1
                                        ; implicit-def: $vgpr1
.LBB167_160:
	s_delay_alu instid0(SALU_CYCLE_1)
	s_and_not1_b32 vcc_lo, exec_lo, s0
	s_cbranch_vccnz .LBB167_162
; %bb.161:
	s_wait_loadcnt 0x0
	global_load_u8 v1, v[8:9], off
	s_wait_loadcnt 0x0
	v_cvt_f32_ubyte0_e32 v1, v1
	s_delay_alu instid0(VALU_DEP_1) | instskip(NEXT) | instid1(VALU_DEP_1)
	v_bfe_u32 v3, v1, 16, 1
	v_add3_u32 v1, v1, v3, 0x7fff
	s_delay_alu instid0(VALU_DEP_1)
	v_lshrrev_b32_e32 v1, 16, v1
.LBB167_162:
	s_branch .LBB167_22
.LBB167_163:
	s_mov_b32 s0, 0
	s_mov_b32 s30, 0
	;; [unrolled: 1-line block ×3, first 2 shown]
	s_branch .LBB167_521
.LBB167_164:
	s_mov_b32 s29, -1
.LBB167_165:
	s_mov_b32 s31, 0
                                        ; implicit-def: $vgpr8
.LBB167_166:
	s_and_b32 vcc_lo, exec_lo, s43
	s_cbranch_vccz .LBB167_171
; %bb.167:
	s_cmp_eq_u32 s30, 44
	s_cbranch_scc0 .LBB167_170
; %bb.168:
	global_load_u8 v3, v[6:7], off
	s_mov_b32 s29, 0
	s_mov_b32 s31, -1
	s_wait_loadcnt 0x0
	v_lshlrev_b32_e32 v5, 23, v3
	v_cmp_ne_u32_e32 vcc_lo, 0xff, v3
	s_delay_alu instid0(VALU_DEP_2) | instskip(SKIP_1) | instid1(VALU_DEP_2)
	v_cndmask_b32_e32 v5, 0x7f800001, v5, vcc_lo
	v_cmp_ne_u32_e32 vcc_lo, 0, v3
	v_cndmask_b32_e32 v3, 0x400000, v5, vcc_lo
	s_delay_alu instid0(VALU_DEP_1) | instskip(SKIP_1) | instid1(VALU_DEP_2)
	v_add_nc_u32_e32 v5, 0x7fff, v3
	v_cmp_o_f32_e32 vcc_lo, v3, v3
	v_lshrrev_b32_e32 v5, 16, v5
	s_delay_alu instid0(VALU_DEP_1)
	v_cndmask_b32_e32 v8, 0x7fc0, v5, vcc_lo
	s_branch .LBB167_171
.LBB167_169:
	s_mov_b32 s43, -1
	s_mov_b32 s30, 0
	s_branch .LBB167_282
.LBB167_170:
	s_mov_b32 s29, -1
                                        ; implicit-def: $vgpr8
.LBB167_171:
	s_mov_b32 s43, 0
.LBB167_172:
	s_delay_alu instid0(SALU_CYCLE_1)
	s_and_b32 vcc_lo, exec_lo, s43
	s_cbranch_vccz .LBB167_176
; %bb.173:
	s_cmp_eq_u32 s30, 29
	s_cbranch_scc0 .LBB167_175
; %bb.174:
	s_wait_loadcnt 0x0
	global_load_b64 v[8:9], v[6:7], off
	s_mov_b32 s31, -1
	s_mov_b32 s29, 0
	s_mov_b32 s43, 0
	s_wait_loadcnt 0x0
	v_clz_i32_u32_e32 v3, v9
	s_delay_alu instid0(VALU_DEP_1) | instskip(NEXT) | instid1(VALU_DEP_1)
	v_min_u32_e32 v3, 32, v3
	v_lshlrev_b64_e32 v[8:9], v3, v[8:9]
	v_sub_nc_u32_e32 v3, 32, v3
	s_delay_alu instid0(VALU_DEP_2) | instskip(NEXT) | instid1(VALU_DEP_1)
	v_min_u32_e32 v5, 1, v8
	v_or_b32_e32 v5, v9, v5
	s_delay_alu instid0(VALU_DEP_1) | instskip(NEXT) | instid1(VALU_DEP_1)
	v_cvt_f32_u32_e32 v5, v5
	v_ldexp_f32 v3, v5, v3
	s_delay_alu instid0(VALU_DEP_1) | instskip(NEXT) | instid1(VALU_DEP_1)
	v_bfe_u32 v5, v3, 16, 1
	v_add3_u32 v3, v3, v5, 0x7fff
	s_delay_alu instid0(VALU_DEP_1)
	v_lshrrev_b32_e32 v8, 16, v3
	s_branch .LBB167_177
.LBB167_175:
	s_mov_b32 s29, -1
                                        ; implicit-def: $vgpr8
.LBB167_176:
	s_mov_b32 s43, 0
.LBB167_177:
	s_delay_alu instid0(SALU_CYCLE_1)
	s_and_b32 vcc_lo, exec_lo, s43
	s_cbranch_vccz .LBB167_195
; %bb.178:
	s_cmp_lt_i32 s30, 27
	s_cbranch_scc1 .LBB167_181
; %bb.179:
	s_cmp_gt_i32 s30, 27
	s_cbranch_scc0 .LBB167_182
; %bb.180:
	global_load_b32 v3, v[6:7], off
	s_mov_b32 s31, 0
	s_wait_loadcnt 0x0
	v_cvt_f32_u32_e32 v3, v3
	s_delay_alu instid0(VALU_DEP_1) | instskip(NEXT) | instid1(VALU_DEP_1)
	v_bfe_u32 v5, v3, 16, 1
	v_add3_u32 v3, v3, v5, 0x7fff
	s_delay_alu instid0(VALU_DEP_1)
	v_lshrrev_b32_e32 v8, 16, v3
	s_branch .LBB167_183
.LBB167_181:
	s_mov_b32 s31, -1
                                        ; implicit-def: $vgpr8
	s_branch .LBB167_186
.LBB167_182:
	s_mov_b32 s31, -1
                                        ; implicit-def: $vgpr8
.LBB167_183:
	s_delay_alu instid0(SALU_CYCLE_1)
	s_and_not1_b32 vcc_lo, exec_lo, s31
	s_cbranch_vccnz .LBB167_185
; %bb.184:
	global_load_u16 v3, v[6:7], off
	s_wait_loadcnt 0x0
	v_cvt_f32_u32_e32 v3, v3
	s_delay_alu instid0(VALU_DEP_1) | instskip(NEXT) | instid1(VALU_DEP_1)
	v_bfe_u32 v5, v3, 16, 1
	v_add3_u32 v3, v3, v5, 0x7fff
	s_delay_alu instid0(VALU_DEP_1)
	v_lshrrev_b32_e32 v8, 16, v3
.LBB167_185:
	s_mov_b32 s31, 0
.LBB167_186:
	s_delay_alu instid0(SALU_CYCLE_1)
	s_and_not1_b32 vcc_lo, exec_lo, s31
	s_cbranch_vccnz .LBB167_194
; %bb.187:
	global_load_u8 v3, v[6:7], off
	s_mov_b32 s31, 0
	s_mov_b32 s43, exec_lo
	s_wait_loadcnt 0x0
	v_cmpx_lt_i16_e32 0x7f, v3
	s_xor_b32 s43, exec_lo, s43
	s_cbranch_execz .LBB167_208
; %bb.188:
	s_mov_b32 s31, -1
	s_mov_b32 s46, exec_lo
	v_cmpx_eq_u16_e32 0x80, v3
; %bb.189:
	s_xor_b32 s31, exec_lo, -1
; %bb.190:
	s_or_b32 exec_lo, exec_lo, s46
	s_delay_alu instid0(SALU_CYCLE_1)
	s_and_b32 s31, s31, exec_lo
	s_or_saveexec_b32 s43, s43
	v_mov_b32_e32 v5, 0x7f800001
	s_xor_b32 exec_lo, exec_lo, s43
	s_cbranch_execnz .LBB167_209
.LBB167_191:
	s_or_b32 exec_lo, exec_lo, s43
	s_and_saveexec_b32 s43, s31
	s_cbranch_execz .LBB167_193
.LBB167_192:
	v_and_b32_e32 v5, 0xffff, v3
	s_delay_alu instid0(VALU_DEP_1) | instskip(SKIP_1) | instid1(VALU_DEP_2)
	v_dual_lshlrev_b32 v3, 24, v3 :: v_dual_bitop2_b32 v8, 7, v5 bitop3:0x40
	v_bfe_u32 v11, v5, 3, 4
	v_and_b32_e32 v3, 0x80000000, v3
	s_delay_alu instid0(VALU_DEP_3) | instskip(NEXT) | instid1(VALU_DEP_3)
	v_clz_i32_u32_e32 v9, v8
	v_cmp_eq_u32_e32 vcc_lo, 0, v11
	s_delay_alu instid0(VALU_DEP_2) | instskip(NEXT) | instid1(VALU_DEP_1)
	v_min_u32_e32 v9, 32, v9
	v_subrev_nc_u32_e32 v10, 28, v9
	v_sub_nc_u32_e32 v9, 29, v9
	s_delay_alu instid0(VALU_DEP_2) | instskip(NEXT) | instid1(VALU_DEP_2)
	v_lshlrev_b32_e32 v5, v10, v5
	v_cndmask_b32_e32 v9, v11, v9, vcc_lo
	s_delay_alu instid0(VALU_DEP_2) | instskip(NEXT) | instid1(VALU_DEP_1)
	v_and_b32_e32 v5, 7, v5
	v_cndmask_b32_e32 v5, v8, v5, vcc_lo
	s_delay_alu instid0(VALU_DEP_3) | instskip(NEXT) | instid1(VALU_DEP_2)
	v_lshl_add_u32 v8, v9, 23, 0x3b800000
	v_lshlrev_b32_e32 v5, 20, v5
	s_delay_alu instid0(VALU_DEP_1)
	v_or3_b32 v5, v3, v8, v5
.LBB167_193:
	s_or_b32 exec_lo, exec_lo, s43
	s_delay_alu instid0(VALU_DEP_1) | instskip(SKIP_1) | instid1(VALU_DEP_2)
	v_bfe_u32 v3, v5, 16, 1
	v_cmp_o_f32_e32 vcc_lo, v5, v5
	v_add3_u32 v3, v5, v3, 0x7fff
	s_delay_alu instid0(VALU_DEP_1) | instskip(NEXT) | instid1(VALU_DEP_1)
	v_lshrrev_b32_e32 v3, 16, v3
	v_cndmask_b32_e32 v8, 0x7fc0, v3, vcc_lo
.LBB167_194:
	s_mov_b32 s31, -1
.LBB167_195:
	s_mov_b32 s43, 0
.LBB167_196:
	s_delay_alu instid0(SALU_CYCLE_1)
	s_and_b32 vcc_lo, exec_lo, s43
	s_cbranch_vccz .LBB167_231
; %bb.197:
	s_cmp_gt_i32 s30, 22
	s_cbranch_scc0 .LBB167_207
; %bb.198:
	s_cmp_lt_i32 s30, 24
	s_cbranch_scc1 .LBB167_210
; %bb.199:
	s_cmp_gt_i32 s30, 24
	s_cbranch_scc0 .LBB167_211
; %bb.200:
	global_load_u8 v3, v[6:7], off
	s_mov_b32 s31, 0
	s_mov_b32 s43, exec_lo
	s_wait_loadcnt 0x0
	v_cmpx_lt_i16_e32 0x7f, v3
	s_xor_b32 s43, exec_lo, s43
	s_cbranch_execz .LBB167_223
; %bb.201:
	s_mov_b32 s31, -1
	s_mov_b32 s46, exec_lo
	v_cmpx_eq_u16_e32 0x80, v3
; %bb.202:
	s_xor_b32 s31, exec_lo, -1
; %bb.203:
	s_or_b32 exec_lo, exec_lo, s46
	s_delay_alu instid0(SALU_CYCLE_1)
	s_and_b32 s31, s31, exec_lo
	s_or_saveexec_b32 s43, s43
	v_mov_b32_e32 v5, 0x7f800001
	s_xor_b32 exec_lo, exec_lo, s43
	s_cbranch_execnz .LBB167_224
.LBB167_204:
	s_or_b32 exec_lo, exec_lo, s43
	s_and_saveexec_b32 s43, s31
	s_cbranch_execz .LBB167_206
.LBB167_205:
	v_and_b32_e32 v5, 0xffff, v3
	s_delay_alu instid0(VALU_DEP_1) | instskip(SKIP_1) | instid1(VALU_DEP_2)
	v_dual_lshlrev_b32 v3, 24, v3 :: v_dual_bitop2_b32 v8, 3, v5 bitop3:0x40
	v_bfe_u32 v11, v5, 2, 5
	v_and_b32_e32 v3, 0x80000000, v3
	s_delay_alu instid0(VALU_DEP_3) | instskip(NEXT) | instid1(VALU_DEP_3)
	v_clz_i32_u32_e32 v9, v8
	v_cmp_eq_u32_e32 vcc_lo, 0, v11
	s_delay_alu instid0(VALU_DEP_2) | instskip(NEXT) | instid1(VALU_DEP_1)
	v_min_u32_e32 v9, 32, v9
	v_subrev_nc_u32_e32 v10, 29, v9
	v_sub_nc_u32_e32 v9, 30, v9
	s_delay_alu instid0(VALU_DEP_2) | instskip(NEXT) | instid1(VALU_DEP_2)
	v_lshlrev_b32_e32 v5, v10, v5
	v_cndmask_b32_e32 v9, v11, v9, vcc_lo
	s_delay_alu instid0(VALU_DEP_2) | instskip(NEXT) | instid1(VALU_DEP_1)
	v_and_b32_e32 v5, 3, v5
	v_cndmask_b32_e32 v5, v8, v5, vcc_lo
	s_delay_alu instid0(VALU_DEP_3) | instskip(NEXT) | instid1(VALU_DEP_2)
	v_lshl_add_u32 v8, v9, 23, 0x37800000
	v_lshlrev_b32_e32 v5, 21, v5
	s_delay_alu instid0(VALU_DEP_1)
	v_or3_b32 v5, v3, v8, v5
.LBB167_206:
	s_or_b32 exec_lo, exec_lo, s43
	s_delay_alu instid0(VALU_DEP_1) | instskip(SKIP_2) | instid1(VALU_DEP_2)
	v_bfe_u32 v3, v5, 16, 1
	v_cmp_o_f32_e32 vcc_lo, v5, v5
	s_mov_b32 s31, 0
	v_add3_u32 v3, v5, v3, 0x7fff
	s_delay_alu instid0(VALU_DEP_1) | instskip(NEXT) | instid1(VALU_DEP_1)
	v_lshrrev_b32_e32 v3, 16, v3
	v_cndmask_b32_e32 v8, 0x7fc0, v3, vcc_lo
	s_branch .LBB167_212
.LBB167_207:
	s_mov_b32 s43, -1
                                        ; implicit-def: $vgpr8
	s_branch .LBB167_218
.LBB167_208:
	s_or_saveexec_b32 s43, s43
	v_mov_b32_e32 v5, 0x7f800001
	s_xor_b32 exec_lo, exec_lo, s43
	s_cbranch_execz .LBB167_191
.LBB167_209:
	v_cmp_ne_u16_e32 vcc_lo, 0, v3
	v_mov_b32_e32 v5, 0
	s_and_not1_b32 s31, s31, exec_lo
	s_and_b32 s46, vcc_lo, exec_lo
	s_delay_alu instid0(SALU_CYCLE_1)
	s_or_b32 s31, s31, s46
	s_or_b32 exec_lo, exec_lo, s43
	s_and_saveexec_b32 s43, s31
	s_cbranch_execnz .LBB167_192
	s_branch .LBB167_193
.LBB167_210:
	s_mov_b32 s31, -1
                                        ; implicit-def: $vgpr8
	s_branch .LBB167_215
.LBB167_211:
	s_mov_b32 s31, -1
                                        ; implicit-def: $vgpr8
.LBB167_212:
	s_delay_alu instid0(SALU_CYCLE_1)
	s_and_b32 vcc_lo, exec_lo, s31
	s_cbranch_vccz .LBB167_214
; %bb.213:
	global_load_u8 v3, v[6:7], off
	s_wait_loadcnt 0x0
	v_lshlrev_b32_e32 v3, 24, v3
	s_delay_alu instid0(VALU_DEP_1) | instskip(NEXT) | instid1(VALU_DEP_1)
	v_and_b32_e32 v5, 0x7f000000, v3
	v_clz_i32_u32_e32 v8, v5
	v_cmp_ne_u32_e32 vcc_lo, 0, v5
	v_add_nc_u32_e32 v10, 0x1000000, v5
	s_delay_alu instid0(VALU_DEP_3) | instskip(NEXT) | instid1(VALU_DEP_1)
	v_min_u32_e32 v8, 32, v8
	v_sub_nc_u32_e64 v8, v8, 4 clamp
	s_delay_alu instid0(VALU_DEP_1) | instskip(NEXT) | instid1(VALU_DEP_1)
	v_dual_lshlrev_b32 v9, v8, v5 :: v_dual_lshlrev_b32 v8, 23, v8
	v_lshrrev_b32_e32 v9, 4, v9
	s_delay_alu instid0(VALU_DEP_1) | instskip(NEXT) | instid1(VALU_DEP_1)
	v_dual_sub_nc_u32 v8, v9, v8 :: v_dual_ashrrev_i32 v9, 8, v10
	v_add_nc_u32_e32 v8, 0x3c000000, v8
	s_delay_alu instid0(VALU_DEP_1) | instskip(NEXT) | instid1(VALU_DEP_1)
	v_and_or_b32 v8, 0x7f800000, v9, v8
	v_cndmask_b32_e32 v5, 0, v8, vcc_lo
	s_delay_alu instid0(VALU_DEP_1) | instskip(SKIP_1) | instid1(VALU_DEP_2)
	v_and_or_b32 v3, 0x80000000, v3, v5
	v_bfe_u32 v5, v5, 16, 1
	v_cmp_o_f32_e32 vcc_lo, v3, v3
	s_delay_alu instid0(VALU_DEP_2) | instskip(NEXT) | instid1(VALU_DEP_1)
	v_add3_u32 v5, v3, v5, 0x7fff
	v_lshrrev_b32_e32 v5, 16, v5
	s_delay_alu instid0(VALU_DEP_1)
	v_cndmask_b32_e32 v8, 0x7fc0, v5, vcc_lo
.LBB167_214:
	s_mov_b32 s31, 0
.LBB167_215:
	s_delay_alu instid0(SALU_CYCLE_1)
	s_and_not1_b32 vcc_lo, exec_lo, s31
	s_cbranch_vccnz .LBB167_217
; %bb.216:
	global_load_u8 v3, v[6:7], off
	s_wait_loadcnt 0x0
	v_lshlrev_b32_e32 v5, 25, v3
	v_lshlrev_b16 v3, 8, v3
	s_delay_alu instid0(VALU_DEP_1) | instskip(SKIP_1) | instid1(VALU_DEP_2)
	v_and_or_b32 v9, 0x7f00, v3, 0.5
	v_bfe_i32 v3, v3, 0, 16
	v_add_f32_e32 v9, -0.5, v9
	v_lshrrev_b32_e32 v8, 4, v5
	v_cmp_gt_u32_e32 vcc_lo, 0x8000000, v5
	s_delay_alu instid0(VALU_DEP_2) | instskip(NEXT) | instid1(VALU_DEP_1)
	v_or_b32_e32 v8, 0x70000000, v8
	v_mul_f32_e32 v8, 0x7800000, v8
	s_delay_alu instid0(VALU_DEP_1) | instskip(NEXT) | instid1(VALU_DEP_1)
	v_cndmask_b32_e32 v5, v8, v9, vcc_lo
	v_and_or_b32 v3, 0x80000000, v3, v5
	v_bfe_u32 v5, v5, 16, 1
	s_delay_alu instid0(VALU_DEP_2) | instskip(NEXT) | instid1(VALU_DEP_2)
	v_cmp_o_f32_e32 vcc_lo, v3, v3
	v_add3_u32 v5, v3, v5, 0x7fff
	s_delay_alu instid0(VALU_DEP_1) | instskip(NEXT) | instid1(VALU_DEP_1)
	v_lshrrev_b32_e32 v5, 16, v5
	v_cndmask_b32_e32 v8, 0x7fc0, v5, vcc_lo
.LBB167_217:
	s_mov_b32 s43, 0
	s_mov_b32 s31, -1
.LBB167_218:
	s_and_not1_b32 vcc_lo, exec_lo, s43
	s_cbranch_vccnz .LBB167_231
; %bb.219:
	s_cmp_gt_i32 s30, 14
	s_cbranch_scc0 .LBB167_222
; %bb.220:
	s_cmp_eq_u32 s30, 15
	s_cbranch_scc0 .LBB167_225
; %bb.221:
	s_wait_loadcnt 0x0
	global_load_u16 v8, v[6:7], off
	s_mov_b32 s31, -1
	s_mov_b32 s29, 0
	s_branch .LBB167_226
.LBB167_222:
	s_mov_b32 s43, -1
                                        ; implicit-def: $vgpr8
	s_branch .LBB167_227
.LBB167_223:
	s_or_saveexec_b32 s43, s43
	v_mov_b32_e32 v5, 0x7f800001
	s_xor_b32 exec_lo, exec_lo, s43
	s_cbranch_execz .LBB167_204
.LBB167_224:
	v_cmp_ne_u16_e32 vcc_lo, 0, v3
	v_mov_b32_e32 v5, 0
	s_and_not1_b32 s31, s31, exec_lo
	s_and_b32 s46, vcc_lo, exec_lo
	s_delay_alu instid0(SALU_CYCLE_1)
	s_or_b32 s31, s31, s46
	s_or_b32 exec_lo, exec_lo, s43
	s_and_saveexec_b32 s43, s31
	s_cbranch_execnz .LBB167_205
	s_branch .LBB167_206
.LBB167_225:
	s_mov_b32 s29, -1
                                        ; implicit-def: $vgpr8
.LBB167_226:
	s_mov_b32 s43, 0
.LBB167_227:
	s_delay_alu instid0(SALU_CYCLE_1)
	s_and_b32 vcc_lo, exec_lo, s43
	s_cbranch_vccz .LBB167_231
; %bb.228:
	s_cmp_eq_u32 s30, 11
	s_cbranch_scc0 .LBB167_230
; %bb.229:
	global_load_u8 v3, v[6:7], off
	s_mov_b32 s29, 0
	s_mov_b32 s31, -1
	s_wait_loadcnt 0x0
	v_cmp_ne_u16_e32 vcc_lo, 0, v3
	v_cndmask_b32_e64 v3, 0, 1.0, vcc_lo
	s_delay_alu instid0(VALU_DEP_1)
	v_lshrrev_b32_e32 v8, 16, v3
	s_branch .LBB167_231
.LBB167_230:
	s_mov_b32 s29, -1
                                        ; implicit-def: $vgpr8
.LBB167_231:
	s_branch .LBB167_31
.LBB167_232:
	s_and_b32 s0, 0xffff, s0
	s_delay_alu instid0(SALU_CYCLE_1)
	s_cmp_lt_i32 s0, 5
	s_cbranch_scc1 .LBB167_237
; %bb.233:
	s_cmp_lt_i32 s0, 8
	s_cbranch_scc1 .LBB167_238
; %bb.234:
	;; [unrolled: 3-line block ×3, first 2 shown]
	s_cmp_gt_i32 s0, 9
	s_cbranch_scc0 .LBB167_240
; %bb.236:
	s_wait_loadcnt 0x0
	global_load_b64 v[8:9], v[6:7], off
	s_mov_b32 s30, 0
	s_wait_loadcnt 0x0
	v_cvt_f32_f64_e32 v3, v[8:9]
	s_delay_alu instid0(VALU_DEP_1) | instskip(SKIP_1) | instid1(VALU_DEP_2)
	v_bfe_u32 v5, v3, 16, 1
	v_cmp_o_f32_e32 vcc_lo, v3, v3
	v_add3_u32 v5, v3, v5, 0x7fff
	s_delay_alu instid0(VALU_DEP_1) | instskip(NEXT) | instid1(VALU_DEP_1)
	v_lshrrev_b32_e32 v5, 16, v5
	v_cndmask_b32_e32 v8, 0x7fc0, v5, vcc_lo
	s_branch .LBB167_241
.LBB167_237:
	s_mov_b32 s30, -1
                                        ; implicit-def: $vgpr8
	s_branch .LBB167_259
.LBB167_238:
	s_mov_b32 s30, -1
                                        ; implicit-def: $vgpr8
	s_branch .LBB167_247
.LBB167_239:
	s_mov_b32 s30, -1
                                        ; implicit-def: $vgpr8
	s_branch .LBB167_244
.LBB167_240:
	s_mov_b32 s30, -1
                                        ; implicit-def: $vgpr8
.LBB167_241:
	s_delay_alu instid0(SALU_CYCLE_1)
	s_and_not1_b32 vcc_lo, exec_lo, s30
	s_cbranch_vccnz .LBB167_243
; %bb.242:
	global_load_b32 v3, v[6:7], off
	s_wait_loadcnt 0x0
	v_bfe_u32 v5, v3, 16, 1
	v_cmp_o_f32_e32 vcc_lo, v3, v3
	s_delay_alu instid0(VALU_DEP_2) | instskip(NEXT) | instid1(VALU_DEP_1)
	v_add3_u32 v5, v3, v5, 0x7fff
	v_lshrrev_b32_e32 v5, 16, v5
	s_delay_alu instid0(VALU_DEP_1)
	v_cndmask_b32_e32 v8, 0x7fc0, v5, vcc_lo
.LBB167_243:
	s_mov_b32 s30, 0
.LBB167_244:
	s_delay_alu instid0(SALU_CYCLE_1)
	s_and_not1_b32 vcc_lo, exec_lo, s30
	s_cbranch_vccnz .LBB167_246
; %bb.245:
	global_load_b32 v3, v[6:7], off
	s_wait_loadcnt 0x0
	v_cvt_f32_f16_e32 v5, v3
	v_cmp_o_f16_e32 vcc_lo, v3, v3
	s_delay_alu instid0(VALU_DEP_2) | instskip(NEXT) | instid1(VALU_DEP_1)
	v_bfe_u32 v8, v5, 16, 1
	v_add3_u32 v5, v5, v8, 0x7fff
	s_delay_alu instid0(VALU_DEP_1) | instskip(NEXT) | instid1(VALU_DEP_1)
	v_lshrrev_b32_e32 v5, 16, v5
	v_cndmask_b32_e32 v8, 0x7fc0, v5, vcc_lo
.LBB167_246:
	s_mov_b32 s30, 0
.LBB167_247:
	s_delay_alu instid0(SALU_CYCLE_1)
	s_and_not1_b32 vcc_lo, exec_lo, s30
	s_cbranch_vccnz .LBB167_258
; %bb.248:
	s_cmp_lt_i32 s0, 6
	s_cbranch_scc1 .LBB167_251
; %bb.249:
	s_cmp_gt_i32 s0, 6
	s_cbranch_scc0 .LBB167_252
; %bb.250:
	s_wait_loadcnt 0x0
	global_load_b64 v[8:9], v[6:7], off
	s_mov_b32 s30, 0
	s_wait_loadcnt 0x0
	v_cvt_f32_f64_e32 v3, v[8:9]
	s_delay_alu instid0(VALU_DEP_1) | instskip(SKIP_1) | instid1(VALU_DEP_2)
	v_bfe_u32 v5, v3, 16, 1
	v_cmp_o_f32_e32 vcc_lo, v3, v3
	v_add3_u32 v5, v3, v5, 0x7fff
	s_delay_alu instid0(VALU_DEP_1) | instskip(NEXT) | instid1(VALU_DEP_1)
	v_lshrrev_b32_e32 v5, 16, v5
	v_cndmask_b32_e32 v8, 0x7fc0, v5, vcc_lo
	s_branch .LBB167_253
.LBB167_251:
	s_mov_b32 s30, -1
                                        ; implicit-def: $vgpr8
	s_branch .LBB167_256
.LBB167_252:
	s_mov_b32 s30, -1
                                        ; implicit-def: $vgpr8
.LBB167_253:
	s_delay_alu instid0(SALU_CYCLE_1)
	s_and_not1_b32 vcc_lo, exec_lo, s30
	s_cbranch_vccnz .LBB167_255
; %bb.254:
	global_load_b32 v3, v[6:7], off
	s_wait_loadcnt 0x0
	v_bfe_u32 v5, v3, 16, 1
	v_cmp_o_f32_e32 vcc_lo, v3, v3
	s_delay_alu instid0(VALU_DEP_2) | instskip(NEXT) | instid1(VALU_DEP_1)
	v_add3_u32 v5, v3, v5, 0x7fff
	v_lshrrev_b32_e32 v5, 16, v5
	s_delay_alu instid0(VALU_DEP_1)
	v_cndmask_b32_e32 v8, 0x7fc0, v5, vcc_lo
.LBB167_255:
	s_mov_b32 s30, 0
.LBB167_256:
	s_delay_alu instid0(SALU_CYCLE_1)
	s_and_not1_b32 vcc_lo, exec_lo, s30
	s_cbranch_vccnz .LBB167_258
; %bb.257:
	global_load_u16 v3, v[6:7], off
	s_wait_loadcnt 0x0
	v_cvt_f32_f16_e32 v5, v3
	v_cmp_o_f16_e32 vcc_lo, v3, v3
	s_delay_alu instid0(VALU_DEP_2) | instskip(NEXT) | instid1(VALU_DEP_1)
	v_bfe_u32 v8, v5, 16, 1
	v_add3_u32 v5, v5, v8, 0x7fff
	s_delay_alu instid0(VALU_DEP_1) | instskip(NEXT) | instid1(VALU_DEP_1)
	v_lshrrev_b32_e32 v5, 16, v5
	v_cndmask_b32_e32 v8, 0x7fc0, v5, vcc_lo
.LBB167_258:
	s_mov_b32 s30, 0
.LBB167_259:
	s_delay_alu instid0(SALU_CYCLE_1)
	s_and_not1_b32 vcc_lo, exec_lo, s30
	s_cbranch_vccnz .LBB167_279
; %bb.260:
	s_cmp_lt_i32 s0, 2
	s_cbranch_scc1 .LBB167_264
; %bb.261:
	s_cmp_lt_i32 s0, 3
	s_cbranch_scc1 .LBB167_265
; %bb.262:
	s_cmp_gt_i32 s0, 3
	s_cbranch_scc0 .LBB167_266
; %bb.263:
	s_wait_loadcnt 0x0
	global_load_b64 v[8:9], v[6:7], off
	s_mov_b32 s30, 0
	s_wait_loadcnt 0x0
	v_xor_b32_e32 v3, v8, v9
	v_cls_i32_e32 v5, v9
	s_delay_alu instid0(VALU_DEP_2) | instskip(NEXT) | instid1(VALU_DEP_1)
	v_ashrrev_i32_e32 v3, 31, v3
	v_add_nc_u32_e32 v3, 32, v3
	s_delay_alu instid0(VALU_DEP_1) | instskip(NEXT) | instid1(VALU_DEP_1)
	v_add_min_u32_e64 v3, v5, -1, v3
	v_lshlrev_b64_e32 v[8:9], v3, v[8:9]
	v_sub_nc_u32_e32 v3, 32, v3
	s_delay_alu instid0(VALU_DEP_2) | instskip(NEXT) | instid1(VALU_DEP_1)
	v_min_u32_e32 v5, 1, v8
	v_or_b32_e32 v5, v9, v5
	s_delay_alu instid0(VALU_DEP_1) | instskip(NEXT) | instid1(VALU_DEP_1)
	v_cvt_f32_i32_e32 v5, v5
	v_ldexp_f32 v3, v5, v3
	s_delay_alu instid0(VALU_DEP_1) | instskip(NEXT) | instid1(VALU_DEP_1)
	v_bfe_u32 v5, v3, 16, 1
	v_add3_u32 v3, v3, v5, 0x7fff
	s_delay_alu instid0(VALU_DEP_1)
	v_lshrrev_b32_e32 v8, 16, v3
	s_branch .LBB167_267
.LBB167_264:
	s_mov_b32 s30, -1
                                        ; implicit-def: $vgpr8
	s_branch .LBB167_273
.LBB167_265:
	s_mov_b32 s30, -1
                                        ; implicit-def: $vgpr8
	s_branch .LBB167_270
.LBB167_266:
	s_mov_b32 s30, -1
                                        ; implicit-def: $vgpr8
.LBB167_267:
	s_delay_alu instid0(SALU_CYCLE_1)
	s_and_not1_b32 vcc_lo, exec_lo, s30
	s_cbranch_vccnz .LBB167_269
; %bb.268:
	global_load_b32 v3, v[6:7], off
	s_wait_loadcnt 0x0
	v_cvt_f32_i32_e32 v3, v3
	s_delay_alu instid0(VALU_DEP_1) | instskip(NEXT) | instid1(VALU_DEP_1)
	v_bfe_u32 v5, v3, 16, 1
	v_add3_u32 v3, v3, v5, 0x7fff
	s_delay_alu instid0(VALU_DEP_1)
	v_lshrrev_b32_e32 v8, 16, v3
.LBB167_269:
	s_mov_b32 s30, 0
.LBB167_270:
	s_delay_alu instid0(SALU_CYCLE_1)
	s_and_not1_b32 vcc_lo, exec_lo, s30
	s_cbranch_vccnz .LBB167_272
; %bb.271:
	global_load_i16 v3, v[6:7], off
	s_wait_loadcnt 0x0
	v_cvt_f32_i32_e32 v3, v3
	s_delay_alu instid0(VALU_DEP_1) | instskip(NEXT) | instid1(VALU_DEP_1)
	v_bfe_u32 v5, v3, 16, 1
	v_add3_u32 v3, v3, v5, 0x7fff
	s_delay_alu instid0(VALU_DEP_1)
	v_lshrrev_b32_e32 v8, 16, v3
.LBB167_272:
	s_mov_b32 s30, 0
.LBB167_273:
	s_delay_alu instid0(SALU_CYCLE_1)
	s_and_not1_b32 vcc_lo, exec_lo, s30
	s_cbranch_vccnz .LBB167_279
; %bb.274:
	s_cmp_gt_i32 s0, 0
	s_mov_b32 s0, 0
	s_cbranch_scc0 .LBB167_276
; %bb.275:
	global_load_i8 v3, v[6:7], off
	s_wait_loadcnt 0x0
	v_cvt_f32_i32_e32 v3, v3
	s_delay_alu instid0(VALU_DEP_1) | instskip(NEXT) | instid1(VALU_DEP_1)
	v_bfe_u32 v5, v3, 16, 1
	v_add3_u32 v3, v3, v5, 0x7fff
	s_delay_alu instid0(VALU_DEP_1)
	v_lshrrev_b32_e32 v8, 16, v3
	s_branch .LBB167_277
.LBB167_276:
	s_mov_b32 s0, -1
                                        ; implicit-def: $vgpr8
.LBB167_277:
	s_delay_alu instid0(SALU_CYCLE_1)
	s_and_not1_b32 vcc_lo, exec_lo, s0
	s_cbranch_vccnz .LBB167_279
; %bb.278:
	global_load_u8 v3, v[6:7], off
	s_wait_loadcnt 0x0
	v_cvt_f32_ubyte0_e32 v3, v3
	s_delay_alu instid0(VALU_DEP_1) | instskip(NEXT) | instid1(VALU_DEP_1)
	v_bfe_u32 v5, v3, 16, 1
	v_add3_u32 v3, v3, v5, 0x7fff
	s_delay_alu instid0(VALU_DEP_1)
	v_lshrrev_b32_e32 v8, 16, v3
.LBB167_279:
	s_branch .LBB167_32
.LBB167_280:
	s_mov_b32 s0, 0
	s_mov_b32 s30, 0
	s_branch .LBB167_521
.LBB167_281:
	s_mov_b32 s30, -1
.LBB167_282:
	s_mov_b32 s31, 0
                                        ; implicit-def: $vgpr3
.LBB167_283:
	s_and_b32 vcc_lo, exec_lo, s43
	s_cbranch_vccz .LBB167_287
; %bb.284:
	s_cmp_eq_u32 s0, 44
	s_cbranch_scc0 .LBB167_286
; %bb.285:
	s_wait_loadcnt 0x0
	global_load_u8 v3, v[4:5], off
	s_mov_b32 s30, 0
	s_mov_b32 s31, -1
	s_wait_loadcnt 0x0
	v_lshlrev_b32_e32 v6, 23, v3
	v_cmp_ne_u32_e32 vcc_lo, 0xff, v3
	s_delay_alu instid0(VALU_DEP_2) | instskip(SKIP_1) | instid1(VALU_DEP_2)
	v_cndmask_b32_e32 v6, 0x7f800001, v6, vcc_lo
	v_cmp_ne_u32_e32 vcc_lo, 0, v3
	v_cndmask_b32_e32 v3, 0x400000, v6, vcc_lo
	s_delay_alu instid0(VALU_DEP_1) | instskip(NEXT) | instid1(VALU_DEP_1)
	v_add_nc_u32_e32 v6, 0x7fff, v3
	v_lshrrev_b32_e32 v6, 16, v6
	v_cmp_o_f32_e32 vcc_lo, v3, v3
	s_delay_alu instid0(VALU_DEP_2)
	v_cndmask_b32_e32 v3, 0x7fc0, v6, vcc_lo
	s_branch .LBB167_287
.LBB167_286:
	s_mov_b32 s30, -1
                                        ; implicit-def: $vgpr3
.LBB167_287:
	s_mov_b32 s43, 0
.LBB167_288:
	s_delay_alu instid0(SALU_CYCLE_1)
	s_and_b32 vcc_lo, exec_lo, s43
	s_cbranch_vccz .LBB167_292
; %bb.289:
	s_cmp_eq_u32 s0, 29
	s_cbranch_scc0 .LBB167_291
; %bb.290:
	global_load_b64 v[6:7], v[4:5], off
	s_mov_b32 s31, -1
	s_mov_b32 s30, 0
	s_mov_b32 s43, 0
	s_wait_loadcnt 0x0
	v_clz_i32_u32_e32 v3, v7
	s_delay_alu instid0(VALU_DEP_1) | instskip(NEXT) | instid1(VALU_DEP_1)
	v_min_u32_e32 v3, 32, v3
	v_lshlrev_b64_e32 v[6:7], v3, v[6:7]
	v_sub_nc_u32_e32 v3, 32, v3
	s_delay_alu instid0(VALU_DEP_2) | instskip(NEXT) | instid1(VALU_DEP_1)
	v_min_u32_e32 v6, 1, v6
	v_or_b32_e32 v6, v7, v6
	s_delay_alu instid0(VALU_DEP_1) | instskip(NEXT) | instid1(VALU_DEP_1)
	v_cvt_f32_u32_e32 v6, v6
	v_ldexp_f32 v3, v6, v3
	s_delay_alu instid0(VALU_DEP_1) | instskip(NEXT) | instid1(VALU_DEP_1)
	v_bfe_u32 v6, v3, 16, 1
	v_add3_u32 v3, v3, v6, 0x7fff
	s_delay_alu instid0(VALU_DEP_1)
	v_lshrrev_b32_e32 v3, 16, v3
	s_branch .LBB167_293
.LBB167_291:
	s_mov_b32 s30, -1
                                        ; implicit-def: $vgpr3
.LBB167_292:
	s_mov_b32 s43, 0
.LBB167_293:
	s_delay_alu instid0(SALU_CYCLE_1)
	s_and_b32 vcc_lo, exec_lo, s43
	s_cbranch_vccz .LBB167_311
; %bb.294:
	s_cmp_lt_i32 s0, 27
	s_cbranch_scc1 .LBB167_297
; %bb.295:
	s_cmp_gt_i32 s0, 27
	s_cbranch_scc0 .LBB167_298
; %bb.296:
	s_wait_loadcnt 0x0
	global_load_b32 v3, v[4:5], off
	s_mov_b32 s31, 0
	s_wait_loadcnt 0x0
	v_cvt_f32_u32_e32 v3, v3
	s_delay_alu instid0(VALU_DEP_1) | instskip(NEXT) | instid1(VALU_DEP_1)
	v_bfe_u32 v6, v3, 16, 1
	v_add3_u32 v3, v3, v6, 0x7fff
	s_delay_alu instid0(VALU_DEP_1)
	v_lshrrev_b32_e32 v3, 16, v3
	s_branch .LBB167_299
.LBB167_297:
	s_mov_b32 s31, -1
                                        ; implicit-def: $vgpr3
	s_branch .LBB167_302
.LBB167_298:
	s_mov_b32 s31, -1
                                        ; implicit-def: $vgpr3
.LBB167_299:
	s_delay_alu instid0(SALU_CYCLE_1)
	s_and_not1_b32 vcc_lo, exec_lo, s31
	s_cbranch_vccnz .LBB167_301
; %bb.300:
	s_wait_loadcnt 0x0
	global_load_u16 v3, v[4:5], off
	s_wait_loadcnt 0x0
	v_cvt_f32_u32_e32 v3, v3
	s_delay_alu instid0(VALU_DEP_1) | instskip(NEXT) | instid1(VALU_DEP_1)
	v_bfe_u32 v6, v3, 16, 1
	v_add3_u32 v3, v3, v6, 0x7fff
	s_delay_alu instid0(VALU_DEP_1)
	v_lshrrev_b32_e32 v3, 16, v3
.LBB167_301:
	s_mov_b32 s31, 0
.LBB167_302:
	s_delay_alu instid0(SALU_CYCLE_1)
	s_and_not1_b32 vcc_lo, exec_lo, s31
	s_cbranch_vccnz .LBB167_310
; %bb.303:
	s_wait_loadcnt 0x0
	global_load_u8 v3, v[4:5], off
	s_mov_b32 s31, 0
	s_mov_b32 s43, exec_lo
	s_wait_loadcnt 0x0
	v_cmpx_lt_i16_e32 0x7f, v3
	s_xor_b32 s43, exec_lo, s43
	s_cbranch_execz .LBB167_324
; %bb.304:
	s_mov_b32 s31, -1
	s_mov_b32 s46, exec_lo
	v_cmpx_eq_u16_e32 0x80, v3
; %bb.305:
	s_xor_b32 s31, exec_lo, -1
; %bb.306:
	s_or_b32 exec_lo, exec_lo, s46
	s_delay_alu instid0(SALU_CYCLE_1)
	s_and_b32 s31, s31, exec_lo
	s_or_saveexec_b32 s43, s43
	v_mov_b32_e32 v6, 0x7f800001
	s_xor_b32 exec_lo, exec_lo, s43
	s_cbranch_execnz .LBB167_325
.LBB167_307:
	s_or_b32 exec_lo, exec_lo, s43
	s_and_saveexec_b32 s43, s31
	s_cbranch_execz .LBB167_309
.LBB167_308:
	v_and_b32_e32 v6, 0xffff, v3
	s_delay_alu instid0(VALU_DEP_1) | instskip(SKIP_1) | instid1(VALU_DEP_2)
	v_and_b32_e32 v7, 7, v6
	v_bfe_u32 v11, v6, 3, 4
	v_clz_i32_u32_e32 v9, v7
	s_delay_alu instid0(VALU_DEP_2) | instskip(NEXT) | instid1(VALU_DEP_2)
	v_cmp_eq_u32_e32 vcc_lo, 0, v11
	v_min_u32_e32 v9, 32, v9
	s_delay_alu instid0(VALU_DEP_1) | instskip(NEXT) | instid1(VALU_DEP_1)
	v_subrev_nc_u32_e32 v10, 28, v9
	v_dual_lshlrev_b32 v6, v10, v6 :: v_dual_sub_nc_u32 v9, 29, v9
	s_delay_alu instid0(VALU_DEP_1) | instskip(NEXT) | instid1(VALU_DEP_2)
	v_dual_lshlrev_b32 v3, 24, v3 :: v_dual_bitop2_b32 v6, 7, v6 bitop3:0x40
	v_cndmask_b32_e32 v9, v11, v9, vcc_lo
	s_delay_alu instid0(VALU_DEP_2) | instskip(NEXT) | instid1(VALU_DEP_3)
	v_cndmask_b32_e32 v6, v7, v6, vcc_lo
	v_and_b32_e32 v3, 0x80000000, v3
	s_delay_alu instid0(VALU_DEP_3) | instskip(NEXT) | instid1(VALU_DEP_3)
	v_lshl_add_u32 v7, v9, 23, 0x3b800000
	v_lshlrev_b32_e32 v6, 20, v6
	s_delay_alu instid0(VALU_DEP_1)
	v_or3_b32 v6, v3, v7, v6
.LBB167_309:
	s_or_b32 exec_lo, exec_lo, s43
	s_delay_alu instid0(VALU_DEP_1) | instskip(SKIP_1) | instid1(VALU_DEP_2)
	v_bfe_u32 v3, v6, 16, 1
	v_cmp_o_f32_e32 vcc_lo, v6, v6
	v_add3_u32 v3, v6, v3, 0x7fff
	s_delay_alu instid0(VALU_DEP_1) | instskip(NEXT) | instid1(VALU_DEP_1)
	v_lshrrev_b32_e32 v3, 16, v3
	v_cndmask_b32_e32 v3, 0x7fc0, v3, vcc_lo
.LBB167_310:
	s_mov_b32 s31, -1
.LBB167_311:
	s_mov_b32 s43, 0
.LBB167_312:
	s_delay_alu instid0(SALU_CYCLE_1)
	s_and_b32 vcc_lo, exec_lo, s43
	s_cbranch_vccz .LBB167_347
; %bb.313:
	s_cmp_gt_i32 s0, 22
	s_cbranch_scc0 .LBB167_323
; %bb.314:
	s_cmp_lt_i32 s0, 24
	s_cbranch_scc1 .LBB167_326
; %bb.315:
	s_cmp_gt_i32 s0, 24
	s_cbranch_scc0 .LBB167_327
; %bb.316:
	s_wait_loadcnt 0x0
	global_load_u8 v3, v[4:5], off
	s_mov_b32 s31, 0
	s_mov_b32 s43, exec_lo
	s_wait_loadcnt 0x0
	v_cmpx_lt_i16_e32 0x7f, v3
	s_xor_b32 s43, exec_lo, s43
	s_cbranch_execz .LBB167_339
; %bb.317:
	s_mov_b32 s31, -1
	s_mov_b32 s46, exec_lo
	v_cmpx_eq_u16_e32 0x80, v3
; %bb.318:
	s_xor_b32 s31, exec_lo, -1
; %bb.319:
	s_or_b32 exec_lo, exec_lo, s46
	s_delay_alu instid0(SALU_CYCLE_1)
	s_and_b32 s31, s31, exec_lo
	s_or_saveexec_b32 s43, s43
	v_mov_b32_e32 v6, 0x7f800001
	s_xor_b32 exec_lo, exec_lo, s43
	s_cbranch_execnz .LBB167_340
.LBB167_320:
	s_or_b32 exec_lo, exec_lo, s43
	s_and_saveexec_b32 s43, s31
	s_cbranch_execz .LBB167_322
.LBB167_321:
	v_and_b32_e32 v6, 0xffff, v3
	s_delay_alu instid0(VALU_DEP_1) | instskip(SKIP_1) | instid1(VALU_DEP_2)
	v_and_b32_e32 v7, 3, v6
	v_bfe_u32 v11, v6, 2, 5
	v_clz_i32_u32_e32 v9, v7
	s_delay_alu instid0(VALU_DEP_2) | instskip(NEXT) | instid1(VALU_DEP_2)
	v_cmp_eq_u32_e32 vcc_lo, 0, v11
	v_min_u32_e32 v9, 32, v9
	s_delay_alu instid0(VALU_DEP_1) | instskip(NEXT) | instid1(VALU_DEP_1)
	v_subrev_nc_u32_e32 v10, 29, v9
	v_dual_lshlrev_b32 v6, v10, v6 :: v_dual_sub_nc_u32 v9, 30, v9
	s_delay_alu instid0(VALU_DEP_1) | instskip(NEXT) | instid1(VALU_DEP_2)
	v_dual_lshlrev_b32 v3, 24, v3 :: v_dual_bitop2_b32 v6, 3, v6 bitop3:0x40
	v_cndmask_b32_e32 v9, v11, v9, vcc_lo
	s_delay_alu instid0(VALU_DEP_2) | instskip(NEXT) | instid1(VALU_DEP_3)
	v_cndmask_b32_e32 v6, v7, v6, vcc_lo
	v_and_b32_e32 v3, 0x80000000, v3
	s_delay_alu instid0(VALU_DEP_3) | instskip(NEXT) | instid1(VALU_DEP_3)
	v_lshl_add_u32 v7, v9, 23, 0x37800000
	v_lshlrev_b32_e32 v6, 21, v6
	s_delay_alu instid0(VALU_DEP_1)
	v_or3_b32 v6, v3, v7, v6
.LBB167_322:
	s_or_b32 exec_lo, exec_lo, s43
	s_delay_alu instid0(VALU_DEP_1) | instskip(SKIP_2) | instid1(VALU_DEP_2)
	v_bfe_u32 v3, v6, 16, 1
	v_cmp_o_f32_e32 vcc_lo, v6, v6
	s_mov_b32 s31, 0
	v_add3_u32 v3, v6, v3, 0x7fff
	s_delay_alu instid0(VALU_DEP_1) | instskip(NEXT) | instid1(VALU_DEP_1)
	v_lshrrev_b32_e32 v3, 16, v3
	v_cndmask_b32_e32 v3, 0x7fc0, v3, vcc_lo
	s_branch .LBB167_328
.LBB167_323:
	s_mov_b32 s43, -1
                                        ; implicit-def: $vgpr3
	s_branch .LBB167_334
.LBB167_324:
	s_or_saveexec_b32 s43, s43
	v_mov_b32_e32 v6, 0x7f800001
	s_xor_b32 exec_lo, exec_lo, s43
	s_cbranch_execz .LBB167_307
.LBB167_325:
	v_cmp_ne_u16_e32 vcc_lo, 0, v3
	v_mov_b32_e32 v6, 0
	s_and_not1_b32 s31, s31, exec_lo
	s_and_b32 s46, vcc_lo, exec_lo
	s_delay_alu instid0(SALU_CYCLE_1)
	s_or_b32 s31, s31, s46
	s_or_b32 exec_lo, exec_lo, s43
	s_and_saveexec_b32 s43, s31
	s_cbranch_execnz .LBB167_308
	s_branch .LBB167_309
.LBB167_326:
	s_mov_b32 s31, -1
                                        ; implicit-def: $vgpr3
	s_branch .LBB167_331
.LBB167_327:
	s_mov_b32 s31, -1
                                        ; implicit-def: $vgpr3
.LBB167_328:
	s_delay_alu instid0(SALU_CYCLE_1)
	s_and_b32 vcc_lo, exec_lo, s31
	s_cbranch_vccz .LBB167_330
; %bb.329:
	s_wait_loadcnt 0x0
	global_load_u8 v3, v[4:5], off
	s_wait_loadcnt 0x0
	v_lshlrev_b32_e32 v3, 24, v3
	s_delay_alu instid0(VALU_DEP_1) | instskip(NEXT) | instid1(VALU_DEP_1)
	v_and_b32_e32 v6, 0x7f000000, v3
	v_clz_i32_u32_e32 v7, v6
	v_add_nc_u32_e32 v10, 0x1000000, v6
	v_cmp_ne_u32_e32 vcc_lo, 0, v6
	s_delay_alu instid0(VALU_DEP_3) | instskip(NEXT) | instid1(VALU_DEP_1)
	v_min_u32_e32 v7, 32, v7
	v_sub_nc_u32_e64 v7, v7, 4 clamp
	s_delay_alu instid0(VALU_DEP_1) | instskip(NEXT) | instid1(VALU_DEP_1)
	v_dual_lshlrev_b32 v9, v7, v6 :: v_dual_lshlrev_b32 v7, 23, v7
	v_lshrrev_b32_e32 v9, 4, v9
	s_delay_alu instid0(VALU_DEP_1) | instskip(NEXT) | instid1(VALU_DEP_1)
	v_dual_sub_nc_u32 v7, v9, v7 :: v_dual_ashrrev_i32 v9, 8, v10
	v_add_nc_u32_e32 v7, 0x3c000000, v7
	s_delay_alu instid0(VALU_DEP_1) | instskip(NEXT) | instid1(VALU_DEP_1)
	v_and_or_b32 v7, 0x7f800000, v9, v7
	v_cndmask_b32_e32 v6, 0, v7, vcc_lo
	s_delay_alu instid0(VALU_DEP_1) | instskip(SKIP_1) | instid1(VALU_DEP_2)
	v_and_or_b32 v3, 0x80000000, v3, v6
	v_bfe_u32 v6, v6, 16, 1
	v_cmp_o_f32_e32 vcc_lo, v3, v3
	s_delay_alu instid0(VALU_DEP_2) | instskip(NEXT) | instid1(VALU_DEP_1)
	v_add3_u32 v6, v3, v6, 0x7fff
	v_lshrrev_b32_e32 v6, 16, v6
	s_delay_alu instid0(VALU_DEP_1)
	v_cndmask_b32_e32 v3, 0x7fc0, v6, vcc_lo
.LBB167_330:
	s_mov_b32 s31, 0
.LBB167_331:
	s_delay_alu instid0(SALU_CYCLE_1)
	s_and_not1_b32 vcc_lo, exec_lo, s31
	s_cbranch_vccnz .LBB167_333
; %bb.332:
	s_wait_loadcnt 0x0
	global_load_u8 v3, v[4:5], off
	s_wait_loadcnt 0x0
	v_lshlrev_b32_e32 v6, 25, v3
	v_lshlrev_b16 v3, 8, v3
	s_delay_alu instid0(VALU_DEP_1) | instskip(SKIP_1) | instid1(VALU_DEP_2)
	v_and_or_b32 v9, 0x7f00, v3, 0.5
	v_bfe_i32 v3, v3, 0, 16
	v_dual_add_f32 v9, -0.5, v9 :: v_dual_lshrrev_b32 v7, 4, v6
	v_cmp_gt_u32_e32 vcc_lo, 0x8000000, v6
	s_delay_alu instid0(VALU_DEP_2) | instskip(NEXT) | instid1(VALU_DEP_1)
	v_or_b32_e32 v7, 0x70000000, v7
	v_mul_f32_e32 v7, 0x7800000, v7
	s_delay_alu instid0(VALU_DEP_1) | instskip(NEXT) | instid1(VALU_DEP_1)
	v_cndmask_b32_e32 v6, v7, v9, vcc_lo
	v_and_or_b32 v3, 0x80000000, v3, v6
	v_bfe_u32 v6, v6, 16, 1
	s_delay_alu instid0(VALU_DEP_2) | instskip(NEXT) | instid1(VALU_DEP_2)
	v_cmp_o_f32_e32 vcc_lo, v3, v3
	v_add3_u32 v6, v3, v6, 0x7fff
	s_delay_alu instid0(VALU_DEP_1) | instskip(NEXT) | instid1(VALU_DEP_1)
	v_lshrrev_b32_e32 v6, 16, v6
	v_cndmask_b32_e32 v3, 0x7fc0, v6, vcc_lo
.LBB167_333:
	s_mov_b32 s43, 0
	s_mov_b32 s31, -1
.LBB167_334:
	s_and_not1_b32 vcc_lo, exec_lo, s43
	s_cbranch_vccnz .LBB167_347
; %bb.335:
	s_cmp_gt_i32 s0, 14
	s_cbranch_scc0 .LBB167_338
; %bb.336:
	s_cmp_eq_u32 s0, 15
	s_cbranch_scc0 .LBB167_341
; %bb.337:
	s_wait_loadcnt 0x0
	global_load_u16 v3, v[4:5], off
	s_mov_b32 s31, -1
	s_mov_b32 s30, 0
	s_branch .LBB167_342
.LBB167_338:
	s_mov_b32 s43, -1
                                        ; implicit-def: $vgpr3
	s_branch .LBB167_343
.LBB167_339:
	s_or_saveexec_b32 s43, s43
	v_mov_b32_e32 v6, 0x7f800001
	s_xor_b32 exec_lo, exec_lo, s43
	s_cbranch_execz .LBB167_320
.LBB167_340:
	v_cmp_ne_u16_e32 vcc_lo, 0, v3
	v_mov_b32_e32 v6, 0
	s_and_not1_b32 s31, s31, exec_lo
	s_and_b32 s46, vcc_lo, exec_lo
	s_delay_alu instid0(SALU_CYCLE_1)
	s_or_b32 s31, s31, s46
	s_or_b32 exec_lo, exec_lo, s43
	s_and_saveexec_b32 s43, s31
	s_cbranch_execnz .LBB167_321
	s_branch .LBB167_322
.LBB167_341:
	s_mov_b32 s30, -1
                                        ; implicit-def: $vgpr3
.LBB167_342:
	s_mov_b32 s43, 0
.LBB167_343:
	s_delay_alu instid0(SALU_CYCLE_1)
	s_and_b32 vcc_lo, exec_lo, s43
	s_cbranch_vccz .LBB167_347
; %bb.344:
	s_cmp_eq_u32 s0, 11
	s_cbranch_scc0 .LBB167_346
; %bb.345:
	s_wait_loadcnt 0x0
	global_load_u8 v3, v[4:5], off
	s_mov_b32 s30, 0
	s_mov_b32 s31, -1
	s_wait_loadcnt 0x0
	v_cmp_ne_u16_e32 vcc_lo, 0, v3
	v_cndmask_b32_e64 v3, 0, 1.0, vcc_lo
	s_delay_alu instid0(VALU_DEP_1)
	v_lshrrev_b32_e32 v3, 16, v3
	s_branch .LBB167_347
.LBB167_346:
	s_mov_b32 s30, -1
                                        ; implicit-def: $vgpr3
.LBB167_347:
	s_mov_b32 s43, 0
.LBB167_348:
	s_delay_alu instid0(SALU_CYCLE_1)
	s_and_b32 vcc_lo, exec_lo, s43
	s_cbranch_vccz .LBB167_397
; %bb.349:
	s_cmp_lt_i32 s0, 5
	s_cbranch_scc1 .LBB167_354
; %bb.350:
	s_cmp_lt_i32 s0, 8
	s_cbranch_scc1 .LBB167_355
	;; [unrolled: 3-line block ×3, first 2 shown]
; %bb.352:
	s_cmp_gt_i32 s0, 9
	s_cbranch_scc0 .LBB167_357
; %bb.353:
	global_load_b64 v[6:7], v[4:5], off
	s_mov_b32 s31, 0
	s_wait_loadcnt 0x0
	v_cvt_f32_f64_e32 v3, v[6:7]
	s_delay_alu instid0(VALU_DEP_1) | instskip(SKIP_1) | instid1(VALU_DEP_2)
	v_bfe_u32 v6, v3, 16, 1
	v_cmp_o_f32_e32 vcc_lo, v3, v3
	v_add3_u32 v6, v3, v6, 0x7fff
	s_delay_alu instid0(VALU_DEP_1) | instskip(NEXT) | instid1(VALU_DEP_1)
	v_lshrrev_b32_e32 v6, 16, v6
	v_cndmask_b32_e32 v3, 0x7fc0, v6, vcc_lo
	s_branch .LBB167_358
.LBB167_354:
	s_mov_b32 s31, -1
                                        ; implicit-def: $vgpr3
	s_branch .LBB167_376
.LBB167_355:
	s_mov_b32 s31, -1
                                        ; implicit-def: $vgpr3
	s_branch .LBB167_364
.LBB167_356:
	s_mov_b32 s31, -1
                                        ; implicit-def: $vgpr3
	s_branch .LBB167_361
.LBB167_357:
	s_mov_b32 s31, -1
                                        ; implicit-def: $vgpr3
.LBB167_358:
	s_delay_alu instid0(SALU_CYCLE_1)
	s_and_not1_b32 vcc_lo, exec_lo, s31
	s_cbranch_vccnz .LBB167_360
; %bb.359:
	s_wait_loadcnt 0x0
	global_load_b32 v3, v[4:5], off
	s_wait_loadcnt 0x0
	v_bfe_u32 v6, v3, 16, 1
	v_cmp_o_f32_e32 vcc_lo, v3, v3
	s_delay_alu instid0(VALU_DEP_2) | instskip(NEXT) | instid1(VALU_DEP_1)
	v_add3_u32 v6, v3, v6, 0x7fff
	v_lshrrev_b32_e32 v6, 16, v6
	s_delay_alu instid0(VALU_DEP_1)
	v_cndmask_b32_e32 v3, 0x7fc0, v6, vcc_lo
.LBB167_360:
	s_mov_b32 s31, 0
.LBB167_361:
	s_delay_alu instid0(SALU_CYCLE_1)
	s_and_not1_b32 vcc_lo, exec_lo, s31
	s_cbranch_vccnz .LBB167_363
; %bb.362:
	s_wait_loadcnt 0x0
	global_load_b32 v3, v[4:5], off
	s_wait_loadcnt 0x0
	v_cvt_f32_f16_e32 v6, v3
	v_cmp_o_f16_e32 vcc_lo, v3, v3
	s_delay_alu instid0(VALU_DEP_2) | instskip(NEXT) | instid1(VALU_DEP_1)
	v_bfe_u32 v7, v6, 16, 1
	v_add3_u32 v6, v6, v7, 0x7fff
	s_delay_alu instid0(VALU_DEP_1) | instskip(NEXT) | instid1(VALU_DEP_1)
	v_lshrrev_b32_e32 v6, 16, v6
	v_cndmask_b32_e32 v3, 0x7fc0, v6, vcc_lo
.LBB167_363:
	s_mov_b32 s31, 0
.LBB167_364:
	s_delay_alu instid0(SALU_CYCLE_1)
	s_and_not1_b32 vcc_lo, exec_lo, s31
	s_cbranch_vccnz .LBB167_375
; %bb.365:
	s_cmp_lt_i32 s0, 6
	s_cbranch_scc1 .LBB167_368
; %bb.366:
	s_cmp_gt_i32 s0, 6
	s_cbranch_scc0 .LBB167_369
; %bb.367:
	global_load_b64 v[6:7], v[4:5], off
	s_mov_b32 s31, 0
	s_wait_loadcnt 0x0
	v_cvt_f32_f64_e32 v3, v[6:7]
	s_delay_alu instid0(VALU_DEP_1) | instskip(SKIP_1) | instid1(VALU_DEP_2)
	v_bfe_u32 v6, v3, 16, 1
	v_cmp_o_f32_e32 vcc_lo, v3, v3
	v_add3_u32 v6, v3, v6, 0x7fff
	s_delay_alu instid0(VALU_DEP_1) | instskip(NEXT) | instid1(VALU_DEP_1)
	v_lshrrev_b32_e32 v6, 16, v6
	v_cndmask_b32_e32 v3, 0x7fc0, v6, vcc_lo
	s_branch .LBB167_370
.LBB167_368:
	s_mov_b32 s31, -1
                                        ; implicit-def: $vgpr3
	s_branch .LBB167_373
.LBB167_369:
	s_mov_b32 s31, -1
                                        ; implicit-def: $vgpr3
.LBB167_370:
	s_delay_alu instid0(SALU_CYCLE_1)
	s_and_not1_b32 vcc_lo, exec_lo, s31
	s_cbranch_vccnz .LBB167_372
; %bb.371:
	s_wait_loadcnt 0x0
	global_load_b32 v3, v[4:5], off
	s_wait_loadcnt 0x0
	v_bfe_u32 v6, v3, 16, 1
	v_cmp_o_f32_e32 vcc_lo, v3, v3
	s_delay_alu instid0(VALU_DEP_2) | instskip(NEXT) | instid1(VALU_DEP_1)
	v_add3_u32 v6, v3, v6, 0x7fff
	v_lshrrev_b32_e32 v6, 16, v6
	s_delay_alu instid0(VALU_DEP_1)
	v_cndmask_b32_e32 v3, 0x7fc0, v6, vcc_lo
.LBB167_372:
	s_mov_b32 s31, 0
.LBB167_373:
	s_delay_alu instid0(SALU_CYCLE_1)
	s_and_not1_b32 vcc_lo, exec_lo, s31
	s_cbranch_vccnz .LBB167_375
; %bb.374:
	s_wait_loadcnt 0x0
	global_load_u16 v3, v[4:5], off
	s_wait_loadcnt 0x0
	v_cvt_f32_f16_e32 v6, v3
	v_cmp_o_f16_e32 vcc_lo, v3, v3
	s_delay_alu instid0(VALU_DEP_2) | instskip(NEXT) | instid1(VALU_DEP_1)
	v_bfe_u32 v7, v6, 16, 1
	v_add3_u32 v6, v6, v7, 0x7fff
	s_delay_alu instid0(VALU_DEP_1) | instskip(NEXT) | instid1(VALU_DEP_1)
	v_lshrrev_b32_e32 v6, 16, v6
	v_cndmask_b32_e32 v3, 0x7fc0, v6, vcc_lo
.LBB167_375:
	s_mov_b32 s31, 0
.LBB167_376:
	s_delay_alu instid0(SALU_CYCLE_1)
	s_and_not1_b32 vcc_lo, exec_lo, s31
	s_cbranch_vccnz .LBB167_396
; %bb.377:
	s_cmp_lt_i32 s0, 2
	s_cbranch_scc1 .LBB167_381
; %bb.378:
	s_cmp_lt_i32 s0, 3
	s_cbranch_scc1 .LBB167_382
; %bb.379:
	s_cmp_gt_i32 s0, 3
	s_cbranch_scc0 .LBB167_383
; %bb.380:
	global_load_b64 v[6:7], v[4:5], off
	s_mov_b32 s31, 0
	s_wait_loadcnt 0x0
	v_xor_b32_e32 v3, v6, v7
	v_cls_i32_e32 v9, v7
	s_delay_alu instid0(VALU_DEP_2) | instskip(NEXT) | instid1(VALU_DEP_1)
	v_ashrrev_i32_e32 v3, 31, v3
	v_add_nc_u32_e32 v3, 32, v3
	s_delay_alu instid0(VALU_DEP_1) | instskip(NEXT) | instid1(VALU_DEP_1)
	v_add_min_u32_e64 v3, v9, -1, v3
	v_lshlrev_b64_e32 v[6:7], v3, v[6:7]
	v_sub_nc_u32_e32 v3, 32, v3
	s_delay_alu instid0(VALU_DEP_2) | instskip(NEXT) | instid1(VALU_DEP_1)
	v_min_u32_e32 v6, 1, v6
	v_or_b32_e32 v6, v7, v6
	s_delay_alu instid0(VALU_DEP_1) | instskip(NEXT) | instid1(VALU_DEP_1)
	v_cvt_f32_i32_e32 v6, v6
	v_ldexp_f32 v3, v6, v3
	s_delay_alu instid0(VALU_DEP_1) | instskip(NEXT) | instid1(VALU_DEP_1)
	v_bfe_u32 v6, v3, 16, 1
	v_add3_u32 v3, v3, v6, 0x7fff
	s_delay_alu instid0(VALU_DEP_1)
	v_lshrrev_b32_e32 v3, 16, v3
	s_branch .LBB167_384
.LBB167_381:
	s_mov_b32 s31, -1
                                        ; implicit-def: $vgpr3
	s_branch .LBB167_390
.LBB167_382:
	s_mov_b32 s31, -1
                                        ; implicit-def: $vgpr3
	s_branch .LBB167_387
.LBB167_383:
	s_mov_b32 s31, -1
                                        ; implicit-def: $vgpr3
.LBB167_384:
	s_delay_alu instid0(SALU_CYCLE_1)
	s_and_not1_b32 vcc_lo, exec_lo, s31
	s_cbranch_vccnz .LBB167_386
; %bb.385:
	s_wait_loadcnt 0x0
	global_load_b32 v3, v[4:5], off
	s_wait_loadcnt 0x0
	v_cvt_f32_i32_e32 v3, v3
	s_delay_alu instid0(VALU_DEP_1) | instskip(NEXT) | instid1(VALU_DEP_1)
	v_bfe_u32 v6, v3, 16, 1
	v_add3_u32 v3, v3, v6, 0x7fff
	s_delay_alu instid0(VALU_DEP_1)
	v_lshrrev_b32_e32 v3, 16, v3
.LBB167_386:
	s_mov_b32 s31, 0
.LBB167_387:
	s_delay_alu instid0(SALU_CYCLE_1)
	s_and_not1_b32 vcc_lo, exec_lo, s31
	s_cbranch_vccnz .LBB167_389
; %bb.388:
	s_wait_loadcnt 0x0
	global_load_i16 v3, v[4:5], off
	s_wait_loadcnt 0x0
	v_cvt_f32_i32_e32 v3, v3
	s_delay_alu instid0(VALU_DEP_1) | instskip(NEXT) | instid1(VALU_DEP_1)
	v_bfe_u32 v6, v3, 16, 1
	v_add3_u32 v3, v3, v6, 0x7fff
	s_delay_alu instid0(VALU_DEP_1)
	v_lshrrev_b32_e32 v3, 16, v3
.LBB167_389:
	s_mov_b32 s31, 0
.LBB167_390:
	s_delay_alu instid0(SALU_CYCLE_1)
	s_and_not1_b32 vcc_lo, exec_lo, s31
	s_cbranch_vccnz .LBB167_396
; %bb.391:
	s_cmp_gt_i32 s0, 0
	s_mov_b32 s0, 0
	s_cbranch_scc0 .LBB167_393
; %bb.392:
	s_wait_loadcnt 0x0
	global_load_i8 v3, v[4:5], off
	s_wait_loadcnt 0x0
	v_cvt_f32_i32_e32 v3, v3
	s_delay_alu instid0(VALU_DEP_1) | instskip(NEXT) | instid1(VALU_DEP_1)
	v_bfe_u32 v6, v3, 16, 1
	v_add3_u32 v3, v3, v6, 0x7fff
	s_delay_alu instid0(VALU_DEP_1)
	v_lshrrev_b32_e32 v3, 16, v3
	s_branch .LBB167_394
.LBB167_393:
	s_mov_b32 s0, -1
                                        ; implicit-def: $vgpr3
.LBB167_394:
	s_delay_alu instid0(SALU_CYCLE_1)
	s_and_not1_b32 vcc_lo, exec_lo, s0
	s_cbranch_vccnz .LBB167_396
; %bb.395:
	s_wait_loadcnt 0x0
	global_load_u8 v3, v[4:5], off
	s_wait_loadcnt 0x0
	v_cvt_f32_ubyte0_e32 v3, v3
	s_delay_alu instid0(VALU_DEP_1) | instskip(NEXT) | instid1(VALU_DEP_1)
	v_bfe_u32 v4, v3, 16, 1
	v_add3_u32 v3, v3, v4, 0x7fff
	s_delay_alu instid0(VALU_DEP_1)
	v_lshrrev_b32_e32 v3, 16, v3
.LBB167_396:
	s_mov_b32 s31, -1
.LBB167_397:
	s_delay_alu instid0(SALU_CYCLE_1)
	s_and_not1_b32 vcc_lo, exec_lo, s31
	s_cbranch_vccnz .LBB167_405
; %bb.398:
	s_wait_loadcnt 0x0
	v_dual_lshlrev_b32 v4, 16, v8 :: v_dual_lshlrev_b32 v5, 16, v1
	s_and_b32 s31, s38, 0xff
	v_lshlrev_b32_e32 v7, 16, v3
	s_cmp_lt_i32 s31, 11
	s_delay_alu instid0(VALU_DEP_2) | instskip(SKIP_1) | instid1(VALU_DEP_1)
	v_cmp_gt_f32_e32 vcc_lo, v5, v4
	v_cndmask_b32_e32 v6, v8, v1, vcc_lo
	v_lshlrev_b32_e32 v9, 16, v6
	s_delay_alu instid0(VALU_DEP_1) | instskip(SKIP_2) | instid1(VALU_DEP_2)
	v_cmp_lt_f32_e32 vcc_lo, v9, v7
	v_cndmask_b32_e32 v6, v3, v6, vcc_lo
	v_cmp_u_f32_e32 vcc_lo, v7, v7
	v_dual_cndmask_b32 v6, v6, v3 :: v_dual_mov_b32 v3, 0
	v_cmp_u_f32_e32 vcc_lo, v4, v4
	s_delay_alu instid0(VALU_DEP_2) | instskip(NEXT) | instid1(VALU_DEP_3)
	v_add_nc_u64_e32 v[2:3], s[4:5], v[2:3]
	v_cndmask_b32_e32 v4, v6, v8, vcc_lo
	v_cmp_u_f32_e32 vcc_lo, v5, v5
	s_delay_alu instid0(VALU_DEP_2)
	v_cndmask_b32_e32 v1, v4, v1, vcc_lo
	s_cbranch_scc1 .LBB167_406
; %bb.399:
	s_and_b32 s43, 0xffff, s31
	s_delay_alu instid0(SALU_CYCLE_1)
	s_cmp_gt_i32 s43, 25
	s_cbranch_scc0 .LBB167_407
; %bb.400:
	s_cmp_gt_i32 s43, 28
	s_cbranch_scc0 .LBB167_408
; %bb.401:
	;; [unrolled: 3-line block ×4, first 2 shown]
	s_mov_b32 s47, 0
	s_mov_b32 s0, -1
	s_cmp_eq_u32 s43, 46
	s_mov_b32 s46, 0
	s_cbranch_scc0 .LBB167_411
; %bb.404:
	v_and_b32_e32 v4, 0xffff, v1
	s_mov_b32 s46, -1
	s_mov_b32 s0, 0
	global_store_b32 v[2:3], v4, off
	s_branch .LBB167_411
.LBB167_405:
	s_mov_b32 s0, 0
	s_branch .LBB167_521
.LBB167_406:
	s_mov_b32 s43, -1
	s_mov_b32 s0, 0
	s_mov_b32 s46, 0
	s_branch .LBB167_480
.LBB167_407:
	s_mov_b32 s47, -1
	s_mov_b32 s0, 0
	s_mov_b32 s46, 0
	s_branch .LBB167_438
.LBB167_408:
	s_mov_b32 s47, -1
	s_mov_b32 s0, 0
	s_mov_b32 s46, 0
	s_branch .LBB167_421
.LBB167_409:
	s_mov_b32 s47, -1
	s_mov_b32 s0, 0
	s_mov_b32 s46, 0
	s_branch .LBB167_417
.LBB167_410:
	s_mov_b32 s47, -1
	s_mov_b32 s0, 0
	s_mov_b32 s46, 0
.LBB167_411:
	s_and_b32 vcc_lo, exec_lo, s47
	s_cbranch_vccz .LBB167_416
; %bb.412:
	s_cmp_eq_u32 s43, 44
	s_mov_b32 s0, -1
	s_cbranch_scc0 .LBB167_416
; %bb.413:
	s_wait_xcnt 0x0
	v_and_b32_e32 v4, 0xffff, v1
	v_mov_b32_e32 v5, 0xff
	s_mov_b32 s46, exec_lo
	s_delay_alu instid0(VALU_DEP_2) | instskip(NEXT) | instid1(VALU_DEP_1)
	v_bfe_u32 v6, v4, 7, 8
	v_cmpx_ne_u32_e32 0xff, v6
	s_cbranch_execz .LBB167_415
; %bb.414:
	v_dual_lshlrev_b32 v5, 16, v4 :: v_dual_bitop2_b32 v7, 64, v4 bitop3:0x40
	v_lshrrev_b32_e32 v4, 7, v4
	s_delay_alu instid0(VALU_DEP_2) | instskip(NEXT) | instid1(VALU_DEP_3)
	v_and_or_b32 v5, 0x3f0000, v5, v6
	v_cmp_ne_u32_e32 vcc_lo, 0, v7
	s_delay_alu instid0(VALU_DEP_2) | instskip(SKIP_1) | instid1(SALU_CYCLE_1)
	v_cmp_ne_u32_e64 s0, 0, v5
	s_and_b32 s0, vcc_lo, s0
	v_cndmask_b32_e64 v5, 0, 1, s0
	s_delay_alu instid0(VALU_DEP_1)
	v_add_nc_u32_e32 v5, v4, v5
.LBB167_415:
	s_or_b32 exec_lo, exec_lo, s46
	s_mov_b32 s46, -1
	s_mov_b32 s0, 0
	global_store_b8 v[2:3], v5, off
.LBB167_416:
	s_mov_b32 s47, 0
.LBB167_417:
	s_delay_alu instid0(SALU_CYCLE_1)
	s_and_b32 vcc_lo, exec_lo, s47
	s_cbranch_vccz .LBB167_420
; %bb.418:
	s_cmp_eq_u32 s43, 29
	s_mov_b32 s0, -1
	s_cbranch_scc0 .LBB167_420
; %bb.419:
	s_wait_xcnt 0x0
	v_lshlrev_b32_e32 v4, 16, v1
	s_mov_b32 s46, -1
	s_mov_b32 s0, 0
	s_mov_b32 s47, 0
	s_delay_alu instid0(VALU_DEP_1) | instskip(NEXT) | instid1(VALU_DEP_1)
	v_trunc_f32_e32 v4, v4
	v_mul_f32_e32 v5, 0x2f800000, v4
	s_delay_alu instid0(VALU_DEP_1) | instskip(NEXT) | instid1(VALU_DEP_1)
	v_floor_f32_e32 v5, v5
	v_fmamk_f32 v4, v5, 0xcf800000, v4
	v_cvt_u32_f32_e32 v5, v5
	s_delay_alu instid0(VALU_DEP_2)
	v_cvt_u32_f32_e32 v4, v4
	global_store_b64 v[2:3], v[4:5], off
	s_branch .LBB167_421
.LBB167_420:
	s_mov_b32 s47, 0
.LBB167_421:
	s_delay_alu instid0(SALU_CYCLE_1)
	s_and_b32 vcc_lo, exec_lo, s47
	s_cbranch_vccz .LBB167_437
; %bb.422:
	s_cmp_lt_i32 s43, 27
	s_mov_b32 s46, -1
	s_cbranch_scc1 .LBB167_428
; %bb.423:
	s_cmp_gt_i32 s43, 27
	s_cbranch_scc0 .LBB167_425
; %bb.424:
	s_wait_xcnt 0x0
	v_lshlrev_b32_e32 v4, 16, v1
	s_mov_b32 s46, 0
	s_delay_alu instid0(VALU_DEP_1)
	v_cvt_u32_f32_e32 v4, v4
	global_store_b32 v[2:3], v4, off
.LBB167_425:
	s_and_not1_b32 vcc_lo, exec_lo, s46
	s_cbranch_vccnz .LBB167_427
; %bb.426:
	s_wait_xcnt 0x0
	v_lshlrev_b32_e32 v4, 16, v1
	s_delay_alu instid0(VALU_DEP_1)
	v_cvt_u32_f32_e32 v4, v4
	global_store_b16 v[2:3], v4, off
.LBB167_427:
	s_mov_b32 s46, 0
.LBB167_428:
	s_delay_alu instid0(SALU_CYCLE_1)
	s_and_not1_b32 vcc_lo, exec_lo, s46
	s_cbranch_vccnz .LBB167_436
; %bb.429:
	v_dual_mov_b32 v7, 0x80 :: v_dual_lshlrev_b32 v6, 16, v1
	s_mov_b32 s46, exec_lo
	s_wait_xcnt 0x0
	s_delay_alu instid0(VALU_DEP_1) | instskip(NEXT) | instid1(VALU_DEP_1)
	v_and_b32_e32 v5, 0x7fffffff, v6
	v_cmpx_gt_u32_e32 0x43800000, v5
	s_cbranch_execz .LBB167_435
; %bb.430:
	v_and_b32_e32 v4, 0xffff, v1
	v_cmp_lt_u32_e32 vcc_lo, 0x3bffffff, v5
	s_mov_b32 s47, 0
                                        ; implicit-def: $vgpr5
	s_and_saveexec_b32 s48, vcc_lo
	s_delay_alu instid0(SALU_CYCLE_1)
	s_xor_b32 s48, exec_lo, s48
	s_cbranch_execz .LBB167_680
; %bb.431:
	v_bfe_u32 v5, v4, 4, 1
	s_mov_b32 s47, exec_lo
	s_delay_alu instid0(VALU_DEP_1) | instskip(NEXT) | instid1(VALU_DEP_1)
	v_add3_u32 v5, v6, v5, 0x487ffff
                                        ; implicit-def: $vgpr6
	v_lshrrev_b32_e32 v5, 20, v5
	s_and_not1_saveexec_b32 s48, s48
	s_cbranch_execnz .LBB167_681
.LBB167_432:
	s_or_b32 exec_lo, exec_lo, s48
	v_mov_b32_e32 v7, 0
	s_and_saveexec_b32 s48, s47
.LBB167_433:
	v_lshrrev_b32_e32 v4, 8, v4
	s_delay_alu instid0(VALU_DEP_1)
	v_and_or_b32 v7, 0x80, v4, v5
.LBB167_434:
	s_or_b32 exec_lo, exec_lo, s48
.LBB167_435:
	s_delay_alu instid0(SALU_CYCLE_1)
	s_or_b32 exec_lo, exec_lo, s46
	global_store_b8 v[2:3], v7, off
.LBB167_436:
	s_mov_b32 s46, -1
.LBB167_437:
	s_mov_b32 s47, 0
.LBB167_438:
	s_delay_alu instid0(SALU_CYCLE_1)
	s_and_b32 vcc_lo, exec_lo, s47
	s_cbranch_vccz .LBB167_479
; %bb.439:
	s_cmp_gt_i32 s43, 22
	s_mov_b32 s47, -1
	s_cbranch_scc0 .LBB167_471
; %bb.440:
	s_cmp_lt_i32 s43, 24
	s_mov_b32 s46, -1
	s_cbranch_scc1 .LBB167_460
; %bb.441:
	s_cmp_gt_i32 s43, 24
	s_cbranch_scc0 .LBB167_449
; %bb.442:
	s_wait_xcnt 0x0
	v_dual_mov_b32 v7, 0x80 :: v_dual_lshlrev_b32 v6, 16, v1
	s_mov_b32 s46, exec_lo
	s_delay_alu instid0(VALU_DEP_1) | instskip(NEXT) | instid1(VALU_DEP_1)
	v_and_b32_e32 v5, 0x7fffffff, v6
	v_cmpx_gt_u32_e32 0x47800000, v5
	s_cbranch_execz .LBB167_448
; %bb.443:
	v_and_b32_e32 v4, 0xffff, v1
	v_cmp_lt_u32_e32 vcc_lo, 0x37ffffff, v5
	s_mov_b32 s47, 0
                                        ; implicit-def: $vgpr5
	s_and_saveexec_b32 s48, vcc_lo
	s_delay_alu instid0(SALU_CYCLE_1)
	s_xor_b32 s48, exec_lo, s48
	s_cbranch_execz .LBB167_812
; %bb.444:
	v_bfe_u32 v5, v4, 5, 1
	s_mov_b32 s47, exec_lo
	s_delay_alu instid0(VALU_DEP_1) | instskip(NEXT) | instid1(VALU_DEP_1)
	v_add3_u32 v5, v6, v5, 0x88fffff
                                        ; implicit-def: $vgpr6
	v_lshrrev_b32_e32 v5, 21, v5
	s_and_not1_saveexec_b32 s48, s48
	s_cbranch_execnz .LBB167_813
.LBB167_445:
	s_or_b32 exec_lo, exec_lo, s48
	v_mov_b32_e32 v7, 0
	s_and_saveexec_b32 s48, s47
.LBB167_446:
	v_lshrrev_b32_e32 v4, 8, v4
	s_delay_alu instid0(VALU_DEP_1)
	v_and_or_b32 v7, 0x80, v4, v5
.LBB167_447:
	s_or_b32 exec_lo, exec_lo, s48
.LBB167_448:
	s_delay_alu instid0(SALU_CYCLE_1)
	s_or_b32 exec_lo, exec_lo, s46
	s_mov_b32 s46, 0
	global_store_b8 v[2:3], v7, off
.LBB167_449:
	s_and_b32 vcc_lo, exec_lo, s46
	s_cbranch_vccz .LBB167_459
; %bb.450:
	v_lshlrev_b32_e32 v6, 16, v1
	s_wait_xcnt 0x0
	v_and_b32_e32 v4, 0xffff, v1
	s_mov_b32 s46, exec_lo
                                        ; implicit-def: $vgpr5
	s_delay_alu instid0(VALU_DEP_2) | instskip(NEXT) | instid1(VALU_DEP_1)
	v_and_b32_e32 v7, 0x7fffffff, v6
	v_cmpx_gt_u32_e32 0x43f00000, v7
	s_xor_b32 s46, exec_lo, s46
	s_cbranch_execz .LBB167_456
; %bb.451:
	s_mov_b32 s47, exec_lo
                                        ; implicit-def: $vgpr5
	v_cmpx_lt_u32_e32 0x3c7fffff, v7
	s_xor_b32 s47, exec_lo, s47
; %bb.452:
	v_bfe_u32 v5, v4, 4, 1
	s_delay_alu instid0(VALU_DEP_1) | instskip(NEXT) | instid1(VALU_DEP_1)
	v_add3_u32 v5, v6, v5, 0x407ffff
	v_and_b32_e32 v6, 0xff00000, v5
	v_lshrrev_b32_e32 v5, 20, v5
	s_delay_alu instid0(VALU_DEP_2) | instskip(NEXT) | instid1(VALU_DEP_2)
	v_cmp_ne_u32_e32 vcc_lo, 0x7f00000, v6
                                        ; implicit-def: $vgpr6
	v_cndmask_b32_e32 v5, 0x7e, v5, vcc_lo
; %bb.453:
	s_and_not1_saveexec_b32 s47, s47
; %bb.454:
	v_add_f32_e64 v5, 0x46800000, |v6|
; %bb.455:
	s_or_b32 exec_lo, exec_lo, s47
                                        ; implicit-def: $vgpr7
.LBB167_456:
	s_and_not1_saveexec_b32 s46, s46
; %bb.457:
	v_mov_b32_e32 v5, 0x7f
	v_cmp_lt_u32_e32 vcc_lo, 0x7f800000, v7
	s_delay_alu instid0(VALU_DEP_2)
	v_cndmask_b32_e32 v5, 0x7e, v5, vcc_lo
; %bb.458:
	s_or_b32 exec_lo, exec_lo, s46
	v_lshrrev_b32_e32 v4, 8, v4
	s_delay_alu instid0(VALU_DEP_1)
	v_and_or_b32 v4, 0x80, v4, v5
	global_store_b8 v[2:3], v4, off
.LBB167_459:
	s_mov_b32 s46, 0
.LBB167_460:
	s_delay_alu instid0(SALU_CYCLE_1)
	s_and_not1_b32 vcc_lo, exec_lo, s46
	s_cbranch_vccnz .LBB167_470
; %bb.461:
	v_lshlrev_b32_e32 v6, 16, v1
	s_wait_xcnt 0x0
	v_and_b32_e32 v4, 0xffff, v1
	s_mov_b32 s46, exec_lo
                                        ; implicit-def: $vgpr5
	s_delay_alu instid0(VALU_DEP_2) | instskip(NEXT) | instid1(VALU_DEP_1)
	v_and_b32_e32 v7, 0x7fffffff, v6
	v_cmpx_gt_u32_e32 0x47800000, v7
	s_xor_b32 s46, exec_lo, s46
	s_cbranch_execz .LBB167_467
; %bb.462:
	s_mov_b32 s47, exec_lo
                                        ; implicit-def: $vgpr5
	v_cmpx_lt_u32_e32 0x387fffff, v7
	s_xor_b32 s47, exec_lo, s47
; %bb.463:
	v_bfe_u32 v5, v4, 5, 1
	s_delay_alu instid0(VALU_DEP_1) | instskip(NEXT) | instid1(VALU_DEP_1)
	v_add3_u32 v5, v6, v5, 0x80fffff
                                        ; implicit-def: $vgpr6
	v_lshrrev_b32_e32 v5, 21, v5
; %bb.464:
	s_and_not1_saveexec_b32 s47, s47
; %bb.465:
	v_add_f32_e64 v5, 0x43000000, |v6|
; %bb.466:
	s_or_b32 exec_lo, exec_lo, s47
                                        ; implicit-def: $vgpr7
.LBB167_467:
	s_and_not1_saveexec_b32 s46, s46
; %bb.468:
	v_mov_b32_e32 v5, 0x7f
	v_cmp_lt_u32_e32 vcc_lo, 0x7f800000, v7
	s_delay_alu instid0(VALU_DEP_2)
	v_cndmask_b32_e32 v5, 0x7c, v5, vcc_lo
; %bb.469:
	s_or_b32 exec_lo, exec_lo, s46
	v_lshrrev_b32_e32 v4, 8, v4
	s_delay_alu instid0(VALU_DEP_1)
	v_and_or_b32 v4, 0x80, v4, v5
	global_store_b8 v[2:3], v4, off
.LBB167_470:
	s_mov_b32 s47, 0
	s_mov_b32 s46, -1
.LBB167_471:
	s_and_not1_b32 vcc_lo, exec_lo, s47
	s_cbranch_vccnz .LBB167_479
; %bb.472:
	s_cmp_gt_i32 s43, 14
	s_mov_b32 s47, -1
	s_cbranch_scc0 .LBB167_476
; %bb.473:
	s_cmp_eq_u32 s43, 15
	s_mov_b32 s0, -1
	s_cbranch_scc0 .LBB167_475
; %bb.474:
	s_mov_b32 s46, -1
	s_mov_b32 s0, 0
	global_store_b16 v[2:3], v1, off
.LBB167_475:
	s_mov_b32 s47, 0
.LBB167_476:
	s_delay_alu instid0(SALU_CYCLE_1)
	s_and_b32 vcc_lo, exec_lo, s47
	s_cbranch_vccz .LBB167_479
; %bb.477:
	s_cmp_eq_u32 s43, 11
	s_mov_b32 s0, -1
	s_cbranch_scc0 .LBB167_479
; %bb.478:
	s_wait_xcnt 0x0
	v_and_b32_e32 v4, 0x7fff, v1
	s_mov_b32 s0, 0
	s_mov_b32 s46, -1
	s_delay_alu instid0(VALU_DEP_1)
	v_cmp_ne_u16_e32 vcc_lo, 0, v4
	v_cndmask_b32_e64 v4, 0, 1, vcc_lo
	global_store_b8 v[2:3], v4, off
.LBB167_479:
	s_mov_b32 s43, 0
.LBB167_480:
	s_delay_alu instid0(SALU_CYCLE_1)
	s_and_b32 vcc_lo, exec_lo, s43
	s_cbranch_vccz .LBB167_519
; %bb.481:
	s_and_b32 s31, 0xffff, s31
	s_mov_b32 s43, -1
	s_cmp_lt_i32 s31, 5
	s_cbranch_scc1 .LBB167_502
; %bb.482:
	s_cmp_lt_i32 s31, 8
	s_cbranch_scc1 .LBB167_492
; %bb.483:
	;; [unrolled: 3-line block ×3, first 2 shown]
	s_cmp_gt_i32 s31, 9
	s_cbranch_scc0 .LBB167_486
; %bb.485:
	s_wait_xcnt 0x0
	v_dual_lshlrev_b32 v4, 16, v1 :: v_dual_mov_b32 v6, 0
	s_mov_b32 s43, 0
	s_delay_alu instid0(VALU_DEP_1) | instskip(NEXT) | instid1(VALU_DEP_2)
	v_cvt_f64_f32_e32 v[4:5], v4
	v_mov_b32_e32 v7, v6
	global_store_b128 v[2:3], v[4:7], off
.LBB167_486:
	s_and_not1_b32 vcc_lo, exec_lo, s43
	s_cbranch_vccnz .LBB167_488
; %bb.487:
	s_wait_xcnt 0x0
	v_dual_mov_b32 v5, 0 :: v_dual_lshlrev_b32 v4, 16, v1
	global_store_b64 v[2:3], v[4:5], off
.LBB167_488:
	s_mov_b32 s43, 0
.LBB167_489:
	s_delay_alu instid0(SALU_CYCLE_1)
	s_and_not1_b32 vcc_lo, exec_lo, s43
	s_cbranch_vccnz .LBB167_491
; %bb.490:
	s_wait_xcnt 0x0
	v_lshlrev_b32_e32 v4, 16, v1
	s_delay_alu instid0(VALU_DEP_1) | instskip(NEXT) | instid1(VALU_DEP_1)
	v_cvt_f16_f32_e32 v4, v4
	v_and_b32_e32 v4, 0xffff, v4
	global_store_b32 v[2:3], v4, off
.LBB167_491:
	s_mov_b32 s43, 0
.LBB167_492:
	s_delay_alu instid0(SALU_CYCLE_1)
	s_and_not1_b32 vcc_lo, exec_lo, s43
	s_cbranch_vccnz .LBB167_501
; %bb.493:
	s_cmp_lt_i32 s31, 6
	s_mov_b32 s43, -1
	s_cbranch_scc1 .LBB167_499
; %bb.494:
	s_cmp_gt_i32 s31, 6
	s_cbranch_scc0 .LBB167_496
; %bb.495:
	s_wait_xcnt 0x0
	v_lshlrev_b32_e32 v4, 16, v1
	s_mov_b32 s43, 0
	s_delay_alu instid0(VALU_DEP_1)
	v_cvt_f64_f32_e32 v[4:5], v4
	global_store_b64 v[2:3], v[4:5], off
.LBB167_496:
	s_and_not1_b32 vcc_lo, exec_lo, s43
	s_cbranch_vccnz .LBB167_498
; %bb.497:
	s_wait_xcnt 0x0
	v_lshlrev_b32_e32 v4, 16, v1
	global_store_b32 v[2:3], v4, off
.LBB167_498:
	s_mov_b32 s43, 0
.LBB167_499:
	s_delay_alu instid0(SALU_CYCLE_1)
	s_and_not1_b32 vcc_lo, exec_lo, s43
	s_cbranch_vccnz .LBB167_501
; %bb.500:
	s_wait_xcnt 0x0
	v_lshlrev_b32_e32 v4, 16, v1
	s_delay_alu instid0(VALU_DEP_1)
	v_cvt_f16_f32_e32 v4, v4
	global_store_b16 v[2:3], v4, off
.LBB167_501:
	s_mov_b32 s43, 0
.LBB167_502:
	s_delay_alu instid0(SALU_CYCLE_1)
	s_and_not1_b32 vcc_lo, exec_lo, s43
	s_cbranch_vccnz .LBB167_518
; %bb.503:
	s_cmp_lt_i32 s31, 2
	s_mov_b32 s43, -1
	s_cbranch_scc1 .LBB167_513
; %bb.504:
	s_cmp_lt_i32 s31, 3
	s_cbranch_scc1 .LBB167_510
; %bb.505:
	s_cmp_gt_i32 s31, 3
	s_cbranch_scc0 .LBB167_507
; %bb.506:
	s_wait_xcnt 0x0
	v_lshlrev_b32_e32 v4, 16, v1
	s_mov_b32 s43, 0
	s_delay_alu instid0(VALU_DEP_1) | instskip(NEXT) | instid1(VALU_DEP_1)
	v_trunc_f32_e32 v4, v4
	v_mul_f32_e64 v5, 0x2f800000, |v4|
	s_delay_alu instid0(VALU_DEP_1) | instskip(NEXT) | instid1(VALU_DEP_1)
	v_floor_f32_e32 v5, v5
	v_fma_f32 v6, 0xcf800000, v5, |v4|
	v_ashrrev_i32_e32 v4, 31, v4
	v_cvt_u32_f32_e32 v7, v5
	s_delay_alu instid0(VALU_DEP_3) | instskip(NEXT) | instid1(VALU_DEP_2)
	v_cvt_u32_f32_e32 v6, v6
	v_dual_mov_b32 v5, v4 :: v_dual_bitop2_b32 v7, v7, v4 bitop3:0x14
	s_delay_alu instid0(VALU_DEP_2) | instskip(NEXT) | instid1(VALU_DEP_1)
	v_xor_b32_e32 v6, v6, v4
	v_sub_nc_u64_e32 v[4:5], v[6:7], v[4:5]
	global_store_b64 v[2:3], v[4:5], off
.LBB167_507:
	s_and_not1_b32 vcc_lo, exec_lo, s43
	s_cbranch_vccnz .LBB167_509
; %bb.508:
	s_wait_xcnt 0x0
	v_lshlrev_b32_e32 v4, 16, v1
	s_delay_alu instid0(VALU_DEP_1)
	v_cvt_i32_f32_e32 v4, v4
	global_store_b32 v[2:3], v4, off
.LBB167_509:
	s_mov_b32 s43, 0
.LBB167_510:
	s_delay_alu instid0(SALU_CYCLE_1)
	s_and_not1_b32 vcc_lo, exec_lo, s43
	s_cbranch_vccnz .LBB167_512
; %bb.511:
	s_wait_xcnt 0x0
	v_lshlrev_b32_e32 v4, 16, v1
	s_delay_alu instid0(VALU_DEP_1)
	v_cvt_i32_f32_e32 v4, v4
	global_store_b16 v[2:3], v4, off
.LBB167_512:
	s_mov_b32 s43, 0
.LBB167_513:
	s_delay_alu instid0(SALU_CYCLE_1)
	s_and_not1_b32 vcc_lo, exec_lo, s43
	s_cbranch_vccnz .LBB167_518
; %bb.514:
	s_wait_xcnt 0x0
	v_lshlrev_b32_e32 v1, 16, v1
	s_cmp_gt_i32 s31, 0
	s_mov_b32 s31, -1
	s_cbranch_scc0 .LBB167_516
; %bb.515:
	s_delay_alu instid0(VALU_DEP_1)
	v_cvt_i32_f32_e32 v4, v1
	s_mov_b32 s31, 0
	global_store_b8 v[2:3], v4, off
.LBB167_516:
	s_and_not1_b32 vcc_lo, exec_lo, s31
	s_cbranch_vccnz .LBB167_518
; %bb.517:
	v_trunc_f32_e32 v1, v1
	s_wait_xcnt 0x0
	s_delay_alu instid0(VALU_DEP_1) | instskip(NEXT) | instid1(VALU_DEP_1)
	v_mul_f32_e64 v4, 0x2f800000, |v1|
	v_floor_f32_e32 v4, v4
	s_delay_alu instid0(VALU_DEP_1) | instskip(SKIP_1) | instid1(VALU_DEP_2)
	v_fma_f32 v4, 0xcf800000, v4, |v1|
	v_ashrrev_i32_e32 v1, 31, v1
	v_cvt_u32_f32_e32 v4, v4
	s_delay_alu instid0(VALU_DEP_1) | instskip(NEXT) | instid1(VALU_DEP_1)
	v_xor_b32_e32 v4, v4, v1
	v_sub_nc_u32_e32 v1, v4, v1
	global_store_b8 v[2:3], v1, off
.LBB167_518:
	s_mov_b32 s46, -1
.LBB167_519:
	s_delay_alu instid0(SALU_CYCLE_1)
	s_and_not1_b32 vcc_lo, exec_lo, s46
	s_cbranch_vccnz .LBB167_521
; %bb.520:
	v_add_nc_u32_e32 v0, 0x80, v0
	s_mov_b32 s31, -1
	s_branch .LBB167_522
.LBB167_521:
	s_mov_b32 s31, 0
                                        ; implicit-def: $vgpr0
.LBB167_522:
	s_and_b32 s43, s0, exec_lo
	s_and_b32 s46, s30, exec_lo
	;; [unrolled: 1-line block ×4, first 2 shown]
	s_or_not1_b32 s29, s31, exec_lo
.LBB167_523:
	s_wait_xcnt 0x0
	s_or_b32 exec_lo, exec_lo, s49
	s_mov_b32 s30, 0
	s_mov_b32 s28, 0
                                        ; implicit-def: $sgpr0
                                        ; implicit-def: $vgpr8_vgpr9
                                        ; implicit-def: $vgpr2
                                        ; implicit-def: $vgpr4
                                        ; implicit-def: $vgpr6
                                        ; implicit-def: $vgpr10
	s_and_saveexec_b32 s49, s29
	s_cbranch_execz .LBB167_531
; %bb.524:
	s_mov_b32 s31, -1
	s_mov_b32 s50, s48
	s_mov_b32 s53, s47
	;; [unrolled: 1-line block ×4, first 2 shown]
	s_mov_b32 s54, exec_lo
	v_cmpx_gt_i32_e64 s44, v0
	s_cbranch_execz .LBB167_1057
; %bb.525:
	s_and_not1_b32 vcc_lo, exec_lo, s36
	s_cbranch_vccnz .LBB167_534
; %bb.526:
	s_and_not1_b32 vcc_lo, exec_lo, s45
	s_cbranch_vccnz .LBB167_535
; %bb.527:
	s_wait_loadcnt 0x0
	v_dual_mov_b32 v6, 0 :: v_dual_mov_b32 v1, v0
	v_dual_mov_b32 v4, 0 :: v_dual_mov_b32 v2, 0
	v_mov_b32_e32 v8, 0
	s_add_co_i32 s0, s42, 1
	s_mov_b64 s[28:29], 0xffffffffffffffe0
	s_and_b32 s0, s0, 30
	s_add_nc_u64 s[28:29], s[2:3], s[28:29]
	s_mov_b64 s[30:31], s[2:3]
.LBB167_528:                            ; =>This Inner Loop Header: Depth=1
	s_clause 0x1
	s_load_b128 s[64:67], s[30:31], 0x4
	s_load_b64 s[50:51], s[30:31], 0x14
	s_load_b256 s[56:63], s[28:29], 0xe4
	s_add_co_i32 s0, s0, -2
	s_wait_xcnt 0x0
	s_add_nc_u64 s[30:31], s[30:31], 24
	s_cmp_eq_u32 s0, 0
	s_add_nc_u64 s[28:29], s[28:29], 32
	s_wait_kmcnt 0x0
	v_mul_hi_u32 v3, s65, v1
	s_delay_alu instid0(VALU_DEP_1) | instskip(NEXT) | instid1(VALU_DEP_1)
	v_add_nc_u32_e32 v3, v1, v3
	v_lshrrev_b32_e32 v3, s66, v3
	s_delay_alu instid0(VALU_DEP_1) | instskip(SKIP_1) | instid1(VALU_DEP_1)
	v_mul_hi_u32 v5, s50, v3
	v_mul_lo_u32 v7, v3, s64
	v_dual_add_nc_u32 v5, v3, v5 :: v_dual_sub_nc_u32 v7, v1, v7
	s_delay_alu instid0(VALU_DEP_1) | instskip(NEXT) | instid1(VALU_DEP_2)
	v_lshrrev_b32_e32 v1, s51, v5
	v_mad_u32 v8, v7, s57, v8
	v_mad_u32 v2, v7, s56, v2
	;; [unrolled: 1-line block ×4, first 2 shown]
	v_mul_lo_u32 v5, v1, s67
	s_delay_alu instid0(VALU_DEP_1) | instskip(NEXT) | instid1(VALU_DEP_1)
	v_sub_nc_u32_e32 v3, v3, v5
	v_mad_u32 v8, v3, s61, v8
	v_mad_u32 v2, v3, s60, v2
	;; [unrolled: 1-line block ×4, first 2 shown]
	s_cbranch_scc0 .LBB167_528
; %bb.529:
	s_bitcmp1_b32 s42, 0
	s_cselect_b32 s0, -1, 0
	s_delay_alu instid0(SALU_CYCLE_1)
	s_and_b32 vcc_lo, exec_lo, s0
	s_cbranch_vccnz .LBB167_536
; %bb.530:
	s_load_b96 s[60:62], s[30:31], 0x4
	s_load_b128 s[56:59], s[28:29], 0xe4
	s_wait_kmcnt 0x0
	v_mul_hi_u32 v3, s61, v1
	s_delay_alu instid0(VALU_DEP_1) | instskip(NEXT) | instid1(VALU_DEP_1)
	v_add_nc_u32_e32 v3, v1, v3
	v_lshrrev_b32_e32 v3, s62, v3
	s_delay_alu instid0(VALU_DEP_1) | instskip(NEXT) | instid1(VALU_DEP_1)
	v_mul_lo_u32 v3, v3, s60
	v_sub_nc_u32_e32 v1, v1, v3
	s_delay_alu instid0(VALU_DEP_1)
	v_mad_u32 v2, v1, s56, v2
	v_mad_u32 v8, v1, s57, v8
	;; [unrolled: 1-line block ×4, first 2 shown]
	s_branch .LBB167_536
.LBB167_531:
	s_or_b32 exec_lo, exec_lo, s49
	s_mov_b32 s1, 0
	s_and_saveexec_b32 s6, s48
	s_cbranch_execnz .LBB167_1685
.LBB167_532:
	s_or_b32 exec_lo, exec_lo, s6
	s_and_saveexec_b32 s6, s25
	s_delay_alu instid0(SALU_CYCLE_1)
	s_xor_b32 s6, exec_lo, s6
	s_cbranch_execz .LBB167_1686
.LBB167_533:
	s_wait_loadcnt 0x0
	global_load_u8 v0, v[8:9], off
	s_or_b32 s28, s28, exec_lo
	s_wait_loadcnt 0x0
	v_cmp_ne_u16_e32 vcc_lo, 0, v0
	v_cndmask_b32_e64 v0, 0, 1.0, vcc_lo
	s_delay_alu instid0(VALU_DEP_1)
	v_lshrrev_b32_e32 v10, 16, v0
	s_wait_xcnt 0x0
	s_or_b32 exec_lo, exec_lo, s6
	s_and_saveexec_b32 s6, s30
	s_cbranch_execz .LBB167_1732
	s_branch .LBB167_1687
.LBB167_534:
                                        ; implicit-def: $vgpr8
                                        ; implicit-def: $vgpr2
                                        ; implicit-def: $vgpr4
                                        ; implicit-def: $vgpr6
	s_branch .LBB167_537
.LBB167_535:
	s_wait_loadcnt 0x0
	v_dual_mov_b32 v8, 0 :: v_dual_mov_b32 v2, 0
	v_dual_mov_b32 v4, 0 :: v_dual_mov_b32 v6, 0
.LBB167_536:
	s_cbranch_execnz .LBB167_539
.LBB167_537:
	s_wait_loadcnt 0x0
	v_mov_b32_e32 v1, 0
	s_and_not1_b32 vcc_lo, exec_lo, s41
	s_delay_alu instid0(VALU_DEP_1) | instskip(NEXT) | instid1(VALU_DEP_1)
	v_mul_u64_e32 v[2:3], s[24:25], v[0:1]
	v_add_nc_u32_e32 v2, v0, v3
	s_delay_alu instid0(VALU_DEP_1) | instskip(NEXT) | instid1(VALU_DEP_1)
	v_lshrrev_b32_e32 v10, s22, v2
	v_mul_lo_u32 v2, v10, s20
	s_delay_alu instid0(VALU_DEP_1) | instskip(NEXT) | instid1(VALU_DEP_1)
	v_sub_nc_u32_e32 v3, v0, v2
	v_mul_lo_u32 v8, v3, s13
	v_mul_lo_u32 v2, v3, s12
	;; [unrolled: 1-line block ×4, first 2 shown]
	s_cbranch_vccnz .LBB167_539
; %bb.538:
	v_mov_b32_e32 v11, v1
	s_delay_alu instid0(VALU_DEP_1) | instskip(NEXT) | instid1(VALU_DEP_1)
	v_mul_u64_e32 v[12:13], s[26:27], v[10:11]
	v_add_nc_u32_e32 v1, v10, v13
	s_delay_alu instid0(VALU_DEP_1) | instskip(NEXT) | instid1(VALU_DEP_1)
	v_lshrrev_b32_e32 v1, s1, v1
	v_mul_lo_u32 v1, v1, s23
	s_delay_alu instid0(VALU_DEP_1) | instskip(NEXT) | instid1(VALU_DEP_1)
	v_sub_nc_u32_e32 v1, v10, v1
	v_mad_u32 v2, v1, s16, v2
	v_mad_u32 v8, v1, s17, v8
	;; [unrolled: 1-line block ×4, first 2 shown]
.LBB167_539:
	v_mov_b32_e32 v9, 0
	s_and_b32 s0, s40, 0xff
	s_delay_alu instid0(SALU_CYCLE_1) | instskip(SKIP_1) | instid1(VALU_DEP_1)
	s_cmp_lt_i32 s0, 11
	s_wait_loadcnt 0x0
	v_add_nc_u64_e32 v[8:9], s[6:7], v[8:9]
	s_cbranch_scc1 .LBB167_546
; %bb.540:
	s_and_b32 s29, 0xffff, s0
	s_delay_alu instid0(SALU_CYCLE_1)
	s_cmp_gt_i32 s29, 25
	s_cbranch_scc0 .LBB167_555
; %bb.541:
	s_cmp_gt_i32 s29, 28
	s_cbranch_scc0 .LBB167_557
; %bb.542:
	;; [unrolled: 3-line block ×4, first 2 shown]
	s_cmp_eq_u32 s29, 46
	s_mov_b32 s31, 0
	s_cbranch_scc0 .LBB167_563
; %bb.545:
	global_load_b32 v1, v[8:9], off
	s_mov_b32 s30, -1
	s_mov_b32 s28, 0
	s_branch .LBB167_565
.LBB167_546:
	s_mov_b32 s30, 0
	s_mov_b32 s28, s48
                                        ; implicit-def: $vgpr1
	s_cbranch_execnz .LBB167_631
.LBB167_547:
	s_and_not1_b32 vcc_lo, exec_lo, s30
	s_cbranch_vccnz .LBB167_679
.LBB167_548:
	v_mov_b32_e32 v7, 0
	s_and_b32 s0, s39, 0xff
	s_delay_alu instid0(SALU_CYCLE_1) | instskip(NEXT) | instid1(VALU_DEP_1)
	s_cmp_lt_i32 s0, 11
	v_add_nc_u64_e32 v[6:7], s[8:9], v[6:7]
	s_cbranch_scc1 .LBB167_556
; %bb.549:
	s_and_b32 s30, 0xffff, s0
	s_delay_alu instid0(SALU_CYCLE_1)
	s_cmp_gt_i32 s30, 25
	s_cbranch_scc0 .LBB167_558
; %bb.550:
	s_cmp_gt_i32 s30, 28
	s_cbranch_scc0 .LBB167_560
; %bb.551:
	;; [unrolled: 3-line block ×4, first 2 shown]
	s_cmp_eq_u32 s30, 46
	s_mov_b32 s50, 0
	s_cbranch_scc0 .LBB167_682
; %bb.554:
	global_load_b32 v8, v[6:7], off
	s_mov_b32 s31, -1
	s_mov_b32 s29, 0
	s_branch .LBB167_684
.LBB167_555:
	s_mov_b32 s31, -1
	s_mov_b32 s30, 0
	s_mov_b32 s28, s48
                                        ; implicit-def: $vgpr1
	s_branch .LBB167_595
.LBB167_556:
	s_mov_b32 s30, -1
	s_mov_b32 s31, 0
	s_mov_b32 s29, s47
                                        ; implicit-def: $vgpr8
	s_branch .LBB167_749
.LBB167_557:
	s_mov_b32 s31, -1
	s_mov_b32 s30, 0
	s_mov_b32 s28, s48
                                        ; implicit-def: $vgpr1
	s_branch .LBB167_576
.LBB167_558:
	s_mov_b32 s50, -1
	s_mov_b32 s31, 0
	s_mov_b32 s29, s47
                                        ; implicit-def: $vgpr8
	s_branch .LBB167_713
.LBB167_559:
	s_mov_b32 s31, -1
	s_mov_b32 s30, 0
	s_mov_b32 s28, s48
                                        ; implicit-def: $vgpr1
	s_branch .LBB167_571
.LBB167_560:
	s_mov_b32 s50, -1
	s_mov_b32 s31, 0
	s_mov_b32 s29, s47
                                        ; implicit-def: $vgpr8
	s_branch .LBB167_694
.LBB167_561:
	s_mov_b32 s31, -1
	s_mov_b32 s30, 0
	s_mov_b32 s28, s48
	s_branch .LBB167_564
.LBB167_562:
	s_mov_b32 s50, -1
	s_mov_b32 s31, 0
	s_mov_b32 s29, s47
                                        ; implicit-def: $vgpr8
	s_branch .LBB167_689
.LBB167_563:
	s_mov_b32 s28, -1
	s_mov_b32 s30, 0
.LBB167_564:
                                        ; implicit-def: $vgpr1
.LBB167_565:
	s_and_b32 vcc_lo, exec_lo, s31
	s_cbranch_vccz .LBB167_570
; %bb.566:
	s_cmp_eq_u32 s29, 44
	s_cbranch_scc0 .LBB167_569
; %bb.567:
	s_wait_loadcnt 0x0
	global_load_u8 v1, v[8:9], off
	s_mov_b32 s28, 0
	s_mov_b32 s30, -1
	s_wait_loadcnt 0x0
	v_lshlrev_b32_e32 v3, 23, v1
	v_cmp_ne_u32_e32 vcc_lo, 0xff, v1
	s_delay_alu instid0(VALU_DEP_2) | instskip(SKIP_1) | instid1(VALU_DEP_2)
	v_cndmask_b32_e32 v3, 0x7f800001, v3, vcc_lo
	v_cmp_ne_u32_e32 vcc_lo, 0, v1
	v_cndmask_b32_e32 v1, 0x400000, v3, vcc_lo
	s_delay_alu instid0(VALU_DEP_1) | instskip(SKIP_1) | instid1(VALU_DEP_2)
	v_add_nc_u32_e32 v3, 0x7fff, v1
	v_cmp_o_f32_e32 vcc_lo, v1, v1
	v_lshrrev_b32_e32 v3, 16, v3
	s_delay_alu instid0(VALU_DEP_1)
	v_cndmask_b32_e32 v1, 0x7fc0, v3, vcc_lo
	s_branch .LBB167_570
.LBB167_568:
	s_mov_b32 s50, -1
	s_mov_b32 s31, 0
	s_mov_b32 s29, s47
	s_branch .LBB167_683
.LBB167_569:
	s_mov_b32 s28, -1
                                        ; implicit-def: $vgpr1
.LBB167_570:
	s_mov_b32 s31, 0
.LBB167_571:
	s_delay_alu instid0(SALU_CYCLE_1)
	s_and_b32 vcc_lo, exec_lo, s31
	s_cbranch_vccz .LBB167_575
; %bb.572:
	s_cmp_eq_u32 s29, 29
	s_cbranch_scc0 .LBB167_574
; %bb.573:
	global_load_b64 v[10:11], v[8:9], off
	s_mov_b32 s30, -1
	s_mov_b32 s28, 0
	s_mov_b32 s31, 0
	s_wait_loadcnt 0x0
	v_clz_i32_u32_e32 v1, v11
	s_delay_alu instid0(VALU_DEP_1) | instskip(NEXT) | instid1(VALU_DEP_1)
	v_min_u32_e32 v1, 32, v1
	v_lshlrev_b64_e32 v[10:11], v1, v[10:11]
	v_sub_nc_u32_e32 v1, 32, v1
	s_delay_alu instid0(VALU_DEP_2) | instskip(NEXT) | instid1(VALU_DEP_1)
	v_min_u32_e32 v3, 1, v10
	v_or_b32_e32 v3, v11, v3
	s_delay_alu instid0(VALU_DEP_1) | instskip(NEXT) | instid1(VALU_DEP_1)
	v_cvt_f32_u32_e32 v3, v3
	v_ldexp_f32 v1, v3, v1
	s_delay_alu instid0(VALU_DEP_1) | instskip(NEXT) | instid1(VALU_DEP_1)
	v_bfe_u32 v3, v1, 16, 1
	v_add3_u32 v1, v1, v3, 0x7fff
	s_delay_alu instid0(VALU_DEP_1)
	v_lshrrev_b32_e32 v1, 16, v1
	s_branch .LBB167_576
.LBB167_574:
	s_mov_b32 s28, -1
                                        ; implicit-def: $vgpr1
.LBB167_575:
	s_mov_b32 s31, 0
.LBB167_576:
	s_delay_alu instid0(SALU_CYCLE_1)
	s_and_b32 vcc_lo, exec_lo, s31
	s_cbranch_vccz .LBB167_594
; %bb.577:
	s_cmp_lt_i32 s29, 27
	s_cbranch_scc1 .LBB167_580
; %bb.578:
	s_cmp_gt_i32 s29, 27
	s_cbranch_scc0 .LBB167_581
; %bb.579:
	s_wait_loadcnt 0x0
	global_load_b32 v1, v[8:9], off
	s_mov_b32 s30, 0
	s_wait_loadcnt 0x0
	v_cvt_f32_u32_e32 v1, v1
	s_delay_alu instid0(VALU_DEP_1) | instskip(NEXT) | instid1(VALU_DEP_1)
	v_bfe_u32 v3, v1, 16, 1
	v_add3_u32 v1, v1, v3, 0x7fff
	s_delay_alu instid0(VALU_DEP_1)
	v_lshrrev_b32_e32 v1, 16, v1
	s_branch .LBB167_582
.LBB167_580:
	s_mov_b32 s30, -1
                                        ; implicit-def: $vgpr1
	s_branch .LBB167_585
.LBB167_581:
	s_mov_b32 s30, -1
                                        ; implicit-def: $vgpr1
.LBB167_582:
	s_delay_alu instid0(SALU_CYCLE_1)
	s_and_not1_b32 vcc_lo, exec_lo, s30
	s_cbranch_vccnz .LBB167_584
; %bb.583:
	s_wait_loadcnt 0x0
	global_load_u16 v1, v[8:9], off
	s_wait_loadcnt 0x0
	v_cvt_f32_u32_e32 v1, v1
	s_delay_alu instid0(VALU_DEP_1) | instskip(NEXT) | instid1(VALU_DEP_1)
	v_bfe_u32 v3, v1, 16, 1
	v_add3_u32 v1, v1, v3, 0x7fff
	s_delay_alu instid0(VALU_DEP_1)
	v_lshrrev_b32_e32 v1, 16, v1
.LBB167_584:
	s_mov_b32 s30, 0
.LBB167_585:
	s_delay_alu instid0(SALU_CYCLE_1)
	s_and_not1_b32 vcc_lo, exec_lo, s30
	s_cbranch_vccnz .LBB167_593
; %bb.586:
	s_wait_loadcnt 0x0
	global_load_u8 v1, v[8:9], off
	s_mov_b32 s30, 0
	s_mov_b32 s31, exec_lo
	s_wait_loadcnt 0x0
	v_cmpx_lt_i16_e32 0x7f, v1
	s_xor_b32 s31, exec_lo, s31
	s_cbranch_execz .LBB167_607
; %bb.587:
	s_mov_b32 s30, -1
	s_mov_b32 s50, exec_lo
	v_cmpx_eq_u16_e32 0x80, v1
; %bb.588:
	s_xor_b32 s30, exec_lo, -1
; %bb.589:
	s_or_b32 exec_lo, exec_lo, s50
	s_delay_alu instid0(SALU_CYCLE_1)
	s_and_b32 s30, s30, exec_lo
	s_or_saveexec_b32 s31, s31
	v_mov_b32_e32 v3, 0x7f800001
	s_xor_b32 exec_lo, exec_lo, s31
	s_cbranch_execnz .LBB167_608
.LBB167_590:
	s_or_b32 exec_lo, exec_lo, s31
	s_and_saveexec_b32 s31, s30
	s_cbranch_execz .LBB167_592
.LBB167_591:
	v_and_b32_e32 v3, 0xffff, v1
	s_delay_alu instid0(VALU_DEP_1) | instskip(SKIP_1) | instid1(VALU_DEP_2)
	v_dual_lshlrev_b32 v1, 24, v1 :: v_dual_bitop2_b32 v5, 7, v3 bitop3:0x40
	v_bfe_u32 v11, v3, 3, 4
	v_and_b32_e32 v1, 0x80000000, v1
	s_delay_alu instid0(VALU_DEP_3) | instskip(NEXT) | instid1(VALU_DEP_3)
	v_clz_i32_u32_e32 v7, v5
	v_cmp_eq_u32_e32 vcc_lo, 0, v11
	s_delay_alu instid0(VALU_DEP_2) | instskip(NEXT) | instid1(VALU_DEP_1)
	v_min_u32_e32 v7, 32, v7
	v_subrev_nc_u32_e32 v10, 28, v7
	v_sub_nc_u32_e32 v7, 29, v7
	s_delay_alu instid0(VALU_DEP_2) | instskip(NEXT) | instid1(VALU_DEP_2)
	v_lshlrev_b32_e32 v3, v10, v3
	v_cndmask_b32_e32 v7, v11, v7, vcc_lo
	s_delay_alu instid0(VALU_DEP_2) | instskip(NEXT) | instid1(VALU_DEP_1)
	v_and_b32_e32 v3, 7, v3
	v_cndmask_b32_e32 v3, v5, v3, vcc_lo
	s_delay_alu instid0(VALU_DEP_3) | instskip(NEXT) | instid1(VALU_DEP_2)
	v_lshl_add_u32 v5, v7, 23, 0x3b800000
	v_lshlrev_b32_e32 v3, 20, v3
	s_delay_alu instid0(VALU_DEP_1)
	v_or3_b32 v3, v1, v5, v3
.LBB167_592:
	s_or_b32 exec_lo, exec_lo, s31
	s_delay_alu instid0(VALU_DEP_1) | instskip(SKIP_1) | instid1(VALU_DEP_2)
	v_bfe_u32 v1, v3, 16, 1
	v_cmp_o_f32_e32 vcc_lo, v3, v3
	v_add3_u32 v1, v3, v1, 0x7fff
	s_delay_alu instid0(VALU_DEP_1) | instskip(NEXT) | instid1(VALU_DEP_1)
	v_lshrrev_b32_e32 v1, 16, v1
	v_cndmask_b32_e32 v1, 0x7fc0, v1, vcc_lo
.LBB167_593:
	s_mov_b32 s30, -1
.LBB167_594:
	s_mov_b32 s31, 0
.LBB167_595:
	s_delay_alu instid0(SALU_CYCLE_1)
	s_and_b32 vcc_lo, exec_lo, s31
	s_cbranch_vccz .LBB167_630
; %bb.596:
	s_cmp_gt_i32 s29, 22
	s_cbranch_scc0 .LBB167_606
; %bb.597:
	s_cmp_lt_i32 s29, 24
	s_cbranch_scc1 .LBB167_609
; %bb.598:
	s_cmp_gt_i32 s29, 24
	s_cbranch_scc0 .LBB167_610
; %bb.599:
	s_wait_loadcnt 0x0
	global_load_u8 v1, v[8:9], off
	s_mov_b32 s30, 0
	s_mov_b32 s31, exec_lo
	s_wait_loadcnt 0x0
	v_cmpx_lt_i16_e32 0x7f, v1
	s_xor_b32 s31, exec_lo, s31
	s_cbranch_execz .LBB167_622
; %bb.600:
	s_mov_b32 s30, -1
	s_mov_b32 s50, exec_lo
	v_cmpx_eq_u16_e32 0x80, v1
; %bb.601:
	s_xor_b32 s30, exec_lo, -1
; %bb.602:
	s_or_b32 exec_lo, exec_lo, s50
	s_delay_alu instid0(SALU_CYCLE_1)
	s_and_b32 s30, s30, exec_lo
	s_or_saveexec_b32 s31, s31
	v_mov_b32_e32 v3, 0x7f800001
	s_xor_b32 exec_lo, exec_lo, s31
	s_cbranch_execnz .LBB167_623
.LBB167_603:
	s_or_b32 exec_lo, exec_lo, s31
	s_and_saveexec_b32 s31, s30
	s_cbranch_execz .LBB167_605
.LBB167_604:
	v_and_b32_e32 v3, 0xffff, v1
	s_delay_alu instid0(VALU_DEP_1) | instskip(SKIP_1) | instid1(VALU_DEP_2)
	v_dual_lshlrev_b32 v1, 24, v1 :: v_dual_bitop2_b32 v5, 3, v3 bitop3:0x40
	v_bfe_u32 v11, v3, 2, 5
	v_and_b32_e32 v1, 0x80000000, v1
	s_delay_alu instid0(VALU_DEP_3) | instskip(NEXT) | instid1(VALU_DEP_3)
	v_clz_i32_u32_e32 v7, v5
	v_cmp_eq_u32_e32 vcc_lo, 0, v11
	s_delay_alu instid0(VALU_DEP_2) | instskip(NEXT) | instid1(VALU_DEP_1)
	v_min_u32_e32 v7, 32, v7
	v_subrev_nc_u32_e32 v10, 29, v7
	v_sub_nc_u32_e32 v7, 30, v7
	s_delay_alu instid0(VALU_DEP_2) | instskip(NEXT) | instid1(VALU_DEP_2)
	v_lshlrev_b32_e32 v3, v10, v3
	v_cndmask_b32_e32 v7, v11, v7, vcc_lo
	s_delay_alu instid0(VALU_DEP_2) | instskip(NEXT) | instid1(VALU_DEP_1)
	v_and_b32_e32 v3, 3, v3
	v_cndmask_b32_e32 v3, v5, v3, vcc_lo
	s_delay_alu instid0(VALU_DEP_3) | instskip(NEXT) | instid1(VALU_DEP_2)
	v_lshl_add_u32 v5, v7, 23, 0x37800000
	v_lshlrev_b32_e32 v3, 21, v3
	s_delay_alu instid0(VALU_DEP_1)
	v_or3_b32 v3, v1, v5, v3
.LBB167_605:
	s_or_b32 exec_lo, exec_lo, s31
	s_delay_alu instid0(VALU_DEP_1) | instskip(SKIP_2) | instid1(VALU_DEP_2)
	v_bfe_u32 v1, v3, 16, 1
	v_cmp_o_f32_e32 vcc_lo, v3, v3
	s_mov_b32 s30, 0
	v_add3_u32 v1, v3, v1, 0x7fff
	s_delay_alu instid0(VALU_DEP_1) | instskip(NEXT) | instid1(VALU_DEP_1)
	v_lshrrev_b32_e32 v1, 16, v1
	v_cndmask_b32_e32 v1, 0x7fc0, v1, vcc_lo
	s_branch .LBB167_611
.LBB167_606:
	s_mov_b32 s31, -1
                                        ; implicit-def: $vgpr1
	s_branch .LBB167_617
.LBB167_607:
	s_or_saveexec_b32 s31, s31
	v_mov_b32_e32 v3, 0x7f800001
	s_xor_b32 exec_lo, exec_lo, s31
	s_cbranch_execz .LBB167_590
.LBB167_608:
	v_cmp_ne_u16_e32 vcc_lo, 0, v1
	v_mov_b32_e32 v3, 0
	s_and_not1_b32 s30, s30, exec_lo
	s_and_b32 s50, vcc_lo, exec_lo
	s_delay_alu instid0(SALU_CYCLE_1)
	s_or_b32 s30, s30, s50
	s_or_b32 exec_lo, exec_lo, s31
	s_and_saveexec_b32 s31, s30
	s_cbranch_execnz .LBB167_591
	s_branch .LBB167_592
.LBB167_609:
	s_mov_b32 s30, -1
                                        ; implicit-def: $vgpr1
	s_branch .LBB167_614
.LBB167_610:
	s_mov_b32 s30, -1
                                        ; implicit-def: $vgpr1
.LBB167_611:
	s_delay_alu instid0(SALU_CYCLE_1)
	s_and_b32 vcc_lo, exec_lo, s30
	s_cbranch_vccz .LBB167_613
; %bb.612:
	s_wait_loadcnt 0x0
	global_load_u8 v1, v[8:9], off
	s_wait_loadcnt 0x0
	v_lshlrev_b32_e32 v1, 24, v1
	s_delay_alu instid0(VALU_DEP_1) | instskip(NEXT) | instid1(VALU_DEP_1)
	v_and_b32_e32 v3, 0x7f000000, v1
	v_clz_i32_u32_e32 v5, v3
	v_cmp_ne_u32_e32 vcc_lo, 0, v3
	v_add_nc_u32_e32 v10, 0x1000000, v3
	s_delay_alu instid0(VALU_DEP_3) | instskip(NEXT) | instid1(VALU_DEP_1)
	v_min_u32_e32 v5, 32, v5
	v_sub_nc_u32_e64 v5, v5, 4 clamp
	s_delay_alu instid0(VALU_DEP_1) | instskip(NEXT) | instid1(VALU_DEP_1)
	v_dual_lshlrev_b32 v7, v5, v3 :: v_dual_lshlrev_b32 v5, 23, v5
	v_lshrrev_b32_e32 v7, 4, v7
	s_delay_alu instid0(VALU_DEP_1) | instskip(NEXT) | instid1(VALU_DEP_1)
	v_dual_sub_nc_u32 v5, v7, v5 :: v_dual_ashrrev_i32 v7, 8, v10
	v_add_nc_u32_e32 v5, 0x3c000000, v5
	s_delay_alu instid0(VALU_DEP_1) | instskip(NEXT) | instid1(VALU_DEP_1)
	v_and_or_b32 v5, 0x7f800000, v7, v5
	v_cndmask_b32_e32 v3, 0, v5, vcc_lo
	s_delay_alu instid0(VALU_DEP_1) | instskip(SKIP_1) | instid1(VALU_DEP_2)
	v_and_or_b32 v1, 0x80000000, v1, v3
	v_bfe_u32 v3, v3, 16, 1
	v_cmp_o_f32_e32 vcc_lo, v1, v1
	s_delay_alu instid0(VALU_DEP_2) | instskip(NEXT) | instid1(VALU_DEP_1)
	v_add3_u32 v3, v1, v3, 0x7fff
	v_lshrrev_b32_e32 v3, 16, v3
	s_delay_alu instid0(VALU_DEP_1)
	v_cndmask_b32_e32 v1, 0x7fc0, v3, vcc_lo
.LBB167_613:
	s_mov_b32 s30, 0
.LBB167_614:
	s_delay_alu instid0(SALU_CYCLE_1)
	s_and_not1_b32 vcc_lo, exec_lo, s30
	s_cbranch_vccnz .LBB167_616
; %bb.615:
	s_wait_loadcnt 0x0
	global_load_u8 v1, v[8:9], off
	s_wait_loadcnt 0x0
	v_lshlrev_b32_e32 v3, 25, v1
	v_lshlrev_b16 v1, 8, v1
	s_delay_alu instid0(VALU_DEP_1) | instskip(SKIP_1) | instid1(VALU_DEP_2)
	v_and_or_b32 v7, 0x7f00, v1, 0.5
	v_bfe_i32 v1, v1, 0, 16
	v_add_f32_e32 v7, -0.5, v7
	v_lshrrev_b32_e32 v5, 4, v3
	v_cmp_gt_u32_e32 vcc_lo, 0x8000000, v3
	s_delay_alu instid0(VALU_DEP_2) | instskip(NEXT) | instid1(VALU_DEP_1)
	v_or_b32_e32 v5, 0x70000000, v5
	v_mul_f32_e32 v5, 0x7800000, v5
	s_delay_alu instid0(VALU_DEP_1) | instskip(NEXT) | instid1(VALU_DEP_1)
	v_cndmask_b32_e32 v3, v5, v7, vcc_lo
	v_and_or_b32 v1, 0x80000000, v1, v3
	v_bfe_u32 v3, v3, 16, 1
	s_delay_alu instid0(VALU_DEP_2) | instskip(NEXT) | instid1(VALU_DEP_2)
	v_cmp_o_f32_e32 vcc_lo, v1, v1
	v_add3_u32 v3, v1, v3, 0x7fff
	s_delay_alu instid0(VALU_DEP_1) | instskip(NEXT) | instid1(VALU_DEP_1)
	v_lshrrev_b32_e32 v3, 16, v3
	v_cndmask_b32_e32 v1, 0x7fc0, v3, vcc_lo
.LBB167_616:
	s_mov_b32 s31, 0
	s_mov_b32 s30, -1
.LBB167_617:
	s_and_not1_b32 vcc_lo, exec_lo, s31
	s_cbranch_vccnz .LBB167_630
; %bb.618:
	s_cmp_gt_i32 s29, 14
	s_cbranch_scc0 .LBB167_621
; %bb.619:
	s_cmp_eq_u32 s29, 15
	s_cbranch_scc0 .LBB167_624
; %bb.620:
	s_wait_loadcnt 0x0
	global_load_u16 v1, v[8:9], off
	s_mov_b32 s30, -1
	s_mov_b32 s28, 0
	s_branch .LBB167_625
.LBB167_621:
	s_mov_b32 s31, -1
                                        ; implicit-def: $vgpr1
	s_branch .LBB167_626
.LBB167_622:
	s_or_saveexec_b32 s31, s31
	v_mov_b32_e32 v3, 0x7f800001
	s_xor_b32 exec_lo, exec_lo, s31
	s_cbranch_execz .LBB167_603
.LBB167_623:
	v_cmp_ne_u16_e32 vcc_lo, 0, v1
	v_mov_b32_e32 v3, 0
	s_and_not1_b32 s30, s30, exec_lo
	s_and_b32 s50, vcc_lo, exec_lo
	s_delay_alu instid0(SALU_CYCLE_1)
	s_or_b32 s30, s30, s50
	s_or_b32 exec_lo, exec_lo, s31
	s_and_saveexec_b32 s31, s30
	s_cbranch_execnz .LBB167_604
	s_branch .LBB167_605
.LBB167_624:
	s_mov_b32 s28, -1
                                        ; implicit-def: $vgpr1
.LBB167_625:
	s_mov_b32 s31, 0
.LBB167_626:
	s_delay_alu instid0(SALU_CYCLE_1)
	s_and_b32 vcc_lo, exec_lo, s31
	s_cbranch_vccz .LBB167_630
; %bb.627:
	s_cmp_eq_u32 s29, 11
	s_cbranch_scc0 .LBB167_629
; %bb.628:
	s_wait_loadcnt 0x0
	global_load_u8 v1, v[8:9], off
	s_mov_b32 s28, 0
	s_mov_b32 s30, -1
	s_wait_loadcnt 0x0
	v_cmp_ne_u16_e32 vcc_lo, 0, v1
	v_cndmask_b32_e64 v1, 0, 1.0, vcc_lo
	s_delay_alu instid0(VALU_DEP_1)
	v_lshrrev_b32_e32 v1, 16, v1
	s_branch .LBB167_630
.LBB167_629:
	s_mov_b32 s28, -1
                                        ; implicit-def: $vgpr1
.LBB167_630:
	s_branch .LBB167_547
.LBB167_631:
	s_and_b32 s0, 0xffff, s0
	s_delay_alu instid0(SALU_CYCLE_1)
	s_cmp_lt_i32 s0, 5
	s_cbranch_scc1 .LBB167_636
; %bb.632:
	s_cmp_lt_i32 s0, 8
	s_cbranch_scc1 .LBB167_637
; %bb.633:
	;; [unrolled: 3-line block ×3, first 2 shown]
	s_cmp_gt_i32 s0, 9
	s_cbranch_scc0 .LBB167_639
; %bb.635:
	global_load_b64 v[10:11], v[8:9], off
	s_mov_b32 s29, 0
	s_wait_loadcnt 0x0
	v_cvt_f32_f64_e32 v1, v[10:11]
	s_delay_alu instid0(VALU_DEP_1) | instskip(SKIP_1) | instid1(VALU_DEP_2)
	v_bfe_u32 v3, v1, 16, 1
	v_cmp_o_f32_e32 vcc_lo, v1, v1
	v_add3_u32 v3, v1, v3, 0x7fff
	s_delay_alu instid0(VALU_DEP_1) | instskip(NEXT) | instid1(VALU_DEP_1)
	v_lshrrev_b32_e32 v3, 16, v3
	v_cndmask_b32_e32 v1, 0x7fc0, v3, vcc_lo
	s_branch .LBB167_640
.LBB167_636:
	s_mov_b32 s29, -1
                                        ; implicit-def: $vgpr1
	s_branch .LBB167_658
.LBB167_637:
	s_mov_b32 s29, -1
                                        ; implicit-def: $vgpr1
	s_branch .LBB167_646
.LBB167_638:
	s_mov_b32 s29, -1
                                        ; implicit-def: $vgpr1
	s_branch .LBB167_643
.LBB167_639:
	s_mov_b32 s29, -1
                                        ; implicit-def: $vgpr1
.LBB167_640:
	s_delay_alu instid0(SALU_CYCLE_1)
	s_and_not1_b32 vcc_lo, exec_lo, s29
	s_cbranch_vccnz .LBB167_642
; %bb.641:
	s_wait_loadcnt 0x0
	global_load_b32 v1, v[8:9], off
	s_wait_loadcnt 0x0
	v_bfe_u32 v3, v1, 16, 1
	v_cmp_o_f32_e32 vcc_lo, v1, v1
	s_delay_alu instid0(VALU_DEP_2) | instskip(NEXT) | instid1(VALU_DEP_1)
	v_add3_u32 v3, v1, v3, 0x7fff
	v_lshrrev_b32_e32 v3, 16, v3
	s_delay_alu instid0(VALU_DEP_1)
	v_cndmask_b32_e32 v1, 0x7fc0, v3, vcc_lo
.LBB167_642:
	s_mov_b32 s29, 0
.LBB167_643:
	s_delay_alu instid0(SALU_CYCLE_1)
	s_and_not1_b32 vcc_lo, exec_lo, s29
	s_cbranch_vccnz .LBB167_645
; %bb.644:
	s_wait_loadcnt 0x0
	global_load_b32 v1, v[8:9], off
	s_wait_loadcnt 0x0
	v_cvt_f32_f16_e32 v3, v1
	v_cmp_o_f16_e32 vcc_lo, v1, v1
	s_delay_alu instid0(VALU_DEP_2) | instskip(NEXT) | instid1(VALU_DEP_1)
	v_bfe_u32 v5, v3, 16, 1
	v_add3_u32 v3, v3, v5, 0x7fff
	s_delay_alu instid0(VALU_DEP_1) | instskip(NEXT) | instid1(VALU_DEP_1)
	v_lshrrev_b32_e32 v3, 16, v3
	v_cndmask_b32_e32 v1, 0x7fc0, v3, vcc_lo
.LBB167_645:
	s_mov_b32 s29, 0
.LBB167_646:
	s_delay_alu instid0(SALU_CYCLE_1)
	s_and_not1_b32 vcc_lo, exec_lo, s29
	s_cbranch_vccnz .LBB167_657
; %bb.647:
	s_cmp_lt_i32 s0, 6
	s_cbranch_scc1 .LBB167_650
; %bb.648:
	s_cmp_gt_i32 s0, 6
	s_cbranch_scc0 .LBB167_651
; %bb.649:
	global_load_b64 v[10:11], v[8:9], off
	s_mov_b32 s29, 0
	s_wait_loadcnt 0x0
	v_cvt_f32_f64_e32 v1, v[10:11]
	s_delay_alu instid0(VALU_DEP_1) | instskip(SKIP_1) | instid1(VALU_DEP_2)
	v_bfe_u32 v3, v1, 16, 1
	v_cmp_o_f32_e32 vcc_lo, v1, v1
	v_add3_u32 v3, v1, v3, 0x7fff
	s_delay_alu instid0(VALU_DEP_1) | instskip(NEXT) | instid1(VALU_DEP_1)
	v_lshrrev_b32_e32 v3, 16, v3
	v_cndmask_b32_e32 v1, 0x7fc0, v3, vcc_lo
	s_branch .LBB167_652
.LBB167_650:
	s_mov_b32 s29, -1
                                        ; implicit-def: $vgpr1
	s_branch .LBB167_655
.LBB167_651:
	s_mov_b32 s29, -1
                                        ; implicit-def: $vgpr1
.LBB167_652:
	s_delay_alu instid0(SALU_CYCLE_1)
	s_and_not1_b32 vcc_lo, exec_lo, s29
	s_cbranch_vccnz .LBB167_654
; %bb.653:
	s_wait_loadcnt 0x0
	global_load_b32 v1, v[8:9], off
	s_wait_loadcnt 0x0
	v_bfe_u32 v3, v1, 16, 1
	v_cmp_o_f32_e32 vcc_lo, v1, v1
	s_delay_alu instid0(VALU_DEP_2) | instskip(NEXT) | instid1(VALU_DEP_1)
	v_add3_u32 v3, v1, v3, 0x7fff
	v_lshrrev_b32_e32 v3, 16, v3
	s_delay_alu instid0(VALU_DEP_1)
	v_cndmask_b32_e32 v1, 0x7fc0, v3, vcc_lo
.LBB167_654:
	s_mov_b32 s29, 0
.LBB167_655:
	s_delay_alu instid0(SALU_CYCLE_1)
	s_and_not1_b32 vcc_lo, exec_lo, s29
	s_cbranch_vccnz .LBB167_657
; %bb.656:
	s_wait_loadcnt 0x0
	global_load_u16 v1, v[8:9], off
	s_wait_loadcnt 0x0
	v_cvt_f32_f16_e32 v3, v1
	v_cmp_o_f16_e32 vcc_lo, v1, v1
	s_delay_alu instid0(VALU_DEP_2) | instskip(NEXT) | instid1(VALU_DEP_1)
	v_bfe_u32 v5, v3, 16, 1
	v_add3_u32 v3, v3, v5, 0x7fff
	s_delay_alu instid0(VALU_DEP_1) | instskip(NEXT) | instid1(VALU_DEP_1)
	v_lshrrev_b32_e32 v3, 16, v3
	v_cndmask_b32_e32 v1, 0x7fc0, v3, vcc_lo
.LBB167_657:
	s_mov_b32 s29, 0
.LBB167_658:
	s_delay_alu instid0(SALU_CYCLE_1)
	s_and_not1_b32 vcc_lo, exec_lo, s29
	s_cbranch_vccnz .LBB167_678
; %bb.659:
	s_cmp_lt_i32 s0, 2
	s_cbranch_scc1 .LBB167_663
; %bb.660:
	s_cmp_lt_i32 s0, 3
	s_cbranch_scc1 .LBB167_664
; %bb.661:
	s_cmp_gt_i32 s0, 3
	s_cbranch_scc0 .LBB167_665
; %bb.662:
	global_load_b64 v[10:11], v[8:9], off
	s_mov_b32 s29, 0
	s_wait_loadcnt 0x0
	v_xor_b32_e32 v1, v10, v11
	v_cls_i32_e32 v3, v11
	s_delay_alu instid0(VALU_DEP_2) | instskip(NEXT) | instid1(VALU_DEP_1)
	v_ashrrev_i32_e32 v1, 31, v1
	v_add_nc_u32_e32 v1, 32, v1
	s_delay_alu instid0(VALU_DEP_1) | instskip(NEXT) | instid1(VALU_DEP_1)
	v_add_min_u32_e64 v1, v3, -1, v1
	v_lshlrev_b64_e32 v[10:11], v1, v[10:11]
	v_sub_nc_u32_e32 v1, 32, v1
	s_delay_alu instid0(VALU_DEP_2) | instskip(NEXT) | instid1(VALU_DEP_1)
	v_min_u32_e32 v3, 1, v10
	v_or_b32_e32 v3, v11, v3
	s_delay_alu instid0(VALU_DEP_1) | instskip(NEXT) | instid1(VALU_DEP_1)
	v_cvt_f32_i32_e32 v3, v3
	v_ldexp_f32 v1, v3, v1
	s_delay_alu instid0(VALU_DEP_1) | instskip(NEXT) | instid1(VALU_DEP_1)
	v_bfe_u32 v3, v1, 16, 1
	v_add3_u32 v1, v1, v3, 0x7fff
	s_delay_alu instid0(VALU_DEP_1)
	v_lshrrev_b32_e32 v1, 16, v1
	s_branch .LBB167_666
.LBB167_663:
	s_mov_b32 s29, -1
                                        ; implicit-def: $vgpr1
	s_branch .LBB167_672
.LBB167_664:
	s_mov_b32 s29, -1
                                        ; implicit-def: $vgpr1
	s_branch .LBB167_669
.LBB167_665:
	s_mov_b32 s29, -1
                                        ; implicit-def: $vgpr1
.LBB167_666:
	s_delay_alu instid0(SALU_CYCLE_1)
	s_and_not1_b32 vcc_lo, exec_lo, s29
	s_cbranch_vccnz .LBB167_668
; %bb.667:
	s_wait_loadcnt 0x0
	global_load_b32 v1, v[8:9], off
	s_wait_loadcnt 0x0
	v_cvt_f32_i32_e32 v1, v1
	s_delay_alu instid0(VALU_DEP_1) | instskip(NEXT) | instid1(VALU_DEP_1)
	v_bfe_u32 v3, v1, 16, 1
	v_add3_u32 v1, v1, v3, 0x7fff
	s_delay_alu instid0(VALU_DEP_1)
	v_lshrrev_b32_e32 v1, 16, v1
.LBB167_668:
	s_mov_b32 s29, 0
.LBB167_669:
	s_delay_alu instid0(SALU_CYCLE_1)
	s_and_not1_b32 vcc_lo, exec_lo, s29
	s_cbranch_vccnz .LBB167_671
; %bb.670:
	s_wait_loadcnt 0x0
	global_load_i16 v1, v[8:9], off
	s_wait_loadcnt 0x0
	v_cvt_f32_i32_e32 v1, v1
	s_delay_alu instid0(VALU_DEP_1) | instskip(NEXT) | instid1(VALU_DEP_1)
	v_bfe_u32 v3, v1, 16, 1
	v_add3_u32 v1, v1, v3, 0x7fff
	s_delay_alu instid0(VALU_DEP_1)
	v_lshrrev_b32_e32 v1, 16, v1
.LBB167_671:
	s_mov_b32 s29, 0
.LBB167_672:
	s_delay_alu instid0(SALU_CYCLE_1)
	s_and_not1_b32 vcc_lo, exec_lo, s29
	s_cbranch_vccnz .LBB167_678
; %bb.673:
	s_cmp_gt_i32 s0, 0
	s_mov_b32 s0, 0
	s_cbranch_scc0 .LBB167_675
; %bb.674:
	s_wait_loadcnt 0x0
	global_load_i8 v1, v[8:9], off
	s_wait_loadcnt 0x0
	v_cvt_f32_i32_e32 v1, v1
	s_delay_alu instid0(VALU_DEP_1) | instskip(NEXT) | instid1(VALU_DEP_1)
	v_bfe_u32 v3, v1, 16, 1
	v_add3_u32 v1, v1, v3, 0x7fff
	s_delay_alu instid0(VALU_DEP_1)
	v_lshrrev_b32_e32 v1, 16, v1
	s_branch .LBB167_676
.LBB167_675:
	s_mov_b32 s0, -1
                                        ; implicit-def: $vgpr1
.LBB167_676:
	s_delay_alu instid0(SALU_CYCLE_1)
	s_and_not1_b32 vcc_lo, exec_lo, s0
	s_cbranch_vccnz .LBB167_678
; %bb.677:
	s_wait_loadcnt 0x0
	global_load_u8 v1, v[8:9], off
	s_wait_loadcnt 0x0
	v_cvt_f32_ubyte0_e32 v1, v1
	s_delay_alu instid0(VALU_DEP_1) | instskip(NEXT) | instid1(VALU_DEP_1)
	v_bfe_u32 v3, v1, 16, 1
	v_add3_u32 v1, v1, v3, 0x7fff
	s_delay_alu instid0(VALU_DEP_1)
	v_lshrrev_b32_e32 v1, 16, v1
.LBB167_678:
	s_branch .LBB167_548
.LBB167_679:
	s_mov_b32 s31, 0
	s_mov_b32 s0, s43
	;; [unrolled: 1-line block ×4, first 2 shown]
	s_branch .LBB167_1055
.LBB167_680:
	s_and_not1_saveexec_b32 s48, s48
	s_cbranch_execz .LBB167_432
.LBB167_681:
	v_add_f32_e64 v5, 0x46000000, |v6|
	s_and_not1_b32 s47, s47, exec_lo
	s_delay_alu instid0(VALU_DEP_1) | instskip(NEXT) | instid1(VALU_DEP_1)
	v_and_b32_e32 v5, 0xff, v5
	v_cmp_ne_u32_e32 vcc_lo, 0, v5
	s_and_b32 s50, vcc_lo, exec_lo
	s_delay_alu instid0(SALU_CYCLE_1)
	s_or_b32 s47, s47, s50
	s_or_b32 exec_lo, exec_lo, s48
	v_mov_b32_e32 v7, 0
	s_and_saveexec_b32 s48, s47
	s_cbranch_execnz .LBB167_433
	s_branch .LBB167_434
.LBB167_682:
	s_mov_b32 s29, -1
	s_mov_b32 s31, 0
.LBB167_683:
                                        ; implicit-def: $vgpr8
.LBB167_684:
	s_and_b32 vcc_lo, exec_lo, s50
	s_cbranch_vccz .LBB167_688
; %bb.685:
	s_cmp_eq_u32 s30, 44
	s_cbranch_scc0 .LBB167_687
; %bb.686:
	global_load_u8 v3, v[6:7], off
	s_mov_b32 s29, 0
	s_mov_b32 s31, -1
	s_wait_loadcnt 0x0
	v_lshlrev_b32_e32 v5, 23, v3
	v_cmp_ne_u32_e32 vcc_lo, 0xff, v3
	s_delay_alu instid0(VALU_DEP_2) | instskip(SKIP_1) | instid1(VALU_DEP_2)
	v_cndmask_b32_e32 v5, 0x7f800001, v5, vcc_lo
	v_cmp_ne_u32_e32 vcc_lo, 0, v3
	v_cndmask_b32_e32 v3, 0x400000, v5, vcc_lo
	s_delay_alu instid0(VALU_DEP_1) | instskip(SKIP_1) | instid1(VALU_DEP_2)
	v_add_nc_u32_e32 v5, 0x7fff, v3
	v_cmp_o_f32_e32 vcc_lo, v3, v3
	v_lshrrev_b32_e32 v5, 16, v5
	s_wait_xcnt 0x1
	s_delay_alu instid0(VALU_DEP_1)
	v_cndmask_b32_e32 v8, 0x7fc0, v5, vcc_lo
	s_branch .LBB167_688
.LBB167_687:
	s_mov_b32 s29, -1
                                        ; implicit-def: $vgpr8
.LBB167_688:
	s_mov_b32 s50, 0
.LBB167_689:
	s_delay_alu instid0(SALU_CYCLE_1)
	s_and_b32 vcc_lo, exec_lo, s50
	s_cbranch_vccz .LBB167_693
; %bb.690:
	s_cmp_eq_u32 s30, 29
	s_cbranch_scc0 .LBB167_692
; %bb.691:
	s_wait_loadcnt 0x0
	global_load_b64 v[8:9], v[6:7], off
	s_mov_b32 s31, -1
	s_mov_b32 s29, 0
	s_mov_b32 s50, 0
	s_wait_loadcnt 0x0
	v_clz_i32_u32_e32 v3, v9
	s_delay_alu instid0(VALU_DEP_1) | instskip(NEXT) | instid1(VALU_DEP_1)
	v_min_u32_e32 v3, 32, v3
	v_lshlrev_b64_e32 v[8:9], v3, v[8:9]
	v_sub_nc_u32_e32 v3, 32, v3
	s_delay_alu instid0(VALU_DEP_2) | instskip(NEXT) | instid1(VALU_DEP_1)
	v_min_u32_e32 v5, 1, v8
	v_or_b32_e32 v5, v9, v5
	s_delay_alu instid0(VALU_DEP_1) | instskip(NEXT) | instid1(VALU_DEP_1)
	v_cvt_f32_u32_e32 v5, v5
	v_ldexp_f32 v3, v5, v3
	s_delay_alu instid0(VALU_DEP_1) | instskip(NEXT) | instid1(VALU_DEP_1)
	v_bfe_u32 v5, v3, 16, 1
	v_add3_u32 v3, v3, v5, 0x7fff
	s_delay_alu instid0(VALU_DEP_1)
	v_lshrrev_b32_e32 v8, 16, v3
	s_branch .LBB167_694
.LBB167_692:
	s_mov_b32 s29, -1
                                        ; implicit-def: $vgpr8
.LBB167_693:
	s_mov_b32 s50, 0
.LBB167_694:
	s_delay_alu instid0(SALU_CYCLE_1)
	s_and_b32 vcc_lo, exec_lo, s50
	s_cbranch_vccz .LBB167_712
; %bb.695:
	s_cmp_lt_i32 s30, 27
	s_cbranch_scc1 .LBB167_698
; %bb.696:
	s_cmp_gt_i32 s30, 27
	s_cbranch_scc0 .LBB167_699
; %bb.697:
	global_load_b32 v3, v[6:7], off
	s_mov_b32 s31, 0
	s_wait_loadcnt 0x0
	v_cvt_f32_u32_e32 v3, v3
	s_delay_alu instid0(VALU_DEP_1) | instskip(NEXT) | instid1(VALU_DEP_1)
	v_bfe_u32 v5, v3, 16, 1
	v_add3_u32 v3, v3, v5, 0x7fff
	s_wait_xcnt 0x1
	s_delay_alu instid0(VALU_DEP_1)
	v_lshrrev_b32_e32 v8, 16, v3
	s_branch .LBB167_700
.LBB167_698:
	s_mov_b32 s31, -1
                                        ; implicit-def: $vgpr8
	s_branch .LBB167_703
.LBB167_699:
	s_mov_b32 s31, -1
                                        ; implicit-def: $vgpr8
.LBB167_700:
	s_delay_alu instid0(SALU_CYCLE_1)
	s_and_not1_b32 vcc_lo, exec_lo, s31
	s_cbranch_vccnz .LBB167_702
; %bb.701:
	global_load_u16 v3, v[6:7], off
	s_wait_loadcnt 0x0
	v_cvt_f32_u32_e32 v3, v3
	s_delay_alu instid0(VALU_DEP_1) | instskip(NEXT) | instid1(VALU_DEP_1)
	v_bfe_u32 v5, v3, 16, 1
	v_add3_u32 v3, v3, v5, 0x7fff
	s_wait_xcnt 0x1
	s_delay_alu instid0(VALU_DEP_1)
	v_lshrrev_b32_e32 v8, 16, v3
.LBB167_702:
	s_mov_b32 s31, 0
.LBB167_703:
	s_delay_alu instid0(SALU_CYCLE_1)
	s_and_not1_b32 vcc_lo, exec_lo, s31
	s_cbranch_vccnz .LBB167_711
; %bb.704:
	global_load_u8 v3, v[6:7], off
	s_mov_b32 s31, 0
	s_mov_b32 s50, exec_lo
	s_wait_loadcnt 0x0
	v_cmpx_lt_i16_e32 0x7f, v3
	s_xor_b32 s50, exec_lo, s50
	s_cbranch_execz .LBB167_725
; %bb.705:
	s_mov_b32 s31, -1
	s_mov_b32 s51, exec_lo
	v_cmpx_eq_u16_e32 0x80, v3
; %bb.706:
	s_xor_b32 s31, exec_lo, -1
; %bb.707:
	s_or_b32 exec_lo, exec_lo, s51
	s_delay_alu instid0(SALU_CYCLE_1)
	s_and_b32 s31, s31, exec_lo
	s_or_saveexec_b32 s50, s50
	v_mov_b32_e32 v5, 0x7f800001
	s_xor_b32 exec_lo, exec_lo, s50
	s_cbranch_execnz .LBB167_726
.LBB167_708:
	s_or_b32 exec_lo, exec_lo, s50
	s_and_saveexec_b32 s50, s31
	s_cbranch_execz .LBB167_710
.LBB167_709:
	v_and_b32_e32 v5, 0xffff, v3
	s_delay_alu instid0(VALU_DEP_1) | instskip(SKIP_1) | instid1(VALU_DEP_2)
	v_dual_lshlrev_b32 v3, 24, v3 :: v_dual_bitop2_b32 v8, 7, v5 bitop3:0x40
	v_bfe_u32 v11, v5, 3, 4
	v_and_b32_e32 v3, 0x80000000, v3
	s_delay_alu instid0(VALU_DEP_3) | instskip(NEXT) | instid1(VALU_DEP_3)
	v_clz_i32_u32_e32 v9, v8
	v_cmp_eq_u32_e32 vcc_lo, 0, v11
	s_delay_alu instid0(VALU_DEP_2) | instskip(NEXT) | instid1(VALU_DEP_1)
	v_min_u32_e32 v9, 32, v9
	v_subrev_nc_u32_e32 v10, 28, v9
	v_sub_nc_u32_e32 v9, 29, v9
	s_delay_alu instid0(VALU_DEP_2) | instskip(NEXT) | instid1(VALU_DEP_2)
	v_lshlrev_b32_e32 v5, v10, v5
	v_cndmask_b32_e32 v9, v11, v9, vcc_lo
	s_delay_alu instid0(VALU_DEP_2) | instskip(NEXT) | instid1(VALU_DEP_1)
	v_and_b32_e32 v5, 7, v5
	v_cndmask_b32_e32 v5, v8, v5, vcc_lo
	s_delay_alu instid0(VALU_DEP_3) | instskip(NEXT) | instid1(VALU_DEP_2)
	v_lshl_add_u32 v8, v9, 23, 0x3b800000
	v_lshlrev_b32_e32 v5, 20, v5
	s_delay_alu instid0(VALU_DEP_1)
	v_or3_b32 v5, v3, v8, v5
.LBB167_710:
	s_or_b32 exec_lo, exec_lo, s50
	s_delay_alu instid0(VALU_DEP_1) | instskip(SKIP_1) | instid1(VALU_DEP_2)
	v_bfe_u32 v3, v5, 16, 1
	v_cmp_o_f32_e32 vcc_lo, v5, v5
	v_add3_u32 v3, v5, v3, 0x7fff
	s_delay_alu instid0(VALU_DEP_1) | instskip(NEXT) | instid1(VALU_DEP_1)
	v_lshrrev_b32_e32 v3, 16, v3
	v_cndmask_b32_e32 v8, 0x7fc0, v3, vcc_lo
.LBB167_711:
	s_mov_b32 s31, -1
.LBB167_712:
	s_mov_b32 s50, 0
.LBB167_713:
	s_delay_alu instid0(SALU_CYCLE_1)
	s_and_b32 vcc_lo, exec_lo, s50
	s_cbranch_vccz .LBB167_748
; %bb.714:
	s_cmp_gt_i32 s30, 22
	s_cbranch_scc0 .LBB167_724
; %bb.715:
	s_cmp_lt_i32 s30, 24
	s_cbranch_scc1 .LBB167_727
; %bb.716:
	s_cmp_gt_i32 s30, 24
	s_cbranch_scc0 .LBB167_728
; %bb.717:
	global_load_u8 v3, v[6:7], off
	s_mov_b32 s31, 0
	s_mov_b32 s50, exec_lo
	s_wait_loadcnt 0x0
	v_cmpx_lt_i16_e32 0x7f, v3
	s_xor_b32 s50, exec_lo, s50
	s_cbranch_execz .LBB167_740
; %bb.718:
	s_mov_b32 s31, -1
	s_mov_b32 s51, exec_lo
	v_cmpx_eq_u16_e32 0x80, v3
; %bb.719:
	s_xor_b32 s31, exec_lo, -1
; %bb.720:
	s_or_b32 exec_lo, exec_lo, s51
	s_delay_alu instid0(SALU_CYCLE_1)
	s_and_b32 s31, s31, exec_lo
	s_or_saveexec_b32 s50, s50
	v_mov_b32_e32 v5, 0x7f800001
	s_xor_b32 exec_lo, exec_lo, s50
	s_cbranch_execnz .LBB167_741
.LBB167_721:
	s_or_b32 exec_lo, exec_lo, s50
	s_and_saveexec_b32 s50, s31
	s_cbranch_execz .LBB167_723
.LBB167_722:
	v_and_b32_e32 v5, 0xffff, v3
	s_delay_alu instid0(VALU_DEP_1) | instskip(SKIP_1) | instid1(VALU_DEP_2)
	v_dual_lshlrev_b32 v3, 24, v3 :: v_dual_bitop2_b32 v8, 3, v5 bitop3:0x40
	v_bfe_u32 v11, v5, 2, 5
	v_and_b32_e32 v3, 0x80000000, v3
	s_delay_alu instid0(VALU_DEP_3) | instskip(NEXT) | instid1(VALU_DEP_3)
	v_clz_i32_u32_e32 v9, v8
	v_cmp_eq_u32_e32 vcc_lo, 0, v11
	s_delay_alu instid0(VALU_DEP_2) | instskip(NEXT) | instid1(VALU_DEP_1)
	v_min_u32_e32 v9, 32, v9
	v_subrev_nc_u32_e32 v10, 29, v9
	v_sub_nc_u32_e32 v9, 30, v9
	s_delay_alu instid0(VALU_DEP_2) | instskip(NEXT) | instid1(VALU_DEP_2)
	v_lshlrev_b32_e32 v5, v10, v5
	v_cndmask_b32_e32 v9, v11, v9, vcc_lo
	s_delay_alu instid0(VALU_DEP_2) | instskip(NEXT) | instid1(VALU_DEP_1)
	v_and_b32_e32 v5, 3, v5
	v_cndmask_b32_e32 v5, v8, v5, vcc_lo
	s_delay_alu instid0(VALU_DEP_3) | instskip(NEXT) | instid1(VALU_DEP_2)
	v_lshl_add_u32 v8, v9, 23, 0x37800000
	v_lshlrev_b32_e32 v5, 21, v5
	s_delay_alu instid0(VALU_DEP_1)
	v_or3_b32 v5, v3, v8, v5
.LBB167_723:
	s_or_b32 exec_lo, exec_lo, s50
	s_delay_alu instid0(VALU_DEP_1) | instskip(SKIP_2) | instid1(VALU_DEP_2)
	v_bfe_u32 v3, v5, 16, 1
	v_cmp_o_f32_e32 vcc_lo, v5, v5
	s_mov_b32 s31, 0
	v_add3_u32 v3, v5, v3, 0x7fff
	s_delay_alu instid0(VALU_DEP_1) | instskip(NEXT) | instid1(VALU_DEP_1)
	v_lshrrev_b32_e32 v3, 16, v3
	v_cndmask_b32_e32 v8, 0x7fc0, v3, vcc_lo
	s_branch .LBB167_729
.LBB167_724:
	s_mov_b32 s50, -1
                                        ; implicit-def: $vgpr8
	s_branch .LBB167_735
.LBB167_725:
	s_or_saveexec_b32 s50, s50
	v_mov_b32_e32 v5, 0x7f800001
	s_xor_b32 exec_lo, exec_lo, s50
	s_cbranch_execz .LBB167_708
.LBB167_726:
	v_cmp_ne_u16_e32 vcc_lo, 0, v3
	v_mov_b32_e32 v5, 0
	s_and_not1_b32 s31, s31, exec_lo
	s_and_b32 s51, vcc_lo, exec_lo
	s_delay_alu instid0(SALU_CYCLE_1)
	s_or_b32 s31, s31, s51
	s_or_b32 exec_lo, exec_lo, s50
	s_and_saveexec_b32 s50, s31
	s_cbranch_execnz .LBB167_709
	s_branch .LBB167_710
.LBB167_727:
	s_mov_b32 s31, -1
                                        ; implicit-def: $vgpr8
	s_branch .LBB167_732
.LBB167_728:
	s_mov_b32 s31, -1
                                        ; implicit-def: $vgpr8
.LBB167_729:
	s_delay_alu instid0(SALU_CYCLE_1)
	s_and_b32 vcc_lo, exec_lo, s31
	s_cbranch_vccz .LBB167_731
; %bb.730:
	global_load_u8 v3, v[6:7], off
	s_wait_loadcnt 0x0
	v_lshlrev_b32_e32 v3, 24, v3
	s_delay_alu instid0(VALU_DEP_1) | instskip(SKIP_1) | instid1(VALU_DEP_1)
	v_and_b32_e32 v5, 0x7f000000, v3
	s_wait_xcnt 0x1
	v_clz_i32_u32_e32 v8, v5
	v_cmp_ne_u32_e32 vcc_lo, 0, v5
	v_add_nc_u32_e32 v10, 0x1000000, v5
	s_delay_alu instid0(VALU_DEP_3) | instskip(NEXT) | instid1(VALU_DEP_1)
	v_min_u32_e32 v8, 32, v8
	v_sub_nc_u32_e64 v8, v8, 4 clamp
	s_delay_alu instid0(VALU_DEP_1) | instskip(NEXT) | instid1(VALU_DEP_1)
	v_dual_lshlrev_b32 v9, v8, v5 :: v_dual_lshlrev_b32 v8, 23, v8
	v_lshrrev_b32_e32 v9, 4, v9
	s_delay_alu instid0(VALU_DEP_1) | instskip(NEXT) | instid1(VALU_DEP_1)
	v_dual_sub_nc_u32 v8, v9, v8 :: v_dual_ashrrev_i32 v9, 8, v10
	v_add_nc_u32_e32 v8, 0x3c000000, v8
	s_delay_alu instid0(VALU_DEP_1) | instskip(NEXT) | instid1(VALU_DEP_1)
	v_and_or_b32 v8, 0x7f800000, v9, v8
	v_cndmask_b32_e32 v5, 0, v8, vcc_lo
	s_delay_alu instid0(VALU_DEP_1) | instskip(SKIP_1) | instid1(VALU_DEP_2)
	v_and_or_b32 v3, 0x80000000, v3, v5
	v_bfe_u32 v5, v5, 16, 1
	v_cmp_o_f32_e32 vcc_lo, v3, v3
	s_delay_alu instid0(VALU_DEP_2) | instskip(NEXT) | instid1(VALU_DEP_1)
	v_add3_u32 v5, v3, v5, 0x7fff
	v_lshrrev_b32_e32 v5, 16, v5
	s_delay_alu instid0(VALU_DEP_1)
	v_cndmask_b32_e32 v8, 0x7fc0, v5, vcc_lo
.LBB167_731:
	s_mov_b32 s31, 0
.LBB167_732:
	s_delay_alu instid0(SALU_CYCLE_1)
	s_and_not1_b32 vcc_lo, exec_lo, s31
	s_cbranch_vccnz .LBB167_734
; %bb.733:
	global_load_u8 v3, v[6:7], off
	s_wait_loadcnt 0x0
	v_lshlrev_b32_e32 v5, 25, v3
	v_lshlrev_b16 v3, 8, v3
	s_wait_xcnt 0x1
	s_delay_alu instid0(VALU_DEP_1) | instskip(SKIP_1) | instid1(VALU_DEP_2)
	v_and_or_b32 v9, 0x7f00, v3, 0.5
	v_bfe_i32 v3, v3, 0, 16
	v_add_f32_e32 v9, -0.5, v9
	v_lshrrev_b32_e32 v8, 4, v5
	v_cmp_gt_u32_e32 vcc_lo, 0x8000000, v5
	s_delay_alu instid0(VALU_DEP_2) | instskip(NEXT) | instid1(VALU_DEP_1)
	v_or_b32_e32 v8, 0x70000000, v8
	v_mul_f32_e32 v8, 0x7800000, v8
	s_delay_alu instid0(VALU_DEP_1) | instskip(NEXT) | instid1(VALU_DEP_1)
	v_cndmask_b32_e32 v5, v8, v9, vcc_lo
	v_and_or_b32 v3, 0x80000000, v3, v5
	v_bfe_u32 v5, v5, 16, 1
	s_delay_alu instid0(VALU_DEP_2) | instskip(NEXT) | instid1(VALU_DEP_2)
	v_cmp_o_f32_e32 vcc_lo, v3, v3
	v_add3_u32 v5, v3, v5, 0x7fff
	s_delay_alu instid0(VALU_DEP_1) | instskip(NEXT) | instid1(VALU_DEP_1)
	v_lshrrev_b32_e32 v5, 16, v5
	v_cndmask_b32_e32 v8, 0x7fc0, v5, vcc_lo
.LBB167_734:
	s_mov_b32 s50, 0
	s_mov_b32 s31, -1
.LBB167_735:
	s_and_not1_b32 vcc_lo, exec_lo, s50
	s_cbranch_vccnz .LBB167_748
; %bb.736:
	s_cmp_gt_i32 s30, 14
	s_cbranch_scc0 .LBB167_739
; %bb.737:
	s_cmp_eq_u32 s30, 15
	s_cbranch_scc0 .LBB167_742
; %bb.738:
	s_wait_loadcnt 0x0
	global_load_u16 v8, v[6:7], off
	s_mov_b32 s31, -1
	s_mov_b32 s29, 0
	s_branch .LBB167_743
.LBB167_739:
	s_mov_b32 s50, -1
                                        ; implicit-def: $vgpr8
	s_branch .LBB167_744
.LBB167_740:
	s_or_saveexec_b32 s50, s50
	v_mov_b32_e32 v5, 0x7f800001
	s_xor_b32 exec_lo, exec_lo, s50
	s_cbranch_execz .LBB167_721
.LBB167_741:
	v_cmp_ne_u16_e32 vcc_lo, 0, v3
	v_mov_b32_e32 v5, 0
	s_and_not1_b32 s31, s31, exec_lo
	s_and_b32 s51, vcc_lo, exec_lo
	s_delay_alu instid0(SALU_CYCLE_1)
	s_or_b32 s31, s31, s51
	s_or_b32 exec_lo, exec_lo, s50
	s_and_saveexec_b32 s50, s31
	s_cbranch_execnz .LBB167_722
	s_branch .LBB167_723
.LBB167_742:
	s_mov_b32 s29, -1
                                        ; implicit-def: $vgpr8
.LBB167_743:
	s_mov_b32 s50, 0
.LBB167_744:
	s_delay_alu instid0(SALU_CYCLE_1)
	s_and_b32 vcc_lo, exec_lo, s50
	s_cbranch_vccz .LBB167_748
; %bb.745:
	s_cmp_eq_u32 s30, 11
	s_cbranch_scc0 .LBB167_747
; %bb.746:
	global_load_u8 v3, v[6:7], off
	s_mov_b32 s29, 0
	s_mov_b32 s31, -1
	s_wait_loadcnt 0x0
	v_cmp_ne_u16_e32 vcc_lo, 0, v3
	v_cndmask_b32_e64 v3, 0, 1.0, vcc_lo
	s_wait_xcnt 0x1
	s_delay_alu instid0(VALU_DEP_1)
	v_lshrrev_b32_e32 v8, 16, v3
	s_branch .LBB167_748
.LBB167_747:
	s_mov_b32 s29, -1
                                        ; implicit-def: $vgpr8
.LBB167_748:
	s_mov_b32 s30, 0
.LBB167_749:
	s_delay_alu instid0(SALU_CYCLE_1)
	s_and_b32 vcc_lo, exec_lo, s30
	s_cbranch_vccz .LBB167_798
; %bb.750:
	s_and_b32 s0, 0xffff, s0
	s_delay_alu instid0(SALU_CYCLE_1)
	s_cmp_lt_i32 s0, 5
	s_cbranch_scc1 .LBB167_755
; %bb.751:
	s_cmp_lt_i32 s0, 8
	s_cbranch_scc1 .LBB167_756
; %bb.752:
	;; [unrolled: 3-line block ×3, first 2 shown]
	s_cmp_gt_i32 s0, 9
	s_cbranch_scc0 .LBB167_758
; %bb.754:
	s_wait_loadcnt 0x0
	global_load_b64 v[8:9], v[6:7], off
	s_mov_b32 s30, 0
	s_wait_loadcnt 0x0
	v_cvt_f32_f64_e32 v3, v[8:9]
	s_delay_alu instid0(VALU_DEP_1) | instskip(SKIP_1) | instid1(VALU_DEP_2)
	v_bfe_u32 v5, v3, 16, 1
	v_cmp_o_f32_e32 vcc_lo, v3, v3
	v_add3_u32 v5, v3, v5, 0x7fff
	s_delay_alu instid0(VALU_DEP_1) | instskip(NEXT) | instid1(VALU_DEP_1)
	v_lshrrev_b32_e32 v5, 16, v5
	v_cndmask_b32_e32 v8, 0x7fc0, v5, vcc_lo
	s_branch .LBB167_759
.LBB167_755:
	s_mov_b32 s30, -1
                                        ; implicit-def: $vgpr8
	s_branch .LBB167_777
.LBB167_756:
	s_mov_b32 s30, -1
                                        ; implicit-def: $vgpr8
	s_branch .LBB167_765
.LBB167_757:
	s_mov_b32 s30, -1
                                        ; implicit-def: $vgpr8
	s_branch .LBB167_762
.LBB167_758:
	s_mov_b32 s30, -1
                                        ; implicit-def: $vgpr8
.LBB167_759:
	s_delay_alu instid0(SALU_CYCLE_1)
	s_and_not1_b32 vcc_lo, exec_lo, s30
	s_cbranch_vccnz .LBB167_761
; %bb.760:
	global_load_b32 v3, v[6:7], off
	s_wait_loadcnt 0x0
	v_bfe_u32 v5, v3, 16, 1
	v_cmp_o_f32_e32 vcc_lo, v3, v3
	s_delay_alu instid0(VALU_DEP_2) | instskip(NEXT) | instid1(VALU_DEP_1)
	v_add3_u32 v5, v3, v5, 0x7fff
	v_lshrrev_b32_e32 v5, 16, v5
	s_wait_xcnt 0x1
	s_delay_alu instid0(VALU_DEP_1)
	v_cndmask_b32_e32 v8, 0x7fc0, v5, vcc_lo
.LBB167_761:
	s_mov_b32 s30, 0
.LBB167_762:
	s_delay_alu instid0(SALU_CYCLE_1)
	s_and_not1_b32 vcc_lo, exec_lo, s30
	s_cbranch_vccnz .LBB167_764
; %bb.763:
	global_load_b32 v3, v[6:7], off
	s_wait_loadcnt 0x0
	v_cvt_f32_f16_e32 v5, v3
	v_cmp_o_f16_e32 vcc_lo, v3, v3
	s_wait_xcnt 0x1
	s_delay_alu instid0(VALU_DEP_2) | instskip(NEXT) | instid1(VALU_DEP_1)
	v_bfe_u32 v8, v5, 16, 1
	v_add3_u32 v5, v5, v8, 0x7fff
	s_delay_alu instid0(VALU_DEP_1) | instskip(NEXT) | instid1(VALU_DEP_1)
	v_lshrrev_b32_e32 v5, 16, v5
	v_cndmask_b32_e32 v8, 0x7fc0, v5, vcc_lo
.LBB167_764:
	s_mov_b32 s30, 0
.LBB167_765:
	s_delay_alu instid0(SALU_CYCLE_1)
	s_and_not1_b32 vcc_lo, exec_lo, s30
	s_cbranch_vccnz .LBB167_776
; %bb.766:
	s_cmp_lt_i32 s0, 6
	s_cbranch_scc1 .LBB167_769
; %bb.767:
	s_cmp_gt_i32 s0, 6
	s_cbranch_scc0 .LBB167_770
; %bb.768:
	s_wait_loadcnt 0x0
	global_load_b64 v[8:9], v[6:7], off
	s_mov_b32 s30, 0
	s_wait_loadcnt 0x0
	v_cvt_f32_f64_e32 v3, v[8:9]
	s_delay_alu instid0(VALU_DEP_1) | instskip(SKIP_1) | instid1(VALU_DEP_2)
	v_bfe_u32 v5, v3, 16, 1
	v_cmp_o_f32_e32 vcc_lo, v3, v3
	v_add3_u32 v5, v3, v5, 0x7fff
	s_delay_alu instid0(VALU_DEP_1) | instskip(NEXT) | instid1(VALU_DEP_1)
	v_lshrrev_b32_e32 v5, 16, v5
	v_cndmask_b32_e32 v8, 0x7fc0, v5, vcc_lo
	s_branch .LBB167_771
.LBB167_769:
	s_mov_b32 s30, -1
                                        ; implicit-def: $vgpr8
	s_branch .LBB167_774
.LBB167_770:
	s_mov_b32 s30, -1
                                        ; implicit-def: $vgpr8
.LBB167_771:
	s_delay_alu instid0(SALU_CYCLE_1)
	s_and_not1_b32 vcc_lo, exec_lo, s30
	s_cbranch_vccnz .LBB167_773
; %bb.772:
	global_load_b32 v3, v[6:7], off
	s_wait_loadcnt 0x0
	v_bfe_u32 v5, v3, 16, 1
	v_cmp_o_f32_e32 vcc_lo, v3, v3
	s_delay_alu instid0(VALU_DEP_2) | instskip(NEXT) | instid1(VALU_DEP_1)
	v_add3_u32 v5, v3, v5, 0x7fff
	v_lshrrev_b32_e32 v5, 16, v5
	s_wait_xcnt 0x1
	s_delay_alu instid0(VALU_DEP_1)
	v_cndmask_b32_e32 v8, 0x7fc0, v5, vcc_lo
.LBB167_773:
	s_mov_b32 s30, 0
.LBB167_774:
	s_delay_alu instid0(SALU_CYCLE_1)
	s_and_not1_b32 vcc_lo, exec_lo, s30
	s_cbranch_vccnz .LBB167_776
; %bb.775:
	global_load_u16 v3, v[6:7], off
	s_wait_loadcnt 0x0
	v_cvt_f32_f16_e32 v5, v3
	v_cmp_o_f16_e32 vcc_lo, v3, v3
	s_wait_xcnt 0x1
	s_delay_alu instid0(VALU_DEP_2) | instskip(NEXT) | instid1(VALU_DEP_1)
	v_bfe_u32 v8, v5, 16, 1
	v_add3_u32 v5, v5, v8, 0x7fff
	s_delay_alu instid0(VALU_DEP_1) | instskip(NEXT) | instid1(VALU_DEP_1)
	v_lshrrev_b32_e32 v5, 16, v5
	v_cndmask_b32_e32 v8, 0x7fc0, v5, vcc_lo
.LBB167_776:
	s_mov_b32 s30, 0
.LBB167_777:
	s_delay_alu instid0(SALU_CYCLE_1)
	s_and_not1_b32 vcc_lo, exec_lo, s30
	s_cbranch_vccnz .LBB167_797
; %bb.778:
	s_cmp_lt_i32 s0, 2
	s_cbranch_scc1 .LBB167_782
; %bb.779:
	s_cmp_lt_i32 s0, 3
	s_cbranch_scc1 .LBB167_783
; %bb.780:
	s_cmp_gt_i32 s0, 3
	s_cbranch_scc0 .LBB167_784
; %bb.781:
	s_wait_loadcnt 0x0
	global_load_b64 v[8:9], v[6:7], off
	s_mov_b32 s30, 0
	s_wait_loadcnt 0x0
	v_xor_b32_e32 v3, v8, v9
	v_cls_i32_e32 v5, v9
	s_delay_alu instid0(VALU_DEP_2) | instskip(NEXT) | instid1(VALU_DEP_1)
	v_ashrrev_i32_e32 v3, 31, v3
	v_add_nc_u32_e32 v3, 32, v3
	s_delay_alu instid0(VALU_DEP_1) | instskip(NEXT) | instid1(VALU_DEP_1)
	v_add_min_u32_e64 v3, v5, -1, v3
	v_lshlrev_b64_e32 v[8:9], v3, v[8:9]
	v_sub_nc_u32_e32 v3, 32, v3
	s_delay_alu instid0(VALU_DEP_2) | instskip(NEXT) | instid1(VALU_DEP_1)
	v_min_u32_e32 v5, 1, v8
	v_or_b32_e32 v5, v9, v5
	s_delay_alu instid0(VALU_DEP_1) | instskip(NEXT) | instid1(VALU_DEP_1)
	v_cvt_f32_i32_e32 v5, v5
	v_ldexp_f32 v3, v5, v3
	s_delay_alu instid0(VALU_DEP_1) | instskip(NEXT) | instid1(VALU_DEP_1)
	v_bfe_u32 v5, v3, 16, 1
	v_add3_u32 v3, v3, v5, 0x7fff
	s_delay_alu instid0(VALU_DEP_1)
	v_lshrrev_b32_e32 v8, 16, v3
	s_branch .LBB167_785
.LBB167_782:
	s_mov_b32 s30, -1
                                        ; implicit-def: $vgpr8
	s_branch .LBB167_791
.LBB167_783:
	s_mov_b32 s30, -1
                                        ; implicit-def: $vgpr8
	s_branch .LBB167_788
.LBB167_784:
	s_mov_b32 s30, -1
                                        ; implicit-def: $vgpr8
.LBB167_785:
	s_delay_alu instid0(SALU_CYCLE_1)
	s_and_not1_b32 vcc_lo, exec_lo, s30
	s_cbranch_vccnz .LBB167_787
; %bb.786:
	global_load_b32 v3, v[6:7], off
	s_wait_loadcnt 0x0
	v_cvt_f32_i32_e32 v3, v3
	s_delay_alu instid0(VALU_DEP_1) | instskip(NEXT) | instid1(VALU_DEP_1)
	v_bfe_u32 v5, v3, 16, 1
	v_add3_u32 v3, v3, v5, 0x7fff
	s_wait_xcnt 0x1
	s_delay_alu instid0(VALU_DEP_1)
	v_lshrrev_b32_e32 v8, 16, v3
.LBB167_787:
	s_mov_b32 s30, 0
.LBB167_788:
	s_delay_alu instid0(SALU_CYCLE_1)
	s_and_not1_b32 vcc_lo, exec_lo, s30
	s_cbranch_vccnz .LBB167_790
; %bb.789:
	global_load_i16 v3, v[6:7], off
	s_wait_loadcnt 0x0
	v_cvt_f32_i32_e32 v3, v3
	s_delay_alu instid0(VALU_DEP_1) | instskip(NEXT) | instid1(VALU_DEP_1)
	v_bfe_u32 v5, v3, 16, 1
	v_add3_u32 v3, v3, v5, 0x7fff
	s_wait_xcnt 0x1
	s_delay_alu instid0(VALU_DEP_1)
	v_lshrrev_b32_e32 v8, 16, v3
.LBB167_790:
	s_mov_b32 s30, 0
.LBB167_791:
	s_delay_alu instid0(SALU_CYCLE_1)
	s_and_not1_b32 vcc_lo, exec_lo, s30
	s_cbranch_vccnz .LBB167_797
; %bb.792:
	s_cmp_gt_i32 s0, 0
	s_mov_b32 s0, 0
	s_cbranch_scc0 .LBB167_794
; %bb.793:
	global_load_i8 v3, v[6:7], off
	s_wait_loadcnt 0x0
	v_cvt_f32_i32_e32 v3, v3
	s_delay_alu instid0(VALU_DEP_1) | instskip(NEXT) | instid1(VALU_DEP_1)
	v_bfe_u32 v5, v3, 16, 1
	v_add3_u32 v3, v3, v5, 0x7fff
	s_wait_xcnt 0x1
	s_delay_alu instid0(VALU_DEP_1)
	v_lshrrev_b32_e32 v8, 16, v3
	s_branch .LBB167_795
.LBB167_794:
	s_mov_b32 s0, -1
                                        ; implicit-def: $vgpr8
.LBB167_795:
	s_delay_alu instid0(SALU_CYCLE_1)
	s_and_not1_b32 vcc_lo, exec_lo, s0
	s_cbranch_vccnz .LBB167_797
; %bb.796:
	global_load_u8 v3, v[6:7], off
	s_wait_loadcnt 0x0
	v_cvt_f32_ubyte0_e32 v3, v3
	s_delay_alu instid0(VALU_DEP_1) | instskip(NEXT) | instid1(VALU_DEP_1)
	v_bfe_u32 v5, v3, 16, 1
	v_add3_u32 v3, v3, v5, 0x7fff
	s_wait_xcnt 0x1
	s_delay_alu instid0(VALU_DEP_1)
	v_lshrrev_b32_e32 v8, 16, v3
.LBB167_797:
	s_mov_b32 s31, -1
.LBB167_798:
	s_delay_alu instid0(SALU_CYCLE_1)
	s_and_not1_b32 vcc_lo, exec_lo, s31
	s_cbranch_vccnz .LBB167_806
; %bb.799:
	v_mov_b32_e32 v5, 0
	s_and_b32 s0, 0xffff, s21
	s_delay_alu instid0(SALU_CYCLE_1) | instskip(NEXT) | instid1(VALU_DEP_1)
	s_cmp_lt_i32 s0, 11
	v_add_nc_u64_e32 v[4:5], s[10:11], v[4:5]
	s_cbranch_scc1 .LBB167_807
; %bb.800:
	s_cmp_gt_i32 s0, 25
	s_cbranch_scc0 .LBB167_808
; %bb.801:
	s_cmp_gt_i32 s0, 28
	s_cbranch_scc0 .LBB167_809
; %bb.802:
	s_cmp_gt_i32 s0, 43
	s_cbranch_scc0 .LBB167_810
; %bb.803:
	s_cmp_gt_i32 s0, 45
	s_cbranch_scc0 .LBB167_811
; %bb.804:
	s_cmp_eq_u32 s0, 46
	s_mov_b32 s50, 0
	s_cbranch_scc0 .LBB167_814
; %bb.805:
	global_load_b32 v3, v[4:5], off
	s_mov_b32 s31, -1
	s_mov_b32 s30, 0
	s_branch .LBB167_816
.LBB167_806:
	s_mov_b32 s31, 0
	s_mov_b32 s0, s43
	;; [unrolled: 1-line block ×3, first 2 shown]
	s_branch .LBB167_1055
.LBB167_807:
	s_mov_b32 s50, -1
	s_mov_b32 s31, 0
	s_mov_b32 s30, s46
                                        ; implicit-def: $vgpr3
	s_branch .LBB167_881
.LBB167_808:
	s_mov_b32 s50, -1
	s_mov_b32 s31, 0
	s_mov_b32 s30, s46
                                        ; implicit-def: $vgpr3
	s_branch .LBB167_845
.LBB167_809:
	s_mov_b32 s50, -1
	s_mov_b32 s31, 0
	s_mov_b32 s30, s46
                                        ; implicit-def: $vgpr3
	s_branch .LBB167_826
.LBB167_810:
	s_mov_b32 s50, -1
	s_mov_b32 s31, 0
	s_mov_b32 s30, s46
                                        ; implicit-def: $vgpr3
	s_branch .LBB167_821
.LBB167_811:
	s_mov_b32 s50, -1
	s_mov_b32 s31, 0
	s_mov_b32 s30, s46
	s_branch .LBB167_815
.LBB167_812:
	s_and_not1_saveexec_b32 s48, s48
	s_cbranch_execz .LBB167_445
.LBB167_813:
	v_add_f32_e64 v5, 0x42800000, |v6|
	s_and_not1_b32 s47, s47, exec_lo
	s_delay_alu instid0(VALU_DEP_1) | instskip(NEXT) | instid1(VALU_DEP_1)
	v_and_b32_e32 v5, 0xff, v5
	v_cmp_ne_u32_e32 vcc_lo, 0, v5
	s_and_b32 s50, vcc_lo, exec_lo
	s_delay_alu instid0(SALU_CYCLE_1)
	s_or_b32 s47, s47, s50
	s_or_b32 exec_lo, exec_lo, s48
	v_mov_b32_e32 v7, 0
	s_and_saveexec_b32 s48, s47
	s_cbranch_execnz .LBB167_446
	s_branch .LBB167_447
.LBB167_814:
	s_mov_b32 s30, -1
	s_mov_b32 s31, 0
.LBB167_815:
                                        ; implicit-def: $vgpr3
.LBB167_816:
	s_and_b32 vcc_lo, exec_lo, s50
	s_cbranch_vccz .LBB167_820
; %bb.817:
	s_cmp_eq_u32 s0, 44
	s_cbranch_scc0 .LBB167_819
; %bb.818:
	s_wait_loadcnt 0x0
	global_load_u8 v3, v[4:5], off
	s_mov_b32 s30, 0
	s_mov_b32 s31, -1
	s_wait_loadcnt 0x0
	s_wait_xcnt 0x1
	v_lshlrev_b32_e32 v6, 23, v3
	v_cmp_ne_u32_e32 vcc_lo, 0xff, v3
	s_delay_alu instid0(VALU_DEP_2) | instskip(SKIP_1) | instid1(VALU_DEP_2)
	v_cndmask_b32_e32 v6, 0x7f800001, v6, vcc_lo
	v_cmp_ne_u32_e32 vcc_lo, 0, v3
	v_cndmask_b32_e32 v3, 0x400000, v6, vcc_lo
	s_delay_alu instid0(VALU_DEP_1) | instskip(NEXT) | instid1(VALU_DEP_1)
	v_add_nc_u32_e32 v6, 0x7fff, v3
	v_lshrrev_b32_e32 v6, 16, v6
	v_cmp_o_f32_e32 vcc_lo, v3, v3
	s_delay_alu instid0(VALU_DEP_2)
	v_cndmask_b32_e32 v3, 0x7fc0, v6, vcc_lo
	s_branch .LBB167_820
.LBB167_819:
	s_mov_b32 s30, -1
                                        ; implicit-def: $vgpr3
.LBB167_820:
	s_mov_b32 s50, 0
.LBB167_821:
	s_delay_alu instid0(SALU_CYCLE_1)
	s_and_b32 vcc_lo, exec_lo, s50
	s_cbranch_vccz .LBB167_825
; %bb.822:
	s_cmp_eq_u32 s0, 29
	s_cbranch_scc0 .LBB167_824
; %bb.823:
	global_load_b64 v[6:7], v[4:5], off
	s_mov_b32 s31, -1
	s_mov_b32 s30, 0
	s_mov_b32 s50, 0
	s_wait_loadcnt 0x0
	v_clz_i32_u32_e32 v3, v7
	s_delay_alu instid0(VALU_DEP_1) | instskip(NEXT) | instid1(VALU_DEP_1)
	v_min_u32_e32 v3, 32, v3
	v_lshlrev_b64_e32 v[6:7], v3, v[6:7]
	v_sub_nc_u32_e32 v3, 32, v3
	s_delay_alu instid0(VALU_DEP_2) | instskip(NEXT) | instid1(VALU_DEP_1)
	v_min_u32_e32 v6, 1, v6
	v_or_b32_e32 v6, v7, v6
	s_delay_alu instid0(VALU_DEP_1) | instskip(NEXT) | instid1(VALU_DEP_1)
	v_cvt_f32_u32_e32 v6, v6
	v_ldexp_f32 v3, v6, v3
	s_delay_alu instid0(VALU_DEP_1) | instskip(NEXT) | instid1(VALU_DEP_1)
	v_bfe_u32 v6, v3, 16, 1
	v_add3_u32 v3, v3, v6, 0x7fff
	s_delay_alu instid0(VALU_DEP_1)
	v_lshrrev_b32_e32 v3, 16, v3
	s_branch .LBB167_826
.LBB167_824:
	s_mov_b32 s30, -1
                                        ; implicit-def: $vgpr3
.LBB167_825:
	s_mov_b32 s50, 0
.LBB167_826:
	s_delay_alu instid0(SALU_CYCLE_1)
	s_and_b32 vcc_lo, exec_lo, s50
	s_cbranch_vccz .LBB167_844
; %bb.827:
	s_cmp_lt_i32 s0, 27
	s_cbranch_scc1 .LBB167_830
; %bb.828:
	s_cmp_gt_i32 s0, 27
	s_cbranch_scc0 .LBB167_831
; %bb.829:
	s_wait_loadcnt 0x0
	global_load_b32 v3, v[4:5], off
	s_mov_b32 s31, 0
	s_wait_loadcnt 0x0
	v_cvt_f32_u32_e32 v3, v3
	s_wait_xcnt 0x1
	s_delay_alu instid0(VALU_DEP_1) | instskip(NEXT) | instid1(VALU_DEP_1)
	v_bfe_u32 v6, v3, 16, 1
	v_add3_u32 v3, v3, v6, 0x7fff
	s_delay_alu instid0(VALU_DEP_1)
	v_lshrrev_b32_e32 v3, 16, v3
	s_branch .LBB167_832
.LBB167_830:
	s_mov_b32 s31, -1
                                        ; implicit-def: $vgpr3
	s_branch .LBB167_835
.LBB167_831:
	s_mov_b32 s31, -1
                                        ; implicit-def: $vgpr3
.LBB167_832:
	s_delay_alu instid0(SALU_CYCLE_1)
	s_and_not1_b32 vcc_lo, exec_lo, s31
	s_cbranch_vccnz .LBB167_834
; %bb.833:
	s_wait_loadcnt 0x0
	global_load_u16 v3, v[4:5], off
	s_wait_loadcnt 0x0
	v_cvt_f32_u32_e32 v3, v3
	s_wait_xcnt 0x1
	s_delay_alu instid0(VALU_DEP_1) | instskip(NEXT) | instid1(VALU_DEP_1)
	v_bfe_u32 v6, v3, 16, 1
	v_add3_u32 v3, v3, v6, 0x7fff
	s_delay_alu instid0(VALU_DEP_1)
	v_lshrrev_b32_e32 v3, 16, v3
.LBB167_834:
	s_mov_b32 s31, 0
.LBB167_835:
	s_delay_alu instid0(SALU_CYCLE_1)
	s_and_not1_b32 vcc_lo, exec_lo, s31
	s_cbranch_vccnz .LBB167_843
; %bb.836:
	s_wait_loadcnt 0x0
	global_load_u8 v3, v[4:5], off
	s_mov_b32 s31, 0
	s_mov_b32 s50, exec_lo
	s_wait_loadcnt 0x0
	v_cmpx_lt_i16_e32 0x7f, v3
	s_xor_b32 s50, exec_lo, s50
	s_cbranch_execz .LBB167_857
; %bb.837:
	s_mov_b32 s31, -1
	s_mov_b32 s51, exec_lo
	v_cmpx_eq_u16_e32 0x80, v3
; %bb.838:
	s_xor_b32 s31, exec_lo, -1
; %bb.839:
	s_or_b32 exec_lo, exec_lo, s51
	s_delay_alu instid0(SALU_CYCLE_1)
	s_and_b32 s31, s31, exec_lo
	s_or_saveexec_b32 s50, s50
	v_mov_b32_e32 v6, 0x7f800001
	s_xor_b32 exec_lo, exec_lo, s50
	s_cbranch_execnz .LBB167_858
.LBB167_840:
	s_or_b32 exec_lo, exec_lo, s50
	s_and_saveexec_b32 s50, s31
	s_cbranch_execz .LBB167_842
.LBB167_841:
	v_and_b32_e32 v6, 0xffff, v3
	s_delay_alu instid0(VALU_DEP_1) | instskip(SKIP_1) | instid1(VALU_DEP_2)
	v_and_b32_e32 v7, 7, v6
	v_bfe_u32 v11, v6, 3, 4
	v_clz_i32_u32_e32 v9, v7
	s_delay_alu instid0(VALU_DEP_2) | instskip(NEXT) | instid1(VALU_DEP_2)
	v_cmp_eq_u32_e32 vcc_lo, 0, v11
	v_min_u32_e32 v9, 32, v9
	s_delay_alu instid0(VALU_DEP_1) | instskip(NEXT) | instid1(VALU_DEP_1)
	v_subrev_nc_u32_e32 v10, 28, v9
	v_dual_lshlrev_b32 v6, v10, v6 :: v_dual_sub_nc_u32 v9, 29, v9
	s_delay_alu instid0(VALU_DEP_1) | instskip(NEXT) | instid1(VALU_DEP_2)
	v_dual_lshlrev_b32 v3, 24, v3 :: v_dual_bitop2_b32 v6, 7, v6 bitop3:0x40
	v_cndmask_b32_e32 v9, v11, v9, vcc_lo
	s_delay_alu instid0(VALU_DEP_2) | instskip(NEXT) | instid1(VALU_DEP_3)
	v_cndmask_b32_e32 v6, v7, v6, vcc_lo
	v_and_b32_e32 v3, 0x80000000, v3
	s_delay_alu instid0(VALU_DEP_3) | instskip(NEXT) | instid1(VALU_DEP_3)
	v_lshl_add_u32 v7, v9, 23, 0x3b800000
	v_lshlrev_b32_e32 v6, 20, v6
	s_delay_alu instid0(VALU_DEP_1)
	v_or3_b32 v6, v3, v7, v6
.LBB167_842:
	s_or_b32 exec_lo, exec_lo, s50
	s_delay_alu instid0(VALU_DEP_1) | instskip(SKIP_1) | instid1(VALU_DEP_2)
	v_bfe_u32 v3, v6, 16, 1
	v_cmp_o_f32_e32 vcc_lo, v6, v6
	v_add3_u32 v3, v6, v3, 0x7fff
	s_delay_alu instid0(VALU_DEP_1) | instskip(NEXT) | instid1(VALU_DEP_1)
	v_lshrrev_b32_e32 v3, 16, v3
	v_cndmask_b32_e32 v3, 0x7fc0, v3, vcc_lo
.LBB167_843:
	s_mov_b32 s31, -1
.LBB167_844:
	s_mov_b32 s50, 0
.LBB167_845:
	s_delay_alu instid0(SALU_CYCLE_1)
	s_and_b32 vcc_lo, exec_lo, s50
	s_cbranch_vccz .LBB167_880
; %bb.846:
	s_cmp_gt_i32 s0, 22
	s_cbranch_scc0 .LBB167_856
; %bb.847:
	s_cmp_lt_i32 s0, 24
	s_cbranch_scc1 .LBB167_859
; %bb.848:
	s_cmp_gt_i32 s0, 24
	s_cbranch_scc0 .LBB167_860
; %bb.849:
	s_wait_loadcnt 0x0
	global_load_u8 v3, v[4:5], off
	s_mov_b32 s31, 0
	s_mov_b32 s50, exec_lo
	s_wait_loadcnt 0x0
	v_cmpx_lt_i16_e32 0x7f, v3
	s_xor_b32 s50, exec_lo, s50
	s_cbranch_execz .LBB167_872
; %bb.850:
	s_mov_b32 s31, -1
	s_mov_b32 s51, exec_lo
	v_cmpx_eq_u16_e32 0x80, v3
; %bb.851:
	s_xor_b32 s31, exec_lo, -1
; %bb.852:
	s_or_b32 exec_lo, exec_lo, s51
	s_delay_alu instid0(SALU_CYCLE_1)
	s_and_b32 s31, s31, exec_lo
	s_or_saveexec_b32 s50, s50
	v_mov_b32_e32 v6, 0x7f800001
	s_xor_b32 exec_lo, exec_lo, s50
	s_cbranch_execnz .LBB167_873
.LBB167_853:
	s_or_b32 exec_lo, exec_lo, s50
	s_and_saveexec_b32 s50, s31
	s_cbranch_execz .LBB167_855
.LBB167_854:
	v_and_b32_e32 v6, 0xffff, v3
	s_delay_alu instid0(VALU_DEP_1) | instskip(SKIP_1) | instid1(VALU_DEP_2)
	v_and_b32_e32 v7, 3, v6
	v_bfe_u32 v11, v6, 2, 5
	v_clz_i32_u32_e32 v9, v7
	s_delay_alu instid0(VALU_DEP_2) | instskip(NEXT) | instid1(VALU_DEP_2)
	v_cmp_eq_u32_e32 vcc_lo, 0, v11
	v_min_u32_e32 v9, 32, v9
	s_delay_alu instid0(VALU_DEP_1) | instskip(NEXT) | instid1(VALU_DEP_1)
	v_subrev_nc_u32_e32 v10, 29, v9
	v_dual_lshlrev_b32 v6, v10, v6 :: v_dual_sub_nc_u32 v9, 30, v9
	s_delay_alu instid0(VALU_DEP_1) | instskip(NEXT) | instid1(VALU_DEP_2)
	v_dual_lshlrev_b32 v3, 24, v3 :: v_dual_bitop2_b32 v6, 3, v6 bitop3:0x40
	v_cndmask_b32_e32 v9, v11, v9, vcc_lo
	s_delay_alu instid0(VALU_DEP_2) | instskip(NEXT) | instid1(VALU_DEP_3)
	v_cndmask_b32_e32 v6, v7, v6, vcc_lo
	v_and_b32_e32 v3, 0x80000000, v3
	s_delay_alu instid0(VALU_DEP_3) | instskip(NEXT) | instid1(VALU_DEP_3)
	v_lshl_add_u32 v7, v9, 23, 0x37800000
	v_lshlrev_b32_e32 v6, 21, v6
	s_delay_alu instid0(VALU_DEP_1)
	v_or3_b32 v6, v3, v7, v6
.LBB167_855:
	s_or_b32 exec_lo, exec_lo, s50
	s_delay_alu instid0(VALU_DEP_1) | instskip(SKIP_2) | instid1(VALU_DEP_2)
	v_bfe_u32 v3, v6, 16, 1
	v_cmp_o_f32_e32 vcc_lo, v6, v6
	s_mov_b32 s31, 0
	v_add3_u32 v3, v6, v3, 0x7fff
	s_delay_alu instid0(VALU_DEP_1) | instskip(NEXT) | instid1(VALU_DEP_1)
	v_lshrrev_b32_e32 v3, 16, v3
	v_cndmask_b32_e32 v3, 0x7fc0, v3, vcc_lo
	s_branch .LBB167_861
.LBB167_856:
	s_mov_b32 s50, -1
                                        ; implicit-def: $vgpr3
	s_branch .LBB167_867
.LBB167_857:
	s_or_saveexec_b32 s50, s50
	v_mov_b32_e32 v6, 0x7f800001
	s_xor_b32 exec_lo, exec_lo, s50
	s_cbranch_execz .LBB167_840
.LBB167_858:
	v_cmp_ne_u16_e32 vcc_lo, 0, v3
	v_mov_b32_e32 v6, 0
	s_and_not1_b32 s31, s31, exec_lo
	s_and_b32 s51, vcc_lo, exec_lo
	s_delay_alu instid0(SALU_CYCLE_1)
	s_or_b32 s31, s31, s51
	s_or_b32 exec_lo, exec_lo, s50
	s_and_saveexec_b32 s50, s31
	s_cbranch_execnz .LBB167_841
	s_branch .LBB167_842
.LBB167_859:
	s_mov_b32 s31, -1
                                        ; implicit-def: $vgpr3
	s_branch .LBB167_864
.LBB167_860:
	s_mov_b32 s31, -1
                                        ; implicit-def: $vgpr3
.LBB167_861:
	s_delay_alu instid0(SALU_CYCLE_1)
	s_and_b32 vcc_lo, exec_lo, s31
	s_cbranch_vccz .LBB167_863
; %bb.862:
	s_wait_loadcnt 0x0
	global_load_u8 v3, v[4:5], off
	s_wait_loadcnt 0x0
	v_lshlrev_b32_e32 v3, 24, v3
	s_wait_xcnt 0x1
	s_delay_alu instid0(VALU_DEP_1) | instskip(NEXT) | instid1(VALU_DEP_1)
	v_and_b32_e32 v6, 0x7f000000, v3
	v_clz_i32_u32_e32 v7, v6
	v_add_nc_u32_e32 v10, 0x1000000, v6
	v_cmp_ne_u32_e32 vcc_lo, 0, v6
	s_delay_alu instid0(VALU_DEP_3) | instskip(NEXT) | instid1(VALU_DEP_1)
	v_min_u32_e32 v7, 32, v7
	v_sub_nc_u32_e64 v7, v7, 4 clamp
	s_delay_alu instid0(VALU_DEP_1) | instskip(NEXT) | instid1(VALU_DEP_1)
	v_dual_lshlrev_b32 v9, v7, v6 :: v_dual_lshlrev_b32 v7, 23, v7
	v_lshrrev_b32_e32 v9, 4, v9
	s_delay_alu instid0(VALU_DEP_1) | instskip(NEXT) | instid1(VALU_DEP_1)
	v_dual_sub_nc_u32 v7, v9, v7 :: v_dual_ashrrev_i32 v9, 8, v10
	v_add_nc_u32_e32 v7, 0x3c000000, v7
	s_delay_alu instid0(VALU_DEP_1) | instskip(NEXT) | instid1(VALU_DEP_1)
	v_and_or_b32 v7, 0x7f800000, v9, v7
	v_cndmask_b32_e32 v6, 0, v7, vcc_lo
	s_delay_alu instid0(VALU_DEP_1) | instskip(SKIP_1) | instid1(VALU_DEP_2)
	v_and_or_b32 v3, 0x80000000, v3, v6
	v_bfe_u32 v6, v6, 16, 1
	v_cmp_o_f32_e32 vcc_lo, v3, v3
	s_delay_alu instid0(VALU_DEP_2) | instskip(NEXT) | instid1(VALU_DEP_1)
	v_add3_u32 v6, v3, v6, 0x7fff
	v_lshrrev_b32_e32 v6, 16, v6
	s_delay_alu instid0(VALU_DEP_1)
	v_cndmask_b32_e32 v3, 0x7fc0, v6, vcc_lo
.LBB167_863:
	s_mov_b32 s31, 0
.LBB167_864:
	s_delay_alu instid0(SALU_CYCLE_1)
	s_and_not1_b32 vcc_lo, exec_lo, s31
	s_cbranch_vccnz .LBB167_866
; %bb.865:
	s_wait_loadcnt 0x0
	global_load_u8 v3, v[4:5], off
	s_wait_loadcnt 0x0
	s_wait_xcnt 0x1
	v_lshlrev_b32_e32 v6, 25, v3
	v_lshlrev_b16 v3, 8, v3
	s_delay_alu instid0(VALU_DEP_1) | instskip(SKIP_1) | instid1(VALU_DEP_2)
	v_and_or_b32 v9, 0x7f00, v3, 0.5
	v_bfe_i32 v3, v3, 0, 16
	v_dual_add_f32 v9, -0.5, v9 :: v_dual_lshrrev_b32 v7, 4, v6
	v_cmp_gt_u32_e32 vcc_lo, 0x8000000, v6
	s_delay_alu instid0(VALU_DEP_2) | instskip(NEXT) | instid1(VALU_DEP_1)
	v_or_b32_e32 v7, 0x70000000, v7
	v_mul_f32_e32 v7, 0x7800000, v7
	s_delay_alu instid0(VALU_DEP_1) | instskip(NEXT) | instid1(VALU_DEP_1)
	v_cndmask_b32_e32 v6, v7, v9, vcc_lo
	v_and_or_b32 v3, 0x80000000, v3, v6
	v_bfe_u32 v6, v6, 16, 1
	s_delay_alu instid0(VALU_DEP_2) | instskip(NEXT) | instid1(VALU_DEP_2)
	v_cmp_o_f32_e32 vcc_lo, v3, v3
	v_add3_u32 v6, v3, v6, 0x7fff
	s_delay_alu instid0(VALU_DEP_1) | instskip(NEXT) | instid1(VALU_DEP_1)
	v_lshrrev_b32_e32 v6, 16, v6
	v_cndmask_b32_e32 v3, 0x7fc0, v6, vcc_lo
.LBB167_866:
	s_mov_b32 s50, 0
	s_mov_b32 s31, -1
.LBB167_867:
	s_and_not1_b32 vcc_lo, exec_lo, s50
	s_cbranch_vccnz .LBB167_880
; %bb.868:
	s_cmp_gt_i32 s0, 14
	s_cbranch_scc0 .LBB167_871
; %bb.869:
	s_cmp_eq_u32 s0, 15
	s_cbranch_scc0 .LBB167_874
; %bb.870:
	s_wait_loadcnt 0x0
	global_load_u16 v3, v[4:5], off
	s_mov_b32 s31, -1
	s_mov_b32 s30, 0
	s_branch .LBB167_875
.LBB167_871:
	s_mov_b32 s50, -1
                                        ; implicit-def: $vgpr3
	s_branch .LBB167_876
.LBB167_872:
	s_or_saveexec_b32 s50, s50
	v_mov_b32_e32 v6, 0x7f800001
	s_xor_b32 exec_lo, exec_lo, s50
	s_cbranch_execz .LBB167_853
.LBB167_873:
	v_cmp_ne_u16_e32 vcc_lo, 0, v3
	v_mov_b32_e32 v6, 0
	s_and_not1_b32 s31, s31, exec_lo
	s_and_b32 s51, vcc_lo, exec_lo
	s_delay_alu instid0(SALU_CYCLE_1)
	s_or_b32 s31, s31, s51
	s_or_b32 exec_lo, exec_lo, s50
	s_and_saveexec_b32 s50, s31
	s_cbranch_execnz .LBB167_854
	s_branch .LBB167_855
.LBB167_874:
	s_mov_b32 s30, -1
                                        ; implicit-def: $vgpr3
.LBB167_875:
	s_mov_b32 s50, 0
.LBB167_876:
	s_delay_alu instid0(SALU_CYCLE_1)
	s_and_b32 vcc_lo, exec_lo, s50
	s_cbranch_vccz .LBB167_880
; %bb.877:
	s_cmp_eq_u32 s0, 11
	s_cbranch_scc0 .LBB167_879
; %bb.878:
	s_wait_loadcnt 0x0
	global_load_u8 v3, v[4:5], off
	s_mov_b32 s30, 0
	s_mov_b32 s31, -1
	s_wait_loadcnt 0x0
	v_cmp_ne_u16_e32 vcc_lo, 0, v3
	v_cndmask_b32_e64 v3, 0, 1.0, vcc_lo
	s_delay_alu instid0(VALU_DEP_1)
	v_lshrrev_b32_e32 v3, 16, v3
	s_branch .LBB167_880
.LBB167_879:
	s_mov_b32 s30, -1
                                        ; implicit-def: $vgpr3
.LBB167_880:
	s_mov_b32 s50, 0
.LBB167_881:
	s_delay_alu instid0(SALU_CYCLE_1)
	s_and_b32 vcc_lo, exec_lo, s50
	s_cbranch_vccz .LBB167_930
; %bb.882:
	s_cmp_lt_i32 s0, 5
	s_cbranch_scc1 .LBB167_887
; %bb.883:
	s_cmp_lt_i32 s0, 8
	s_cbranch_scc1 .LBB167_888
	;; [unrolled: 3-line block ×3, first 2 shown]
; %bb.885:
	s_cmp_gt_i32 s0, 9
	s_cbranch_scc0 .LBB167_890
; %bb.886:
	global_load_b64 v[6:7], v[4:5], off
	s_mov_b32 s31, 0
	s_wait_loadcnt 0x0
	v_cvt_f32_f64_e32 v3, v[6:7]
	s_delay_alu instid0(VALU_DEP_1) | instskip(SKIP_1) | instid1(VALU_DEP_2)
	v_bfe_u32 v6, v3, 16, 1
	v_cmp_o_f32_e32 vcc_lo, v3, v3
	v_add3_u32 v6, v3, v6, 0x7fff
	s_delay_alu instid0(VALU_DEP_1) | instskip(NEXT) | instid1(VALU_DEP_1)
	v_lshrrev_b32_e32 v6, 16, v6
	v_cndmask_b32_e32 v3, 0x7fc0, v6, vcc_lo
	s_branch .LBB167_891
.LBB167_887:
	s_mov_b32 s31, -1
                                        ; implicit-def: $vgpr3
	s_branch .LBB167_909
.LBB167_888:
	s_mov_b32 s31, -1
                                        ; implicit-def: $vgpr3
	s_branch .LBB167_897
.LBB167_889:
	s_mov_b32 s31, -1
                                        ; implicit-def: $vgpr3
	s_branch .LBB167_894
.LBB167_890:
	s_mov_b32 s31, -1
                                        ; implicit-def: $vgpr3
.LBB167_891:
	s_delay_alu instid0(SALU_CYCLE_1)
	s_and_not1_b32 vcc_lo, exec_lo, s31
	s_cbranch_vccnz .LBB167_893
; %bb.892:
	s_wait_loadcnt 0x0
	global_load_b32 v3, v[4:5], off
	s_wait_loadcnt 0x0
	s_wait_xcnt 0x1
	v_bfe_u32 v6, v3, 16, 1
	v_cmp_o_f32_e32 vcc_lo, v3, v3
	s_delay_alu instid0(VALU_DEP_2) | instskip(NEXT) | instid1(VALU_DEP_1)
	v_add3_u32 v6, v3, v6, 0x7fff
	v_lshrrev_b32_e32 v6, 16, v6
	s_delay_alu instid0(VALU_DEP_1)
	v_cndmask_b32_e32 v3, 0x7fc0, v6, vcc_lo
.LBB167_893:
	s_mov_b32 s31, 0
.LBB167_894:
	s_delay_alu instid0(SALU_CYCLE_1)
	s_and_not1_b32 vcc_lo, exec_lo, s31
	s_cbranch_vccnz .LBB167_896
; %bb.895:
	s_wait_loadcnt 0x0
	global_load_b32 v3, v[4:5], off
	s_wait_loadcnt 0x0
	s_wait_xcnt 0x1
	v_cvt_f32_f16_e32 v6, v3
	v_cmp_o_f16_e32 vcc_lo, v3, v3
	s_delay_alu instid0(VALU_DEP_2) | instskip(NEXT) | instid1(VALU_DEP_1)
	v_bfe_u32 v7, v6, 16, 1
	v_add3_u32 v6, v6, v7, 0x7fff
	s_delay_alu instid0(VALU_DEP_1) | instskip(NEXT) | instid1(VALU_DEP_1)
	v_lshrrev_b32_e32 v6, 16, v6
	v_cndmask_b32_e32 v3, 0x7fc0, v6, vcc_lo
.LBB167_896:
	s_mov_b32 s31, 0
.LBB167_897:
	s_delay_alu instid0(SALU_CYCLE_1)
	s_and_not1_b32 vcc_lo, exec_lo, s31
	s_cbranch_vccnz .LBB167_908
; %bb.898:
	s_cmp_lt_i32 s0, 6
	s_cbranch_scc1 .LBB167_901
; %bb.899:
	s_cmp_gt_i32 s0, 6
	s_cbranch_scc0 .LBB167_902
; %bb.900:
	global_load_b64 v[6:7], v[4:5], off
	s_mov_b32 s31, 0
	s_wait_loadcnt 0x0
	v_cvt_f32_f64_e32 v3, v[6:7]
	s_delay_alu instid0(VALU_DEP_1) | instskip(SKIP_1) | instid1(VALU_DEP_2)
	v_bfe_u32 v6, v3, 16, 1
	v_cmp_o_f32_e32 vcc_lo, v3, v3
	v_add3_u32 v6, v3, v6, 0x7fff
	s_delay_alu instid0(VALU_DEP_1) | instskip(NEXT) | instid1(VALU_DEP_1)
	v_lshrrev_b32_e32 v6, 16, v6
	v_cndmask_b32_e32 v3, 0x7fc0, v6, vcc_lo
	s_branch .LBB167_903
.LBB167_901:
	s_mov_b32 s31, -1
                                        ; implicit-def: $vgpr3
	s_branch .LBB167_906
.LBB167_902:
	s_mov_b32 s31, -1
                                        ; implicit-def: $vgpr3
.LBB167_903:
	s_delay_alu instid0(SALU_CYCLE_1)
	s_and_not1_b32 vcc_lo, exec_lo, s31
	s_cbranch_vccnz .LBB167_905
; %bb.904:
	s_wait_loadcnt 0x0
	global_load_b32 v3, v[4:5], off
	s_wait_loadcnt 0x0
	s_wait_xcnt 0x1
	v_bfe_u32 v6, v3, 16, 1
	v_cmp_o_f32_e32 vcc_lo, v3, v3
	s_delay_alu instid0(VALU_DEP_2) | instskip(NEXT) | instid1(VALU_DEP_1)
	v_add3_u32 v6, v3, v6, 0x7fff
	v_lshrrev_b32_e32 v6, 16, v6
	s_delay_alu instid0(VALU_DEP_1)
	v_cndmask_b32_e32 v3, 0x7fc0, v6, vcc_lo
.LBB167_905:
	s_mov_b32 s31, 0
.LBB167_906:
	s_delay_alu instid0(SALU_CYCLE_1)
	s_and_not1_b32 vcc_lo, exec_lo, s31
	s_cbranch_vccnz .LBB167_908
; %bb.907:
	s_wait_loadcnt 0x0
	global_load_u16 v3, v[4:5], off
	s_wait_loadcnt 0x0
	s_wait_xcnt 0x1
	v_cvt_f32_f16_e32 v6, v3
	v_cmp_o_f16_e32 vcc_lo, v3, v3
	s_delay_alu instid0(VALU_DEP_2) | instskip(NEXT) | instid1(VALU_DEP_1)
	v_bfe_u32 v7, v6, 16, 1
	v_add3_u32 v6, v6, v7, 0x7fff
	s_delay_alu instid0(VALU_DEP_1) | instskip(NEXT) | instid1(VALU_DEP_1)
	v_lshrrev_b32_e32 v6, 16, v6
	v_cndmask_b32_e32 v3, 0x7fc0, v6, vcc_lo
.LBB167_908:
	s_mov_b32 s31, 0
.LBB167_909:
	s_delay_alu instid0(SALU_CYCLE_1)
	s_and_not1_b32 vcc_lo, exec_lo, s31
	s_cbranch_vccnz .LBB167_929
; %bb.910:
	s_cmp_lt_i32 s0, 2
	s_cbranch_scc1 .LBB167_914
; %bb.911:
	s_cmp_lt_i32 s0, 3
	s_cbranch_scc1 .LBB167_915
; %bb.912:
	s_cmp_gt_i32 s0, 3
	s_cbranch_scc0 .LBB167_916
; %bb.913:
	global_load_b64 v[6:7], v[4:5], off
	s_mov_b32 s31, 0
	s_wait_loadcnt 0x0
	v_xor_b32_e32 v3, v6, v7
	v_cls_i32_e32 v9, v7
	s_delay_alu instid0(VALU_DEP_2) | instskip(NEXT) | instid1(VALU_DEP_1)
	v_ashrrev_i32_e32 v3, 31, v3
	v_add_nc_u32_e32 v3, 32, v3
	s_delay_alu instid0(VALU_DEP_1) | instskip(NEXT) | instid1(VALU_DEP_1)
	v_add_min_u32_e64 v3, v9, -1, v3
	v_lshlrev_b64_e32 v[6:7], v3, v[6:7]
	v_sub_nc_u32_e32 v3, 32, v3
	s_delay_alu instid0(VALU_DEP_2) | instskip(NEXT) | instid1(VALU_DEP_1)
	v_min_u32_e32 v6, 1, v6
	v_or_b32_e32 v6, v7, v6
	s_delay_alu instid0(VALU_DEP_1) | instskip(NEXT) | instid1(VALU_DEP_1)
	v_cvt_f32_i32_e32 v6, v6
	v_ldexp_f32 v3, v6, v3
	s_delay_alu instid0(VALU_DEP_1) | instskip(NEXT) | instid1(VALU_DEP_1)
	v_bfe_u32 v6, v3, 16, 1
	v_add3_u32 v3, v3, v6, 0x7fff
	s_delay_alu instid0(VALU_DEP_1)
	v_lshrrev_b32_e32 v3, 16, v3
	s_branch .LBB167_917
.LBB167_914:
	s_mov_b32 s31, -1
                                        ; implicit-def: $vgpr3
	s_branch .LBB167_923
.LBB167_915:
	s_mov_b32 s31, -1
                                        ; implicit-def: $vgpr3
	s_branch .LBB167_920
.LBB167_916:
	s_mov_b32 s31, -1
                                        ; implicit-def: $vgpr3
.LBB167_917:
	s_delay_alu instid0(SALU_CYCLE_1)
	s_and_not1_b32 vcc_lo, exec_lo, s31
	s_cbranch_vccnz .LBB167_919
; %bb.918:
	s_wait_loadcnt 0x0
	global_load_b32 v3, v[4:5], off
	s_wait_loadcnt 0x0
	v_cvt_f32_i32_e32 v3, v3
	s_wait_xcnt 0x1
	s_delay_alu instid0(VALU_DEP_1) | instskip(NEXT) | instid1(VALU_DEP_1)
	v_bfe_u32 v6, v3, 16, 1
	v_add3_u32 v3, v3, v6, 0x7fff
	s_delay_alu instid0(VALU_DEP_1)
	v_lshrrev_b32_e32 v3, 16, v3
.LBB167_919:
	s_mov_b32 s31, 0
.LBB167_920:
	s_delay_alu instid0(SALU_CYCLE_1)
	s_and_not1_b32 vcc_lo, exec_lo, s31
	s_cbranch_vccnz .LBB167_922
; %bb.921:
	s_wait_loadcnt 0x0
	global_load_i16 v3, v[4:5], off
	s_wait_loadcnt 0x0
	v_cvt_f32_i32_e32 v3, v3
	s_wait_xcnt 0x1
	s_delay_alu instid0(VALU_DEP_1) | instskip(NEXT) | instid1(VALU_DEP_1)
	v_bfe_u32 v6, v3, 16, 1
	v_add3_u32 v3, v3, v6, 0x7fff
	s_delay_alu instid0(VALU_DEP_1)
	v_lshrrev_b32_e32 v3, 16, v3
.LBB167_922:
	s_mov_b32 s31, 0
.LBB167_923:
	s_delay_alu instid0(SALU_CYCLE_1)
	s_and_not1_b32 vcc_lo, exec_lo, s31
	s_cbranch_vccnz .LBB167_929
; %bb.924:
	s_cmp_gt_i32 s0, 0
	s_mov_b32 s0, 0
	s_cbranch_scc0 .LBB167_926
; %bb.925:
	s_wait_loadcnt 0x0
	global_load_i8 v3, v[4:5], off
	s_wait_loadcnt 0x0
	v_cvt_f32_i32_e32 v3, v3
	s_wait_xcnt 0x1
	s_delay_alu instid0(VALU_DEP_1) | instskip(NEXT) | instid1(VALU_DEP_1)
	v_bfe_u32 v6, v3, 16, 1
	v_add3_u32 v3, v3, v6, 0x7fff
	s_delay_alu instid0(VALU_DEP_1)
	v_lshrrev_b32_e32 v3, 16, v3
	s_branch .LBB167_927
.LBB167_926:
	s_mov_b32 s0, -1
                                        ; implicit-def: $vgpr3
.LBB167_927:
	s_delay_alu instid0(SALU_CYCLE_1)
	s_and_not1_b32 vcc_lo, exec_lo, s0
	s_cbranch_vccnz .LBB167_929
; %bb.928:
	s_wait_loadcnt 0x0
	global_load_u8 v3, v[4:5], off
	s_wait_loadcnt 0x0
	v_cvt_f32_ubyte0_e32 v3, v3
	s_wait_xcnt 0x0
	s_delay_alu instid0(VALU_DEP_1) | instskip(NEXT) | instid1(VALU_DEP_1)
	v_bfe_u32 v4, v3, 16, 1
	v_add3_u32 v3, v3, v4, 0x7fff
	s_delay_alu instid0(VALU_DEP_1)
	v_lshrrev_b32_e32 v3, 16, v3
.LBB167_929:
	s_mov_b32 s31, -1
.LBB167_930:
	s_delay_alu instid0(SALU_CYCLE_1)
	s_and_not1_b32 vcc_lo, exec_lo, s31
	s_cbranch_vccnz .LBB167_938
; %bb.931:
	s_wait_loadcnt 0x0
	v_dual_lshlrev_b32 v4, 16, v8 :: v_dual_lshlrev_b32 v5, 16, v1
	s_and_b32 s31, s38, 0xff
	v_lshlrev_b32_e32 v7, 16, v3
	s_cmp_lt_i32 s31, 11
	s_delay_alu instid0(VALU_DEP_2) | instskip(SKIP_1) | instid1(VALU_DEP_1)
	v_cmp_gt_f32_e32 vcc_lo, v5, v4
	v_cndmask_b32_e32 v6, v8, v1, vcc_lo
	v_lshlrev_b32_e32 v9, 16, v6
	s_delay_alu instid0(VALU_DEP_1) | instskip(SKIP_2) | instid1(VALU_DEP_2)
	v_cmp_lt_f32_e32 vcc_lo, v9, v7
	v_cndmask_b32_e32 v6, v3, v6, vcc_lo
	v_cmp_u_f32_e32 vcc_lo, v7, v7
	v_dual_cndmask_b32 v6, v6, v3 :: v_dual_mov_b32 v3, 0
	v_cmp_u_f32_e32 vcc_lo, v4, v4
	s_delay_alu instid0(VALU_DEP_2) | instskip(NEXT) | instid1(VALU_DEP_3)
	v_add_nc_u64_e32 v[2:3], s[4:5], v[2:3]
	v_cndmask_b32_e32 v4, v6, v8, vcc_lo
	v_cmp_u_f32_e32 vcc_lo, v5, v5
	s_delay_alu instid0(VALU_DEP_2)
	v_cndmask_b32_e32 v1, v4, v1, vcc_lo
	s_cbranch_scc1 .LBB167_939
; %bb.932:
	s_and_b32 s50, 0xffff, s31
	s_delay_alu instid0(SALU_CYCLE_1)
	s_cmp_gt_i32 s50, 25
	s_cbranch_scc0 .LBB167_940
; %bb.933:
	s_cmp_gt_i32 s50, 28
	s_cbranch_scc0 .LBB167_941
; %bb.934:
	;; [unrolled: 3-line block ×4, first 2 shown]
	s_mov_b32 s52, 0
	s_mov_b32 s0, -1
	s_cmp_eq_u32 s50, 46
	s_mov_b32 s51, 0
	s_cbranch_scc0 .LBB167_944
; %bb.937:
	v_and_b32_e32 v4, 0xffff, v1
	s_mov_b32 s51, -1
	s_mov_b32 s0, 0
	global_store_b32 v[2:3], v4, off
	s_branch .LBB167_944
.LBB167_938:
	s_mov_b32 s31, 0
	s_mov_b32 s0, s43
	s_branch .LBB167_1055
.LBB167_939:
	s_mov_b32 s50, -1
	s_mov_b32 s51, 0
	s_mov_b32 s0, s43
	s_branch .LBB167_1013
.LBB167_940:
	s_mov_b32 s52, -1
	s_mov_b32 s51, 0
	s_mov_b32 s0, s43
	s_branch .LBB167_971
.LBB167_941:
	s_mov_b32 s52, -1
	s_mov_b32 s51, 0
	s_mov_b32 s0, s43
	s_branch .LBB167_954
.LBB167_942:
	s_mov_b32 s52, -1
	s_mov_b32 s51, 0
	s_mov_b32 s0, s43
	s_branch .LBB167_950
.LBB167_943:
	s_mov_b32 s52, -1
	s_mov_b32 s51, 0
	s_mov_b32 s0, s43
.LBB167_944:
	s_and_b32 vcc_lo, exec_lo, s52
	s_cbranch_vccz .LBB167_949
; %bb.945:
	s_cmp_eq_u32 s50, 44
	s_mov_b32 s0, -1
	s_cbranch_scc0 .LBB167_949
; %bb.946:
	s_wait_xcnt 0x0
	v_and_b32_e32 v4, 0xffff, v1
	v_mov_b32_e32 v5, 0xff
	s_mov_b32 s51, exec_lo
	s_delay_alu instid0(VALU_DEP_2) | instskip(NEXT) | instid1(VALU_DEP_1)
	v_bfe_u32 v6, v4, 7, 8
	v_cmpx_ne_u32_e32 0xff, v6
	s_cbranch_execz .LBB167_948
; %bb.947:
	v_dual_lshlrev_b32 v5, 16, v4 :: v_dual_bitop2_b32 v7, 64, v4 bitop3:0x40
	v_lshrrev_b32_e32 v4, 7, v4
	s_delay_alu instid0(VALU_DEP_2) | instskip(NEXT) | instid1(VALU_DEP_3)
	v_and_or_b32 v5, 0x3f0000, v5, v6
	v_cmp_ne_u32_e32 vcc_lo, 0, v7
	s_delay_alu instid0(VALU_DEP_2) | instskip(SKIP_1) | instid1(SALU_CYCLE_1)
	v_cmp_ne_u32_e64 s0, 0, v5
	s_and_b32 s0, vcc_lo, s0
	v_cndmask_b32_e64 v5, 0, 1, s0
	s_delay_alu instid0(VALU_DEP_1)
	v_add_nc_u32_e32 v5, v4, v5
.LBB167_948:
	s_or_b32 exec_lo, exec_lo, s51
	s_mov_b32 s51, -1
	s_mov_b32 s0, 0
	global_store_b8 v[2:3], v5, off
.LBB167_949:
	s_mov_b32 s52, 0
.LBB167_950:
	s_delay_alu instid0(SALU_CYCLE_1)
	s_and_b32 vcc_lo, exec_lo, s52
	s_cbranch_vccz .LBB167_953
; %bb.951:
	s_cmp_eq_u32 s50, 29
	s_mov_b32 s0, -1
	s_cbranch_scc0 .LBB167_953
; %bb.952:
	s_wait_xcnt 0x0
	v_lshlrev_b32_e32 v4, 16, v1
	s_mov_b32 s51, -1
	s_mov_b32 s0, 0
	s_mov_b32 s52, 0
	s_delay_alu instid0(VALU_DEP_1) | instskip(NEXT) | instid1(VALU_DEP_1)
	v_trunc_f32_e32 v4, v4
	v_mul_f32_e32 v5, 0x2f800000, v4
	s_delay_alu instid0(VALU_DEP_1) | instskip(NEXT) | instid1(VALU_DEP_1)
	v_floor_f32_e32 v5, v5
	v_fmamk_f32 v4, v5, 0xcf800000, v4
	v_cvt_u32_f32_e32 v5, v5
	s_delay_alu instid0(VALU_DEP_2)
	v_cvt_u32_f32_e32 v4, v4
	global_store_b64 v[2:3], v[4:5], off
	s_branch .LBB167_954
.LBB167_953:
	s_mov_b32 s52, 0
.LBB167_954:
	s_delay_alu instid0(SALU_CYCLE_1)
	s_and_b32 vcc_lo, exec_lo, s52
	s_cbranch_vccz .LBB167_970
; %bb.955:
	s_cmp_lt_i32 s50, 27
	s_mov_b32 s51, -1
	s_cbranch_scc1 .LBB167_961
; %bb.956:
	s_cmp_gt_i32 s50, 27
	s_cbranch_scc0 .LBB167_958
; %bb.957:
	s_wait_xcnt 0x0
	v_lshlrev_b32_e32 v4, 16, v1
	s_mov_b32 s51, 0
	s_delay_alu instid0(VALU_DEP_1)
	v_cvt_u32_f32_e32 v4, v4
	global_store_b32 v[2:3], v4, off
.LBB167_958:
	s_and_not1_b32 vcc_lo, exec_lo, s51
	s_cbranch_vccnz .LBB167_960
; %bb.959:
	s_wait_xcnt 0x0
	v_lshlrev_b32_e32 v4, 16, v1
	s_delay_alu instid0(VALU_DEP_1)
	v_cvt_u32_f32_e32 v4, v4
	global_store_b16 v[2:3], v4, off
.LBB167_960:
	s_mov_b32 s51, 0
.LBB167_961:
	s_delay_alu instid0(SALU_CYCLE_1)
	s_and_not1_b32 vcc_lo, exec_lo, s51
	s_cbranch_vccnz .LBB167_969
; %bb.962:
	v_dual_mov_b32 v7, 0x80 :: v_dual_lshlrev_b32 v6, 16, v1
	s_mov_b32 s51, exec_lo
	s_wait_xcnt 0x0
	s_delay_alu instid0(VALU_DEP_1) | instskip(NEXT) | instid1(VALU_DEP_1)
	v_and_b32_e32 v5, 0x7fffffff, v6
	v_cmpx_gt_u32_e32 0x43800000, v5
	s_cbranch_execz .LBB167_968
; %bb.963:
	v_and_b32_e32 v4, 0xffff, v1
	v_cmp_lt_u32_e32 vcc_lo, 0x3bffffff, v5
	s_mov_b32 s52, 0
                                        ; implicit-def: $vgpr5
	s_and_saveexec_b32 s53, vcc_lo
	s_delay_alu instid0(SALU_CYCLE_1)
	s_xor_b32 s53, exec_lo, s53
	s_cbranch_execz .LBB167_1213
; %bb.964:
	v_bfe_u32 v5, v4, 4, 1
	s_mov_b32 s52, exec_lo
	s_delay_alu instid0(VALU_DEP_1) | instskip(NEXT) | instid1(VALU_DEP_1)
	v_add3_u32 v5, v6, v5, 0x487ffff
                                        ; implicit-def: $vgpr6
	v_lshrrev_b32_e32 v5, 20, v5
	s_and_not1_saveexec_b32 s53, s53
	s_cbranch_execnz .LBB167_1214
.LBB167_965:
	s_or_b32 exec_lo, exec_lo, s53
	v_mov_b32_e32 v7, 0
	s_and_saveexec_b32 s53, s52
.LBB167_966:
	v_lshrrev_b32_e32 v4, 8, v4
	s_delay_alu instid0(VALU_DEP_1)
	v_and_or_b32 v7, 0x80, v4, v5
.LBB167_967:
	s_or_b32 exec_lo, exec_lo, s53
.LBB167_968:
	s_delay_alu instid0(SALU_CYCLE_1)
	s_or_b32 exec_lo, exec_lo, s51
	global_store_b8 v[2:3], v7, off
.LBB167_969:
	s_mov_b32 s51, -1
.LBB167_970:
	s_mov_b32 s52, 0
.LBB167_971:
	s_delay_alu instid0(SALU_CYCLE_1)
	s_and_b32 vcc_lo, exec_lo, s52
	s_cbranch_vccz .LBB167_1012
; %bb.972:
	s_cmp_gt_i32 s50, 22
	s_mov_b32 s52, -1
	s_cbranch_scc0 .LBB167_1004
; %bb.973:
	s_cmp_lt_i32 s50, 24
	s_mov_b32 s51, -1
	s_cbranch_scc1 .LBB167_993
; %bb.974:
	s_cmp_gt_i32 s50, 24
	s_cbranch_scc0 .LBB167_982
; %bb.975:
	s_wait_xcnt 0x0
	v_dual_mov_b32 v7, 0x80 :: v_dual_lshlrev_b32 v6, 16, v1
	s_mov_b32 s51, exec_lo
	s_delay_alu instid0(VALU_DEP_1) | instskip(NEXT) | instid1(VALU_DEP_1)
	v_and_b32_e32 v5, 0x7fffffff, v6
	v_cmpx_gt_u32_e32 0x47800000, v5
	s_cbranch_execz .LBB167_981
; %bb.976:
	v_and_b32_e32 v4, 0xffff, v1
	v_cmp_lt_u32_e32 vcc_lo, 0x37ffffff, v5
	s_mov_b32 s52, 0
                                        ; implicit-def: $vgpr5
	s_and_saveexec_b32 s53, vcc_lo
	s_delay_alu instid0(SALU_CYCLE_1)
	s_xor_b32 s53, exec_lo, s53
	s_cbranch_execz .LBB167_1345
; %bb.977:
	v_bfe_u32 v5, v4, 5, 1
	s_mov_b32 s52, exec_lo
	s_delay_alu instid0(VALU_DEP_1) | instskip(NEXT) | instid1(VALU_DEP_1)
	v_add3_u32 v5, v6, v5, 0x88fffff
                                        ; implicit-def: $vgpr6
	v_lshrrev_b32_e32 v5, 21, v5
	s_and_not1_saveexec_b32 s53, s53
	s_cbranch_execnz .LBB167_1346
.LBB167_978:
	s_or_b32 exec_lo, exec_lo, s53
	v_mov_b32_e32 v7, 0
	s_and_saveexec_b32 s53, s52
.LBB167_979:
	v_lshrrev_b32_e32 v4, 8, v4
	s_delay_alu instid0(VALU_DEP_1)
	v_and_or_b32 v7, 0x80, v4, v5
.LBB167_980:
	s_or_b32 exec_lo, exec_lo, s53
.LBB167_981:
	s_delay_alu instid0(SALU_CYCLE_1)
	s_or_b32 exec_lo, exec_lo, s51
	s_mov_b32 s51, 0
	global_store_b8 v[2:3], v7, off
.LBB167_982:
	s_and_b32 vcc_lo, exec_lo, s51
	s_cbranch_vccz .LBB167_992
; %bb.983:
	v_lshlrev_b32_e32 v6, 16, v1
	s_wait_xcnt 0x0
	v_and_b32_e32 v4, 0xffff, v1
	s_mov_b32 s51, exec_lo
                                        ; implicit-def: $vgpr5
	s_delay_alu instid0(VALU_DEP_2) | instskip(NEXT) | instid1(VALU_DEP_1)
	v_and_b32_e32 v7, 0x7fffffff, v6
	v_cmpx_gt_u32_e32 0x43f00000, v7
	s_xor_b32 s51, exec_lo, s51
	s_cbranch_execz .LBB167_989
; %bb.984:
	s_mov_b32 s52, exec_lo
                                        ; implicit-def: $vgpr5
	v_cmpx_lt_u32_e32 0x3c7fffff, v7
	s_xor_b32 s52, exec_lo, s52
; %bb.985:
	v_bfe_u32 v5, v4, 4, 1
	s_delay_alu instid0(VALU_DEP_1) | instskip(NEXT) | instid1(VALU_DEP_1)
	v_add3_u32 v5, v6, v5, 0x407ffff
	v_and_b32_e32 v6, 0xff00000, v5
	v_lshrrev_b32_e32 v5, 20, v5
	s_delay_alu instid0(VALU_DEP_2) | instskip(NEXT) | instid1(VALU_DEP_2)
	v_cmp_ne_u32_e32 vcc_lo, 0x7f00000, v6
                                        ; implicit-def: $vgpr6
	v_cndmask_b32_e32 v5, 0x7e, v5, vcc_lo
; %bb.986:
	s_and_not1_saveexec_b32 s52, s52
; %bb.987:
	v_add_f32_e64 v5, 0x46800000, |v6|
; %bb.988:
	s_or_b32 exec_lo, exec_lo, s52
                                        ; implicit-def: $vgpr7
.LBB167_989:
	s_and_not1_saveexec_b32 s51, s51
; %bb.990:
	v_mov_b32_e32 v5, 0x7f
	v_cmp_lt_u32_e32 vcc_lo, 0x7f800000, v7
	s_delay_alu instid0(VALU_DEP_2)
	v_cndmask_b32_e32 v5, 0x7e, v5, vcc_lo
; %bb.991:
	s_or_b32 exec_lo, exec_lo, s51
	v_lshrrev_b32_e32 v4, 8, v4
	s_delay_alu instid0(VALU_DEP_1)
	v_and_or_b32 v4, 0x80, v4, v5
	global_store_b8 v[2:3], v4, off
.LBB167_992:
	s_mov_b32 s51, 0
.LBB167_993:
	s_delay_alu instid0(SALU_CYCLE_1)
	s_and_not1_b32 vcc_lo, exec_lo, s51
	s_cbranch_vccnz .LBB167_1003
; %bb.994:
	v_lshlrev_b32_e32 v6, 16, v1
	s_wait_xcnt 0x0
	v_and_b32_e32 v4, 0xffff, v1
	s_mov_b32 s51, exec_lo
                                        ; implicit-def: $vgpr5
	s_delay_alu instid0(VALU_DEP_2) | instskip(NEXT) | instid1(VALU_DEP_1)
	v_and_b32_e32 v7, 0x7fffffff, v6
	v_cmpx_gt_u32_e32 0x47800000, v7
	s_xor_b32 s51, exec_lo, s51
	s_cbranch_execz .LBB167_1000
; %bb.995:
	s_mov_b32 s52, exec_lo
                                        ; implicit-def: $vgpr5
	v_cmpx_lt_u32_e32 0x387fffff, v7
	s_xor_b32 s52, exec_lo, s52
; %bb.996:
	v_bfe_u32 v5, v4, 5, 1
	s_delay_alu instid0(VALU_DEP_1) | instskip(NEXT) | instid1(VALU_DEP_1)
	v_add3_u32 v5, v6, v5, 0x80fffff
                                        ; implicit-def: $vgpr6
	v_lshrrev_b32_e32 v5, 21, v5
; %bb.997:
	s_and_not1_saveexec_b32 s52, s52
; %bb.998:
	v_add_f32_e64 v5, 0x43000000, |v6|
; %bb.999:
	s_or_b32 exec_lo, exec_lo, s52
                                        ; implicit-def: $vgpr7
.LBB167_1000:
	s_and_not1_saveexec_b32 s51, s51
; %bb.1001:
	v_mov_b32_e32 v5, 0x7f
	v_cmp_lt_u32_e32 vcc_lo, 0x7f800000, v7
	s_delay_alu instid0(VALU_DEP_2)
	v_cndmask_b32_e32 v5, 0x7c, v5, vcc_lo
; %bb.1002:
	s_or_b32 exec_lo, exec_lo, s51
	v_lshrrev_b32_e32 v4, 8, v4
	s_delay_alu instid0(VALU_DEP_1)
	v_and_or_b32 v4, 0x80, v4, v5
	global_store_b8 v[2:3], v4, off
.LBB167_1003:
	s_mov_b32 s52, 0
	s_mov_b32 s51, -1
.LBB167_1004:
	s_and_not1_b32 vcc_lo, exec_lo, s52
	s_cbranch_vccnz .LBB167_1012
; %bb.1005:
	s_cmp_gt_i32 s50, 14
	s_mov_b32 s52, -1
	s_cbranch_scc0 .LBB167_1009
; %bb.1006:
	s_cmp_eq_u32 s50, 15
	s_mov_b32 s0, -1
	s_cbranch_scc0 .LBB167_1008
; %bb.1007:
	s_mov_b32 s51, -1
	s_mov_b32 s0, 0
	global_store_b16 v[2:3], v1, off
.LBB167_1008:
	s_mov_b32 s52, 0
.LBB167_1009:
	s_delay_alu instid0(SALU_CYCLE_1)
	s_and_b32 vcc_lo, exec_lo, s52
	s_cbranch_vccz .LBB167_1012
; %bb.1010:
	s_cmp_eq_u32 s50, 11
	s_mov_b32 s0, -1
	s_cbranch_scc0 .LBB167_1012
; %bb.1011:
	s_wait_xcnt 0x0
	v_and_b32_e32 v4, 0x7fff, v1
	s_mov_b32 s0, 0
	s_mov_b32 s51, -1
	s_delay_alu instid0(VALU_DEP_1)
	v_cmp_ne_u16_e32 vcc_lo, 0, v4
	v_cndmask_b32_e64 v4, 0, 1, vcc_lo
	global_store_b8 v[2:3], v4, off
.LBB167_1012:
	s_mov_b32 s50, 0
.LBB167_1013:
	s_delay_alu instid0(SALU_CYCLE_1)
	s_and_b32 vcc_lo, exec_lo, s50
	s_cbranch_vccz .LBB167_1052
; %bb.1014:
	s_and_b32 s31, 0xffff, s31
	s_mov_b32 s50, -1
	s_cmp_lt_i32 s31, 5
	s_cbranch_scc1 .LBB167_1035
; %bb.1015:
	s_cmp_lt_i32 s31, 8
	s_cbranch_scc1 .LBB167_1025
; %bb.1016:
	;; [unrolled: 3-line block ×3, first 2 shown]
	s_cmp_gt_i32 s31, 9
	s_cbranch_scc0 .LBB167_1019
; %bb.1018:
	s_wait_xcnt 0x0
	v_dual_lshlrev_b32 v4, 16, v1 :: v_dual_mov_b32 v6, 0
	s_mov_b32 s50, 0
	s_delay_alu instid0(VALU_DEP_1) | instskip(NEXT) | instid1(VALU_DEP_2)
	v_cvt_f64_f32_e32 v[4:5], v4
	v_mov_b32_e32 v7, v6
	global_store_b128 v[2:3], v[4:7], off
.LBB167_1019:
	s_and_not1_b32 vcc_lo, exec_lo, s50
	s_cbranch_vccnz .LBB167_1021
; %bb.1020:
	s_wait_xcnt 0x0
	v_dual_mov_b32 v5, 0 :: v_dual_lshlrev_b32 v4, 16, v1
	global_store_b64 v[2:3], v[4:5], off
.LBB167_1021:
	s_mov_b32 s50, 0
.LBB167_1022:
	s_delay_alu instid0(SALU_CYCLE_1)
	s_and_not1_b32 vcc_lo, exec_lo, s50
	s_cbranch_vccnz .LBB167_1024
; %bb.1023:
	s_wait_xcnt 0x0
	v_lshlrev_b32_e32 v4, 16, v1
	s_delay_alu instid0(VALU_DEP_1) | instskip(NEXT) | instid1(VALU_DEP_1)
	v_cvt_f16_f32_e32 v4, v4
	v_and_b32_e32 v4, 0xffff, v4
	global_store_b32 v[2:3], v4, off
.LBB167_1024:
	s_mov_b32 s50, 0
.LBB167_1025:
	s_delay_alu instid0(SALU_CYCLE_1)
	s_and_not1_b32 vcc_lo, exec_lo, s50
	s_cbranch_vccnz .LBB167_1034
; %bb.1026:
	s_cmp_lt_i32 s31, 6
	s_mov_b32 s50, -1
	s_cbranch_scc1 .LBB167_1032
; %bb.1027:
	s_cmp_gt_i32 s31, 6
	s_cbranch_scc0 .LBB167_1029
; %bb.1028:
	s_wait_xcnt 0x0
	v_lshlrev_b32_e32 v4, 16, v1
	s_mov_b32 s50, 0
	s_delay_alu instid0(VALU_DEP_1)
	v_cvt_f64_f32_e32 v[4:5], v4
	global_store_b64 v[2:3], v[4:5], off
.LBB167_1029:
	s_and_not1_b32 vcc_lo, exec_lo, s50
	s_cbranch_vccnz .LBB167_1031
; %bb.1030:
	s_wait_xcnt 0x0
	v_lshlrev_b32_e32 v4, 16, v1
	global_store_b32 v[2:3], v4, off
.LBB167_1031:
	s_mov_b32 s50, 0
.LBB167_1032:
	s_delay_alu instid0(SALU_CYCLE_1)
	s_and_not1_b32 vcc_lo, exec_lo, s50
	s_cbranch_vccnz .LBB167_1034
; %bb.1033:
	s_wait_xcnt 0x0
	v_lshlrev_b32_e32 v4, 16, v1
	s_delay_alu instid0(VALU_DEP_1)
	v_cvt_f16_f32_e32 v4, v4
	global_store_b16 v[2:3], v4, off
.LBB167_1034:
	s_mov_b32 s50, 0
.LBB167_1035:
	s_delay_alu instid0(SALU_CYCLE_1)
	s_and_not1_b32 vcc_lo, exec_lo, s50
	s_cbranch_vccnz .LBB167_1051
; %bb.1036:
	s_cmp_lt_i32 s31, 2
	s_mov_b32 s50, -1
	s_cbranch_scc1 .LBB167_1046
; %bb.1037:
	s_cmp_lt_i32 s31, 3
	s_cbranch_scc1 .LBB167_1043
; %bb.1038:
	s_cmp_gt_i32 s31, 3
	s_cbranch_scc0 .LBB167_1040
; %bb.1039:
	s_wait_xcnt 0x0
	v_lshlrev_b32_e32 v4, 16, v1
	s_mov_b32 s50, 0
	s_delay_alu instid0(VALU_DEP_1) | instskip(NEXT) | instid1(VALU_DEP_1)
	v_trunc_f32_e32 v4, v4
	v_mul_f32_e64 v5, 0x2f800000, |v4|
	s_delay_alu instid0(VALU_DEP_1) | instskip(NEXT) | instid1(VALU_DEP_1)
	v_floor_f32_e32 v5, v5
	v_fma_f32 v6, 0xcf800000, v5, |v4|
	v_ashrrev_i32_e32 v4, 31, v4
	v_cvt_u32_f32_e32 v7, v5
	s_delay_alu instid0(VALU_DEP_3) | instskip(NEXT) | instid1(VALU_DEP_2)
	v_cvt_u32_f32_e32 v6, v6
	v_dual_mov_b32 v5, v4 :: v_dual_bitop2_b32 v7, v7, v4 bitop3:0x14
	s_delay_alu instid0(VALU_DEP_2) | instskip(NEXT) | instid1(VALU_DEP_1)
	v_xor_b32_e32 v6, v6, v4
	v_sub_nc_u64_e32 v[4:5], v[6:7], v[4:5]
	global_store_b64 v[2:3], v[4:5], off
.LBB167_1040:
	s_and_not1_b32 vcc_lo, exec_lo, s50
	s_cbranch_vccnz .LBB167_1042
; %bb.1041:
	s_wait_xcnt 0x0
	v_lshlrev_b32_e32 v4, 16, v1
	s_delay_alu instid0(VALU_DEP_1)
	v_cvt_i32_f32_e32 v4, v4
	global_store_b32 v[2:3], v4, off
.LBB167_1042:
	s_mov_b32 s50, 0
.LBB167_1043:
	s_delay_alu instid0(SALU_CYCLE_1)
	s_and_not1_b32 vcc_lo, exec_lo, s50
	s_cbranch_vccnz .LBB167_1045
; %bb.1044:
	s_wait_xcnt 0x0
	v_lshlrev_b32_e32 v4, 16, v1
	s_delay_alu instid0(VALU_DEP_1)
	v_cvt_i32_f32_e32 v4, v4
	global_store_b16 v[2:3], v4, off
.LBB167_1045:
	s_mov_b32 s50, 0
.LBB167_1046:
	s_delay_alu instid0(SALU_CYCLE_1)
	s_and_not1_b32 vcc_lo, exec_lo, s50
	s_cbranch_vccnz .LBB167_1051
; %bb.1047:
	s_wait_xcnt 0x0
	v_lshlrev_b32_e32 v1, 16, v1
	s_cmp_gt_i32 s31, 0
	s_mov_b32 s31, -1
	s_cbranch_scc0 .LBB167_1049
; %bb.1048:
	s_delay_alu instid0(VALU_DEP_1)
	v_cvt_i32_f32_e32 v4, v1
	s_mov_b32 s31, 0
	global_store_b8 v[2:3], v4, off
.LBB167_1049:
	s_and_not1_b32 vcc_lo, exec_lo, s31
	s_cbranch_vccnz .LBB167_1051
; %bb.1050:
	v_trunc_f32_e32 v1, v1
	s_wait_xcnt 0x0
	s_delay_alu instid0(VALU_DEP_1) | instskip(NEXT) | instid1(VALU_DEP_1)
	v_mul_f32_e64 v4, 0x2f800000, |v1|
	v_floor_f32_e32 v4, v4
	s_delay_alu instid0(VALU_DEP_1) | instskip(SKIP_1) | instid1(VALU_DEP_2)
	v_fma_f32 v4, 0xcf800000, v4, |v1|
	v_ashrrev_i32_e32 v1, 31, v1
	v_cvt_u32_f32_e32 v4, v4
	s_delay_alu instid0(VALU_DEP_1) | instskip(NEXT) | instid1(VALU_DEP_1)
	v_xor_b32_e32 v4, v4, v1
	v_sub_nc_u32_e32 v1, v4, v1
	global_store_b8 v[2:3], v1, off
.LBB167_1051:
	s_mov_b32 s51, -1
.LBB167_1052:
	s_delay_alu instid0(SALU_CYCLE_1)
	s_and_not1_b32 vcc_lo, exec_lo, s51
	s_cbranch_vccnz .LBB167_1054
; %bb.1053:
	v_add_nc_u32_e32 v0, 0x80, v0
	s_mov_b32 s31, -1
	s_branch .LBB167_1056
.LBB167_1054:
	s_mov_b32 s31, 0
.LBB167_1055:
                                        ; implicit-def: $vgpr0
.LBB167_1056:
	s_and_not1_b32 s50, s43, exec_lo
	s_and_b32 s0, s0, exec_lo
	s_and_not1_b32 s52, s46, exec_lo
	s_and_b32 s30, s30, exec_lo
	s_or_b32 s51, s50, s0
	s_or_b32 s52, s52, s30
	s_and_not1_b32 s0, s47, exec_lo
	s_and_b32 s29, s29, exec_lo
	s_and_not1_b32 s30, s48, exec_lo
	s_and_b32 s28, s28, exec_lo
	s_or_b32 s53, s0, s29
	s_or_b32 s50, s30, s28
	s_or_not1_b32 s31, s31, exec_lo
.LBB167_1057:
	s_wait_xcnt 0x0
	s_or_b32 exec_lo, exec_lo, s54
	s_mov_b32 s29, 0
	s_mov_b32 s30, 0
	;; [unrolled: 1-line block ×3, first 2 shown]
                                        ; implicit-def: $sgpr0
                                        ; implicit-def: $vgpr8_vgpr9
                                        ; implicit-def: $vgpr2
                                        ; implicit-def: $vgpr4
                                        ; implicit-def: $vgpr6
                                        ; implicit-def: $vgpr10
	s_and_saveexec_b32 s54, s31
	s_cbranch_execz .LBB167_1684
; %bb.1058:
	s_mov_b32 s31, -1
	s_mov_b32 s56, s50
	s_mov_b32 s58, s53
	;; [unrolled: 1-line block ×4, first 2 shown]
	s_mov_b32 s55, exec_lo
	v_cmpx_gt_i32_e64 s44, v0
	s_cbranch_execz .LBB167_1590
; %bb.1059:
	s_and_not1_b32 vcc_lo, exec_lo, s36
	s_cbranch_vccnz .LBB167_1065
; %bb.1060:
	s_and_not1_b32 vcc_lo, exec_lo, s45
	s_cbranch_vccnz .LBB167_1066
; %bb.1061:
	s_wait_loadcnt 0x0
	v_dual_mov_b32 v6, 0 :: v_dual_mov_b32 v1, v0
	v_dual_mov_b32 v4, 0 :: v_dual_mov_b32 v2, 0
	v_mov_b32_e32 v8, 0
	s_add_co_i32 s0, s42, 1
	s_mov_b64 s[28:29], 0xffffffffffffffe0
	s_and_b32 s0, s0, 30
	s_add_nc_u64 s[28:29], s[2:3], s[28:29]
	s_mov_b64 s[30:31], s[2:3]
.LBB167_1062:                           ; =>This Inner Loop Header: Depth=1
	s_clause 0x1
	s_load_b128 s[64:67], s[30:31], 0x4
	s_load_b64 s[68:69], s[30:31], 0x14
	s_load_b256 s[56:63], s[28:29], 0xe4
	s_add_co_i32 s0, s0, -2
	s_wait_xcnt 0x0
	s_add_nc_u64 s[30:31], s[30:31], 24
	s_cmp_eq_u32 s0, 0
	s_add_nc_u64 s[28:29], s[28:29], 32
	s_wait_kmcnt 0x0
	v_mul_hi_u32 v3, s65, v1
	s_delay_alu instid0(VALU_DEP_1) | instskip(NEXT) | instid1(VALU_DEP_1)
	v_add_nc_u32_e32 v3, v1, v3
	v_lshrrev_b32_e32 v3, s66, v3
	s_delay_alu instid0(VALU_DEP_1) | instskip(SKIP_1) | instid1(VALU_DEP_1)
	v_mul_hi_u32 v5, s68, v3
	v_mul_lo_u32 v7, v3, s64
	v_dual_add_nc_u32 v5, v3, v5 :: v_dual_sub_nc_u32 v7, v1, v7
	s_delay_alu instid0(VALU_DEP_1) | instskip(NEXT) | instid1(VALU_DEP_2)
	v_lshrrev_b32_e32 v1, s69, v5
	v_mad_u32 v8, v7, s57, v8
	v_mad_u32 v2, v7, s56, v2
	;; [unrolled: 1-line block ×4, first 2 shown]
	v_mul_lo_u32 v5, v1, s67
	s_delay_alu instid0(VALU_DEP_1) | instskip(NEXT) | instid1(VALU_DEP_1)
	v_sub_nc_u32_e32 v3, v3, v5
	v_mad_u32 v8, v3, s61, v8
	v_mad_u32 v2, v3, s60, v2
	v_mad_u32 v4, v3, s63, v4
	v_mad_u32 v6, v3, s62, v6
	s_cbranch_scc0 .LBB167_1062
; %bb.1063:
	s_bitcmp1_b32 s42, 0
	s_cselect_b32 s0, -1, 0
	s_delay_alu instid0(SALU_CYCLE_1)
	s_and_b32 vcc_lo, exec_lo, s0
	s_cbranch_vccnz .LBB167_1067
; %bb.1064:
	s_load_b96 s[60:62], s[30:31], 0x4
	s_load_b128 s[56:59], s[28:29], 0xe4
	s_wait_kmcnt 0x0
	v_mul_hi_u32 v3, s61, v1
	s_delay_alu instid0(VALU_DEP_1) | instskip(NEXT) | instid1(VALU_DEP_1)
	v_add_nc_u32_e32 v3, v1, v3
	v_lshrrev_b32_e32 v3, s62, v3
	s_delay_alu instid0(VALU_DEP_1) | instskip(NEXT) | instid1(VALU_DEP_1)
	v_mul_lo_u32 v3, v3, s60
	v_sub_nc_u32_e32 v1, v1, v3
	s_delay_alu instid0(VALU_DEP_1)
	v_mad_u32 v2, v1, s56, v2
	v_mad_u32 v8, v1, s57, v8
	v_mad_u32 v6, v1, s58, v6
	v_mad_u32 v4, v1, s59, v4
	s_branch .LBB167_1067
.LBB167_1065:
	s_mov_b32 s0, -1
                                        ; implicit-def: $vgpr8
                                        ; implicit-def: $vgpr2
                                        ; implicit-def: $vgpr4
                                        ; implicit-def: $vgpr6
	s_branch .LBB167_1068
.LBB167_1066:
	s_wait_loadcnt 0x0
	v_dual_mov_b32 v8, 0 :: v_dual_mov_b32 v2, 0
	v_dual_mov_b32 v4, 0 :: v_dual_mov_b32 v6, 0
.LBB167_1067:
	s_mov_b32 s0, 0
.LBB167_1068:
	s_delay_alu instid0(SALU_CYCLE_1)
	s_and_not1_b32 vcc_lo, exec_lo, s0
	s_cbranch_vccnz .LBB167_1071
; %bb.1069:
	s_wait_loadcnt 0x0
	v_mov_b32_e32 v1, 0
	s_and_not1_b32 vcc_lo, exec_lo, s41
	s_delay_alu instid0(VALU_DEP_1) | instskip(NEXT) | instid1(VALU_DEP_1)
	v_mul_u64_e32 v[2:3], s[24:25], v[0:1]
	v_add_nc_u32_e32 v2, v0, v3
	s_delay_alu instid0(VALU_DEP_1) | instskip(NEXT) | instid1(VALU_DEP_1)
	v_lshrrev_b32_e32 v10, s22, v2
	v_mul_lo_u32 v2, v10, s20
	s_delay_alu instid0(VALU_DEP_1) | instskip(NEXT) | instid1(VALU_DEP_1)
	v_sub_nc_u32_e32 v3, v0, v2
	v_mul_lo_u32 v8, v3, s13
	v_mul_lo_u32 v2, v3, s12
	;; [unrolled: 1-line block ×4, first 2 shown]
	s_cbranch_vccnz .LBB167_1071
; %bb.1070:
	v_mov_b32_e32 v11, v1
	s_delay_alu instid0(VALU_DEP_1) | instskip(NEXT) | instid1(VALU_DEP_1)
	v_mul_u64_e32 v[12:13], s[26:27], v[10:11]
	v_add_nc_u32_e32 v1, v10, v13
	s_delay_alu instid0(VALU_DEP_1) | instskip(NEXT) | instid1(VALU_DEP_1)
	v_lshrrev_b32_e32 v1, s1, v1
	v_mul_lo_u32 v1, v1, s23
	s_delay_alu instid0(VALU_DEP_1) | instskip(NEXT) | instid1(VALU_DEP_1)
	v_sub_nc_u32_e32 v1, v10, v1
	v_mad_u32 v2, v1, s16, v2
	v_mad_u32 v8, v1, s17, v8
	;; [unrolled: 1-line block ×4, first 2 shown]
.LBB167_1071:
	v_mov_b32_e32 v9, 0
	s_and_b32 s0, s40, 0xff
	s_delay_alu instid0(SALU_CYCLE_1) | instskip(SKIP_1) | instid1(VALU_DEP_1)
	s_cmp_lt_i32 s0, 11
	s_wait_loadcnt 0x0
	v_add_nc_u64_e32 v[8:9], s[6:7], v[8:9]
	s_cbranch_scc1 .LBB167_1078
; %bb.1072:
	s_and_b32 s29, 0xffff, s0
	s_delay_alu instid0(SALU_CYCLE_1)
	s_cmp_gt_i32 s29, 25
	s_cbranch_scc0 .LBB167_1079
; %bb.1073:
	s_cmp_gt_i32 s29, 28
	s_cbranch_scc0 .LBB167_1080
; %bb.1074:
	;; [unrolled: 3-line block ×4, first 2 shown]
	s_cmp_eq_u32 s29, 46
	s_mov_b32 s31, 0
	s_cbranch_scc0 .LBB167_1083
; %bb.1077:
	global_load_b32 v1, v[8:9], off
	s_mov_b32 s30, -1
	s_mov_b32 s28, 0
	s_branch .LBB167_1085
.LBB167_1078:
	s_mov_b32 s29, -1
	s_mov_b32 s30, 0
	s_mov_b32 s28, s50
                                        ; implicit-def: $vgpr1
	s_branch .LBB167_1150
.LBB167_1079:
	s_mov_b32 s31, -1
	s_mov_b32 s30, 0
	s_mov_b32 s28, s50
                                        ; implicit-def: $vgpr1
	s_branch .LBB167_1114
.LBB167_1080:
	s_mov_b32 s31, -1
	s_mov_b32 s30, 0
	s_mov_b32 s28, s50
                                        ; implicit-def: $vgpr1
	s_branch .LBB167_1095
.LBB167_1081:
	s_mov_b32 s31, -1
	s_mov_b32 s30, 0
	s_mov_b32 s28, s50
                                        ; implicit-def: $vgpr1
	s_branch .LBB167_1090
.LBB167_1082:
	s_mov_b32 s31, -1
	s_mov_b32 s30, 0
	s_mov_b32 s28, s50
	s_branch .LBB167_1084
.LBB167_1083:
	s_mov_b32 s28, -1
	s_mov_b32 s30, 0
.LBB167_1084:
                                        ; implicit-def: $vgpr1
.LBB167_1085:
	s_and_b32 vcc_lo, exec_lo, s31
	s_cbranch_vccz .LBB167_1089
; %bb.1086:
	s_cmp_eq_u32 s29, 44
	s_cbranch_scc0 .LBB167_1088
; %bb.1087:
	s_wait_loadcnt 0x0
	global_load_u8 v1, v[8:9], off
	s_mov_b32 s28, 0
	s_mov_b32 s30, -1
	s_wait_loadcnt 0x0
	v_lshlrev_b32_e32 v3, 23, v1
	v_cmp_ne_u32_e32 vcc_lo, 0xff, v1
	s_delay_alu instid0(VALU_DEP_2) | instskip(SKIP_1) | instid1(VALU_DEP_2)
	v_cndmask_b32_e32 v3, 0x7f800001, v3, vcc_lo
	v_cmp_ne_u32_e32 vcc_lo, 0, v1
	v_cndmask_b32_e32 v1, 0x400000, v3, vcc_lo
	s_delay_alu instid0(VALU_DEP_1) | instskip(SKIP_1) | instid1(VALU_DEP_2)
	v_add_nc_u32_e32 v3, 0x7fff, v1
	v_cmp_o_f32_e32 vcc_lo, v1, v1
	v_lshrrev_b32_e32 v3, 16, v3
	s_delay_alu instid0(VALU_DEP_1)
	v_cndmask_b32_e32 v1, 0x7fc0, v3, vcc_lo
	s_branch .LBB167_1089
.LBB167_1088:
	s_mov_b32 s28, -1
                                        ; implicit-def: $vgpr1
.LBB167_1089:
	s_mov_b32 s31, 0
.LBB167_1090:
	s_delay_alu instid0(SALU_CYCLE_1)
	s_and_b32 vcc_lo, exec_lo, s31
	s_cbranch_vccz .LBB167_1094
; %bb.1091:
	s_cmp_eq_u32 s29, 29
	s_cbranch_scc0 .LBB167_1093
; %bb.1092:
	global_load_b64 v[10:11], v[8:9], off
	s_mov_b32 s30, -1
	s_mov_b32 s28, 0
	s_mov_b32 s31, 0
	s_wait_loadcnt 0x0
	v_clz_i32_u32_e32 v1, v11
	s_delay_alu instid0(VALU_DEP_1) | instskip(NEXT) | instid1(VALU_DEP_1)
	v_min_u32_e32 v1, 32, v1
	v_lshlrev_b64_e32 v[10:11], v1, v[10:11]
	v_sub_nc_u32_e32 v1, 32, v1
	s_delay_alu instid0(VALU_DEP_2) | instskip(NEXT) | instid1(VALU_DEP_1)
	v_min_u32_e32 v3, 1, v10
	v_or_b32_e32 v3, v11, v3
	s_delay_alu instid0(VALU_DEP_1) | instskip(NEXT) | instid1(VALU_DEP_1)
	v_cvt_f32_u32_e32 v3, v3
	v_ldexp_f32 v1, v3, v1
	s_delay_alu instid0(VALU_DEP_1) | instskip(NEXT) | instid1(VALU_DEP_1)
	v_bfe_u32 v3, v1, 16, 1
	v_add3_u32 v1, v1, v3, 0x7fff
	s_delay_alu instid0(VALU_DEP_1)
	v_lshrrev_b32_e32 v1, 16, v1
	s_branch .LBB167_1095
.LBB167_1093:
	s_mov_b32 s28, -1
                                        ; implicit-def: $vgpr1
.LBB167_1094:
	s_mov_b32 s31, 0
.LBB167_1095:
	s_delay_alu instid0(SALU_CYCLE_1)
	s_and_b32 vcc_lo, exec_lo, s31
	s_cbranch_vccz .LBB167_1113
; %bb.1096:
	s_cmp_lt_i32 s29, 27
	s_cbranch_scc1 .LBB167_1099
; %bb.1097:
	s_cmp_gt_i32 s29, 27
	s_cbranch_scc0 .LBB167_1100
; %bb.1098:
	s_wait_loadcnt 0x0
	global_load_b32 v1, v[8:9], off
	s_mov_b32 s30, 0
	s_wait_loadcnt 0x0
	v_cvt_f32_u32_e32 v1, v1
	s_delay_alu instid0(VALU_DEP_1) | instskip(NEXT) | instid1(VALU_DEP_1)
	v_bfe_u32 v3, v1, 16, 1
	v_add3_u32 v1, v1, v3, 0x7fff
	s_delay_alu instid0(VALU_DEP_1)
	v_lshrrev_b32_e32 v1, 16, v1
	s_branch .LBB167_1101
.LBB167_1099:
	s_mov_b32 s30, -1
                                        ; implicit-def: $vgpr1
	s_branch .LBB167_1104
.LBB167_1100:
	s_mov_b32 s30, -1
                                        ; implicit-def: $vgpr1
.LBB167_1101:
	s_delay_alu instid0(SALU_CYCLE_1)
	s_and_not1_b32 vcc_lo, exec_lo, s30
	s_cbranch_vccnz .LBB167_1103
; %bb.1102:
	s_wait_loadcnt 0x0
	global_load_u16 v1, v[8:9], off
	s_wait_loadcnt 0x0
	v_cvt_f32_u32_e32 v1, v1
	s_delay_alu instid0(VALU_DEP_1) | instskip(NEXT) | instid1(VALU_DEP_1)
	v_bfe_u32 v3, v1, 16, 1
	v_add3_u32 v1, v1, v3, 0x7fff
	s_delay_alu instid0(VALU_DEP_1)
	v_lshrrev_b32_e32 v1, 16, v1
.LBB167_1103:
	s_mov_b32 s30, 0
.LBB167_1104:
	s_delay_alu instid0(SALU_CYCLE_1)
	s_and_not1_b32 vcc_lo, exec_lo, s30
	s_cbranch_vccnz .LBB167_1112
; %bb.1105:
	s_wait_loadcnt 0x0
	global_load_u8 v1, v[8:9], off
	s_mov_b32 s30, 0
	s_mov_b32 s31, exec_lo
	s_wait_loadcnt 0x0
	v_cmpx_lt_i16_e32 0x7f, v1
	s_xor_b32 s31, exec_lo, s31
	s_cbranch_execz .LBB167_1126
; %bb.1106:
	s_mov_b32 s30, -1
	s_mov_b32 s56, exec_lo
	v_cmpx_eq_u16_e32 0x80, v1
; %bb.1107:
	s_xor_b32 s30, exec_lo, -1
; %bb.1108:
	s_or_b32 exec_lo, exec_lo, s56
	s_delay_alu instid0(SALU_CYCLE_1)
	s_and_b32 s30, s30, exec_lo
	s_or_saveexec_b32 s31, s31
	v_mov_b32_e32 v3, 0x7f800001
	s_xor_b32 exec_lo, exec_lo, s31
	s_cbranch_execnz .LBB167_1127
.LBB167_1109:
	s_or_b32 exec_lo, exec_lo, s31
	s_and_saveexec_b32 s31, s30
	s_cbranch_execz .LBB167_1111
.LBB167_1110:
	v_and_b32_e32 v3, 0xffff, v1
	s_delay_alu instid0(VALU_DEP_1) | instskip(SKIP_1) | instid1(VALU_DEP_2)
	v_dual_lshlrev_b32 v1, 24, v1 :: v_dual_bitop2_b32 v5, 7, v3 bitop3:0x40
	v_bfe_u32 v11, v3, 3, 4
	v_and_b32_e32 v1, 0x80000000, v1
	s_delay_alu instid0(VALU_DEP_3) | instskip(NEXT) | instid1(VALU_DEP_3)
	v_clz_i32_u32_e32 v7, v5
	v_cmp_eq_u32_e32 vcc_lo, 0, v11
	s_delay_alu instid0(VALU_DEP_2) | instskip(NEXT) | instid1(VALU_DEP_1)
	v_min_u32_e32 v7, 32, v7
	v_subrev_nc_u32_e32 v10, 28, v7
	v_sub_nc_u32_e32 v7, 29, v7
	s_delay_alu instid0(VALU_DEP_2) | instskip(NEXT) | instid1(VALU_DEP_2)
	v_lshlrev_b32_e32 v3, v10, v3
	v_cndmask_b32_e32 v7, v11, v7, vcc_lo
	s_delay_alu instid0(VALU_DEP_2) | instskip(NEXT) | instid1(VALU_DEP_1)
	v_and_b32_e32 v3, 7, v3
	v_cndmask_b32_e32 v3, v5, v3, vcc_lo
	s_delay_alu instid0(VALU_DEP_3) | instskip(NEXT) | instid1(VALU_DEP_2)
	v_lshl_add_u32 v5, v7, 23, 0x3b800000
	v_lshlrev_b32_e32 v3, 20, v3
	s_delay_alu instid0(VALU_DEP_1)
	v_or3_b32 v3, v1, v5, v3
.LBB167_1111:
	s_or_b32 exec_lo, exec_lo, s31
	s_delay_alu instid0(VALU_DEP_1) | instskip(SKIP_1) | instid1(VALU_DEP_2)
	v_bfe_u32 v1, v3, 16, 1
	v_cmp_o_f32_e32 vcc_lo, v3, v3
	v_add3_u32 v1, v3, v1, 0x7fff
	s_delay_alu instid0(VALU_DEP_1) | instskip(NEXT) | instid1(VALU_DEP_1)
	v_lshrrev_b32_e32 v1, 16, v1
	v_cndmask_b32_e32 v1, 0x7fc0, v1, vcc_lo
.LBB167_1112:
	s_mov_b32 s30, -1
.LBB167_1113:
	s_mov_b32 s31, 0
.LBB167_1114:
	s_delay_alu instid0(SALU_CYCLE_1)
	s_and_b32 vcc_lo, exec_lo, s31
	s_cbranch_vccz .LBB167_1149
; %bb.1115:
	s_cmp_gt_i32 s29, 22
	s_cbranch_scc0 .LBB167_1125
; %bb.1116:
	s_cmp_lt_i32 s29, 24
	s_cbranch_scc1 .LBB167_1128
; %bb.1117:
	s_cmp_gt_i32 s29, 24
	s_cbranch_scc0 .LBB167_1129
; %bb.1118:
	s_wait_loadcnt 0x0
	global_load_u8 v1, v[8:9], off
	s_mov_b32 s30, 0
	s_mov_b32 s31, exec_lo
	s_wait_loadcnt 0x0
	v_cmpx_lt_i16_e32 0x7f, v1
	s_xor_b32 s31, exec_lo, s31
	s_cbranch_execz .LBB167_1141
; %bb.1119:
	s_mov_b32 s30, -1
	s_mov_b32 s56, exec_lo
	v_cmpx_eq_u16_e32 0x80, v1
; %bb.1120:
	s_xor_b32 s30, exec_lo, -1
; %bb.1121:
	s_or_b32 exec_lo, exec_lo, s56
	s_delay_alu instid0(SALU_CYCLE_1)
	s_and_b32 s30, s30, exec_lo
	s_or_saveexec_b32 s31, s31
	v_mov_b32_e32 v3, 0x7f800001
	s_xor_b32 exec_lo, exec_lo, s31
	s_cbranch_execnz .LBB167_1142
.LBB167_1122:
	s_or_b32 exec_lo, exec_lo, s31
	s_and_saveexec_b32 s31, s30
	s_cbranch_execz .LBB167_1124
.LBB167_1123:
	v_and_b32_e32 v3, 0xffff, v1
	s_delay_alu instid0(VALU_DEP_1) | instskip(SKIP_1) | instid1(VALU_DEP_2)
	v_dual_lshlrev_b32 v1, 24, v1 :: v_dual_bitop2_b32 v5, 3, v3 bitop3:0x40
	v_bfe_u32 v11, v3, 2, 5
	v_and_b32_e32 v1, 0x80000000, v1
	s_delay_alu instid0(VALU_DEP_3) | instskip(NEXT) | instid1(VALU_DEP_3)
	v_clz_i32_u32_e32 v7, v5
	v_cmp_eq_u32_e32 vcc_lo, 0, v11
	s_delay_alu instid0(VALU_DEP_2) | instskip(NEXT) | instid1(VALU_DEP_1)
	v_min_u32_e32 v7, 32, v7
	v_subrev_nc_u32_e32 v10, 29, v7
	v_sub_nc_u32_e32 v7, 30, v7
	s_delay_alu instid0(VALU_DEP_2) | instskip(NEXT) | instid1(VALU_DEP_2)
	v_lshlrev_b32_e32 v3, v10, v3
	v_cndmask_b32_e32 v7, v11, v7, vcc_lo
	s_delay_alu instid0(VALU_DEP_2) | instskip(NEXT) | instid1(VALU_DEP_1)
	v_and_b32_e32 v3, 3, v3
	v_cndmask_b32_e32 v3, v5, v3, vcc_lo
	s_delay_alu instid0(VALU_DEP_3) | instskip(NEXT) | instid1(VALU_DEP_2)
	v_lshl_add_u32 v5, v7, 23, 0x37800000
	v_lshlrev_b32_e32 v3, 21, v3
	s_delay_alu instid0(VALU_DEP_1)
	v_or3_b32 v3, v1, v5, v3
.LBB167_1124:
	s_or_b32 exec_lo, exec_lo, s31
	s_delay_alu instid0(VALU_DEP_1) | instskip(SKIP_2) | instid1(VALU_DEP_2)
	v_bfe_u32 v1, v3, 16, 1
	v_cmp_o_f32_e32 vcc_lo, v3, v3
	s_mov_b32 s30, 0
	v_add3_u32 v1, v3, v1, 0x7fff
	s_delay_alu instid0(VALU_DEP_1) | instskip(NEXT) | instid1(VALU_DEP_1)
	v_lshrrev_b32_e32 v1, 16, v1
	v_cndmask_b32_e32 v1, 0x7fc0, v1, vcc_lo
	s_branch .LBB167_1130
.LBB167_1125:
	s_mov_b32 s31, -1
                                        ; implicit-def: $vgpr1
	s_branch .LBB167_1136
.LBB167_1126:
	s_or_saveexec_b32 s31, s31
	v_mov_b32_e32 v3, 0x7f800001
	s_xor_b32 exec_lo, exec_lo, s31
	s_cbranch_execz .LBB167_1109
.LBB167_1127:
	v_cmp_ne_u16_e32 vcc_lo, 0, v1
	v_mov_b32_e32 v3, 0
	s_and_not1_b32 s30, s30, exec_lo
	s_and_b32 s56, vcc_lo, exec_lo
	s_delay_alu instid0(SALU_CYCLE_1)
	s_or_b32 s30, s30, s56
	s_or_b32 exec_lo, exec_lo, s31
	s_and_saveexec_b32 s31, s30
	s_cbranch_execnz .LBB167_1110
	s_branch .LBB167_1111
.LBB167_1128:
	s_mov_b32 s30, -1
                                        ; implicit-def: $vgpr1
	s_branch .LBB167_1133
.LBB167_1129:
	s_mov_b32 s30, -1
                                        ; implicit-def: $vgpr1
.LBB167_1130:
	s_delay_alu instid0(SALU_CYCLE_1)
	s_and_b32 vcc_lo, exec_lo, s30
	s_cbranch_vccz .LBB167_1132
; %bb.1131:
	s_wait_loadcnt 0x0
	global_load_u8 v1, v[8:9], off
	s_wait_loadcnt 0x0
	v_lshlrev_b32_e32 v1, 24, v1
	s_delay_alu instid0(VALU_DEP_1) | instskip(NEXT) | instid1(VALU_DEP_1)
	v_and_b32_e32 v3, 0x7f000000, v1
	v_clz_i32_u32_e32 v5, v3
	v_cmp_ne_u32_e32 vcc_lo, 0, v3
	v_add_nc_u32_e32 v10, 0x1000000, v3
	s_delay_alu instid0(VALU_DEP_3) | instskip(NEXT) | instid1(VALU_DEP_1)
	v_min_u32_e32 v5, 32, v5
	v_sub_nc_u32_e64 v5, v5, 4 clamp
	s_delay_alu instid0(VALU_DEP_1) | instskip(NEXT) | instid1(VALU_DEP_1)
	v_dual_lshlrev_b32 v7, v5, v3 :: v_dual_lshlrev_b32 v5, 23, v5
	v_lshrrev_b32_e32 v7, 4, v7
	s_delay_alu instid0(VALU_DEP_1) | instskip(NEXT) | instid1(VALU_DEP_1)
	v_dual_sub_nc_u32 v5, v7, v5 :: v_dual_ashrrev_i32 v7, 8, v10
	v_add_nc_u32_e32 v5, 0x3c000000, v5
	s_delay_alu instid0(VALU_DEP_1) | instskip(NEXT) | instid1(VALU_DEP_1)
	v_and_or_b32 v5, 0x7f800000, v7, v5
	v_cndmask_b32_e32 v3, 0, v5, vcc_lo
	s_delay_alu instid0(VALU_DEP_1) | instskip(SKIP_1) | instid1(VALU_DEP_2)
	v_and_or_b32 v1, 0x80000000, v1, v3
	v_bfe_u32 v3, v3, 16, 1
	v_cmp_o_f32_e32 vcc_lo, v1, v1
	s_delay_alu instid0(VALU_DEP_2) | instskip(NEXT) | instid1(VALU_DEP_1)
	v_add3_u32 v3, v1, v3, 0x7fff
	v_lshrrev_b32_e32 v3, 16, v3
	s_delay_alu instid0(VALU_DEP_1)
	v_cndmask_b32_e32 v1, 0x7fc0, v3, vcc_lo
.LBB167_1132:
	s_mov_b32 s30, 0
.LBB167_1133:
	s_delay_alu instid0(SALU_CYCLE_1)
	s_and_not1_b32 vcc_lo, exec_lo, s30
	s_cbranch_vccnz .LBB167_1135
; %bb.1134:
	s_wait_loadcnt 0x0
	global_load_u8 v1, v[8:9], off
	s_wait_loadcnt 0x0
	v_lshlrev_b32_e32 v3, 25, v1
	v_lshlrev_b16 v1, 8, v1
	s_delay_alu instid0(VALU_DEP_1) | instskip(SKIP_1) | instid1(VALU_DEP_2)
	v_and_or_b32 v7, 0x7f00, v1, 0.5
	v_bfe_i32 v1, v1, 0, 16
	v_add_f32_e32 v7, -0.5, v7
	v_lshrrev_b32_e32 v5, 4, v3
	v_cmp_gt_u32_e32 vcc_lo, 0x8000000, v3
	s_delay_alu instid0(VALU_DEP_2) | instskip(NEXT) | instid1(VALU_DEP_1)
	v_or_b32_e32 v5, 0x70000000, v5
	v_mul_f32_e32 v5, 0x7800000, v5
	s_delay_alu instid0(VALU_DEP_1) | instskip(NEXT) | instid1(VALU_DEP_1)
	v_cndmask_b32_e32 v3, v5, v7, vcc_lo
	v_and_or_b32 v1, 0x80000000, v1, v3
	v_bfe_u32 v3, v3, 16, 1
	s_delay_alu instid0(VALU_DEP_2) | instskip(NEXT) | instid1(VALU_DEP_2)
	v_cmp_o_f32_e32 vcc_lo, v1, v1
	v_add3_u32 v3, v1, v3, 0x7fff
	s_delay_alu instid0(VALU_DEP_1) | instskip(NEXT) | instid1(VALU_DEP_1)
	v_lshrrev_b32_e32 v3, 16, v3
	v_cndmask_b32_e32 v1, 0x7fc0, v3, vcc_lo
.LBB167_1135:
	s_mov_b32 s31, 0
	s_mov_b32 s30, -1
.LBB167_1136:
	s_and_not1_b32 vcc_lo, exec_lo, s31
	s_cbranch_vccnz .LBB167_1149
; %bb.1137:
	s_cmp_gt_i32 s29, 14
	s_cbranch_scc0 .LBB167_1140
; %bb.1138:
	s_cmp_eq_u32 s29, 15
	s_cbranch_scc0 .LBB167_1143
; %bb.1139:
	s_wait_loadcnt 0x0
	global_load_u16 v1, v[8:9], off
	s_mov_b32 s30, -1
	s_mov_b32 s28, 0
	s_branch .LBB167_1144
.LBB167_1140:
	s_mov_b32 s31, -1
                                        ; implicit-def: $vgpr1
	s_branch .LBB167_1145
.LBB167_1141:
	s_or_saveexec_b32 s31, s31
	v_mov_b32_e32 v3, 0x7f800001
	s_xor_b32 exec_lo, exec_lo, s31
	s_cbranch_execz .LBB167_1122
.LBB167_1142:
	v_cmp_ne_u16_e32 vcc_lo, 0, v1
	v_mov_b32_e32 v3, 0
	s_and_not1_b32 s30, s30, exec_lo
	s_and_b32 s56, vcc_lo, exec_lo
	s_delay_alu instid0(SALU_CYCLE_1)
	s_or_b32 s30, s30, s56
	s_or_b32 exec_lo, exec_lo, s31
	s_and_saveexec_b32 s31, s30
	s_cbranch_execnz .LBB167_1123
	s_branch .LBB167_1124
.LBB167_1143:
	s_mov_b32 s28, -1
                                        ; implicit-def: $vgpr1
.LBB167_1144:
	s_mov_b32 s31, 0
.LBB167_1145:
	s_delay_alu instid0(SALU_CYCLE_1)
	s_and_b32 vcc_lo, exec_lo, s31
	s_cbranch_vccz .LBB167_1149
; %bb.1146:
	s_cmp_eq_u32 s29, 11
	s_cbranch_scc0 .LBB167_1148
; %bb.1147:
	s_wait_loadcnt 0x0
	global_load_u8 v1, v[8:9], off
	s_mov_b32 s28, 0
	s_mov_b32 s30, -1
	s_wait_loadcnt 0x0
	v_cmp_ne_u16_e32 vcc_lo, 0, v1
	v_cndmask_b32_e64 v1, 0, 1.0, vcc_lo
	s_delay_alu instid0(VALU_DEP_1)
	v_lshrrev_b32_e32 v1, 16, v1
	s_branch .LBB167_1149
.LBB167_1148:
	s_mov_b32 s28, -1
                                        ; implicit-def: $vgpr1
.LBB167_1149:
	s_mov_b32 s29, 0
.LBB167_1150:
	s_delay_alu instid0(SALU_CYCLE_1)
	s_and_b32 vcc_lo, exec_lo, s29
	s_cbranch_vccz .LBB167_1199
; %bb.1151:
	s_and_b32 s0, 0xffff, s0
	s_delay_alu instid0(SALU_CYCLE_1)
	s_cmp_lt_i32 s0, 5
	s_cbranch_scc1 .LBB167_1156
; %bb.1152:
	s_cmp_lt_i32 s0, 8
	s_cbranch_scc1 .LBB167_1157
; %bb.1153:
	;; [unrolled: 3-line block ×3, first 2 shown]
	s_cmp_gt_i32 s0, 9
	s_cbranch_scc0 .LBB167_1159
; %bb.1155:
	global_load_b64 v[10:11], v[8:9], off
	s_mov_b32 s29, 0
	s_wait_loadcnt 0x0
	v_cvt_f32_f64_e32 v1, v[10:11]
	s_delay_alu instid0(VALU_DEP_1) | instskip(SKIP_1) | instid1(VALU_DEP_2)
	v_bfe_u32 v3, v1, 16, 1
	v_cmp_o_f32_e32 vcc_lo, v1, v1
	v_add3_u32 v3, v1, v3, 0x7fff
	s_delay_alu instid0(VALU_DEP_1) | instskip(NEXT) | instid1(VALU_DEP_1)
	v_lshrrev_b32_e32 v3, 16, v3
	v_cndmask_b32_e32 v1, 0x7fc0, v3, vcc_lo
	s_branch .LBB167_1160
.LBB167_1156:
	s_mov_b32 s29, -1
                                        ; implicit-def: $vgpr1
	s_branch .LBB167_1178
.LBB167_1157:
	s_mov_b32 s29, -1
                                        ; implicit-def: $vgpr1
	s_branch .LBB167_1166
.LBB167_1158:
	s_mov_b32 s29, -1
                                        ; implicit-def: $vgpr1
	s_branch .LBB167_1163
.LBB167_1159:
	s_mov_b32 s29, -1
                                        ; implicit-def: $vgpr1
.LBB167_1160:
	s_delay_alu instid0(SALU_CYCLE_1)
	s_and_not1_b32 vcc_lo, exec_lo, s29
	s_cbranch_vccnz .LBB167_1162
; %bb.1161:
	s_wait_loadcnt 0x0
	global_load_b32 v1, v[8:9], off
	s_wait_loadcnt 0x0
	v_bfe_u32 v3, v1, 16, 1
	v_cmp_o_f32_e32 vcc_lo, v1, v1
	s_delay_alu instid0(VALU_DEP_2) | instskip(NEXT) | instid1(VALU_DEP_1)
	v_add3_u32 v3, v1, v3, 0x7fff
	v_lshrrev_b32_e32 v3, 16, v3
	s_delay_alu instid0(VALU_DEP_1)
	v_cndmask_b32_e32 v1, 0x7fc0, v3, vcc_lo
.LBB167_1162:
	s_mov_b32 s29, 0
.LBB167_1163:
	s_delay_alu instid0(SALU_CYCLE_1)
	s_and_not1_b32 vcc_lo, exec_lo, s29
	s_cbranch_vccnz .LBB167_1165
; %bb.1164:
	s_wait_loadcnt 0x0
	global_load_b32 v1, v[8:9], off
	s_wait_loadcnt 0x0
	v_cvt_f32_f16_e32 v3, v1
	v_cmp_o_f16_e32 vcc_lo, v1, v1
	s_delay_alu instid0(VALU_DEP_2) | instskip(NEXT) | instid1(VALU_DEP_1)
	v_bfe_u32 v5, v3, 16, 1
	v_add3_u32 v3, v3, v5, 0x7fff
	s_delay_alu instid0(VALU_DEP_1) | instskip(NEXT) | instid1(VALU_DEP_1)
	v_lshrrev_b32_e32 v3, 16, v3
	v_cndmask_b32_e32 v1, 0x7fc0, v3, vcc_lo
.LBB167_1165:
	s_mov_b32 s29, 0
.LBB167_1166:
	s_delay_alu instid0(SALU_CYCLE_1)
	s_and_not1_b32 vcc_lo, exec_lo, s29
	s_cbranch_vccnz .LBB167_1177
; %bb.1167:
	s_cmp_lt_i32 s0, 6
	s_cbranch_scc1 .LBB167_1170
; %bb.1168:
	s_cmp_gt_i32 s0, 6
	s_cbranch_scc0 .LBB167_1171
; %bb.1169:
	global_load_b64 v[10:11], v[8:9], off
	s_mov_b32 s29, 0
	s_wait_loadcnt 0x0
	v_cvt_f32_f64_e32 v1, v[10:11]
	s_delay_alu instid0(VALU_DEP_1) | instskip(SKIP_1) | instid1(VALU_DEP_2)
	v_bfe_u32 v3, v1, 16, 1
	v_cmp_o_f32_e32 vcc_lo, v1, v1
	v_add3_u32 v3, v1, v3, 0x7fff
	s_delay_alu instid0(VALU_DEP_1) | instskip(NEXT) | instid1(VALU_DEP_1)
	v_lshrrev_b32_e32 v3, 16, v3
	v_cndmask_b32_e32 v1, 0x7fc0, v3, vcc_lo
	s_branch .LBB167_1172
.LBB167_1170:
	s_mov_b32 s29, -1
                                        ; implicit-def: $vgpr1
	s_branch .LBB167_1175
.LBB167_1171:
	s_mov_b32 s29, -1
                                        ; implicit-def: $vgpr1
.LBB167_1172:
	s_delay_alu instid0(SALU_CYCLE_1)
	s_and_not1_b32 vcc_lo, exec_lo, s29
	s_cbranch_vccnz .LBB167_1174
; %bb.1173:
	s_wait_loadcnt 0x0
	global_load_b32 v1, v[8:9], off
	s_wait_loadcnt 0x0
	v_bfe_u32 v3, v1, 16, 1
	v_cmp_o_f32_e32 vcc_lo, v1, v1
	s_delay_alu instid0(VALU_DEP_2) | instskip(NEXT) | instid1(VALU_DEP_1)
	v_add3_u32 v3, v1, v3, 0x7fff
	v_lshrrev_b32_e32 v3, 16, v3
	s_delay_alu instid0(VALU_DEP_1)
	v_cndmask_b32_e32 v1, 0x7fc0, v3, vcc_lo
.LBB167_1174:
	s_mov_b32 s29, 0
.LBB167_1175:
	s_delay_alu instid0(SALU_CYCLE_1)
	s_and_not1_b32 vcc_lo, exec_lo, s29
	s_cbranch_vccnz .LBB167_1177
; %bb.1176:
	s_wait_loadcnt 0x0
	global_load_u16 v1, v[8:9], off
	s_wait_loadcnt 0x0
	v_cvt_f32_f16_e32 v3, v1
	v_cmp_o_f16_e32 vcc_lo, v1, v1
	s_delay_alu instid0(VALU_DEP_2) | instskip(NEXT) | instid1(VALU_DEP_1)
	v_bfe_u32 v5, v3, 16, 1
	v_add3_u32 v3, v3, v5, 0x7fff
	s_delay_alu instid0(VALU_DEP_1) | instskip(NEXT) | instid1(VALU_DEP_1)
	v_lshrrev_b32_e32 v3, 16, v3
	v_cndmask_b32_e32 v1, 0x7fc0, v3, vcc_lo
.LBB167_1177:
	s_mov_b32 s29, 0
.LBB167_1178:
	s_delay_alu instid0(SALU_CYCLE_1)
	s_and_not1_b32 vcc_lo, exec_lo, s29
	s_cbranch_vccnz .LBB167_1198
; %bb.1179:
	s_cmp_lt_i32 s0, 2
	s_cbranch_scc1 .LBB167_1183
; %bb.1180:
	s_cmp_lt_i32 s0, 3
	s_cbranch_scc1 .LBB167_1184
; %bb.1181:
	s_cmp_gt_i32 s0, 3
	s_cbranch_scc0 .LBB167_1185
; %bb.1182:
	global_load_b64 v[10:11], v[8:9], off
	s_mov_b32 s29, 0
	s_wait_loadcnt 0x0
	v_xor_b32_e32 v1, v10, v11
	v_cls_i32_e32 v3, v11
	s_delay_alu instid0(VALU_DEP_2) | instskip(NEXT) | instid1(VALU_DEP_1)
	v_ashrrev_i32_e32 v1, 31, v1
	v_add_nc_u32_e32 v1, 32, v1
	s_delay_alu instid0(VALU_DEP_1) | instskip(NEXT) | instid1(VALU_DEP_1)
	v_add_min_u32_e64 v1, v3, -1, v1
	v_lshlrev_b64_e32 v[10:11], v1, v[10:11]
	v_sub_nc_u32_e32 v1, 32, v1
	s_delay_alu instid0(VALU_DEP_2) | instskip(NEXT) | instid1(VALU_DEP_1)
	v_min_u32_e32 v3, 1, v10
	v_or_b32_e32 v3, v11, v3
	s_delay_alu instid0(VALU_DEP_1) | instskip(NEXT) | instid1(VALU_DEP_1)
	v_cvt_f32_i32_e32 v3, v3
	v_ldexp_f32 v1, v3, v1
	s_delay_alu instid0(VALU_DEP_1) | instskip(NEXT) | instid1(VALU_DEP_1)
	v_bfe_u32 v3, v1, 16, 1
	v_add3_u32 v1, v1, v3, 0x7fff
	s_delay_alu instid0(VALU_DEP_1)
	v_lshrrev_b32_e32 v1, 16, v1
	s_branch .LBB167_1186
.LBB167_1183:
	s_mov_b32 s29, -1
                                        ; implicit-def: $vgpr1
	s_branch .LBB167_1192
.LBB167_1184:
	s_mov_b32 s29, -1
                                        ; implicit-def: $vgpr1
	s_branch .LBB167_1189
.LBB167_1185:
	s_mov_b32 s29, -1
                                        ; implicit-def: $vgpr1
.LBB167_1186:
	s_delay_alu instid0(SALU_CYCLE_1)
	s_and_not1_b32 vcc_lo, exec_lo, s29
	s_cbranch_vccnz .LBB167_1188
; %bb.1187:
	s_wait_loadcnt 0x0
	global_load_b32 v1, v[8:9], off
	s_wait_loadcnt 0x0
	v_cvt_f32_i32_e32 v1, v1
	s_delay_alu instid0(VALU_DEP_1) | instskip(NEXT) | instid1(VALU_DEP_1)
	v_bfe_u32 v3, v1, 16, 1
	v_add3_u32 v1, v1, v3, 0x7fff
	s_delay_alu instid0(VALU_DEP_1)
	v_lshrrev_b32_e32 v1, 16, v1
.LBB167_1188:
	s_mov_b32 s29, 0
.LBB167_1189:
	s_delay_alu instid0(SALU_CYCLE_1)
	s_and_not1_b32 vcc_lo, exec_lo, s29
	s_cbranch_vccnz .LBB167_1191
; %bb.1190:
	s_wait_loadcnt 0x0
	global_load_i16 v1, v[8:9], off
	s_wait_loadcnt 0x0
	v_cvt_f32_i32_e32 v1, v1
	s_delay_alu instid0(VALU_DEP_1) | instskip(NEXT) | instid1(VALU_DEP_1)
	v_bfe_u32 v3, v1, 16, 1
	v_add3_u32 v1, v1, v3, 0x7fff
	s_delay_alu instid0(VALU_DEP_1)
	v_lshrrev_b32_e32 v1, 16, v1
.LBB167_1191:
	s_mov_b32 s29, 0
.LBB167_1192:
	s_delay_alu instid0(SALU_CYCLE_1)
	s_and_not1_b32 vcc_lo, exec_lo, s29
	s_cbranch_vccnz .LBB167_1198
; %bb.1193:
	s_cmp_gt_i32 s0, 0
	s_mov_b32 s0, 0
	s_cbranch_scc0 .LBB167_1195
; %bb.1194:
	s_wait_loadcnt 0x0
	global_load_i8 v1, v[8:9], off
	s_wait_loadcnt 0x0
	v_cvt_f32_i32_e32 v1, v1
	s_delay_alu instid0(VALU_DEP_1) | instskip(NEXT) | instid1(VALU_DEP_1)
	v_bfe_u32 v3, v1, 16, 1
	v_add3_u32 v1, v1, v3, 0x7fff
	s_delay_alu instid0(VALU_DEP_1)
	v_lshrrev_b32_e32 v1, 16, v1
	s_branch .LBB167_1196
.LBB167_1195:
	s_mov_b32 s0, -1
                                        ; implicit-def: $vgpr1
.LBB167_1196:
	s_delay_alu instid0(SALU_CYCLE_1)
	s_and_not1_b32 vcc_lo, exec_lo, s0
	s_cbranch_vccnz .LBB167_1198
; %bb.1197:
	s_wait_loadcnt 0x0
	global_load_u8 v1, v[8:9], off
	s_wait_loadcnt 0x0
	v_cvt_f32_ubyte0_e32 v1, v1
	s_delay_alu instid0(VALU_DEP_1) | instskip(NEXT) | instid1(VALU_DEP_1)
	v_bfe_u32 v3, v1, 16, 1
	v_add3_u32 v1, v1, v3, 0x7fff
	s_delay_alu instid0(VALU_DEP_1)
	v_lshrrev_b32_e32 v1, 16, v1
.LBB167_1198:
	s_mov_b32 s30, -1
.LBB167_1199:
	s_delay_alu instid0(SALU_CYCLE_1)
	s_and_not1_b32 vcc_lo, exec_lo, s30
	s_cbranch_vccnz .LBB167_1207
; %bb.1200:
	v_mov_b32_e32 v7, 0
	s_and_b32 s0, s39, 0xff
	s_delay_alu instid0(SALU_CYCLE_1) | instskip(NEXT) | instid1(VALU_DEP_1)
	s_cmp_lt_i32 s0, 11
	v_add_nc_u64_e32 v[6:7], s[8:9], v[6:7]
	s_cbranch_scc1 .LBB167_1208
; %bb.1201:
	s_and_b32 s30, 0xffff, s0
	s_delay_alu instid0(SALU_CYCLE_1)
	s_cmp_gt_i32 s30, 25
	s_cbranch_scc0 .LBB167_1209
; %bb.1202:
	s_cmp_gt_i32 s30, 28
	s_cbranch_scc0 .LBB167_1210
; %bb.1203:
	;; [unrolled: 3-line block ×4, first 2 shown]
	s_cmp_eq_u32 s30, 46
	s_mov_b32 s56, 0
	s_cbranch_scc0 .LBB167_1215
; %bb.1206:
	global_load_b32 v8, v[6:7], off
	s_mov_b32 s31, -1
	s_mov_b32 s29, 0
	s_branch .LBB167_1217
.LBB167_1207:
	s_mov_b32 s31, 0
	s_mov_b32 s0, s51
	;; [unrolled: 1-line block ×4, first 2 shown]
	s_branch .LBB167_1588
.LBB167_1208:
	s_mov_b32 s30, -1
	s_mov_b32 s31, 0
	s_mov_b32 s29, s53
                                        ; implicit-def: $vgpr8
	s_branch .LBB167_1282
.LBB167_1209:
	s_mov_b32 s56, -1
	s_mov_b32 s31, 0
	s_mov_b32 s29, s53
                                        ; implicit-def: $vgpr8
	s_branch .LBB167_1246
.LBB167_1210:
	s_mov_b32 s56, -1
	s_mov_b32 s31, 0
	s_mov_b32 s29, s53
                                        ; implicit-def: $vgpr8
	s_branch .LBB167_1227
.LBB167_1211:
	s_mov_b32 s56, -1
	s_mov_b32 s31, 0
	s_mov_b32 s29, s53
                                        ; implicit-def: $vgpr8
	s_branch .LBB167_1222
.LBB167_1212:
	s_mov_b32 s56, -1
	s_mov_b32 s31, 0
	s_mov_b32 s29, s53
	s_branch .LBB167_1216
.LBB167_1213:
	s_and_not1_saveexec_b32 s53, s53
	s_cbranch_execz .LBB167_965
.LBB167_1214:
	v_add_f32_e64 v5, 0x46000000, |v6|
	s_and_not1_b32 s52, s52, exec_lo
	s_delay_alu instid0(VALU_DEP_1) | instskip(NEXT) | instid1(VALU_DEP_1)
	v_and_b32_e32 v5, 0xff, v5
	v_cmp_ne_u32_e32 vcc_lo, 0, v5
	s_and_b32 s55, vcc_lo, exec_lo
	s_delay_alu instid0(SALU_CYCLE_1)
	s_or_b32 s52, s52, s55
	s_or_b32 exec_lo, exec_lo, s53
	v_mov_b32_e32 v7, 0
	s_and_saveexec_b32 s53, s52
	s_cbranch_execnz .LBB167_966
	s_branch .LBB167_967
.LBB167_1215:
	s_mov_b32 s29, -1
	s_mov_b32 s31, 0
.LBB167_1216:
                                        ; implicit-def: $vgpr8
.LBB167_1217:
	s_and_b32 vcc_lo, exec_lo, s56
	s_cbranch_vccz .LBB167_1221
; %bb.1218:
	s_cmp_eq_u32 s30, 44
	s_cbranch_scc0 .LBB167_1220
; %bb.1219:
	global_load_u8 v3, v[6:7], off
	s_mov_b32 s29, 0
	s_mov_b32 s31, -1
	s_wait_loadcnt 0x0
	v_lshlrev_b32_e32 v5, 23, v3
	v_cmp_ne_u32_e32 vcc_lo, 0xff, v3
	s_delay_alu instid0(VALU_DEP_2) | instskip(SKIP_1) | instid1(VALU_DEP_2)
	v_cndmask_b32_e32 v5, 0x7f800001, v5, vcc_lo
	v_cmp_ne_u32_e32 vcc_lo, 0, v3
	v_cndmask_b32_e32 v3, 0x400000, v5, vcc_lo
	s_delay_alu instid0(VALU_DEP_1) | instskip(SKIP_1) | instid1(VALU_DEP_2)
	v_add_nc_u32_e32 v5, 0x7fff, v3
	v_cmp_o_f32_e32 vcc_lo, v3, v3
	v_lshrrev_b32_e32 v5, 16, v5
	s_wait_xcnt 0x1
	s_delay_alu instid0(VALU_DEP_1)
	v_cndmask_b32_e32 v8, 0x7fc0, v5, vcc_lo
	s_branch .LBB167_1221
.LBB167_1220:
	s_mov_b32 s29, -1
                                        ; implicit-def: $vgpr8
.LBB167_1221:
	s_mov_b32 s56, 0
.LBB167_1222:
	s_delay_alu instid0(SALU_CYCLE_1)
	s_and_b32 vcc_lo, exec_lo, s56
	s_cbranch_vccz .LBB167_1226
; %bb.1223:
	s_cmp_eq_u32 s30, 29
	s_cbranch_scc0 .LBB167_1225
; %bb.1224:
	s_wait_loadcnt 0x0
	global_load_b64 v[8:9], v[6:7], off
	s_mov_b32 s31, -1
	s_mov_b32 s29, 0
	s_mov_b32 s56, 0
	s_wait_loadcnt 0x0
	v_clz_i32_u32_e32 v3, v9
	s_delay_alu instid0(VALU_DEP_1) | instskip(NEXT) | instid1(VALU_DEP_1)
	v_min_u32_e32 v3, 32, v3
	v_lshlrev_b64_e32 v[8:9], v3, v[8:9]
	v_sub_nc_u32_e32 v3, 32, v3
	s_delay_alu instid0(VALU_DEP_2) | instskip(NEXT) | instid1(VALU_DEP_1)
	v_min_u32_e32 v5, 1, v8
	v_or_b32_e32 v5, v9, v5
	s_delay_alu instid0(VALU_DEP_1) | instskip(NEXT) | instid1(VALU_DEP_1)
	v_cvt_f32_u32_e32 v5, v5
	v_ldexp_f32 v3, v5, v3
	s_delay_alu instid0(VALU_DEP_1) | instskip(NEXT) | instid1(VALU_DEP_1)
	v_bfe_u32 v5, v3, 16, 1
	v_add3_u32 v3, v3, v5, 0x7fff
	s_delay_alu instid0(VALU_DEP_1)
	v_lshrrev_b32_e32 v8, 16, v3
	s_branch .LBB167_1227
.LBB167_1225:
	s_mov_b32 s29, -1
                                        ; implicit-def: $vgpr8
.LBB167_1226:
	s_mov_b32 s56, 0
.LBB167_1227:
	s_delay_alu instid0(SALU_CYCLE_1)
	s_and_b32 vcc_lo, exec_lo, s56
	s_cbranch_vccz .LBB167_1245
; %bb.1228:
	s_cmp_lt_i32 s30, 27
	s_cbranch_scc1 .LBB167_1231
; %bb.1229:
	s_cmp_gt_i32 s30, 27
	s_cbranch_scc0 .LBB167_1232
; %bb.1230:
	global_load_b32 v3, v[6:7], off
	s_mov_b32 s31, 0
	s_wait_loadcnt 0x0
	v_cvt_f32_u32_e32 v3, v3
	s_delay_alu instid0(VALU_DEP_1) | instskip(NEXT) | instid1(VALU_DEP_1)
	v_bfe_u32 v5, v3, 16, 1
	v_add3_u32 v3, v3, v5, 0x7fff
	s_wait_xcnt 0x1
	s_delay_alu instid0(VALU_DEP_1)
	v_lshrrev_b32_e32 v8, 16, v3
	s_branch .LBB167_1233
.LBB167_1231:
	s_mov_b32 s31, -1
                                        ; implicit-def: $vgpr8
	s_branch .LBB167_1236
.LBB167_1232:
	s_mov_b32 s31, -1
                                        ; implicit-def: $vgpr8
.LBB167_1233:
	s_delay_alu instid0(SALU_CYCLE_1)
	s_and_not1_b32 vcc_lo, exec_lo, s31
	s_cbranch_vccnz .LBB167_1235
; %bb.1234:
	global_load_u16 v3, v[6:7], off
	s_wait_loadcnt 0x0
	v_cvt_f32_u32_e32 v3, v3
	s_delay_alu instid0(VALU_DEP_1) | instskip(NEXT) | instid1(VALU_DEP_1)
	v_bfe_u32 v5, v3, 16, 1
	v_add3_u32 v3, v3, v5, 0x7fff
	s_wait_xcnt 0x1
	s_delay_alu instid0(VALU_DEP_1)
	v_lshrrev_b32_e32 v8, 16, v3
.LBB167_1235:
	s_mov_b32 s31, 0
.LBB167_1236:
	s_delay_alu instid0(SALU_CYCLE_1)
	s_and_not1_b32 vcc_lo, exec_lo, s31
	s_cbranch_vccnz .LBB167_1244
; %bb.1237:
	global_load_u8 v3, v[6:7], off
	s_mov_b32 s31, 0
	s_mov_b32 s56, exec_lo
	s_wait_loadcnt 0x0
	v_cmpx_lt_i16_e32 0x7f, v3
	s_xor_b32 s56, exec_lo, s56
	s_cbranch_execz .LBB167_1258
; %bb.1238:
	s_mov_b32 s31, -1
	s_mov_b32 s57, exec_lo
	v_cmpx_eq_u16_e32 0x80, v3
; %bb.1239:
	s_xor_b32 s31, exec_lo, -1
; %bb.1240:
	s_or_b32 exec_lo, exec_lo, s57
	s_delay_alu instid0(SALU_CYCLE_1)
	s_and_b32 s31, s31, exec_lo
	s_or_saveexec_b32 s56, s56
	v_mov_b32_e32 v5, 0x7f800001
	s_xor_b32 exec_lo, exec_lo, s56
	s_cbranch_execnz .LBB167_1259
.LBB167_1241:
	s_or_b32 exec_lo, exec_lo, s56
	s_and_saveexec_b32 s56, s31
	s_cbranch_execz .LBB167_1243
.LBB167_1242:
	v_and_b32_e32 v5, 0xffff, v3
	s_delay_alu instid0(VALU_DEP_1) | instskip(SKIP_1) | instid1(VALU_DEP_2)
	v_dual_lshlrev_b32 v3, 24, v3 :: v_dual_bitop2_b32 v8, 7, v5 bitop3:0x40
	v_bfe_u32 v11, v5, 3, 4
	v_and_b32_e32 v3, 0x80000000, v3
	s_delay_alu instid0(VALU_DEP_3) | instskip(NEXT) | instid1(VALU_DEP_3)
	v_clz_i32_u32_e32 v9, v8
	v_cmp_eq_u32_e32 vcc_lo, 0, v11
	s_delay_alu instid0(VALU_DEP_2) | instskip(NEXT) | instid1(VALU_DEP_1)
	v_min_u32_e32 v9, 32, v9
	v_subrev_nc_u32_e32 v10, 28, v9
	v_sub_nc_u32_e32 v9, 29, v9
	s_delay_alu instid0(VALU_DEP_2) | instskip(NEXT) | instid1(VALU_DEP_2)
	v_lshlrev_b32_e32 v5, v10, v5
	v_cndmask_b32_e32 v9, v11, v9, vcc_lo
	s_delay_alu instid0(VALU_DEP_2) | instskip(NEXT) | instid1(VALU_DEP_1)
	v_and_b32_e32 v5, 7, v5
	v_cndmask_b32_e32 v5, v8, v5, vcc_lo
	s_delay_alu instid0(VALU_DEP_3) | instskip(NEXT) | instid1(VALU_DEP_2)
	v_lshl_add_u32 v8, v9, 23, 0x3b800000
	v_lshlrev_b32_e32 v5, 20, v5
	s_delay_alu instid0(VALU_DEP_1)
	v_or3_b32 v5, v3, v8, v5
.LBB167_1243:
	s_or_b32 exec_lo, exec_lo, s56
	s_delay_alu instid0(VALU_DEP_1) | instskip(SKIP_1) | instid1(VALU_DEP_2)
	v_bfe_u32 v3, v5, 16, 1
	v_cmp_o_f32_e32 vcc_lo, v5, v5
	v_add3_u32 v3, v5, v3, 0x7fff
	s_delay_alu instid0(VALU_DEP_1) | instskip(NEXT) | instid1(VALU_DEP_1)
	v_lshrrev_b32_e32 v3, 16, v3
	v_cndmask_b32_e32 v8, 0x7fc0, v3, vcc_lo
.LBB167_1244:
	s_mov_b32 s31, -1
.LBB167_1245:
	s_mov_b32 s56, 0
.LBB167_1246:
	s_delay_alu instid0(SALU_CYCLE_1)
	s_and_b32 vcc_lo, exec_lo, s56
	s_cbranch_vccz .LBB167_1281
; %bb.1247:
	s_cmp_gt_i32 s30, 22
	s_cbranch_scc0 .LBB167_1257
; %bb.1248:
	s_cmp_lt_i32 s30, 24
	s_cbranch_scc1 .LBB167_1260
; %bb.1249:
	s_cmp_gt_i32 s30, 24
	s_cbranch_scc0 .LBB167_1261
; %bb.1250:
	global_load_u8 v3, v[6:7], off
	s_mov_b32 s31, 0
	s_mov_b32 s56, exec_lo
	s_wait_loadcnt 0x0
	v_cmpx_lt_i16_e32 0x7f, v3
	s_xor_b32 s56, exec_lo, s56
	s_cbranch_execz .LBB167_1273
; %bb.1251:
	s_mov_b32 s31, -1
	s_mov_b32 s57, exec_lo
	v_cmpx_eq_u16_e32 0x80, v3
; %bb.1252:
	s_xor_b32 s31, exec_lo, -1
; %bb.1253:
	s_or_b32 exec_lo, exec_lo, s57
	s_delay_alu instid0(SALU_CYCLE_1)
	s_and_b32 s31, s31, exec_lo
	s_or_saveexec_b32 s56, s56
	v_mov_b32_e32 v5, 0x7f800001
	s_xor_b32 exec_lo, exec_lo, s56
	s_cbranch_execnz .LBB167_1274
.LBB167_1254:
	s_or_b32 exec_lo, exec_lo, s56
	s_and_saveexec_b32 s56, s31
	s_cbranch_execz .LBB167_1256
.LBB167_1255:
	v_and_b32_e32 v5, 0xffff, v3
	s_delay_alu instid0(VALU_DEP_1) | instskip(SKIP_1) | instid1(VALU_DEP_2)
	v_dual_lshlrev_b32 v3, 24, v3 :: v_dual_bitop2_b32 v8, 3, v5 bitop3:0x40
	v_bfe_u32 v11, v5, 2, 5
	v_and_b32_e32 v3, 0x80000000, v3
	s_delay_alu instid0(VALU_DEP_3) | instskip(NEXT) | instid1(VALU_DEP_3)
	v_clz_i32_u32_e32 v9, v8
	v_cmp_eq_u32_e32 vcc_lo, 0, v11
	s_delay_alu instid0(VALU_DEP_2) | instskip(NEXT) | instid1(VALU_DEP_1)
	v_min_u32_e32 v9, 32, v9
	v_subrev_nc_u32_e32 v10, 29, v9
	v_sub_nc_u32_e32 v9, 30, v9
	s_delay_alu instid0(VALU_DEP_2) | instskip(NEXT) | instid1(VALU_DEP_2)
	v_lshlrev_b32_e32 v5, v10, v5
	v_cndmask_b32_e32 v9, v11, v9, vcc_lo
	s_delay_alu instid0(VALU_DEP_2) | instskip(NEXT) | instid1(VALU_DEP_1)
	v_and_b32_e32 v5, 3, v5
	v_cndmask_b32_e32 v5, v8, v5, vcc_lo
	s_delay_alu instid0(VALU_DEP_3) | instskip(NEXT) | instid1(VALU_DEP_2)
	v_lshl_add_u32 v8, v9, 23, 0x37800000
	v_lshlrev_b32_e32 v5, 21, v5
	s_delay_alu instid0(VALU_DEP_1)
	v_or3_b32 v5, v3, v8, v5
.LBB167_1256:
	s_or_b32 exec_lo, exec_lo, s56
	s_delay_alu instid0(VALU_DEP_1) | instskip(SKIP_2) | instid1(VALU_DEP_2)
	v_bfe_u32 v3, v5, 16, 1
	v_cmp_o_f32_e32 vcc_lo, v5, v5
	s_mov_b32 s31, 0
	v_add3_u32 v3, v5, v3, 0x7fff
	s_delay_alu instid0(VALU_DEP_1) | instskip(NEXT) | instid1(VALU_DEP_1)
	v_lshrrev_b32_e32 v3, 16, v3
	v_cndmask_b32_e32 v8, 0x7fc0, v3, vcc_lo
	s_branch .LBB167_1262
.LBB167_1257:
	s_mov_b32 s56, -1
                                        ; implicit-def: $vgpr8
	s_branch .LBB167_1268
.LBB167_1258:
	s_or_saveexec_b32 s56, s56
	v_mov_b32_e32 v5, 0x7f800001
	s_xor_b32 exec_lo, exec_lo, s56
	s_cbranch_execz .LBB167_1241
.LBB167_1259:
	v_cmp_ne_u16_e32 vcc_lo, 0, v3
	v_mov_b32_e32 v5, 0
	s_and_not1_b32 s31, s31, exec_lo
	s_and_b32 s57, vcc_lo, exec_lo
	s_delay_alu instid0(SALU_CYCLE_1)
	s_or_b32 s31, s31, s57
	s_or_b32 exec_lo, exec_lo, s56
	s_and_saveexec_b32 s56, s31
	s_cbranch_execnz .LBB167_1242
	s_branch .LBB167_1243
.LBB167_1260:
	s_mov_b32 s31, -1
                                        ; implicit-def: $vgpr8
	s_branch .LBB167_1265
.LBB167_1261:
	s_mov_b32 s31, -1
                                        ; implicit-def: $vgpr8
.LBB167_1262:
	s_delay_alu instid0(SALU_CYCLE_1)
	s_and_b32 vcc_lo, exec_lo, s31
	s_cbranch_vccz .LBB167_1264
; %bb.1263:
	global_load_u8 v3, v[6:7], off
	s_wait_loadcnt 0x0
	v_lshlrev_b32_e32 v3, 24, v3
	s_delay_alu instid0(VALU_DEP_1) | instskip(SKIP_1) | instid1(VALU_DEP_1)
	v_and_b32_e32 v5, 0x7f000000, v3
	s_wait_xcnt 0x1
	v_clz_i32_u32_e32 v8, v5
	v_cmp_ne_u32_e32 vcc_lo, 0, v5
	v_add_nc_u32_e32 v10, 0x1000000, v5
	s_delay_alu instid0(VALU_DEP_3) | instskip(NEXT) | instid1(VALU_DEP_1)
	v_min_u32_e32 v8, 32, v8
	v_sub_nc_u32_e64 v8, v8, 4 clamp
	s_delay_alu instid0(VALU_DEP_1) | instskip(NEXT) | instid1(VALU_DEP_1)
	v_dual_lshlrev_b32 v9, v8, v5 :: v_dual_lshlrev_b32 v8, 23, v8
	v_lshrrev_b32_e32 v9, 4, v9
	s_delay_alu instid0(VALU_DEP_1) | instskip(NEXT) | instid1(VALU_DEP_1)
	v_dual_sub_nc_u32 v8, v9, v8 :: v_dual_ashrrev_i32 v9, 8, v10
	v_add_nc_u32_e32 v8, 0x3c000000, v8
	s_delay_alu instid0(VALU_DEP_1) | instskip(NEXT) | instid1(VALU_DEP_1)
	v_and_or_b32 v8, 0x7f800000, v9, v8
	v_cndmask_b32_e32 v5, 0, v8, vcc_lo
	s_delay_alu instid0(VALU_DEP_1) | instskip(SKIP_1) | instid1(VALU_DEP_2)
	v_and_or_b32 v3, 0x80000000, v3, v5
	v_bfe_u32 v5, v5, 16, 1
	v_cmp_o_f32_e32 vcc_lo, v3, v3
	s_delay_alu instid0(VALU_DEP_2) | instskip(NEXT) | instid1(VALU_DEP_1)
	v_add3_u32 v5, v3, v5, 0x7fff
	v_lshrrev_b32_e32 v5, 16, v5
	s_delay_alu instid0(VALU_DEP_1)
	v_cndmask_b32_e32 v8, 0x7fc0, v5, vcc_lo
.LBB167_1264:
	s_mov_b32 s31, 0
.LBB167_1265:
	s_delay_alu instid0(SALU_CYCLE_1)
	s_and_not1_b32 vcc_lo, exec_lo, s31
	s_cbranch_vccnz .LBB167_1267
; %bb.1266:
	global_load_u8 v3, v[6:7], off
	s_wait_loadcnt 0x0
	v_lshlrev_b32_e32 v5, 25, v3
	v_lshlrev_b16 v3, 8, v3
	s_wait_xcnt 0x1
	s_delay_alu instid0(VALU_DEP_1) | instskip(SKIP_1) | instid1(VALU_DEP_2)
	v_and_or_b32 v9, 0x7f00, v3, 0.5
	v_bfe_i32 v3, v3, 0, 16
	v_add_f32_e32 v9, -0.5, v9
	v_lshrrev_b32_e32 v8, 4, v5
	v_cmp_gt_u32_e32 vcc_lo, 0x8000000, v5
	s_delay_alu instid0(VALU_DEP_2) | instskip(NEXT) | instid1(VALU_DEP_1)
	v_or_b32_e32 v8, 0x70000000, v8
	v_mul_f32_e32 v8, 0x7800000, v8
	s_delay_alu instid0(VALU_DEP_1) | instskip(NEXT) | instid1(VALU_DEP_1)
	v_cndmask_b32_e32 v5, v8, v9, vcc_lo
	v_and_or_b32 v3, 0x80000000, v3, v5
	v_bfe_u32 v5, v5, 16, 1
	s_delay_alu instid0(VALU_DEP_2) | instskip(NEXT) | instid1(VALU_DEP_2)
	v_cmp_o_f32_e32 vcc_lo, v3, v3
	v_add3_u32 v5, v3, v5, 0x7fff
	s_delay_alu instid0(VALU_DEP_1) | instskip(NEXT) | instid1(VALU_DEP_1)
	v_lshrrev_b32_e32 v5, 16, v5
	v_cndmask_b32_e32 v8, 0x7fc0, v5, vcc_lo
.LBB167_1267:
	s_mov_b32 s56, 0
	s_mov_b32 s31, -1
.LBB167_1268:
	s_and_not1_b32 vcc_lo, exec_lo, s56
	s_cbranch_vccnz .LBB167_1281
; %bb.1269:
	s_cmp_gt_i32 s30, 14
	s_cbranch_scc0 .LBB167_1272
; %bb.1270:
	s_cmp_eq_u32 s30, 15
	s_cbranch_scc0 .LBB167_1275
; %bb.1271:
	s_wait_loadcnt 0x0
	global_load_u16 v8, v[6:7], off
	s_mov_b32 s31, -1
	s_mov_b32 s29, 0
	s_branch .LBB167_1276
.LBB167_1272:
	s_mov_b32 s56, -1
                                        ; implicit-def: $vgpr8
	s_branch .LBB167_1277
.LBB167_1273:
	s_or_saveexec_b32 s56, s56
	v_mov_b32_e32 v5, 0x7f800001
	s_xor_b32 exec_lo, exec_lo, s56
	s_cbranch_execz .LBB167_1254
.LBB167_1274:
	v_cmp_ne_u16_e32 vcc_lo, 0, v3
	v_mov_b32_e32 v5, 0
	s_and_not1_b32 s31, s31, exec_lo
	s_and_b32 s57, vcc_lo, exec_lo
	s_delay_alu instid0(SALU_CYCLE_1)
	s_or_b32 s31, s31, s57
	s_or_b32 exec_lo, exec_lo, s56
	s_and_saveexec_b32 s56, s31
	s_cbranch_execnz .LBB167_1255
	s_branch .LBB167_1256
.LBB167_1275:
	s_mov_b32 s29, -1
                                        ; implicit-def: $vgpr8
.LBB167_1276:
	s_mov_b32 s56, 0
.LBB167_1277:
	s_delay_alu instid0(SALU_CYCLE_1)
	s_and_b32 vcc_lo, exec_lo, s56
	s_cbranch_vccz .LBB167_1281
; %bb.1278:
	s_cmp_eq_u32 s30, 11
	s_cbranch_scc0 .LBB167_1280
; %bb.1279:
	global_load_u8 v3, v[6:7], off
	s_mov_b32 s29, 0
	s_mov_b32 s31, -1
	s_wait_loadcnt 0x0
	v_cmp_ne_u16_e32 vcc_lo, 0, v3
	v_cndmask_b32_e64 v3, 0, 1.0, vcc_lo
	s_wait_xcnt 0x1
	s_delay_alu instid0(VALU_DEP_1)
	v_lshrrev_b32_e32 v8, 16, v3
	s_branch .LBB167_1281
.LBB167_1280:
	s_mov_b32 s29, -1
                                        ; implicit-def: $vgpr8
.LBB167_1281:
	s_mov_b32 s30, 0
.LBB167_1282:
	s_delay_alu instid0(SALU_CYCLE_1)
	s_and_b32 vcc_lo, exec_lo, s30
	s_cbranch_vccz .LBB167_1331
; %bb.1283:
	s_and_b32 s0, 0xffff, s0
	s_delay_alu instid0(SALU_CYCLE_1)
	s_cmp_lt_i32 s0, 5
	s_cbranch_scc1 .LBB167_1288
; %bb.1284:
	s_cmp_lt_i32 s0, 8
	s_cbranch_scc1 .LBB167_1289
; %bb.1285:
	;; [unrolled: 3-line block ×3, first 2 shown]
	s_cmp_gt_i32 s0, 9
	s_cbranch_scc0 .LBB167_1291
; %bb.1287:
	s_wait_loadcnt 0x0
	global_load_b64 v[8:9], v[6:7], off
	s_mov_b32 s30, 0
	s_wait_loadcnt 0x0
	v_cvt_f32_f64_e32 v3, v[8:9]
	s_delay_alu instid0(VALU_DEP_1) | instskip(SKIP_1) | instid1(VALU_DEP_2)
	v_bfe_u32 v5, v3, 16, 1
	v_cmp_o_f32_e32 vcc_lo, v3, v3
	v_add3_u32 v5, v3, v5, 0x7fff
	s_delay_alu instid0(VALU_DEP_1) | instskip(NEXT) | instid1(VALU_DEP_1)
	v_lshrrev_b32_e32 v5, 16, v5
	v_cndmask_b32_e32 v8, 0x7fc0, v5, vcc_lo
	s_branch .LBB167_1292
.LBB167_1288:
	s_mov_b32 s30, -1
                                        ; implicit-def: $vgpr8
	s_branch .LBB167_1310
.LBB167_1289:
	s_mov_b32 s30, -1
                                        ; implicit-def: $vgpr8
	s_branch .LBB167_1298
.LBB167_1290:
	s_mov_b32 s30, -1
                                        ; implicit-def: $vgpr8
	s_branch .LBB167_1295
.LBB167_1291:
	s_mov_b32 s30, -1
                                        ; implicit-def: $vgpr8
.LBB167_1292:
	s_delay_alu instid0(SALU_CYCLE_1)
	s_and_not1_b32 vcc_lo, exec_lo, s30
	s_cbranch_vccnz .LBB167_1294
; %bb.1293:
	global_load_b32 v3, v[6:7], off
	s_wait_loadcnt 0x0
	v_bfe_u32 v5, v3, 16, 1
	v_cmp_o_f32_e32 vcc_lo, v3, v3
	s_delay_alu instid0(VALU_DEP_2) | instskip(NEXT) | instid1(VALU_DEP_1)
	v_add3_u32 v5, v3, v5, 0x7fff
	v_lshrrev_b32_e32 v5, 16, v5
	s_wait_xcnt 0x1
	s_delay_alu instid0(VALU_DEP_1)
	v_cndmask_b32_e32 v8, 0x7fc0, v5, vcc_lo
.LBB167_1294:
	s_mov_b32 s30, 0
.LBB167_1295:
	s_delay_alu instid0(SALU_CYCLE_1)
	s_and_not1_b32 vcc_lo, exec_lo, s30
	s_cbranch_vccnz .LBB167_1297
; %bb.1296:
	global_load_b32 v3, v[6:7], off
	s_wait_loadcnt 0x0
	v_cvt_f32_f16_e32 v5, v3
	v_cmp_o_f16_e32 vcc_lo, v3, v3
	s_wait_xcnt 0x1
	s_delay_alu instid0(VALU_DEP_2) | instskip(NEXT) | instid1(VALU_DEP_1)
	v_bfe_u32 v8, v5, 16, 1
	v_add3_u32 v5, v5, v8, 0x7fff
	s_delay_alu instid0(VALU_DEP_1) | instskip(NEXT) | instid1(VALU_DEP_1)
	v_lshrrev_b32_e32 v5, 16, v5
	v_cndmask_b32_e32 v8, 0x7fc0, v5, vcc_lo
.LBB167_1297:
	s_mov_b32 s30, 0
.LBB167_1298:
	s_delay_alu instid0(SALU_CYCLE_1)
	s_and_not1_b32 vcc_lo, exec_lo, s30
	s_cbranch_vccnz .LBB167_1309
; %bb.1299:
	s_cmp_lt_i32 s0, 6
	s_cbranch_scc1 .LBB167_1302
; %bb.1300:
	s_cmp_gt_i32 s0, 6
	s_cbranch_scc0 .LBB167_1303
; %bb.1301:
	s_wait_loadcnt 0x0
	global_load_b64 v[8:9], v[6:7], off
	s_mov_b32 s30, 0
	s_wait_loadcnt 0x0
	v_cvt_f32_f64_e32 v3, v[8:9]
	s_delay_alu instid0(VALU_DEP_1) | instskip(SKIP_1) | instid1(VALU_DEP_2)
	v_bfe_u32 v5, v3, 16, 1
	v_cmp_o_f32_e32 vcc_lo, v3, v3
	v_add3_u32 v5, v3, v5, 0x7fff
	s_delay_alu instid0(VALU_DEP_1) | instskip(NEXT) | instid1(VALU_DEP_1)
	v_lshrrev_b32_e32 v5, 16, v5
	v_cndmask_b32_e32 v8, 0x7fc0, v5, vcc_lo
	s_branch .LBB167_1304
.LBB167_1302:
	s_mov_b32 s30, -1
                                        ; implicit-def: $vgpr8
	s_branch .LBB167_1307
.LBB167_1303:
	s_mov_b32 s30, -1
                                        ; implicit-def: $vgpr8
.LBB167_1304:
	s_delay_alu instid0(SALU_CYCLE_1)
	s_and_not1_b32 vcc_lo, exec_lo, s30
	s_cbranch_vccnz .LBB167_1306
; %bb.1305:
	global_load_b32 v3, v[6:7], off
	s_wait_loadcnt 0x0
	v_bfe_u32 v5, v3, 16, 1
	v_cmp_o_f32_e32 vcc_lo, v3, v3
	s_delay_alu instid0(VALU_DEP_2) | instskip(NEXT) | instid1(VALU_DEP_1)
	v_add3_u32 v5, v3, v5, 0x7fff
	v_lshrrev_b32_e32 v5, 16, v5
	s_wait_xcnt 0x1
	s_delay_alu instid0(VALU_DEP_1)
	v_cndmask_b32_e32 v8, 0x7fc0, v5, vcc_lo
.LBB167_1306:
	s_mov_b32 s30, 0
.LBB167_1307:
	s_delay_alu instid0(SALU_CYCLE_1)
	s_and_not1_b32 vcc_lo, exec_lo, s30
	s_cbranch_vccnz .LBB167_1309
; %bb.1308:
	global_load_u16 v3, v[6:7], off
	s_wait_loadcnt 0x0
	v_cvt_f32_f16_e32 v5, v3
	v_cmp_o_f16_e32 vcc_lo, v3, v3
	s_wait_xcnt 0x1
	s_delay_alu instid0(VALU_DEP_2) | instskip(NEXT) | instid1(VALU_DEP_1)
	v_bfe_u32 v8, v5, 16, 1
	v_add3_u32 v5, v5, v8, 0x7fff
	s_delay_alu instid0(VALU_DEP_1) | instskip(NEXT) | instid1(VALU_DEP_1)
	v_lshrrev_b32_e32 v5, 16, v5
	v_cndmask_b32_e32 v8, 0x7fc0, v5, vcc_lo
.LBB167_1309:
	s_mov_b32 s30, 0
.LBB167_1310:
	s_delay_alu instid0(SALU_CYCLE_1)
	s_and_not1_b32 vcc_lo, exec_lo, s30
	s_cbranch_vccnz .LBB167_1330
; %bb.1311:
	s_cmp_lt_i32 s0, 2
	s_cbranch_scc1 .LBB167_1315
; %bb.1312:
	s_cmp_lt_i32 s0, 3
	s_cbranch_scc1 .LBB167_1316
; %bb.1313:
	s_cmp_gt_i32 s0, 3
	s_cbranch_scc0 .LBB167_1317
; %bb.1314:
	s_wait_loadcnt 0x0
	global_load_b64 v[8:9], v[6:7], off
	s_mov_b32 s30, 0
	s_wait_loadcnt 0x0
	v_xor_b32_e32 v3, v8, v9
	v_cls_i32_e32 v5, v9
	s_delay_alu instid0(VALU_DEP_2) | instskip(NEXT) | instid1(VALU_DEP_1)
	v_ashrrev_i32_e32 v3, 31, v3
	v_add_nc_u32_e32 v3, 32, v3
	s_delay_alu instid0(VALU_DEP_1) | instskip(NEXT) | instid1(VALU_DEP_1)
	v_add_min_u32_e64 v3, v5, -1, v3
	v_lshlrev_b64_e32 v[8:9], v3, v[8:9]
	v_sub_nc_u32_e32 v3, 32, v3
	s_delay_alu instid0(VALU_DEP_2) | instskip(NEXT) | instid1(VALU_DEP_1)
	v_min_u32_e32 v5, 1, v8
	v_or_b32_e32 v5, v9, v5
	s_delay_alu instid0(VALU_DEP_1) | instskip(NEXT) | instid1(VALU_DEP_1)
	v_cvt_f32_i32_e32 v5, v5
	v_ldexp_f32 v3, v5, v3
	s_delay_alu instid0(VALU_DEP_1) | instskip(NEXT) | instid1(VALU_DEP_1)
	v_bfe_u32 v5, v3, 16, 1
	v_add3_u32 v3, v3, v5, 0x7fff
	s_delay_alu instid0(VALU_DEP_1)
	v_lshrrev_b32_e32 v8, 16, v3
	s_branch .LBB167_1318
.LBB167_1315:
	s_mov_b32 s30, -1
                                        ; implicit-def: $vgpr8
	s_branch .LBB167_1324
.LBB167_1316:
	s_mov_b32 s30, -1
                                        ; implicit-def: $vgpr8
	s_branch .LBB167_1321
.LBB167_1317:
	s_mov_b32 s30, -1
                                        ; implicit-def: $vgpr8
.LBB167_1318:
	s_delay_alu instid0(SALU_CYCLE_1)
	s_and_not1_b32 vcc_lo, exec_lo, s30
	s_cbranch_vccnz .LBB167_1320
; %bb.1319:
	global_load_b32 v3, v[6:7], off
	s_wait_loadcnt 0x0
	v_cvt_f32_i32_e32 v3, v3
	s_delay_alu instid0(VALU_DEP_1) | instskip(NEXT) | instid1(VALU_DEP_1)
	v_bfe_u32 v5, v3, 16, 1
	v_add3_u32 v3, v3, v5, 0x7fff
	s_wait_xcnt 0x1
	s_delay_alu instid0(VALU_DEP_1)
	v_lshrrev_b32_e32 v8, 16, v3
.LBB167_1320:
	s_mov_b32 s30, 0
.LBB167_1321:
	s_delay_alu instid0(SALU_CYCLE_1)
	s_and_not1_b32 vcc_lo, exec_lo, s30
	s_cbranch_vccnz .LBB167_1323
; %bb.1322:
	global_load_i16 v3, v[6:7], off
	s_wait_loadcnt 0x0
	v_cvt_f32_i32_e32 v3, v3
	s_delay_alu instid0(VALU_DEP_1) | instskip(NEXT) | instid1(VALU_DEP_1)
	v_bfe_u32 v5, v3, 16, 1
	v_add3_u32 v3, v3, v5, 0x7fff
	s_wait_xcnt 0x1
	s_delay_alu instid0(VALU_DEP_1)
	v_lshrrev_b32_e32 v8, 16, v3
.LBB167_1323:
	s_mov_b32 s30, 0
.LBB167_1324:
	s_delay_alu instid0(SALU_CYCLE_1)
	s_and_not1_b32 vcc_lo, exec_lo, s30
	s_cbranch_vccnz .LBB167_1330
; %bb.1325:
	s_cmp_gt_i32 s0, 0
	s_mov_b32 s0, 0
	s_cbranch_scc0 .LBB167_1327
; %bb.1326:
	global_load_i8 v3, v[6:7], off
	s_wait_loadcnt 0x0
	v_cvt_f32_i32_e32 v3, v3
	s_delay_alu instid0(VALU_DEP_1) | instskip(NEXT) | instid1(VALU_DEP_1)
	v_bfe_u32 v5, v3, 16, 1
	v_add3_u32 v3, v3, v5, 0x7fff
	s_wait_xcnt 0x1
	s_delay_alu instid0(VALU_DEP_1)
	v_lshrrev_b32_e32 v8, 16, v3
	s_branch .LBB167_1328
.LBB167_1327:
	s_mov_b32 s0, -1
                                        ; implicit-def: $vgpr8
.LBB167_1328:
	s_delay_alu instid0(SALU_CYCLE_1)
	s_and_not1_b32 vcc_lo, exec_lo, s0
	s_cbranch_vccnz .LBB167_1330
; %bb.1329:
	global_load_u8 v3, v[6:7], off
	s_wait_loadcnt 0x0
	v_cvt_f32_ubyte0_e32 v3, v3
	s_delay_alu instid0(VALU_DEP_1) | instskip(NEXT) | instid1(VALU_DEP_1)
	v_bfe_u32 v5, v3, 16, 1
	v_add3_u32 v3, v3, v5, 0x7fff
	s_wait_xcnt 0x1
	s_delay_alu instid0(VALU_DEP_1)
	v_lshrrev_b32_e32 v8, 16, v3
.LBB167_1330:
	s_mov_b32 s31, -1
.LBB167_1331:
	s_delay_alu instid0(SALU_CYCLE_1)
	s_and_not1_b32 vcc_lo, exec_lo, s31
	s_cbranch_vccnz .LBB167_1339
; %bb.1332:
	v_mov_b32_e32 v5, 0
	s_and_b32 s0, 0xffff, s21
	s_delay_alu instid0(SALU_CYCLE_1) | instskip(NEXT) | instid1(VALU_DEP_1)
	s_cmp_lt_i32 s0, 11
	v_add_nc_u64_e32 v[4:5], s[10:11], v[4:5]
	s_cbranch_scc1 .LBB167_1340
; %bb.1333:
	s_cmp_gt_i32 s0, 25
	s_cbranch_scc0 .LBB167_1341
; %bb.1334:
	s_cmp_gt_i32 s0, 28
	s_cbranch_scc0 .LBB167_1342
	;; [unrolled: 3-line block ×4, first 2 shown]
; %bb.1337:
	s_cmp_eq_u32 s0, 46
	s_mov_b32 s56, 0
	s_cbranch_scc0 .LBB167_1347
; %bb.1338:
	global_load_b32 v3, v[4:5], off
	s_mov_b32 s31, -1
	s_mov_b32 s30, 0
	s_branch .LBB167_1349
.LBB167_1339:
	s_mov_b32 s31, 0
	s_mov_b32 s0, s51
	;; [unrolled: 1-line block ×3, first 2 shown]
	s_branch .LBB167_1588
.LBB167_1340:
	s_mov_b32 s56, -1
	s_mov_b32 s31, 0
	s_mov_b32 s30, s52
                                        ; implicit-def: $vgpr3
	s_branch .LBB167_1414
.LBB167_1341:
	s_mov_b32 s56, -1
	s_mov_b32 s31, 0
	s_mov_b32 s30, s52
                                        ; implicit-def: $vgpr3
	s_branch .LBB167_1378
.LBB167_1342:
	s_mov_b32 s56, -1
	s_mov_b32 s31, 0
	s_mov_b32 s30, s52
                                        ; implicit-def: $vgpr3
	s_branch .LBB167_1359
.LBB167_1343:
	s_mov_b32 s56, -1
	s_mov_b32 s31, 0
	s_mov_b32 s30, s52
                                        ; implicit-def: $vgpr3
	s_branch .LBB167_1354
.LBB167_1344:
	s_mov_b32 s56, -1
	s_mov_b32 s31, 0
	s_mov_b32 s30, s52
	s_branch .LBB167_1348
.LBB167_1345:
	s_and_not1_saveexec_b32 s53, s53
	s_cbranch_execz .LBB167_978
.LBB167_1346:
	v_add_f32_e64 v5, 0x42800000, |v6|
	s_and_not1_b32 s52, s52, exec_lo
	s_delay_alu instid0(VALU_DEP_1) | instskip(NEXT) | instid1(VALU_DEP_1)
	v_and_b32_e32 v5, 0xff, v5
	v_cmp_ne_u32_e32 vcc_lo, 0, v5
	s_and_b32 s55, vcc_lo, exec_lo
	s_delay_alu instid0(SALU_CYCLE_1)
	s_or_b32 s52, s52, s55
	s_or_b32 exec_lo, exec_lo, s53
	v_mov_b32_e32 v7, 0
	s_and_saveexec_b32 s53, s52
	s_cbranch_execnz .LBB167_979
	s_branch .LBB167_980
.LBB167_1347:
	s_mov_b32 s30, -1
	s_mov_b32 s31, 0
.LBB167_1348:
                                        ; implicit-def: $vgpr3
.LBB167_1349:
	s_and_b32 vcc_lo, exec_lo, s56
	s_cbranch_vccz .LBB167_1353
; %bb.1350:
	s_cmp_eq_u32 s0, 44
	s_cbranch_scc0 .LBB167_1352
; %bb.1351:
	s_wait_loadcnt 0x0
	global_load_u8 v3, v[4:5], off
	s_mov_b32 s30, 0
	s_mov_b32 s31, -1
	s_wait_loadcnt 0x0
	s_wait_xcnt 0x1
	v_lshlrev_b32_e32 v6, 23, v3
	v_cmp_ne_u32_e32 vcc_lo, 0xff, v3
	s_delay_alu instid0(VALU_DEP_2) | instskip(SKIP_1) | instid1(VALU_DEP_2)
	v_cndmask_b32_e32 v6, 0x7f800001, v6, vcc_lo
	v_cmp_ne_u32_e32 vcc_lo, 0, v3
	v_cndmask_b32_e32 v3, 0x400000, v6, vcc_lo
	s_delay_alu instid0(VALU_DEP_1) | instskip(NEXT) | instid1(VALU_DEP_1)
	v_add_nc_u32_e32 v6, 0x7fff, v3
	v_lshrrev_b32_e32 v6, 16, v6
	v_cmp_o_f32_e32 vcc_lo, v3, v3
	s_delay_alu instid0(VALU_DEP_2)
	v_cndmask_b32_e32 v3, 0x7fc0, v6, vcc_lo
	s_branch .LBB167_1353
.LBB167_1352:
	s_mov_b32 s30, -1
                                        ; implicit-def: $vgpr3
.LBB167_1353:
	s_mov_b32 s56, 0
.LBB167_1354:
	s_delay_alu instid0(SALU_CYCLE_1)
	s_and_b32 vcc_lo, exec_lo, s56
	s_cbranch_vccz .LBB167_1358
; %bb.1355:
	s_cmp_eq_u32 s0, 29
	s_cbranch_scc0 .LBB167_1357
; %bb.1356:
	global_load_b64 v[6:7], v[4:5], off
	s_mov_b32 s31, -1
	s_mov_b32 s30, 0
	s_mov_b32 s56, 0
	s_wait_loadcnt 0x0
	v_clz_i32_u32_e32 v3, v7
	s_delay_alu instid0(VALU_DEP_1) | instskip(NEXT) | instid1(VALU_DEP_1)
	v_min_u32_e32 v3, 32, v3
	v_lshlrev_b64_e32 v[6:7], v3, v[6:7]
	v_sub_nc_u32_e32 v3, 32, v3
	s_delay_alu instid0(VALU_DEP_2) | instskip(NEXT) | instid1(VALU_DEP_1)
	v_min_u32_e32 v6, 1, v6
	v_or_b32_e32 v6, v7, v6
	s_delay_alu instid0(VALU_DEP_1) | instskip(NEXT) | instid1(VALU_DEP_1)
	v_cvt_f32_u32_e32 v6, v6
	v_ldexp_f32 v3, v6, v3
	s_delay_alu instid0(VALU_DEP_1) | instskip(NEXT) | instid1(VALU_DEP_1)
	v_bfe_u32 v6, v3, 16, 1
	v_add3_u32 v3, v3, v6, 0x7fff
	s_delay_alu instid0(VALU_DEP_1)
	v_lshrrev_b32_e32 v3, 16, v3
	s_branch .LBB167_1359
.LBB167_1357:
	s_mov_b32 s30, -1
                                        ; implicit-def: $vgpr3
.LBB167_1358:
	s_mov_b32 s56, 0
.LBB167_1359:
	s_delay_alu instid0(SALU_CYCLE_1)
	s_and_b32 vcc_lo, exec_lo, s56
	s_cbranch_vccz .LBB167_1377
; %bb.1360:
	s_cmp_lt_i32 s0, 27
	s_cbranch_scc1 .LBB167_1363
; %bb.1361:
	s_cmp_gt_i32 s0, 27
	s_cbranch_scc0 .LBB167_1364
; %bb.1362:
	s_wait_loadcnt 0x0
	global_load_b32 v3, v[4:5], off
	s_mov_b32 s31, 0
	s_wait_loadcnt 0x0
	v_cvt_f32_u32_e32 v3, v3
	s_wait_xcnt 0x1
	s_delay_alu instid0(VALU_DEP_1) | instskip(NEXT) | instid1(VALU_DEP_1)
	v_bfe_u32 v6, v3, 16, 1
	v_add3_u32 v3, v3, v6, 0x7fff
	s_delay_alu instid0(VALU_DEP_1)
	v_lshrrev_b32_e32 v3, 16, v3
	s_branch .LBB167_1365
.LBB167_1363:
	s_mov_b32 s31, -1
                                        ; implicit-def: $vgpr3
	s_branch .LBB167_1368
.LBB167_1364:
	s_mov_b32 s31, -1
                                        ; implicit-def: $vgpr3
.LBB167_1365:
	s_delay_alu instid0(SALU_CYCLE_1)
	s_and_not1_b32 vcc_lo, exec_lo, s31
	s_cbranch_vccnz .LBB167_1367
; %bb.1366:
	s_wait_loadcnt 0x0
	global_load_u16 v3, v[4:5], off
	s_wait_loadcnt 0x0
	v_cvt_f32_u32_e32 v3, v3
	s_wait_xcnt 0x1
	s_delay_alu instid0(VALU_DEP_1) | instskip(NEXT) | instid1(VALU_DEP_1)
	v_bfe_u32 v6, v3, 16, 1
	v_add3_u32 v3, v3, v6, 0x7fff
	s_delay_alu instid0(VALU_DEP_1)
	v_lshrrev_b32_e32 v3, 16, v3
.LBB167_1367:
	s_mov_b32 s31, 0
.LBB167_1368:
	s_delay_alu instid0(SALU_CYCLE_1)
	s_and_not1_b32 vcc_lo, exec_lo, s31
	s_cbranch_vccnz .LBB167_1376
; %bb.1369:
	s_wait_loadcnt 0x0
	global_load_u8 v3, v[4:5], off
	s_mov_b32 s31, 0
	s_mov_b32 s56, exec_lo
	s_wait_loadcnt 0x0
	v_cmpx_lt_i16_e32 0x7f, v3
	s_xor_b32 s56, exec_lo, s56
	s_cbranch_execz .LBB167_1390
; %bb.1370:
	s_mov_b32 s31, -1
	s_mov_b32 s57, exec_lo
	v_cmpx_eq_u16_e32 0x80, v3
; %bb.1371:
	s_xor_b32 s31, exec_lo, -1
; %bb.1372:
	s_or_b32 exec_lo, exec_lo, s57
	s_delay_alu instid0(SALU_CYCLE_1)
	s_and_b32 s31, s31, exec_lo
	s_or_saveexec_b32 s56, s56
	v_mov_b32_e32 v6, 0x7f800001
	s_xor_b32 exec_lo, exec_lo, s56
	s_cbranch_execnz .LBB167_1391
.LBB167_1373:
	s_or_b32 exec_lo, exec_lo, s56
	s_and_saveexec_b32 s56, s31
	s_cbranch_execz .LBB167_1375
.LBB167_1374:
	v_and_b32_e32 v6, 0xffff, v3
	s_delay_alu instid0(VALU_DEP_1) | instskip(SKIP_1) | instid1(VALU_DEP_2)
	v_and_b32_e32 v7, 7, v6
	v_bfe_u32 v11, v6, 3, 4
	v_clz_i32_u32_e32 v9, v7
	s_delay_alu instid0(VALU_DEP_2) | instskip(NEXT) | instid1(VALU_DEP_2)
	v_cmp_eq_u32_e32 vcc_lo, 0, v11
	v_min_u32_e32 v9, 32, v9
	s_delay_alu instid0(VALU_DEP_1) | instskip(NEXT) | instid1(VALU_DEP_1)
	v_subrev_nc_u32_e32 v10, 28, v9
	v_dual_lshlrev_b32 v6, v10, v6 :: v_dual_sub_nc_u32 v9, 29, v9
	s_delay_alu instid0(VALU_DEP_1) | instskip(NEXT) | instid1(VALU_DEP_2)
	v_dual_lshlrev_b32 v3, 24, v3 :: v_dual_bitop2_b32 v6, 7, v6 bitop3:0x40
	v_cndmask_b32_e32 v9, v11, v9, vcc_lo
	s_delay_alu instid0(VALU_DEP_2) | instskip(NEXT) | instid1(VALU_DEP_3)
	v_cndmask_b32_e32 v6, v7, v6, vcc_lo
	v_and_b32_e32 v3, 0x80000000, v3
	s_delay_alu instid0(VALU_DEP_3) | instskip(NEXT) | instid1(VALU_DEP_3)
	v_lshl_add_u32 v7, v9, 23, 0x3b800000
	v_lshlrev_b32_e32 v6, 20, v6
	s_delay_alu instid0(VALU_DEP_1)
	v_or3_b32 v6, v3, v7, v6
.LBB167_1375:
	s_or_b32 exec_lo, exec_lo, s56
	s_delay_alu instid0(VALU_DEP_1) | instskip(SKIP_1) | instid1(VALU_DEP_2)
	v_bfe_u32 v3, v6, 16, 1
	v_cmp_o_f32_e32 vcc_lo, v6, v6
	v_add3_u32 v3, v6, v3, 0x7fff
	s_delay_alu instid0(VALU_DEP_1) | instskip(NEXT) | instid1(VALU_DEP_1)
	v_lshrrev_b32_e32 v3, 16, v3
	v_cndmask_b32_e32 v3, 0x7fc0, v3, vcc_lo
.LBB167_1376:
	s_mov_b32 s31, -1
.LBB167_1377:
	s_mov_b32 s56, 0
.LBB167_1378:
	s_delay_alu instid0(SALU_CYCLE_1)
	s_and_b32 vcc_lo, exec_lo, s56
	s_cbranch_vccz .LBB167_1413
; %bb.1379:
	s_cmp_gt_i32 s0, 22
	s_cbranch_scc0 .LBB167_1389
; %bb.1380:
	s_cmp_lt_i32 s0, 24
	s_cbranch_scc1 .LBB167_1392
; %bb.1381:
	s_cmp_gt_i32 s0, 24
	s_cbranch_scc0 .LBB167_1393
; %bb.1382:
	s_wait_loadcnt 0x0
	global_load_u8 v3, v[4:5], off
	s_mov_b32 s31, 0
	s_mov_b32 s56, exec_lo
	s_wait_loadcnt 0x0
	v_cmpx_lt_i16_e32 0x7f, v3
	s_xor_b32 s56, exec_lo, s56
	s_cbranch_execz .LBB167_1405
; %bb.1383:
	s_mov_b32 s31, -1
	s_mov_b32 s57, exec_lo
	v_cmpx_eq_u16_e32 0x80, v3
; %bb.1384:
	s_xor_b32 s31, exec_lo, -1
; %bb.1385:
	s_or_b32 exec_lo, exec_lo, s57
	s_delay_alu instid0(SALU_CYCLE_1)
	s_and_b32 s31, s31, exec_lo
	s_or_saveexec_b32 s56, s56
	v_mov_b32_e32 v6, 0x7f800001
	s_xor_b32 exec_lo, exec_lo, s56
	s_cbranch_execnz .LBB167_1406
.LBB167_1386:
	s_or_b32 exec_lo, exec_lo, s56
	s_and_saveexec_b32 s56, s31
	s_cbranch_execz .LBB167_1388
.LBB167_1387:
	v_and_b32_e32 v6, 0xffff, v3
	s_delay_alu instid0(VALU_DEP_1) | instskip(SKIP_1) | instid1(VALU_DEP_2)
	v_and_b32_e32 v7, 3, v6
	v_bfe_u32 v11, v6, 2, 5
	v_clz_i32_u32_e32 v9, v7
	s_delay_alu instid0(VALU_DEP_2) | instskip(NEXT) | instid1(VALU_DEP_2)
	v_cmp_eq_u32_e32 vcc_lo, 0, v11
	v_min_u32_e32 v9, 32, v9
	s_delay_alu instid0(VALU_DEP_1) | instskip(NEXT) | instid1(VALU_DEP_1)
	v_subrev_nc_u32_e32 v10, 29, v9
	v_dual_lshlrev_b32 v6, v10, v6 :: v_dual_sub_nc_u32 v9, 30, v9
	s_delay_alu instid0(VALU_DEP_1) | instskip(NEXT) | instid1(VALU_DEP_2)
	v_dual_lshlrev_b32 v3, 24, v3 :: v_dual_bitop2_b32 v6, 3, v6 bitop3:0x40
	v_cndmask_b32_e32 v9, v11, v9, vcc_lo
	s_delay_alu instid0(VALU_DEP_2) | instskip(NEXT) | instid1(VALU_DEP_3)
	v_cndmask_b32_e32 v6, v7, v6, vcc_lo
	v_and_b32_e32 v3, 0x80000000, v3
	s_delay_alu instid0(VALU_DEP_3) | instskip(NEXT) | instid1(VALU_DEP_3)
	v_lshl_add_u32 v7, v9, 23, 0x37800000
	v_lshlrev_b32_e32 v6, 21, v6
	s_delay_alu instid0(VALU_DEP_1)
	v_or3_b32 v6, v3, v7, v6
.LBB167_1388:
	s_or_b32 exec_lo, exec_lo, s56
	s_delay_alu instid0(VALU_DEP_1) | instskip(SKIP_2) | instid1(VALU_DEP_2)
	v_bfe_u32 v3, v6, 16, 1
	v_cmp_o_f32_e32 vcc_lo, v6, v6
	s_mov_b32 s31, 0
	v_add3_u32 v3, v6, v3, 0x7fff
	s_delay_alu instid0(VALU_DEP_1) | instskip(NEXT) | instid1(VALU_DEP_1)
	v_lshrrev_b32_e32 v3, 16, v3
	v_cndmask_b32_e32 v3, 0x7fc0, v3, vcc_lo
	s_branch .LBB167_1394
.LBB167_1389:
	s_mov_b32 s56, -1
                                        ; implicit-def: $vgpr3
	s_branch .LBB167_1400
.LBB167_1390:
	s_or_saveexec_b32 s56, s56
	v_mov_b32_e32 v6, 0x7f800001
	s_xor_b32 exec_lo, exec_lo, s56
	s_cbranch_execz .LBB167_1373
.LBB167_1391:
	v_cmp_ne_u16_e32 vcc_lo, 0, v3
	v_mov_b32_e32 v6, 0
	s_and_not1_b32 s31, s31, exec_lo
	s_and_b32 s57, vcc_lo, exec_lo
	s_delay_alu instid0(SALU_CYCLE_1)
	s_or_b32 s31, s31, s57
	s_or_b32 exec_lo, exec_lo, s56
	s_and_saveexec_b32 s56, s31
	s_cbranch_execnz .LBB167_1374
	s_branch .LBB167_1375
.LBB167_1392:
	s_mov_b32 s31, -1
                                        ; implicit-def: $vgpr3
	s_branch .LBB167_1397
.LBB167_1393:
	s_mov_b32 s31, -1
                                        ; implicit-def: $vgpr3
.LBB167_1394:
	s_delay_alu instid0(SALU_CYCLE_1)
	s_and_b32 vcc_lo, exec_lo, s31
	s_cbranch_vccz .LBB167_1396
; %bb.1395:
	s_wait_loadcnt 0x0
	global_load_u8 v3, v[4:5], off
	s_wait_loadcnt 0x0
	v_lshlrev_b32_e32 v3, 24, v3
	s_wait_xcnt 0x1
	s_delay_alu instid0(VALU_DEP_1) | instskip(NEXT) | instid1(VALU_DEP_1)
	v_and_b32_e32 v6, 0x7f000000, v3
	v_clz_i32_u32_e32 v7, v6
	v_add_nc_u32_e32 v10, 0x1000000, v6
	v_cmp_ne_u32_e32 vcc_lo, 0, v6
	s_delay_alu instid0(VALU_DEP_3) | instskip(NEXT) | instid1(VALU_DEP_1)
	v_min_u32_e32 v7, 32, v7
	v_sub_nc_u32_e64 v7, v7, 4 clamp
	s_delay_alu instid0(VALU_DEP_1) | instskip(NEXT) | instid1(VALU_DEP_1)
	v_dual_lshlrev_b32 v9, v7, v6 :: v_dual_lshlrev_b32 v7, 23, v7
	v_lshrrev_b32_e32 v9, 4, v9
	s_delay_alu instid0(VALU_DEP_1) | instskip(NEXT) | instid1(VALU_DEP_1)
	v_dual_sub_nc_u32 v7, v9, v7 :: v_dual_ashrrev_i32 v9, 8, v10
	v_add_nc_u32_e32 v7, 0x3c000000, v7
	s_delay_alu instid0(VALU_DEP_1) | instskip(NEXT) | instid1(VALU_DEP_1)
	v_and_or_b32 v7, 0x7f800000, v9, v7
	v_cndmask_b32_e32 v6, 0, v7, vcc_lo
	s_delay_alu instid0(VALU_DEP_1) | instskip(SKIP_1) | instid1(VALU_DEP_2)
	v_and_or_b32 v3, 0x80000000, v3, v6
	v_bfe_u32 v6, v6, 16, 1
	v_cmp_o_f32_e32 vcc_lo, v3, v3
	s_delay_alu instid0(VALU_DEP_2) | instskip(NEXT) | instid1(VALU_DEP_1)
	v_add3_u32 v6, v3, v6, 0x7fff
	v_lshrrev_b32_e32 v6, 16, v6
	s_delay_alu instid0(VALU_DEP_1)
	v_cndmask_b32_e32 v3, 0x7fc0, v6, vcc_lo
.LBB167_1396:
	s_mov_b32 s31, 0
.LBB167_1397:
	s_delay_alu instid0(SALU_CYCLE_1)
	s_and_not1_b32 vcc_lo, exec_lo, s31
	s_cbranch_vccnz .LBB167_1399
; %bb.1398:
	s_wait_loadcnt 0x0
	global_load_u8 v3, v[4:5], off
	s_wait_loadcnt 0x0
	s_wait_xcnt 0x1
	v_lshlrev_b32_e32 v6, 25, v3
	v_lshlrev_b16 v3, 8, v3
	s_delay_alu instid0(VALU_DEP_1) | instskip(SKIP_1) | instid1(VALU_DEP_2)
	v_and_or_b32 v9, 0x7f00, v3, 0.5
	v_bfe_i32 v3, v3, 0, 16
	v_dual_add_f32 v9, -0.5, v9 :: v_dual_lshrrev_b32 v7, 4, v6
	v_cmp_gt_u32_e32 vcc_lo, 0x8000000, v6
	s_delay_alu instid0(VALU_DEP_2) | instskip(NEXT) | instid1(VALU_DEP_1)
	v_or_b32_e32 v7, 0x70000000, v7
	v_mul_f32_e32 v7, 0x7800000, v7
	s_delay_alu instid0(VALU_DEP_1) | instskip(NEXT) | instid1(VALU_DEP_1)
	v_cndmask_b32_e32 v6, v7, v9, vcc_lo
	v_and_or_b32 v3, 0x80000000, v3, v6
	v_bfe_u32 v6, v6, 16, 1
	s_delay_alu instid0(VALU_DEP_2) | instskip(NEXT) | instid1(VALU_DEP_2)
	v_cmp_o_f32_e32 vcc_lo, v3, v3
	v_add3_u32 v6, v3, v6, 0x7fff
	s_delay_alu instid0(VALU_DEP_1) | instskip(NEXT) | instid1(VALU_DEP_1)
	v_lshrrev_b32_e32 v6, 16, v6
	v_cndmask_b32_e32 v3, 0x7fc0, v6, vcc_lo
.LBB167_1399:
	s_mov_b32 s56, 0
	s_mov_b32 s31, -1
.LBB167_1400:
	s_and_not1_b32 vcc_lo, exec_lo, s56
	s_cbranch_vccnz .LBB167_1413
; %bb.1401:
	s_cmp_gt_i32 s0, 14
	s_cbranch_scc0 .LBB167_1404
; %bb.1402:
	s_cmp_eq_u32 s0, 15
	s_cbranch_scc0 .LBB167_1407
; %bb.1403:
	s_wait_loadcnt 0x0
	global_load_u16 v3, v[4:5], off
	s_mov_b32 s31, -1
	s_mov_b32 s30, 0
	s_branch .LBB167_1408
.LBB167_1404:
	s_mov_b32 s56, -1
                                        ; implicit-def: $vgpr3
	s_branch .LBB167_1409
.LBB167_1405:
	s_or_saveexec_b32 s56, s56
	v_mov_b32_e32 v6, 0x7f800001
	s_xor_b32 exec_lo, exec_lo, s56
	s_cbranch_execz .LBB167_1386
.LBB167_1406:
	v_cmp_ne_u16_e32 vcc_lo, 0, v3
	v_mov_b32_e32 v6, 0
	s_and_not1_b32 s31, s31, exec_lo
	s_and_b32 s57, vcc_lo, exec_lo
	s_delay_alu instid0(SALU_CYCLE_1)
	s_or_b32 s31, s31, s57
	s_or_b32 exec_lo, exec_lo, s56
	s_and_saveexec_b32 s56, s31
	s_cbranch_execnz .LBB167_1387
	s_branch .LBB167_1388
.LBB167_1407:
	s_mov_b32 s30, -1
                                        ; implicit-def: $vgpr3
.LBB167_1408:
	s_mov_b32 s56, 0
.LBB167_1409:
	s_delay_alu instid0(SALU_CYCLE_1)
	s_and_b32 vcc_lo, exec_lo, s56
	s_cbranch_vccz .LBB167_1413
; %bb.1410:
	s_cmp_eq_u32 s0, 11
	s_cbranch_scc0 .LBB167_1412
; %bb.1411:
	s_wait_loadcnt 0x0
	global_load_u8 v3, v[4:5], off
	s_mov_b32 s30, 0
	s_mov_b32 s31, -1
	s_wait_loadcnt 0x0
	v_cmp_ne_u16_e32 vcc_lo, 0, v3
	v_cndmask_b32_e64 v3, 0, 1.0, vcc_lo
	s_delay_alu instid0(VALU_DEP_1)
	v_lshrrev_b32_e32 v3, 16, v3
	s_branch .LBB167_1413
.LBB167_1412:
	s_mov_b32 s30, -1
                                        ; implicit-def: $vgpr3
.LBB167_1413:
	s_mov_b32 s56, 0
.LBB167_1414:
	s_delay_alu instid0(SALU_CYCLE_1)
	s_and_b32 vcc_lo, exec_lo, s56
	s_cbranch_vccz .LBB167_1463
; %bb.1415:
	s_cmp_lt_i32 s0, 5
	s_cbranch_scc1 .LBB167_1420
; %bb.1416:
	s_cmp_lt_i32 s0, 8
	s_cbranch_scc1 .LBB167_1421
	;; [unrolled: 3-line block ×3, first 2 shown]
; %bb.1418:
	s_cmp_gt_i32 s0, 9
	s_cbranch_scc0 .LBB167_1423
; %bb.1419:
	global_load_b64 v[6:7], v[4:5], off
	s_mov_b32 s31, 0
	s_wait_loadcnt 0x0
	v_cvt_f32_f64_e32 v3, v[6:7]
	s_delay_alu instid0(VALU_DEP_1) | instskip(SKIP_1) | instid1(VALU_DEP_2)
	v_bfe_u32 v6, v3, 16, 1
	v_cmp_o_f32_e32 vcc_lo, v3, v3
	v_add3_u32 v6, v3, v6, 0x7fff
	s_delay_alu instid0(VALU_DEP_1) | instskip(NEXT) | instid1(VALU_DEP_1)
	v_lshrrev_b32_e32 v6, 16, v6
	v_cndmask_b32_e32 v3, 0x7fc0, v6, vcc_lo
	s_branch .LBB167_1424
.LBB167_1420:
	s_mov_b32 s31, -1
                                        ; implicit-def: $vgpr3
	s_branch .LBB167_1442
.LBB167_1421:
	s_mov_b32 s31, -1
                                        ; implicit-def: $vgpr3
	s_branch .LBB167_1430
.LBB167_1422:
	s_mov_b32 s31, -1
                                        ; implicit-def: $vgpr3
	s_branch .LBB167_1427
.LBB167_1423:
	s_mov_b32 s31, -1
                                        ; implicit-def: $vgpr3
.LBB167_1424:
	s_delay_alu instid0(SALU_CYCLE_1)
	s_and_not1_b32 vcc_lo, exec_lo, s31
	s_cbranch_vccnz .LBB167_1426
; %bb.1425:
	s_wait_loadcnt 0x0
	global_load_b32 v3, v[4:5], off
	s_wait_loadcnt 0x0
	s_wait_xcnt 0x1
	v_bfe_u32 v6, v3, 16, 1
	v_cmp_o_f32_e32 vcc_lo, v3, v3
	s_delay_alu instid0(VALU_DEP_2) | instskip(NEXT) | instid1(VALU_DEP_1)
	v_add3_u32 v6, v3, v6, 0x7fff
	v_lshrrev_b32_e32 v6, 16, v6
	s_delay_alu instid0(VALU_DEP_1)
	v_cndmask_b32_e32 v3, 0x7fc0, v6, vcc_lo
.LBB167_1426:
	s_mov_b32 s31, 0
.LBB167_1427:
	s_delay_alu instid0(SALU_CYCLE_1)
	s_and_not1_b32 vcc_lo, exec_lo, s31
	s_cbranch_vccnz .LBB167_1429
; %bb.1428:
	s_wait_loadcnt 0x0
	global_load_b32 v3, v[4:5], off
	s_wait_loadcnt 0x0
	s_wait_xcnt 0x1
	v_cvt_f32_f16_e32 v6, v3
	v_cmp_o_f16_e32 vcc_lo, v3, v3
	s_delay_alu instid0(VALU_DEP_2) | instskip(NEXT) | instid1(VALU_DEP_1)
	v_bfe_u32 v7, v6, 16, 1
	v_add3_u32 v6, v6, v7, 0x7fff
	s_delay_alu instid0(VALU_DEP_1) | instskip(NEXT) | instid1(VALU_DEP_1)
	v_lshrrev_b32_e32 v6, 16, v6
	v_cndmask_b32_e32 v3, 0x7fc0, v6, vcc_lo
.LBB167_1429:
	s_mov_b32 s31, 0
.LBB167_1430:
	s_delay_alu instid0(SALU_CYCLE_1)
	s_and_not1_b32 vcc_lo, exec_lo, s31
	s_cbranch_vccnz .LBB167_1441
; %bb.1431:
	s_cmp_lt_i32 s0, 6
	s_cbranch_scc1 .LBB167_1434
; %bb.1432:
	s_cmp_gt_i32 s0, 6
	s_cbranch_scc0 .LBB167_1435
; %bb.1433:
	global_load_b64 v[6:7], v[4:5], off
	s_mov_b32 s31, 0
	s_wait_loadcnt 0x0
	v_cvt_f32_f64_e32 v3, v[6:7]
	s_delay_alu instid0(VALU_DEP_1) | instskip(SKIP_1) | instid1(VALU_DEP_2)
	v_bfe_u32 v6, v3, 16, 1
	v_cmp_o_f32_e32 vcc_lo, v3, v3
	v_add3_u32 v6, v3, v6, 0x7fff
	s_delay_alu instid0(VALU_DEP_1) | instskip(NEXT) | instid1(VALU_DEP_1)
	v_lshrrev_b32_e32 v6, 16, v6
	v_cndmask_b32_e32 v3, 0x7fc0, v6, vcc_lo
	s_branch .LBB167_1436
.LBB167_1434:
	s_mov_b32 s31, -1
                                        ; implicit-def: $vgpr3
	s_branch .LBB167_1439
.LBB167_1435:
	s_mov_b32 s31, -1
                                        ; implicit-def: $vgpr3
.LBB167_1436:
	s_delay_alu instid0(SALU_CYCLE_1)
	s_and_not1_b32 vcc_lo, exec_lo, s31
	s_cbranch_vccnz .LBB167_1438
; %bb.1437:
	s_wait_loadcnt 0x0
	global_load_b32 v3, v[4:5], off
	s_wait_loadcnt 0x0
	s_wait_xcnt 0x1
	v_bfe_u32 v6, v3, 16, 1
	v_cmp_o_f32_e32 vcc_lo, v3, v3
	s_delay_alu instid0(VALU_DEP_2) | instskip(NEXT) | instid1(VALU_DEP_1)
	v_add3_u32 v6, v3, v6, 0x7fff
	v_lshrrev_b32_e32 v6, 16, v6
	s_delay_alu instid0(VALU_DEP_1)
	v_cndmask_b32_e32 v3, 0x7fc0, v6, vcc_lo
.LBB167_1438:
	s_mov_b32 s31, 0
.LBB167_1439:
	s_delay_alu instid0(SALU_CYCLE_1)
	s_and_not1_b32 vcc_lo, exec_lo, s31
	s_cbranch_vccnz .LBB167_1441
; %bb.1440:
	s_wait_loadcnt 0x0
	global_load_u16 v3, v[4:5], off
	s_wait_loadcnt 0x0
	s_wait_xcnt 0x1
	v_cvt_f32_f16_e32 v6, v3
	v_cmp_o_f16_e32 vcc_lo, v3, v3
	s_delay_alu instid0(VALU_DEP_2) | instskip(NEXT) | instid1(VALU_DEP_1)
	v_bfe_u32 v7, v6, 16, 1
	v_add3_u32 v6, v6, v7, 0x7fff
	s_delay_alu instid0(VALU_DEP_1) | instskip(NEXT) | instid1(VALU_DEP_1)
	v_lshrrev_b32_e32 v6, 16, v6
	v_cndmask_b32_e32 v3, 0x7fc0, v6, vcc_lo
.LBB167_1441:
	s_mov_b32 s31, 0
.LBB167_1442:
	s_delay_alu instid0(SALU_CYCLE_1)
	s_and_not1_b32 vcc_lo, exec_lo, s31
	s_cbranch_vccnz .LBB167_1462
; %bb.1443:
	s_cmp_lt_i32 s0, 2
	s_cbranch_scc1 .LBB167_1447
; %bb.1444:
	s_cmp_lt_i32 s0, 3
	s_cbranch_scc1 .LBB167_1448
; %bb.1445:
	s_cmp_gt_i32 s0, 3
	s_cbranch_scc0 .LBB167_1449
; %bb.1446:
	global_load_b64 v[6:7], v[4:5], off
	s_mov_b32 s31, 0
	s_wait_loadcnt 0x0
	v_xor_b32_e32 v3, v6, v7
	v_cls_i32_e32 v9, v7
	s_delay_alu instid0(VALU_DEP_2) | instskip(NEXT) | instid1(VALU_DEP_1)
	v_ashrrev_i32_e32 v3, 31, v3
	v_add_nc_u32_e32 v3, 32, v3
	s_delay_alu instid0(VALU_DEP_1) | instskip(NEXT) | instid1(VALU_DEP_1)
	v_add_min_u32_e64 v3, v9, -1, v3
	v_lshlrev_b64_e32 v[6:7], v3, v[6:7]
	v_sub_nc_u32_e32 v3, 32, v3
	s_delay_alu instid0(VALU_DEP_2) | instskip(NEXT) | instid1(VALU_DEP_1)
	v_min_u32_e32 v6, 1, v6
	v_or_b32_e32 v6, v7, v6
	s_delay_alu instid0(VALU_DEP_1) | instskip(NEXT) | instid1(VALU_DEP_1)
	v_cvt_f32_i32_e32 v6, v6
	v_ldexp_f32 v3, v6, v3
	s_delay_alu instid0(VALU_DEP_1) | instskip(NEXT) | instid1(VALU_DEP_1)
	v_bfe_u32 v6, v3, 16, 1
	v_add3_u32 v3, v3, v6, 0x7fff
	s_delay_alu instid0(VALU_DEP_1)
	v_lshrrev_b32_e32 v3, 16, v3
	s_branch .LBB167_1450
.LBB167_1447:
	s_mov_b32 s31, -1
                                        ; implicit-def: $vgpr3
	s_branch .LBB167_1456
.LBB167_1448:
	s_mov_b32 s31, -1
                                        ; implicit-def: $vgpr3
	s_branch .LBB167_1453
.LBB167_1449:
	s_mov_b32 s31, -1
                                        ; implicit-def: $vgpr3
.LBB167_1450:
	s_delay_alu instid0(SALU_CYCLE_1)
	s_and_not1_b32 vcc_lo, exec_lo, s31
	s_cbranch_vccnz .LBB167_1452
; %bb.1451:
	s_wait_loadcnt 0x0
	global_load_b32 v3, v[4:5], off
	s_wait_loadcnt 0x0
	v_cvt_f32_i32_e32 v3, v3
	s_wait_xcnt 0x1
	s_delay_alu instid0(VALU_DEP_1) | instskip(NEXT) | instid1(VALU_DEP_1)
	v_bfe_u32 v6, v3, 16, 1
	v_add3_u32 v3, v3, v6, 0x7fff
	s_delay_alu instid0(VALU_DEP_1)
	v_lshrrev_b32_e32 v3, 16, v3
.LBB167_1452:
	s_mov_b32 s31, 0
.LBB167_1453:
	s_delay_alu instid0(SALU_CYCLE_1)
	s_and_not1_b32 vcc_lo, exec_lo, s31
	s_cbranch_vccnz .LBB167_1455
; %bb.1454:
	s_wait_loadcnt 0x0
	global_load_i16 v3, v[4:5], off
	s_wait_loadcnt 0x0
	v_cvt_f32_i32_e32 v3, v3
	s_wait_xcnt 0x1
	s_delay_alu instid0(VALU_DEP_1) | instskip(NEXT) | instid1(VALU_DEP_1)
	v_bfe_u32 v6, v3, 16, 1
	v_add3_u32 v3, v3, v6, 0x7fff
	s_delay_alu instid0(VALU_DEP_1)
	v_lshrrev_b32_e32 v3, 16, v3
.LBB167_1455:
	s_mov_b32 s31, 0
.LBB167_1456:
	s_delay_alu instid0(SALU_CYCLE_1)
	s_and_not1_b32 vcc_lo, exec_lo, s31
	s_cbranch_vccnz .LBB167_1462
; %bb.1457:
	s_cmp_gt_i32 s0, 0
	s_mov_b32 s0, 0
	s_cbranch_scc0 .LBB167_1459
; %bb.1458:
	s_wait_loadcnt 0x0
	global_load_i8 v3, v[4:5], off
	s_wait_loadcnt 0x0
	v_cvt_f32_i32_e32 v3, v3
	s_wait_xcnt 0x1
	s_delay_alu instid0(VALU_DEP_1) | instskip(NEXT) | instid1(VALU_DEP_1)
	v_bfe_u32 v6, v3, 16, 1
	v_add3_u32 v3, v3, v6, 0x7fff
	s_delay_alu instid0(VALU_DEP_1)
	v_lshrrev_b32_e32 v3, 16, v3
	s_branch .LBB167_1460
.LBB167_1459:
	s_mov_b32 s0, -1
                                        ; implicit-def: $vgpr3
.LBB167_1460:
	s_delay_alu instid0(SALU_CYCLE_1)
	s_and_not1_b32 vcc_lo, exec_lo, s0
	s_cbranch_vccnz .LBB167_1462
; %bb.1461:
	s_wait_loadcnt 0x0
	global_load_u8 v3, v[4:5], off
	s_wait_loadcnt 0x0
	v_cvt_f32_ubyte0_e32 v3, v3
	s_wait_xcnt 0x0
	s_delay_alu instid0(VALU_DEP_1) | instskip(NEXT) | instid1(VALU_DEP_1)
	v_bfe_u32 v4, v3, 16, 1
	v_add3_u32 v3, v3, v4, 0x7fff
	s_delay_alu instid0(VALU_DEP_1)
	v_lshrrev_b32_e32 v3, 16, v3
.LBB167_1462:
	s_mov_b32 s31, -1
.LBB167_1463:
	s_delay_alu instid0(SALU_CYCLE_1)
	s_and_not1_b32 vcc_lo, exec_lo, s31
	s_cbranch_vccnz .LBB167_1471
; %bb.1464:
	s_wait_loadcnt 0x0
	v_dual_lshlrev_b32 v4, 16, v8 :: v_dual_lshlrev_b32 v5, 16, v1
	s_and_b32 s31, s38, 0xff
	v_lshlrev_b32_e32 v7, 16, v3
	s_cmp_lt_i32 s31, 11
	s_delay_alu instid0(VALU_DEP_2) | instskip(SKIP_1) | instid1(VALU_DEP_1)
	v_cmp_gt_f32_e32 vcc_lo, v5, v4
	v_cndmask_b32_e32 v6, v8, v1, vcc_lo
	v_lshlrev_b32_e32 v9, 16, v6
	s_delay_alu instid0(VALU_DEP_1) | instskip(SKIP_2) | instid1(VALU_DEP_2)
	v_cmp_lt_f32_e32 vcc_lo, v9, v7
	v_cndmask_b32_e32 v6, v3, v6, vcc_lo
	v_cmp_u_f32_e32 vcc_lo, v7, v7
	v_dual_cndmask_b32 v6, v6, v3 :: v_dual_mov_b32 v3, 0
	v_cmp_u_f32_e32 vcc_lo, v4, v4
	s_delay_alu instid0(VALU_DEP_2) | instskip(NEXT) | instid1(VALU_DEP_3)
	v_add_nc_u64_e32 v[2:3], s[4:5], v[2:3]
	v_cndmask_b32_e32 v4, v6, v8, vcc_lo
	v_cmp_u_f32_e32 vcc_lo, v5, v5
	s_delay_alu instid0(VALU_DEP_2)
	v_cndmask_b32_e32 v1, v4, v1, vcc_lo
	s_cbranch_scc1 .LBB167_1472
; %bb.1465:
	s_and_b32 s56, 0xffff, s31
	s_delay_alu instid0(SALU_CYCLE_1)
	s_cmp_gt_i32 s56, 25
	s_cbranch_scc0 .LBB167_1473
; %bb.1466:
	s_cmp_gt_i32 s56, 28
	s_cbranch_scc0 .LBB167_1474
; %bb.1467:
	;; [unrolled: 3-line block ×4, first 2 shown]
	s_mov_b32 s58, 0
	s_mov_b32 s0, -1
	s_cmp_eq_u32 s56, 46
	s_mov_b32 s57, 0
	s_cbranch_scc0 .LBB167_1477
; %bb.1470:
	v_and_b32_e32 v4, 0xffff, v1
	s_mov_b32 s57, -1
	s_mov_b32 s0, 0
	global_store_b32 v[2:3], v4, off
	s_branch .LBB167_1477
.LBB167_1471:
	s_mov_b32 s31, 0
	s_mov_b32 s0, s51
	s_branch .LBB167_1588
.LBB167_1472:
	s_mov_b32 s56, -1
	s_mov_b32 s57, 0
	s_mov_b32 s0, s51
	s_branch .LBB167_1546
.LBB167_1473:
	s_mov_b32 s58, -1
	s_mov_b32 s57, 0
	s_mov_b32 s0, s51
	s_branch .LBB167_1504
.LBB167_1474:
	s_mov_b32 s58, -1
	s_mov_b32 s57, 0
	s_mov_b32 s0, s51
	s_branch .LBB167_1487
.LBB167_1475:
	s_mov_b32 s58, -1
	s_mov_b32 s57, 0
	s_mov_b32 s0, s51
	s_branch .LBB167_1483
.LBB167_1476:
	s_mov_b32 s58, -1
	s_mov_b32 s57, 0
	s_mov_b32 s0, s51
.LBB167_1477:
	s_and_b32 vcc_lo, exec_lo, s58
	s_cbranch_vccz .LBB167_1482
; %bb.1478:
	s_cmp_eq_u32 s56, 44
	s_mov_b32 s0, -1
	s_cbranch_scc0 .LBB167_1482
; %bb.1479:
	s_wait_xcnt 0x0
	v_and_b32_e32 v4, 0xffff, v1
	v_mov_b32_e32 v5, 0xff
	s_mov_b32 s57, exec_lo
	s_delay_alu instid0(VALU_DEP_2) | instskip(NEXT) | instid1(VALU_DEP_1)
	v_bfe_u32 v6, v4, 7, 8
	v_cmpx_ne_u32_e32 0xff, v6
	s_cbranch_execz .LBB167_1481
; %bb.1480:
	v_dual_lshlrev_b32 v5, 16, v4 :: v_dual_bitop2_b32 v7, 64, v4 bitop3:0x40
	v_lshrrev_b32_e32 v4, 7, v4
	s_delay_alu instid0(VALU_DEP_2) | instskip(NEXT) | instid1(VALU_DEP_3)
	v_and_or_b32 v5, 0x3f0000, v5, v6
	v_cmp_ne_u32_e32 vcc_lo, 0, v7
	s_delay_alu instid0(VALU_DEP_2) | instskip(SKIP_1) | instid1(SALU_CYCLE_1)
	v_cmp_ne_u32_e64 s0, 0, v5
	s_and_b32 s0, vcc_lo, s0
	v_cndmask_b32_e64 v5, 0, 1, s0
	s_delay_alu instid0(VALU_DEP_1)
	v_add_nc_u32_e32 v5, v4, v5
.LBB167_1481:
	s_or_b32 exec_lo, exec_lo, s57
	s_mov_b32 s57, -1
	s_mov_b32 s0, 0
	global_store_b8 v[2:3], v5, off
.LBB167_1482:
	s_mov_b32 s58, 0
.LBB167_1483:
	s_delay_alu instid0(SALU_CYCLE_1)
	s_and_b32 vcc_lo, exec_lo, s58
	s_cbranch_vccz .LBB167_1486
; %bb.1484:
	s_cmp_eq_u32 s56, 29
	s_mov_b32 s0, -1
	s_cbranch_scc0 .LBB167_1486
; %bb.1485:
	s_wait_xcnt 0x0
	v_lshlrev_b32_e32 v4, 16, v1
	s_mov_b32 s57, -1
	s_mov_b32 s0, 0
	s_mov_b32 s58, 0
	s_delay_alu instid0(VALU_DEP_1) | instskip(NEXT) | instid1(VALU_DEP_1)
	v_trunc_f32_e32 v4, v4
	v_mul_f32_e32 v5, 0x2f800000, v4
	s_delay_alu instid0(VALU_DEP_1) | instskip(NEXT) | instid1(VALU_DEP_1)
	v_floor_f32_e32 v5, v5
	v_fmamk_f32 v4, v5, 0xcf800000, v4
	v_cvt_u32_f32_e32 v5, v5
	s_delay_alu instid0(VALU_DEP_2)
	v_cvt_u32_f32_e32 v4, v4
	global_store_b64 v[2:3], v[4:5], off
	s_branch .LBB167_1487
.LBB167_1486:
	s_mov_b32 s58, 0
.LBB167_1487:
	s_delay_alu instid0(SALU_CYCLE_1)
	s_and_b32 vcc_lo, exec_lo, s58
	s_cbranch_vccz .LBB167_1503
; %bb.1488:
	s_cmp_lt_i32 s56, 27
	s_mov_b32 s57, -1
	s_cbranch_scc1 .LBB167_1494
; %bb.1489:
	s_cmp_gt_i32 s56, 27
	s_cbranch_scc0 .LBB167_1491
; %bb.1490:
	s_wait_xcnt 0x0
	v_lshlrev_b32_e32 v4, 16, v1
	s_mov_b32 s57, 0
	s_delay_alu instid0(VALU_DEP_1)
	v_cvt_u32_f32_e32 v4, v4
	global_store_b32 v[2:3], v4, off
.LBB167_1491:
	s_and_not1_b32 vcc_lo, exec_lo, s57
	s_cbranch_vccnz .LBB167_1493
; %bb.1492:
	s_wait_xcnt 0x0
	v_lshlrev_b32_e32 v4, 16, v1
	s_delay_alu instid0(VALU_DEP_1)
	v_cvt_u32_f32_e32 v4, v4
	global_store_b16 v[2:3], v4, off
.LBB167_1493:
	s_mov_b32 s57, 0
.LBB167_1494:
	s_delay_alu instid0(SALU_CYCLE_1)
	s_and_not1_b32 vcc_lo, exec_lo, s57
	s_cbranch_vccnz .LBB167_1502
; %bb.1495:
	v_dual_mov_b32 v7, 0x80 :: v_dual_lshlrev_b32 v6, 16, v1
	s_mov_b32 s57, exec_lo
	s_wait_xcnt 0x0
	s_delay_alu instid0(VALU_DEP_1) | instskip(NEXT) | instid1(VALU_DEP_1)
	v_and_b32_e32 v5, 0x7fffffff, v6
	v_cmpx_gt_u32_e32 0x43800000, v5
	s_cbranch_execz .LBB167_1501
; %bb.1496:
	v_and_b32_e32 v4, 0xffff, v1
	v_cmp_lt_u32_e32 vcc_lo, 0x3bffffff, v5
	s_mov_b32 s58, 0
                                        ; implicit-def: $vgpr5
	s_and_saveexec_b32 s59, vcc_lo
	s_delay_alu instid0(SALU_CYCLE_1)
	s_xor_b32 s59, exec_lo, s59
	s_cbranch_execz .LBB167_2814
; %bb.1497:
	v_bfe_u32 v5, v4, 4, 1
	s_mov_b32 s58, exec_lo
	s_delay_alu instid0(VALU_DEP_1) | instskip(NEXT) | instid1(VALU_DEP_1)
	v_add3_u32 v5, v6, v5, 0x487ffff
                                        ; implicit-def: $vgpr6
	v_lshrrev_b32_e32 v5, 20, v5
	s_and_not1_saveexec_b32 s59, s59
	s_cbranch_execnz .LBB167_2815
.LBB167_1498:
	s_or_b32 exec_lo, exec_lo, s59
	v_mov_b32_e32 v7, 0
	s_and_saveexec_b32 s59, s58
.LBB167_1499:
	v_lshrrev_b32_e32 v4, 8, v4
	s_delay_alu instid0(VALU_DEP_1)
	v_and_or_b32 v7, 0x80, v4, v5
.LBB167_1500:
	s_or_b32 exec_lo, exec_lo, s59
.LBB167_1501:
	s_delay_alu instid0(SALU_CYCLE_1)
	s_or_b32 exec_lo, exec_lo, s57
	global_store_b8 v[2:3], v7, off
.LBB167_1502:
	s_mov_b32 s57, -1
.LBB167_1503:
	s_mov_b32 s58, 0
.LBB167_1504:
	s_delay_alu instid0(SALU_CYCLE_1)
	s_and_b32 vcc_lo, exec_lo, s58
	s_cbranch_vccz .LBB167_1545
; %bb.1505:
	s_cmp_gt_i32 s56, 22
	s_mov_b32 s58, -1
	s_cbranch_scc0 .LBB167_1537
; %bb.1506:
	s_cmp_lt_i32 s56, 24
	s_mov_b32 s57, -1
	s_cbranch_scc1 .LBB167_1526
; %bb.1507:
	s_cmp_gt_i32 s56, 24
	s_cbranch_scc0 .LBB167_1515
; %bb.1508:
	s_wait_xcnt 0x0
	v_dual_mov_b32 v7, 0x80 :: v_dual_lshlrev_b32 v6, 16, v1
	s_mov_b32 s57, exec_lo
	s_delay_alu instid0(VALU_DEP_1) | instskip(NEXT) | instid1(VALU_DEP_1)
	v_and_b32_e32 v5, 0x7fffffff, v6
	v_cmpx_gt_u32_e32 0x47800000, v5
	s_cbranch_execz .LBB167_1514
; %bb.1509:
	v_and_b32_e32 v4, 0xffff, v1
	v_cmp_lt_u32_e32 vcc_lo, 0x37ffffff, v5
	s_mov_b32 s58, 0
                                        ; implicit-def: $vgpr5
	s_and_saveexec_b32 s59, vcc_lo
	s_delay_alu instid0(SALU_CYCLE_1)
	s_xor_b32 s59, exec_lo, s59
	s_cbranch_execz .LBB167_2947
; %bb.1510:
	v_bfe_u32 v5, v4, 5, 1
	s_mov_b32 s58, exec_lo
	s_delay_alu instid0(VALU_DEP_1) | instskip(NEXT) | instid1(VALU_DEP_1)
	v_add3_u32 v5, v6, v5, 0x88fffff
                                        ; implicit-def: $vgpr6
	v_lshrrev_b32_e32 v5, 21, v5
	s_and_not1_saveexec_b32 s59, s59
	s_cbranch_execnz .LBB167_2948
.LBB167_1511:
	s_or_b32 exec_lo, exec_lo, s59
	v_mov_b32_e32 v7, 0
	s_and_saveexec_b32 s59, s58
.LBB167_1512:
	v_lshrrev_b32_e32 v4, 8, v4
	s_delay_alu instid0(VALU_DEP_1)
	v_and_or_b32 v7, 0x80, v4, v5
.LBB167_1513:
	s_or_b32 exec_lo, exec_lo, s59
.LBB167_1514:
	s_delay_alu instid0(SALU_CYCLE_1)
	s_or_b32 exec_lo, exec_lo, s57
	s_mov_b32 s57, 0
	global_store_b8 v[2:3], v7, off
.LBB167_1515:
	s_and_b32 vcc_lo, exec_lo, s57
	s_cbranch_vccz .LBB167_1525
; %bb.1516:
	v_lshlrev_b32_e32 v6, 16, v1
	s_wait_xcnt 0x0
	v_and_b32_e32 v4, 0xffff, v1
	s_mov_b32 s57, exec_lo
                                        ; implicit-def: $vgpr5
	s_delay_alu instid0(VALU_DEP_2) | instskip(NEXT) | instid1(VALU_DEP_1)
	v_and_b32_e32 v7, 0x7fffffff, v6
	v_cmpx_gt_u32_e32 0x43f00000, v7
	s_xor_b32 s57, exec_lo, s57
	s_cbranch_execz .LBB167_1522
; %bb.1517:
	s_mov_b32 s58, exec_lo
                                        ; implicit-def: $vgpr5
	v_cmpx_lt_u32_e32 0x3c7fffff, v7
	s_xor_b32 s58, exec_lo, s58
; %bb.1518:
	v_bfe_u32 v5, v4, 4, 1
	s_delay_alu instid0(VALU_DEP_1) | instskip(NEXT) | instid1(VALU_DEP_1)
	v_add3_u32 v5, v6, v5, 0x407ffff
	v_and_b32_e32 v6, 0xff00000, v5
	v_lshrrev_b32_e32 v5, 20, v5
	s_delay_alu instid0(VALU_DEP_2) | instskip(NEXT) | instid1(VALU_DEP_2)
	v_cmp_ne_u32_e32 vcc_lo, 0x7f00000, v6
                                        ; implicit-def: $vgpr6
	v_cndmask_b32_e32 v5, 0x7e, v5, vcc_lo
; %bb.1519:
	s_and_not1_saveexec_b32 s58, s58
; %bb.1520:
	v_add_f32_e64 v5, 0x46800000, |v6|
; %bb.1521:
	s_or_b32 exec_lo, exec_lo, s58
                                        ; implicit-def: $vgpr7
.LBB167_1522:
	s_and_not1_saveexec_b32 s57, s57
; %bb.1523:
	v_mov_b32_e32 v5, 0x7f
	v_cmp_lt_u32_e32 vcc_lo, 0x7f800000, v7
	s_delay_alu instid0(VALU_DEP_2)
	v_cndmask_b32_e32 v5, 0x7e, v5, vcc_lo
; %bb.1524:
	s_or_b32 exec_lo, exec_lo, s57
	v_lshrrev_b32_e32 v4, 8, v4
	s_delay_alu instid0(VALU_DEP_1)
	v_and_or_b32 v4, 0x80, v4, v5
	global_store_b8 v[2:3], v4, off
.LBB167_1525:
	s_mov_b32 s57, 0
.LBB167_1526:
	s_delay_alu instid0(SALU_CYCLE_1)
	s_and_not1_b32 vcc_lo, exec_lo, s57
	s_cbranch_vccnz .LBB167_1536
; %bb.1527:
	v_lshlrev_b32_e32 v6, 16, v1
	s_wait_xcnt 0x0
	v_and_b32_e32 v4, 0xffff, v1
	s_mov_b32 s57, exec_lo
                                        ; implicit-def: $vgpr5
	s_delay_alu instid0(VALU_DEP_2) | instskip(NEXT) | instid1(VALU_DEP_1)
	v_and_b32_e32 v7, 0x7fffffff, v6
	v_cmpx_gt_u32_e32 0x47800000, v7
	s_xor_b32 s57, exec_lo, s57
	s_cbranch_execz .LBB167_1533
; %bb.1528:
	s_mov_b32 s58, exec_lo
                                        ; implicit-def: $vgpr5
	v_cmpx_lt_u32_e32 0x387fffff, v7
	s_xor_b32 s58, exec_lo, s58
; %bb.1529:
	v_bfe_u32 v5, v4, 5, 1
	s_delay_alu instid0(VALU_DEP_1) | instskip(NEXT) | instid1(VALU_DEP_1)
	v_add3_u32 v5, v6, v5, 0x80fffff
                                        ; implicit-def: $vgpr6
	v_lshrrev_b32_e32 v5, 21, v5
; %bb.1530:
	s_and_not1_saveexec_b32 s58, s58
; %bb.1531:
	v_add_f32_e64 v5, 0x43000000, |v6|
; %bb.1532:
	s_or_b32 exec_lo, exec_lo, s58
                                        ; implicit-def: $vgpr7
.LBB167_1533:
	s_and_not1_saveexec_b32 s57, s57
; %bb.1534:
	v_mov_b32_e32 v5, 0x7f
	v_cmp_lt_u32_e32 vcc_lo, 0x7f800000, v7
	s_delay_alu instid0(VALU_DEP_2)
	v_cndmask_b32_e32 v5, 0x7c, v5, vcc_lo
; %bb.1535:
	s_or_b32 exec_lo, exec_lo, s57
	v_lshrrev_b32_e32 v4, 8, v4
	s_delay_alu instid0(VALU_DEP_1)
	v_and_or_b32 v4, 0x80, v4, v5
	global_store_b8 v[2:3], v4, off
.LBB167_1536:
	s_mov_b32 s58, 0
	s_mov_b32 s57, -1
.LBB167_1537:
	s_and_not1_b32 vcc_lo, exec_lo, s58
	s_cbranch_vccnz .LBB167_1545
; %bb.1538:
	s_cmp_gt_i32 s56, 14
	s_mov_b32 s58, -1
	s_cbranch_scc0 .LBB167_1542
; %bb.1539:
	s_cmp_eq_u32 s56, 15
	s_mov_b32 s0, -1
	s_cbranch_scc0 .LBB167_1541
; %bb.1540:
	s_mov_b32 s57, -1
	s_mov_b32 s0, 0
	global_store_b16 v[2:3], v1, off
.LBB167_1541:
	s_mov_b32 s58, 0
.LBB167_1542:
	s_delay_alu instid0(SALU_CYCLE_1)
	s_and_b32 vcc_lo, exec_lo, s58
	s_cbranch_vccz .LBB167_1545
; %bb.1543:
	s_cmp_eq_u32 s56, 11
	s_mov_b32 s0, -1
	s_cbranch_scc0 .LBB167_1545
; %bb.1544:
	s_wait_xcnt 0x0
	v_and_b32_e32 v4, 0x7fff, v1
	s_mov_b32 s0, 0
	s_mov_b32 s57, -1
	s_delay_alu instid0(VALU_DEP_1)
	v_cmp_ne_u16_e32 vcc_lo, 0, v4
	v_cndmask_b32_e64 v4, 0, 1, vcc_lo
	global_store_b8 v[2:3], v4, off
.LBB167_1545:
	s_mov_b32 s56, 0
.LBB167_1546:
	s_delay_alu instid0(SALU_CYCLE_1)
	s_and_b32 vcc_lo, exec_lo, s56
	s_cbranch_vccz .LBB167_1585
; %bb.1547:
	s_and_b32 s31, 0xffff, s31
	s_mov_b32 s56, -1
	s_cmp_lt_i32 s31, 5
	s_cbranch_scc1 .LBB167_1568
; %bb.1548:
	s_cmp_lt_i32 s31, 8
	s_cbranch_scc1 .LBB167_1558
; %bb.1549:
	;; [unrolled: 3-line block ×3, first 2 shown]
	s_cmp_gt_i32 s31, 9
	s_cbranch_scc0 .LBB167_1552
; %bb.1551:
	s_wait_xcnt 0x0
	v_dual_lshlrev_b32 v4, 16, v1 :: v_dual_mov_b32 v6, 0
	s_mov_b32 s56, 0
	s_delay_alu instid0(VALU_DEP_1) | instskip(NEXT) | instid1(VALU_DEP_2)
	v_cvt_f64_f32_e32 v[4:5], v4
	v_mov_b32_e32 v7, v6
	global_store_b128 v[2:3], v[4:7], off
.LBB167_1552:
	s_and_not1_b32 vcc_lo, exec_lo, s56
	s_cbranch_vccnz .LBB167_1554
; %bb.1553:
	s_wait_xcnt 0x0
	v_dual_mov_b32 v5, 0 :: v_dual_lshlrev_b32 v4, 16, v1
	global_store_b64 v[2:3], v[4:5], off
.LBB167_1554:
	s_mov_b32 s56, 0
.LBB167_1555:
	s_delay_alu instid0(SALU_CYCLE_1)
	s_and_not1_b32 vcc_lo, exec_lo, s56
	s_cbranch_vccnz .LBB167_1557
; %bb.1556:
	s_wait_xcnt 0x0
	v_lshlrev_b32_e32 v4, 16, v1
	s_delay_alu instid0(VALU_DEP_1) | instskip(NEXT) | instid1(VALU_DEP_1)
	v_cvt_f16_f32_e32 v4, v4
	v_and_b32_e32 v4, 0xffff, v4
	global_store_b32 v[2:3], v4, off
.LBB167_1557:
	s_mov_b32 s56, 0
.LBB167_1558:
	s_delay_alu instid0(SALU_CYCLE_1)
	s_and_not1_b32 vcc_lo, exec_lo, s56
	s_cbranch_vccnz .LBB167_1567
; %bb.1559:
	s_cmp_lt_i32 s31, 6
	s_mov_b32 s56, -1
	s_cbranch_scc1 .LBB167_1565
; %bb.1560:
	s_cmp_gt_i32 s31, 6
	s_cbranch_scc0 .LBB167_1562
; %bb.1561:
	s_wait_xcnt 0x0
	v_lshlrev_b32_e32 v4, 16, v1
	s_mov_b32 s56, 0
	s_delay_alu instid0(VALU_DEP_1)
	v_cvt_f64_f32_e32 v[4:5], v4
	global_store_b64 v[2:3], v[4:5], off
.LBB167_1562:
	s_and_not1_b32 vcc_lo, exec_lo, s56
	s_cbranch_vccnz .LBB167_1564
; %bb.1563:
	s_wait_xcnt 0x0
	v_lshlrev_b32_e32 v4, 16, v1
	global_store_b32 v[2:3], v4, off
.LBB167_1564:
	s_mov_b32 s56, 0
.LBB167_1565:
	s_delay_alu instid0(SALU_CYCLE_1)
	s_and_not1_b32 vcc_lo, exec_lo, s56
	s_cbranch_vccnz .LBB167_1567
; %bb.1566:
	s_wait_xcnt 0x0
	v_lshlrev_b32_e32 v4, 16, v1
	s_delay_alu instid0(VALU_DEP_1)
	v_cvt_f16_f32_e32 v4, v4
	global_store_b16 v[2:3], v4, off
.LBB167_1567:
	s_mov_b32 s56, 0
.LBB167_1568:
	s_delay_alu instid0(SALU_CYCLE_1)
	s_and_not1_b32 vcc_lo, exec_lo, s56
	s_cbranch_vccnz .LBB167_1584
; %bb.1569:
	s_cmp_lt_i32 s31, 2
	s_mov_b32 s56, -1
	s_cbranch_scc1 .LBB167_1579
; %bb.1570:
	s_cmp_lt_i32 s31, 3
	s_cbranch_scc1 .LBB167_1576
; %bb.1571:
	s_cmp_gt_i32 s31, 3
	s_cbranch_scc0 .LBB167_1573
; %bb.1572:
	s_wait_xcnt 0x0
	v_lshlrev_b32_e32 v4, 16, v1
	s_mov_b32 s56, 0
	s_delay_alu instid0(VALU_DEP_1) | instskip(NEXT) | instid1(VALU_DEP_1)
	v_trunc_f32_e32 v4, v4
	v_mul_f32_e64 v5, 0x2f800000, |v4|
	s_delay_alu instid0(VALU_DEP_1) | instskip(NEXT) | instid1(VALU_DEP_1)
	v_floor_f32_e32 v5, v5
	v_fma_f32 v6, 0xcf800000, v5, |v4|
	v_ashrrev_i32_e32 v4, 31, v4
	v_cvt_u32_f32_e32 v7, v5
	s_delay_alu instid0(VALU_DEP_3) | instskip(NEXT) | instid1(VALU_DEP_2)
	v_cvt_u32_f32_e32 v6, v6
	v_dual_mov_b32 v5, v4 :: v_dual_bitop2_b32 v7, v7, v4 bitop3:0x14
	s_delay_alu instid0(VALU_DEP_2) | instskip(NEXT) | instid1(VALU_DEP_1)
	v_xor_b32_e32 v6, v6, v4
	v_sub_nc_u64_e32 v[4:5], v[6:7], v[4:5]
	global_store_b64 v[2:3], v[4:5], off
.LBB167_1573:
	s_and_not1_b32 vcc_lo, exec_lo, s56
	s_cbranch_vccnz .LBB167_1575
; %bb.1574:
	s_wait_xcnt 0x0
	v_lshlrev_b32_e32 v4, 16, v1
	s_delay_alu instid0(VALU_DEP_1)
	v_cvt_i32_f32_e32 v4, v4
	global_store_b32 v[2:3], v4, off
.LBB167_1575:
	s_mov_b32 s56, 0
.LBB167_1576:
	s_delay_alu instid0(SALU_CYCLE_1)
	s_and_not1_b32 vcc_lo, exec_lo, s56
	s_cbranch_vccnz .LBB167_1578
; %bb.1577:
	s_wait_xcnt 0x0
	v_lshlrev_b32_e32 v4, 16, v1
	s_delay_alu instid0(VALU_DEP_1)
	v_cvt_i32_f32_e32 v4, v4
	global_store_b16 v[2:3], v4, off
.LBB167_1578:
	s_mov_b32 s56, 0
.LBB167_1579:
	s_delay_alu instid0(SALU_CYCLE_1)
	s_and_not1_b32 vcc_lo, exec_lo, s56
	s_cbranch_vccnz .LBB167_1584
; %bb.1580:
	s_cmp_gt_i32 s31, 0
	s_mov_b32 s31, -1
	s_cbranch_scc0 .LBB167_1582
; %bb.1581:
	s_wait_xcnt 0x0
	v_lshlrev_b32_e32 v4, 16, v1
	s_mov_b32 s31, 0
	s_delay_alu instid0(VALU_DEP_1)
	v_cvt_i32_f32_e32 v4, v4
	global_store_b8 v[2:3], v4, off
.LBB167_1582:
	s_and_not1_b32 vcc_lo, exec_lo, s31
	s_cbranch_vccnz .LBB167_1584
; %bb.1583:
	s_wait_xcnt 0x0
	v_lshlrev_b32_e32 v1, 16, v1
	s_delay_alu instid0(VALU_DEP_1) | instskip(NEXT) | instid1(VALU_DEP_1)
	v_trunc_f32_e32 v1, v1
	v_mul_f32_e64 v4, 0x2f800000, |v1|
	s_delay_alu instid0(VALU_DEP_1) | instskip(NEXT) | instid1(VALU_DEP_1)
	v_floor_f32_e32 v4, v4
	v_fma_f32 v4, 0xcf800000, v4, |v1|
	v_ashrrev_i32_e32 v1, 31, v1
	s_delay_alu instid0(VALU_DEP_2) | instskip(NEXT) | instid1(VALU_DEP_1)
	v_cvt_u32_f32_e32 v4, v4
	v_xor_b32_e32 v4, v4, v1
	s_delay_alu instid0(VALU_DEP_1)
	v_sub_nc_u32_e32 v1, v4, v1
	global_store_b8 v[2:3], v1, off
.LBB167_1584:
	s_mov_b32 s57, -1
.LBB167_1585:
	s_delay_alu instid0(SALU_CYCLE_1)
	s_and_not1_b32 vcc_lo, exec_lo, s57
	s_cbranch_vccnz .LBB167_1587
; %bb.1586:
	v_add_nc_u32_e32 v0, 0x80, v0
	s_mov_b32 s31, -1
	s_branch .LBB167_1589
.LBB167_1587:
	s_mov_b32 s31, 0
.LBB167_1588:
                                        ; implicit-def: $vgpr0
.LBB167_1589:
	s_and_not1_b32 s56, s51, exec_lo
	s_and_b32 s0, s0, exec_lo
	s_and_not1_b32 s57, s52, exec_lo
	s_and_b32 s30, s30, exec_lo
	s_or_b32 s59, s56, s0
	s_or_b32 s57, s57, s30
	s_and_not1_b32 s0, s53, exec_lo
	s_and_b32 s29, s29, exec_lo
	s_and_not1_b32 s30, s50, exec_lo
	s_and_b32 s28, s28, exec_lo
	s_or_b32 s58, s0, s29
	s_or_b32 s56, s30, s28
	s_or_not1_b32 s31, s31, exec_lo
.LBB167_1590:
	s_wait_xcnt 0x0
	s_or_b32 exec_lo, exec_lo, s55
	s_mov_b32 s29, 0
	s_mov_b32 s30, 0
	;; [unrolled: 1-line block ×3, first 2 shown]
                                        ; implicit-def: $sgpr0
                                        ; implicit-def: $vgpr8_vgpr9
                                        ; implicit-def: $vgpr2
                                        ; implicit-def: $vgpr4
                                        ; implicit-def: $vgpr6
                                        ; implicit-def: $vgpr10
	s_and_saveexec_b32 s55, s31
	s_cbranch_execz .LBB167_1683
; %bb.1591:
	v_cmp_gt_i32_e32 vcc_lo, s44, v0
	s_mov_b32 s31, s56
                                        ; implicit-def: $sgpr0
                                        ; implicit-def: $vgpr8_vgpr9
                                        ; implicit-def: $vgpr2
                                        ; implicit-def: $vgpr4
                                        ; implicit-def: $vgpr6
                                        ; implicit-def: $vgpr10
	s_and_saveexec_b32 s44, vcc_lo
	s_cbranch_execz .LBB167_1682
; %bb.1592:
	s_and_not1_b32 vcc_lo, exec_lo, s36
	s_cbranch_vccnz .LBB167_1598
; %bb.1593:
	s_and_not1_b32 vcc_lo, exec_lo, s45
	s_cbranch_vccnz .LBB167_1599
; %bb.1594:
	s_wait_loadcnt 0x0
	v_dual_mov_b32 v6, 0 :: v_dual_mov_b32 v1, v0
	v_dual_mov_b32 v4, 0 :: v_dual_mov_b32 v2, 0
	v_mov_b32_e32 v8, 0
	s_add_co_i32 s0, s42, 1
	s_mov_b64 s[28:29], 0xffffffffffffffe0
	s_and_b32 s0, s0, 30
	s_add_nc_u64 s[28:29], s[2:3], s[28:29]
	s_mov_b64 s[30:31], s[2:3]
.LBB167_1595:                           ; =>This Inner Loop Header: Depth=1
	s_clause 0x1
	s_load_b128 s[68:71], s[30:31], 0x4
	s_load_b64 s[72:73], s[30:31], 0x14
	s_load_b256 s[60:67], s[28:29], 0xe4
	s_add_co_i32 s0, s0, -2
	s_wait_xcnt 0x0
	s_add_nc_u64 s[30:31], s[30:31], 24
	s_cmp_eq_u32 s0, 0
	s_add_nc_u64 s[28:29], s[28:29], 32
	s_wait_kmcnt 0x0
	v_mul_hi_u32 v3, s69, v1
	s_delay_alu instid0(VALU_DEP_1) | instskip(NEXT) | instid1(VALU_DEP_1)
	v_add_nc_u32_e32 v3, v1, v3
	v_lshrrev_b32_e32 v3, s70, v3
	s_delay_alu instid0(VALU_DEP_1) | instskip(SKIP_1) | instid1(VALU_DEP_1)
	v_mul_hi_u32 v5, s72, v3
	v_mul_lo_u32 v7, v3, s68
	v_dual_add_nc_u32 v5, v3, v5 :: v_dual_sub_nc_u32 v7, v1, v7
	s_delay_alu instid0(VALU_DEP_1) | instskip(NEXT) | instid1(VALU_DEP_2)
	v_lshrrev_b32_e32 v1, s73, v5
	v_mad_u32 v8, v7, s61, v8
	v_mad_u32 v2, v7, s60, v2
	;; [unrolled: 1-line block ×4, first 2 shown]
	v_mul_lo_u32 v5, v1, s71
	s_delay_alu instid0(VALU_DEP_1) | instskip(NEXT) | instid1(VALU_DEP_1)
	v_sub_nc_u32_e32 v3, v3, v5
	v_mad_u32 v8, v3, s65, v8
	v_mad_u32 v2, v3, s64, v2
	;; [unrolled: 1-line block ×4, first 2 shown]
	s_cbranch_scc0 .LBB167_1595
; %bb.1596:
	s_bitcmp1_b32 s42, 0
	s_cselect_b32 s0, -1, 0
	s_delay_alu instid0(SALU_CYCLE_1)
	s_and_b32 vcc_lo, exec_lo, s0
	s_cbranch_vccnz .LBB167_1600
; %bb.1597:
	s_load_b96 s[64:66], s[30:31], 0x4
	s_load_b128 s[60:63], s[28:29], 0xe4
	s_wait_kmcnt 0x0
	v_mul_hi_u32 v3, s65, v1
	s_delay_alu instid0(VALU_DEP_1) | instskip(NEXT) | instid1(VALU_DEP_1)
	v_add_nc_u32_e32 v3, v1, v3
	v_lshrrev_b32_e32 v3, s66, v3
	s_delay_alu instid0(VALU_DEP_1) | instskip(NEXT) | instid1(VALU_DEP_1)
	v_mul_lo_u32 v3, v3, s64
	v_sub_nc_u32_e32 v1, v1, v3
	s_delay_alu instid0(VALU_DEP_1)
	v_mad_u32 v2, v1, s60, v2
	v_mad_u32 v8, v1, s61, v8
	v_mad_u32 v6, v1, s62, v6
	v_mad_u32 v4, v1, s63, v4
	s_branch .LBB167_1600
.LBB167_1598:
	s_mov_b32 s0, -1
                                        ; implicit-def: $vgpr8
                                        ; implicit-def: $vgpr2
                                        ; implicit-def: $vgpr4
                                        ; implicit-def: $vgpr6
	s_branch .LBB167_1601
.LBB167_1599:
	s_wait_loadcnt 0x0
	v_dual_mov_b32 v8, 0 :: v_dual_mov_b32 v2, 0
	v_dual_mov_b32 v4, 0 :: v_dual_mov_b32 v6, 0
.LBB167_1600:
	s_mov_b32 s0, 0
.LBB167_1601:
	s_delay_alu instid0(SALU_CYCLE_1)
	s_and_not1_b32 vcc_lo, exec_lo, s0
	s_cbranch_vccnz .LBB167_1604
; %bb.1602:
	s_wait_loadcnt 0x0
	v_mov_b32_e32 v1, 0
	s_and_not1_b32 vcc_lo, exec_lo, s41
	s_delay_alu instid0(VALU_DEP_1) | instskip(NEXT) | instid1(VALU_DEP_1)
	v_mul_u64_e32 v[2:3], s[24:25], v[0:1]
	v_add_nc_u32_e32 v2, v0, v3
	s_delay_alu instid0(VALU_DEP_1) | instskip(NEXT) | instid1(VALU_DEP_1)
	v_lshrrev_b32_e32 v10, s22, v2
	v_mul_lo_u32 v2, v10, s20
	s_delay_alu instid0(VALU_DEP_1) | instskip(NEXT) | instid1(VALU_DEP_1)
	v_sub_nc_u32_e32 v0, v0, v2
	v_mul_lo_u32 v8, v0, s13
	v_mul_lo_u32 v2, v0, s12
	;; [unrolled: 1-line block ×4, first 2 shown]
	s_cbranch_vccnz .LBB167_1604
; %bb.1603:
	v_mov_b32_e32 v11, v1
	s_delay_alu instid0(VALU_DEP_1) | instskip(NEXT) | instid1(VALU_DEP_1)
	v_mul_u64_e32 v[0:1], s[26:27], v[10:11]
	v_add_nc_u32_e32 v0, v10, v1
	s_delay_alu instid0(VALU_DEP_1) | instskip(NEXT) | instid1(VALU_DEP_1)
	v_lshrrev_b32_e32 v0, s1, v0
	v_mul_lo_u32 v0, v0, s23
	s_delay_alu instid0(VALU_DEP_1) | instskip(NEXT) | instid1(VALU_DEP_1)
	v_sub_nc_u32_e32 v0, v10, v0
	v_mad_u32 v2, v0, s16, v2
	v_mad_u32 v8, v0, s17, v8
	;; [unrolled: 1-line block ×4, first 2 shown]
.LBB167_1604:
	v_mov_b32_e32 v9, 0
	s_and_b32 s0, s40, 0xff
	s_delay_alu instid0(SALU_CYCLE_1) | instskip(SKIP_1) | instid1(VALU_DEP_1)
	s_cmp_lt_i32 s0, 11
	s_wait_loadcnt 0x0
	v_add_nc_u64_e32 v[8:9], s[6:7], v[8:9]
	s_cbranch_scc1 .LBB167_1611
; %bb.1605:
	s_and_b32 s1, 0xffff, s0
	s_mov_b32 s7, 0
	s_cmp_gt_i32 s1, 25
	s_cbranch_scc0 .LBB167_1612
; %bb.1606:
	s_cmp_gt_i32 s1, 28
	s_cbranch_scc0 .LBB167_1613
; %bb.1607:
	;; [unrolled: 3-line block ×4, first 2 shown]
	s_cmp_eq_u32 s1, 46
	s_mov_b32 s13, 0
	s_cbranch_scc0 .LBB167_1616
; %bb.1610:
	global_load_b32 v10, v[8:9], off
	s_mov_b32 s6, 0
	s_mov_b32 s12, -1
	s_branch .LBB167_1618
.LBB167_1611:
	s_mov_b32 s1, -1
	s_mov_b32 s12, 0
	s_mov_b32 s7, 0
	;; [unrolled: 1-line block ×3, first 2 shown]
                                        ; implicit-def: $vgpr10
	s_branch .LBB167_1681
.LBB167_1612:
	s_mov_b32 s13, -1
	s_mov_b32 s12, 0
	s_mov_b32 s6, s56
                                        ; implicit-def: $vgpr10
	s_branch .LBB167_1647
.LBB167_1613:
	s_mov_b32 s13, -1
	s_mov_b32 s12, 0
	s_mov_b32 s6, s56
                                        ; implicit-def: $vgpr10
	s_branch .LBB167_1628
.LBB167_1614:
	s_mov_b32 s13, -1
	s_mov_b32 s12, 0
	s_mov_b32 s6, s56
                                        ; implicit-def: $vgpr10
	s_branch .LBB167_1623
.LBB167_1615:
	s_mov_b32 s13, -1
	s_mov_b32 s12, 0
	s_mov_b32 s6, s56
	s_branch .LBB167_1617
.LBB167_1616:
	s_mov_b32 s6, -1
	s_mov_b32 s12, 0
.LBB167_1617:
                                        ; implicit-def: $vgpr10
.LBB167_1618:
	s_and_b32 vcc_lo, exec_lo, s13
	s_cbranch_vccz .LBB167_1622
; %bb.1619:
	s_cmp_eq_u32 s1, 44
	s_cbranch_scc0 .LBB167_1621
; %bb.1620:
	global_load_u8 v0, v[8:9], off
	s_mov_b32 s6, 0
	s_mov_b32 s12, -1
	s_wait_loadcnt 0x0
	v_lshlrev_b32_e32 v1, 23, v0
	v_cmp_ne_u32_e32 vcc_lo, 0xff, v0
	s_delay_alu instid0(VALU_DEP_2) | instskip(SKIP_1) | instid1(VALU_DEP_2)
	v_cndmask_b32_e32 v1, 0x7f800001, v1, vcc_lo
	v_cmp_ne_u32_e32 vcc_lo, 0, v0
	v_cndmask_b32_e32 v0, 0x400000, v1, vcc_lo
	s_delay_alu instid0(VALU_DEP_1) | instskip(NEXT) | instid1(VALU_DEP_1)
	v_add_nc_u32_e32 v1, 0x7fff, v0
	v_lshrrev_b32_e32 v1, 16, v1
	v_cmp_o_f32_e32 vcc_lo, v0, v0
	s_delay_alu instid0(VALU_DEP_2)
	v_cndmask_b32_e32 v10, 0x7fc0, v1, vcc_lo
	s_branch .LBB167_1622
.LBB167_1621:
	s_mov_b32 s6, -1
                                        ; implicit-def: $vgpr10
.LBB167_1622:
	s_mov_b32 s13, 0
.LBB167_1623:
	s_delay_alu instid0(SALU_CYCLE_1)
	s_and_b32 vcc_lo, exec_lo, s13
	s_cbranch_vccz .LBB167_1627
; %bb.1624:
	s_cmp_eq_u32 s1, 29
	s_cbranch_scc0 .LBB167_1626
; %bb.1625:
	global_load_b64 v[0:1], v[8:9], off
	s_mov_b32 s6, 0
	s_mov_b32 s12, -1
	s_mov_b32 s13, 0
	s_wait_loadcnt 0x0
	v_clz_i32_u32_e32 v3, v1
	s_delay_alu instid0(VALU_DEP_1) | instskip(NEXT) | instid1(VALU_DEP_1)
	v_min_u32_e32 v3, 32, v3
	v_lshlrev_b64_e32 v[0:1], v3, v[0:1]
	s_delay_alu instid0(VALU_DEP_1) | instskip(NEXT) | instid1(VALU_DEP_1)
	v_min_u32_e32 v0, 1, v0
	v_dual_sub_nc_u32 v1, 32, v3 :: v_dual_bitop2_b32 v0, v1, v0 bitop3:0x54
	s_delay_alu instid0(VALU_DEP_1) | instskip(NEXT) | instid1(VALU_DEP_1)
	v_cvt_f32_u32_e32 v0, v0
	v_ldexp_f32 v0, v0, v1
	s_delay_alu instid0(VALU_DEP_1) | instskip(NEXT) | instid1(VALU_DEP_1)
	v_bfe_u32 v1, v0, 16, 1
	v_add3_u32 v0, v0, v1, 0x7fff
	s_delay_alu instid0(VALU_DEP_1)
	v_lshrrev_b32_e32 v10, 16, v0
	s_branch .LBB167_1628
.LBB167_1626:
	s_mov_b32 s6, -1
                                        ; implicit-def: $vgpr10
.LBB167_1627:
	s_mov_b32 s13, 0
.LBB167_1628:
	s_delay_alu instid0(SALU_CYCLE_1)
	s_and_b32 vcc_lo, exec_lo, s13
	s_cbranch_vccz .LBB167_1646
; %bb.1629:
	s_cmp_lt_i32 s1, 27
	s_cbranch_scc1 .LBB167_1632
; %bb.1630:
	s_cmp_gt_i32 s1, 27
	s_cbranch_scc0 .LBB167_1633
; %bb.1631:
	global_load_b32 v0, v[8:9], off
	s_mov_b32 s12, 0
	s_wait_loadcnt 0x0
	v_cvt_f32_u32_e32 v0, v0
	s_delay_alu instid0(VALU_DEP_1) | instskip(NEXT) | instid1(VALU_DEP_1)
	v_bfe_u32 v1, v0, 16, 1
	v_add3_u32 v0, v0, v1, 0x7fff
	s_delay_alu instid0(VALU_DEP_1)
	v_lshrrev_b32_e32 v10, 16, v0
	s_branch .LBB167_1634
.LBB167_1632:
	s_mov_b32 s12, -1
                                        ; implicit-def: $vgpr10
	s_branch .LBB167_1637
.LBB167_1633:
	s_mov_b32 s12, -1
                                        ; implicit-def: $vgpr10
.LBB167_1634:
	s_delay_alu instid0(SALU_CYCLE_1)
	s_and_not1_b32 vcc_lo, exec_lo, s12
	s_cbranch_vccnz .LBB167_1636
; %bb.1635:
	global_load_u16 v0, v[8:9], off
	s_wait_loadcnt 0x0
	v_cvt_f32_u32_e32 v0, v0
	s_delay_alu instid0(VALU_DEP_1) | instskip(NEXT) | instid1(VALU_DEP_1)
	v_bfe_u32 v1, v0, 16, 1
	v_add3_u32 v0, v0, v1, 0x7fff
	s_delay_alu instid0(VALU_DEP_1)
	v_lshrrev_b32_e32 v10, 16, v0
.LBB167_1636:
	s_mov_b32 s12, 0
.LBB167_1637:
	s_delay_alu instid0(SALU_CYCLE_1)
	s_and_not1_b32 vcc_lo, exec_lo, s12
	s_cbranch_vccnz .LBB167_1645
; %bb.1638:
	global_load_u8 v0, v[8:9], off
	s_mov_b32 s12, 0
	s_mov_b32 s13, exec_lo
	s_wait_loadcnt 0x0
	v_cmpx_lt_i16_e32 0x7f, v0
	s_xor_b32 s13, exec_lo, s13
	s_cbranch_execz .LBB167_1659
; %bb.1639:
	s_mov_b32 s12, -1
	s_mov_b32 s14, exec_lo
	v_cmpx_eq_u16_e32 0x80, v0
; %bb.1640:
	s_xor_b32 s12, exec_lo, -1
; %bb.1641:
	s_or_b32 exec_lo, exec_lo, s14
	s_delay_alu instid0(SALU_CYCLE_1)
	s_and_b32 s12, s12, exec_lo
	s_or_saveexec_b32 s13, s13
	v_mov_b32_e32 v1, 0x7f800001
	s_xor_b32 exec_lo, exec_lo, s13
	s_cbranch_execnz .LBB167_1660
.LBB167_1642:
	s_or_b32 exec_lo, exec_lo, s13
	s_and_saveexec_b32 s13, s12
	s_cbranch_execz .LBB167_1644
.LBB167_1643:
	v_and_b32_e32 v1, 0xffff, v0
	s_delay_alu instid0(VALU_DEP_1) | instskip(SKIP_1) | instid1(VALU_DEP_2)
	v_dual_lshlrev_b32 v0, 24, v0 :: v_dual_bitop2_b32 v3, 7, v1 bitop3:0x40
	v_bfe_u32 v10, v1, 3, 4
	v_and_b32_e32 v0, 0x80000000, v0
	s_delay_alu instid0(VALU_DEP_3) | instskip(NEXT) | instid1(VALU_DEP_3)
	v_clz_i32_u32_e32 v5, v3
	v_cmp_eq_u32_e32 vcc_lo, 0, v10
	s_delay_alu instid0(VALU_DEP_2) | instskip(NEXT) | instid1(VALU_DEP_1)
	v_min_u32_e32 v5, 32, v5
	v_subrev_nc_u32_e32 v7, 28, v5
	v_sub_nc_u32_e32 v5, 29, v5
	s_delay_alu instid0(VALU_DEP_2) | instskip(NEXT) | instid1(VALU_DEP_2)
	v_lshlrev_b32_e32 v1, v7, v1
	v_cndmask_b32_e32 v5, v10, v5, vcc_lo
	s_delay_alu instid0(VALU_DEP_2) | instskip(NEXT) | instid1(VALU_DEP_1)
	v_and_b32_e32 v1, 7, v1
	v_cndmask_b32_e32 v1, v3, v1, vcc_lo
	s_delay_alu instid0(VALU_DEP_3) | instskip(NEXT) | instid1(VALU_DEP_2)
	v_lshl_add_u32 v3, v5, 23, 0x3b800000
	v_lshlrev_b32_e32 v1, 20, v1
	s_delay_alu instid0(VALU_DEP_1)
	v_or3_b32 v1, v0, v3, v1
.LBB167_1644:
	s_or_b32 exec_lo, exec_lo, s13
	s_delay_alu instid0(VALU_DEP_1) | instskip(SKIP_1) | instid1(VALU_DEP_2)
	v_bfe_u32 v0, v1, 16, 1
	v_cmp_o_f32_e32 vcc_lo, v1, v1
	v_add3_u32 v0, v1, v0, 0x7fff
	s_delay_alu instid0(VALU_DEP_1) | instskip(NEXT) | instid1(VALU_DEP_1)
	v_lshrrev_b32_e32 v0, 16, v0
	v_cndmask_b32_e32 v10, 0x7fc0, v0, vcc_lo
.LBB167_1645:
	s_mov_b32 s12, -1
.LBB167_1646:
	s_mov_b32 s13, 0
.LBB167_1647:
	s_delay_alu instid0(SALU_CYCLE_1)
	s_and_b32 vcc_lo, exec_lo, s13
	s_cbranch_vccz .LBB167_1680
; %bb.1648:
	s_cmp_gt_i32 s1, 22
	s_cbranch_scc0 .LBB167_1658
; %bb.1649:
	s_cmp_lt_i32 s1, 24
	s_cbranch_scc1 .LBB167_1661
; %bb.1650:
	s_cmp_gt_i32 s1, 24
	s_cbranch_scc0 .LBB167_1662
; %bb.1651:
	global_load_u8 v0, v[8:9], off
	s_mov_b32 s12, exec_lo
	s_wait_loadcnt 0x0
	v_cmpx_lt_i16_e32 0x7f, v0
	s_xor_b32 s12, exec_lo, s12
	s_cbranch_execz .LBB167_1674
; %bb.1652:
	s_mov_b32 s7, -1
	s_mov_b32 s13, exec_lo
	v_cmpx_eq_u16_e32 0x80, v0
; %bb.1653:
	s_xor_b32 s7, exec_lo, -1
; %bb.1654:
	s_or_b32 exec_lo, exec_lo, s13
	s_delay_alu instid0(SALU_CYCLE_1)
	s_and_b32 s7, s7, exec_lo
	s_or_saveexec_b32 s12, s12
	v_mov_b32_e32 v1, 0x7f800001
	s_xor_b32 exec_lo, exec_lo, s12
	s_cbranch_execnz .LBB167_1675
.LBB167_1655:
	s_or_b32 exec_lo, exec_lo, s12
	s_and_saveexec_b32 s12, s7
	s_cbranch_execz .LBB167_1657
.LBB167_1656:
	v_and_b32_e32 v1, 0xffff, v0
	s_delay_alu instid0(VALU_DEP_1) | instskip(SKIP_1) | instid1(VALU_DEP_2)
	v_dual_lshlrev_b32 v0, 24, v0 :: v_dual_bitop2_b32 v3, 3, v1 bitop3:0x40
	v_bfe_u32 v10, v1, 2, 5
	v_and_b32_e32 v0, 0x80000000, v0
	s_delay_alu instid0(VALU_DEP_3) | instskip(NEXT) | instid1(VALU_DEP_3)
	v_clz_i32_u32_e32 v5, v3
	v_cmp_eq_u32_e32 vcc_lo, 0, v10
	s_delay_alu instid0(VALU_DEP_2) | instskip(NEXT) | instid1(VALU_DEP_1)
	v_min_u32_e32 v5, 32, v5
	v_subrev_nc_u32_e32 v7, 29, v5
	v_sub_nc_u32_e32 v5, 30, v5
	s_delay_alu instid0(VALU_DEP_2) | instskip(NEXT) | instid1(VALU_DEP_2)
	v_lshlrev_b32_e32 v1, v7, v1
	v_cndmask_b32_e32 v5, v10, v5, vcc_lo
	s_delay_alu instid0(VALU_DEP_2) | instskip(NEXT) | instid1(VALU_DEP_1)
	v_and_b32_e32 v1, 3, v1
	v_cndmask_b32_e32 v1, v3, v1, vcc_lo
	s_delay_alu instid0(VALU_DEP_3) | instskip(NEXT) | instid1(VALU_DEP_2)
	v_lshl_add_u32 v3, v5, 23, 0x37800000
	v_lshlrev_b32_e32 v1, 21, v1
	s_delay_alu instid0(VALU_DEP_1)
	v_or3_b32 v1, v0, v3, v1
.LBB167_1657:
	s_or_b32 exec_lo, exec_lo, s12
	s_delay_alu instid0(VALU_DEP_1) | instskip(SKIP_2) | instid1(VALU_DEP_2)
	v_bfe_u32 v0, v1, 16, 1
	v_cmp_o_f32_e32 vcc_lo, v1, v1
	s_mov_b32 s7, 0
	v_add3_u32 v0, v1, v0, 0x7fff
	s_delay_alu instid0(VALU_DEP_1) | instskip(NEXT) | instid1(VALU_DEP_1)
	v_lshrrev_b32_e32 v0, 16, v0
	v_cndmask_b32_e32 v10, 0x7fc0, v0, vcc_lo
	s_branch .LBB167_1663
.LBB167_1658:
	s_mov_b32 s7, -1
                                        ; implicit-def: $vgpr10
	s_branch .LBB167_1669
.LBB167_1659:
	s_or_saveexec_b32 s13, s13
	v_mov_b32_e32 v1, 0x7f800001
	s_xor_b32 exec_lo, exec_lo, s13
	s_cbranch_execz .LBB167_1642
.LBB167_1660:
	v_cmp_ne_u16_e32 vcc_lo, 0, v0
	v_mov_b32_e32 v1, 0
	s_and_not1_b32 s12, s12, exec_lo
	s_and_b32 s14, vcc_lo, exec_lo
	s_delay_alu instid0(SALU_CYCLE_1)
	s_or_b32 s12, s12, s14
	s_or_b32 exec_lo, exec_lo, s13
	s_and_saveexec_b32 s13, s12
	s_cbranch_execnz .LBB167_1643
	s_branch .LBB167_1644
.LBB167_1661:
	s_mov_b32 s7, -1
                                        ; implicit-def: $vgpr10
	s_branch .LBB167_1666
.LBB167_1662:
	s_mov_b32 s7, -1
                                        ; implicit-def: $vgpr10
.LBB167_1663:
	s_delay_alu instid0(SALU_CYCLE_1)
	s_and_b32 vcc_lo, exec_lo, s7
	s_cbranch_vccz .LBB167_1665
; %bb.1664:
	global_load_u8 v0, v[8:9], off
	s_wait_loadcnt 0x0
	v_lshlrev_b32_e32 v0, 24, v0
	s_delay_alu instid0(VALU_DEP_1) | instskip(NEXT) | instid1(VALU_DEP_1)
	v_and_b32_e32 v1, 0x7f000000, v0
	v_clz_i32_u32_e32 v3, v1
	v_add_nc_u32_e32 v7, 0x1000000, v1
	v_cmp_ne_u32_e32 vcc_lo, 0, v1
	s_delay_alu instid0(VALU_DEP_3) | instskip(NEXT) | instid1(VALU_DEP_1)
	v_min_u32_e32 v3, 32, v3
	v_sub_nc_u32_e64 v3, v3, 4 clamp
	s_delay_alu instid0(VALU_DEP_1) | instskip(NEXT) | instid1(VALU_DEP_1)
	v_dual_lshlrev_b32 v5, v3, v1 :: v_dual_lshlrev_b32 v3, 23, v3
	v_lshrrev_b32_e32 v5, 4, v5
	s_delay_alu instid0(VALU_DEP_1) | instskip(SKIP_1) | instid1(VALU_DEP_2)
	v_sub_nc_u32_e32 v3, v5, v3
	v_ashrrev_i32_e32 v5, 8, v7
	v_add_nc_u32_e32 v3, 0x3c000000, v3
	s_delay_alu instid0(VALU_DEP_1) | instskip(NEXT) | instid1(VALU_DEP_1)
	v_and_or_b32 v3, 0x7f800000, v5, v3
	v_cndmask_b32_e32 v1, 0, v3, vcc_lo
	s_delay_alu instid0(VALU_DEP_1) | instskip(SKIP_1) | instid1(VALU_DEP_2)
	v_and_or_b32 v0, 0x80000000, v0, v1
	v_bfe_u32 v1, v1, 16, 1
	v_cmp_o_f32_e32 vcc_lo, v0, v0
	s_delay_alu instid0(VALU_DEP_2) | instskip(NEXT) | instid1(VALU_DEP_1)
	v_add3_u32 v1, v0, v1, 0x7fff
	v_lshrrev_b32_e32 v1, 16, v1
	s_delay_alu instid0(VALU_DEP_1)
	v_cndmask_b32_e32 v10, 0x7fc0, v1, vcc_lo
.LBB167_1665:
	s_mov_b32 s7, 0
.LBB167_1666:
	s_delay_alu instid0(SALU_CYCLE_1)
	s_and_not1_b32 vcc_lo, exec_lo, s7
	s_cbranch_vccnz .LBB167_1668
; %bb.1667:
	global_load_u8 v0, v[8:9], off
	s_wait_loadcnt 0x0
	v_lshlrev_b32_e32 v1, 25, v0
	v_lshlrev_b16 v0, 8, v0
	s_delay_alu instid0(VALU_DEP_1) | instskip(SKIP_1) | instid1(VALU_DEP_2)
	v_and_or_b32 v5, 0x7f00, v0, 0.5
	v_bfe_i32 v0, v0, 0, 16
	v_add_f32_e32 v5, -0.5, v5
	v_lshrrev_b32_e32 v3, 4, v1
	v_cmp_gt_u32_e32 vcc_lo, 0x8000000, v1
	s_delay_alu instid0(VALU_DEP_2) | instskip(NEXT) | instid1(VALU_DEP_1)
	v_or_b32_e32 v3, 0x70000000, v3
	v_mul_f32_e32 v3, 0x7800000, v3
	s_delay_alu instid0(VALU_DEP_1) | instskip(NEXT) | instid1(VALU_DEP_1)
	v_cndmask_b32_e32 v1, v3, v5, vcc_lo
	v_and_or_b32 v0, 0x80000000, v0, v1
	v_bfe_u32 v1, v1, 16, 1
	s_delay_alu instid0(VALU_DEP_2) | instskip(NEXT) | instid1(VALU_DEP_2)
	v_cmp_o_f32_e32 vcc_lo, v0, v0
	v_add3_u32 v1, v0, v1, 0x7fff
	s_delay_alu instid0(VALU_DEP_1) | instskip(NEXT) | instid1(VALU_DEP_1)
	v_lshrrev_b32_e32 v1, 16, v1
	v_cndmask_b32_e32 v10, 0x7fc0, v1, vcc_lo
.LBB167_1668:
	s_mov_b32 s7, 0
	s_mov_b32 s12, -1
.LBB167_1669:
	s_and_not1_b32 vcc_lo, exec_lo, s7
	s_mov_b32 s7, 0
	s_cbranch_vccnz .LBB167_1680
; %bb.1670:
	s_cmp_gt_i32 s1, 14
	s_cbranch_scc0 .LBB167_1673
; %bb.1671:
	s_cmp_eq_u32 s1, 15
	s_cbranch_scc0 .LBB167_1676
; %bb.1672:
	s_wait_loadcnt 0x0
	global_load_u16 v10, v[8:9], off
	s_mov_b32 s6, 0
	s_mov_b32 s12, -1
	s_branch .LBB167_1678
.LBB167_1673:
	s_mov_b32 s7, -1
	s_branch .LBB167_1677
.LBB167_1674:
	s_or_saveexec_b32 s12, s12
	v_mov_b32_e32 v1, 0x7f800001
	s_xor_b32 exec_lo, exec_lo, s12
	s_cbranch_execz .LBB167_1655
.LBB167_1675:
	v_cmp_ne_u16_e32 vcc_lo, 0, v0
	v_mov_b32_e32 v1, 0
	s_and_not1_b32 s7, s7, exec_lo
	s_and_b32 s13, vcc_lo, exec_lo
	s_delay_alu instid0(SALU_CYCLE_1)
	s_or_b32 s7, s7, s13
	s_or_b32 exec_lo, exec_lo, s12
	s_and_saveexec_b32 s12, s7
	s_cbranch_execnz .LBB167_1656
	s_branch .LBB167_1657
.LBB167_1676:
	s_mov_b32 s6, -1
.LBB167_1677:
                                        ; implicit-def: $vgpr10
.LBB167_1678:
	s_and_b32 vcc_lo, exec_lo, s7
	s_mov_b32 s7, 0
	s_cbranch_vccz .LBB167_1680
; %bb.1679:
	s_cmp_lg_u32 s1, 11
	s_mov_b32 s7, -1
	s_cselect_b32 s1, -1, 0
	s_and_not1_b32 s6, s6, exec_lo
	s_and_b32 s1, s1, exec_lo
	s_delay_alu instid0(SALU_CYCLE_1)
	s_or_b32 s6, s6, s1
.LBB167_1680:
	s_mov_b32 s1, 0
.LBB167_1681:
	s_delay_alu instid0(SALU_CYCLE_1)
	s_and_b32 s30, s1, exec_lo
	s_and_not1_b32 s1, s56, exec_lo
	s_and_b32 s6, s6, exec_lo
	s_and_b32 s28, s12, exec_lo
	;; [unrolled: 1-line block ×3, first 2 shown]
	s_or_b32 s31, s1, s6
.LBB167_1682:
	s_wait_xcnt 0x0
	s_or_b32 exec_lo, exec_lo, s44
	s_delay_alu instid0(SALU_CYCLE_1)
	s_and_not1_b32 s1, s56, exec_lo
	s_and_b32 s6, s31, exec_lo
	s_and_b32 s28, s28, exec_lo
	;; [unrolled: 1-line block ×4, first 2 shown]
	s_or_b32 s56, s1, s6
.LBB167_1683:
	s_or_b32 exec_lo, exec_lo, s55
	s_delay_alu instid0(SALU_CYCLE_1)
	s_and_not1_b32 s1, s51, exec_lo
	s_and_b32 s6, s59, exec_lo
	s_and_not1_b32 s7, s53, exec_lo
	s_or_b32 s51, s1, s6
	s_and_not1_b32 s1, s52, exec_lo
	s_and_b32 s6, s57, exec_lo
	s_and_b32 s12, s58, exec_lo
	s_or_b32 s52, s1, s6
	s_and_not1_b32 s1, s50, exec_lo
	s_and_b32 s6, s56, exec_lo
	s_or_b32 s53, s7, s12
	s_and_b32 s28, s28, exec_lo
	s_and_b32 s30, s30, exec_lo
	;; [unrolled: 1-line block ×3, first 2 shown]
	s_or_b32 s50, s1, s6
.LBB167_1684:
	s_or_b32 exec_lo, exec_lo, s54
	s_delay_alu instid0(SALU_CYCLE_1)
	s_and_not1_b32 s1, s43, exec_lo
	s_and_b32 s6, s51, exec_lo
	s_and_not1_b32 s7, s47, exec_lo
	s_or_b32 s43, s1, s6
	s_and_not1_b32 s1, s46, exec_lo
	s_and_b32 s6, s52, exec_lo
	s_and_b32 s12, s53, exec_lo
	s_or_b32 s46, s1, s6
	s_and_not1_b32 s1, s48, exec_lo
	s_and_b32 s6, s50, exec_lo
	s_or_b32 s47, s7, s12
	s_and_b32 s28, s28, exec_lo
	s_and_b32 s30, s30, exec_lo
	;; [unrolled: 1-line block ×3, first 2 shown]
	s_or_b32 s48, s1, s6
	s_or_b32 exec_lo, exec_lo, s49
	s_mov_b32 s1, 0
	s_and_saveexec_b32 s6, s48
	s_cbranch_execz .LBB167_532
.LBB167_1685:
	s_mov_b32 s1, exec_lo
	s_and_not1_b32 s25, s25, exec_lo
	s_trap 2
	s_or_b32 exec_lo, exec_lo, s6
	s_and_saveexec_b32 s6, s25
	s_delay_alu instid0(SALU_CYCLE_1)
	s_xor_b32 s6, exec_lo, s6
	s_cbranch_execnz .LBB167_533
.LBB167_1686:
	s_or_b32 exec_lo, exec_lo, s6
	s_and_saveexec_b32 s6, s30
	s_cbranch_execz .LBB167_1732
.LBB167_1687:
	s_sext_i32_i16 s7, s0
	s_delay_alu instid0(SALU_CYCLE_1)
	s_cmp_lt_i32 s7, 5
	s_cbranch_scc1 .LBB167_1692
; %bb.1688:
	s_cmp_lt_i32 s7, 8
	s_cbranch_scc1 .LBB167_1693
; %bb.1689:
	;; [unrolled: 3-line block ×3, first 2 shown]
	s_cmp_gt_i32 s7, 9
	s_cbranch_scc0 .LBB167_1695
; %bb.1691:
	s_wait_loadcnt 0x0
	global_load_b64 v[0:1], v[8:9], off
	s_mov_b32 s7, 0
	s_wait_loadcnt 0x0
	v_cvt_f32_f64_e32 v0, v[0:1]
	s_delay_alu instid0(VALU_DEP_1) | instskip(SKIP_1) | instid1(VALU_DEP_2)
	v_bfe_u32 v1, v0, 16, 1
	v_cmp_o_f32_e32 vcc_lo, v0, v0
	v_add3_u32 v1, v0, v1, 0x7fff
	s_delay_alu instid0(VALU_DEP_1) | instskip(NEXT) | instid1(VALU_DEP_1)
	v_lshrrev_b32_e32 v1, 16, v1
	v_cndmask_b32_e32 v10, 0x7fc0, v1, vcc_lo
	s_branch .LBB167_1696
.LBB167_1692:
                                        ; implicit-def: $vgpr10
	s_branch .LBB167_1713
.LBB167_1693:
                                        ; implicit-def: $vgpr10
	s_branch .LBB167_1702
.LBB167_1694:
	s_mov_b32 s7, -1
                                        ; implicit-def: $vgpr10
	s_branch .LBB167_1699
.LBB167_1695:
	s_mov_b32 s7, -1
                                        ; implicit-def: $vgpr10
.LBB167_1696:
	s_delay_alu instid0(SALU_CYCLE_1)
	s_and_not1_b32 vcc_lo, exec_lo, s7
	s_cbranch_vccnz .LBB167_1698
; %bb.1697:
	s_wait_loadcnt 0x0
	global_load_b32 v0, v[8:9], off
	s_wait_loadcnt 0x0
	v_bfe_u32 v1, v0, 16, 1
	v_cmp_o_f32_e32 vcc_lo, v0, v0
	s_delay_alu instid0(VALU_DEP_2) | instskip(NEXT) | instid1(VALU_DEP_1)
	v_add3_u32 v1, v0, v1, 0x7fff
	v_lshrrev_b32_e32 v1, 16, v1
	s_delay_alu instid0(VALU_DEP_1)
	v_cndmask_b32_e32 v10, 0x7fc0, v1, vcc_lo
.LBB167_1698:
	s_mov_b32 s7, 0
.LBB167_1699:
	s_delay_alu instid0(SALU_CYCLE_1)
	s_and_not1_b32 vcc_lo, exec_lo, s7
	s_cbranch_vccnz .LBB167_1701
; %bb.1700:
	s_wait_loadcnt 0x0
	global_load_b32 v0, v[8:9], off
	s_wait_loadcnt 0x0
	v_cvt_f32_f16_e32 v1, v0
	v_cmp_o_f16_e32 vcc_lo, v0, v0
	s_delay_alu instid0(VALU_DEP_2) | instskip(NEXT) | instid1(VALU_DEP_1)
	v_bfe_u32 v3, v1, 16, 1
	v_add3_u32 v1, v1, v3, 0x7fff
	s_delay_alu instid0(VALU_DEP_1) | instskip(NEXT) | instid1(VALU_DEP_1)
	v_lshrrev_b32_e32 v1, 16, v1
	v_cndmask_b32_e32 v10, 0x7fc0, v1, vcc_lo
.LBB167_1701:
	s_cbranch_execnz .LBB167_1712
.LBB167_1702:
	s_sext_i32_i16 s7, s0
	s_delay_alu instid0(SALU_CYCLE_1)
	s_cmp_lt_i32 s7, 6
	s_cbranch_scc1 .LBB167_1705
; %bb.1703:
	s_cmp_gt_i32 s7, 6
	s_cbranch_scc0 .LBB167_1706
; %bb.1704:
	s_wait_loadcnt 0x0
	global_load_b64 v[0:1], v[8:9], off
	s_mov_b32 s7, 0
	s_wait_loadcnt 0x0
	v_cvt_f32_f64_e32 v0, v[0:1]
	s_delay_alu instid0(VALU_DEP_1) | instskip(SKIP_1) | instid1(VALU_DEP_2)
	v_bfe_u32 v1, v0, 16, 1
	v_cmp_o_f32_e32 vcc_lo, v0, v0
	v_add3_u32 v1, v0, v1, 0x7fff
	s_delay_alu instid0(VALU_DEP_1) | instskip(NEXT) | instid1(VALU_DEP_1)
	v_lshrrev_b32_e32 v1, 16, v1
	v_cndmask_b32_e32 v10, 0x7fc0, v1, vcc_lo
	s_branch .LBB167_1707
.LBB167_1705:
	s_mov_b32 s7, -1
                                        ; implicit-def: $vgpr10
	s_branch .LBB167_1710
.LBB167_1706:
	s_mov_b32 s7, -1
                                        ; implicit-def: $vgpr10
.LBB167_1707:
	s_delay_alu instid0(SALU_CYCLE_1)
	s_and_not1_b32 vcc_lo, exec_lo, s7
	s_cbranch_vccnz .LBB167_1709
; %bb.1708:
	s_wait_loadcnt 0x0
	global_load_b32 v0, v[8:9], off
	s_wait_loadcnt 0x0
	v_bfe_u32 v1, v0, 16, 1
	v_cmp_o_f32_e32 vcc_lo, v0, v0
	s_delay_alu instid0(VALU_DEP_2) | instskip(NEXT) | instid1(VALU_DEP_1)
	v_add3_u32 v1, v0, v1, 0x7fff
	v_lshrrev_b32_e32 v1, 16, v1
	s_delay_alu instid0(VALU_DEP_1)
	v_cndmask_b32_e32 v10, 0x7fc0, v1, vcc_lo
.LBB167_1709:
	s_mov_b32 s7, 0
.LBB167_1710:
	s_delay_alu instid0(SALU_CYCLE_1)
	s_and_not1_b32 vcc_lo, exec_lo, s7
	s_cbranch_vccnz .LBB167_1712
; %bb.1711:
	s_wait_loadcnt 0x0
	global_load_u16 v0, v[8:9], off
	s_wait_loadcnt 0x0
	v_cvt_f32_f16_e32 v1, v0
	v_cmp_o_f16_e32 vcc_lo, v0, v0
	s_delay_alu instid0(VALU_DEP_2) | instskip(NEXT) | instid1(VALU_DEP_1)
	v_bfe_u32 v3, v1, 16, 1
	v_add3_u32 v1, v1, v3, 0x7fff
	s_delay_alu instid0(VALU_DEP_1) | instskip(NEXT) | instid1(VALU_DEP_1)
	v_lshrrev_b32_e32 v1, 16, v1
	v_cndmask_b32_e32 v10, 0x7fc0, v1, vcc_lo
.LBB167_1712:
	s_cbranch_execnz .LBB167_1731
.LBB167_1713:
	s_sext_i32_i16 s7, s0
	s_delay_alu instid0(SALU_CYCLE_1)
	s_cmp_lt_i32 s7, 2
	s_cbranch_scc1 .LBB167_1717
; %bb.1714:
	s_cmp_lt_i32 s7, 3
	s_cbranch_scc1 .LBB167_1718
; %bb.1715:
	s_cmp_gt_i32 s7, 3
	s_cbranch_scc0 .LBB167_1719
; %bb.1716:
	s_wait_loadcnt 0x0
	global_load_b64 v[0:1], v[8:9], off
	s_mov_b32 s7, 0
	s_wait_loadcnt 0x0
	v_xor_b32_e32 v3, v0, v1
	v_cls_i32_e32 v5, v1
	s_delay_alu instid0(VALU_DEP_2) | instskip(NEXT) | instid1(VALU_DEP_1)
	v_ashrrev_i32_e32 v3, 31, v3
	v_add_nc_u32_e32 v3, 32, v3
	s_delay_alu instid0(VALU_DEP_1) | instskip(NEXT) | instid1(VALU_DEP_1)
	v_add_min_u32_e64 v3, v5, -1, v3
	v_lshlrev_b64_e32 v[0:1], v3, v[0:1]
	s_delay_alu instid0(VALU_DEP_1) | instskip(NEXT) | instid1(VALU_DEP_1)
	v_min_u32_e32 v0, 1, v0
	v_dual_sub_nc_u32 v1, 32, v3 :: v_dual_bitop2_b32 v0, v1, v0 bitop3:0x54
	s_delay_alu instid0(VALU_DEP_1) | instskip(NEXT) | instid1(VALU_DEP_1)
	v_cvt_f32_i32_e32 v0, v0
	v_ldexp_f32 v0, v0, v1
	s_delay_alu instid0(VALU_DEP_1) | instskip(NEXT) | instid1(VALU_DEP_1)
	v_bfe_u32 v1, v0, 16, 1
	v_add3_u32 v0, v0, v1, 0x7fff
	s_delay_alu instid0(VALU_DEP_1)
	v_lshrrev_b32_e32 v10, 16, v0
	s_branch .LBB167_1720
.LBB167_1717:
                                        ; implicit-def: $vgpr10
	s_branch .LBB167_1726
.LBB167_1718:
	s_mov_b32 s7, -1
                                        ; implicit-def: $vgpr10
	s_branch .LBB167_1723
.LBB167_1719:
	s_mov_b32 s7, -1
                                        ; implicit-def: $vgpr10
.LBB167_1720:
	s_delay_alu instid0(SALU_CYCLE_1)
	s_and_not1_b32 vcc_lo, exec_lo, s7
	s_cbranch_vccnz .LBB167_1722
; %bb.1721:
	s_wait_loadcnt 0x0
	global_load_b32 v0, v[8:9], off
	s_wait_loadcnt 0x0
	v_cvt_f32_i32_e32 v0, v0
	s_delay_alu instid0(VALU_DEP_1) | instskip(NEXT) | instid1(VALU_DEP_1)
	v_bfe_u32 v1, v0, 16, 1
	v_add3_u32 v0, v0, v1, 0x7fff
	s_delay_alu instid0(VALU_DEP_1)
	v_lshrrev_b32_e32 v10, 16, v0
.LBB167_1722:
	s_mov_b32 s7, 0
.LBB167_1723:
	s_delay_alu instid0(SALU_CYCLE_1)
	s_and_not1_b32 vcc_lo, exec_lo, s7
	s_cbranch_vccnz .LBB167_1725
; %bb.1724:
	s_wait_loadcnt 0x0
	global_load_i16 v0, v[8:9], off
	s_wait_loadcnt 0x0
	v_cvt_f32_i32_e32 v0, v0
	s_delay_alu instid0(VALU_DEP_1) | instskip(NEXT) | instid1(VALU_DEP_1)
	v_bfe_u32 v1, v0, 16, 1
	v_add3_u32 v0, v0, v1, 0x7fff
	s_delay_alu instid0(VALU_DEP_1)
	v_lshrrev_b32_e32 v10, 16, v0
.LBB167_1725:
	s_cbranch_execnz .LBB167_1731
.LBB167_1726:
	s_sext_i32_i16 s0, s0
	s_delay_alu instid0(SALU_CYCLE_1)
	s_cmp_gt_i32 s0, 0
	s_mov_b32 s0, 0
	s_cbranch_scc0 .LBB167_1728
; %bb.1727:
	s_wait_loadcnt 0x0
	global_load_i8 v0, v[8:9], off
	s_wait_loadcnt 0x0
	v_cvt_f32_i32_e32 v0, v0
	s_delay_alu instid0(VALU_DEP_1) | instskip(NEXT) | instid1(VALU_DEP_1)
	v_bfe_u32 v1, v0, 16, 1
	v_add3_u32 v0, v0, v1, 0x7fff
	s_delay_alu instid0(VALU_DEP_1)
	v_lshrrev_b32_e32 v10, 16, v0
	s_branch .LBB167_1729
.LBB167_1728:
	s_mov_b32 s0, -1
                                        ; implicit-def: $vgpr10
.LBB167_1729:
	s_delay_alu instid0(SALU_CYCLE_1)
	s_and_not1_b32 vcc_lo, exec_lo, s0
	s_cbranch_vccnz .LBB167_1731
; %bb.1730:
	s_wait_loadcnt 0x0
	global_load_u8 v0, v[8:9], off
	s_wait_loadcnt 0x0
	v_cvt_f32_ubyte0_e32 v0, v0
	s_delay_alu instid0(VALU_DEP_1) | instskip(NEXT) | instid1(VALU_DEP_1)
	v_bfe_u32 v1, v0, 16, 1
	v_add3_u32 v0, v0, v1, 0x7fff
	s_delay_alu instid0(VALU_DEP_1)
	v_lshrrev_b32_e32 v10, 16, v0
.LBB167_1731:
	s_or_b32 s28, s28, exec_lo
.LBB167_1732:
	s_wait_xcnt 0x0
	s_or_b32 exec_lo, exec_lo, s6
	s_mov_b32 s13, 0
	s_mov_b32 s12, 0
	;; [unrolled: 1-line block ×3, first 2 shown]
                                        ; implicit-def: $sgpr0
                                        ; implicit-def: $vgpr0_vgpr1
                                        ; implicit-def: $vgpr7
	s_and_saveexec_b32 s6, s28
	s_cbranch_execz .LBB167_1740
; %bb.1733:
	v_mov_b32_e32 v7, 0
	s_and_b32 s0, s39, 0xff
	s_delay_alu instid0(SALU_CYCLE_1) | instskip(SKIP_1) | instid1(VALU_DEP_1)
	s_cmp_lt_i32 s0, 11
	s_wait_loadcnt 0x0
	v_add_nc_u64_e32 v[0:1], s[8:9], v[6:7]
	s_cbranch_scc1 .LBB167_1743
; %bb.1734:
	s_and_b32 s7, 0xffff, s0
	s_mov_b32 s9, 0
	s_cmp_gt_i32 s7, 25
	s_cbranch_scc0 .LBB167_1744
; %bb.1735:
	s_cmp_gt_i32 s7, 28
	s_cbranch_scc0 .LBB167_1745
; %bb.1736:
	;; [unrolled: 3-line block ×4, first 2 shown]
	s_cmp_eq_u32 s7, 46
	s_cbranch_scc0 .LBB167_1748
; %bb.1739:
	global_load_b32 v7, v[0:1], off
	s_mov_b32 s8, 0
	s_mov_b32 s12, -1
	s_branch .LBB167_1750
.LBB167_1740:
	s_or_b32 exec_lo, exec_lo, s6
	s_and_saveexec_b32 s6, s47
	s_cbranch_execnz .LBB167_1813
.LBB167_1741:
	s_or_b32 exec_lo, exec_lo, s6
	s_and_saveexec_b32 s6, s13
	s_delay_alu instid0(SALU_CYCLE_1)
	s_xor_b32 s6, exec_lo, s6
	s_cbranch_execz .LBB167_1814
.LBB167_1742:
	s_wait_loadcnt 0x0
	global_load_u8 v3, v[0:1], off
	s_or_b32 s7, s7, exec_lo
	s_wait_loadcnt 0x0
	v_cmp_ne_u16_e32 vcc_lo, 0, v3
	v_cndmask_b32_e64 v3, 0, 1.0, vcc_lo
	s_delay_alu instid0(VALU_DEP_1)
	v_lshrrev_b32_e32 v7, 16, v3
	s_wait_xcnt 0x0
	s_or_b32 exec_lo, exec_lo, s6
	s_and_saveexec_b32 s6, s12
	s_cbranch_execz .LBB167_1860
	s_branch .LBB167_1815
.LBB167_1743:
	s_mov_b32 s13, -1
	s_mov_b32 s9, 0
	s_mov_b32 s8, s47
                                        ; implicit-def: $vgpr7
	s_branch .LBB167_1812
.LBB167_1744:
	s_mov_b32 s8, s47
                                        ; implicit-def: $vgpr7
	s_cbranch_execnz .LBB167_1779
	s_branch .LBB167_1811
.LBB167_1745:
	s_mov_b32 s13, -1
	s_mov_b32 s8, s47
                                        ; implicit-def: $vgpr7
	s_branch .LBB167_1760
.LBB167_1746:
	s_mov_b32 s13, -1
	s_mov_b32 s8, s47
                                        ; implicit-def: $vgpr7
	s_branch .LBB167_1755
.LBB167_1747:
	s_mov_b32 s13, -1
	s_mov_b32 s8, s47
	s_branch .LBB167_1749
.LBB167_1748:
	s_mov_b32 s8, -1
.LBB167_1749:
                                        ; implicit-def: $vgpr7
.LBB167_1750:
	s_and_b32 vcc_lo, exec_lo, s13
	s_cbranch_vccz .LBB167_1754
; %bb.1751:
	s_cmp_eq_u32 s7, 44
	s_cbranch_scc0 .LBB167_1753
; %bb.1752:
	global_load_u8 v3, v[0:1], off
	s_mov_b32 s8, 0
	s_mov_b32 s12, -1
	s_wait_loadcnt 0x0
	v_lshlrev_b32_e32 v5, 23, v3
	v_cmp_ne_u32_e32 vcc_lo, 0xff, v3
	s_delay_alu instid0(VALU_DEP_2) | instskip(SKIP_1) | instid1(VALU_DEP_2)
	v_cndmask_b32_e32 v5, 0x7f800001, v5, vcc_lo
	v_cmp_ne_u32_e32 vcc_lo, 0, v3
	v_cndmask_b32_e32 v3, 0x400000, v5, vcc_lo
	s_delay_alu instid0(VALU_DEP_1) | instskip(SKIP_1) | instid1(VALU_DEP_2)
	v_add_nc_u32_e32 v5, 0x7fff, v3
	v_cmp_o_f32_e32 vcc_lo, v3, v3
	v_lshrrev_b32_e32 v5, 16, v5
	s_delay_alu instid0(VALU_DEP_1)
	v_cndmask_b32_e32 v7, 0x7fc0, v5, vcc_lo
	s_branch .LBB167_1754
.LBB167_1753:
	s_mov_b32 s8, -1
                                        ; implicit-def: $vgpr7
.LBB167_1754:
	s_mov_b32 s13, 0
.LBB167_1755:
	s_delay_alu instid0(SALU_CYCLE_1)
	s_and_b32 vcc_lo, exec_lo, s13
	s_cbranch_vccz .LBB167_1759
; %bb.1756:
	s_cmp_eq_u32 s7, 29
	s_cbranch_scc0 .LBB167_1758
; %bb.1757:
	s_wait_loadcnt 0x0
	global_load_b64 v[6:7], v[0:1], off
	s_mov_b32 s8, 0
	s_mov_b32 s12, -1
	s_mov_b32 s13, 0
	s_wait_loadcnt 0x0
	v_clz_i32_u32_e32 v3, v7
	s_delay_alu instid0(VALU_DEP_1) | instskip(NEXT) | instid1(VALU_DEP_1)
	v_min_u32_e32 v3, 32, v3
	v_lshlrev_b64_e32 v[6:7], v3, v[6:7]
	v_sub_nc_u32_e32 v3, 32, v3
	s_delay_alu instid0(VALU_DEP_2) | instskip(NEXT) | instid1(VALU_DEP_1)
	v_min_u32_e32 v5, 1, v6
	v_or_b32_e32 v5, v7, v5
	s_delay_alu instid0(VALU_DEP_1) | instskip(NEXT) | instid1(VALU_DEP_1)
	v_cvt_f32_u32_e32 v5, v5
	v_ldexp_f32 v3, v5, v3
	s_delay_alu instid0(VALU_DEP_1) | instskip(NEXT) | instid1(VALU_DEP_1)
	v_bfe_u32 v5, v3, 16, 1
	v_add3_u32 v3, v3, v5, 0x7fff
	s_delay_alu instid0(VALU_DEP_1)
	v_lshrrev_b32_e32 v7, 16, v3
	s_branch .LBB167_1760
.LBB167_1758:
	s_mov_b32 s8, -1
                                        ; implicit-def: $vgpr7
.LBB167_1759:
	s_mov_b32 s13, 0
.LBB167_1760:
	s_delay_alu instid0(SALU_CYCLE_1)
	s_and_b32 vcc_lo, exec_lo, s13
	s_cbranch_vccz .LBB167_1778
; %bb.1761:
	s_cmp_lt_i32 s7, 27
	s_cbranch_scc1 .LBB167_1764
; %bb.1762:
	s_cmp_gt_i32 s7, 27
	s_cbranch_scc0 .LBB167_1765
; %bb.1763:
	global_load_b32 v3, v[0:1], off
	s_mov_b32 s12, 0
	s_wait_loadcnt 0x0
	v_cvt_f32_u32_e32 v3, v3
	s_delay_alu instid0(VALU_DEP_1) | instskip(NEXT) | instid1(VALU_DEP_1)
	v_bfe_u32 v5, v3, 16, 1
	v_add3_u32 v3, v3, v5, 0x7fff
	s_delay_alu instid0(VALU_DEP_1)
	v_lshrrev_b32_e32 v7, 16, v3
	s_branch .LBB167_1766
.LBB167_1764:
	s_mov_b32 s12, -1
                                        ; implicit-def: $vgpr7
	s_branch .LBB167_1769
.LBB167_1765:
	s_mov_b32 s12, -1
                                        ; implicit-def: $vgpr7
.LBB167_1766:
	s_delay_alu instid0(SALU_CYCLE_1)
	s_and_not1_b32 vcc_lo, exec_lo, s12
	s_cbranch_vccnz .LBB167_1768
; %bb.1767:
	global_load_u16 v3, v[0:1], off
	s_wait_loadcnt 0x0
	v_cvt_f32_u32_e32 v3, v3
	s_delay_alu instid0(VALU_DEP_1) | instskip(NEXT) | instid1(VALU_DEP_1)
	v_bfe_u32 v5, v3, 16, 1
	v_add3_u32 v3, v3, v5, 0x7fff
	s_delay_alu instid0(VALU_DEP_1)
	v_lshrrev_b32_e32 v7, 16, v3
.LBB167_1768:
	s_mov_b32 s12, 0
.LBB167_1769:
	s_delay_alu instid0(SALU_CYCLE_1)
	s_and_not1_b32 vcc_lo, exec_lo, s12
	s_cbranch_vccnz .LBB167_1777
; %bb.1770:
	global_load_u8 v3, v[0:1], off
	s_mov_b32 s12, 0
	s_mov_b32 s13, exec_lo
	s_wait_loadcnt 0x0
	v_cmpx_lt_i16_e32 0x7f, v3
	s_xor_b32 s13, exec_lo, s13
	s_cbranch_execz .LBB167_1790
; %bb.1771:
	s_mov_b32 s12, -1
	s_mov_b32 s14, exec_lo
	v_cmpx_eq_u16_e32 0x80, v3
; %bb.1772:
	s_xor_b32 s12, exec_lo, -1
; %bb.1773:
	s_or_b32 exec_lo, exec_lo, s14
	s_delay_alu instid0(SALU_CYCLE_1)
	s_and_b32 s12, s12, exec_lo
	s_or_saveexec_b32 s13, s13
	v_mov_b32_e32 v5, 0x7f800001
	s_xor_b32 exec_lo, exec_lo, s13
	s_cbranch_execnz .LBB167_1791
.LBB167_1774:
	s_or_b32 exec_lo, exec_lo, s13
	s_and_saveexec_b32 s13, s12
	s_cbranch_execz .LBB167_1776
.LBB167_1775:
	v_and_b32_e32 v5, 0xffff, v3
	s_delay_alu instid0(VALU_DEP_1) | instskip(SKIP_1) | instid1(VALU_DEP_2)
	v_and_b32_e32 v6, 7, v5
	v_bfe_u32 v9, v5, 3, 4
	v_clz_i32_u32_e32 v7, v6
	s_delay_alu instid0(VALU_DEP_2) | instskip(NEXT) | instid1(VALU_DEP_2)
	v_cmp_eq_u32_e32 vcc_lo, 0, v9
	v_min_u32_e32 v7, 32, v7
	s_delay_alu instid0(VALU_DEP_1) | instskip(NEXT) | instid1(VALU_DEP_1)
	v_subrev_nc_u32_e32 v8, 28, v7
	v_dual_lshlrev_b32 v5, v8, v5 :: v_dual_sub_nc_u32 v7, 29, v7
	s_delay_alu instid0(VALU_DEP_1) | instskip(NEXT) | instid1(VALU_DEP_1)
	v_dual_lshlrev_b32 v3, 24, v3 :: v_dual_bitop2_b32 v5, 7, v5 bitop3:0x40
	v_dual_cndmask_b32 v5, v6, v5, vcc_lo :: v_dual_cndmask_b32 v7, v9, v7, vcc_lo
	s_delay_alu instid0(VALU_DEP_2) | instskip(NEXT) | instid1(VALU_DEP_2)
	v_and_b32_e32 v3, 0x80000000, v3
	v_lshlrev_b32_e32 v5, 20, v5
	s_delay_alu instid0(VALU_DEP_3) | instskip(NEXT) | instid1(VALU_DEP_1)
	v_lshl_add_u32 v6, v7, 23, 0x3b800000
	v_or3_b32 v5, v3, v6, v5
.LBB167_1776:
	s_or_b32 exec_lo, exec_lo, s13
	s_delay_alu instid0(VALU_DEP_1) | instskip(SKIP_1) | instid1(VALU_DEP_2)
	v_bfe_u32 v3, v5, 16, 1
	v_cmp_o_f32_e32 vcc_lo, v5, v5
	v_add3_u32 v3, v5, v3, 0x7fff
	s_delay_alu instid0(VALU_DEP_1) | instskip(NEXT) | instid1(VALU_DEP_1)
	v_lshrrev_b32_e32 v3, 16, v3
	v_cndmask_b32_e32 v7, 0x7fc0, v3, vcc_lo
.LBB167_1777:
	s_mov_b32 s12, -1
.LBB167_1778:
	s_branch .LBB167_1811
.LBB167_1779:
	s_cmp_gt_i32 s7, 22
	s_cbranch_scc0 .LBB167_1789
; %bb.1780:
	s_cmp_lt_i32 s7, 24
	s_cbranch_scc1 .LBB167_1792
; %bb.1781:
	s_cmp_gt_i32 s7, 24
	s_cbranch_scc0 .LBB167_1793
; %bb.1782:
	global_load_u8 v3, v[0:1], off
	s_mov_b32 s12, exec_lo
	s_wait_loadcnt 0x0
	v_cmpx_lt_i16_e32 0x7f, v3
	s_xor_b32 s12, exec_lo, s12
	s_cbranch_execz .LBB167_1805
; %bb.1783:
	s_mov_b32 s9, -1
	s_mov_b32 s13, exec_lo
	v_cmpx_eq_u16_e32 0x80, v3
; %bb.1784:
	s_xor_b32 s9, exec_lo, -1
; %bb.1785:
	s_or_b32 exec_lo, exec_lo, s13
	s_delay_alu instid0(SALU_CYCLE_1)
	s_and_b32 s9, s9, exec_lo
	s_or_saveexec_b32 s12, s12
	v_mov_b32_e32 v5, 0x7f800001
	s_xor_b32 exec_lo, exec_lo, s12
	s_cbranch_execnz .LBB167_1806
.LBB167_1786:
	s_or_b32 exec_lo, exec_lo, s12
	s_and_saveexec_b32 s12, s9
	s_cbranch_execz .LBB167_1788
.LBB167_1787:
	v_and_b32_e32 v5, 0xffff, v3
	s_delay_alu instid0(VALU_DEP_1) | instskip(SKIP_1) | instid1(VALU_DEP_2)
	v_and_b32_e32 v6, 3, v5
	v_bfe_u32 v9, v5, 2, 5
	v_clz_i32_u32_e32 v7, v6
	s_delay_alu instid0(VALU_DEP_2) | instskip(NEXT) | instid1(VALU_DEP_2)
	v_cmp_eq_u32_e32 vcc_lo, 0, v9
	v_min_u32_e32 v7, 32, v7
	s_delay_alu instid0(VALU_DEP_1) | instskip(NEXT) | instid1(VALU_DEP_1)
	v_subrev_nc_u32_e32 v8, 29, v7
	v_dual_lshlrev_b32 v5, v8, v5 :: v_dual_sub_nc_u32 v7, 30, v7
	s_delay_alu instid0(VALU_DEP_1) | instskip(NEXT) | instid1(VALU_DEP_1)
	v_dual_lshlrev_b32 v3, 24, v3 :: v_dual_bitop2_b32 v5, 3, v5 bitop3:0x40
	v_dual_cndmask_b32 v5, v6, v5, vcc_lo :: v_dual_cndmask_b32 v7, v9, v7, vcc_lo
	s_delay_alu instid0(VALU_DEP_2) | instskip(NEXT) | instid1(VALU_DEP_2)
	v_and_b32_e32 v3, 0x80000000, v3
	v_lshlrev_b32_e32 v5, 21, v5
	s_delay_alu instid0(VALU_DEP_3) | instskip(NEXT) | instid1(VALU_DEP_1)
	v_lshl_add_u32 v6, v7, 23, 0x37800000
	v_or3_b32 v5, v3, v6, v5
.LBB167_1788:
	s_or_b32 exec_lo, exec_lo, s12
	s_delay_alu instid0(VALU_DEP_1) | instskip(SKIP_2) | instid1(VALU_DEP_2)
	v_bfe_u32 v3, v5, 16, 1
	v_cmp_o_f32_e32 vcc_lo, v5, v5
	s_mov_b32 s9, 0
	v_add3_u32 v3, v5, v3, 0x7fff
	s_delay_alu instid0(VALU_DEP_1) | instskip(NEXT) | instid1(VALU_DEP_1)
	v_lshrrev_b32_e32 v3, 16, v3
	v_cndmask_b32_e32 v7, 0x7fc0, v3, vcc_lo
	s_branch .LBB167_1794
.LBB167_1789:
	s_mov_b32 s9, -1
                                        ; implicit-def: $vgpr7
	s_branch .LBB167_1800
.LBB167_1790:
	s_or_saveexec_b32 s13, s13
	v_mov_b32_e32 v5, 0x7f800001
	s_xor_b32 exec_lo, exec_lo, s13
	s_cbranch_execz .LBB167_1774
.LBB167_1791:
	v_cmp_ne_u16_e32 vcc_lo, 0, v3
	v_mov_b32_e32 v5, 0
	s_and_not1_b32 s12, s12, exec_lo
	s_and_b32 s14, vcc_lo, exec_lo
	s_delay_alu instid0(SALU_CYCLE_1)
	s_or_b32 s12, s12, s14
	s_or_b32 exec_lo, exec_lo, s13
	s_and_saveexec_b32 s13, s12
	s_cbranch_execnz .LBB167_1775
	s_branch .LBB167_1776
.LBB167_1792:
	s_mov_b32 s9, -1
                                        ; implicit-def: $vgpr7
	s_branch .LBB167_1797
.LBB167_1793:
	s_mov_b32 s9, -1
                                        ; implicit-def: $vgpr7
.LBB167_1794:
	s_delay_alu instid0(SALU_CYCLE_1)
	s_and_b32 vcc_lo, exec_lo, s9
	s_cbranch_vccz .LBB167_1796
; %bb.1795:
	global_load_u8 v3, v[0:1], off
	s_wait_loadcnt 0x0
	v_lshlrev_b32_e32 v3, 24, v3
	s_delay_alu instid0(VALU_DEP_1) | instskip(NEXT) | instid1(VALU_DEP_1)
	v_and_b32_e32 v5, 0x7f000000, v3
	v_clz_i32_u32_e32 v6, v5
	v_cmp_ne_u32_e32 vcc_lo, 0, v5
	v_add_nc_u32_e32 v8, 0x1000000, v5
	s_delay_alu instid0(VALU_DEP_3) | instskip(NEXT) | instid1(VALU_DEP_1)
	v_min_u32_e32 v6, 32, v6
	v_sub_nc_u32_e64 v6, v6, 4 clamp
	s_delay_alu instid0(VALU_DEP_1) | instskip(NEXT) | instid1(VALU_DEP_1)
	v_dual_lshlrev_b32 v7, v6, v5 :: v_dual_lshlrev_b32 v6, 23, v6
	v_lshrrev_b32_e32 v7, 4, v7
	s_delay_alu instid0(VALU_DEP_1) | instskip(NEXT) | instid1(VALU_DEP_1)
	v_dual_sub_nc_u32 v6, v7, v6 :: v_dual_ashrrev_i32 v7, 8, v8
	v_add_nc_u32_e32 v6, 0x3c000000, v6
	s_delay_alu instid0(VALU_DEP_1) | instskip(NEXT) | instid1(VALU_DEP_1)
	v_and_or_b32 v6, 0x7f800000, v7, v6
	v_cndmask_b32_e32 v5, 0, v6, vcc_lo
	s_delay_alu instid0(VALU_DEP_1) | instskip(SKIP_1) | instid1(VALU_DEP_2)
	v_and_or_b32 v3, 0x80000000, v3, v5
	v_bfe_u32 v5, v5, 16, 1
	v_cmp_o_f32_e32 vcc_lo, v3, v3
	s_delay_alu instid0(VALU_DEP_2) | instskip(NEXT) | instid1(VALU_DEP_1)
	v_add3_u32 v5, v3, v5, 0x7fff
	v_lshrrev_b32_e32 v5, 16, v5
	s_delay_alu instid0(VALU_DEP_1)
	v_cndmask_b32_e32 v7, 0x7fc0, v5, vcc_lo
.LBB167_1796:
	s_mov_b32 s9, 0
.LBB167_1797:
	s_delay_alu instid0(SALU_CYCLE_1)
	s_and_not1_b32 vcc_lo, exec_lo, s9
	s_cbranch_vccnz .LBB167_1799
; %bb.1798:
	global_load_u8 v3, v[0:1], off
	s_wait_loadcnt 0x0
	v_lshlrev_b32_e32 v5, 25, v3
	v_lshlrev_b16 v3, 8, v3
	s_delay_alu instid0(VALU_DEP_1) | instskip(NEXT) | instid1(VALU_DEP_3)
	v_and_or_b32 v7, 0x7f00, v3, 0.5
	v_lshrrev_b32_e32 v6, 4, v5
	v_bfe_i32 v3, v3, 0, 16
	s_delay_alu instid0(VALU_DEP_3) | instskip(NEXT) | instid1(VALU_DEP_3)
	v_add_f32_e32 v7, -0.5, v7
	v_or_b32_e32 v6, 0x70000000, v6
	s_delay_alu instid0(VALU_DEP_1) | instskip(SKIP_1) | instid1(VALU_DEP_2)
	v_mul_f32_e32 v6, 0x7800000, v6
	v_cmp_gt_u32_e32 vcc_lo, 0x8000000, v5
	v_cndmask_b32_e32 v5, v6, v7, vcc_lo
	s_delay_alu instid0(VALU_DEP_1) | instskip(SKIP_1) | instid1(VALU_DEP_2)
	v_and_or_b32 v3, 0x80000000, v3, v5
	v_bfe_u32 v5, v5, 16, 1
	v_cmp_o_f32_e32 vcc_lo, v3, v3
	s_delay_alu instid0(VALU_DEP_2) | instskip(NEXT) | instid1(VALU_DEP_1)
	v_add3_u32 v5, v3, v5, 0x7fff
	v_lshrrev_b32_e32 v5, 16, v5
	s_delay_alu instid0(VALU_DEP_1)
	v_cndmask_b32_e32 v7, 0x7fc0, v5, vcc_lo
.LBB167_1799:
	s_mov_b32 s9, 0
	s_mov_b32 s12, -1
.LBB167_1800:
	s_and_not1_b32 vcc_lo, exec_lo, s9
	s_mov_b32 s9, 0
	s_cbranch_vccnz .LBB167_1811
; %bb.1801:
	s_cmp_gt_i32 s7, 14
	s_cbranch_scc0 .LBB167_1804
; %bb.1802:
	s_cmp_eq_u32 s7, 15
	s_cbranch_scc0 .LBB167_1807
; %bb.1803:
	s_wait_loadcnt 0x0
	global_load_u16 v7, v[0:1], off
	s_mov_b32 s8, 0
	s_mov_b32 s12, -1
	s_branch .LBB167_1809
.LBB167_1804:
	s_mov_b32 s9, -1
	s_branch .LBB167_1808
.LBB167_1805:
	s_or_saveexec_b32 s12, s12
	v_mov_b32_e32 v5, 0x7f800001
	s_xor_b32 exec_lo, exec_lo, s12
	s_cbranch_execz .LBB167_1786
.LBB167_1806:
	v_cmp_ne_u16_e32 vcc_lo, 0, v3
	v_mov_b32_e32 v5, 0
	s_and_not1_b32 s9, s9, exec_lo
	s_and_b32 s13, vcc_lo, exec_lo
	s_delay_alu instid0(SALU_CYCLE_1)
	s_or_b32 s9, s9, s13
	s_or_b32 exec_lo, exec_lo, s12
	s_and_saveexec_b32 s12, s9
	s_cbranch_execnz .LBB167_1787
	s_branch .LBB167_1788
.LBB167_1807:
	s_mov_b32 s8, -1
.LBB167_1808:
                                        ; implicit-def: $vgpr7
.LBB167_1809:
	s_and_b32 vcc_lo, exec_lo, s9
	s_mov_b32 s9, 0
	s_cbranch_vccz .LBB167_1811
; %bb.1810:
	s_cmp_lg_u32 s7, 11
	s_mov_b32 s9, -1
	s_cselect_b32 s7, -1, 0
	s_and_not1_b32 s8, s8, exec_lo
	s_and_b32 s7, s7, exec_lo
	s_delay_alu instid0(SALU_CYCLE_1)
	s_or_b32 s8, s8, s7
.LBB167_1811:
	s_mov_b32 s13, 0
.LBB167_1812:
	s_and_not1_b32 s14, s47, exec_lo
	s_and_b32 s8, s8, exec_lo
	s_and_b32 s7, s12, exec_lo
	;; [unrolled: 1-line block ×4, first 2 shown]
	s_or_b32 s47, s14, s8
	s_wait_xcnt 0x0
	s_or_b32 exec_lo, exec_lo, s6
	s_and_saveexec_b32 s6, s47
	s_cbranch_execz .LBB167_1741
.LBB167_1813:
	s_or_b32 s1, s1, exec_lo
	s_and_not1_b32 s13, s13, exec_lo
	s_trap 2
	s_or_b32 exec_lo, exec_lo, s6
	s_and_saveexec_b32 s6, s13
	s_delay_alu instid0(SALU_CYCLE_1)
	s_xor_b32 s6, exec_lo, s6
	s_cbranch_execnz .LBB167_1742
.LBB167_1814:
	s_or_b32 exec_lo, exec_lo, s6
	s_and_saveexec_b32 s6, s12
	s_cbranch_execz .LBB167_1860
.LBB167_1815:
	s_sext_i32_i16 s8, s0
	s_delay_alu instid0(SALU_CYCLE_1)
	s_cmp_lt_i32 s8, 5
	s_cbranch_scc1 .LBB167_1820
; %bb.1816:
	s_cmp_lt_i32 s8, 8
	s_cbranch_scc1 .LBB167_1821
; %bb.1817:
	;; [unrolled: 3-line block ×3, first 2 shown]
	s_cmp_gt_i32 s8, 9
	s_cbranch_scc0 .LBB167_1823
; %bb.1819:
	s_wait_loadcnt 0x0
	global_load_b64 v[6:7], v[0:1], off
	s_mov_b32 s8, 0
	s_wait_loadcnt 0x0
	v_cvt_f32_f64_e32 v3, v[6:7]
	s_delay_alu instid0(VALU_DEP_1) | instskip(SKIP_1) | instid1(VALU_DEP_2)
	v_bfe_u32 v5, v3, 16, 1
	v_cmp_o_f32_e32 vcc_lo, v3, v3
	v_add3_u32 v5, v3, v5, 0x7fff
	s_delay_alu instid0(VALU_DEP_1) | instskip(NEXT) | instid1(VALU_DEP_1)
	v_lshrrev_b32_e32 v5, 16, v5
	v_cndmask_b32_e32 v7, 0x7fc0, v5, vcc_lo
	s_branch .LBB167_1824
.LBB167_1820:
                                        ; implicit-def: $vgpr7
	s_branch .LBB167_1841
.LBB167_1821:
                                        ; implicit-def: $vgpr7
	s_branch .LBB167_1830
.LBB167_1822:
	s_mov_b32 s8, -1
                                        ; implicit-def: $vgpr7
	s_branch .LBB167_1827
.LBB167_1823:
	s_mov_b32 s8, -1
                                        ; implicit-def: $vgpr7
.LBB167_1824:
	s_delay_alu instid0(SALU_CYCLE_1)
	s_and_not1_b32 vcc_lo, exec_lo, s8
	s_cbranch_vccnz .LBB167_1826
; %bb.1825:
	s_wait_loadcnt 0x0
	global_load_b32 v3, v[0:1], off
	s_wait_loadcnt 0x0
	v_bfe_u32 v5, v3, 16, 1
	v_cmp_o_f32_e32 vcc_lo, v3, v3
	s_delay_alu instid0(VALU_DEP_2) | instskip(NEXT) | instid1(VALU_DEP_1)
	v_add3_u32 v5, v3, v5, 0x7fff
	v_lshrrev_b32_e32 v5, 16, v5
	s_delay_alu instid0(VALU_DEP_1)
	v_cndmask_b32_e32 v7, 0x7fc0, v5, vcc_lo
.LBB167_1826:
	s_mov_b32 s8, 0
.LBB167_1827:
	s_delay_alu instid0(SALU_CYCLE_1)
	s_and_not1_b32 vcc_lo, exec_lo, s8
	s_cbranch_vccnz .LBB167_1829
; %bb.1828:
	s_wait_loadcnt 0x0
	global_load_b32 v3, v[0:1], off
	s_wait_loadcnt 0x0
	v_cvt_f32_f16_e32 v5, v3
	v_cmp_o_f16_e32 vcc_lo, v3, v3
	s_delay_alu instid0(VALU_DEP_2) | instskip(NEXT) | instid1(VALU_DEP_1)
	v_bfe_u32 v6, v5, 16, 1
	v_add3_u32 v5, v5, v6, 0x7fff
	s_delay_alu instid0(VALU_DEP_1) | instskip(NEXT) | instid1(VALU_DEP_1)
	v_lshrrev_b32_e32 v5, 16, v5
	v_cndmask_b32_e32 v7, 0x7fc0, v5, vcc_lo
.LBB167_1829:
	s_cbranch_execnz .LBB167_1840
.LBB167_1830:
	s_sext_i32_i16 s8, s0
	s_delay_alu instid0(SALU_CYCLE_1)
	s_cmp_lt_i32 s8, 6
	s_cbranch_scc1 .LBB167_1833
; %bb.1831:
	s_cmp_gt_i32 s8, 6
	s_cbranch_scc0 .LBB167_1834
; %bb.1832:
	s_wait_loadcnt 0x0
	global_load_b64 v[6:7], v[0:1], off
	s_mov_b32 s8, 0
	s_wait_loadcnt 0x0
	v_cvt_f32_f64_e32 v3, v[6:7]
	s_delay_alu instid0(VALU_DEP_1) | instskip(SKIP_1) | instid1(VALU_DEP_2)
	v_bfe_u32 v5, v3, 16, 1
	v_cmp_o_f32_e32 vcc_lo, v3, v3
	v_add3_u32 v5, v3, v5, 0x7fff
	s_delay_alu instid0(VALU_DEP_1) | instskip(NEXT) | instid1(VALU_DEP_1)
	v_lshrrev_b32_e32 v5, 16, v5
	v_cndmask_b32_e32 v7, 0x7fc0, v5, vcc_lo
	s_branch .LBB167_1835
.LBB167_1833:
	s_mov_b32 s8, -1
                                        ; implicit-def: $vgpr7
	s_branch .LBB167_1838
.LBB167_1834:
	s_mov_b32 s8, -1
                                        ; implicit-def: $vgpr7
.LBB167_1835:
	s_delay_alu instid0(SALU_CYCLE_1)
	s_and_not1_b32 vcc_lo, exec_lo, s8
	s_cbranch_vccnz .LBB167_1837
; %bb.1836:
	s_wait_loadcnt 0x0
	global_load_b32 v3, v[0:1], off
	s_wait_loadcnt 0x0
	v_bfe_u32 v5, v3, 16, 1
	v_cmp_o_f32_e32 vcc_lo, v3, v3
	s_delay_alu instid0(VALU_DEP_2) | instskip(NEXT) | instid1(VALU_DEP_1)
	v_add3_u32 v5, v3, v5, 0x7fff
	v_lshrrev_b32_e32 v5, 16, v5
	s_delay_alu instid0(VALU_DEP_1)
	v_cndmask_b32_e32 v7, 0x7fc0, v5, vcc_lo
.LBB167_1837:
	s_mov_b32 s8, 0
.LBB167_1838:
	s_delay_alu instid0(SALU_CYCLE_1)
	s_and_not1_b32 vcc_lo, exec_lo, s8
	s_cbranch_vccnz .LBB167_1840
; %bb.1839:
	s_wait_loadcnt 0x0
	global_load_u16 v3, v[0:1], off
	s_wait_loadcnt 0x0
	v_cvt_f32_f16_e32 v5, v3
	v_cmp_o_f16_e32 vcc_lo, v3, v3
	s_delay_alu instid0(VALU_DEP_2) | instskip(NEXT) | instid1(VALU_DEP_1)
	v_bfe_u32 v6, v5, 16, 1
	v_add3_u32 v5, v5, v6, 0x7fff
	s_delay_alu instid0(VALU_DEP_1) | instskip(NEXT) | instid1(VALU_DEP_1)
	v_lshrrev_b32_e32 v5, 16, v5
	v_cndmask_b32_e32 v7, 0x7fc0, v5, vcc_lo
.LBB167_1840:
	s_cbranch_execnz .LBB167_1859
.LBB167_1841:
	s_sext_i32_i16 s8, s0
	s_delay_alu instid0(SALU_CYCLE_1)
	s_cmp_lt_i32 s8, 2
	s_cbranch_scc1 .LBB167_1845
; %bb.1842:
	s_cmp_lt_i32 s8, 3
	s_cbranch_scc1 .LBB167_1846
; %bb.1843:
	s_cmp_gt_i32 s8, 3
	s_cbranch_scc0 .LBB167_1847
; %bb.1844:
	s_wait_loadcnt 0x0
	global_load_b64 v[6:7], v[0:1], off
	s_mov_b32 s8, 0
	s_wait_loadcnt 0x0
	v_xor_b32_e32 v3, v6, v7
	v_cls_i32_e32 v5, v7
	s_delay_alu instid0(VALU_DEP_2) | instskip(NEXT) | instid1(VALU_DEP_1)
	v_ashrrev_i32_e32 v3, 31, v3
	v_add_nc_u32_e32 v3, 32, v3
	s_delay_alu instid0(VALU_DEP_1) | instskip(NEXT) | instid1(VALU_DEP_1)
	v_add_min_u32_e64 v3, v5, -1, v3
	v_lshlrev_b64_e32 v[6:7], v3, v[6:7]
	v_sub_nc_u32_e32 v3, 32, v3
	s_delay_alu instid0(VALU_DEP_2) | instskip(NEXT) | instid1(VALU_DEP_1)
	v_min_u32_e32 v5, 1, v6
	v_or_b32_e32 v5, v7, v5
	s_delay_alu instid0(VALU_DEP_1) | instskip(NEXT) | instid1(VALU_DEP_1)
	v_cvt_f32_i32_e32 v5, v5
	v_ldexp_f32 v3, v5, v3
	s_delay_alu instid0(VALU_DEP_1) | instskip(NEXT) | instid1(VALU_DEP_1)
	v_bfe_u32 v5, v3, 16, 1
	v_add3_u32 v3, v3, v5, 0x7fff
	s_delay_alu instid0(VALU_DEP_1)
	v_lshrrev_b32_e32 v7, 16, v3
	s_branch .LBB167_1848
.LBB167_1845:
                                        ; implicit-def: $vgpr7
	s_branch .LBB167_1854
.LBB167_1846:
	s_mov_b32 s8, -1
                                        ; implicit-def: $vgpr7
	s_branch .LBB167_1851
.LBB167_1847:
	s_mov_b32 s8, -1
                                        ; implicit-def: $vgpr7
.LBB167_1848:
	s_delay_alu instid0(SALU_CYCLE_1)
	s_and_not1_b32 vcc_lo, exec_lo, s8
	s_cbranch_vccnz .LBB167_1850
; %bb.1849:
	s_wait_loadcnt 0x0
	global_load_b32 v3, v[0:1], off
	s_wait_loadcnt 0x0
	v_cvt_f32_i32_e32 v3, v3
	s_delay_alu instid0(VALU_DEP_1) | instskip(NEXT) | instid1(VALU_DEP_1)
	v_bfe_u32 v5, v3, 16, 1
	v_add3_u32 v3, v3, v5, 0x7fff
	s_delay_alu instid0(VALU_DEP_1)
	v_lshrrev_b32_e32 v7, 16, v3
.LBB167_1850:
	s_mov_b32 s8, 0
.LBB167_1851:
	s_delay_alu instid0(SALU_CYCLE_1)
	s_and_not1_b32 vcc_lo, exec_lo, s8
	s_cbranch_vccnz .LBB167_1853
; %bb.1852:
	s_wait_loadcnt 0x0
	global_load_i16 v3, v[0:1], off
	s_wait_loadcnt 0x0
	v_cvt_f32_i32_e32 v3, v3
	s_delay_alu instid0(VALU_DEP_1) | instskip(NEXT) | instid1(VALU_DEP_1)
	v_bfe_u32 v5, v3, 16, 1
	v_add3_u32 v3, v3, v5, 0x7fff
	s_delay_alu instid0(VALU_DEP_1)
	v_lshrrev_b32_e32 v7, 16, v3
.LBB167_1853:
	s_cbranch_execnz .LBB167_1859
.LBB167_1854:
	s_sext_i32_i16 s0, s0
	s_delay_alu instid0(SALU_CYCLE_1)
	s_cmp_gt_i32 s0, 0
	s_mov_b32 s0, 0
	s_cbranch_scc0 .LBB167_1856
; %bb.1855:
	s_wait_loadcnt 0x0
	global_load_i8 v3, v[0:1], off
	s_wait_loadcnt 0x0
	v_cvt_f32_i32_e32 v3, v3
	s_delay_alu instid0(VALU_DEP_1) | instskip(NEXT) | instid1(VALU_DEP_1)
	v_bfe_u32 v5, v3, 16, 1
	v_add3_u32 v3, v3, v5, 0x7fff
	s_delay_alu instid0(VALU_DEP_1)
	v_lshrrev_b32_e32 v7, 16, v3
	s_branch .LBB167_1857
.LBB167_1856:
	s_mov_b32 s0, -1
                                        ; implicit-def: $vgpr7
.LBB167_1857:
	s_delay_alu instid0(SALU_CYCLE_1)
	s_and_not1_b32 vcc_lo, exec_lo, s0
	s_cbranch_vccnz .LBB167_1859
; %bb.1858:
	s_wait_loadcnt 0x0
	global_load_u8 v0, v[0:1], off
	s_wait_loadcnt 0x0
	v_cvt_f32_ubyte0_e32 v0, v0
	s_delay_alu instid0(VALU_DEP_1) | instskip(NEXT) | instid1(VALU_DEP_1)
	v_bfe_u32 v1, v0, 16, 1
	v_add3_u32 v0, v0, v1, 0x7fff
	s_delay_alu instid0(VALU_DEP_1)
	v_lshrrev_b32_e32 v7, 16, v0
.LBB167_1859:
	s_or_b32 s7, s7, exec_lo
.LBB167_1860:
	s_wait_xcnt 0x0
	s_or_b32 exec_lo, exec_lo, s6
	s_mov_b32 s9, 0
	s_mov_b32 s6, 0
	;; [unrolled: 1-line block ×3, first 2 shown]
                                        ; implicit-def: $vgpr0_vgpr1
                                        ; implicit-def: $vgpr5
	s_and_saveexec_b32 s0, s7
	s_cbranch_execz .LBB167_1868
; %bb.1861:
	v_mov_b32_e32 v5, 0
	s_and_b32 s6, 0xffff, s21
	s_delay_alu instid0(SALU_CYCLE_1) | instskip(SKIP_1) | instid1(VALU_DEP_1)
	s_cmp_lt_i32 s6, 11
	s_wait_loadcnt 0x0
	v_add_nc_u64_e32 v[0:1], s[10:11], v[4:5]
	s_cbranch_scc1 .LBB167_1871
; %bb.1862:
	s_cmp_gt_i32 s6, 25
	s_cbranch_scc0 .LBB167_1872
; %bb.1863:
	s_cmp_gt_i32 s6, 28
	s_cbranch_scc0 .LBB167_1873
	;; [unrolled: 3-line block ×4, first 2 shown]
; %bb.1866:
	s_cmp_eq_u32 s6, 46
	s_mov_b32 s10, 0
	s_cbranch_scc0 .LBB167_1876
; %bb.1867:
	global_load_b32 v5, v[0:1], off
	s_mov_b32 s7, 0
	s_mov_b32 s8, -1
	s_branch .LBB167_1878
.LBB167_1868:
	s_or_b32 exec_lo, exec_lo, s0
	s_and_saveexec_b32 s0, s46
	s_cbranch_execnz .LBB167_1941
.LBB167_1869:
	s_or_b32 exec_lo, exec_lo, s0
	s_and_saveexec_b32 s0, s9
	s_delay_alu instid0(SALU_CYCLE_1)
	s_xor_b32 s0, exec_lo, s0
	s_cbranch_execz .LBB167_1942
.LBB167_1870:
	s_wait_loadcnt 0x0
	global_load_u8 v3, v[0:1], off
	s_or_b32 s8, s8, exec_lo
	s_wait_loadcnt 0x0
	v_cmp_ne_u16_e32 vcc_lo, 0, v3
	v_cndmask_b32_e64 v3, 0, 1.0, vcc_lo
	s_delay_alu instid0(VALU_DEP_1)
	v_lshrrev_b32_e32 v5, 16, v3
	s_wait_xcnt 0x0
	s_or_b32 exec_lo, exec_lo, s0
	s_and_saveexec_b32 s0, s6
	s_cbranch_execz .LBB167_1988
	s_branch .LBB167_1943
.LBB167_1871:
	s_mov_b32 s6, -1
	s_mov_b32 s7, s46
                                        ; implicit-def: $vgpr5
	s_branch .LBB167_1940
.LBB167_1872:
	s_mov_b32 s7, s46
                                        ; implicit-def: $vgpr5
	s_cbranch_execnz .LBB167_1907
	s_branch .LBB167_1939
.LBB167_1873:
	s_mov_b32 s10, -1
	s_mov_b32 s7, s46
                                        ; implicit-def: $vgpr5
	s_branch .LBB167_1888
.LBB167_1874:
	s_mov_b32 s10, -1
	s_mov_b32 s7, s46
                                        ; implicit-def: $vgpr5
	s_branch .LBB167_1883
.LBB167_1875:
	s_mov_b32 s10, -1
	s_mov_b32 s7, s46
	s_branch .LBB167_1877
.LBB167_1876:
	s_mov_b32 s7, -1
.LBB167_1877:
                                        ; implicit-def: $vgpr5
.LBB167_1878:
	s_and_b32 vcc_lo, exec_lo, s10
	s_cbranch_vccz .LBB167_1882
; %bb.1879:
	s_cmp_eq_u32 s6, 44
	s_cbranch_scc0 .LBB167_1881
; %bb.1880:
	global_load_u8 v3, v[0:1], off
	s_mov_b32 s7, 0
	s_mov_b32 s8, -1
	s_wait_loadcnt 0x0
	v_lshlrev_b32_e32 v4, 23, v3
	v_cmp_ne_u32_e32 vcc_lo, 0xff, v3
	s_delay_alu instid0(VALU_DEP_2) | instskip(SKIP_1) | instid1(VALU_DEP_2)
	v_cndmask_b32_e32 v4, 0x7f800001, v4, vcc_lo
	v_cmp_ne_u32_e32 vcc_lo, 0, v3
	v_cndmask_b32_e32 v3, 0x400000, v4, vcc_lo
	s_delay_alu instid0(VALU_DEP_1) | instskip(NEXT) | instid1(VALU_DEP_1)
	v_add_nc_u32_e32 v4, 0x7fff, v3
	v_lshrrev_b32_e32 v4, 16, v4
	v_cmp_o_f32_e32 vcc_lo, v3, v3
	s_delay_alu instid0(VALU_DEP_2)
	v_cndmask_b32_e32 v5, 0x7fc0, v4, vcc_lo
	s_branch .LBB167_1882
.LBB167_1881:
	s_mov_b32 s7, -1
                                        ; implicit-def: $vgpr5
.LBB167_1882:
	s_mov_b32 s10, 0
.LBB167_1883:
	s_delay_alu instid0(SALU_CYCLE_1)
	s_and_b32 vcc_lo, exec_lo, s10
	s_cbranch_vccz .LBB167_1887
; %bb.1884:
	s_cmp_eq_u32 s6, 29
	s_cbranch_scc0 .LBB167_1886
; %bb.1885:
	s_wait_loadcnt 0x0
	global_load_b64 v[4:5], v[0:1], off
	s_mov_b32 s7, 0
	s_mov_b32 s8, -1
	s_mov_b32 s10, 0
	s_wait_loadcnt 0x0
	v_clz_i32_u32_e32 v3, v5
	s_delay_alu instid0(VALU_DEP_1) | instskip(NEXT) | instid1(VALU_DEP_1)
	v_min_u32_e32 v3, 32, v3
	v_lshlrev_b64_e32 v[4:5], v3, v[4:5]
	v_sub_nc_u32_e32 v3, 32, v3
	s_delay_alu instid0(VALU_DEP_2) | instskip(NEXT) | instid1(VALU_DEP_1)
	v_min_u32_e32 v4, 1, v4
	v_or_b32_e32 v4, v5, v4
	s_delay_alu instid0(VALU_DEP_1) | instskip(NEXT) | instid1(VALU_DEP_1)
	v_cvt_f32_u32_e32 v4, v4
	v_ldexp_f32 v3, v4, v3
	s_delay_alu instid0(VALU_DEP_1) | instskip(NEXT) | instid1(VALU_DEP_1)
	v_bfe_u32 v4, v3, 16, 1
	v_add3_u32 v3, v3, v4, 0x7fff
	s_delay_alu instid0(VALU_DEP_1)
	v_lshrrev_b32_e32 v5, 16, v3
	s_branch .LBB167_1888
.LBB167_1886:
	s_mov_b32 s7, -1
                                        ; implicit-def: $vgpr5
.LBB167_1887:
	s_mov_b32 s10, 0
.LBB167_1888:
	s_delay_alu instid0(SALU_CYCLE_1)
	s_and_b32 vcc_lo, exec_lo, s10
	s_cbranch_vccz .LBB167_1906
; %bb.1889:
	s_cmp_lt_i32 s6, 27
	s_cbranch_scc1 .LBB167_1892
; %bb.1890:
	s_cmp_gt_i32 s6, 27
	s_cbranch_scc0 .LBB167_1893
; %bb.1891:
	global_load_b32 v3, v[0:1], off
	s_mov_b32 s8, 0
	s_wait_loadcnt 0x0
	v_cvt_f32_u32_e32 v3, v3
	s_delay_alu instid0(VALU_DEP_1) | instskip(NEXT) | instid1(VALU_DEP_1)
	v_bfe_u32 v4, v3, 16, 1
	v_add3_u32 v3, v3, v4, 0x7fff
	s_delay_alu instid0(VALU_DEP_1)
	v_lshrrev_b32_e32 v5, 16, v3
	s_branch .LBB167_1894
.LBB167_1892:
	s_mov_b32 s8, -1
                                        ; implicit-def: $vgpr5
	s_branch .LBB167_1897
.LBB167_1893:
	s_mov_b32 s8, -1
                                        ; implicit-def: $vgpr5
.LBB167_1894:
	s_delay_alu instid0(SALU_CYCLE_1)
	s_and_not1_b32 vcc_lo, exec_lo, s8
	s_cbranch_vccnz .LBB167_1896
; %bb.1895:
	global_load_u16 v3, v[0:1], off
	s_wait_loadcnt 0x0
	v_cvt_f32_u32_e32 v3, v3
	s_delay_alu instid0(VALU_DEP_1) | instskip(NEXT) | instid1(VALU_DEP_1)
	v_bfe_u32 v4, v3, 16, 1
	v_add3_u32 v3, v3, v4, 0x7fff
	s_delay_alu instid0(VALU_DEP_1)
	v_lshrrev_b32_e32 v5, 16, v3
.LBB167_1896:
	s_mov_b32 s8, 0
.LBB167_1897:
	s_delay_alu instid0(SALU_CYCLE_1)
	s_and_not1_b32 vcc_lo, exec_lo, s8
	s_cbranch_vccnz .LBB167_1905
; %bb.1898:
	global_load_u8 v3, v[0:1], off
	s_mov_b32 s8, 0
	s_mov_b32 s10, exec_lo
	s_wait_loadcnt 0x0
	v_cmpx_lt_i16_e32 0x7f, v3
	s_xor_b32 s10, exec_lo, s10
	s_cbranch_execz .LBB167_1918
; %bb.1899:
	s_mov_b32 s8, -1
	s_mov_b32 s11, exec_lo
	v_cmpx_eq_u16_e32 0x80, v3
; %bb.1900:
	s_xor_b32 s8, exec_lo, -1
; %bb.1901:
	s_or_b32 exec_lo, exec_lo, s11
	s_delay_alu instid0(SALU_CYCLE_1)
	s_and_b32 s8, s8, exec_lo
	s_or_saveexec_b32 s10, s10
	v_mov_b32_e32 v4, 0x7f800001
	s_xor_b32 exec_lo, exec_lo, s10
	s_cbranch_execnz .LBB167_1919
.LBB167_1902:
	s_or_b32 exec_lo, exec_lo, s10
	s_and_saveexec_b32 s10, s8
	s_cbranch_execz .LBB167_1904
.LBB167_1903:
	v_and_b32_e32 v4, 0xffff, v3
	s_delay_alu instid0(VALU_DEP_1) | instskip(SKIP_1) | instid1(VALU_DEP_2)
	v_and_b32_e32 v5, 7, v4
	v_bfe_u32 v9, v4, 3, 4
	v_clz_i32_u32_e32 v6, v5
	s_delay_alu instid0(VALU_DEP_2) | instskip(NEXT) | instid1(VALU_DEP_2)
	v_cmp_eq_u32_e32 vcc_lo, 0, v9
	v_min_u32_e32 v6, 32, v6
	s_delay_alu instid0(VALU_DEP_1) | instskip(NEXT) | instid1(VALU_DEP_1)
	v_subrev_nc_u32_e32 v8, 28, v6
	v_dual_lshlrev_b32 v4, v8, v4 :: v_dual_sub_nc_u32 v6, 29, v6
	s_delay_alu instid0(VALU_DEP_1) | instskip(NEXT) | instid1(VALU_DEP_2)
	v_dual_lshlrev_b32 v3, 24, v3 :: v_dual_bitop2_b32 v4, 7, v4 bitop3:0x40
	v_cndmask_b32_e32 v6, v9, v6, vcc_lo
	s_delay_alu instid0(VALU_DEP_2) | instskip(NEXT) | instid1(VALU_DEP_3)
	v_cndmask_b32_e32 v4, v5, v4, vcc_lo
	v_and_b32_e32 v3, 0x80000000, v3
	s_delay_alu instid0(VALU_DEP_3) | instskip(NEXT) | instid1(VALU_DEP_3)
	v_lshl_add_u32 v5, v6, 23, 0x3b800000
	v_lshlrev_b32_e32 v4, 20, v4
	s_delay_alu instid0(VALU_DEP_1)
	v_or3_b32 v4, v3, v5, v4
.LBB167_1904:
	s_or_b32 exec_lo, exec_lo, s10
	s_delay_alu instid0(VALU_DEP_1) | instskip(SKIP_1) | instid1(VALU_DEP_2)
	v_bfe_u32 v3, v4, 16, 1
	v_cmp_o_f32_e32 vcc_lo, v4, v4
	v_add3_u32 v3, v4, v3, 0x7fff
	s_delay_alu instid0(VALU_DEP_1) | instskip(NEXT) | instid1(VALU_DEP_1)
	v_lshrrev_b32_e32 v3, 16, v3
	v_cndmask_b32_e32 v5, 0x7fc0, v3, vcc_lo
.LBB167_1905:
	s_mov_b32 s8, -1
.LBB167_1906:
	s_branch .LBB167_1939
.LBB167_1907:
	s_cmp_gt_i32 s6, 22
	s_cbranch_scc0 .LBB167_1917
; %bb.1908:
	s_cmp_lt_i32 s6, 24
	s_cbranch_scc1 .LBB167_1920
; %bb.1909:
	s_cmp_gt_i32 s6, 24
	s_cbranch_scc0 .LBB167_1921
; %bb.1910:
	global_load_u8 v3, v[0:1], off
	s_mov_b32 s8, 0
	s_mov_b32 s9, exec_lo
	s_wait_loadcnt 0x0
	v_cmpx_lt_i16_e32 0x7f, v3
	s_xor_b32 s9, exec_lo, s9
	s_cbranch_execz .LBB167_1933
; %bb.1911:
	s_mov_b32 s8, -1
	s_mov_b32 s10, exec_lo
	v_cmpx_eq_u16_e32 0x80, v3
; %bb.1912:
	s_xor_b32 s8, exec_lo, -1
; %bb.1913:
	s_or_b32 exec_lo, exec_lo, s10
	s_delay_alu instid0(SALU_CYCLE_1)
	s_and_b32 s8, s8, exec_lo
	s_or_saveexec_b32 s9, s9
	v_mov_b32_e32 v4, 0x7f800001
	s_xor_b32 exec_lo, exec_lo, s9
	s_cbranch_execnz .LBB167_1934
.LBB167_1914:
	s_or_b32 exec_lo, exec_lo, s9
	s_and_saveexec_b32 s9, s8
	s_cbranch_execz .LBB167_1916
.LBB167_1915:
	v_and_b32_e32 v4, 0xffff, v3
	s_delay_alu instid0(VALU_DEP_1) | instskip(SKIP_1) | instid1(VALU_DEP_2)
	v_and_b32_e32 v5, 3, v4
	v_bfe_u32 v9, v4, 2, 5
	v_clz_i32_u32_e32 v6, v5
	s_delay_alu instid0(VALU_DEP_2) | instskip(NEXT) | instid1(VALU_DEP_2)
	v_cmp_eq_u32_e32 vcc_lo, 0, v9
	v_min_u32_e32 v6, 32, v6
	s_delay_alu instid0(VALU_DEP_1) | instskip(NEXT) | instid1(VALU_DEP_1)
	v_subrev_nc_u32_e32 v8, 29, v6
	v_dual_lshlrev_b32 v4, v8, v4 :: v_dual_sub_nc_u32 v6, 30, v6
	s_delay_alu instid0(VALU_DEP_1) | instskip(NEXT) | instid1(VALU_DEP_2)
	v_dual_lshlrev_b32 v3, 24, v3 :: v_dual_bitop2_b32 v4, 3, v4 bitop3:0x40
	v_cndmask_b32_e32 v6, v9, v6, vcc_lo
	s_delay_alu instid0(VALU_DEP_2) | instskip(NEXT) | instid1(VALU_DEP_3)
	v_cndmask_b32_e32 v4, v5, v4, vcc_lo
	v_and_b32_e32 v3, 0x80000000, v3
	s_delay_alu instid0(VALU_DEP_3) | instskip(NEXT) | instid1(VALU_DEP_3)
	v_lshl_add_u32 v5, v6, 23, 0x37800000
	v_lshlrev_b32_e32 v4, 21, v4
	s_delay_alu instid0(VALU_DEP_1)
	v_or3_b32 v4, v3, v5, v4
.LBB167_1916:
	s_or_b32 exec_lo, exec_lo, s9
	s_delay_alu instid0(VALU_DEP_1) | instskip(SKIP_2) | instid1(VALU_DEP_2)
	v_bfe_u32 v3, v4, 16, 1
	v_cmp_o_f32_e32 vcc_lo, v4, v4
	s_mov_b32 s8, 0
	v_add3_u32 v3, v4, v3, 0x7fff
	s_delay_alu instid0(VALU_DEP_1) | instskip(NEXT) | instid1(VALU_DEP_1)
	v_lshrrev_b32_e32 v3, 16, v3
	v_cndmask_b32_e32 v5, 0x7fc0, v3, vcc_lo
	s_branch .LBB167_1922
.LBB167_1917:
	s_mov_b32 s9, -1
                                        ; implicit-def: $vgpr5
	s_branch .LBB167_1928
.LBB167_1918:
	s_or_saveexec_b32 s10, s10
	v_mov_b32_e32 v4, 0x7f800001
	s_xor_b32 exec_lo, exec_lo, s10
	s_cbranch_execz .LBB167_1902
.LBB167_1919:
	v_cmp_ne_u16_e32 vcc_lo, 0, v3
	v_mov_b32_e32 v4, 0
	s_and_not1_b32 s8, s8, exec_lo
	s_and_b32 s11, vcc_lo, exec_lo
	s_delay_alu instid0(SALU_CYCLE_1)
	s_or_b32 s8, s8, s11
	s_or_b32 exec_lo, exec_lo, s10
	s_and_saveexec_b32 s10, s8
	s_cbranch_execnz .LBB167_1903
	s_branch .LBB167_1904
.LBB167_1920:
	s_mov_b32 s8, -1
                                        ; implicit-def: $vgpr5
	s_branch .LBB167_1925
.LBB167_1921:
	s_mov_b32 s8, -1
                                        ; implicit-def: $vgpr5
.LBB167_1922:
	s_delay_alu instid0(SALU_CYCLE_1)
	s_and_b32 vcc_lo, exec_lo, s8
	s_cbranch_vccz .LBB167_1924
; %bb.1923:
	global_load_u8 v3, v[0:1], off
	s_wait_loadcnt 0x0
	v_lshlrev_b32_e32 v3, 24, v3
	s_delay_alu instid0(VALU_DEP_1) | instskip(NEXT) | instid1(VALU_DEP_1)
	v_and_b32_e32 v4, 0x7f000000, v3
	v_clz_i32_u32_e32 v5, v4
	v_add_nc_u32_e32 v8, 0x1000000, v4
	v_cmp_ne_u32_e32 vcc_lo, 0, v4
	s_delay_alu instid0(VALU_DEP_3) | instskip(NEXT) | instid1(VALU_DEP_1)
	v_min_u32_e32 v5, 32, v5
	v_sub_nc_u32_e64 v5, v5, 4 clamp
	s_delay_alu instid0(VALU_DEP_1) | instskip(NEXT) | instid1(VALU_DEP_1)
	v_dual_lshlrev_b32 v6, v5, v4 :: v_dual_lshlrev_b32 v5, 23, v5
	v_lshrrev_b32_e32 v6, 4, v6
	s_delay_alu instid0(VALU_DEP_1) | instskip(NEXT) | instid1(VALU_DEP_1)
	v_dual_sub_nc_u32 v5, v6, v5 :: v_dual_ashrrev_i32 v6, 8, v8
	v_add_nc_u32_e32 v5, 0x3c000000, v5
	s_delay_alu instid0(VALU_DEP_1) | instskip(NEXT) | instid1(VALU_DEP_1)
	v_and_or_b32 v5, 0x7f800000, v6, v5
	v_cndmask_b32_e32 v4, 0, v5, vcc_lo
	s_delay_alu instid0(VALU_DEP_1) | instskip(SKIP_1) | instid1(VALU_DEP_2)
	v_and_or_b32 v3, 0x80000000, v3, v4
	v_bfe_u32 v4, v4, 16, 1
	v_cmp_o_f32_e32 vcc_lo, v3, v3
	s_delay_alu instid0(VALU_DEP_2) | instskip(NEXT) | instid1(VALU_DEP_1)
	v_add3_u32 v4, v3, v4, 0x7fff
	v_lshrrev_b32_e32 v4, 16, v4
	s_delay_alu instid0(VALU_DEP_1)
	v_cndmask_b32_e32 v5, 0x7fc0, v4, vcc_lo
.LBB167_1924:
	s_mov_b32 s8, 0
.LBB167_1925:
	s_delay_alu instid0(SALU_CYCLE_1)
	s_and_not1_b32 vcc_lo, exec_lo, s8
	s_cbranch_vccnz .LBB167_1927
; %bb.1926:
	global_load_u8 v3, v[0:1], off
	s_wait_loadcnt 0x0
	v_lshlrev_b32_e32 v4, 25, v3
	v_lshlrev_b16 v3, 8, v3
	s_delay_alu instid0(VALU_DEP_1) | instskip(SKIP_1) | instid1(VALU_DEP_2)
	v_and_or_b32 v6, 0x7f00, v3, 0.5
	v_bfe_i32 v3, v3, 0, 16
	v_dual_add_f32 v6, -0.5, v6 :: v_dual_lshrrev_b32 v5, 4, v4
	v_cmp_gt_u32_e32 vcc_lo, 0x8000000, v4
	s_delay_alu instid0(VALU_DEP_2) | instskip(NEXT) | instid1(VALU_DEP_1)
	v_or_b32_e32 v5, 0x70000000, v5
	v_mul_f32_e32 v5, 0x7800000, v5
	s_delay_alu instid0(VALU_DEP_1) | instskip(NEXT) | instid1(VALU_DEP_1)
	v_cndmask_b32_e32 v4, v5, v6, vcc_lo
	v_and_or_b32 v3, 0x80000000, v3, v4
	v_bfe_u32 v4, v4, 16, 1
	s_delay_alu instid0(VALU_DEP_2) | instskip(NEXT) | instid1(VALU_DEP_2)
	v_cmp_o_f32_e32 vcc_lo, v3, v3
	v_add3_u32 v4, v3, v4, 0x7fff
	s_delay_alu instid0(VALU_DEP_1) | instskip(NEXT) | instid1(VALU_DEP_1)
	v_lshrrev_b32_e32 v4, 16, v4
	v_cndmask_b32_e32 v5, 0x7fc0, v4, vcc_lo
.LBB167_1927:
	s_mov_b32 s9, 0
	s_mov_b32 s8, -1
.LBB167_1928:
	s_and_not1_b32 vcc_lo, exec_lo, s9
	s_mov_b32 s9, 0
	s_cbranch_vccnz .LBB167_1939
; %bb.1929:
	s_cmp_gt_i32 s6, 14
	s_cbranch_scc0 .LBB167_1932
; %bb.1930:
	s_cmp_eq_u32 s6, 15
	s_cbranch_scc0 .LBB167_1935
; %bb.1931:
	s_wait_loadcnt 0x0
	global_load_u16 v5, v[0:1], off
	s_mov_b32 s7, 0
	s_mov_b32 s8, -1
	s_branch .LBB167_1937
.LBB167_1932:
	s_mov_b32 s9, -1
	s_branch .LBB167_1936
.LBB167_1933:
	s_or_saveexec_b32 s9, s9
	v_mov_b32_e32 v4, 0x7f800001
	s_xor_b32 exec_lo, exec_lo, s9
	s_cbranch_execz .LBB167_1914
.LBB167_1934:
	v_cmp_ne_u16_e32 vcc_lo, 0, v3
	v_mov_b32_e32 v4, 0
	s_and_not1_b32 s8, s8, exec_lo
	s_and_b32 s10, vcc_lo, exec_lo
	s_delay_alu instid0(SALU_CYCLE_1)
	s_or_b32 s8, s8, s10
	s_or_b32 exec_lo, exec_lo, s9
	s_and_saveexec_b32 s9, s8
	s_cbranch_execnz .LBB167_1915
	s_branch .LBB167_1916
.LBB167_1935:
	s_mov_b32 s7, -1
.LBB167_1936:
                                        ; implicit-def: $vgpr5
.LBB167_1937:
	s_and_b32 vcc_lo, exec_lo, s9
	s_mov_b32 s9, 0
	s_cbranch_vccz .LBB167_1939
; %bb.1938:
	s_cmp_lg_u32 s6, 11
	s_mov_b32 s9, -1
	s_cselect_b32 s6, -1, 0
	s_and_not1_b32 s7, s7, exec_lo
	s_and_b32 s6, s6, exec_lo
	s_delay_alu instid0(SALU_CYCLE_1)
	s_or_b32 s7, s7, s6
.LBB167_1939:
	s_mov_b32 s6, 0
.LBB167_1940:
	s_and_not1_b32 s10, s46, exec_lo
	s_and_b32 s7, s7, exec_lo
	s_and_b32 s8, s8, exec_lo
	;; [unrolled: 1-line block ×4, first 2 shown]
	s_or_b32 s46, s10, s7
	s_wait_xcnt 0x0
	s_or_b32 exec_lo, exec_lo, s0
	s_and_saveexec_b32 s0, s46
	s_cbranch_execz .LBB167_1869
.LBB167_1941:
	s_or_b32 s1, s1, exec_lo
	s_and_not1_b32 s9, s9, exec_lo
	s_trap 2
	s_or_b32 exec_lo, exec_lo, s0
	s_and_saveexec_b32 s0, s9
	s_delay_alu instid0(SALU_CYCLE_1)
	s_xor_b32 s0, exec_lo, s0
	s_cbranch_execnz .LBB167_1870
.LBB167_1942:
	s_or_b32 exec_lo, exec_lo, s0
	s_and_saveexec_b32 s0, s6
	s_cbranch_execz .LBB167_1988
.LBB167_1943:
	s_sext_i32_i16 s6, s21
	s_delay_alu instid0(SALU_CYCLE_1)
	s_cmp_lt_i32 s6, 5
	s_cbranch_scc1 .LBB167_1948
; %bb.1944:
	s_cmp_lt_i32 s6, 8
	s_cbranch_scc1 .LBB167_1949
; %bb.1945:
	;; [unrolled: 3-line block ×3, first 2 shown]
	s_cmp_gt_i32 s6, 9
	s_cbranch_scc0 .LBB167_1951
; %bb.1947:
	s_wait_loadcnt 0x0
	global_load_b64 v[4:5], v[0:1], off
	s_mov_b32 s6, 0
	s_wait_loadcnt 0x0
	v_cvt_f32_f64_e32 v3, v[4:5]
	s_delay_alu instid0(VALU_DEP_1) | instskip(SKIP_1) | instid1(VALU_DEP_2)
	v_bfe_u32 v4, v3, 16, 1
	v_cmp_o_f32_e32 vcc_lo, v3, v3
	v_add3_u32 v4, v3, v4, 0x7fff
	s_delay_alu instid0(VALU_DEP_1) | instskip(NEXT) | instid1(VALU_DEP_1)
	v_lshrrev_b32_e32 v4, 16, v4
	v_cndmask_b32_e32 v5, 0x7fc0, v4, vcc_lo
	s_branch .LBB167_1952
.LBB167_1948:
                                        ; implicit-def: $vgpr5
	s_branch .LBB167_1969
.LBB167_1949:
                                        ; implicit-def: $vgpr5
	s_branch .LBB167_1958
.LBB167_1950:
	s_mov_b32 s6, -1
                                        ; implicit-def: $vgpr5
	s_branch .LBB167_1955
.LBB167_1951:
	s_mov_b32 s6, -1
                                        ; implicit-def: $vgpr5
.LBB167_1952:
	s_delay_alu instid0(SALU_CYCLE_1)
	s_and_not1_b32 vcc_lo, exec_lo, s6
	s_cbranch_vccnz .LBB167_1954
; %bb.1953:
	s_wait_loadcnt 0x0
	global_load_b32 v3, v[0:1], off
	s_wait_loadcnt 0x0
	v_bfe_u32 v4, v3, 16, 1
	v_cmp_o_f32_e32 vcc_lo, v3, v3
	s_delay_alu instid0(VALU_DEP_2) | instskip(NEXT) | instid1(VALU_DEP_1)
	v_add3_u32 v4, v3, v4, 0x7fff
	v_lshrrev_b32_e32 v4, 16, v4
	s_delay_alu instid0(VALU_DEP_1)
	v_cndmask_b32_e32 v5, 0x7fc0, v4, vcc_lo
.LBB167_1954:
	s_mov_b32 s6, 0
.LBB167_1955:
	s_delay_alu instid0(SALU_CYCLE_1)
	s_and_not1_b32 vcc_lo, exec_lo, s6
	s_cbranch_vccnz .LBB167_1957
; %bb.1956:
	s_wait_loadcnt 0x0
	global_load_b32 v3, v[0:1], off
	s_wait_loadcnt 0x0
	v_cvt_f32_f16_e32 v4, v3
	v_cmp_o_f16_e32 vcc_lo, v3, v3
	s_delay_alu instid0(VALU_DEP_2) | instskip(NEXT) | instid1(VALU_DEP_1)
	v_bfe_u32 v5, v4, 16, 1
	v_add3_u32 v4, v4, v5, 0x7fff
	s_delay_alu instid0(VALU_DEP_1) | instskip(NEXT) | instid1(VALU_DEP_1)
	v_lshrrev_b32_e32 v4, 16, v4
	v_cndmask_b32_e32 v5, 0x7fc0, v4, vcc_lo
.LBB167_1957:
	s_cbranch_execnz .LBB167_1968
.LBB167_1958:
	s_sext_i32_i16 s6, s21
	s_delay_alu instid0(SALU_CYCLE_1)
	s_cmp_lt_i32 s6, 6
	s_cbranch_scc1 .LBB167_1961
; %bb.1959:
	s_cmp_gt_i32 s6, 6
	s_cbranch_scc0 .LBB167_1962
; %bb.1960:
	s_wait_loadcnt 0x0
	global_load_b64 v[4:5], v[0:1], off
	s_mov_b32 s6, 0
	s_wait_loadcnt 0x0
	v_cvt_f32_f64_e32 v3, v[4:5]
	s_delay_alu instid0(VALU_DEP_1) | instskip(SKIP_1) | instid1(VALU_DEP_2)
	v_bfe_u32 v4, v3, 16, 1
	v_cmp_o_f32_e32 vcc_lo, v3, v3
	v_add3_u32 v4, v3, v4, 0x7fff
	s_delay_alu instid0(VALU_DEP_1) | instskip(NEXT) | instid1(VALU_DEP_1)
	v_lshrrev_b32_e32 v4, 16, v4
	v_cndmask_b32_e32 v5, 0x7fc0, v4, vcc_lo
	s_branch .LBB167_1963
.LBB167_1961:
	s_mov_b32 s6, -1
                                        ; implicit-def: $vgpr5
	s_branch .LBB167_1966
.LBB167_1962:
	s_mov_b32 s6, -1
                                        ; implicit-def: $vgpr5
.LBB167_1963:
	s_delay_alu instid0(SALU_CYCLE_1)
	s_and_not1_b32 vcc_lo, exec_lo, s6
	s_cbranch_vccnz .LBB167_1965
; %bb.1964:
	s_wait_loadcnt 0x0
	global_load_b32 v3, v[0:1], off
	s_wait_loadcnt 0x0
	v_bfe_u32 v4, v3, 16, 1
	v_cmp_o_f32_e32 vcc_lo, v3, v3
	s_delay_alu instid0(VALU_DEP_2) | instskip(NEXT) | instid1(VALU_DEP_1)
	v_add3_u32 v4, v3, v4, 0x7fff
	v_lshrrev_b32_e32 v4, 16, v4
	s_delay_alu instid0(VALU_DEP_1)
	v_cndmask_b32_e32 v5, 0x7fc0, v4, vcc_lo
.LBB167_1965:
	s_mov_b32 s6, 0
.LBB167_1966:
	s_delay_alu instid0(SALU_CYCLE_1)
	s_and_not1_b32 vcc_lo, exec_lo, s6
	s_cbranch_vccnz .LBB167_1968
; %bb.1967:
	s_wait_loadcnt 0x0
	global_load_u16 v3, v[0:1], off
	s_wait_loadcnt 0x0
	v_cvt_f32_f16_e32 v4, v3
	v_cmp_o_f16_e32 vcc_lo, v3, v3
	s_delay_alu instid0(VALU_DEP_2) | instskip(NEXT) | instid1(VALU_DEP_1)
	v_bfe_u32 v5, v4, 16, 1
	v_add3_u32 v4, v4, v5, 0x7fff
	s_delay_alu instid0(VALU_DEP_1) | instskip(NEXT) | instid1(VALU_DEP_1)
	v_lshrrev_b32_e32 v4, 16, v4
	v_cndmask_b32_e32 v5, 0x7fc0, v4, vcc_lo
.LBB167_1968:
	s_cbranch_execnz .LBB167_1987
.LBB167_1969:
	s_sext_i32_i16 s6, s21
	s_delay_alu instid0(SALU_CYCLE_1)
	s_cmp_lt_i32 s6, 2
	s_cbranch_scc1 .LBB167_1973
; %bb.1970:
	s_cmp_lt_i32 s6, 3
	s_cbranch_scc1 .LBB167_1974
; %bb.1971:
	s_cmp_gt_i32 s6, 3
	s_cbranch_scc0 .LBB167_1975
; %bb.1972:
	s_wait_loadcnt 0x0
	global_load_b64 v[4:5], v[0:1], off
	s_mov_b32 s6, 0
	s_wait_loadcnt 0x0
	v_xor_b32_e32 v3, v4, v5
	v_cls_i32_e32 v6, v5
	s_delay_alu instid0(VALU_DEP_2) | instskip(NEXT) | instid1(VALU_DEP_1)
	v_ashrrev_i32_e32 v3, 31, v3
	v_add_nc_u32_e32 v3, 32, v3
	s_delay_alu instid0(VALU_DEP_1) | instskip(NEXT) | instid1(VALU_DEP_1)
	v_add_min_u32_e64 v3, v6, -1, v3
	v_lshlrev_b64_e32 v[4:5], v3, v[4:5]
	v_sub_nc_u32_e32 v3, 32, v3
	s_delay_alu instid0(VALU_DEP_2) | instskip(NEXT) | instid1(VALU_DEP_1)
	v_min_u32_e32 v4, 1, v4
	v_or_b32_e32 v4, v5, v4
	s_delay_alu instid0(VALU_DEP_1) | instskip(NEXT) | instid1(VALU_DEP_1)
	v_cvt_f32_i32_e32 v4, v4
	v_ldexp_f32 v3, v4, v3
	s_delay_alu instid0(VALU_DEP_1) | instskip(NEXT) | instid1(VALU_DEP_1)
	v_bfe_u32 v4, v3, 16, 1
	v_add3_u32 v3, v3, v4, 0x7fff
	s_delay_alu instid0(VALU_DEP_1)
	v_lshrrev_b32_e32 v5, 16, v3
	s_branch .LBB167_1976
.LBB167_1973:
                                        ; implicit-def: $vgpr5
	s_branch .LBB167_1982
.LBB167_1974:
	s_mov_b32 s6, -1
                                        ; implicit-def: $vgpr5
	s_branch .LBB167_1979
.LBB167_1975:
	s_mov_b32 s6, -1
                                        ; implicit-def: $vgpr5
.LBB167_1976:
	s_delay_alu instid0(SALU_CYCLE_1)
	s_and_not1_b32 vcc_lo, exec_lo, s6
	s_cbranch_vccnz .LBB167_1978
; %bb.1977:
	s_wait_loadcnt 0x0
	global_load_b32 v3, v[0:1], off
	s_wait_loadcnt 0x0
	v_cvt_f32_i32_e32 v3, v3
	s_delay_alu instid0(VALU_DEP_1) | instskip(NEXT) | instid1(VALU_DEP_1)
	v_bfe_u32 v4, v3, 16, 1
	v_add3_u32 v3, v3, v4, 0x7fff
	s_delay_alu instid0(VALU_DEP_1)
	v_lshrrev_b32_e32 v5, 16, v3
.LBB167_1978:
	s_mov_b32 s6, 0
.LBB167_1979:
	s_delay_alu instid0(SALU_CYCLE_1)
	s_and_not1_b32 vcc_lo, exec_lo, s6
	s_cbranch_vccnz .LBB167_1981
; %bb.1980:
	s_wait_loadcnt 0x0
	global_load_i16 v3, v[0:1], off
	s_wait_loadcnt 0x0
	v_cvt_f32_i32_e32 v3, v3
	s_delay_alu instid0(VALU_DEP_1) | instskip(NEXT) | instid1(VALU_DEP_1)
	v_bfe_u32 v4, v3, 16, 1
	v_add3_u32 v3, v3, v4, 0x7fff
	s_delay_alu instid0(VALU_DEP_1)
	v_lshrrev_b32_e32 v5, 16, v3
.LBB167_1981:
	s_cbranch_execnz .LBB167_1987
.LBB167_1982:
	s_sext_i32_i16 s6, s21
	s_delay_alu instid0(SALU_CYCLE_1)
	s_cmp_gt_i32 s6, 0
	s_mov_b32 s6, 0
	s_cbranch_scc0 .LBB167_1984
; %bb.1983:
	s_wait_loadcnt 0x0
	global_load_i8 v3, v[0:1], off
	s_wait_loadcnt 0x0
	v_cvt_f32_i32_e32 v3, v3
	s_delay_alu instid0(VALU_DEP_1) | instskip(NEXT) | instid1(VALU_DEP_1)
	v_bfe_u32 v4, v3, 16, 1
	v_add3_u32 v3, v3, v4, 0x7fff
	s_delay_alu instid0(VALU_DEP_1)
	v_lshrrev_b32_e32 v5, 16, v3
	s_branch .LBB167_1985
.LBB167_1984:
	s_mov_b32 s6, -1
                                        ; implicit-def: $vgpr5
.LBB167_1985:
	s_delay_alu instid0(SALU_CYCLE_1)
	s_and_not1_b32 vcc_lo, exec_lo, s6
	s_cbranch_vccnz .LBB167_1987
; %bb.1986:
	s_wait_loadcnt 0x0
	global_load_u8 v0, v[0:1], off
	s_wait_loadcnt 0x0
	v_cvt_f32_ubyte0_e32 v0, v0
	s_delay_alu instid0(VALU_DEP_1) | instskip(NEXT) | instid1(VALU_DEP_1)
	v_bfe_u32 v1, v0, 16, 1
	v_add3_u32 v0, v0, v1, 0x7fff
	s_delay_alu instid0(VALU_DEP_1)
	v_lshrrev_b32_e32 v5, 16, v0
.LBB167_1987:
	s_or_b32 s8, s8, exec_lo
.LBB167_1988:
	s_wait_xcnt 0x0
	s_or_b32 exec_lo, exec_lo, s0
	s_mov_b32 s0, 0
	s_mov_b32 s9, 0
                                        ; implicit-def: $sgpr6
                                        ; implicit-def: $vgpr0_vgpr1
                                        ; implicit-def: $vgpr3
	s_and_saveexec_b32 s7, s8
	s_cbranch_execz .LBB167_1996
; %bb.1989:
	s_wait_loadcnt 0x0
	v_dual_lshlrev_b32 v0, 16, v7 :: v_dual_lshlrev_b32 v4, 16, v10
	s_and_b32 s6, s38, 0xff
	v_lshlrev_b32_e32 v3, 16, v5
	s_cmp_lt_i32 s6, 11
	s_delay_alu instid0(VALU_DEP_2) | instskip(SKIP_1) | instid1(VALU_DEP_1)
	v_cmp_gt_f32_e32 vcc_lo, v4, v0
	v_cndmask_b32_e32 v1, v7, v10, vcc_lo
	v_lshlrev_b32_e32 v6, 16, v1
	s_delay_alu instid0(VALU_DEP_1) | instskip(SKIP_2) | instid1(VALU_DEP_2)
	v_cmp_lt_f32_e32 vcc_lo, v6, v3
	v_cndmask_b32_e32 v1, v5, v1, vcc_lo
	v_cmp_u_f32_e32 vcc_lo, v3, v3
	v_dual_mov_b32 v3, 0 :: v_dual_cndmask_b32 v1, v1, v5, vcc_lo
	v_cmp_u_f32_e32 vcc_lo, v0, v0
	s_delay_alu instid0(VALU_DEP_2) | instskip(SKIP_1) | instid1(VALU_DEP_4)
	v_cndmask_b32_e32 v5, v1, v7, vcc_lo
	v_cmp_u_f32_e32 vcc_lo, v4, v4
	v_add_nc_u64_e32 v[0:1], s[4:5], v[2:3]
	s_delay_alu instid0(VALU_DEP_3)
	v_cndmask_b32_e32 v3, v5, v10, vcc_lo
	s_cbranch_scc1 .LBB167_1999
; %bb.1990:
	s_and_b32 s4, 0xffff, s6
	s_mov_b32 s5, -1
	s_cmp_gt_i32 s4, 25
	s_mov_b32 s0, s43
	s_cbranch_scc0 .LBB167_2027
; %bb.1991:
	s_cmp_gt_i32 s4, 28
	s_mov_b32 s0, s43
	s_cbranch_scc0 .LBB167_2011
; %bb.1992:
	;; [unrolled: 4-line block ×4, first 2 shown]
	s_cmp_eq_u32 s4, 46
	s_mov_b32 s0, -1
	s_cbranch_scc0 .LBB167_2000
; %bb.1995:
	v_and_b32_e32 v2, 0xffff, v3
	s_mov_b32 s0, 0
	s_mov_b32 s5, 0
	global_store_b32 v[0:1], v2, off
	s_branch .LBB167_2001
.LBB167_1996:
	s_or_b32 exec_lo, exec_lo, s7
	s_and_saveexec_b32 s4, s43
	s_cbranch_execnz .LBB167_2069
.LBB167_1997:
	s_or_b32 exec_lo, exec_lo, s4
	s_and_saveexec_b32 s4, s0
	s_delay_alu instid0(SALU_CYCLE_1)
	s_xor_b32 s0, exec_lo, s4
	s_cbranch_execz .LBB167_2070
.LBB167_1998:
	s_wait_loadcnt 0x0
	v_and_b32_e32 v2, 0x7fff, v3
	s_delay_alu instid0(VALU_DEP_1)
	v_cmp_ne_u16_e32 vcc_lo, 0, v2
	v_cndmask_b32_e64 v2, 0, 1, vcc_lo
	global_store_b8 v[0:1], v2, off
	s_wait_xcnt 0x0
	s_or_b32 exec_lo, exec_lo, s0
	s_and_saveexec_b32 s0, s9
	s_delay_alu instid0(SALU_CYCLE_1)
	s_xor_b32 s0, exec_lo, s0
	s_cbranch_execz .LBB167_2108
	s_branch .LBB167_2071
.LBB167_1999:
	s_mov_b32 s8, 0
	s_mov_b32 s5, -1
	s_mov_b32 s0, s43
	s_branch .LBB167_2068
.LBB167_2000:
	s_mov_b32 s5, 0
.LBB167_2001:
	s_delay_alu instid0(SALU_CYCLE_1)
	s_and_b32 vcc_lo, exec_lo, s5
	s_cbranch_vccz .LBB167_2006
; %bb.2002:
	s_cmp_eq_u32 s4, 44
	s_mov_b32 s0, -1
	s_cbranch_scc0 .LBB167_2006
; %bb.2003:
	s_wait_xcnt 0x0
	v_and_b32_e32 v2, 0xffff, v3
	v_mov_b32_e32 v4, 0xff
	s_mov_b32 s5, exec_lo
	s_delay_alu instid0(VALU_DEP_2) | instskip(NEXT) | instid1(VALU_DEP_1)
	v_bfe_u32 v5, v2, 7, 8
	v_cmpx_ne_u32_e32 0xff, v5
	s_cbranch_execz .LBB167_2005
; %bb.2004:
	v_dual_lshlrev_b32 v4, 16, v2 :: v_dual_bitop2_b32 v6, 64, v2 bitop3:0x40
	v_lshrrev_b32_e32 v2, 7, v2
	s_delay_alu instid0(VALU_DEP_2) | instskip(NEXT) | instid1(VALU_DEP_3)
	v_and_or_b32 v4, 0x3f0000, v4, v5
	v_cmp_ne_u32_e32 vcc_lo, 0, v6
	s_delay_alu instid0(VALU_DEP_2) | instskip(SKIP_1) | instid1(SALU_CYCLE_1)
	v_cmp_ne_u32_e64 s0, 0, v4
	s_and_b32 s0, vcc_lo, s0
	v_cndmask_b32_e64 v4, 0, 1, s0
	s_delay_alu instid0(VALU_DEP_1)
	v_add_nc_u32_e32 v4, v2, v4
.LBB167_2005:
	s_or_b32 exec_lo, exec_lo, s5
	s_mov_b32 s0, 0
	global_store_b8 v[0:1], v4, off
.LBB167_2006:
	s_mov_b32 s5, 0
.LBB167_2007:
	s_delay_alu instid0(SALU_CYCLE_1)
	s_and_b32 vcc_lo, exec_lo, s5
	s_cbranch_vccz .LBB167_2010
; %bb.2008:
	s_cmp_eq_u32 s4, 29
	s_mov_b32 s0, -1
	s_cbranch_scc0 .LBB167_2010
; %bb.2009:
	s_wait_xcnt 0x0
	v_lshlrev_b32_e32 v2, 16, v3
	s_mov_b32 s0, 0
	s_mov_b32 s5, 0
	s_delay_alu instid0(VALU_DEP_1) | instskip(NEXT) | instid1(VALU_DEP_1)
	v_trunc_f32_e32 v2, v2
	v_mul_f32_e32 v4, 0x2f800000, v2
	s_delay_alu instid0(VALU_DEP_1) | instskip(NEXT) | instid1(VALU_DEP_1)
	v_floor_f32_e32 v4, v4
	v_fmamk_f32 v2, v4, 0xcf800000, v2
	v_cvt_u32_f32_e32 v5, v4
	s_delay_alu instid0(VALU_DEP_2)
	v_cvt_u32_f32_e32 v4, v2
	global_store_b64 v[0:1], v[4:5], off
	s_branch .LBB167_2011
.LBB167_2010:
	s_mov_b32 s5, 0
.LBB167_2011:
	s_delay_alu instid0(SALU_CYCLE_1)
	s_and_b32 vcc_lo, exec_lo, s5
	s_cbranch_vccz .LBB167_2026
; %bb.2012:
	s_cmp_lt_i32 s4, 27
	s_mov_b32 s5, -1
	s_cbranch_scc1 .LBB167_2018
; %bb.2013:
	s_cmp_gt_i32 s4, 27
	s_cbranch_scc0 .LBB167_2015
; %bb.2014:
	s_wait_xcnt 0x0
	v_lshlrev_b32_e32 v2, 16, v3
	s_mov_b32 s5, 0
	s_delay_alu instid0(VALU_DEP_1)
	v_cvt_u32_f32_e32 v2, v2
	global_store_b32 v[0:1], v2, off
.LBB167_2015:
	s_and_not1_b32 vcc_lo, exec_lo, s5
	s_cbranch_vccnz .LBB167_2017
; %bb.2016:
	s_wait_xcnt 0x0
	v_lshlrev_b32_e32 v2, 16, v3
	s_delay_alu instid0(VALU_DEP_1)
	v_cvt_u32_f32_e32 v2, v2
	global_store_b16 v[0:1], v2, off
.LBB167_2017:
	s_mov_b32 s5, 0
.LBB167_2018:
	s_delay_alu instid0(SALU_CYCLE_1)
	s_and_not1_b32 vcc_lo, exec_lo, s5
	s_cbranch_vccnz .LBB167_2026
; %bb.2019:
	s_wait_xcnt 0x0
	v_dual_mov_b32 v6, 0x80 :: v_dual_lshlrev_b32 v5, 16, v3
	s_mov_b32 s5, exec_lo
	s_delay_alu instid0(VALU_DEP_1) | instskip(NEXT) | instid1(VALU_DEP_1)
	v_and_b32_e32 v4, 0x7fffffff, v5
	v_cmpx_gt_u32_e32 0x43800000, v4
	s_cbranch_execz .LBB167_2025
; %bb.2020:
	v_and_b32_e32 v2, 0xffff, v3
	v_cmp_lt_u32_e32 vcc_lo, 0x3bffffff, v4
	s_mov_b32 s8, 0
                                        ; implicit-def: $vgpr4
	s_and_saveexec_b32 s9, vcc_lo
	s_delay_alu instid0(SALU_CYCLE_1)
	s_xor_b32 s9, exec_lo, s9
	s_cbranch_execz .LBB167_2167
; %bb.2021:
	v_bfe_u32 v4, v2, 4, 1
	s_mov_b32 s8, exec_lo
	s_delay_alu instid0(VALU_DEP_1) | instskip(NEXT) | instid1(VALU_DEP_1)
	v_add3_u32 v4, v5, v4, 0x487ffff
                                        ; implicit-def: $vgpr5
	v_lshrrev_b32_e32 v4, 20, v4
	s_and_not1_saveexec_b32 s9, s9
	s_cbranch_execnz .LBB167_2168
.LBB167_2022:
	s_or_b32 exec_lo, exec_lo, s9
	v_mov_b32_e32 v6, 0
	s_and_saveexec_b32 s9, s8
.LBB167_2023:
	v_lshrrev_b32_e32 v2, 8, v2
	s_delay_alu instid0(VALU_DEP_1)
	v_and_or_b32 v6, 0x80, v2, v4
.LBB167_2024:
	s_or_b32 exec_lo, exec_lo, s9
.LBB167_2025:
	s_delay_alu instid0(SALU_CYCLE_1)
	s_or_b32 exec_lo, exec_lo, s5
	global_store_b8 v[0:1], v6, off
.LBB167_2026:
	s_mov_b32 s5, 0
.LBB167_2027:
	s_delay_alu instid0(SALU_CYCLE_1)
	s_and_b32 vcc_lo, exec_lo, s5
	s_mov_b32 s5, 0
	s_cbranch_vccz .LBB167_2067
; %bb.2028:
	s_cmp_gt_i32 s4, 22
	s_mov_b32 s8, -1
	s_cbranch_scc0 .LBB167_2060
; %bb.2029:
	s_cmp_lt_i32 s4, 24
	s_cbranch_scc1 .LBB167_2049
; %bb.2030:
	s_cmp_gt_i32 s4, 24
	s_cbranch_scc0 .LBB167_2038
; %bb.2031:
	s_wait_xcnt 0x0
	v_dual_mov_b32 v6, 0x80 :: v_dual_lshlrev_b32 v5, 16, v3
	s_mov_b32 s8, exec_lo
	s_delay_alu instid0(VALU_DEP_1) | instskip(NEXT) | instid1(VALU_DEP_1)
	v_and_b32_e32 v4, 0x7fffffff, v5
	v_cmpx_gt_u32_e32 0x47800000, v4
	s_cbranch_execz .LBB167_2037
; %bb.2032:
	v_and_b32_e32 v2, 0xffff, v3
	v_cmp_lt_u32_e32 vcc_lo, 0x37ffffff, v4
	s_mov_b32 s9, 0
                                        ; implicit-def: $vgpr4
	s_and_saveexec_b32 s10, vcc_lo
	s_delay_alu instid0(SALU_CYCLE_1)
	s_xor_b32 s10, exec_lo, s10
	s_cbranch_execz .LBB167_2293
; %bb.2033:
	v_bfe_u32 v4, v2, 5, 1
	s_mov_b32 s9, exec_lo
	s_delay_alu instid0(VALU_DEP_1) | instskip(NEXT) | instid1(VALU_DEP_1)
	v_add3_u32 v4, v5, v4, 0x88fffff
                                        ; implicit-def: $vgpr5
	v_lshrrev_b32_e32 v4, 21, v4
	s_and_not1_saveexec_b32 s10, s10
	s_cbranch_execnz .LBB167_2294
.LBB167_2034:
	s_or_b32 exec_lo, exec_lo, s10
	v_mov_b32_e32 v6, 0
	s_and_saveexec_b32 s10, s9
.LBB167_2035:
	v_lshrrev_b32_e32 v2, 8, v2
	s_delay_alu instid0(VALU_DEP_1)
	v_and_or_b32 v6, 0x80, v2, v4
.LBB167_2036:
	s_or_b32 exec_lo, exec_lo, s10
.LBB167_2037:
	s_delay_alu instid0(SALU_CYCLE_1)
	s_or_b32 exec_lo, exec_lo, s8
	s_mov_b32 s8, 0
	global_store_b8 v[0:1], v6, off
.LBB167_2038:
	s_and_b32 vcc_lo, exec_lo, s8
	s_cbranch_vccz .LBB167_2048
; %bb.2039:
	s_wait_xcnt 0x0
	v_lshlrev_b32_e32 v5, 16, v3
	v_and_b32_e32 v2, 0xffff, v3
	s_mov_b32 s8, exec_lo
                                        ; implicit-def: $vgpr4
	s_delay_alu instid0(VALU_DEP_2) | instskip(NEXT) | instid1(VALU_DEP_1)
	v_and_b32_e32 v6, 0x7fffffff, v5
	v_cmpx_gt_u32_e32 0x43f00000, v6
	s_xor_b32 s8, exec_lo, s8
	s_cbranch_execz .LBB167_2045
; %bb.2040:
	s_mov_b32 s9, exec_lo
                                        ; implicit-def: $vgpr4
	v_cmpx_lt_u32_e32 0x3c7fffff, v6
	s_xor_b32 s9, exec_lo, s9
; %bb.2041:
	v_bfe_u32 v4, v2, 4, 1
	s_delay_alu instid0(VALU_DEP_1) | instskip(NEXT) | instid1(VALU_DEP_1)
	v_add3_u32 v4, v5, v4, 0x407ffff
	v_and_b32_e32 v5, 0xff00000, v4
	v_lshrrev_b32_e32 v4, 20, v4
	s_delay_alu instid0(VALU_DEP_2) | instskip(NEXT) | instid1(VALU_DEP_2)
	v_cmp_ne_u32_e32 vcc_lo, 0x7f00000, v5
                                        ; implicit-def: $vgpr5
	v_cndmask_b32_e32 v4, 0x7e, v4, vcc_lo
; %bb.2042:
	s_and_not1_saveexec_b32 s9, s9
; %bb.2043:
	v_add_f32_e64 v4, 0x46800000, |v5|
; %bb.2044:
	s_or_b32 exec_lo, exec_lo, s9
                                        ; implicit-def: $vgpr6
.LBB167_2045:
	s_and_not1_saveexec_b32 s8, s8
; %bb.2046:
	v_mov_b32_e32 v4, 0x7f
	v_cmp_lt_u32_e32 vcc_lo, 0x7f800000, v6
	s_delay_alu instid0(VALU_DEP_2)
	v_cndmask_b32_e32 v4, 0x7e, v4, vcc_lo
; %bb.2047:
	s_or_b32 exec_lo, exec_lo, s8
	v_lshrrev_b32_e32 v2, 8, v2
	s_delay_alu instid0(VALU_DEP_1)
	v_and_or_b32 v2, 0x80, v2, v4
	global_store_b8 v[0:1], v2, off
.LBB167_2048:
	s_mov_b32 s8, 0
.LBB167_2049:
	s_delay_alu instid0(SALU_CYCLE_1)
	s_and_not1_b32 vcc_lo, exec_lo, s8
	s_cbranch_vccnz .LBB167_2059
; %bb.2050:
	s_wait_xcnt 0x0
	v_lshlrev_b32_e32 v5, 16, v3
	v_and_b32_e32 v2, 0xffff, v3
	s_mov_b32 s8, exec_lo
                                        ; implicit-def: $vgpr4
	s_delay_alu instid0(VALU_DEP_2) | instskip(NEXT) | instid1(VALU_DEP_1)
	v_and_b32_e32 v6, 0x7fffffff, v5
	v_cmpx_gt_u32_e32 0x47800000, v6
	s_xor_b32 s8, exec_lo, s8
	s_cbranch_execz .LBB167_2056
; %bb.2051:
	s_mov_b32 s9, exec_lo
                                        ; implicit-def: $vgpr4
	v_cmpx_lt_u32_e32 0x387fffff, v6
	s_xor_b32 s9, exec_lo, s9
; %bb.2052:
	v_bfe_u32 v4, v2, 5, 1
	s_delay_alu instid0(VALU_DEP_1) | instskip(NEXT) | instid1(VALU_DEP_1)
	v_add3_u32 v4, v5, v4, 0x80fffff
                                        ; implicit-def: $vgpr5
	v_lshrrev_b32_e32 v4, 21, v4
; %bb.2053:
	s_and_not1_saveexec_b32 s9, s9
; %bb.2054:
	v_add_f32_e64 v4, 0x43000000, |v5|
; %bb.2055:
	s_or_b32 exec_lo, exec_lo, s9
                                        ; implicit-def: $vgpr6
.LBB167_2056:
	s_and_not1_saveexec_b32 s8, s8
; %bb.2057:
	v_mov_b32_e32 v4, 0x7f
	v_cmp_lt_u32_e32 vcc_lo, 0x7f800000, v6
	s_delay_alu instid0(VALU_DEP_2)
	v_cndmask_b32_e32 v4, 0x7c, v4, vcc_lo
; %bb.2058:
	s_or_b32 exec_lo, exec_lo, s8
	v_lshrrev_b32_e32 v2, 8, v2
	s_delay_alu instid0(VALU_DEP_1)
	v_and_or_b32 v2, 0x80, v2, v4
	global_store_b8 v[0:1], v2, off
.LBB167_2059:
	s_mov_b32 s8, 0
.LBB167_2060:
	s_delay_alu instid0(SALU_CYCLE_1)
	s_and_not1_b32 vcc_lo, exec_lo, s8
	s_mov_b32 s8, 0
	s_cbranch_vccnz .LBB167_2068
; %bb.2061:
	s_cmp_gt_i32 s4, 14
	s_mov_b32 s8, -1
	s_cbranch_scc0 .LBB167_2065
; %bb.2062:
	s_cmp_eq_u32 s4, 15
	s_mov_b32 s0, -1
	s_cbranch_scc0 .LBB167_2064
; %bb.2063:
	s_mov_b32 s0, 0
	global_store_b16 v[0:1], v3, off
.LBB167_2064:
	s_mov_b32 s8, 0
.LBB167_2065:
	s_delay_alu instid0(SALU_CYCLE_1)
	s_and_b32 vcc_lo, exec_lo, s8
	s_mov_b32 s8, 0
	s_cbranch_vccz .LBB167_2068
; %bb.2066:
	s_cmp_lg_u32 s4, 11
	s_mov_b32 s8, -1
	s_cselect_b32 s4, -1, 0
	s_and_not1_b32 s0, s0, exec_lo
	s_and_b32 s4, s4, exec_lo
	s_delay_alu instid0(SALU_CYCLE_1)
	s_or_b32 s0, s0, s4
	s_branch .LBB167_2068
.LBB167_2067:
	s_mov_b32 s8, 0
.LBB167_2068:
	s_and_b32 s9, s5, exec_lo
	s_and_not1_b32 s4, s43, exec_lo
	s_and_b32 s5, s0, exec_lo
	s_and_b32 s0, s8, exec_lo
	s_or_b32 s43, s4, s5
	s_wait_xcnt 0x0
	s_or_b32 exec_lo, exec_lo, s7
	s_and_saveexec_b32 s4, s43
	s_cbranch_execz .LBB167_1997
.LBB167_2069:
	s_or_b32 s1, s1, exec_lo
	s_and_not1_b32 s0, s0, exec_lo
	s_trap 2
	s_or_b32 exec_lo, exec_lo, s4
	s_and_saveexec_b32 s4, s0
	s_delay_alu instid0(SALU_CYCLE_1)
	s_xor_b32 s0, exec_lo, s4
	s_cbranch_execnz .LBB167_1998
.LBB167_2070:
	s_or_b32 exec_lo, exec_lo, s0
	s_and_saveexec_b32 s0, s9
	s_delay_alu instid0(SALU_CYCLE_1)
	s_xor_b32 s0, exec_lo, s0
	s_cbranch_execz .LBB167_2108
.LBB167_2071:
	s_sext_i32_i16 s5, s6
	s_mov_b32 s4, -1
	s_cmp_lt_i32 s5, 5
	s_cbranch_scc1 .LBB167_2092
; %bb.2072:
	s_cmp_lt_i32 s5, 8
	s_cbranch_scc1 .LBB167_2082
; %bb.2073:
	;; [unrolled: 3-line block ×3, first 2 shown]
	s_cmp_gt_i32 s5, 9
	s_cbranch_scc0 .LBB167_2076
; %bb.2075:
	s_wait_loadcnt 0x0
	v_dual_lshlrev_b32 v2, 16, v3 :: v_dual_mov_b32 v6, 0
	s_mov_b32 s4, 0
	s_delay_alu instid0(VALU_DEP_1) | instskip(NEXT) | instid1(VALU_DEP_2)
	v_cvt_f64_f32_e32 v[4:5], v2
	v_mov_b32_e32 v7, v6
	global_store_b128 v[0:1], v[4:7], off
.LBB167_2076:
	s_and_not1_b32 vcc_lo, exec_lo, s4
	s_cbranch_vccnz .LBB167_2078
; %bb.2077:
	s_wait_loadcnt 0x0
	v_dual_mov_b32 v5, 0 :: v_dual_lshlrev_b32 v4, 16, v3
	global_store_b64 v[0:1], v[4:5], off
.LBB167_2078:
	s_mov_b32 s4, 0
.LBB167_2079:
	s_delay_alu instid0(SALU_CYCLE_1)
	s_and_not1_b32 vcc_lo, exec_lo, s4
	s_cbranch_vccnz .LBB167_2081
; %bb.2080:
	s_wait_loadcnt 0x0
	v_lshlrev_b32_e32 v2, 16, v3
	s_delay_alu instid0(VALU_DEP_1) | instskip(NEXT) | instid1(VALU_DEP_1)
	v_cvt_f16_f32_e32 v2, v2
	v_and_b32_e32 v2, 0xffff, v2
	global_store_b32 v[0:1], v2, off
.LBB167_2081:
	s_mov_b32 s4, 0
.LBB167_2082:
	s_delay_alu instid0(SALU_CYCLE_1)
	s_and_not1_b32 vcc_lo, exec_lo, s4
	s_cbranch_vccnz .LBB167_2091
; %bb.2083:
	s_sext_i32_i16 s5, s6
	s_mov_b32 s4, -1
	s_cmp_lt_i32 s5, 6
	s_cbranch_scc1 .LBB167_2089
; %bb.2084:
	s_cmp_gt_i32 s5, 6
	s_cbranch_scc0 .LBB167_2086
; %bb.2085:
	s_wait_loadcnt 0x0
	v_lshlrev_b32_e32 v2, 16, v3
	s_mov_b32 s4, 0
	s_delay_alu instid0(VALU_DEP_1)
	v_cvt_f64_f32_e32 v[4:5], v2
	global_store_b64 v[0:1], v[4:5], off
.LBB167_2086:
	s_and_not1_b32 vcc_lo, exec_lo, s4
	s_cbranch_vccnz .LBB167_2088
; %bb.2087:
	s_wait_loadcnt 0x0
	v_lshlrev_b32_e32 v2, 16, v3
	global_store_b32 v[0:1], v2, off
.LBB167_2088:
	s_mov_b32 s4, 0
.LBB167_2089:
	s_delay_alu instid0(SALU_CYCLE_1)
	s_and_not1_b32 vcc_lo, exec_lo, s4
	s_cbranch_vccnz .LBB167_2091
; %bb.2090:
	s_wait_loadcnt 0x0
	v_lshlrev_b32_e32 v2, 16, v3
	s_delay_alu instid0(VALU_DEP_1)
	v_cvt_f16_f32_e32 v2, v2
	global_store_b16 v[0:1], v2, off
.LBB167_2091:
	s_mov_b32 s4, 0
.LBB167_2092:
	s_delay_alu instid0(SALU_CYCLE_1)
	s_and_not1_b32 vcc_lo, exec_lo, s4
	s_cbranch_vccnz .LBB167_2108
; %bb.2093:
	s_sext_i32_i16 s5, s6
	s_mov_b32 s4, -1
	s_cmp_lt_i32 s5, 2
	s_cbranch_scc1 .LBB167_2103
; %bb.2094:
	s_cmp_lt_i32 s5, 3
	s_cbranch_scc1 .LBB167_2100
; %bb.2095:
	s_cmp_gt_i32 s5, 3
	s_cbranch_scc0 .LBB167_2097
; %bb.2096:
	s_wait_loadcnt 0x0
	v_lshlrev_b32_e32 v2, 16, v3
	s_mov_b32 s4, 0
	s_delay_alu instid0(VALU_DEP_1) | instskip(NEXT) | instid1(VALU_DEP_1)
	v_trunc_f32_e32 v2, v2
	v_mul_f32_e64 v4, 0x2f800000, |v2|
	s_delay_alu instid0(VALU_DEP_1) | instskip(SKIP_1) | instid1(VALU_DEP_2)
	v_floor_f32_e32 v5, v4
	v_ashrrev_i32_e32 v4, 31, v2
	v_fma_f32 v6, 0xcf800000, v5, |v2|
	v_cvt_u32_f32_e32 v2, v5
	s_delay_alu instid0(VALU_DEP_3) | instskip(NEXT) | instid1(VALU_DEP_3)
	v_mov_b32_e32 v5, v4
	v_cvt_u32_f32_e32 v6, v6
	s_delay_alu instid0(VALU_DEP_3) | instskip(NEXT) | instid1(VALU_DEP_2)
	v_xor_b32_e32 v7, v2, v4
	v_xor_b32_e32 v6, v6, v4
	s_delay_alu instid0(VALU_DEP_1)
	v_sub_nc_u64_e32 v[4:5], v[6:7], v[4:5]
	global_store_b64 v[0:1], v[4:5], off
.LBB167_2097:
	s_and_not1_b32 vcc_lo, exec_lo, s4
	s_cbranch_vccnz .LBB167_2099
; %bb.2098:
	s_wait_loadcnt 0x0
	v_lshlrev_b32_e32 v2, 16, v3
	s_delay_alu instid0(VALU_DEP_1)
	v_cvt_i32_f32_e32 v2, v2
	global_store_b32 v[0:1], v2, off
.LBB167_2099:
	s_mov_b32 s4, 0
.LBB167_2100:
	s_delay_alu instid0(SALU_CYCLE_1)
	s_and_not1_b32 vcc_lo, exec_lo, s4
	s_cbranch_vccnz .LBB167_2102
; %bb.2101:
	s_wait_loadcnt 0x0
	v_lshlrev_b32_e32 v2, 16, v3
	s_delay_alu instid0(VALU_DEP_1)
	v_cvt_i32_f32_e32 v2, v2
	global_store_b16 v[0:1], v2, off
.LBB167_2102:
	s_mov_b32 s4, 0
.LBB167_2103:
	s_delay_alu instid0(SALU_CYCLE_1)
	s_and_not1_b32 vcc_lo, exec_lo, s4
	s_cbranch_vccnz .LBB167_2108
; %bb.2104:
	s_wait_loadcnt 0x0
	v_lshlrev_b32_e32 v2, 16, v3
	s_sext_i32_i16 s4, s6
	s_delay_alu instid0(SALU_CYCLE_1)
	s_cmp_gt_i32 s4, 0
	s_mov_b32 s4, -1
	s_cbranch_scc0 .LBB167_2106
; %bb.2105:
	v_cvt_i32_f32_e32 v3, v2
	s_mov_b32 s4, 0
	global_store_b8 v[0:1], v3, off
.LBB167_2106:
	s_and_not1_b32 vcc_lo, exec_lo, s4
	s_cbranch_vccnz .LBB167_2108
; %bb.2107:
	v_trunc_f32_e32 v2, v2
	s_wait_xcnt 0x0
	s_delay_alu instid0(VALU_DEP_1) | instskip(NEXT) | instid1(VALU_DEP_1)
	v_mul_f32_e64 v3, 0x2f800000, |v2|
	v_floor_f32_e32 v3, v3
	s_delay_alu instid0(VALU_DEP_1) | instskip(SKIP_1) | instid1(VALU_DEP_2)
	v_fma_f32 v3, 0xcf800000, v3, |v2|
	v_ashrrev_i32_e32 v2, 31, v2
	v_cvt_u32_f32_e32 v3, v3
	s_delay_alu instid0(VALU_DEP_1) | instskip(NEXT) | instid1(VALU_DEP_1)
	v_xor_b32_e32 v3, v3, v2
	v_sub_nc_u32_e32 v2, v3, v2
	global_store_b8 v[0:1], v2, off
.LBB167_2108:
	s_wait_xcnt 0x0
	s_or_b32 exec_lo, exec_lo, s0
	s_delay_alu instid0(SALU_CYCLE_1)
	s_and_b32 s10, s1, exec_lo
                                        ; implicit-def: $vgpr5
                                        ; implicit-def: $vgpr0
.LBB167_2109:
	s_or_saveexec_b32 s11, s37
	s_mov_b32 s0, 0
                                        ; implicit-def: $vgpr2_vgpr3
                                        ; implicit-def: $sgpr1
                                        ; implicit-def: $vgpr1
	s_xor_b32 exec_lo, exec_lo, s11
	s_cbranch_execz .LBB167_4157
; %bb.2110:
	s_wait_loadcnt 0x0
	v_cndmask_b32_e64 v1, 0, 1, s36
	s_and_not1_b32 vcc_lo, exec_lo, s36
	s_cbranch_vccnz .LBB167_2116
; %bb.2111:
	s_cmp_lg_u32 s33, 0
	s_mov_b32 s6, 0
	s_cbranch_scc0 .LBB167_2120
; %bb.2112:
	s_min_u32 s7, s34, 15
	v_dual_mov_b32 v28, 0 :: v_dual_mov_b32 v2, v0
	v_dual_mov_b32 v26, 0 :: v_dual_mov_b32 v6, 0
	v_mov_b32_e32 v30, 0
	s_add_co_i32 s4, s7, 1
	s_mov_b64 s[0:1], 0xffffffffffffffe0
	s_and_b32 s8, s4, 30
	s_add_nc_u64 s[0:1], s[2:3], s[0:1]
	s_mov_b64 s[4:5], s[2:3]
.LBB167_2113:                           ; =>This Inner Loop Header: Depth=1
	s_clause 0x1
	s_load_b128 s[20:23], s[4:5], 0x4
	s_load_b64 s[24:25], s[4:5], 0x14
	s_load_b256 s[12:19], s[0:1], 0xe4
	s_add_co_i32 s8, s8, -2
	s_wait_xcnt 0x0
	s_add_nc_u64 s[4:5], s[4:5], 24
	s_cmp_lg_u32 s8, 0
	s_add_nc_u64 s[0:1], s[0:1], 32
	s_wait_kmcnt 0x0
	v_mul_hi_u32 v3, s21, v2
	s_delay_alu instid0(VALU_DEP_1) | instskip(NEXT) | instid1(VALU_DEP_1)
	v_add_nc_u32_e32 v3, v2, v3
	v_lshrrev_b32_e32 v3, s22, v3
	s_delay_alu instid0(VALU_DEP_1) | instskip(SKIP_1) | instid1(VALU_DEP_1)
	v_mul_hi_u32 v4, s24, v3
	v_mul_lo_u32 v7, v3, s20
	v_dual_add_nc_u32 v4, v3, v4 :: v_dual_sub_nc_u32 v7, v2, v7
	s_delay_alu instid0(VALU_DEP_1) | instskip(NEXT) | instid1(VALU_DEP_2)
	v_lshrrev_b32_e32 v2, s25, v4
	v_mad_u32 v8, v7, s13, v30
	v_mad_u32 v6, v7, s12, v6
	;; [unrolled: 1-line block ×4, first 2 shown]
	v_mul_lo_u32 v4, v2, s23
	s_delay_alu instid0(VALU_DEP_1) | instskip(NEXT) | instid1(VALU_DEP_1)
	v_sub_nc_u32_e32 v3, v3, v4
	v_mad_u32 v30, v3, s17, v8
	v_mad_u32 v6, v3, s16, v6
	;; [unrolled: 1-line block ×4, first 2 shown]
	s_cbranch_scc1 .LBB167_2113
; %bb.2114:
	s_bitcmp1_b32 s7, 0
	s_cselect_b32 s7, -1, 0
	s_delay_alu instid0(SALU_CYCLE_1)
	s_and_b32 vcc_lo, exec_lo, s7
	s_cbranch_vccnz .LBB167_2117
; %bb.2115:
	s_load_b96 s[16:18], s[4:5], 0x4
	s_load_b128 s[12:15], s[0:1], 0xe4
	s_wait_kmcnt 0x0
	v_mul_hi_u32 v3, s17, v2
	s_delay_alu instid0(VALU_DEP_1) | instskip(NEXT) | instid1(VALU_DEP_1)
	v_add_nc_u32_e32 v3, v2, v3
	v_lshrrev_b32_e32 v3, s18, v3
	s_delay_alu instid0(VALU_DEP_1) | instskip(NEXT) | instid1(VALU_DEP_1)
	v_mul_lo_u32 v3, v3, s16
	v_sub_nc_u32_e32 v2, v2, v3
	s_delay_alu instid0(VALU_DEP_1)
	v_mad_u32 v6, v2, s12, v6
	v_mad_u32 v30, v2, s13, v30
	;; [unrolled: 1-line block ×4, first 2 shown]
	s_and_not1_b32 vcc_lo, exec_lo, s6
	s_cbranch_vccz .LBB167_2118
	s_branch .LBB167_2121
.LBB167_2116:
	s_mov_b32 s6, -1
                                        ; implicit-def: $vgpr30
                                        ; implicit-def: $vgpr6
                                        ; implicit-def: $vgpr26
                                        ; implicit-def: $vgpr28
.LBB167_2117:
	s_delay_alu instid0(SALU_CYCLE_1)
	s_and_not1_b32 vcc_lo, exec_lo, s6
	s_cbranch_vccnz .LBB167_2121
.LBB167_2118:
	s_clause 0x1
	s_load_b96 s[12:14], s[2:3], 0x4
	s_load_b128 s[4:7], s[2:3], 0xc4
	s_cmp_lt_u32 s33, 2
	s_wait_kmcnt 0x0
	v_mul_hi_u32 v2, s13, v0
	s_delay_alu instid0(VALU_DEP_1) | instskip(NEXT) | instid1(VALU_DEP_1)
	v_add_nc_u32_e32 v2, v0, v2
	v_lshrrev_b32_e32 v2, s14, v2
	s_delay_alu instid0(VALU_DEP_1) | instskip(NEXT) | instid1(VALU_DEP_1)
	v_mul_lo_u32 v3, v2, s12
	v_sub_nc_u32_e32 v3, v0, v3
	s_delay_alu instid0(VALU_DEP_1)
	v_mul_lo_u32 v30, v3, s5
	v_mul_lo_u32 v6, v3, s4
	;; [unrolled: 1-line block ×4, first 2 shown]
	s_cbranch_scc1 .LBB167_2121
; %bb.2119:
	s_clause 0x1
	s_load_b96 s[12:14], s[2:3], 0x10
	s_load_b128 s[4:7], s[2:3], 0xd4
	s_wait_kmcnt 0x0
	v_mul_hi_u32 v3, s13, v2
	s_delay_alu instid0(VALU_DEP_1) | instskip(NEXT) | instid1(VALU_DEP_1)
	v_add_nc_u32_e32 v3, v2, v3
	v_lshrrev_b32_e32 v3, s14, v3
	s_delay_alu instid0(VALU_DEP_1) | instskip(NEXT) | instid1(VALU_DEP_1)
	v_mul_lo_u32 v3, v3, s12
	v_sub_nc_u32_e32 v2, v2, v3
	s_delay_alu instid0(VALU_DEP_1)
	v_mad_u32 v6, v2, s4, v6
	v_mad_u32 v30, v2, s5, v30
	;; [unrolled: 1-line block ×4, first 2 shown]
	s_branch .LBB167_2121
.LBB167_2120:
	v_dual_mov_b32 v30, 0 :: v_dual_mov_b32 v6, 0
	v_dual_mov_b32 v26, 0 :: v_dual_mov_b32 v28, 0
	s_and_not1_b32 vcc_lo, exec_lo, s6
	s_cbranch_vccz .LBB167_2118
.LBB167_2121:
	v_cmp_ne_u32_e32 vcc_lo, 1, v1
	v_add_nc_u32_e32 v2, 0x80, v0
	s_cbranch_vccnz .LBB167_2127
; %bb.2122:
	s_cmp_lg_u32 s33, 0
	s_mov_b32 s6, 0
	s_cbranch_scc0 .LBB167_2131
; %bb.2123:
	s_min_u32 s7, s34, 15
	v_dual_mov_b32 v22, 0 :: v_dual_mov_b32 v3, v2
	v_dual_mov_b32 v20, 0 :: v_dual_mov_b32 v4, 0
	v_mov_b32_e32 v24, 0
	s_add_co_i32 s4, s7, 1
	s_mov_b64 s[0:1], 0xffffffffffffffe0
	s_and_b32 s8, s4, 30
	s_add_nc_u64 s[0:1], s[2:3], s[0:1]
	s_mov_b64 s[4:5], s[2:3]
.LBB167_2124:                           ; =>This Inner Loop Header: Depth=1
	s_clause 0x1
	s_load_b128 s[20:23], s[4:5], 0x4
	s_load_b64 s[24:25], s[4:5], 0x14
	s_load_b256 s[12:19], s[0:1], 0xe4
	s_add_co_i32 s8, s8, -2
	s_wait_xcnt 0x0
	s_add_nc_u64 s[4:5], s[4:5], 24
	s_cmp_lg_u32 s8, 0
	s_add_nc_u64 s[0:1], s[0:1], 32
	s_wait_kmcnt 0x0
	v_mul_hi_u32 v7, s21, v3
	s_delay_alu instid0(VALU_DEP_1) | instskip(NEXT) | instid1(VALU_DEP_1)
	v_add_nc_u32_e32 v7, v3, v7
	v_lshrrev_b32_e32 v7, s22, v7
	s_delay_alu instid0(VALU_DEP_1) | instskip(SKIP_1) | instid1(VALU_DEP_2)
	v_mul_hi_u32 v8, s24, v7
	v_mul_lo_u32 v9, v7, s20
	v_add_nc_u32_e32 v8, v7, v8
	s_delay_alu instid0(VALU_DEP_1) | instskip(NEXT) | instid1(VALU_DEP_1)
	v_dual_sub_nc_u32 v9, v3, v9 :: v_dual_lshrrev_b32 v3, s25, v8
	v_mad_u32 v10, v9, s13, v24
	v_mad_u32 v4, v9, s12, v4
	;; [unrolled: 1-line block ×4, first 2 shown]
	v_mul_lo_u32 v8, v3, s23
	s_delay_alu instid0(VALU_DEP_1) | instskip(NEXT) | instid1(VALU_DEP_1)
	v_sub_nc_u32_e32 v7, v7, v8
	v_mad_u32 v24, v7, s17, v10
	v_mad_u32 v4, v7, s16, v4
	;; [unrolled: 1-line block ×4, first 2 shown]
	s_cbranch_scc1 .LBB167_2124
; %bb.2125:
	s_bitcmp1_b32 s7, 0
	s_cselect_b32 s7, -1, 0
	s_delay_alu instid0(SALU_CYCLE_1)
	s_and_b32 vcc_lo, exec_lo, s7
	s_cbranch_vccnz .LBB167_2128
; %bb.2126:
	s_load_b96 s[16:18], s[4:5], 0x4
	s_load_b128 s[12:15], s[0:1], 0xe4
	s_wait_kmcnt 0x0
	v_mul_hi_u32 v7, s17, v3
	s_delay_alu instid0(VALU_DEP_1) | instskip(NEXT) | instid1(VALU_DEP_1)
	v_add_nc_u32_e32 v7, v3, v7
	v_lshrrev_b32_e32 v7, s18, v7
	s_delay_alu instid0(VALU_DEP_1) | instskip(NEXT) | instid1(VALU_DEP_1)
	v_mul_lo_u32 v7, v7, s16
	v_sub_nc_u32_e32 v3, v3, v7
	s_delay_alu instid0(VALU_DEP_1)
	v_mad_u32 v4, v3, s12, v4
	v_mad_u32 v24, v3, s13, v24
	;; [unrolled: 1-line block ×4, first 2 shown]
	s_and_not1_b32 vcc_lo, exec_lo, s6
	s_cbranch_vccz .LBB167_2129
	s_branch .LBB167_2132
.LBB167_2127:
	s_mov_b32 s6, -1
                                        ; implicit-def: $vgpr24
                                        ; implicit-def: $vgpr4
                                        ; implicit-def: $vgpr20
                                        ; implicit-def: $vgpr22
.LBB167_2128:
	s_delay_alu instid0(SALU_CYCLE_1)
	s_and_not1_b32 vcc_lo, exec_lo, s6
	s_cbranch_vccnz .LBB167_2132
.LBB167_2129:
	s_clause 0x1
	s_load_b96 s[12:14], s[2:3], 0x4
	s_load_b128 s[4:7], s[2:3], 0xc4
	s_cmp_lt_u32 s33, 2
	s_wait_kmcnt 0x0
	v_mul_hi_u32 v3, s13, v2
	s_delay_alu instid0(VALU_DEP_1) | instskip(NEXT) | instid1(VALU_DEP_1)
	v_add_nc_u32_e32 v3, v2, v3
	v_lshrrev_b32_e32 v3, s14, v3
	s_delay_alu instid0(VALU_DEP_1) | instskip(NEXT) | instid1(VALU_DEP_1)
	v_mul_lo_u32 v4, v3, s12
	v_sub_nc_u32_e32 v2, v2, v4
	s_delay_alu instid0(VALU_DEP_1)
	v_mul_lo_u32 v24, v2, s5
	v_mul_lo_u32 v4, v2, s4
	;; [unrolled: 1-line block ×4, first 2 shown]
	s_cbranch_scc1 .LBB167_2132
; %bb.2130:
	s_clause 0x1
	s_load_b96 s[12:14], s[2:3], 0x10
	s_load_b128 s[4:7], s[2:3], 0xd4
	s_wait_kmcnt 0x0
	v_mul_hi_u32 v2, s13, v3
	s_delay_alu instid0(VALU_DEP_1) | instskip(NEXT) | instid1(VALU_DEP_1)
	v_add_nc_u32_e32 v2, v3, v2
	v_lshrrev_b32_e32 v2, s14, v2
	s_delay_alu instid0(VALU_DEP_1) | instskip(NEXT) | instid1(VALU_DEP_1)
	v_mul_lo_u32 v2, v2, s12
	v_sub_nc_u32_e32 v2, v3, v2
	s_delay_alu instid0(VALU_DEP_1)
	v_mad_u32 v4, v2, s4, v4
	v_mad_u32 v24, v2, s5, v24
	;; [unrolled: 1-line block ×4, first 2 shown]
	s_branch .LBB167_2132
.LBB167_2131:
	v_dual_mov_b32 v24, 0 :: v_dual_mov_b32 v4, 0
	v_dual_mov_b32 v20, 0 :: v_dual_mov_b32 v22, 0
	s_and_not1_b32 vcc_lo, exec_lo, s6
	s_cbranch_vccz .LBB167_2129
.LBB167_2132:
	v_cmp_ne_u32_e32 vcc_lo, 1, v1
	v_add_nc_u32_e32 v0, 0x100, v0
	s_cbranch_vccnz .LBB167_2138
; %bb.2133:
	s_cmp_lg_u32 s33, 0
	s_mov_b32 s6, 0
	s_cbranch_scc0 .LBB167_2142
; %bb.2134:
	s_min_u32 s7, s34, 15
	v_dual_mov_b32 v16, 0 :: v_dual_mov_b32 v3, v0
	v_dual_mov_b32 v14, 0 :: v_dual_mov_b32 v2, 0
	v_mov_b32_e32 v18, 0
	s_add_co_i32 s4, s7, 1
	s_mov_b64 s[0:1], 0xffffffffffffffe0
	s_and_b32 s8, s4, 30
	s_add_nc_u64 s[0:1], s[2:3], s[0:1]
	s_mov_b64 s[4:5], s[2:3]
.LBB167_2135:                           ; =>This Inner Loop Header: Depth=1
	s_clause 0x1
	s_load_b128 s[20:23], s[4:5], 0x4
	s_load_b64 s[24:25], s[4:5], 0x14
	s_load_b256 s[12:19], s[0:1], 0xe4
	s_add_co_i32 s8, s8, -2
	s_wait_xcnt 0x0
	s_add_nc_u64 s[4:5], s[4:5], 24
	s_cmp_lg_u32 s8, 0
	s_add_nc_u64 s[0:1], s[0:1], 32
	s_wait_kmcnt 0x0
	v_mul_hi_u32 v7, s21, v3
	s_delay_alu instid0(VALU_DEP_1) | instskip(NEXT) | instid1(VALU_DEP_1)
	v_add_nc_u32_e32 v7, v3, v7
	v_lshrrev_b32_e32 v7, s22, v7
	s_delay_alu instid0(VALU_DEP_1) | instskip(SKIP_1) | instid1(VALU_DEP_2)
	v_mul_hi_u32 v8, s24, v7
	v_mul_lo_u32 v9, v7, s20
	v_add_nc_u32_e32 v8, v7, v8
	s_delay_alu instid0(VALU_DEP_1) | instskip(NEXT) | instid1(VALU_DEP_1)
	v_dual_sub_nc_u32 v9, v3, v9 :: v_dual_lshrrev_b32 v3, s25, v8
	v_mad_u32 v10, v9, s13, v18
	v_mad_u32 v2, v9, s12, v2
	;; [unrolled: 1-line block ×4, first 2 shown]
	v_mul_lo_u32 v8, v3, s23
	s_delay_alu instid0(VALU_DEP_1) | instskip(NEXT) | instid1(VALU_DEP_1)
	v_sub_nc_u32_e32 v7, v7, v8
	v_mad_u32 v18, v7, s17, v10
	v_mad_u32 v2, v7, s16, v2
	;; [unrolled: 1-line block ×4, first 2 shown]
	s_cbranch_scc1 .LBB167_2135
; %bb.2136:
	s_bitcmp1_b32 s7, 0
	s_cselect_b32 s7, -1, 0
	s_delay_alu instid0(SALU_CYCLE_1)
	s_and_b32 vcc_lo, exec_lo, s7
	s_cbranch_vccnz .LBB167_2139
; %bb.2137:
	s_load_b96 s[16:18], s[4:5], 0x4
	s_load_b128 s[12:15], s[0:1], 0xe4
	s_wait_kmcnt 0x0
	v_mul_hi_u32 v7, s17, v3
	s_delay_alu instid0(VALU_DEP_1) | instskip(NEXT) | instid1(VALU_DEP_1)
	v_add_nc_u32_e32 v7, v3, v7
	v_lshrrev_b32_e32 v7, s18, v7
	s_delay_alu instid0(VALU_DEP_1) | instskip(NEXT) | instid1(VALU_DEP_1)
	v_mul_lo_u32 v7, v7, s16
	v_sub_nc_u32_e32 v3, v3, v7
	s_delay_alu instid0(VALU_DEP_1)
	v_mad_u32 v2, v3, s12, v2
	v_mad_u32 v18, v3, s13, v18
	;; [unrolled: 1-line block ×4, first 2 shown]
	s_and_not1_b32 vcc_lo, exec_lo, s6
	s_cbranch_vccz .LBB167_2140
	s_branch .LBB167_2143
.LBB167_2138:
	s_mov_b32 s6, -1
                                        ; implicit-def: $vgpr18
                                        ; implicit-def: $vgpr2
                                        ; implicit-def: $vgpr14
                                        ; implicit-def: $vgpr16
.LBB167_2139:
	s_delay_alu instid0(SALU_CYCLE_1)
	s_and_not1_b32 vcc_lo, exec_lo, s6
	s_cbranch_vccnz .LBB167_2143
.LBB167_2140:
	s_clause 0x1
	s_load_b96 s[12:14], s[2:3], 0x4
	s_load_b128 s[4:7], s[2:3], 0xc4
	s_cmp_lt_u32 s33, 2
	s_wait_kmcnt 0x0
	v_mul_hi_u32 v2, s13, v0
	s_delay_alu instid0(VALU_DEP_1) | instskip(NEXT) | instid1(VALU_DEP_1)
	v_add_nc_u32_e32 v2, v0, v2
	v_lshrrev_b32_e32 v3, s14, v2
	s_delay_alu instid0(VALU_DEP_1) | instskip(NEXT) | instid1(VALU_DEP_1)
	v_mul_lo_u32 v2, v3, s12
	v_sub_nc_u32_e32 v0, v0, v2
	s_delay_alu instid0(VALU_DEP_1)
	v_mul_lo_u32 v18, v0, s5
	v_mul_lo_u32 v2, v0, s4
	;; [unrolled: 1-line block ×4, first 2 shown]
	s_cbranch_scc1 .LBB167_2143
; %bb.2141:
	s_clause 0x1
	s_load_b96 s[12:14], s[2:3], 0x10
	s_load_b128 s[4:7], s[2:3], 0xd4
	s_wait_kmcnt 0x0
	v_mul_hi_u32 v0, s13, v3
	s_delay_alu instid0(VALU_DEP_1) | instskip(NEXT) | instid1(VALU_DEP_1)
	v_add_nc_u32_e32 v0, v3, v0
	v_lshrrev_b32_e32 v0, s14, v0
	s_delay_alu instid0(VALU_DEP_1) | instskip(NEXT) | instid1(VALU_DEP_1)
	v_mul_lo_u32 v0, v0, s12
	v_sub_nc_u32_e32 v0, v3, v0
	s_delay_alu instid0(VALU_DEP_1)
	v_mad_u32 v2, v0, s4, v2
	v_mad_u32 v18, v0, s5, v18
	v_mad_u32 v16, v0, s6, v16
	v_mad_u32 v14, v0, s7, v14
	s_branch .LBB167_2143
.LBB167_2142:
	v_dual_mov_b32 v18, 0 :: v_dual_mov_b32 v2, 0
	v_dual_mov_b32 v14, 0 :: v_dual_mov_b32 v16, 0
	s_and_not1_b32 vcc_lo, exec_lo, s6
	s_cbranch_vccz .LBB167_2140
.LBB167_2143:
	v_cmp_ne_u32_e32 vcc_lo, 1, v1
	s_cbranch_vccnz .LBB167_2149
; %bb.2144:
	s_cmp_lg_u32 s33, 0
	s_mov_b32 s6, 0
	s_cbranch_scc0 .LBB167_2153
; %bb.2145:
	s_min_u32 s7, s34, 15
	v_dual_mov_b32 v10, 0 :: v_dual_mov_b32 v1, v5
	v_dual_mov_b32 v8, 0 :: v_dual_mov_b32 v0, 0
	v_mov_b32_e32 v12, 0
	s_add_co_i32 s4, s7, 1
	s_mov_b64 s[0:1], 0xffffffffffffffe0
	s_and_b32 s8, s4, 30
	s_add_nc_u64 s[0:1], s[2:3], s[0:1]
	s_mov_b64 s[4:5], s[2:3]
.LBB167_2146:                           ; =>This Inner Loop Header: Depth=1
	s_clause 0x1
	s_load_b128 s[20:23], s[4:5], 0x4
	s_load_b64 s[24:25], s[4:5], 0x14
	s_load_b256 s[12:19], s[0:1], 0xe4
	s_add_co_i32 s8, s8, -2
	s_wait_xcnt 0x0
	s_add_nc_u64 s[4:5], s[4:5], 24
	s_cmp_lg_u32 s8, 0
	s_add_nc_u64 s[0:1], s[0:1], 32
	s_wait_kmcnt 0x0
	v_mul_hi_u32 v3, s21, v1
	s_delay_alu instid0(VALU_DEP_1) | instskip(NEXT) | instid1(VALU_DEP_1)
	v_add_nc_u32_e32 v3, v1, v3
	v_lshrrev_b32_e32 v3, s22, v3
	s_delay_alu instid0(VALU_DEP_1) | instskip(SKIP_1) | instid1(VALU_DEP_1)
	v_mul_hi_u32 v7, s24, v3
	v_mul_lo_u32 v9, v3, s20
	v_dual_add_nc_u32 v7, v3, v7 :: v_dual_sub_nc_u32 v9, v1, v9
	s_delay_alu instid0(VALU_DEP_1) | instskip(NEXT) | instid1(VALU_DEP_2)
	v_lshrrev_b32_e32 v1, s25, v7
	v_mad_u32 v11, v9, s13, v12
	v_mad_u32 v0, v9, s12, v0
	;; [unrolled: 1-line block ×4, first 2 shown]
	v_mul_lo_u32 v7, v1, s23
	s_delay_alu instid0(VALU_DEP_1) | instskip(NEXT) | instid1(VALU_DEP_1)
	v_sub_nc_u32_e32 v3, v3, v7
	v_mad_u32 v12, v3, s17, v11
	v_mad_u32 v0, v3, s16, v0
	;; [unrolled: 1-line block ×4, first 2 shown]
	s_cbranch_scc1 .LBB167_2146
; %bb.2147:
	s_bitcmp1_b32 s7, 0
	s_cselect_b32 s7, -1, 0
	s_delay_alu instid0(SALU_CYCLE_1)
	s_and_b32 vcc_lo, exec_lo, s7
	s_cbranch_vccnz .LBB167_2150
; %bb.2148:
	s_load_b96 s[16:18], s[4:5], 0x4
	s_load_b128 s[12:15], s[0:1], 0xe4
	s_wait_kmcnt 0x0
	v_mul_hi_u32 v3, s17, v1
	s_delay_alu instid0(VALU_DEP_1) | instskip(NEXT) | instid1(VALU_DEP_1)
	v_add_nc_u32_e32 v3, v1, v3
	v_lshrrev_b32_e32 v3, s18, v3
	s_delay_alu instid0(VALU_DEP_1) | instskip(NEXT) | instid1(VALU_DEP_1)
	v_mul_lo_u32 v3, v3, s16
	v_sub_nc_u32_e32 v1, v1, v3
	s_delay_alu instid0(VALU_DEP_1)
	v_mad_u32 v0, v1, s12, v0
	v_mad_u32 v12, v1, s13, v12
	;; [unrolled: 1-line block ×4, first 2 shown]
	s_and_not1_b32 vcc_lo, exec_lo, s6
	s_cbranch_vccz .LBB167_2151
	s_branch .LBB167_2154
.LBB167_2149:
	s_mov_b32 s6, -1
                                        ; implicit-def: $vgpr12
                                        ; implicit-def: $vgpr0
                                        ; implicit-def: $vgpr8
                                        ; implicit-def: $vgpr10
.LBB167_2150:
	s_delay_alu instid0(SALU_CYCLE_1)
	s_and_not1_b32 vcc_lo, exec_lo, s6
	s_cbranch_vccnz .LBB167_2154
.LBB167_2151:
	s_clause 0x1
	s_load_b96 s[12:14], s[2:3], 0x4
	s_load_b128 s[4:7], s[2:3], 0xc4
	s_cmp_lt_u32 s33, 2
	s_wait_kmcnt 0x0
	v_mul_hi_u32 v0, s13, v5
	s_delay_alu instid0(VALU_DEP_1) | instskip(NEXT) | instid1(VALU_DEP_1)
	v_add_nc_u32_e32 v0, v5, v0
	v_lshrrev_b32_e32 v1, s14, v0
	s_delay_alu instid0(VALU_DEP_1) | instskip(NEXT) | instid1(VALU_DEP_1)
	v_mul_lo_u32 v0, v1, s12
	v_sub_nc_u32_e32 v3, v5, v0
	s_delay_alu instid0(VALU_DEP_1)
	v_mul_lo_u32 v12, v3, s5
	v_mul_lo_u32 v0, v3, s4
	;; [unrolled: 1-line block ×4, first 2 shown]
	s_cbranch_scc1 .LBB167_2154
; %bb.2152:
	s_clause 0x1
	s_load_b96 s[12:14], s[2:3], 0x10
	s_load_b128 s[4:7], s[2:3], 0xd4
	s_wait_kmcnt 0x0
	v_mul_hi_u32 v3, s13, v1
	s_delay_alu instid0(VALU_DEP_1) | instskip(NEXT) | instid1(VALU_DEP_1)
	v_add_nc_u32_e32 v3, v1, v3
	v_lshrrev_b32_e32 v3, s14, v3
	s_delay_alu instid0(VALU_DEP_1) | instskip(NEXT) | instid1(VALU_DEP_1)
	v_mul_lo_u32 v3, v3, s12
	v_sub_nc_u32_e32 v1, v1, v3
	s_delay_alu instid0(VALU_DEP_1)
	v_mad_u32 v0, v1, s4, v0
	v_mad_u32 v12, v1, s5, v12
	;; [unrolled: 1-line block ×4, first 2 shown]
	s_branch .LBB167_2154
.LBB167_2153:
	v_dual_mov_b32 v12, 0 :: v_dual_mov_b32 v0, 0
	v_dual_mov_b32 v8, 0 :: v_dual_mov_b32 v10, 0
	s_and_not1_b32 vcc_lo, exec_lo, s6
	s_cbranch_vccz .LBB167_2151
.LBB167_2154:
	v_mov_b32_e32 v31, 0
	s_load_b128 s[4:7], s[2:3], 0x1c8
	global_load_u8 v1, v31, s[2:3] offset:490
	s_wait_kmcnt 0x0
	v_add_nc_u64_e32 v[30:31], s[6:7], v[30:31]
	s_wait_loadcnt 0x0
	v_and_b32_e32 v3, 0xffff, v1
	v_readfirstlane_b32 s13, v1
	s_delay_alu instid0(VALU_DEP_2)
	v_cmp_gt_i32_e32 vcc_lo, 11, v3
	s_cbranch_vccnz .LBB167_2161
; %bb.2155:
	s_and_b32 s0, 0xffff, s13
	s_mov_b32 s8, 0
	s_cmp_gt_i32 s0, 25
	s_cbranch_scc0 .LBB167_2163
; %bb.2156:
	s_cmp_gt_i32 s0, 28
	s_cbranch_scc0 .LBB167_2164
; %bb.2157:
	;; [unrolled: 3-line block ×4, first 2 shown]
	s_cmp_eq_u32 s0, 46
	s_mov_b32 s12, 0
	s_cbranch_scc0 .LBB167_2169
; %bb.2160:
	global_load_b32 v1, v[30:31], off
	s_mov_b32 s1, 0
	s_mov_b32 s9, -1
	s_branch .LBB167_2171
.LBB167_2161:
	s_mov_b32 s9, 0
	s_mov_b32 s12, s10
                                        ; implicit-def: $vgpr1
	s_cbranch_execnz .LBB167_2234
.LBB167_2162:
	s_and_not1_b32 vcc_lo, exec_lo, s9
	s_cbranch_vccz .LBB167_2279
	s_branch .LBB167_4155
.LBB167_2163:
	s_mov_b32 s9, 0
	s_mov_b32 s1, 0
                                        ; implicit-def: $vgpr1
	s_cbranch_execnz .LBB167_2199
	s_branch .LBB167_2230
.LBB167_2164:
	s_mov_b32 s12, -1
	s_mov_b32 s9, 0
	s_mov_b32 s1, 0
                                        ; implicit-def: $vgpr1
	s_branch .LBB167_2180
.LBB167_2165:
	s_mov_b32 s9, 0
	s_mov_b32 s1, 0
                                        ; implicit-def: $vgpr1
	s_cbranch_execnz .LBB167_2176
	s_branch .LBB167_2179
.LBB167_2166:
	s_mov_b32 s12, -1
	s_mov_b32 s9, 0
	s_mov_b32 s1, 0
	s_branch .LBB167_2170
.LBB167_2167:
	s_and_not1_saveexec_b32 s9, s9
	s_cbranch_execz .LBB167_2022
.LBB167_2168:
	v_add_f32_e64 v4, 0x46000000, |v5|
	s_and_not1_b32 s8, s8, exec_lo
	s_delay_alu instid0(VALU_DEP_1) | instskip(NEXT) | instid1(VALU_DEP_1)
	v_and_b32_e32 v4, 0xff, v4
	v_cmp_ne_u32_e32 vcc_lo, 0, v4
	s_and_b32 s10, vcc_lo, exec_lo
	s_delay_alu instid0(SALU_CYCLE_1)
	s_or_b32 s8, s8, s10
	s_or_b32 exec_lo, exec_lo, s9
	v_mov_b32_e32 v6, 0
	s_and_saveexec_b32 s9, s8
	s_cbranch_execnz .LBB167_2023
	s_branch .LBB167_2024
.LBB167_2169:
	s_mov_b32 s1, -1
	s_mov_b32 s9, 0
.LBB167_2170:
                                        ; implicit-def: $vgpr1
.LBB167_2171:
	s_and_b32 vcc_lo, exec_lo, s12
	s_cbranch_vccz .LBB167_2174
; %bb.2172:
	s_cmp_eq_u32 s0, 44
	s_cbranch_scc0 .LBB167_2175
; %bb.2173:
	s_wait_loadcnt 0x0
	global_load_u8 v1, v[30:31], off
	s_mov_b32 s1, 0
	s_mov_b32 s9, -1
	s_wait_loadcnt 0x0
	v_lshlrev_b32_e32 v3, 23, v1
	v_cmp_ne_u32_e32 vcc_lo, 0xff, v1
	s_delay_alu instid0(VALU_DEP_2) | instskip(SKIP_1) | instid1(VALU_DEP_2)
	v_cndmask_b32_e32 v3, 0x7f800001, v3, vcc_lo
	v_cmp_ne_u32_e32 vcc_lo, 0, v1
	v_cndmask_b32_e32 v1, 0x400000, v3, vcc_lo
	s_delay_alu instid0(VALU_DEP_1) | instskip(SKIP_1) | instid1(VALU_DEP_2)
	v_add_nc_u32_e32 v3, 0x7fff, v1
	v_cmp_o_f32_e32 vcc_lo, v1, v1
	v_lshrrev_b32_e32 v3, 16, v3
	s_delay_alu instid0(VALU_DEP_1)
	v_cndmask_b32_e32 v1, 0x7fc0, v3, vcc_lo
.LBB167_2174:
	s_branch .LBB167_2179
.LBB167_2175:
	s_mov_b32 s1, -1
                                        ; implicit-def: $vgpr1
	s_branch .LBB167_2179
.LBB167_2176:
	s_cmp_eq_u32 s0, 29
	s_cbranch_scc0 .LBB167_2178
; %bb.2177:
	global_load_b64 v[32:33], v[30:31], off
	s_mov_b32 s1, 0
	s_mov_b32 s9, -1
	s_mov_b32 s12, 0
	s_wait_loadcnt 0x0
	v_clz_i32_u32_e32 v1, v33
	s_delay_alu instid0(VALU_DEP_1) | instskip(NEXT) | instid1(VALU_DEP_1)
	v_min_u32_e32 v1, 32, v1
	v_lshlrev_b64_e32 v[32:33], v1, v[32:33]
	v_sub_nc_u32_e32 v1, 32, v1
	s_delay_alu instid0(VALU_DEP_2) | instskip(NEXT) | instid1(VALU_DEP_1)
	v_min_u32_e32 v3, 1, v32
	v_or_b32_e32 v3, v33, v3
	s_delay_alu instid0(VALU_DEP_1) | instskip(NEXT) | instid1(VALU_DEP_1)
	v_cvt_f32_u32_e32 v3, v3
	v_ldexp_f32 v1, v3, v1
	s_delay_alu instid0(VALU_DEP_1) | instskip(NEXT) | instid1(VALU_DEP_1)
	v_bfe_u32 v3, v1, 16, 1
	v_add3_u32 v1, v1, v3, 0x7fff
	s_delay_alu instid0(VALU_DEP_1)
	v_lshrrev_b32_e32 v1, 16, v1
	s_branch .LBB167_2180
.LBB167_2178:
	s_mov_b32 s1, -1
                                        ; implicit-def: $vgpr1
.LBB167_2179:
	s_mov_b32 s12, 0
.LBB167_2180:
	s_delay_alu instid0(SALU_CYCLE_1)
	s_and_b32 vcc_lo, exec_lo, s12
	s_cbranch_vccz .LBB167_2198
; %bb.2181:
	s_cmp_lt_i32 s0, 27
	s_cbranch_scc1 .LBB167_2184
; %bb.2182:
	s_cmp_gt_i32 s0, 27
	s_cbranch_scc0 .LBB167_2185
; %bb.2183:
	s_wait_loadcnt 0x0
	global_load_b32 v1, v[30:31], off
	s_mov_b32 s9, 0
	s_wait_loadcnt 0x0
	v_cvt_f32_u32_e32 v1, v1
	s_delay_alu instid0(VALU_DEP_1) | instskip(NEXT) | instid1(VALU_DEP_1)
	v_bfe_u32 v3, v1, 16, 1
	v_add3_u32 v1, v1, v3, 0x7fff
	s_delay_alu instid0(VALU_DEP_1)
	v_lshrrev_b32_e32 v1, 16, v1
	s_branch .LBB167_2186
.LBB167_2184:
	s_mov_b32 s9, -1
                                        ; implicit-def: $vgpr1
	s_branch .LBB167_2189
.LBB167_2185:
	s_mov_b32 s9, -1
                                        ; implicit-def: $vgpr1
.LBB167_2186:
	s_delay_alu instid0(SALU_CYCLE_1)
	s_and_not1_b32 vcc_lo, exec_lo, s9
	s_cbranch_vccnz .LBB167_2188
; %bb.2187:
	s_wait_loadcnt 0x0
	global_load_u16 v1, v[30:31], off
	s_wait_loadcnt 0x0
	v_cvt_f32_u32_e32 v1, v1
	s_delay_alu instid0(VALU_DEP_1) | instskip(NEXT) | instid1(VALU_DEP_1)
	v_bfe_u32 v3, v1, 16, 1
	v_add3_u32 v1, v1, v3, 0x7fff
	s_delay_alu instid0(VALU_DEP_1)
	v_lshrrev_b32_e32 v1, 16, v1
.LBB167_2188:
	s_mov_b32 s9, 0
.LBB167_2189:
	s_delay_alu instid0(SALU_CYCLE_1)
	s_and_not1_b32 vcc_lo, exec_lo, s9
	s_cbranch_vccnz .LBB167_2197
; %bb.2190:
	s_wait_loadcnt 0x0
	global_load_u8 v1, v[30:31], off
	s_mov_b32 s9, 0
	s_mov_b32 s12, exec_lo
	s_wait_loadcnt 0x0
	v_cmpx_lt_i16_e32 0x7f, v1
	s_xor_b32 s12, exec_lo, s12
	s_cbranch_execz .LBB167_2210
; %bb.2191:
	s_mov_b32 s9, -1
	s_mov_b32 s14, exec_lo
	v_cmpx_eq_u16_e32 0x80, v1
; %bb.2192:
	s_xor_b32 s9, exec_lo, -1
; %bb.2193:
	s_or_b32 exec_lo, exec_lo, s14
	s_delay_alu instid0(SALU_CYCLE_1)
	s_and_b32 s9, s9, exec_lo
	s_or_saveexec_b32 s12, s12
	v_mov_b32_e32 v3, 0x7f800001
	s_xor_b32 exec_lo, exec_lo, s12
	s_cbranch_execnz .LBB167_2211
.LBB167_2194:
	s_or_b32 exec_lo, exec_lo, s12
	s_and_saveexec_b32 s12, s9
	s_cbranch_execz .LBB167_2196
.LBB167_2195:
	v_and_b32_e32 v3, 0xffff, v1
	s_delay_alu instid0(VALU_DEP_1) | instskip(SKIP_1) | instid1(VALU_DEP_2)
	v_dual_lshlrev_b32 v1, 24, v1 :: v_dual_bitop2_b32 v5, 7, v3 bitop3:0x40
	v_bfe_u32 v11, v3, 3, 4
	v_and_b32_e32 v1, 0x80000000, v1
	s_delay_alu instid0(VALU_DEP_3) | instskip(NEXT) | instid1(VALU_DEP_3)
	v_clz_i32_u32_e32 v7, v5
	v_cmp_eq_u32_e32 vcc_lo, 0, v11
	s_delay_alu instid0(VALU_DEP_2) | instskip(NEXT) | instid1(VALU_DEP_1)
	v_min_u32_e32 v7, 32, v7
	v_subrev_nc_u32_e32 v9, 28, v7
	v_sub_nc_u32_e32 v7, 29, v7
	s_delay_alu instid0(VALU_DEP_2) | instskip(NEXT) | instid1(VALU_DEP_2)
	v_lshlrev_b32_e32 v3, v9, v3
	v_cndmask_b32_e32 v7, v11, v7, vcc_lo
	s_delay_alu instid0(VALU_DEP_2) | instskip(NEXT) | instid1(VALU_DEP_1)
	v_and_b32_e32 v3, 7, v3
	v_cndmask_b32_e32 v3, v5, v3, vcc_lo
	s_delay_alu instid0(VALU_DEP_3) | instskip(NEXT) | instid1(VALU_DEP_2)
	v_lshl_add_u32 v5, v7, 23, 0x3b800000
	v_lshlrev_b32_e32 v3, 20, v3
	s_delay_alu instid0(VALU_DEP_1)
	v_or3_b32 v3, v1, v5, v3
.LBB167_2196:
	s_or_b32 exec_lo, exec_lo, s12
	s_delay_alu instid0(VALU_DEP_1) | instskip(SKIP_1) | instid1(VALU_DEP_2)
	v_bfe_u32 v1, v3, 16, 1
	v_cmp_o_f32_e32 vcc_lo, v3, v3
	v_add3_u32 v1, v3, v1, 0x7fff
	s_delay_alu instid0(VALU_DEP_1) | instskip(NEXT) | instid1(VALU_DEP_1)
	v_lshrrev_b32_e32 v1, 16, v1
	v_cndmask_b32_e32 v1, 0x7fc0, v1, vcc_lo
.LBB167_2197:
	s_mov_b32 s9, -1
.LBB167_2198:
	s_branch .LBB167_2230
.LBB167_2199:
	s_cmp_gt_i32 s0, 22
	s_cbranch_scc0 .LBB167_2209
; %bb.2200:
	s_cmp_lt_i32 s0, 24
	s_cbranch_scc1 .LBB167_2212
; %bb.2201:
	s_cmp_gt_i32 s0, 24
	s_cbranch_scc0 .LBB167_2213
; %bb.2202:
	s_wait_loadcnt 0x0
	global_load_u8 v1, v[30:31], off
	s_mov_b32 s9, exec_lo
	s_wait_loadcnt 0x0
	v_cmpx_lt_i16_e32 0x7f, v1
	s_xor_b32 s9, exec_lo, s9
	s_cbranch_execz .LBB167_2224
; %bb.2203:
	s_mov_b32 s8, -1
	s_mov_b32 s12, exec_lo
	v_cmpx_eq_u16_e32 0x80, v1
; %bb.2204:
	s_xor_b32 s8, exec_lo, -1
; %bb.2205:
	s_or_b32 exec_lo, exec_lo, s12
	s_delay_alu instid0(SALU_CYCLE_1)
	s_and_b32 s8, s8, exec_lo
	s_or_saveexec_b32 s9, s9
	v_mov_b32_e32 v3, 0x7f800001
	s_xor_b32 exec_lo, exec_lo, s9
	s_cbranch_execnz .LBB167_2225
.LBB167_2206:
	s_or_b32 exec_lo, exec_lo, s9
	s_and_saveexec_b32 s9, s8
	s_cbranch_execz .LBB167_2208
.LBB167_2207:
	v_and_b32_e32 v3, 0xffff, v1
	s_delay_alu instid0(VALU_DEP_1) | instskip(SKIP_1) | instid1(VALU_DEP_2)
	v_dual_lshlrev_b32 v1, 24, v1 :: v_dual_bitop2_b32 v5, 3, v3 bitop3:0x40
	v_bfe_u32 v11, v3, 2, 5
	v_and_b32_e32 v1, 0x80000000, v1
	s_delay_alu instid0(VALU_DEP_3) | instskip(NEXT) | instid1(VALU_DEP_3)
	v_clz_i32_u32_e32 v7, v5
	v_cmp_eq_u32_e32 vcc_lo, 0, v11
	s_delay_alu instid0(VALU_DEP_2) | instskip(NEXT) | instid1(VALU_DEP_1)
	v_min_u32_e32 v7, 32, v7
	v_subrev_nc_u32_e32 v9, 29, v7
	v_sub_nc_u32_e32 v7, 30, v7
	s_delay_alu instid0(VALU_DEP_2) | instskip(NEXT) | instid1(VALU_DEP_2)
	v_lshlrev_b32_e32 v3, v9, v3
	v_cndmask_b32_e32 v7, v11, v7, vcc_lo
	s_delay_alu instid0(VALU_DEP_2) | instskip(NEXT) | instid1(VALU_DEP_1)
	v_and_b32_e32 v3, 3, v3
	v_cndmask_b32_e32 v3, v5, v3, vcc_lo
	s_delay_alu instid0(VALU_DEP_3) | instskip(NEXT) | instid1(VALU_DEP_2)
	v_lshl_add_u32 v5, v7, 23, 0x37800000
	v_lshlrev_b32_e32 v3, 21, v3
	s_delay_alu instid0(VALU_DEP_1)
	v_or3_b32 v3, v1, v5, v3
.LBB167_2208:
	s_or_b32 exec_lo, exec_lo, s9
	s_delay_alu instid0(VALU_DEP_1) | instskip(SKIP_2) | instid1(VALU_DEP_2)
	v_bfe_u32 v1, v3, 16, 1
	v_cmp_o_f32_e32 vcc_lo, v3, v3
	s_mov_b32 s8, 0
	v_add3_u32 v1, v3, v1, 0x7fff
	s_delay_alu instid0(VALU_DEP_1) | instskip(NEXT) | instid1(VALU_DEP_1)
	v_lshrrev_b32_e32 v1, 16, v1
	v_cndmask_b32_e32 v1, 0x7fc0, v1, vcc_lo
	s_branch .LBB167_2214
.LBB167_2209:
                                        ; implicit-def: $vgpr1
	s_mov_b32 s8, 0
	s_branch .LBB167_2220
.LBB167_2210:
	s_or_saveexec_b32 s12, s12
	v_mov_b32_e32 v3, 0x7f800001
	s_xor_b32 exec_lo, exec_lo, s12
	s_cbranch_execz .LBB167_2194
.LBB167_2211:
	v_cmp_ne_u16_e32 vcc_lo, 0, v1
	v_mov_b32_e32 v3, 0
	s_and_not1_b32 s9, s9, exec_lo
	s_and_b32 s14, vcc_lo, exec_lo
	s_delay_alu instid0(SALU_CYCLE_1)
	s_or_b32 s9, s9, s14
	s_or_b32 exec_lo, exec_lo, s12
	s_and_saveexec_b32 s12, s9
	s_cbranch_execnz .LBB167_2195
	s_branch .LBB167_2196
.LBB167_2212:
	s_mov_b32 s8, -1
                                        ; implicit-def: $vgpr1
	s_branch .LBB167_2217
.LBB167_2213:
	s_mov_b32 s8, -1
                                        ; implicit-def: $vgpr1
.LBB167_2214:
	s_delay_alu instid0(SALU_CYCLE_1)
	s_and_b32 vcc_lo, exec_lo, s8
	s_cbranch_vccz .LBB167_2216
; %bb.2215:
	s_wait_loadcnt 0x0
	global_load_u8 v1, v[30:31], off
	s_wait_loadcnt 0x0
	v_lshlrev_b32_e32 v1, 24, v1
	s_delay_alu instid0(VALU_DEP_1) | instskip(NEXT) | instid1(VALU_DEP_1)
	v_and_b32_e32 v3, 0x7f000000, v1
	v_clz_i32_u32_e32 v5, v3
	v_add_nc_u32_e32 v9, 0x1000000, v3
	v_cmp_ne_u32_e32 vcc_lo, 0, v3
	s_delay_alu instid0(VALU_DEP_3) | instskip(NEXT) | instid1(VALU_DEP_1)
	v_min_u32_e32 v5, 32, v5
	v_sub_nc_u32_e64 v5, v5, 4 clamp
	s_delay_alu instid0(VALU_DEP_1) | instskip(NEXT) | instid1(VALU_DEP_1)
	v_dual_lshlrev_b32 v7, v5, v3 :: v_dual_lshlrev_b32 v5, 23, v5
	v_lshrrev_b32_e32 v7, 4, v7
	s_delay_alu instid0(VALU_DEP_1) | instskip(SKIP_1) | instid1(VALU_DEP_2)
	v_sub_nc_u32_e32 v5, v7, v5
	v_ashrrev_i32_e32 v7, 8, v9
	v_add_nc_u32_e32 v5, 0x3c000000, v5
	s_delay_alu instid0(VALU_DEP_1) | instskip(NEXT) | instid1(VALU_DEP_1)
	v_and_or_b32 v5, 0x7f800000, v7, v5
	v_cndmask_b32_e32 v3, 0, v5, vcc_lo
	s_delay_alu instid0(VALU_DEP_1) | instskip(SKIP_1) | instid1(VALU_DEP_2)
	v_and_or_b32 v1, 0x80000000, v1, v3
	v_bfe_u32 v3, v3, 16, 1
	v_cmp_o_f32_e32 vcc_lo, v1, v1
	s_delay_alu instid0(VALU_DEP_2) | instskip(NEXT) | instid1(VALU_DEP_1)
	v_add3_u32 v3, v1, v3, 0x7fff
	v_lshrrev_b32_e32 v3, 16, v3
	s_delay_alu instid0(VALU_DEP_1)
	v_cndmask_b32_e32 v1, 0x7fc0, v3, vcc_lo
.LBB167_2216:
	s_mov_b32 s8, 0
.LBB167_2217:
	s_delay_alu instid0(SALU_CYCLE_1)
	s_and_not1_b32 vcc_lo, exec_lo, s8
	s_cbranch_vccnz .LBB167_2219
; %bb.2218:
	s_wait_loadcnt 0x0
	global_load_u8 v1, v[30:31], off
	s_wait_loadcnt 0x0
	v_lshlrev_b32_e32 v3, 25, v1
	v_lshlrev_b16 v1, 8, v1
	s_delay_alu instid0(VALU_DEP_1) | instskip(SKIP_1) | instid1(VALU_DEP_2)
	v_and_or_b32 v7, 0x7f00, v1, 0.5
	v_bfe_i32 v1, v1, 0, 16
	v_add_f32_e32 v7, -0.5, v7
	v_lshrrev_b32_e32 v5, 4, v3
	v_cmp_gt_u32_e32 vcc_lo, 0x8000000, v3
	s_delay_alu instid0(VALU_DEP_2) | instskip(NEXT) | instid1(VALU_DEP_1)
	v_or_b32_e32 v5, 0x70000000, v5
	v_mul_f32_e32 v5, 0x7800000, v5
	s_delay_alu instid0(VALU_DEP_1) | instskip(NEXT) | instid1(VALU_DEP_1)
	v_cndmask_b32_e32 v3, v5, v7, vcc_lo
	v_and_or_b32 v1, 0x80000000, v1, v3
	v_bfe_u32 v3, v3, 16, 1
	s_delay_alu instid0(VALU_DEP_2) | instskip(NEXT) | instid1(VALU_DEP_2)
	v_cmp_o_f32_e32 vcc_lo, v1, v1
	v_add3_u32 v3, v1, v3, 0x7fff
	s_delay_alu instid0(VALU_DEP_1) | instskip(NEXT) | instid1(VALU_DEP_1)
	v_lshrrev_b32_e32 v3, 16, v3
	v_cndmask_b32_e32 v1, 0x7fc0, v3, vcc_lo
.LBB167_2219:
	s_mov_b32 s9, -1
	s_mov_b32 s8, 0
	s_cbranch_execnz .LBB167_2230
.LBB167_2220:
	s_cmp_gt_i32 s0, 14
	s_cbranch_scc0 .LBB167_2223
; %bb.2221:
	s_cmp_eq_u32 s0, 15
	s_cbranch_scc0 .LBB167_2226
; %bb.2222:
	s_wait_loadcnt 0x0
	global_load_u16 v1, v[30:31], off
	s_mov_b32 s1, 0
	s_mov_b32 s9, -1
	s_branch .LBB167_2228
.LBB167_2223:
	s_mov_b32 s8, -1
	s_branch .LBB167_2227
.LBB167_2224:
	s_or_saveexec_b32 s9, s9
	v_mov_b32_e32 v3, 0x7f800001
	s_xor_b32 exec_lo, exec_lo, s9
	s_cbranch_execz .LBB167_2206
.LBB167_2225:
	v_cmp_ne_u16_e32 vcc_lo, 0, v1
	v_mov_b32_e32 v3, 0
	s_and_not1_b32 s8, s8, exec_lo
	s_and_b32 s12, vcc_lo, exec_lo
	s_delay_alu instid0(SALU_CYCLE_1)
	s_or_b32 s8, s8, s12
	s_or_b32 exec_lo, exec_lo, s9
	s_and_saveexec_b32 s9, s8
	s_cbranch_execnz .LBB167_2207
	s_branch .LBB167_2208
.LBB167_2226:
	s_mov_b32 s1, -1
.LBB167_2227:
                                        ; implicit-def: $vgpr1
.LBB167_2228:
	s_and_b32 vcc_lo, exec_lo, s8
	s_mov_b32 s8, 0
	s_cbranch_vccz .LBB167_2230
; %bb.2229:
	s_cmp_lg_u32 s0, 11
	s_mov_b32 s8, -1
	s_cselect_b32 s1, -1, 0
.LBB167_2230:
	s_delay_alu instid0(SALU_CYCLE_1)
	s_and_b32 vcc_lo, exec_lo, s1
	s_mov_b32 s12, s10
	s_cbranch_vccnz .LBB167_2291
; %bb.2231:
	s_and_not1_b32 vcc_lo, exec_lo, s8
	s_cbranch_vccnz .LBB167_2233
.LBB167_2232:
	s_wait_loadcnt 0x0
	global_load_u8 v1, v[30:31], off
	s_mov_b32 s9, -1
	s_wait_loadcnt 0x0
	v_cmp_ne_u16_e32 vcc_lo, 0, v1
	v_cndmask_b32_e64 v1, 0, 1.0, vcc_lo
	s_delay_alu instid0(VALU_DEP_1)
	v_lshrrev_b32_e32 v1, 16, v1
.LBB167_2233:
	s_branch .LBB167_2162
.LBB167_2234:
	s_and_b32 s0, 0xffff, s13
	s_delay_alu instid0(SALU_CYCLE_1)
	s_cmp_lt_i32 s0, 5
	s_cbranch_scc1 .LBB167_2239
; %bb.2235:
	s_cmp_lt_i32 s0, 8
	s_cbranch_scc1 .LBB167_2240
; %bb.2236:
	;; [unrolled: 3-line block ×3, first 2 shown]
	s_cmp_gt_i32 s0, 9
	s_cbranch_scc0 .LBB167_2242
; %bb.2238:
	global_load_b64 v[32:33], v[30:31], off
	s_mov_b32 s1, 0
	s_wait_loadcnt 0x0
	v_cvt_f32_f64_e32 v1, v[32:33]
	s_delay_alu instid0(VALU_DEP_1) | instskip(SKIP_1) | instid1(VALU_DEP_2)
	v_bfe_u32 v3, v1, 16, 1
	v_cmp_o_f32_e32 vcc_lo, v1, v1
	v_add3_u32 v3, v1, v3, 0x7fff
	s_delay_alu instid0(VALU_DEP_1) | instskip(NEXT) | instid1(VALU_DEP_1)
	v_lshrrev_b32_e32 v3, 16, v3
	v_cndmask_b32_e32 v1, 0x7fc0, v3, vcc_lo
	s_branch .LBB167_2243
.LBB167_2239:
                                        ; implicit-def: $vgpr1
	s_branch .LBB167_2260
.LBB167_2240:
                                        ; implicit-def: $vgpr1
	s_branch .LBB167_2249
.LBB167_2241:
	s_mov_b32 s1, -1
                                        ; implicit-def: $vgpr1
	s_branch .LBB167_2246
.LBB167_2242:
	s_mov_b32 s1, -1
                                        ; implicit-def: $vgpr1
.LBB167_2243:
	s_delay_alu instid0(SALU_CYCLE_1)
	s_and_not1_b32 vcc_lo, exec_lo, s1
	s_cbranch_vccnz .LBB167_2245
; %bb.2244:
	s_wait_loadcnt 0x0
	global_load_b32 v1, v[30:31], off
	s_wait_loadcnt 0x0
	v_bfe_u32 v3, v1, 16, 1
	v_cmp_o_f32_e32 vcc_lo, v1, v1
	s_delay_alu instid0(VALU_DEP_2) | instskip(NEXT) | instid1(VALU_DEP_1)
	v_add3_u32 v3, v1, v3, 0x7fff
	v_lshrrev_b32_e32 v3, 16, v3
	s_delay_alu instid0(VALU_DEP_1)
	v_cndmask_b32_e32 v1, 0x7fc0, v3, vcc_lo
.LBB167_2245:
	s_mov_b32 s1, 0
.LBB167_2246:
	s_delay_alu instid0(SALU_CYCLE_1)
	s_and_not1_b32 vcc_lo, exec_lo, s1
	s_cbranch_vccnz .LBB167_2248
; %bb.2247:
	s_wait_loadcnt 0x0
	global_load_b32 v1, v[30:31], off
	s_wait_loadcnt 0x0
	v_cvt_f32_f16_e32 v3, v1
	v_cmp_o_f16_e32 vcc_lo, v1, v1
	s_delay_alu instid0(VALU_DEP_2) | instskip(NEXT) | instid1(VALU_DEP_1)
	v_bfe_u32 v5, v3, 16, 1
	v_add3_u32 v3, v3, v5, 0x7fff
	s_delay_alu instid0(VALU_DEP_1) | instskip(NEXT) | instid1(VALU_DEP_1)
	v_lshrrev_b32_e32 v3, 16, v3
	v_cndmask_b32_e32 v1, 0x7fc0, v3, vcc_lo
.LBB167_2248:
	s_cbranch_execnz .LBB167_2259
.LBB167_2249:
	s_cmp_lt_i32 s0, 6
	s_cbranch_scc1 .LBB167_2252
; %bb.2250:
	s_cmp_gt_i32 s0, 6
	s_cbranch_scc0 .LBB167_2253
; %bb.2251:
	global_load_b64 v[32:33], v[30:31], off
	s_mov_b32 s1, 0
	s_wait_loadcnt 0x0
	v_cvt_f32_f64_e32 v1, v[32:33]
	s_delay_alu instid0(VALU_DEP_1) | instskip(SKIP_1) | instid1(VALU_DEP_2)
	v_bfe_u32 v3, v1, 16, 1
	v_cmp_o_f32_e32 vcc_lo, v1, v1
	v_add3_u32 v3, v1, v3, 0x7fff
	s_delay_alu instid0(VALU_DEP_1) | instskip(NEXT) | instid1(VALU_DEP_1)
	v_lshrrev_b32_e32 v3, 16, v3
	v_cndmask_b32_e32 v1, 0x7fc0, v3, vcc_lo
	s_branch .LBB167_2254
.LBB167_2252:
	s_mov_b32 s1, -1
                                        ; implicit-def: $vgpr1
	s_branch .LBB167_2257
.LBB167_2253:
	s_mov_b32 s1, -1
                                        ; implicit-def: $vgpr1
.LBB167_2254:
	s_delay_alu instid0(SALU_CYCLE_1)
	s_and_not1_b32 vcc_lo, exec_lo, s1
	s_cbranch_vccnz .LBB167_2256
; %bb.2255:
	s_wait_loadcnt 0x0
	global_load_b32 v1, v[30:31], off
	s_wait_loadcnt 0x0
	v_bfe_u32 v3, v1, 16, 1
	v_cmp_o_f32_e32 vcc_lo, v1, v1
	s_delay_alu instid0(VALU_DEP_2) | instskip(NEXT) | instid1(VALU_DEP_1)
	v_add3_u32 v3, v1, v3, 0x7fff
	v_lshrrev_b32_e32 v3, 16, v3
	s_delay_alu instid0(VALU_DEP_1)
	v_cndmask_b32_e32 v1, 0x7fc0, v3, vcc_lo
.LBB167_2256:
	s_mov_b32 s1, 0
.LBB167_2257:
	s_delay_alu instid0(SALU_CYCLE_1)
	s_and_not1_b32 vcc_lo, exec_lo, s1
	s_cbranch_vccnz .LBB167_2259
; %bb.2258:
	s_wait_loadcnt 0x0
	global_load_u16 v1, v[30:31], off
	s_wait_loadcnt 0x0
	v_cvt_f32_f16_e32 v3, v1
	v_cmp_o_f16_e32 vcc_lo, v1, v1
	s_delay_alu instid0(VALU_DEP_2) | instskip(NEXT) | instid1(VALU_DEP_1)
	v_bfe_u32 v5, v3, 16, 1
	v_add3_u32 v3, v3, v5, 0x7fff
	s_delay_alu instid0(VALU_DEP_1) | instskip(NEXT) | instid1(VALU_DEP_1)
	v_lshrrev_b32_e32 v3, 16, v3
	v_cndmask_b32_e32 v1, 0x7fc0, v3, vcc_lo
.LBB167_2259:
	s_cbranch_execnz .LBB167_2278
.LBB167_2260:
	s_cmp_lt_i32 s0, 2
	s_cbranch_scc1 .LBB167_2264
; %bb.2261:
	s_cmp_lt_i32 s0, 3
	s_cbranch_scc1 .LBB167_2265
; %bb.2262:
	s_cmp_gt_i32 s0, 3
	s_cbranch_scc0 .LBB167_2266
; %bb.2263:
	global_load_b64 v[32:33], v[30:31], off
	s_mov_b32 s1, 0
	s_wait_loadcnt 0x0
	v_xor_b32_e32 v1, v32, v33
	v_cls_i32_e32 v3, v33
	s_delay_alu instid0(VALU_DEP_2) | instskip(NEXT) | instid1(VALU_DEP_1)
	v_ashrrev_i32_e32 v1, 31, v1
	v_add_nc_u32_e32 v1, 32, v1
	s_delay_alu instid0(VALU_DEP_1) | instskip(NEXT) | instid1(VALU_DEP_1)
	v_add_min_u32_e64 v1, v3, -1, v1
	v_lshlrev_b64_e32 v[32:33], v1, v[32:33]
	v_sub_nc_u32_e32 v1, 32, v1
	s_delay_alu instid0(VALU_DEP_2) | instskip(NEXT) | instid1(VALU_DEP_1)
	v_min_u32_e32 v3, 1, v32
	v_or_b32_e32 v3, v33, v3
	s_delay_alu instid0(VALU_DEP_1) | instskip(NEXT) | instid1(VALU_DEP_1)
	v_cvt_f32_i32_e32 v3, v3
	v_ldexp_f32 v1, v3, v1
	s_delay_alu instid0(VALU_DEP_1) | instskip(NEXT) | instid1(VALU_DEP_1)
	v_bfe_u32 v3, v1, 16, 1
	v_add3_u32 v1, v1, v3, 0x7fff
	s_delay_alu instid0(VALU_DEP_1)
	v_lshrrev_b32_e32 v1, 16, v1
	s_branch .LBB167_2267
.LBB167_2264:
                                        ; implicit-def: $vgpr1
	s_branch .LBB167_2273
.LBB167_2265:
	s_mov_b32 s1, -1
                                        ; implicit-def: $vgpr1
	s_branch .LBB167_2270
.LBB167_2266:
	s_mov_b32 s1, -1
                                        ; implicit-def: $vgpr1
.LBB167_2267:
	s_delay_alu instid0(SALU_CYCLE_1)
	s_and_not1_b32 vcc_lo, exec_lo, s1
	s_cbranch_vccnz .LBB167_2269
; %bb.2268:
	s_wait_loadcnt 0x0
	global_load_b32 v1, v[30:31], off
	s_wait_loadcnt 0x0
	v_cvt_f32_i32_e32 v1, v1
	s_delay_alu instid0(VALU_DEP_1) | instskip(NEXT) | instid1(VALU_DEP_1)
	v_bfe_u32 v3, v1, 16, 1
	v_add3_u32 v1, v1, v3, 0x7fff
	s_delay_alu instid0(VALU_DEP_1)
	v_lshrrev_b32_e32 v1, 16, v1
.LBB167_2269:
	s_mov_b32 s1, 0
.LBB167_2270:
	s_delay_alu instid0(SALU_CYCLE_1)
	s_and_not1_b32 vcc_lo, exec_lo, s1
	s_cbranch_vccnz .LBB167_2272
; %bb.2271:
	s_wait_loadcnt 0x0
	global_load_i16 v1, v[30:31], off
	s_wait_loadcnt 0x0
	v_cvt_f32_i32_e32 v1, v1
	s_delay_alu instid0(VALU_DEP_1) | instskip(NEXT) | instid1(VALU_DEP_1)
	v_bfe_u32 v3, v1, 16, 1
	v_add3_u32 v1, v1, v3, 0x7fff
	s_delay_alu instid0(VALU_DEP_1)
	v_lshrrev_b32_e32 v1, 16, v1
.LBB167_2272:
	s_cbranch_execnz .LBB167_2278
.LBB167_2273:
	s_cmp_gt_i32 s0, 0
	s_mov_b32 s0, 0
	s_cbranch_scc0 .LBB167_2275
; %bb.2274:
	s_wait_loadcnt 0x0
	global_load_i8 v1, v[30:31], off
	s_wait_loadcnt 0x0
	v_cvt_f32_i32_e32 v1, v1
	s_delay_alu instid0(VALU_DEP_1) | instskip(NEXT) | instid1(VALU_DEP_1)
	v_bfe_u32 v3, v1, 16, 1
	v_add3_u32 v1, v1, v3, 0x7fff
	s_delay_alu instid0(VALU_DEP_1)
	v_lshrrev_b32_e32 v1, 16, v1
	s_branch .LBB167_2276
.LBB167_2275:
	s_mov_b32 s0, -1
                                        ; implicit-def: $vgpr1
.LBB167_2276:
	s_delay_alu instid0(SALU_CYCLE_1)
	s_and_not1_b32 vcc_lo, exec_lo, s0
	s_cbranch_vccnz .LBB167_2278
; %bb.2277:
	s_wait_loadcnt 0x0
	global_load_u8 v1, v[30:31], off
	s_wait_loadcnt 0x0
	v_cvt_f32_ubyte0_e32 v1, v1
	s_delay_alu instid0(VALU_DEP_1) | instskip(NEXT) | instid1(VALU_DEP_1)
	v_bfe_u32 v3, v1, 16, 1
	v_add3_u32 v1, v1, v3, 0x7fff
	s_delay_alu instid0(VALU_DEP_1)
	v_lshrrev_b32_e32 v1, 16, v1
.LBB167_2278:
.LBB167_2279:
	v_mov_b32_e32 v29, 0
	s_load_b64 s[0:1], s[2:3], 0x1d8
	global_load_u8 v3, v29, s[2:3] offset:491
	s_wait_kmcnt 0x0
	v_add_nc_u64_e32 v[28:29], s[0:1], v[28:29]
	s_wait_loadcnt 0x0
	v_and_b32_e32 v5, 0xffff, v3
	v_readfirstlane_b32 s14, v3
	s_delay_alu instid0(VALU_DEP_2)
	v_cmp_gt_i32_e32 vcc_lo, 11, v5
	s_cbranch_vccnz .LBB167_2286
; %bb.2280:
	s_and_b32 s8, 0xffff, s14
	s_mov_b32 s15, 0
	s_cmp_gt_i32 s8, 25
	s_cbranch_scc0 .LBB167_2288
; %bb.2281:
	s_cmp_gt_i32 s8, 28
	s_cbranch_scc0 .LBB167_2289
; %bb.2282:
	;; [unrolled: 3-line block ×4, first 2 shown]
	s_cmp_eq_u32 s8, 46
	s_mov_b32 s17, 0
	s_cbranch_scc0 .LBB167_2295
; %bb.2285:
	global_load_b32 v3, v[28:29], off
	s_mov_b32 s9, 0
	s_mov_b32 s16, -1
	s_branch .LBB167_2297
.LBB167_2286:
	s_mov_b32 s16, 0
                                        ; implicit-def: $vgpr3
	s_cbranch_execnz .LBB167_2362
.LBB167_2287:
	s_and_not1_b32 vcc_lo, exec_lo, s16
	s_cbranch_vccnz .LBB167_4155
	s_branch .LBB167_2409
.LBB167_2288:
	s_mov_b32 s16, 0
	s_mov_b32 s9, 0
                                        ; implicit-def: $vgpr3
	s_cbranch_execnz .LBB167_2326
	s_branch .LBB167_2358
.LBB167_2289:
	s_mov_b32 s17, -1
	s_mov_b32 s16, 0
	s_mov_b32 s9, 0
                                        ; implicit-def: $vgpr3
	s_branch .LBB167_2307
.LBB167_2290:
	s_mov_b32 s17, -1
	s_mov_b32 s16, 0
	s_mov_b32 s9, 0
                                        ; implicit-def: $vgpr3
	s_branch .LBB167_2302
.LBB167_2291:
	s_or_b32 s12, s10, exec_lo
	s_trap 2
	s_cbranch_execz .LBB167_2232
	s_branch .LBB167_2233
.LBB167_2292:
	s_mov_b32 s17, -1
	s_mov_b32 s16, 0
	s_mov_b32 s9, 0
	s_branch .LBB167_2296
.LBB167_2293:
	s_and_not1_saveexec_b32 s10, s10
	s_cbranch_execz .LBB167_2034
.LBB167_2294:
	v_add_f32_e64 v4, 0x42800000, |v5|
	s_and_not1_b32 s9, s9, exec_lo
	s_delay_alu instid0(VALU_DEP_1) | instskip(NEXT) | instid1(VALU_DEP_1)
	v_and_b32_e32 v4, 0xff, v4
	v_cmp_ne_u32_e32 vcc_lo, 0, v4
	s_and_b32 s11, vcc_lo, exec_lo
	s_delay_alu instid0(SALU_CYCLE_1)
	s_or_b32 s9, s9, s11
	s_or_b32 exec_lo, exec_lo, s10
	v_mov_b32_e32 v6, 0
	s_and_saveexec_b32 s10, s9
	s_cbranch_execnz .LBB167_2035
	s_branch .LBB167_2036
.LBB167_2295:
	s_mov_b32 s9, -1
	s_mov_b32 s16, 0
.LBB167_2296:
                                        ; implicit-def: $vgpr3
.LBB167_2297:
	s_and_b32 vcc_lo, exec_lo, s17
	s_cbranch_vccz .LBB167_2301
; %bb.2298:
	s_cmp_eq_u32 s8, 44
	s_cbranch_scc0 .LBB167_2300
; %bb.2299:
	s_wait_loadcnt 0x0
	global_load_u8 v3, v[28:29], off
	s_mov_b32 s9, 0
	s_mov_b32 s16, -1
	s_wait_loadcnt 0x0
	v_lshlrev_b32_e32 v5, 23, v3
	v_cmp_ne_u32_e32 vcc_lo, 0xff, v3
	s_delay_alu instid0(VALU_DEP_2) | instskip(SKIP_1) | instid1(VALU_DEP_2)
	v_cndmask_b32_e32 v5, 0x7f800001, v5, vcc_lo
	v_cmp_ne_u32_e32 vcc_lo, 0, v3
	v_cndmask_b32_e32 v3, 0x400000, v5, vcc_lo
	s_delay_alu instid0(VALU_DEP_1) | instskip(SKIP_1) | instid1(VALU_DEP_2)
	v_add_nc_u32_e32 v5, 0x7fff, v3
	v_cmp_o_f32_e32 vcc_lo, v3, v3
	v_lshrrev_b32_e32 v5, 16, v5
	s_delay_alu instid0(VALU_DEP_1)
	v_cndmask_b32_e32 v3, 0x7fc0, v5, vcc_lo
	s_branch .LBB167_2301
.LBB167_2300:
	s_mov_b32 s9, -1
                                        ; implicit-def: $vgpr3
.LBB167_2301:
	s_mov_b32 s17, 0
.LBB167_2302:
	s_delay_alu instid0(SALU_CYCLE_1)
	s_and_b32 vcc_lo, exec_lo, s17
	s_cbranch_vccz .LBB167_2306
; %bb.2303:
	s_cmp_eq_u32 s8, 29
	s_cbranch_scc0 .LBB167_2305
; %bb.2304:
	global_load_b64 v[30:31], v[28:29], off
	s_mov_b32 s9, 0
	s_mov_b32 s16, -1
	s_mov_b32 s17, 0
	s_wait_loadcnt 0x0
	v_clz_i32_u32_e32 v3, v31
	s_delay_alu instid0(VALU_DEP_1) | instskip(NEXT) | instid1(VALU_DEP_1)
	v_min_u32_e32 v3, 32, v3
	v_lshlrev_b64_e32 v[30:31], v3, v[30:31]
	v_sub_nc_u32_e32 v3, 32, v3
	s_delay_alu instid0(VALU_DEP_2) | instskip(NEXT) | instid1(VALU_DEP_1)
	v_min_u32_e32 v5, 1, v30
	v_or_b32_e32 v5, v31, v5
	s_delay_alu instid0(VALU_DEP_1) | instskip(NEXT) | instid1(VALU_DEP_1)
	v_cvt_f32_u32_e32 v5, v5
	v_ldexp_f32 v3, v5, v3
	s_delay_alu instid0(VALU_DEP_1) | instskip(NEXT) | instid1(VALU_DEP_1)
	v_bfe_u32 v5, v3, 16, 1
	v_add3_u32 v3, v3, v5, 0x7fff
	s_delay_alu instid0(VALU_DEP_1)
	v_lshrrev_b32_e32 v3, 16, v3
	s_branch .LBB167_2307
.LBB167_2305:
	s_mov_b32 s9, -1
                                        ; implicit-def: $vgpr3
.LBB167_2306:
	s_mov_b32 s17, 0
.LBB167_2307:
	s_delay_alu instid0(SALU_CYCLE_1)
	s_and_b32 vcc_lo, exec_lo, s17
	s_cbranch_vccz .LBB167_2325
; %bb.2308:
	s_cmp_lt_i32 s8, 27
	s_cbranch_scc1 .LBB167_2311
; %bb.2309:
	s_cmp_gt_i32 s8, 27
	s_cbranch_scc0 .LBB167_2312
; %bb.2310:
	s_wait_loadcnt 0x0
	global_load_b32 v3, v[28:29], off
	s_mov_b32 s16, 0
	s_wait_loadcnt 0x0
	v_cvt_f32_u32_e32 v3, v3
	s_delay_alu instid0(VALU_DEP_1) | instskip(NEXT) | instid1(VALU_DEP_1)
	v_bfe_u32 v5, v3, 16, 1
	v_add3_u32 v3, v3, v5, 0x7fff
	s_delay_alu instid0(VALU_DEP_1)
	v_lshrrev_b32_e32 v3, 16, v3
	s_branch .LBB167_2313
.LBB167_2311:
	s_mov_b32 s16, -1
                                        ; implicit-def: $vgpr3
	s_branch .LBB167_2316
.LBB167_2312:
	s_mov_b32 s16, -1
                                        ; implicit-def: $vgpr3
.LBB167_2313:
	s_delay_alu instid0(SALU_CYCLE_1)
	s_and_not1_b32 vcc_lo, exec_lo, s16
	s_cbranch_vccnz .LBB167_2315
; %bb.2314:
	s_wait_loadcnt 0x0
	global_load_u16 v3, v[28:29], off
	s_wait_loadcnt 0x0
	v_cvt_f32_u32_e32 v3, v3
	s_delay_alu instid0(VALU_DEP_1) | instskip(NEXT) | instid1(VALU_DEP_1)
	v_bfe_u32 v5, v3, 16, 1
	v_add3_u32 v3, v3, v5, 0x7fff
	s_delay_alu instid0(VALU_DEP_1)
	v_lshrrev_b32_e32 v3, 16, v3
.LBB167_2315:
	s_mov_b32 s16, 0
.LBB167_2316:
	s_delay_alu instid0(SALU_CYCLE_1)
	s_and_not1_b32 vcc_lo, exec_lo, s16
	s_cbranch_vccnz .LBB167_2324
; %bb.2317:
	s_wait_loadcnt 0x0
	global_load_u8 v3, v[28:29], off
	s_mov_b32 s16, 0
	s_mov_b32 s17, exec_lo
	s_wait_loadcnt 0x0
	v_cmpx_lt_i16_e32 0x7f, v3
	s_xor_b32 s17, exec_lo, s17
	s_cbranch_execz .LBB167_2337
; %bb.2318:
	s_mov_b32 s16, -1
	s_mov_b32 s18, exec_lo
	v_cmpx_eq_u16_e32 0x80, v3
; %bb.2319:
	s_xor_b32 s16, exec_lo, -1
; %bb.2320:
	s_or_b32 exec_lo, exec_lo, s18
	s_delay_alu instid0(SALU_CYCLE_1)
	s_and_b32 s16, s16, exec_lo
	s_or_saveexec_b32 s17, s17
	v_mov_b32_e32 v5, 0x7f800001
	s_xor_b32 exec_lo, exec_lo, s17
	s_cbranch_execnz .LBB167_2338
.LBB167_2321:
	s_or_b32 exec_lo, exec_lo, s17
	s_and_saveexec_b32 s17, s16
	s_cbranch_execz .LBB167_2323
.LBB167_2322:
	v_and_b32_e32 v5, 0xffff, v3
	s_delay_alu instid0(VALU_DEP_1) | instskip(SKIP_1) | instid1(VALU_DEP_2)
	v_dual_lshlrev_b32 v3, 24, v3 :: v_dual_bitop2_b32 v7, 7, v5 bitop3:0x40
	v_bfe_u32 v13, v5, 3, 4
	v_and_b32_e32 v3, 0x80000000, v3
	s_delay_alu instid0(VALU_DEP_3) | instskip(NEXT) | instid1(VALU_DEP_3)
	v_clz_i32_u32_e32 v9, v7
	v_cmp_eq_u32_e32 vcc_lo, 0, v13
	s_delay_alu instid0(VALU_DEP_2) | instskip(NEXT) | instid1(VALU_DEP_1)
	v_min_u32_e32 v9, 32, v9
	v_subrev_nc_u32_e32 v11, 28, v9
	v_sub_nc_u32_e32 v9, 29, v9
	s_delay_alu instid0(VALU_DEP_2) | instskip(NEXT) | instid1(VALU_DEP_2)
	v_lshlrev_b32_e32 v5, v11, v5
	v_cndmask_b32_e32 v9, v13, v9, vcc_lo
	s_delay_alu instid0(VALU_DEP_2) | instskip(NEXT) | instid1(VALU_DEP_1)
	v_and_b32_e32 v5, 7, v5
	v_cndmask_b32_e32 v5, v7, v5, vcc_lo
	s_delay_alu instid0(VALU_DEP_3) | instskip(NEXT) | instid1(VALU_DEP_2)
	v_lshl_add_u32 v7, v9, 23, 0x3b800000
	v_lshlrev_b32_e32 v5, 20, v5
	s_delay_alu instid0(VALU_DEP_1)
	v_or3_b32 v5, v3, v7, v5
.LBB167_2323:
	s_or_b32 exec_lo, exec_lo, s17
	s_delay_alu instid0(VALU_DEP_1) | instskip(SKIP_1) | instid1(VALU_DEP_2)
	v_bfe_u32 v3, v5, 16, 1
	v_cmp_o_f32_e32 vcc_lo, v5, v5
	v_add3_u32 v3, v5, v3, 0x7fff
	s_delay_alu instid0(VALU_DEP_1) | instskip(NEXT) | instid1(VALU_DEP_1)
	v_lshrrev_b32_e32 v3, 16, v3
	v_cndmask_b32_e32 v3, 0x7fc0, v3, vcc_lo
.LBB167_2324:
	s_mov_b32 s16, -1
.LBB167_2325:
	s_branch .LBB167_2358
.LBB167_2326:
	s_cmp_gt_i32 s8, 22
	s_cbranch_scc0 .LBB167_2336
; %bb.2327:
	s_cmp_lt_i32 s8, 24
	s_cbranch_scc1 .LBB167_2339
; %bb.2328:
	s_cmp_gt_i32 s8, 24
	s_cbranch_scc0 .LBB167_2340
; %bb.2329:
	s_wait_loadcnt 0x0
	global_load_u8 v3, v[28:29], off
	s_mov_b32 s16, exec_lo
	s_wait_loadcnt 0x0
	v_cmpx_lt_i16_e32 0x7f, v3
	s_xor_b32 s16, exec_lo, s16
	s_cbranch_execz .LBB167_2352
; %bb.2330:
	s_mov_b32 s15, -1
	s_mov_b32 s17, exec_lo
	v_cmpx_eq_u16_e32 0x80, v3
; %bb.2331:
	s_xor_b32 s15, exec_lo, -1
; %bb.2332:
	s_or_b32 exec_lo, exec_lo, s17
	s_delay_alu instid0(SALU_CYCLE_1)
	s_and_b32 s15, s15, exec_lo
	s_or_saveexec_b32 s16, s16
	v_mov_b32_e32 v5, 0x7f800001
	s_xor_b32 exec_lo, exec_lo, s16
	s_cbranch_execnz .LBB167_2353
.LBB167_2333:
	s_or_b32 exec_lo, exec_lo, s16
	s_and_saveexec_b32 s16, s15
	s_cbranch_execz .LBB167_2335
.LBB167_2334:
	v_and_b32_e32 v5, 0xffff, v3
	s_delay_alu instid0(VALU_DEP_1) | instskip(SKIP_1) | instid1(VALU_DEP_2)
	v_dual_lshlrev_b32 v3, 24, v3 :: v_dual_bitop2_b32 v7, 3, v5 bitop3:0x40
	v_bfe_u32 v13, v5, 2, 5
	v_and_b32_e32 v3, 0x80000000, v3
	s_delay_alu instid0(VALU_DEP_3) | instskip(NEXT) | instid1(VALU_DEP_3)
	v_clz_i32_u32_e32 v9, v7
	v_cmp_eq_u32_e32 vcc_lo, 0, v13
	s_delay_alu instid0(VALU_DEP_2) | instskip(NEXT) | instid1(VALU_DEP_1)
	v_min_u32_e32 v9, 32, v9
	v_subrev_nc_u32_e32 v11, 29, v9
	v_sub_nc_u32_e32 v9, 30, v9
	s_delay_alu instid0(VALU_DEP_2) | instskip(NEXT) | instid1(VALU_DEP_2)
	v_lshlrev_b32_e32 v5, v11, v5
	v_cndmask_b32_e32 v9, v13, v9, vcc_lo
	s_delay_alu instid0(VALU_DEP_2) | instskip(NEXT) | instid1(VALU_DEP_1)
	v_and_b32_e32 v5, 3, v5
	v_cndmask_b32_e32 v5, v7, v5, vcc_lo
	s_delay_alu instid0(VALU_DEP_3) | instskip(NEXT) | instid1(VALU_DEP_2)
	v_lshl_add_u32 v7, v9, 23, 0x37800000
	v_lshlrev_b32_e32 v5, 21, v5
	s_delay_alu instid0(VALU_DEP_1)
	v_or3_b32 v5, v3, v7, v5
.LBB167_2335:
	s_or_b32 exec_lo, exec_lo, s16
	s_delay_alu instid0(VALU_DEP_1) | instskip(SKIP_2) | instid1(VALU_DEP_2)
	v_bfe_u32 v3, v5, 16, 1
	v_cmp_o_f32_e32 vcc_lo, v5, v5
	s_mov_b32 s15, 0
	v_add3_u32 v3, v5, v3, 0x7fff
	s_delay_alu instid0(VALU_DEP_1) | instskip(NEXT) | instid1(VALU_DEP_1)
	v_lshrrev_b32_e32 v3, 16, v3
	v_cndmask_b32_e32 v3, 0x7fc0, v3, vcc_lo
	s_branch .LBB167_2341
.LBB167_2336:
	s_mov_b32 s15, -1
                                        ; implicit-def: $vgpr3
	s_branch .LBB167_2347
.LBB167_2337:
	s_or_saveexec_b32 s17, s17
	v_mov_b32_e32 v5, 0x7f800001
	s_xor_b32 exec_lo, exec_lo, s17
	s_cbranch_execz .LBB167_2321
.LBB167_2338:
	v_cmp_ne_u16_e32 vcc_lo, 0, v3
	v_mov_b32_e32 v5, 0
	s_and_not1_b32 s16, s16, exec_lo
	s_and_b32 s18, vcc_lo, exec_lo
	s_delay_alu instid0(SALU_CYCLE_1)
	s_or_b32 s16, s16, s18
	s_or_b32 exec_lo, exec_lo, s17
	s_and_saveexec_b32 s17, s16
	s_cbranch_execnz .LBB167_2322
	s_branch .LBB167_2323
.LBB167_2339:
	s_mov_b32 s15, -1
                                        ; implicit-def: $vgpr3
	s_branch .LBB167_2344
.LBB167_2340:
	s_mov_b32 s15, -1
                                        ; implicit-def: $vgpr3
.LBB167_2341:
	s_delay_alu instid0(SALU_CYCLE_1)
	s_and_b32 vcc_lo, exec_lo, s15
	s_cbranch_vccz .LBB167_2343
; %bb.2342:
	s_wait_loadcnt 0x0
	global_load_u8 v3, v[28:29], off
	s_wait_loadcnt 0x0
	v_lshlrev_b32_e32 v3, 24, v3
	s_delay_alu instid0(VALU_DEP_1) | instskip(NEXT) | instid1(VALU_DEP_1)
	v_and_b32_e32 v5, 0x7f000000, v3
	v_clz_i32_u32_e32 v7, v5
	v_add_nc_u32_e32 v11, 0x1000000, v5
	v_cmp_ne_u32_e32 vcc_lo, 0, v5
	s_delay_alu instid0(VALU_DEP_3) | instskip(NEXT) | instid1(VALU_DEP_1)
	v_min_u32_e32 v7, 32, v7
	v_sub_nc_u32_e64 v7, v7, 4 clamp
	s_delay_alu instid0(VALU_DEP_1) | instskip(NEXT) | instid1(VALU_DEP_1)
	v_dual_lshlrev_b32 v9, v7, v5 :: v_dual_lshlrev_b32 v7, 23, v7
	v_lshrrev_b32_e32 v9, 4, v9
	s_delay_alu instid0(VALU_DEP_1) | instskip(SKIP_1) | instid1(VALU_DEP_2)
	v_sub_nc_u32_e32 v7, v9, v7
	v_ashrrev_i32_e32 v9, 8, v11
	v_add_nc_u32_e32 v7, 0x3c000000, v7
	s_delay_alu instid0(VALU_DEP_1) | instskip(NEXT) | instid1(VALU_DEP_1)
	v_and_or_b32 v7, 0x7f800000, v9, v7
	v_cndmask_b32_e32 v5, 0, v7, vcc_lo
	s_delay_alu instid0(VALU_DEP_1) | instskip(SKIP_1) | instid1(VALU_DEP_2)
	v_and_or_b32 v3, 0x80000000, v3, v5
	v_bfe_u32 v5, v5, 16, 1
	v_cmp_o_f32_e32 vcc_lo, v3, v3
	s_delay_alu instid0(VALU_DEP_2) | instskip(NEXT) | instid1(VALU_DEP_1)
	v_add3_u32 v5, v3, v5, 0x7fff
	v_lshrrev_b32_e32 v5, 16, v5
	s_delay_alu instid0(VALU_DEP_1)
	v_cndmask_b32_e32 v3, 0x7fc0, v5, vcc_lo
.LBB167_2343:
	s_mov_b32 s15, 0
.LBB167_2344:
	s_delay_alu instid0(SALU_CYCLE_1)
	s_and_not1_b32 vcc_lo, exec_lo, s15
	s_cbranch_vccnz .LBB167_2346
; %bb.2345:
	s_wait_loadcnt 0x0
	global_load_u8 v3, v[28:29], off
	s_wait_loadcnt 0x0
	v_lshlrev_b32_e32 v5, 25, v3
	v_lshlrev_b16 v3, 8, v3
	s_delay_alu instid0(VALU_DEP_1) | instskip(SKIP_1) | instid1(VALU_DEP_2)
	v_and_or_b32 v9, 0x7f00, v3, 0.5
	v_bfe_i32 v3, v3, 0, 16
	v_add_f32_e32 v9, -0.5, v9
	v_lshrrev_b32_e32 v7, 4, v5
	v_cmp_gt_u32_e32 vcc_lo, 0x8000000, v5
	s_delay_alu instid0(VALU_DEP_2) | instskip(NEXT) | instid1(VALU_DEP_1)
	v_or_b32_e32 v7, 0x70000000, v7
	v_mul_f32_e32 v7, 0x7800000, v7
	s_delay_alu instid0(VALU_DEP_1) | instskip(NEXT) | instid1(VALU_DEP_1)
	v_cndmask_b32_e32 v5, v7, v9, vcc_lo
	v_and_or_b32 v3, 0x80000000, v3, v5
	v_bfe_u32 v5, v5, 16, 1
	s_delay_alu instid0(VALU_DEP_2) | instskip(NEXT) | instid1(VALU_DEP_2)
	v_cmp_o_f32_e32 vcc_lo, v3, v3
	v_add3_u32 v5, v3, v5, 0x7fff
	s_delay_alu instid0(VALU_DEP_1) | instskip(NEXT) | instid1(VALU_DEP_1)
	v_lshrrev_b32_e32 v5, 16, v5
	v_cndmask_b32_e32 v3, 0x7fc0, v5, vcc_lo
.LBB167_2346:
	s_mov_b32 s15, 0
	s_mov_b32 s16, -1
.LBB167_2347:
	s_and_not1_b32 vcc_lo, exec_lo, s15
	s_mov_b32 s15, 0
	s_cbranch_vccnz .LBB167_2358
; %bb.2348:
	s_cmp_gt_i32 s8, 14
	s_cbranch_scc0 .LBB167_2351
; %bb.2349:
	s_cmp_eq_u32 s8, 15
	s_cbranch_scc0 .LBB167_2354
; %bb.2350:
	s_wait_loadcnt 0x0
	global_load_u16 v3, v[28:29], off
	s_mov_b32 s9, 0
	s_mov_b32 s16, -1
	s_branch .LBB167_2356
.LBB167_2351:
	s_mov_b32 s15, -1
	s_branch .LBB167_2355
.LBB167_2352:
	s_or_saveexec_b32 s16, s16
	v_mov_b32_e32 v5, 0x7f800001
	s_xor_b32 exec_lo, exec_lo, s16
	s_cbranch_execz .LBB167_2333
.LBB167_2353:
	v_cmp_ne_u16_e32 vcc_lo, 0, v3
	v_mov_b32_e32 v5, 0
	s_and_not1_b32 s15, s15, exec_lo
	s_and_b32 s17, vcc_lo, exec_lo
	s_delay_alu instid0(SALU_CYCLE_1)
	s_or_b32 s15, s15, s17
	s_or_b32 exec_lo, exec_lo, s16
	s_and_saveexec_b32 s16, s15
	s_cbranch_execnz .LBB167_2334
	s_branch .LBB167_2335
.LBB167_2354:
	s_mov_b32 s9, -1
.LBB167_2355:
                                        ; implicit-def: $vgpr3
.LBB167_2356:
	s_and_b32 vcc_lo, exec_lo, s15
	s_mov_b32 s15, 0
	s_cbranch_vccz .LBB167_2358
; %bb.2357:
	s_cmp_lg_u32 s8, 11
	s_mov_b32 s15, -1
	s_cselect_b32 s9, -1, 0
.LBB167_2358:
	s_delay_alu instid0(SALU_CYCLE_1)
	s_and_b32 vcc_lo, exec_lo, s9
	s_cbranch_vccnz .LBB167_2421
; %bb.2359:
	s_and_not1_b32 vcc_lo, exec_lo, s15
	s_cbranch_vccnz .LBB167_2361
.LBB167_2360:
	s_wait_loadcnt 0x0
	global_load_u8 v3, v[28:29], off
	s_mov_b32 s16, -1
	s_wait_loadcnt 0x0
	v_cmp_ne_u16_e32 vcc_lo, 0, v3
	v_cndmask_b32_e64 v3, 0, 1.0, vcc_lo
	s_delay_alu instid0(VALU_DEP_1)
	v_lshrrev_b32_e32 v3, 16, v3
.LBB167_2361:
	s_branch .LBB167_2287
.LBB167_2362:
	s_and_b32 s8, 0xffff, s14
	s_delay_alu instid0(SALU_CYCLE_1)
	s_cmp_lt_i32 s8, 5
	s_cbranch_scc1 .LBB167_2367
; %bb.2363:
	s_cmp_lt_i32 s8, 8
	s_cbranch_scc1 .LBB167_2368
; %bb.2364:
	;; [unrolled: 3-line block ×3, first 2 shown]
	s_cmp_gt_i32 s8, 9
	s_cbranch_scc0 .LBB167_2370
; %bb.2366:
	global_load_b64 v[30:31], v[28:29], off
	s_mov_b32 s9, 0
	s_wait_loadcnt 0x0
	v_cvt_f32_f64_e32 v3, v[30:31]
	s_delay_alu instid0(VALU_DEP_1) | instskip(SKIP_1) | instid1(VALU_DEP_2)
	v_bfe_u32 v5, v3, 16, 1
	v_cmp_o_f32_e32 vcc_lo, v3, v3
	v_add3_u32 v5, v3, v5, 0x7fff
	s_delay_alu instid0(VALU_DEP_1) | instskip(NEXT) | instid1(VALU_DEP_1)
	v_lshrrev_b32_e32 v5, 16, v5
	v_cndmask_b32_e32 v3, 0x7fc0, v5, vcc_lo
	s_branch .LBB167_2371
.LBB167_2367:
                                        ; implicit-def: $vgpr3
	s_branch .LBB167_2389
.LBB167_2368:
	s_mov_b32 s9, -1
                                        ; implicit-def: $vgpr3
	s_branch .LBB167_2377
.LBB167_2369:
	s_mov_b32 s9, -1
                                        ; implicit-def: $vgpr3
	s_branch .LBB167_2374
.LBB167_2370:
	s_mov_b32 s9, -1
                                        ; implicit-def: $vgpr3
.LBB167_2371:
	s_delay_alu instid0(SALU_CYCLE_1)
	s_and_not1_b32 vcc_lo, exec_lo, s9
	s_cbranch_vccnz .LBB167_2373
; %bb.2372:
	s_wait_loadcnt 0x0
	global_load_b32 v3, v[28:29], off
	s_wait_loadcnt 0x0
	v_bfe_u32 v5, v3, 16, 1
	v_cmp_o_f32_e32 vcc_lo, v3, v3
	s_delay_alu instid0(VALU_DEP_2) | instskip(NEXT) | instid1(VALU_DEP_1)
	v_add3_u32 v5, v3, v5, 0x7fff
	v_lshrrev_b32_e32 v5, 16, v5
	s_delay_alu instid0(VALU_DEP_1)
	v_cndmask_b32_e32 v3, 0x7fc0, v5, vcc_lo
.LBB167_2373:
	s_mov_b32 s9, 0
.LBB167_2374:
	s_delay_alu instid0(SALU_CYCLE_1)
	s_and_not1_b32 vcc_lo, exec_lo, s9
	s_cbranch_vccnz .LBB167_2376
; %bb.2375:
	s_wait_loadcnt 0x0
	global_load_b32 v3, v[28:29], off
	s_wait_loadcnt 0x0
	v_cvt_f32_f16_e32 v5, v3
	v_cmp_o_f16_e32 vcc_lo, v3, v3
	s_delay_alu instid0(VALU_DEP_2) | instskip(NEXT) | instid1(VALU_DEP_1)
	v_bfe_u32 v7, v5, 16, 1
	v_add3_u32 v5, v5, v7, 0x7fff
	s_delay_alu instid0(VALU_DEP_1) | instskip(NEXT) | instid1(VALU_DEP_1)
	v_lshrrev_b32_e32 v5, 16, v5
	v_cndmask_b32_e32 v3, 0x7fc0, v5, vcc_lo
.LBB167_2376:
	s_mov_b32 s9, 0
.LBB167_2377:
	s_delay_alu instid0(SALU_CYCLE_1)
	s_and_not1_b32 vcc_lo, exec_lo, s9
	s_cbranch_vccnz .LBB167_2388
; %bb.2378:
	s_cmp_lt_i32 s8, 6
	s_cbranch_scc1 .LBB167_2381
; %bb.2379:
	s_cmp_gt_i32 s8, 6
	s_cbranch_scc0 .LBB167_2382
; %bb.2380:
	global_load_b64 v[30:31], v[28:29], off
	s_mov_b32 s9, 0
	s_wait_loadcnt 0x0
	v_cvt_f32_f64_e32 v3, v[30:31]
	s_delay_alu instid0(VALU_DEP_1) | instskip(SKIP_1) | instid1(VALU_DEP_2)
	v_bfe_u32 v5, v3, 16, 1
	v_cmp_o_f32_e32 vcc_lo, v3, v3
	v_add3_u32 v5, v3, v5, 0x7fff
	s_delay_alu instid0(VALU_DEP_1) | instskip(NEXT) | instid1(VALU_DEP_1)
	v_lshrrev_b32_e32 v5, 16, v5
	v_cndmask_b32_e32 v3, 0x7fc0, v5, vcc_lo
	s_branch .LBB167_2383
.LBB167_2381:
	s_mov_b32 s9, -1
                                        ; implicit-def: $vgpr3
	s_branch .LBB167_2386
.LBB167_2382:
	s_mov_b32 s9, -1
                                        ; implicit-def: $vgpr3
.LBB167_2383:
	s_delay_alu instid0(SALU_CYCLE_1)
	s_and_not1_b32 vcc_lo, exec_lo, s9
	s_cbranch_vccnz .LBB167_2385
; %bb.2384:
	s_wait_loadcnt 0x0
	global_load_b32 v3, v[28:29], off
	s_wait_loadcnt 0x0
	v_bfe_u32 v5, v3, 16, 1
	v_cmp_o_f32_e32 vcc_lo, v3, v3
	s_delay_alu instid0(VALU_DEP_2) | instskip(NEXT) | instid1(VALU_DEP_1)
	v_add3_u32 v5, v3, v5, 0x7fff
	v_lshrrev_b32_e32 v5, 16, v5
	s_delay_alu instid0(VALU_DEP_1)
	v_cndmask_b32_e32 v3, 0x7fc0, v5, vcc_lo
.LBB167_2385:
	s_mov_b32 s9, 0
.LBB167_2386:
	s_delay_alu instid0(SALU_CYCLE_1)
	s_and_not1_b32 vcc_lo, exec_lo, s9
	s_cbranch_vccnz .LBB167_2388
; %bb.2387:
	s_wait_loadcnt 0x0
	global_load_u16 v3, v[28:29], off
	s_wait_loadcnt 0x0
	v_cvt_f32_f16_e32 v5, v3
	v_cmp_o_f16_e32 vcc_lo, v3, v3
	s_delay_alu instid0(VALU_DEP_2) | instskip(NEXT) | instid1(VALU_DEP_1)
	v_bfe_u32 v7, v5, 16, 1
	v_add3_u32 v5, v5, v7, 0x7fff
	s_delay_alu instid0(VALU_DEP_1) | instskip(NEXT) | instid1(VALU_DEP_1)
	v_lshrrev_b32_e32 v5, 16, v5
	v_cndmask_b32_e32 v3, 0x7fc0, v5, vcc_lo
.LBB167_2388:
	s_cbranch_execnz .LBB167_2408
.LBB167_2389:
	s_cmp_lt_i32 s8, 2
	s_cbranch_scc1 .LBB167_2393
; %bb.2390:
	s_cmp_lt_i32 s8, 3
	s_cbranch_scc1 .LBB167_2394
; %bb.2391:
	s_cmp_gt_i32 s8, 3
	s_cbranch_scc0 .LBB167_2395
; %bb.2392:
	global_load_b64 v[30:31], v[28:29], off
	s_mov_b32 s9, 0
	s_wait_loadcnt 0x0
	v_xor_b32_e32 v3, v30, v31
	v_cls_i32_e32 v5, v31
	s_delay_alu instid0(VALU_DEP_2) | instskip(NEXT) | instid1(VALU_DEP_1)
	v_ashrrev_i32_e32 v3, 31, v3
	v_add_nc_u32_e32 v3, 32, v3
	s_delay_alu instid0(VALU_DEP_1) | instskip(NEXT) | instid1(VALU_DEP_1)
	v_add_min_u32_e64 v3, v5, -1, v3
	v_lshlrev_b64_e32 v[30:31], v3, v[30:31]
	v_sub_nc_u32_e32 v3, 32, v3
	s_delay_alu instid0(VALU_DEP_2) | instskip(NEXT) | instid1(VALU_DEP_1)
	v_min_u32_e32 v5, 1, v30
	v_or_b32_e32 v5, v31, v5
	s_delay_alu instid0(VALU_DEP_1) | instskip(NEXT) | instid1(VALU_DEP_1)
	v_cvt_f32_i32_e32 v5, v5
	v_ldexp_f32 v3, v5, v3
	s_delay_alu instid0(VALU_DEP_1) | instskip(NEXT) | instid1(VALU_DEP_1)
	v_bfe_u32 v5, v3, 16, 1
	v_add3_u32 v3, v3, v5, 0x7fff
	s_delay_alu instid0(VALU_DEP_1)
	v_lshrrev_b32_e32 v3, 16, v3
	s_branch .LBB167_2396
.LBB167_2393:
	s_mov_b32 s9, -1
                                        ; implicit-def: $vgpr3
	s_branch .LBB167_2402
.LBB167_2394:
	s_mov_b32 s9, -1
                                        ; implicit-def: $vgpr3
	s_branch .LBB167_2399
.LBB167_2395:
	s_mov_b32 s9, -1
                                        ; implicit-def: $vgpr3
.LBB167_2396:
	s_delay_alu instid0(SALU_CYCLE_1)
	s_and_not1_b32 vcc_lo, exec_lo, s9
	s_cbranch_vccnz .LBB167_2398
; %bb.2397:
	s_wait_loadcnt 0x0
	global_load_b32 v3, v[28:29], off
	s_wait_loadcnt 0x0
	v_cvt_f32_i32_e32 v3, v3
	s_delay_alu instid0(VALU_DEP_1) | instskip(NEXT) | instid1(VALU_DEP_1)
	v_bfe_u32 v5, v3, 16, 1
	v_add3_u32 v3, v3, v5, 0x7fff
	s_delay_alu instid0(VALU_DEP_1)
	v_lshrrev_b32_e32 v3, 16, v3
.LBB167_2398:
	s_mov_b32 s9, 0
.LBB167_2399:
	s_delay_alu instid0(SALU_CYCLE_1)
	s_and_not1_b32 vcc_lo, exec_lo, s9
	s_cbranch_vccnz .LBB167_2401
; %bb.2400:
	s_wait_loadcnt 0x0
	global_load_i16 v3, v[28:29], off
	s_wait_loadcnt 0x0
	v_cvt_f32_i32_e32 v3, v3
	s_delay_alu instid0(VALU_DEP_1) | instskip(NEXT) | instid1(VALU_DEP_1)
	v_bfe_u32 v5, v3, 16, 1
	v_add3_u32 v3, v3, v5, 0x7fff
	s_delay_alu instid0(VALU_DEP_1)
	v_lshrrev_b32_e32 v3, 16, v3
.LBB167_2401:
	s_mov_b32 s9, 0
.LBB167_2402:
	s_delay_alu instid0(SALU_CYCLE_1)
	s_and_not1_b32 vcc_lo, exec_lo, s9
	s_cbranch_vccnz .LBB167_2408
; %bb.2403:
	s_cmp_gt_i32 s8, 0
	s_mov_b32 s8, 0
	s_cbranch_scc0 .LBB167_2405
; %bb.2404:
	s_wait_loadcnt 0x0
	global_load_i8 v3, v[28:29], off
	s_wait_loadcnt 0x0
	v_cvt_f32_i32_e32 v3, v3
	s_delay_alu instid0(VALU_DEP_1) | instskip(NEXT) | instid1(VALU_DEP_1)
	v_bfe_u32 v5, v3, 16, 1
	v_add3_u32 v3, v3, v5, 0x7fff
	s_delay_alu instid0(VALU_DEP_1)
	v_lshrrev_b32_e32 v3, 16, v3
	s_branch .LBB167_2406
.LBB167_2405:
	s_mov_b32 s8, -1
                                        ; implicit-def: $vgpr3
.LBB167_2406:
	s_delay_alu instid0(SALU_CYCLE_1)
	s_and_not1_b32 vcc_lo, exec_lo, s8
	s_cbranch_vccnz .LBB167_2408
; %bb.2407:
	s_wait_loadcnt 0x0
	global_load_u8 v3, v[28:29], off
	s_wait_loadcnt 0x0
	v_cvt_f32_ubyte0_e32 v3, v3
	s_delay_alu instid0(VALU_DEP_1) | instskip(NEXT) | instid1(VALU_DEP_1)
	v_bfe_u32 v5, v3, 16, 1
	v_add3_u32 v3, v3, v5, 0x7fff
	s_delay_alu instid0(VALU_DEP_1)
	v_lshrrev_b32_e32 v3, 16, v3
.LBB167_2408:
.LBB167_2409:
	s_clause 0x1
	s_load_b64 s[8:9], s[2:3], 0x1e0
	s_load_b32 s15, s[2:3], 0x1ec
	v_mov_b32_e32 v27, 0
	s_wait_kmcnt 0x0
	s_delay_alu instid0(VALU_DEP_1) | instskip(SKIP_1) | instid1(SALU_CYCLE_1)
	v_add_nc_u64_e32 v[26:27], s[8:9], v[26:27]
	s_and_b32 s15, s15, 0xff
	s_cmp_lt_i32 s15, 11
	s_cbranch_scc1 .LBB167_2416
; %bb.2410:
	s_and_b32 s16, 0xffff, s15
	s_mov_b32 s18, 0
	s_cmp_gt_i32 s16, 25
	s_cbranch_scc0 .LBB167_2418
; %bb.2411:
	s_cmp_gt_i32 s16, 28
	s_cbranch_scc0 .LBB167_2419
; %bb.2412:
	;; [unrolled: 3-line block ×4, first 2 shown]
	s_cmp_eq_u32 s16, 46
	s_mov_b32 s20, 0
	s_cbranch_scc0 .LBB167_2423
; %bb.2415:
	global_load_b32 v5, v[26:27], off
	s_mov_b32 s17, 0
	s_mov_b32 s19, -1
	s_branch .LBB167_2425
.LBB167_2416:
	s_mov_b32 s19, 0
                                        ; implicit-def: $vgpr5
	s_cbranch_execnz .LBB167_2491
.LBB167_2417:
	s_and_not1_b32 vcc_lo, exec_lo, s19
	s_cbranch_vccnz .LBB167_4155
	s_branch .LBB167_2539
.LBB167_2418:
	s_mov_b32 s20, -1
	s_mov_b32 s19, 0
	s_mov_b32 s17, 0
                                        ; implicit-def: $vgpr5
	s_branch .LBB167_2454
.LBB167_2419:
	s_mov_b32 s20, -1
	s_mov_b32 s19, 0
	s_mov_b32 s17, 0
                                        ; implicit-def: $vgpr5
	s_branch .LBB167_2435
.LBB167_2420:
	s_mov_b32 s20, -1
	s_mov_b32 s19, 0
	s_mov_b32 s17, 0
                                        ; implicit-def: $vgpr5
	s_branch .LBB167_2430
.LBB167_2421:
	s_or_b32 s12, s12, exec_lo
	s_trap 2
	s_cbranch_execz .LBB167_2360
	s_branch .LBB167_2361
.LBB167_2422:
	s_mov_b32 s20, -1
	s_mov_b32 s19, 0
	s_mov_b32 s17, 0
	s_branch .LBB167_2424
.LBB167_2423:
	s_mov_b32 s17, -1
	s_mov_b32 s19, 0
.LBB167_2424:
                                        ; implicit-def: $vgpr5
.LBB167_2425:
	s_and_b32 vcc_lo, exec_lo, s20
	s_cbranch_vccz .LBB167_2429
; %bb.2426:
	s_cmp_eq_u32 s16, 44
	s_cbranch_scc0 .LBB167_2428
; %bb.2427:
	s_wait_loadcnt 0x0
	global_load_u8 v5, v[26:27], off
	s_mov_b32 s17, 0
	s_mov_b32 s19, -1
	s_wait_loadcnt 0x0
	v_lshlrev_b32_e32 v7, 23, v5
	v_cmp_ne_u32_e32 vcc_lo, 0xff, v5
	s_delay_alu instid0(VALU_DEP_2) | instskip(SKIP_1) | instid1(VALU_DEP_2)
	v_cndmask_b32_e32 v7, 0x7f800001, v7, vcc_lo
	v_cmp_ne_u32_e32 vcc_lo, 0, v5
	v_cndmask_b32_e32 v5, 0x400000, v7, vcc_lo
	s_delay_alu instid0(VALU_DEP_1) | instskip(SKIP_1) | instid1(VALU_DEP_2)
	v_add_nc_u32_e32 v7, 0x7fff, v5
	v_cmp_o_f32_e32 vcc_lo, v5, v5
	v_lshrrev_b32_e32 v7, 16, v7
	s_delay_alu instid0(VALU_DEP_1)
	v_cndmask_b32_e32 v5, 0x7fc0, v7, vcc_lo
	s_branch .LBB167_2429
.LBB167_2428:
	s_mov_b32 s17, -1
                                        ; implicit-def: $vgpr5
.LBB167_2429:
	s_mov_b32 s20, 0
.LBB167_2430:
	s_delay_alu instid0(SALU_CYCLE_1)
	s_and_b32 vcc_lo, exec_lo, s20
	s_cbranch_vccz .LBB167_2434
; %bb.2431:
	s_cmp_eq_u32 s16, 29
	s_cbranch_scc0 .LBB167_2433
; %bb.2432:
	global_load_b64 v[28:29], v[26:27], off
	s_mov_b32 s17, 0
	s_mov_b32 s19, -1
	s_mov_b32 s20, 0
	s_wait_loadcnt 0x0
	v_clz_i32_u32_e32 v5, v29
	s_delay_alu instid0(VALU_DEP_1) | instskip(NEXT) | instid1(VALU_DEP_1)
	v_min_u32_e32 v5, 32, v5
	v_lshlrev_b64_e32 v[28:29], v5, v[28:29]
	v_sub_nc_u32_e32 v5, 32, v5
	s_delay_alu instid0(VALU_DEP_2) | instskip(NEXT) | instid1(VALU_DEP_1)
	v_min_u32_e32 v7, 1, v28
	v_or_b32_e32 v7, v29, v7
	s_delay_alu instid0(VALU_DEP_1) | instskip(NEXT) | instid1(VALU_DEP_1)
	v_cvt_f32_u32_e32 v7, v7
	v_ldexp_f32 v5, v7, v5
	s_delay_alu instid0(VALU_DEP_1) | instskip(NEXT) | instid1(VALU_DEP_1)
	v_bfe_u32 v7, v5, 16, 1
	v_add3_u32 v5, v5, v7, 0x7fff
	s_delay_alu instid0(VALU_DEP_1)
	v_lshrrev_b32_e32 v5, 16, v5
	s_branch .LBB167_2435
.LBB167_2433:
	s_mov_b32 s17, -1
                                        ; implicit-def: $vgpr5
.LBB167_2434:
	s_mov_b32 s20, 0
.LBB167_2435:
	s_delay_alu instid0(SALU_CYCLE_1)
	s_and_b32 vcc_lo, exec_lo, s20
	s_cbranch_vccz .LBB167_2453
; %bb.2436:
	s_cmp_lt_i32 s16, 27
	s_cbranch_scc1 .LBB167_2439
; %bb.2437:
	s_cmp_gt_i32 s16, 27
	s_cbranch_scc0 .LBB167_2440
; %bb.2438:
	s_wait_loadcnt 0x0
	global_load_b32 v5, v[26:27], off
	s_mov_b32 s19, 0
	s_wait_loadcnt 0x0
	v_cvt_f32_u32_e32 v5, v5
	s_delay_alu instid0(VALU_DEP_1) | instskip(NEXT) | instid1(VALU_DEP_1)
	v_bfe_u32 v7, v5, 16, 1
	v_add3_u32 v5, v5, v7, 0x7fff
	s_delay_alu instid0(VALU_DEP_1)
	v_lshrrev_b32_e32 v5, 16, v5
	s_branch .LBB167_2441
.LBB167_2439:
	s_mov_b32 s19, -1
                                        ; implicit-def: $vgpr5
	s_branch .LBB167_2444
.LBB167_2440:
	s_mov_b32 s19, -1
                                        ; implicit-def: $vgpr5
.LBB167_2441:
	s_delay_alu instid0(SALU_CYCLE_1)
	s_and_not1_b32 vcc_lo, exec_lo, s19
	s_cbranch_vccnz .LBB167_2443
; %bb.2442:
	s_wait_loadcnt 0x0
	global_load_u16 v5, v[26:27], off
	s_wait_loadcnt 0x0
	v_cvt_f32_u32_e32 v5, v5
	s_delay_alu instid0(VALU_DEP_1) | instskip(NEXT) | instid1(VALU_DEP_1)
	v_bfe_u32 v7, v5, 16, 1
	v_add3_u32 v5, v5, v7, 0x7fff
	s_delay_alu instid0(VALU_DEP_1)
	v_lshrrev_b32_e32 v5, 16, v5
.LBB167_2443:
	s_mov_b32 s19, 0
.LBB167_2444:
	s_delay_alu instid0(SALU_CYCLE_1)
	s_and_not1_b32 vcc_lo, exec_lo, s19
	s_cbranch_vccnz .LBB167_2452
; %bb.2445:
	s_wait_loadcnt 0x0
	global_load_u8 v5, v[26:27], off
	s_mov_b32 s19, 0
	s_mov_b32 s20, exec_lo
	s_wait_loadcnt 0x0
	v_cmpx_lt_i16_e32 0x7f, v5
	s_xor_b32 s20, exec_lo, s20
	s_cbranch_execz .LBB167_2466
; %bb.2446:
	s_mov_b32 s19, -1
	s_mov_b32 s21, exec_lo
	v_cmpx_eq_u16_e32 0x80, v5
; %bb.2447:
	s_xor_b32 s19, exec_lo, -1
; %bb.2448:
	s_or_b32 exec_lo, exec_lo, s21
	s_delay_alu instid0(SALU_CYCLE_1)
	s_and_b32 s19, s19, exec_lo
	s_or_saveexec_b32 s20, s20
	v_mov_b32_e32 v7, 0x7f800001
	s_xor_b32 exec_lo, exec_lo, s20
	s_cbranch_execnz .LBB167_2467
.LBB167_2449:
	s_or_b32 exec_lo, exec_lo, s20
	s_and_saveexec_b32 s20, s19
	s_cbranch_execz .LBB167_2451
.LBB167_2450:
	v_and_b32_e32 v7, 0xffff, v5
	s_delay_alu instid0(VALU_DEP_1) | instskip(SKIP_1) | instid1(VALU_DEP_2)
	v_dual_lshlrev_b32 v5, 24, v5 :: v_dual_bitop2_b32 v9, 7, v7 bitop3:0x40
	v_bfe_u32 v15, v7, 3, 4
	v_and_b32_e32 v5, 0x80000000, v5
	s_delay_alu instid0(VALU_DEP_3) | instskip(NEXT) | instid1(VALU_DEP_3)
	v_clz_i32_u32_e32 v11, v9
	v_cmp_eq_u32_e32 vcc_lo, 0, v15
	s_delay_alu instid0(VALU_DEP_2) | instskip(NEXT) | instid1(VALU_DEP_1)
	v_min_u32_e32 v11, 32, v11
	v_subrev_nc_u32_e32 v13, 28, v11
	v_sub_nc_u32_e32 v11, 29, v11
	s_delay_alu instid0(VALU_DEP_2) | instskip(NEXT) | instid1(VALU_DEP_2)
	v_lshlrev_b32_e32 v7, v13, v7
	v_cndmask_b32_e32 v11, v15, v11, vcc_lo
	s_delay_alu instid0(VALU_DEP_2) | instskip(NEXT) | instid1(VALU_DEP_1)
	v_and_b32_e32 v7, 7, v7
	v_cndmask_b32_e32 v7, v9, v7, vcc_lo
	s_delay_alu instid0(VALU_DEP_3) | instskip(NEXT) | instid1(VALU_DEP_2)
	v_lshl_add_u32 v9, v11, 23, 0x3b800000
	v_lshlrev_b32_e32 v7, 20, v7
	s_delay_alu instid0(VALU_DEP_1)
	v_or3_b32 v7, v5, v9, v7
.LBB167_2451:
	s_or_b32 exec_lo, exec_lo, s20
	s_delay_alu instid0(VALU_DEP_1) | instskip(SKIP_1) | instid1(VALU_DEP_2)
	v_bfe_u32 v5, v7, 16, 1
	v_cmp_o_f32_e32 vcc_lo, v7, v7
	v_add3_u32 v5, v7, v5, 0x7fff
	s_delay_alu instid0(VALU_DEP_1) | instskip(NEXT) | instid1(VALU_DEP_1)
	v_lshrrev_b32_e32 v5, 16, v5
	v_cndmask_b32_e32 v5, 0x7fc0, v5, vcc_lo
.LBB167_2452:
	s_mov_b32 s19, -1
.LBB167_2453:
	s_mov_b32 s20, 0
.LBB167_2454:
	s_delay_alu instid0(SALU_CYCLE_1)
	s_and_b32 vcc_lo, exec_lo, s20
	s_cbranch_vccz .LBB167_2487
; %bb.2455:
	s_cmp_gt_i32 s16, 22
	s_cbranch_scc0 .LBB167_2465
; %bb.2456:
	s_cmp_lt_i32 s16, 24
	s_cbranch_scc1 .LBB167_2468
; %bb.2457:
	s_cmp_gt_i32 s16, 24
	s_cbranch_scc0 .LBB167_2469
; %bb.2458:
	s_wait_loadcnt 0x0
	global_load_u8 v5, v[26:27], off
	s_mov_b32 s19, exec_lo
	s_wait_loadcnt 0x0
	v_cmpx_lt_i16_e32 0x7f, v5
	s_xor_b32 s19, exec_lo, s19
	s_cbranch_execz .LBB167_2481
; %bb.2459:
	s_mov_b32 s18, -1
	s_mov_b32 s20, exec_lo
	v_cmpx_eq_u16_e32 0x80, v5
; %bb.2460:
	s_xor_b32 s18, exec_lo, -1
; %bb.2461:
	s_or_b32 exec_lo, exec_lo, s20
	s_delay_alu instid0(SALU_CYCLE_1)
	s_and_b32 s18, s18, exec_lo
	s_or_saveexec_b32 s19, s19
	v_mov_b32_e32 v7, 0x7f800001
	s_xor_b32 exec_lo, exec_lo, s19
	s_cbranch_execnz .LBB167_2482
.LBB167_2462:
	s_or_b32 exec_lo, exec_lo, s19
	s_and_saveexec_b32 s19, s18
	s_cbranch_execz .LBB167_2464
.LBB167_2463:
	v_and_b32_e32 v7, 0xffff, v5
	s_delay_alu instid0(VALU_DEP_1) | instskip(SKIP_1) | instid1(VALU_DEP_2)
	v_dual_lshlrev_b32 v5, 24, v5 :: v_dual_bitop2_b32 v9, 3, v7 bitop3:0x40
	v_bfe_u32 v15, v7, 2, 5
	v_and_b32_e32 v5, 0x80000000, v5
	s_delay_alu instid0(VALU_DEP_3) | instskip(NEXT) | instid1(VALU_DEP_3)
	v_clz_i32_u32_e32 v11, v9
	v_cmp_eq_u32_e32 vcc_lo, 0, v15
	s_delay_alu instid0(VALU_DEP_2) | instskip(NEXT) | instid1(VALU_DEP_1)
	v_min_u32_e32 v11, 32, v11
	v_subrev_nc_u32_e32 v13, 29, v11
	v_sub_nc_u32_e32 v11, 30, v11
	s_delay_alu instid0(VALU_DEP_2) | instskip(NEXT) | instid1(VALU_DEP_2)
	v_lshlrev_b32_e32 v7, v13, v7
	v_cndmask_b32_e32 v11, v15, v11, vcc_lo
	s_delay_alu instid0(VALU_DEP_2) | instskip(NEXT) | instid1(VALU_DEP_1)
	v_and_b32_e32 v7, 3, v7
	v_cndmask_b32_e32 v7, v9, v7, vcc_lo
	s_delay_alu instid0(VALU_DEP_3) | instskip(NEXT) | instid1(VALU_DEP_2)
	v_lshl_add_u32 v9, v11, 23, 0x37800000
	v_lshlrev_b32_e32 v7, 21, v7
	s_delay_alu instid0(VALU_DEP_1)
	v_or3_b32 v7, v5, v9, v7
.LBB167_2464:
	s_or_b32 exec_lo, exec_lo, s19
	s_delay_alu instid0(VALU_DEP_1) | instskip(SKIP_2) | instid1(VALU_DEP_2)
	v_bfe_u32 v5, v7, 16, 1
	v_cmp_o_f32_e32 vcc_lo, v7, v7
	s_mov_b32 s18, 0
	v_add3_u32 v5, v7, v5, 0x7fff
	s_delay_alu instid0(VALU_DEP_1) | instskip(NEXT) | instid1(VALU_DEP_1)
	v_lshrrev_b32_e32 v5, 16, v5
	v_cndmask_b32_e32 v5, 0x7fc0, v5, vcc_lo
	s_branch .LBB167_2470
.LBB167_2465:
	s_mov_b32 s18, -1
                                        ; implicit-def: $vgpr5
	s_branch .LBB167_2476
.LBB167_2466:
	s_or_saveexec_b32 s20, s20
	v_mov_b32_e32 v7, 0x7f800001
	s_xor_b32 exec_lo, exec_lo, s20
	s_cbranch_execz .LBB167_2449
.LBB167_2467:
	v_cmp_ne_u16_e32 vcc_lo, 0, v5
	v_mov_b32_e32 v7, 0
	s_and_not1_b32 s19, s19, exec_lo
	s_and_b32 s21, vcc_lo, exec_lo
	s_delay_alu instid0(SALU_CYCLE_1)
	s_or_b32 s19, s19, s21
	s_or_b32 exec_lo, exec_lo, s20
	s_and_saveexec_b32 s20, s19
	s_cbranch_execnz .LBB167_2450
	s_branch .LBB167_2451
.LBB167_2468:
	s_mov_b32 s18, -1
                                        ; implicit-def: $vgpr5
	s_branch .LBB167_2473
.LBB167_2469:
	s_mov_b32 s18, -1
                                        ; implicit-def: $vgpr5
.LBB167_2470:
	s_delay_alu instid0(SALU_CYCLE_1)
	s_and_b32 vcc_lo, exec_lo, s18
	s_cbranch_vccz .LBB167_2472
; %bb.2471:
	s_wait_loadcnt 0x0
	global_load_u8 v5, v[26:27], off
	s_wait_loadcnt 0x0
	v_lshlrev_b32_e32 v5, 24, v5
	s_delay_alu instid0(VALU_DEP_1) | instskip(NEXT) | instid1(VALU_DEP_1)
	v_and_b32_e32 v7, 0x7f000000, v5
	v_clz_i32_u32_e32 v9, v7
	v_add_nc_u32_e32 v13, 0x1000000, v7
	v_cmp_ne_u32_e32 vcc_lo, 0, v7
	s_delay_alu instid0(VALU_DEP_3) | instskip(NEXT) | instid1(VALU_DEP_1)
	v_min_u32_e32 v9, 32, v9
	v_sub_nc_u32_e64 v9, v9, 4 clamp
	s_delay_alu instid0(VALU_DEP_1) | instskip(NEXT) | instid1(VALU_DEP_1)
	v_dual_lshlrev_b32 v11, v9, v7 :: v_dual_lshlrev_b32 v9, 23, v9
	v_lshrrev_b32_e32 v11, 4, v11
	s_delay_alu instid0(VALU_DEP_1) | instskip(SKIP_1) | instid1(VALU_DEP_2)
	v_sub_nc_u32_e32 v9, v11, v9
	v_ashrrev_i32_e32 v11, 8, v13
	v_add_nc_u32_e32 v9, 0x3c000000, v9
	s_delay_alu instid0(VALU_DEP_1) | instskip(NEXT) | instid1(VALU_DEP_1)
	v_and_or_b32 v9, 0x7f800000, v11, v9
	v_cndmask_b32_e32 v7, 0, v9, vcc_lo
	s_delay_alu instid0(VALU_DEP_1) | instskip(SKIP_1) | instid1(VALU_DEP_2)
	v_and_or_b32 v5, 0x80000000, v5, v7
	v_bfe_u32 v7, v7, 16, 1
	v_cmp_o_f32_e32 vcc_lo, v5, v5
	s_delay_alu instid0(VALU_DEP_2) | instskip(NEXT) | instid1(VALU_DEP_1)
	v_add3_u32 v7, v5, v7, 0x7fff
	v_lshrrev_b32_e32 v7, 16, v7
	s_delay_alu instid0(VALU_DEP_1)
	v_cndmask_b32_e32 v5, 0x7fc0, v7, vcc_lo
.LBB167_2472:
	s_mov_b32 s18, 0
.LBB167_2473:
	s_delay_alu instid0(SALU_CYCLE_1)
	s_and_not1_b32 vcc_lo, exec_lo, s18
	s_cbranch_vccnz .LBB167_2475
; %bb.2474:
	s_wait_loadcnt 0x0
	global_load_u8 v5, v[26:27], off
	s_wait_loadcnt 0x0
	v_lshlrev_b32_e32 v7, 25, v5
	v_lshlrev_b16 v5, 8, v5
	s_delay_alu instid0(VALU_DEP_1) | instskip(SKIP_1) | instid1(VALU_DEP_2)
	v_and_or_b32 v11, 0x7f00, v5, 0.5
	v_bfe_i32 v5, v5, 0, 16
	v_add_f32_e32 v11, -0.5, v11
	v_lshrrev_b32_e32 v9, 4, v7
	v_cmp_gt_u32_e32 vcc_lo, 0x8000000, v7
	s_delay_alu instid0(VALU_DEP_2) | instskip(NEXT) | instid1(VALU_DEP_1)
	v_or_b32_e32 v9, 0x70000000, v9
	v_mul_f32_e32 v9, 0x7800000, v9
	s_delay_alu instid0(VALU_DEP_1) | instskip(NEXT) | instid1(VALU_DEP_1)
	v_cndmask_b32_e32 v7, v9, v11, vcc_lo
	v_and_or_b32 v5, 0x80000000, v5, v7
	v_bfe_u32 v7, v7, 16, 1
	s_delay_alu instid0(VALU_DEP_2) | instskip(NEXT) | instid1(VALU_DEP_2)
	v_cmp_o_f32_e32 vcc_lo, v5, v5
	v_add3_u32 v7, v5, v7, 0x7fff
	s_delay_alu instid0(VALU_DEP_1) | instskip(NEXT) | instid1(VALU_DEP_1)
	v_lshrrev_b32_e32 v7, 16, v7
	v_cndmask_b32_e32 v5, 0x7fc0, v7, vcc_lo
.LBB167_2475:
	s_mov_b32 s18, 0
	s_mov_b32 s19, -1
.LBB167_2476:
	s_and_not1_b32 vcc_lo, exec_lo, s18
	s_mov_b32 s18, 0
	s_cbranch_vccnz .LBB167_2487
; %bb.2477:
	s_cmp_gt_i32 s16, 14
	s_cbranch_scc0 .LBB167_2480
; %bb.2478:
	s_cmp_eq_u32 s16, 15
	s_cbranch_scc0 .LBB167_2483
; %bb.2479:
	s_wait_loadcnt 0x0
	global_load_u16 v5, v[26:27], off
	s_mov_b32 s17, 0
	s_mov_b32 s19, -1
	s_branch .LBB167_2485
.LBB167_2480:
	s_mov_b32 s18, -1
	s_branch .LBB167_2484
.LBB167_2481:
	s_or_saveexec_b32 s19, s19
	v_mov_b32_e32 v7, 0x7f800001
	s_xor_b32 exec_lo, exec_lo, s19
	s_cbranch_execz .LBB167_2462
.LBB167_2482:
	v_cmp_ne_u16_e32 vcc_lo, 0, v5
	v_mov_b32_e32 v7, 0
	s_and_not1_b32 s18, s18, exec_lo
	s_and_b32 s20, vcc_lo, exec_lo
	s_delay_alu instid0(SALU_CYCLE_1)
	s_or_b32 s18, s18, s20
	s_or_b32 exec_lo, exec_lo, s19
	s_and_saveexec_b32 s19, s18
	s_cbranch_execnz .LBB167_2463
	s_branch .LBB167_2464
.LBB167_2483:
	s_mov_b32 s17, -1
.LBB167_2484:
                                        ; implicit-def: $vgpr5
.LBB167_2485:
	s_and_b32 vcc_lo, exec_lo, s18
	s_mov_b32 s18, 0
	s_cbranch_vccz .LBB167_2487
; %bb.2486:
	s_cmp_lg_u32 s16, 11
	s_mov_b32 s18, -1
	s_cselect_b32 s17, -1, 0
.LBB167_2487:
	s_delay_alu instid0(SALU_CYCLE_1)
	s_and_b32 vcc_lo, exec_lo, s17
	s_cbranch_vccnz .LBB167_2550
; %bb.2488:
	s_and_not1_b32 vcc_lo, exec_lo, s18
	s_cbranch_vccnz .LBB167_2490
.LBB167_2489:
	s_wait_loadcnt 0x0
	global_load_u8 v5, v[26:27], off
	s_mov_b32 s19, -1
	s_wait_loadcnt 0x0
	v_cmp_ne_u16_e32 vcc_lo, 0, v5
	v_cndmask_b32_e64 v5, 0, 1.0, vcc_lo
	s_delay_alu instid0(VALU_DEP_1)
	v_lshrrev_b32_e32 v5, 16, v5
.LBB167_2490:
	s_branch .LBB167_2417
.LBB167_2491:
	s_and_b32 s16, 0xffff, s15
	s_delay_alu instid0(SALU_CYCLE_1)
	s_cmp_lt_i32 s16, 5
	s_cbranch_scc1 .LBB167_2496
; %bb.2492:
	s_cmp_lt_i32 s16, 8
	s_cbranch_scc1 .LBB167_2497
; %bb.2493:
	;; [unrolled: 3-line block ×3, first 2 shown]
	s_cmp_gt_i32 s16, 9
	s_cbranch_scc0 .LBB167_2499
; %bb.2495:
	global_load_b64 v[28:29], v[26:27], off
	s_mov_b32 s17, 0
	s_wait_loadcnt 0x0
	v_cvt_f32_f64_e32 v5, v[28:29]
	s_delay_alu instid0(VALU_DEP_1) | instskip(SKIP_1) | instid1(VALU_DEP_2)
	v_bfe_u32 v7, v5, 16, 1
	v_cmp_o_f32_e32 vcc_lo, v5, v5
	v_add3_u32 v7, v5, v7, 0x7fff
	s_delay_alu instid0(VALU_DEP_1) | instskip(NEXT) | instid1(VALU_DEP_1)
	v_lshrrev_b32_e32 v7, 16, v7
	v_cndmask_b32_e32 v5, 0x7fc0, v7, vcc_lo
	s_branch .LBB167_2500
.LBB167_2496:
	s_mov_b32 s17, -1
                                        ; implicit-def: $vgpr5
	s_branch .LBB167_2518
.LBB167_2497:
	s_mov_b32 s17, -1
                                        ; implicit-def: $vgpr5
	s_branch .LBB167_2506
.LBB167_2498:
	s_mov_b32 s17, -1
                                        ; implicit-def: $vgpr5
	s_branch .LBB167_2503
.LBB167_2499:
	s_mov_b32 s17, -1
                                        ; implicit-def: $vgpr5
.LBB167_2500:
	s_delay_alu instid0(SALU_CYCLE_1)
	s_and_not1_b32 vcc_lo, exec_lo, s17
	s_cbranch_vccnz .LBB167_2502
; %bb.2501:
	s_wait_loadcnt 0x0
	global_load_b32 v5, v[26:27], off
	s_wait_loadcnt 0x0
	v_bfe_u32 v7, v5, 16, 1
	v_cmp_o_f32_e32 vcc_lo, v5, v5
	s_delay_alu instid0(VALU_DEP_2) | instskip(NEXT) | instid1(VALU_DEP_1)
	v_add3_u32 v7, v5, v7, 0x7fff
	v_lshrrev_b32_e32 v7, 16, v7
	s_delay_alu instid0(VALU_DEP_1)
	v_cndmask_b32_e32 v5, 0x7fc0, v7, vcc_lo
.LBB167_2502:
	s_mov_b32 s17, 0
.LBB167_2503:
	s_delay_alu instid0(SALU_CYCLE_1)
	s_and_not1_b32 vcc_lo, exec_lo, s17
	s_cbranch_vccnz .LBB167_2505
; %bb.2504:
	s_wait_loadcnt 0x0
	global_load_b32 v5, v[26:27], off
	s_wait_loadcnt 0x0
	v_cvt_f32_f16_e32 v7, v5
	v_cmp_o_f16_e32 vcc_lo, v5, v5
	s_delay_alu instid0(VALU_DEP_2) | instskip(NEXT) | instid1(VALU_DEP_1)
	v_bfe_u32 v9, v7, 16, 1
	v_add3_u32 v7, v7, v9, 0x7fff
	s_delay_alu instid0(VALU_DEP_1) | instskip(NEXT) | instid1(VALU_DEP_1)
	v_lshrrev_b32_e32 v7, 16, v7
	v_cndmask_b32_e32 v5, 0x7fc0, v7, vcc_lo
.LBB167_2505:
	s_mov_b32 s17, 0
.LBB167_2506:
	s_delay_alu instid0(SALU_CYCLE_1)
	s_and_not1_b32 vcc_lo, exec_lo, s17
	s_cbranch_vccnz .LBB167_2517
; %bb.2507:
	s_cmp_lt_i32 s16, 6
	s_cbranch_scc1 .LBB167_2510
; %bb.2508:
	s_cmp_gt_i32 s16, 6
	s_cbranch_scc0 .LBB167_2511
; %bb.2509:
	global_load_b64 v[28:29], v[26:27], off
	s_mov_b32 s17, 0
	s_wait_loadcnt 0x0
	v_cvt_f32_f64_e32 v5, v[28:29]
	s_delay_alu instid0(VALU_DEP_1) | instskip(SKIP_1) | instid1(VALU_DEP_2)
	v_bfe_u32 v7, v5, 16, 1
	v_cmp_o_f32_e32 vcc_lo, v5, v5
	v_add3_u32 v7, v5, v7, 0x7fff
	s_delay_alu instid0(VALU_DEP_1) | instskip(NEXT) | instid1(VALU_DEP_1)
	v_lshrrev_b32_e32 v7, 16, v7
	v_cndmask_b32_e32 v5, 0x7fc0, v7, vcc_lo
	s_branch .LBB167_2512
.LBB167_2510:
	s_mov_b32 s17, -1
                                        ; implicit-def: $vgpr5
	s_branch .LBB167_2515
.LBB167_2511:
	s_mov_b32 s17, -1
                                        ; implicit-def: $vgpr5
.LBB167_2512:
	s_delay_alu instid0(SALU_CYCLE_1)
	s_and_not1_b32 vcc_lo, exec_lo, s17
	s_cbranch_vccnz .LBB167_2514
; %bb.2513:
	s_wait_loadcnt 0x0
	global_load_b32 v5, v[26:27], off
	s_wait_loadcnt 0x0
	v_bfe_u32 v7, v5, 16, 1
	v_cmp_o_f32_e32 vcc_lo, v5, v5
	s_delay_alu instid0(VALU_DEP_2) | instskip(NEXT) | instid1(VALU_DEP_1)
	v_add3_u32 v7, v5, v7, 0x7fff
	v_lshrrev_b32_e32 v7, 16, v7
	s_delay_alu instid0(VALU_DEP_1)
	v_cndmask_b32_e32 v5, 0x7fc0, v7, vcc_lo
.LBB167_2514:
	s_mov_b32 s17, 0
.LBB167_2515:
	s_delay_alu instid0(SALU_CYCLE_1)
	s_and_not1_b32 vcc_lo, exec_lo, s17
	s_cbranch_vccnz .LBB167_2517
; %bb.2516:
	s_wait_loadcnt 0x0
	global_load_u16 v5, v[26:27], off
	s_wait_loadcnt 0x0
	v_cvt_f32_f16_e32 v7, v5
	v_cmp_o_f16_e32 vcc_lo, v5, v5
	s_delay_alu instid0(VALU_DEP_2) | instskip(NEXT) | instid1(VALU_DEP_1)
	v_bfe_u32 v9, v7, 16, 1
	v_add3_u32 v7, v7, v9, 0x7fff
	s_delay_alu instid0(VALU_DEP_1) | instskip(NEXT) | instid1(VALU_DEP_1)
	v_lshrrev_b32_e32 v7, 16, v7
	v_cndmask_b32_e32 v5, 0x7fc0, v7, vcc_lo
.LBB167_2517:
	s_mov_b32 s17, 0
.LBB167_2518:
	s_delay_alu instid0(SALU_CYCLE_1)
	s_and_not1_b32 vcc_lo, exec_lo, s17
	s_cbranch_vccnz .LBB167_2538
; %bb.2519:
	s_cmp_lt_i32 s16, 2
	s_cbranch_scc1 .LBB167_2523
; %bb.2520:
	s_cmp_lt_i32 s16, 3
	s_cbranch_scc1 .LBB167_2524
; %bb.2521:
	s_cmp_gt_i32 s16, 3
	s_cbranch_scc0 .LBB167_2525
; %bb.2522:
	global_load_b64 v[28:29], v[26:27], off
	s_mov_b32 s17, 0
	s_wait_loadcnt 0x0
	v_xor_b32_e32 v5, v28, v29
	v_cls_i32_e32 v7, v29
	s_delay_alu instid0(VALU_DEP_2) | instskip(NEXT) | instid1(VALU_DEP_1)
	v_ashrrev_i32_e32 v5, 31, v5
	v_add_nc_u32_e32 v5, 32, v5
	s_delay_alu instid0(VALU_DEP_1) | instskip(NEXT) | instid1(VALU_DEP_1)
	v_add_min_u32_e64 v5, v7, -1, v5
	v_lshlrev_b64_e32 v[28:29], v5, v[28:29]
	v_sub_nc_u32_e32 v5, 32, v5
	s_delay_alu instid0(VALU_DEP_2) | instskip(NEXT) | instid1(VALU_DEP_1)
	v_min_u32_e32 v7, 1, v28
	v_or_b32_e32 v7, v29, v7
	s_delay_alu instid0(VALU_DEP_1) | instskip(NEXT) | instid1(VALU_DEP_1)
	v_cvt_f32_i32_e32 v7, v7
	v_ldexp_f32 v5, v7, v5
	s_delay_alu instid0(VALU_DEP_1) | instskip(NEXT) | instid1(VALU_DEP_1)
	v_bfe_u32 v7, v5, 16, 1
	v_add3_u32 v5, v5, v7, 0x7fff
	s_delay_alu instid0(VALU_DEP_1)
	v_lshrrev_b32_e32 v5, 16, v5
	s_branch .LBB167_2526
.LBB167_2523:
	s_mov_b32 s17, -1
                                        ; implicit-def: $vgpr5
	s_branch .LBB167_2532
.LBB167_2524:
	s_mov_b32 s17, -1
                                        ; implicit-def: $vgpr5
	s_branch .LBB167_2529
.LBB167_2525:
	s_mov_b32 s17, -1
                                        ; implicit-def: $vgpr5
.LBB167_2526:
	s_delay_alu instid0(SALU_CYCLE_1)
	s_and_not1_b32 vcc_lo, exec_lo, s17
	s_cbranch_vccnz .LBB167_2528
; %bb.2527:
	s_wait_loadcnt 0x0
	global_load_b32 v5, v[26:27], off
	s_wait_loadcnt 0x0
	v_cvt_f32_i32_e32 v5, v5
	s_delay_alu instid0(VALU_DEP_1) | instskip(NEXT) | instid1(VALU_DEP_1)
	v_bfe_u32 v7, v5, 16, 1
	v_add3_u32 v5, v5, v7, 0x7fff
	s_delay_alu instid0(VALU_DEP_1)
	v_lshrrev_b32_e32 v5, 16, v5
.LBB167_2528:
	s_mov_b32 s17, 0
.LBB167_2529:
	s_delay_alu instid0(SALU_CYCLE_1)
	s_and_not1_b32 vcc_lo, exec_lo, s17
	s_cbranch_vccnz .LBB167_2531
; %bb.2530:
	s_wait_loadcnt 0x0
	global_load_i16 v5, v[26:27], off
	s_wait_loadcnt 0x0
	v_cvt_f32_i32_e32 v5, v5
	s_delay_alu instid0(VALU_DEP_1) | instskip(NEXT) | instid1(VALU_DEP_1)
	v_bfe_u32 v7, v5, 16, 1
	v_add3_u32 v5, v5, v7, 0x7fff
	s_delay_alu instid0(VALU_DEP_1)
	v_lshrrev_b32_e32 v5, 16, v5
.LBB167_2531:
	s_mov_b32 s17, 0
.LBB167_2532:
	s_delay_alu instid0(SALU_CYCLE_1)
	s_and_not1_b32 vcc_lo, exec_lo, s17
	s_cbranch_vccnz .LBB167_2538
; %bb.2533:
	s_cmp_gt_i32 s16, 0
	s_mov_b32 s16, 0
	s_cbranch_scc0 .LBB167_2535
; %bb.2534:
	s_wait_loadcnt 0x0
	global_load_i8 v5, v[26:27], off
	s_wait_loadcnt 0x0
	v_cvt_f32_i32_e32 v5, v5
	s_delay_alu instid0(VALU_DEP_1) | instskip(NEXT) | instid1(VALU_DEP_1)
	v_bfe_u32 v7, v5, 16, 1
	v_add3_u32 v5, v5, v7, 0x7fff
	s_delay_alu instid0(VALU_DEP_1)
	v_lshrrev_b32_e32 v5, 16, v5
	s_branch .LBB167_2536
.LBB167_2535:
	s_mov_b32 s16, -1
                                        ; implicit-def: $vgpr5
.LBB167_2536:
	s_delay_alu instid0(SALU_CYCLE_1)
	s_and_not1_b32 vcc_lo, exec_lo, s16
	s_cbranch_vccnz .LBB167_2538
; %bb.2537:
	s_wait_loadcnt 0x0
	global_load_u8 v5, v[26:27], off
	s_wait_loadcnt 0x0
	v_cvt_f32_ubyte0_e32 v5, v5
	s_delay_alu instid0(VALU_DEP_1) | instskip(NEXT) | instid1(VALU_DEP_1)
	v_bfe_u32 v7, v5, 16, 1
	v_add3_u32 v5, v5, v7, 0x7fff
	s_delay_alu instid0(VALU_DEP_1)
	v_lshrrev_b32_e32 v5, 16, v5
.LBB167_2538:
.LBB167_2539:
	v_mov_b32_e32 v25, 0
	s_and_b32 s13, 0xffff, s13
	s_delay_alu instid0(SALU_CYCLE_1) | instskip(NEXT) | instid1(VALU_DEP_1)
	s_cmp_lt_i32 s13, 11
	v_add_nc_u64_e32 v[24:25], s[6:7], v[24:25]
	s_cbranch_scc1 .LBB167_2546
; %bb.2540:
	s_cmp_gt_i32 s13, 25
	s_mov_b32 s17, 0
	s_cbranch_scc0 .LBB167_2547
; %bb.2541:
	s_cmp_gt_i32 s13, 28
	s_cbranch_scc0 .LBB167_2548
; %bb.2542:
	s_cmp_gt_i32 s13, 43
	;; [unrolled: 3-line block ×3, first 2 shown]
	s_cbranch_scc0 .LBB167_2551
; %bb.2544:
	s_cmp_eq_u32 s13, 46
	s_mov_b32 s19, 0
	s_cbranch_scc0 .LBB167_2552
; %bb.2545:
	global_load_b32 v26, v[24:25], off
	s_mov_b32 s16, 0
	s_mov_b32 s18, -1
	s_branch .LBB167_2554
.LBB167_2546:
	s_mov_b32 s16, -1
	s_mov_b32 s18, 0
                                        ; implicit-def: $vgpr26
	s_branch .LBB167_2620
.LBB167_2547:
	s_mov_b32 s19, -1
	s_mov_b32 s18, 0
	s_mov_b32 s16, 0
                                        ; implicit-def: $vgpr26
	s_branch .LBB167_2583
.LBB167_2548:
	s_mov_b32 s19, -1
	s_mov_b32 s18, 0
	s_mov_b32 s16, 0
                                        ; implicit-def: $vgpr26
	s_branch .LBB167_2564
.LBB167_2549:
	s_mov_b32 s19, -1
	s_mov_b32 s18, 0
	s_mov_b32 s16, 0
                                        ; implicit-def: $vgpr26
	s_branch .LBB167_2559
.LBB167_2550:
	s_or_b32 s12, s12, exec_lo
	s_trap 2
	s_cbranch_execz .LBB167_2489
	s_branch .LBB167_2490
.LBB167_2551:
	s_mov_b32 s19, -1
	s_mov_b32 s18, 0
	s_mov_b32 s16, 0
	s_branch .LBB167_2553
.LBB167_2552:
	s_mov_b32 s16, -1
	s_mov_b32 s18, 0
.LBB167_2553:
                                        ; implicit-def: $vgpr26
.LBB167_2554:
	s_and_b32 vcc_lo, exec_lo, s19
	s_cbranch_vccz .LBB167_2558
; %bb.2555:
	s_cmp_eq_u32 s13, 44
	s_cbranch_scc0 .LBB167_2557
; %bb.2556:
	global_load_u8 v7, v[24:25], off
	s_mov_b32 s16, 0
	s_mov_b32 s18, -1
	s_wait_loadcnt 0x0
	v_lshlrev_b32_e32 v9, 23, v7
	v_cmp_ne_u32_e32 vcc_lo, 0xff, v7
	s_delay_alu instid0(VALU_DEP_2) | instskip(SKIP_1) | instid1(VALU_DEP_2)
	v_cndmask_b32_e32 v9, 0x7f800001, v9, vcc_lo
	v_cmp_ne_u32_e32 vcc_lo, 0, v7
	v_cndmask_b32_e32 v7, 0x400000, v9, vcc_lo
	s_delay_alu instid0(VALU_DEP_1) | instskip(SKIP_1) | instid1(VALU_DEP_2)
	v_add_nc_u32_e32 v9, 0x7fff, v7
	v_cmp_o_f32_e32 vcc_lo, v7, v7
	v_lshrrev_b32_e32 v9, 16, v9
	s_wait_xcnt 0x1
	s_delay_alu instid0(VALU_DEP_1)
	v_cndmask_b32_e32 v26, 0x7fc0, v9, vcc_lo
	s_branch .LBB167_2558
.LBB167_2557:
	s_mov_b32 s16, -1
                                        ; implicit-def: $vgpr26
.LBB167_2558:
	s_mov_b32 s19, 0
.LBB167_2559:
	s_delay_alu instid0(SALU_CYCLE_1)
	s_and_b32 vcc_lo, exec_lo, s19
	s_cbranch_vccz .LBB167_2563
; %bb.2560:
	s_cmp_eq_u32 s13, 29
	s_cbranch_scc0 .LBB167_2562
; %bb.2561:
	s_wait_loadcnt 0x0
	global_load_b64 v[26:27], v[24:25], off
	s_mov_b32 s16, 0
	s_mov_b32 s18, -1
	s_mov_b32 s19, 0
	s_wait_loadcnt 0x0
	v_clz_i32_u32_e32 v7, v27
	s_delay_alu instid0(VALU_DEP_1) | instskip(NEXT) | instid1(VALU_DEP_1)
	v_min_u32_e32 v7, 32, v7
	v_lshlrev_b64_e32 v[26:27], v7, v[26:27]
	v_sub_nc_u32_e32 v7, 32, v7
	s_delay_alu instid0(VALU_DEP_2) | instskip(NEXT) | instid1(VALU_DEP_1)
	v_min_u32_e32 v9, 1, v26
	v_or_b32_e32 v9, v27, v9
	s_delay_alu instid0(VALU_DEP_1) | instskip(NEXT) | instid1(VALU_DEP_1)
	v_cvt_f32_u32_e32 v9, v9
	v_ldexp_f32 v7, v9, v7
	s_delay_alu instid0(VALU_DEP_1) | instskip(NEXT) | instid1(VALU_DEP_1)
	v_bfe_u32 v9, v7, 16, 1
	v_add3_u32 v7, v7, v9, 0x7fff
	s_delay_alu instid0(VALU_DEP_1)
	v_lshrrev_b32_e32 v26, 16, v7
	s_branch .LBB167_2564
.LBB167_2562:
	s_mov_b32 s16, -1
                                        ; implicit-def: $vgpr26
.LBB167_2563:
	s_mov_b32 s19, 0
.LBB167_2564:
	s_delay_alu instid0(SALU_CYCLE_1)
	s_and_b32 vcc_lo, exec_lo, s19
	s_cbranch_vccz .LBB167_2582
; %bb.2565:
	s_cmp_lt_i32 s13, 27
	s_cbranch_scc1 .LBB167_2568
; %bb.2566:
	s_cmp_gt_i32 s13, 27
	s_cbranch_scc0 .LBB167_2569
; %bb.2567:
	global_load_b32 v7, v[24:25], off
	s_mov_b32 s18, 0
	s_wait_loadcnt 0x0
	v_cvt_f32_u32_e32 v7, v7
	s_delay_alu instid0(VALU_DEP_1) | instskip(NEXT) | instid1(VALU_DEP_1)
	v_bfe_u32 v9, v7, 16, 1
	v_add3_u32 v7, v7, v9, 0x7fff
	s_wait_xcnt 0x1
	s_delay_alu instid0(VALU_DEP_1)
	v_lshrrev_b32_e32 v26, 16, v7
	s_branch .LBB167_2570
.LBB167_2568:
	s_mov_b32 s18, -1
                                        ; implicit-def: $vgpr26
	s_branch .LBB167_2573
.LBB167_2569:
	s_mov_b32 s18, -1
                                        ; implicit-def: $vgpr26
.LBB167_2570:
	s_delay_alu instid0(SALU_CYCLE_1)
	s_and_not1_b32 vcc_lo, exec_lo, s18
	s_cbranch_vccnz .LBB167_2572
; %bb.2571:
	global_load_u16 v7, v[24:25], off
	s_wait_loadcnt 0x0
	v_cvt_f32_u32_e32 v7, v7
	s_delay_alu instid0(VALU_DEP_1) | instskip(NEXT) | instid1(VALU_DEP_1)
	v_bfe_u32 v9, v7, 16, 1
	v_add3_u32 v7, v7, v9, 0x7fff
	s_wait_xcnt 0x1
	s_delay_alu instid0(VALU_DEP_1)
	v_lshrrev_b32_e32 v26, 16, v7
.LBB167_2572:
	s_mov_b32 s18, 0
.LBB167_2573:
	s_delay_alu instid0(SALU_CYCLE_1)
	s_and_not1_b32 vcc_lo, exec_lo, s18
	s_cbranch_vccnz .LBB167_2581
; %bb.2574:
	global_load_u8 v7, v[24:25], off
	s_mov_b32 s18, 0
	s_mov_b32 s19, exec_lo
	s_wait_loadcnt 0x0
	v_cmpx_lt_i16_e32 0x7f, v7
	s_xor_b32 s19, exec_lo, s19
	s_cbranch_execz .LBB167_2595
; %bb.2575:
	s_mov_b32 s18, -1
	s_mov_b32 s20, exec_lo
	v_cmpx_eq_u16_e32 0x80, v7
; %bb.2576:
	s_xor_b32 s18, exec_lo, -1
; %bb.2577:
	s_or_b32 exec_lo, exec_lo, s20
	s_delay_alu instid0(SALU_CYCLE_1)
	s_and_b32 s18, s18, exec_lo
	s_or_saveexec_b32 s19, s19
	v_mov_b32_e32 v9, 0x7f800001
	s_xor_b32 exec_lo, exec_lo, s19
	s_cbranch_execnz .LBB167_2596
.LBB167_2578:
	s_or_b32 exec_lo, exec_lo, s19
	s_and_saveexec_b32 s19, s18
	s_cbranch_execz .LBB167_2580
.LBB167_2579:
	v_and_b32_e32 v9, 0xffff, v7
	s_delay_alu instid0(VALU_DEP_1) | instskip(SKIP_1) | instid1(VALU_DEP_2)
	v_dual_lshlrev_b32 v7, 24, v7 :: v_dual_bitop2_b32 v11, 7, v9 bitop3:0x40
	v_bfe_u32 v17, v9, 3, 4
	v_and_b32_e32 v7, 0x80000000, v7
	s_delay_alu instid0(VALU_DEP_3) | instskip(NEXT) | instid1(VALU_DEP_3)
	v_clz_i32_u32_e32 v13, v11
	v_cmp_eq_u32_e32 vcc_lo, 0, v17
	s_delay_alu instid0(VALU_DEP_2) | instskip(NEXT) | instid1(VALU_DEP_1)
	v_min_u32_e32 v13, 32, v13
	v_subrev_nc_u32_e32 v15, 28, v13
	v_sub_nc_u32_e32 v13, 29, v13
	s_delay_alu instid0(VALU_DEP_2) | instskip(NEXT) | instid1(VALU_DEP_2)
	v_lshlrev_b32_e32 v9, v15, v9
	v_cndmask_b32_e32 v13, v17, v13, vcc_lo
	s_delay_alu instid0(VALU_DEP_2) | instskip(NEXT) | instid1(VALU_DEP_1)
	v_and_b32_e32 v9, 7, v9
	v_cndmask_b32_e32 v9, v11, v9, vcc_lo
	s_delay_alu instid0(VALU_DEP_3) | instskip(NEXT) | instid1(VALU_DEP_2)
	v_lshl_add_u32 v11, v13, 23, 0x3b800000
	v_lshlrev_b32_e32 v9, 20, v9
	s_delay_alu instid0(VALU_DEP_1)
	v_or3_b32 v9, v7, v11, v9
.LBB167_2580:
	s_or_b32 exec_lo, exec_lo, s19
	s_delay_alu instid0(VALU_DEP_1) | instskip(SKIP_1) | instid1(VALU_DEP_2)
	v_bfe_u32 v7, v9, 16, 1
	v_cmp_o_f32_e32 vcc_lo, v9, v9
	v_add3_u32 v7, v9, v7, 0x7fff
	s_delay_alu instid0(VALU_DEP_1) | instskip(NEXT) | instid1(VALU_DEP_1)
	v_lshrrev_b32_e32 v7, 16, v7
	v_cndmask_b32_e32 v26, 0x7fc0, v7, vcc_lo
.LBB167_2581:
	s_mov_b32 s18, -1
.LBB167_2582:
	s_mov_b32 s19, 0
.LBB167_2583:
	s_delay_alu instid0(SALU_CYCLE_1)
	s_and_b32 vcc_lo, exec_lo, s19
	s_cbranch_vccz .LBB167_2616
; %bb.2584:
	s_cmp_gt_i32 s13, 22
	s_cbranch_scc0 .LBB167_2594
; %bb.2585:
	s_cmp_lt_i32 s13, 24
	s_cbranch_scc1 .LBB167_2597
; %bb.2586:
	s_cmp_gt_i32 s13, 24
	s_cbranch_scc0 .LBB167_2598
; %bb.2587:
	global_load_u8 v7, v[24:25], off
	s_mov_b32 s18, exec_lo
	s_wait_loadcnt 0x0
	v_cmpx_lt_i16_e32 0x7f, v7
	s_xor_b32 s18, exec_lo, s18
	s_cbranch_execz .LBB167_2610
; %bb.2588:
	s_mov_b32 s17, -1
	s_mov_b32 s19, exec_lo
	v_cmpx_eq_u16_e32 0x80, v7
; %bb.2589:
	s_xor_b32 s17, exec_lo, -1
; %bb.2590:
	s_or_b32 exec_lo, exec_lo, s19
	s_delay_alu instid0(SALU_CYCLE_1)
	s_and_b32 s17, s17, exec_lo
	s_or_saveexec_b32 s18, s18
	v_mov_b32_e32 v9, 0x7f800001
	s_xor_b32 exec_lo, exec_lo, s18
	s_cbranch_execnz .LBB167_2611
.LBB167_2591:
	s_or_b32 exec_lo, exec_lo, s18
	s_and_saveexec_b32 s18, s17
	s_cbranch_execz .LBB167_2593
.LBB167_2592:
	v_and_b32_e32 v9, 0xffff, v7
	s_delay_alu instid0(VALU_DEP_1) | instskip(SKIP_1) | instid1(VALU_DEP_2)
	v_dual_lshlrev_b32 v7, 24, v7 :: v_dual_bitop2_b32 v11, 3, v9 bitop3:0x40
	v_bfe_u32 v17, v9, 2, 5
	v_and_b32_e32 v7, 0x80000000, v7
	s_delay_alu instid0(VALU_DEP_3) | instskip(NEXT) | instid1(VALU_DEP_3)
	v_clz_i32_u32_e32 v13, v11
	v_cmp_eq_u32_e32 vcc_lo, 0, v17
	s_delay_alu instid0(VALU_DEP_2) | instskip(NEXT) | instid1(VALU_DEP_1)
	v_min_u32_e32 v13, 32, v13
	v_subrev_nc_u32_e32 v15, 29, v13
	v_sub_nc_u32_e32 v13, 30, v13
	s_delay_alu instid0(VALU_DEP_2) | instskip(NEXT) | instid1(VALU_DEP_2)
	v_lshlrev_b32_e32 v9, v15, v9
	v_cndmask_b32_e32 v13, v17, v13, vcc_lo
	s_delay_alu instid0(VALU_DEP_2) | instskip(NEXT) | instid1(VALU_DEP_1)
	v_and_b32_e32 v9, 3, v9
	v_cndmask_b32_e32 v9, v11, v9, vcc_lo
	s_delay_alu instid0(VALU_DEP_3) | instskip(NEXT) | instid1(VALU_DEP_2)
	v_lshl_add_u32 v11, v13, 23, 0x37800000
	v_lshlrev_b32_e32 v9, 21, v9
	s_delay_alu instid0(VALU_DEP_1)
	v_or3_b32 v9, v7, v11, v9
.LBB167_2593:
	s_or_b32 exec_lo, exec_lo, s18
	s_delay_alu instid0(VALU_DEP_1) | instskip(SKIP_2) | instid1(VALU_DEP_2)
	v_bfe_u32 v7, v9, 16, 1
	v_cmp_o_f32_e32 vcc_lo, v9, v9
	s_mov_b32 s17, 0
	v_add3_u32 v7, v9, v7, 0x7fff
	s_delay_alu instid0(VALU_DEP_1) | instskip(NEXT) | instid1(VALU_DEP_1)
	v_lshrrev_b32_e32 v7, 16, v7
	v_cndmask_b32_e32 v26, 0x7fc0, v7, vcc_lo
	s_branch .LBB167_2599
.LBB167_2594:
	s_mov_b32 s17, -1
                                        ; implicit-def: $vgpr26
	s_branch .LBB167_2605
.LBB167_2595:
	s_or_saveexec_b32 s19, s19
	v_mov_b32_e32 v9, 0x7f800001
	s_xor_b32 exec_lo, exec_lo, s19
	s_cbranch_execz .LBB167_2578
.LBB167_2596:
	v_cmp_ne_u16_e32 vcc_lo, 0, v7
	v_mov_b32_e32 v9, 0
	s_and_not1_b32 s18, s18, exec_lo
	s_and_b32 s20, vcc_lo, exec_lo
	s_delay_alu instid0(SALU_CYCLE_1)
	s_or_b32 s18, s18, s20
	s_or_b32 exec_lo, exec_lo, s19
	s_and_saveexec_b32 s19, s18
	s_cbranch_execnz .LBB167_2579
	s_branch .LBB167_2580
.LBB167_2597:
	s_mov_b32 s17, -1
                                        ; implicit-def: $vgpr26
	s_branch .LBB167_2602
.LBB167_2598:
	s_mov_b32 s17, -1
                                        ; implicit-def: $vgpr26
.LBB167_2599:
	s_delay_alu instid0(SALU_CYCLE_1)
	s_and_b32 vcc_lo, exec_lo, s17
	s_cbranch_vccz .LBB167_2601
; %bb.2600:
	global_load_u8 v7, v[24:25], off
	s_wait_loadcnt 0x0
	v_lshlrev_b32_e32 v7, 24, v7
	s_delay_alu instid0(VALU_DEP_1) | instskip(NEXT) | instid1(VALU_DEP_1)
	v_and_b32_e32 v9, 0x7f000000, v7
	v_clz_i32_u32_e32 v11, v9
	v_add_nc_u32_e32 v15, 0x1000000, v9
	v_cmp_ne_u32_e32 vcc_lo, 0, v9
	s_delay_alu instid0(VALU_DEP_3) | instskip(NEXT) | instid1(VALU_DEP_1)
	v_min_u32_e32 v11, 32, v11
	v_sub_nc_u32_e64 v11, v11, 4 clamp
	s_delay_alu instid0(VALU_DEP_1) | instskip(NEXT) | instid1(VALU_DEP_1)
	v_dual_lshlrev_b32 v13, v11, v9 :: v_dual_lshlrev_b32 v11, 23, v11
	v_lshrrev_b32_e32 v13, 4, v13
	s_delay_alu instid0(VALU_DEP_1) | instskip(SKIP_1) | instid1(VALU_DEP_2)
	v_sub_nc_u32_e32 v11, v13, v11
	v_ashrrev_i32_e32 v13, 8, v15
	v_add_nc_u32_e32 v11, 0x3c000000, v11
	s_delay_alu instid0(VALU_DEP_1) | instskip(NEXT) | instid1(VALU_DEP_1)
	v_and_or_b32 v11, 0x7f800000, v13, v11
	v_cndmask_b32_e32 v9, 0, v11, vcc_lo
	s_delay_alu instid0(VALU_DEP_1) | instskip(SKIP_1) | instid1(VALU_DEP_2)
	v_and_or_b32 v7, 0x80000000, v7, v9
	v_bfe_u32 v9, v9, 16, 1
	v_cmp_o_f32_e32 vcc_lo, v7, v7
	s_delay_alu instid0(VALU_DEP_2) | instskip(NEXT) | instid1(VALU_DEP_1)
	v_add3_u32 v9, v7, v9, 0x7fff
	v_lshrrev_b32_e32 v9, 16, v9
	s_wait_xcnt 0x1
	s_delay_alu instid0(VALU_DEP_1)
	v_cndmask_b32_e32 v26, 0x7fc0, v9, vcc_lo
.LBB167_2601:
	s_mov_b32 s17, 0
.LBB167_2602:
	s_delay_alu instid0(SALU_CYCLE_1)
	s_and_not1_b32 vcc_lo, exec_lo, s17
	s_cbranch_vccnz .LBB167_2604
; %bb.2603:
	global_load_u8 v7, v[24:25], off
	s_wait_loadcnt 0x0
	v_lshlrev_b32_e32 v9, 25, v7
	v_lshlrev_b16 v7, 8, v7
	s_delay_alu instid0(VALU_DEP_1) | instskip(SKIP_1) | instid1(VALU_DEP_2)
	v_and_or_b32 v13, 0x7f00, v7, 0.5
	v_bfe_i32 v7, v7, 0, 16
	v_add_f32_e32 v13, -0.5, v13
	v_lshrrev_b32_e32 v11, 4, v9
	v_cmp_gt_u32_e32 vcc_lo, 0x8000000, v9
	s_delay_alu instid0(VALU_DEP_2) | instskip(NEXT) | instid1(VALU_DEP_1)
	v_or_b32_e32 v11, 0x70000000, v11
	v_mul_f32_e32 v11, 0x7800000, v11
	s_delay_alu instid0(VALU_DEP_1) | instskip(NEXT) | instid1(VALU_DEP_1)
	v_cndmask_b32_e32 v9, v11, v13, vcc_lo
	v_and_or_b32 v7, 0x80000000, v7, v9
	v_bfe_u32 v9, v9, 16, 1
	s_delay_alu instid0(VALU_DEP_2) | instskip(NEXT) | instid1(VALU_DEP_2)
	v_cmp_o_f32_e32 vcc_lo, v7, v7
	v_add3_u32 v9, v7, v9, 0x7fff
	s_delay_alu instid0(VALU_DEP_1) | instskip(SKIP_1) | instid1(VALU_DEP_1)
	v_lshrrev_b32_e32 v9, 16, v9
	s_wait_xcnt 0x1
	v_cndmask_b32_e32 v26, 0x7fc0, v9, vcc_lo
.LBB167_2604:
	s_mov_b32 s17, 0
	s_mov_b32 s18, -1
.LBB167_2605:
	s_and_not1_b32 vcc_lo, exec_lo, s17
	s_mov_b32 s17, 0
	s_cbranch_vccnz .LBB167_2616
; %bb.2606:
	s_cmp_gt_i32 s13, 14
	s_cbranch_scc0 .LBB167_2609
; %bb.2607:
	s_cmp_eq_u32 s13, 15
	s_cbranch_scc0 .LBB167_2612
; %bb.2608:
	s_wait_loadcnt 0x0
	global_load_u16 v26, v[24:25], off
	s_mov_b32 s16, 0
	s_mov_b32 s18, -1
	s_branch .LBB167_2614
.LBB167_2609:
	s_mov_b32 s17, -1
	s_branch .LBB167_2613
.LBB167_2610:
	s_or_saveexec_b32 s18, s18
	v_mov_b32_e32 v9, 0x7f800001
	s_xor_b32 exec_lo, exec_lo, s18
	s_cbranch_execz .LBB167_2591
.LBB167_2611:
	v_cmp_ne_u16_e32 vcc_lo, 0, v7
	v_mov_b32_e32 v9, 0
	s_and_not1_b32 s17, s17, exec_lo
	s_and_b32 s19, vcc_lo, exec_lo
	s_delay_alu instid0(SALU_CYCLE_1)
	s_or_b32 s17, s17, s19
	s_or_b32 exec_lo, exec_lo, s18
	s_and_saveexec_b32 s18, s17
	s_cbranch_execnz .LBB167_2592
	s_branch .LBB167_2593
.LBB167_2612:
	s_mov_b32 s16, -1
.LBB167_2613:
                                        ; implicit-def: $vgpr26
.LBB167_2614:
	s_and_b32 vcc_lo, exec_lo, s17
	s_mov_b32 s17, 0
	s_cbranch_vccz .LBB167_2616
; %bb.2615:
	s_cmp_lg_u32 s13, 11
	s_mov_b32 s17, -1
	s_cselect_b32 s16, -1, 0
.LBB167_2616:
	s_delay_alu instid0(SALU_CYCLE_1)
	s_and_b32 vcc_lo, exec_lo, s16
	s_cbranch_vccnz .LBB167_2681
; %bb.2617:
	s_and_not1_b32 vcc_lo, exec_lo, s17
	s_cbranch_vccnz .LBB167_2619
.LBB167_2618:
	global_load_u8 v7, v[24:25], off
	s_mov_b32 s18, -1
	s_wait_loadcnt 0x0
	v_cmp_ne_u16_e32 vcc_lo, 0, v7
	v_cndmask_b32_e64 v7, 0, 1.0, vcc_lo
	s_wait_xcnt 0x1
	s_delay_alu instid0(VALU_DEP_1)
	v_lshrrev_b32_e32 v26, 16, v7
.LBB167_2619:
	s_mov_b32 s16, 0
.LBB167_2620:
	s_delay_alu instid0(SALU_CYCLE_1)
	s_and_b32 vcc_lo, exec_lo, s16
	s_cbranch_vccz .LBB167_2669
; %bb.2621:
	s_cmp_lt_i32 s13, 5
	s_cbranch_scc1 .LBB167_2626
; %bb.2622:
	s_cmp_lt_i32 s13, 8
	s_cbranch_scc1 .LBB167_2627
	;; [unrolled: 3-line block ×3, first 2 shown]
; %bb.2624:
	s_cmp_gt_i32 s13, 9
	s_cbranch_scc0 .LBB167_2629
; %bb.2625:
	s_wait_loadcnt 0x0
	global_load_b64 v[26:27], v[24:25], off
	s_mov_b32 s16, 0
	s_wait_loadcnt 0x0
	v_cvt_f32_f64_e32 v7, v[26:27]
	s_delay_alu instid0(VALU_DEP_1) | instskip(SKIP_1) | instid1(VALU_DEP_2)
	v_bfe_u32 v9, v7, 16, 1
	v_cmp_o_f32_e32 vcc_lo, v7, v7
	v_add3_u32 v9, v7, v9, 0x7fff
	s_delay_alu instid0(VALU_DEP_1) | instskip(NEXT) | instid1(VALU_DEP_1)
	v_lshrrev_b32_e32 v9, 16, v9
	v_cndmask_b32_e32 v26, 0x7fc0, v9, vcc_lo
	s_branch .LBB167_2630
.LBB167_2626:
	s_mov_b32 s16, -1
                                        ; implicit-def: $vgpr26
	s_branch .LBB167_2648
.LBB167_2627:
	s_mov_b32 s16, -1
                                        ; implicit-def: $vgpr26
	s_branch .LBB167_2636
.LBB167_2628:
	s_mov_b32 s16, -1
                                        ; implicit-def: $vgpr26
	s_branch .LBB167_2633
.LBB167_2629:
	s_mov_b32 s16, -1
                                        ; implicit-def: $vgpr26
.LBB167_2630:
	s_delay_alu instid0(SALU_CYCLE_1)
	s_and_not1_b32 vcc_lo, exec_lo, s16
	s_cbranch_vccnz .LBB167_2632
; %bb.2631:
	global_load_b32 v7, v[24:25], off
	s_wait_loadcnt 0x0
	v_bfe_u32 v9, v7, 16, 1
	v_cmp_o_f32_e32 vcc_lo, v7, v7
	s_delay_alu instid0(VALU_DEP_2) | instskip(NEXT) | instid1(VALU_DEP_1)
	v_add3_u32 v9, v7, v9, 0x7fff
	v_lshrrev_b32_e32 v9, 16, v9
	s_wait_xcnt 0x1
	s_delay_alu instid0(VALU_DEP_1)
	v_cndmask_b32_e32 v26, 0x7fc0, v9, vcc_lo
.LBB167_2632:
	s_mov_b32 s16, 0
.LBB167_2633:
	s_delay_alu instid0(SALU_CYCLE_1)
	s_and_not1_b32 vcc_lo, exec_lo, s16
	s_cbranch_vccnz .LBB167_2635
; %bb.2634:
	global_load_b32 v7, v[24:25], off
	s_wait_loadcnt 0x0
	v_cvt_f32_f16_e32 v9, v7
	v_cmp_o_f16_e32 vcc_lo, v7, v7
	s_delay_alu instid0(VALU_DEP_2) | instskip(NEXT) | instid1(VALU_DEP_1)
	v_bfe_u32 v11, v9, 16, 1
	v_add3_u32 v9, v9, v11, 0x7fff
	s_delay_alu instid0(VALU_DEP_1) | instskip(SKIP_1) | instid1(VALU_DEP_1)
	v_lshrrev_b32_e32 v9, 16, v9
	s_wait_xcnt 0x1
	v_cndmask_b32_e32 v26, 0x7fc0, v9, vcc_lo
.LBB167_2635:
	s_mov_b32 s16, 0
.LBB167_2636:
	s_delay_alu instid0(SALU_CYCLE_1)
	s_and_not1_b32 vcc_lo, exec_lo, s16
	s_cbranch_vccnz .LBB167_2647
; %bb.2637:
	s_cmp_lt_i32 s13, 6
	s_cbranch_scc1 .LBB167_2640
; %bb.2638:
	s_cmp_gt_i32 s13, 6
	s_cbranch_scc0 .LBB167_2641
; %bb.2639:
	s_wait_loadcnt 0x0
	global_load_b64 v[26:27], v[24:25], off
	s_mov_b32 s16, 0
	s_wait_loadcnt 0x0
	v_cvt_f32_f64_e32 v7, v[26:27]
	s_delay_alu instid0(VALU_DEP_1) | instskip(SKIP_1) | instid1(VALU_DEP_2)
	v_bfe_u32 v9, v7, 16, 1
	v_cmp_o_f32_e32 vcc_lo, v7, v7
	v_add3_u32 v9, v7, v9, 0x7fff
	s_delay_alu instid0(VALU_DEP_1) | instskip(NEXT) | instid1(VALU_DEP_1)
	v_lshrrev_b32_e32 v9, 16, v9
	v_cndmask_b32_e32 v26, 0x7fc0, v9, vcc_lo
	s_branch .LBB167_2642
.LBB167_2640:
	s_mov_b32 s16, -1
                                        ; implicit-def: $vgpr26
	s_branch .LBB167_2645
.LBB167_2641:
	s_mov_b32 s16, -1
                                        ; implicit-def: $vgpr26
.LBB167_2642:
	s_delay_alu instid0(SALU_CYCLE_1)
	s_and_not1_b32 vcc_lo, exec_lo, s16
	s_cbranch_vccnz .LBB167_2644
; %bb.2643:
	global_load_b32 v7, v[24:25], off
	s_wait_loadcnt 0x0
	v_bfe_u32 v9, v7, 16, 1
	v_cmp_o_f32_e32 vcc_lo, v7, v7
	s_delay_alu instid0(VALU_DEP_2) | instskip(NEXT) | instid1(VALU_DEP_1)
	v_add3_u32 v9, v7, v9, 0x7fff
	v_lshrrev_b32_e32 v9, 16, v9
	s_wait_xcnt 0x1
	s_delay_alu instid0(VALU_DEP_1)
	v_cndmask_b32_e32 v26, 0x7fc0, v9, vcc_lo
.LBB167_2644:
	s_mov_b32 s16, 0
.LBB167_2645:
	s_delay_alu instid0(SALU_CYCLE_1)
	s_and_not1_b32 vcc_lo, exec_lo, s16
	s_cbranch_vccnz .LBB167_2647
; %bb.2646:
	global_load_u16 v7, v[24:25], off
	s_wait_loadcnt 0x0
	v_cvt_f32_f16_e32 v9, v7
	v_cmp_o_f16_e32 vcc_lo, v7, v7
	s_delay_alu instid0(VALU_DEP_2) | instskip(NEXT) | instid1(VALU_DEP_1)
	v_bfe_u32 v11, v9, 16, 1
	v_add3_u32 v9, v9, v11, 0x7fff
	s_delay_alu instid0(VALU_DEP_1) | instskip(SKIP_1) | instid1(VALU_DEP_1)
	v_lshrrev_b32_e32 v9, 16, v9
	s_wait_xcnt 0x1
	v_cndmask_b32_e32 v26, 0x7fc0, v9, vcc_lo
.LBB167_2647:
	s_mov_b32 s16, 0
.LBB167_2648:
	s_delay_alu instid0(SALU_CYCLE_1)
	s_and_not1_b32 vcc_lo, exec_lo, s16
	s_cbranch_vccnz .LBB167_2668
; %bb.2649:
	s_cmp_lt_i32 s13, 2
	s_cbranch_scc1 .LBB167_2653
; %bb.2650:
	s_cmp_lt_i32 s13, 3
	s_cbranch_scc1 .LBB167_2654
; %bb.2651:
	s_cmp_gt_i32 s13, 3
	s_cbranch_scc0 .LBB167_2655
; %bb.2652:
	s_wait_loadcnt 0x0
	global_load_b64 v[26:27], v[24:25], off
	s_mov_b32 s16, 0
	s_wait_loadcnt 0x0
	v_xor_b32_e32 v7, v26, v27
	v_cls_i32_e32 v9, v27
	s_delay_alu instid0(VALU_DEP_2) | instskip(NEXT) | instid1(VALU_DEP_1)
	v_ashrrev_i32_e32 v7, 31, v7
	v_add_nc_u32_e32 v7, 32, v7
	s_delay_alu instid0(VALU_DEP_1) | instskip(NEXT) | instid1(VALU_DEP_1)
	v_add_min_u32_e64 v7, v9, -1, v7
	v_lshlrev_b64_e32 v[26:27], v7, v[26:27]
	v_sub_nc_u32_e32 v7, 32, v7
	s_delay_alu instid0(VALU_DEP_2) | instskip(NEXT) | instid1(VALU_DEP_1)
	v_min_u32_e32 v9, 1, v26
	v_or_b32_e32 v9, v27, v9
	s_delay_alu instid0(VALU_DEP_1) | instskip(NEXT) | instid1(VALU_DEP_1)
	v_cvt_f32_i32_e32 v9, v9
	v_ldexp_f32 v7, v9, v7
	s_delay_alu instid0(VALU_DEP_1) | instskip(NEXT) | instid1(VALU_DEP_1)
	v_bfe_u32 v9, v7, 16, 1
	v_add3_u32 v7, v7, v9, 0x7fff
	s_delay_alu instid0(VALU_DEP_1)
	v_lshrrev_b32_e32 v26, 16, v7
	s_branch .LBB167_2656
.LBB167_2653:
	s_mov_b32 s16, -1
                                        ; implicit-def: $vgpr26
	s_branch .LBB167_2662
.LBB167_2654:
	s_mov_b32 s16, -1
                                        ; implicit-def: $vgpr26
	s_branch .LBB167_2659
.LBB167_2655:
	s_mov_b32 s16, -1
                                        ; implicit-def: $vgpr26
.LBB167_2656:
	s_delay_alu instid0(SALU_CYCLE_1)
	s_and_not1_b32 vcc_lo, exec_lo, s16
	s_cbranch_vccnz .LBB167_2658
; %bb.2657:
	global_load_b32 v7, v[24:25], off
	s_wait_loadcnt 0x0
	v_cvt_f32_i32_e32 v7, v7
	s_delay_alu instid0(VALU_DEP_1) | instskip(NEXT) | instid1(VALU_DEP_1)
	v_bfe_u32 v9, v7, 16, 1
	v_add3_u32 v7, v7, v9, 0x7fff
	s_wait_xcnt 0x1
	s_delay_alu instid0(VALU_DEP_1)
	v_lshrrev_b32_e32 v26, 16, v7
.LBB167_2658:
	s_mov_b32 s16, 0
.LBB167_2659:
	s_delay_alu instid0(SALU_CYCLE_1)
	s_and_not1_b32 vcc_lo, exec_lo, s16
	s_cbranch_vccnz .LBB167_2661
; %bb.2660:
	global_load_i16 v7, v[24:25], off
	s_wait_loadcnt 0x0
	v_cvt_f32_i32_e32 v7, v7
	s_delay_alu instid0(VALU_DEP_1) | instskip(NEXT) | instid1(VALU_DEP_1)
	v_bfe_u32 v9, v7, 16, 1
	v_add3_u32 v7, v7, v9, 0x7fff
	s_wait_xcnt 0x1
	s_delay_alu instid0(VALU_DEP_1)
	v_lshrrev_b32_e32 v26, 16, v7
.LBB167_2661:
	s_mov_b32 s16, 0
.LBB167_2662:
	s_delay_alu instid0(SALU_CYCLE_1)
	s_and_not1_b32 vcc_lo, exec_lo, s16
	s_cbranch_vccnz .LBB167_2668
; %bb.2663:
	s_cmp_gt_i32 s13, 0
	s_mov_b32 s16, 0
	s_cbranch_scc0 .LBB167_2665
; %bb.2664:
	global_load_i8 v7, v[24:25], off
	s_wait_loadcnt 0x0
	v_cvt_f32_i32_e32 v7, v7
	s_delay_alu instid0(VALU_DEP_1) | instskip(NEXT) | instid1(VALU_DEP_1)
	v_bfe_u32 v9, v7, 16, 1
	v_add3_u32 v7, v7, v9, 0x7fff
	s_wait_xcnt 0x1
	s_delay_alu instid0(VALU_DEP_1)
	v_lshrrev_b32_e32 v26, 16, v7
	s_branch .LBB167_2666
.LBB167_2665:
	s_mov_b32 s16, -1
                                        ; implicit-def: $vgpr26
.LBB167_2666:
	s_delay_alu instid0(SALU_CYCLE_1)
	s_and_not1_b32 vcc_lo, exec_lo, s16
	s_cbranch_vccnz .LBB167_2668
; %bb.2667:
	global_load_u8 v7, v[24:25], off
	s_wait_loadcnt 0x0
	v_cvt_f32_ubyte0_e32 v7, v7
	s_delay_alu instid0(VALU_DEP_1) | instskip(NEXT) | instid1(VALU_DEP_1)
	v_bfe_u32 v9, v7, 16, 1
	v_add3_u32 v7, v7, v9, 0x7fff
	s_wait_xcnt 0x1
	s_delay_alu instid0(VALU_DEP_1)
	v_lshrrev_b32_e32 v26, 16, v7
.LBB167_2668:
	s_mov_b32 s18, -1
.LBB167_2669:
	s_delay_alu instid0(SALU_CYCLE_1)
	s_and_not1_b32 vcc_lo, exec_lo, s18
	s_cbranch_vccnz .LBB167_4155
; %bb.2670:
	v_mov_b32_e32 v23, 0
	s_and_b32 s14, 0xffff, s14
	s_delay_alu instid0(SALU_CYCLE_1) | instskip(NEXT) | instid1(VALU_DEP_1)
	s_cmp_lt_i32 s14, 11
	v_add_nc_u64_e32 v[22:23], s[0:1], v[22:23]
	s_cbranch_scc1 .LBB167_2677
; %bb.2671:
	s_cmp_gt_i32 s14, 25
	s_mov_b32 s17, 0
	s_cbranch_scc0 .LBB167_2678
; %bb.2672:
	s_cmp_gt_i32 s14, 28
	s_cbranch_scc0 .LBB167_2679
; %bb.2673:
	s_cmp_gt_i32 s14, 43
	;; [unrolled: 3-line block ×3, first 2 shown]
	s_cbranch_scc0 .LBB167_2682
; %bb.2675:
	s_cmp_eq_u32 s14, 46
	s_mov_b32 s19, 0
	s_cbranch_scc0 .LBB167_2683
; %bb.2676:
	global_load_b32 v24, v[22:23], off
	s_mov_b32 s16, 0
	s_mov_b32 s18, -1
	s_branch .LBB167_2685
.LBB167_2677:
	s_mov_b32 s16, -1
	s_mov_b32 s18, 0
                                        ; implicit-def: $vgpr24
	s_branch .LBB167_2751
.LBB167_2678:
	s_mov_b32 s19, -1
	s_mov_b32 s18, 0
	s_mov_b32 s16, 0
                                        ; implicit-def: $vgpr24
	s_branch .LBB167_2714
.LBB167_2679:
	s_mov_b32 s19, -1
	s_mov_b32 s18, 0
	s_mov_b32 s16, 0
                                        ; implicit-def: $vgpr24
	s_branch .LBB167_2695
.LBB167_2680:
	s_mov_b32 s19, -1
	s_mov_b32 s18, 0
	s_mov_b32 s16, 0
                                        ; implicit-def: $vgpr24
	s_branch .LBB167_2690
.LBB167_2681:
	s_or_b32 s12, s12, exec_lo
	s_trap 2
	s_cbranch_execz .LBB167_2618
	s_branch .LBB167_2619
.LBB167_2682:
	s_mov_b32 s19, -1
	s_mov_b32 s18, 0
	s_mov_b32 s16, 0
	s_branch .LBB167_2684
.LBB167_2683:
	s_mov_b32 s16, -1
	s_mov_b32 s18, 0
.LBB167_2684:
                                        ; implicit-def: $vgpr24
.LBB167_2685:
	s_and_b32 vcc_lo, exec_lo, s19
	s_cbranch_vccz .LBB167_2689
; %bb.2686:
	s_cmp_eq_u32 s14, 44
	s_cbranch_scc0 .LBB167_2688
; %bb.2687:
	global_load_u8 v7, v[22:23], off
	s_mov_b32 s16, 0
	s_mov_b32 s18, -1
	s_wait_loadcnt 0x0
	v_lshlrev_b32_e32 v9, 23, v7
	v_cmp_ne_u32_e32 vcc_lo, 0xff, v7
	s_delay_alu instid0(VALU_DEP_2) | instskip(SKIP_1) | instid1(VALU_DEP_2)
	v_cndmask_b32_e32 v9, 0x7f800001, v9, vcc_lo
	v_cmp_ne_u32_e32 vcc_lo, 0, v7
	v_cndmask_b32_e32 v7, 0x400000, v9, vcc_lo
	s_delay_alu instid0(VALU_DEP_1) | instskip(SKIP_1) | instid1(VALU_DEP_2)
	v_add_nc_u32_e32 v9, 0x7fff, v7
	v_cmp_o_f32_e32 vcc_lo, v7, v7
	v_lshrrev_b32_e32 v9, 16, v9
	s_wait_xcnt 0x1
	s_delay_alu instid0(VALU_DEP_1)
	v_cndmask_b32_e32 v24, 0x7fc0, v9, vcc_lo
	s_branch .LBB167_2689
.LBB167_2688:
	s_mov_b32 s16, -1
                                        ; implicit-def: $vgpr24
.LBB167_2689:
	s_mov_b32 s19, 0
.LBB167_2690:
	s_delay_alu instid0(SALU_CYCLE_1)
	s_and_b32 vcc_lo, exec_lo, s19
	s_cbranch_vccz .LBB167_2694
; %bb.2691:
	s_cmp_eq_u32 s14, 29
	s_cbranch_scc0 .LBB167_2693
; %bb.2692:
	s_wait_loadcnt 0x0
	global_load_b64 v[24:25], v[22:23], off
	s_mov_b32 s16, 0
	s_mov_b32 s18, -1
	s_mov_b32 s19, 0
	s_wait_loadcnt 0x0
	v_clz_i32_u32_e32 v7, v25
	s_delay_alu instid0(VALU_DEP_1) | instskip(NEXT) | instid1(VALU_DEP_1)
	v_min_u32_e32 v7, 32, v7
	v_lshlrev_b64_e32 v[24:25], v7, v[24:25]
	v_sub_nc_u32_e32 v7, 32, v7
	s_delay_alu instid0(VALU_DEP_2) | instskip(NEXT) | instid1(VALU_DEP_1)
	v_min_u32_e32 v9, 1, v24
	v_or_b32_e32 v9, v25, v9
	s_delay_alu instid0(VALU_DEP_1) | instskip(NEXT) | instid1(VALU_DEP_1)
	v_cvt_f32_u32_e32 v9, v9
	v_ldexp_f32 v7, v9, v7
	s_delay_alu instid0(VALU_DEP_1) | instskip(NEXT) | instid1(VALU_DEP_1)
	v_bfe_u32 v9, v7, 16, 1
	v_add3_u32 v7, v7, v9, 0x7fff
	s_delay_alu instid0(VALU_DEP_1)
	v_lshrrev_b32_e32 v24, 16, v7
	s_branch .LBB167_2695
.LBB167_2693:
	s_mov_b32 s16, -1
                                        ; implicit-def: $vgpr24
.LBB167_2694:
	s_mov_b32 s19, 0
.LBB167_2695:
	s_delay_alu instid0(SALU_CYCLE_1)
	s_and_b32 vcc_lo, exec_lo, s19
	s_cbranch_vccz .LBB167_2713
; %bb.2696:
	s_cmp_lt_i32 s14, 27
	s_cbranch_scc1 .LBB167_2699
; %bb.2697:
	s_cmp_gt_i32 s14, 27
	s_cbranch_scc0 .LBB167_2700
; %bb.2698:
	global_load_b32 v7, v[22:23], off
	s_mov_b32 s18, 0
	s_wait_loadcnt 0x0
	v_cvt_f32_u32_e32 v7, v7
	s_delay_alu instid0(VALU_DEP_1) | instskip(NEXT) | instid1(VALU_DEP_1)
	v_bfe_u32 v9, v7, 16, 1
	v_add3_u32 v7, v7, v9, 0x7fff
	s_wait_xcnt 0x1
	s_delay_alu instid0(VALU_DEP_1)
	v_lshrrev_b32_e32 v24, 16, v7
	s_branch .LBB167_2701
.LBB167_2699:
	s_mov_b32 s18, -1
                                        ; implicit-def: $vgpr24
	s_branch .LBB167_2704
.LBB167_2700:
	s_mov_b32 s18, -1
                                        ; implicit-def: $vgpr24
.LBB167_2701:
	s_delay_alu instid0(SALU_CYCLE_1)
	s_and_not1_b32 vcc_lo, exec_lo, s18
	s_cbranch_vccnz .LBB167_2703
; %bb.2702:
	global_load_u16 v7, v[22:23], off
	s_wait_loadcnt 0x0
	v_cvt_f32_u32_e32 v7, v7
	s_delay_alu instid0(VALU_DEP_1) | instskip(NEXT) | instid1(VALU_DEP_1)
	v_bfe_u32 v9, v7, 16, 1
	v_add3_u32 v7, v7, v9, 0x7fff
	s_wait_xcnt 0x1
	s_delay_alu instid0(VALU_DEP_1)
	v_lshrrev_b32_e32 v24, 16, v7
.LBB167_2703:
	s_mov_b32 s18, 0
.LBB167_2704:
	s_delay_alu instid0(SALU_CYCLE_1)
	s_and_not1_b32 vcc_lo, exec_lo, s18
	s_cbranch_vccnz .LBB167_2712
; %bb.2705:
	global_load_u8 v7, v[22:23], off
	s_mov_b32 s18, 0
	s_mov_b32 s19, exec_lo
	s_wait_loadcnt 0x0
	v_cmpx_lt_i16_e32 0x7f, v7
	s_xor_b32 s19, exec_lo, s19
	s_cbranch_execz .LBB167_2726
; %bb.2706:
	s_mov_b32 s18, -1
	s_mov_b32 s20, exec_lo
	v_cmpx_eq_u16_e32 0x80, v7
; %bb.2707:
	s_xor_b32 s18, exec_lo, -1
; %bb.2708:
	s_or_b32 exec_lo, exec_lo, s20
	s_delay_alu instid0(SALU_CYCLE_1)
	s_and_b32 s18, s18, exec_lo
	s_or_saveexec_b32 s19, s19
	v_mov_b32_e32 v9, 0x7f800001
	s_xor_b32 exec_lo, exec_lo, s19
	s_cbranch_execnz .LBB167_2727
.LBB167_2709:
	s_or_b32 exec_lo, exec_lo, s19
	s_and_saveexec_b32 s19, s18
	s_cbranch_execz .LBB167_2711
.LBB167_2710:
	v_and_b32_e32 v9, 0xffff, v7
	s_delay_alu instid0(VALU_DEP_1) | instskip(SKIP_1) | instid1(VALU_DEP_2)
	v_dual_lshlrev_b32 v7, 24, v7 :: v_dual_bitop2_b32 v11, 7, v9 bitop3:0x40
	v_bfe_u32 v17, v9, 3, 4
	v_and_b32_e32 v7, 0x80000000, v7
	s_delay_alu instid0(VALU_DEP_3) | instskip(NEXT) | instid1(VALU_DEP_3)
	v_clz_i32_u32_e32 v13, v11
	v_cmp_eq_u32_e32 vcc_lo, 0, v17
	s_delay_alu instid0(VALU_DEP_2) | instskip(NEXT) | instid1(VALU_DEP_1)
	v_min_u32_e32 v13, 32, v13
	v_subrev_nc_u32_e32 v15, 28, v13
	v_sub_nc_u32_e32 v13, 29, v13
	s_delay_alu instid0(VALU_DEP_2) | instskip(NEXT) | instid1(VALU_DEP_2)
	v_lshlrev_b32_e32 v9, v15, v9
	v_cndmask_b32_e32 v13, v17, v13, vcc_lo
	s_delay_alu instid0(VALU_DEP_2) | instskip(NEXT) | instid1(VALU_DEP_1)
	v_and_b32_e32 v9, 7, v9
	v_cndmask_b32_e32 v9, v11, v9, vcc_lo
	s_delay_alu instid0(VALU_DEP_3) | instskip(NEXT) | instid1(VALU_DEP_2)
	v_lshl_add_u32 v11, v13, 23, 0x3b800000
	v_lshlrev_b32_e32 v9, 20, v9
	s_delay_alu instid0(VALU_DEP_1)
	v_or3_b32 v9, v7, v11, v9
.LBB167_2711:
	s_or_b32 exec_lo, exec_lo, s19
	s_delay_alu instid0(VALU_DEP_1) | instskip(SKIP_1) | instid1(VALU_DEP_2)
	v_bfe_u32 v7, v9, 16, 1
	v_cmp_o_f32_e32 vcc_lo, v9, v9
	v_add3_u32 v7, v9, v7, 0x7fff
	s_delay_alu instid0(VALU_DEP_1) | instskip(NEXT) | instid1(VALU_DEP_1)
	v_lshrrev_b32_e32 v7, 16, v7
	v_cndmask_b32_e32 v24, 0x7fc0, v7, vcc_lo
.LBB167_2712:
	s_mov_b32 s18, -1
.LBB167_2713:
	s_mov_b32 s19, 0
.LBB167_2714:
	s_delay_alu instid0(SALU_CYCLE_1)
	s_and_b32 vcc_lo, exec_lo, s19
	s_cbranch_vccz .LBB167_2747
; %bb.2715:
	s_cmp_gt_i32 s14, 22
	s_cbranch_scc0 .LBB167_2725
; %bb.2716:
	s_cmp_lt_i32 s14, 24
	s_cbranch_scc1 .LBB167_2728
; %bb.2717:
	s_cmp_gt_i32 s14, 24
	s_cbranch_scc0 .LBB167_2729
; %bb.2718:
	global_load_u8 v7, v[22:23], off
	s_mov_b32 s18, exec_lo
	s_wait_loadcnt 0x0
	v_cmpx_lt_i16_e32 0x7f, v7
	s_xor_b32 s18, exec_lo, s18
	s_cbranch_execz .LBB167_2741
; %bb.2719:
	s_mov_b32 s17, -1
	s_mov_b32 s19, exec_lo
	v_cmpx_eq_u16_e32 0x80, v7
; %bb.2720:
	s_xor_b32 s17, exec_lo, -1
; %bb.2721:
	s_or_b32 exec_lo, exec_lo, s19
	s_delay_alu instid0(SALU_CYCLE_1)
	s_and_b32 s17, s17, exec_lo
	s_or_saveexec_b32 s18, s18
	v_mov_b32_e32 v9, 0x7f800001
	s_xor_b32 exec_lo, exec_lo, s18
	s_cbranch_execnz .LBB167_2742
.LBB167_2722:
	s_or_b32 exec_lo, exec_lo, s18
	s_and_saveexec_b32 s18, s17
	s_cbranch_execz .LBB167_2724
.LBB167_2723:
	v_and_b32_e32 v9, 0xffff, v7
	s_delay_alu instid0(VALU_DEP_1) | instskip(SKIP_1) | instid1(VALU_DEP_2)
	v_dual_lshlrev_b32 v7, 24, v7 :: v_dual_bitop2_b32 v11, 3, v9 bitop3:0x40
	v_bfe_u32 v17, v9, 2, 5
	v_and_b32_e32 v7, 0x80000000, v7
	s_delay_alu instid0(VALU_DEP_3) | instskip(NEXT) | instid1(VALU_DEP_3)
	v_clz_i32_u32_e32 v13, v11
	v_cmp_eq_u32_e32 vcc_lo, 0, v17
	s_delay_alu instid0(VALU_DEP_2) | instskip(NEXT) | instid1(VALU_DEP_1)
	v_min_u32_e32 v13, 32, v13
	v_subrev_nc_u32_e32 v15, 29, v13
	v_sub_nc_u32_e32 v13, 30, v13
	s_delay_alu instid0(VALU_DEP_2) | instskip(NEXT) | instid1(VALU_DEP_2)
	v_lshlrev_b32_e32 v9, v15, v9
	v_cndmask_b32_e32 v13, v17, v13, vcc_lo
	s_delay_alu instid0(VALU_DEP_2) | instskip(NEXT) | instid1(VALU_DEP_1)
	v_and_b32_e32 v9, 3, v9
	v_cndmask_b32_e32 v9, v11, v9, vcc_lo
	s_delay_alu instid0(VALU_DEP_3) | instskip(NEXT) | instid1(VALU_DEP_2)
	v_lshl_add_u32 v11, v13, 23, 0x37800000
	v_lshlrev_b32_e32 v9, 21, v9
	s_delay_alu instid0(VALU_DEP_1)
	v_or3_b32 v9, v7, v11, v9
.LBB167_2724:
	s_or_b32 exec_lo, exec_lo, s18
	s_delay_alu instid0(VALU_DEP_1) | instskip(SKIP_2) | instid1(VALU_DEP_2)
	v_bfe_u32 v7, v9, 16, 1
	v_cmp_o_f32_e32 vcc_lo, v9, v9
	s_mov_b32 s17, 0
	v_add3_u32 v7, v9, v7, 0x7fff
	s_delay_alu instid0(VALU_DEP_1) | instskip(NEXT) | instid1(VALU_DEP_1)
	v_lshrrev_b32_e32 v7, 16, v7
	v_cndmask_b32_e32 v24, 0x7fc0, v7, vcc_lo
	s_branch .LBB167_2730
.LBB167_2725:
	s_mov_b32 s17, -1
                                        ; implicit-def: $vgpr24
	s_branch .LBB167_2736
.LBB167_2726:
	s_or_saveexec_b32 s19, s19
	v_mov_b32_e32 v9, 0x7f800001
	s_xor_b32 exec_lo, exec_lo, s19
	s_cbranch_execz .LBB167_2709
.LBB167_2727:
	v_cmp_ne_u16_e32 vcc_lo, 0, v7
	v_mov_b32_e32 v9, 0
	s_and_not1_b32 s18, s18, exec_lo
	s_and_b32 s20, vcc_lo, exec_lo
	s_delay_alu instid0(SALU_CYCLE_1)
	s_or_b32 s18, s18, s20
	s_or_b32 exec_lo, exec_lo, s19
	s_and_saveexec_b32 s19, s18
	s_cbranch_execnz .LBB167_2710
	s_branch .LBB167_2711
.LBB167_2728:
	s_mov_b32 s17, -1
                                        ; implicit-def: $vgpr24
	s_branch .LBB167_2733
.LBB167_2729:
	s_mov_b32 s17, -1
                                        ; implicit-def: $vgpr24
.LBB167_2730:
	s_delay_alu instid0(SALU_CYCLE_1)
	s_and_b32 vcc_lo, exec_lo, s17
	s_cbranch_vccz .LBB167_2732
; %bb.2731:
	global_load_u8 v7, v[22:23], off
	s_wait_loadcnt 0x0
	v_lshlrev_b32_e32 v7, 24, v7
	s_delay_alu instid0(VALU_DEP_1) | instskip(NEXT) | instid1(VALU_DEP_1)
	v_and_b32_e32 v9, 0x7f000000, v7
	v_clz_i32_u32_e32 v11, v9
	v_add_nc_u32_e32 v15, 0x1000000, v9
	v_cmp_ne_u32_e32 vcc_lo, 0, v9
	s_delay_alu instid0(VALU_DEP_3) | instskip(NEXT) | instid1(VALU_DEP_1)
	v_min_u32_e32 v11, 32, v11
	v_sub_nc_u32_e64 v11, v11, 4 clamp
	s_delay_alu instid0(VALU_DEP_1) | instskip(NEXT) | instid1(VALU_DEP_1)
	v_dual_lshlrev_b32 v13, v11, v9 :: v_dual_lshlrev_b32 v11, 23, v11
	v_lshrrev_b32_e32 v13, 4, v13
	s_delay_alu instid0(VALU_DEP_1) | instskip(SKIP_1) | instid1(VALU_DEP_2)
	v_sub_nc_u32_e32 v11, v13, v11
	v_ashrrev_i32_e32 v13, 8, v15
	v_add_nc_u32_e32 v11, 0x3c000000, v11
	s_delay_alu instid0(VALU_DEP_1) | instskip(NEXT) | instid1(VALU_DEP_1)
	v_and_or_b32 v11, 0x7f800000, v13, v11
	v_cndmask_b32_e32 v9, 0, v11, vcc_lo
	s_delay_alu instid0(VALU_DEP_1) | instskip(SKIP_1) | instid1(VALU_DEP_2)
	v_and_or_b32 v7, 0x80000000, v7, v9
	v_bfe_u32 v9, v9, 16, 1
	v_cmp_o_f32_e32 vcc_lo, v7, v7
	s_delay_alu instid0(VALU_DEP_2) | instskip(NEXT) | instid1(VALU_DEP_1)
	v_add3_u32 v9, v7, v9, 0x7fff
	v_lshrrev_b32_e32 v9, 16, v9
	s_wait_xcnt 0x1
	s_delay_alu instid0(VALU_DEP_1)
	v_cndmask_b32_e32 v24, 0x7fc0, v9, vcc_lo
.LBB167_2732:
	s_mov_b32 s17, 0
.LBB167_2733:
	s_delay_alu instid0(SALU_CYCLE_1)
	s_and_not1_b32 vcc_lo, exec_lo, s17
	s_cbranch_vccnz .LBB167_2735
; %bb.2734:
	global_load_u8 v7, v[22:23], off
	s_wait_loadcnt 0x0
	v_lshlrev_b32_e32 v9, 25, v7
	v_lshlrev_b16 v7, 8, v7
	s_delay_alu instid0(VALU_DEP_1) | instskip(SKIP_1) | instid1(VALU_DEP_2)
	v_and_or_b32 v13, 0x7f00, v7, 0.5
	v_bfe_i32 v7, v7, 0, 16
	v_add_f32_e32 v13, -0.5, v13
	v_lshrrev_b32_e32 v11, 4, v9
	v_cmp_gt_u32_e32 vcc_lo, 0x8000000, v9
	s_delay_alu instid0(VALU_DEP_2) | instskip(NEXT) | instid1(VALU_DEP_1)
	v_or_b32_e32 v11, 0x70000000, v11
	v_mul_f32_e32 v11, 0x7800000, v11
	s_delay_alu instid0(VALU_DEP_1) | instskip(NEXT) | instid1(VALU_DEP_1)
	v_cndmask_b32_e32 v9, v11, v13, vcc_lo
	v_and_or_b32 v7, 0x80000000, v7, v9
	v_bfe_u32 v9, v9, 16, 1
	s_delay_alu instid0(VALU_DEP_2) | instskip(NEXT) | instid1(VALU_DEP_2)
	v_cmp_o_f32_e32 vcc_lo, v7, v7
	v_add3_u32 v9, v7, v9, 0x7fff
	s_delay_alu instid0(VALU_DEP_1) | instskip(SKIP_1) | instid1(VALU_DEP_1)
	v_lshrrev_b32_e32 v9, 16, v9
	s_wait_xcnt 0x1
	v_cndmask_b32_e32 v24, 0x7fc0, v9, vcc_lo
.LBB167_2735:
	s_mov_b32 s17, 0
	s_mov_b32 s18, -1
.LBB167_2736:
	s_and_not1_b32 vcc_lo, exec_lo, s17
	s_mov_b32 s17, 0
	s_cbranch_vccnz .LBB167_2747
; %bb.2737:
	s_cmp_gt_i32 s14, 14
	s_cbranch_scc0 .LBB167_2740
; %bb.2738:
	s_cmp_eq_u32 s14, 15
	s_cbranch_scc0 .LBB167_2743
; %bb.2739:
	s_wait_loadcnt 0x0
	global_load_u16 v24, v[22:23], off
	s_mov_b32 s16, 0
	s_mov_b32 s18, -1
	s_branch .LBB167_2745
.LBB167_2740:
	s_mov_b32 s17, -1
	s_branch .LBB167_2744
.LBB167_2741:
	s_or_saveexec_b32 s18, s18
	v_mov_b32_e32 v9, 0x7f800001
	s_xor_b32 exec_lo, exec_lo, s18
	s_cbranch_execz .LBB167_2722
.LBB167_2742:
	v_cmp_ne_u16_e32 vcc_lo, 0, v7
	v_mov_b32_e32 v9, 0
	s_and_not1_b32 s17, s17, exec_lo
	s_and_b32 s19, vcc_lo, exec_lo
	s_delay_alu instid0(SALU_CYCLE_1)
	s_or_b32 s17, s17, s19
	s_or_b32 exec_lo, exec_lo, s18
	s_and_saveexec_b32 s18, s17
	s_cbranch_execnz .LBB167_2723
	s_branch .LBB167_2724
.LBB167_2743:
	s_mov_b32 s16, -1
.LBB167_2744:
                                        ; implicit-def: $vgpr24
.LBB167_2745:
	s_and_b32 vcc_lo, exec_lo, s17
	s_mov_b32 s17, 0
	s_cbranch_vccz .LBB167_2747
; %bb.2746:
	s_cmp_lg_u32 s14, 11
	s_mov_b32 s17, -1
	s_cselect_b32 s16, -1, 0
.LBB167_2747:
	s_delay_alu instid0(SALU_CYCLE_1)
	s_and_b32 vcc_lo, exec_lo, s16
	s_cbranch_vccnz .LBB167_2812
; %bb.2748:
	s_and_not1_b32 vcc_lo, exec_lo, s17
	s_cbranch_vccnz .LBB167_2750
.LBB167_2749:
	global_load_u8 v7, v[22:23], off
	s_mov_b32 s18, -1
	s_wait_loadcnt 0x0
	v_cmp_ne_u16_e32 vcc_lo, 0, v7
	v_cndmask_b32_e64 v7, 0, 1.0, vcc_lo
	s_wait_xcnt 0x1
	s_delay_alu instid0(VALU_DEP_1)
	v_lshrrev_b32_e32 v24, 16, v7
.LBB167_2750:
	s_mov_b32 s16, 0
.LBB167_2751:
	s_delay_alu instid0(SALU_CYCLE_1)
	s_and_b32 vcc_lo, exec_lo, s16
	s_cbranch_vccz .LBB167_2800
; %bb.2752:
	s_cmp_lt_i32 s14, 5
	s_cbranch_scc1 .LBB167_2757
; %bb.2753:
	s_cmp_lt_i32 s14, 8
	s_cbranch_scc1 .LBB167_2758
	;; [unrolled: 3-line block ×3, first 2 shown]
; %bb.2755:
	s_cmp_gt_i32 s14, 9
	s_cbranch_scc0 .LBB167_2760
; %bb.2756:
	s_wait_loadcnt 0x0
	global_load_b64 v[24:25], v[22:23], off
	s_mov_b32 s16, 0
	s_wait_loadcnt 0x0
	v_cvt_f32_f64_e32 v7, v[24:25]
	s_delay_alu instid0(VALU_DEP_1) | instskip(SKIP_1) | instid1(VALU_DEP_2)
	v_bfe_u32 v9, v7, 16, 1
	v_cmp_o_f32_e32 vcc_lo, v7, v7
	v_add3_u32 v9, v7, v9, 0x7fff
	s_delay_alu instid0(VALU_DEP_1) | instskip(NEXT) | instid1(VALU_DEP_1)
	v_lshrrev_b32_e32 v9, 16, v9
	v_cndmask_b32_e32 v24, 0x7fc0, v9, vcc_lo
	s_branch .LBB167_2761
.LBB167_2757:
	s_mov_b32 s16, -1
                                        ; implicit-def: $vgpr24
	s_branch .LBB167_2779
.LBB167_2758:
	s_mov_b32 s16, -1
                                        ; implicit-def: $vgpr24
	s_branch .LBB167_2767
.LBB167_2759:
	s_mov_b32 s16, -1
                                        ; implicit-def: $vgpr24
	s_branch .LBB167_2764
.LBB167_2760:
	s_mov_b32 s16, -1
                                        ; implicit-def: $vgpr24
.LBB167_2761:
	s_delay_alu instid0(SALU_CYCLE_1)
	s_and_not1_b32 vcc_lo, exec_lo, s16
	s_cbranch_vccnz .LBB167_2763
; %bb.2762:
	global_load_b32 v7, v[22:23], off
	s_wait_loadcnt 0x0
	v_bfe_u32 v9, v7, 16, 1
	v_cmp_o_f32_e32 vcc_lo, v7, v7
	s_delay_alu instid0(VALU_DEP_2) | instskip(NEXT) | instid1(VALU_DEP_1)
	v_add3_u32 v9, v7, v9, 0x7fff
	v_lshrrev_b32_e32 v9, 16, v9
	s_wait_xcnt 0x1
	s_delay_alu instid0(VALU_DEP_1)
	v_cndmask_b32_e32 v24, 0x7fc0, v9, vcc_lo
.LBB167_2763:
	s_mov_b32 s16, 0
.LBB167_2764:
	s_delay_alu instid0(SALU_CYCLE_1)
	s_and_not1_b32 vcc_lo, exec_lo, s16
	s_cbranch_vccnz .LBB167_2766
; %bb.2765:
	global_load_b32 v7, v[22:23], off
	s_wait_loadcnt 0x0
	v_cvt_f32_f16_e32 v9, v7
	v_cmp_o_f16_e32 vcc_lo, v7, v7
	s_delay_alu instid0(VALU_DEP_2) | instskip(NEXT) | instid1(VALU_DEP_1)
	v_bfe_u32 v11, v9, 16, 1
	v_add3_u32 v9, v9, v11, 0x7fff
	s_delay_alu instid0(VALU_DEP_1) | instskip(SKIP_1) | instid1(VALU_DEP_1)
	v_lshrrev_b32_e32 v9, 16, v9
	s_wait_xcnt 0x1
	v_cndmask_b32_e32 v24, 0x7fc0, v9, vcc_lo
.LBB167_2766:
	s_mov_b32 s16, 0
.LBB167_2767:
	s_delay_alu instid0(SALU_CYCLE_1)
	s_and_not1_b32 vcc_lo, exec_lo, s16
	s_cbranch_vccnz .LBB167_2778
; %bb.2768:
	s_cmp_lt_i32 s14, 6
	s_cbranch_scc1 .LBB167_2771
; %bb.2769:
	s_cmp_gt_i32 s14, 6
	s_cbranch_scc0 .LBB167_2772
; %bb.2770:
	s_wait_loadcnt 0x0
	global_load_b64 v[24:25], v[22:23], off
	s_mov_b32 s16, 0
	s_wait_loadcnt 0x0
	v_cvt_f32_f64_e32 v7, v[24:25]
	s_delay_alu instid0(VALU_DEP_1) | instskip(SKIP_1) | instid1(VALU_DEP_2)
	v_bfe_u32 v9, v7, 16, 1
	v_cmp_o_f32_e32 vcc_lo, v7, v7
	v_add3_u32 v9, v7, v9, 0x7fff
	s_delay_alu instid0(VALU_DEP_1) | instskip(NEXT) | instid1(VALU_DEP_1)
	v_lshrrev_b32_e32 v9, 16, v9
	v_cndmask_b32_e32 v24, 0x7fc0, v9, vcc_lo
	s_branch .LBB167_2773
.LBB167_2771:
	s_mov_b32 s16, -1
                                        ; implicit-def: $vgpr24
	s_branch .LBB167_2776
.LBB167_2772:
	s_mov_b32 s16, -1
                                        ; implicit-def: $vgpr24
.LBB167_2773:
	s_delay_alu instid0(SALU_CYCLE_1)
	s_and_not1_b32 vcc_lo, exec_lo, s16
	s_cbranch_vccnz .LBB167_2775
; %bb.2774:
	global_load_b32 v7, v[22:23], off
	s_wait_loadcnt 0x0
	v_bfe_u32 v9, v7, 16, 1
	v_cmp_o_f32_e32 vcc_lo, v7, v7
	s_delay_alu instid0(VALU_DEP_2) | instskip(NEXT) | instid1(VALU_DEP_1)
	v_add3_u32 v9, v7, v9, 0x7fff
	v_lshrrev_b32_e32 v9, 16, v9
	s_wait_xcnt 0x1
	s_delay_alu instid0(VALU_DEP_1)
	v_cndmask_b32_e32 v24, 0x7fc0, v9, vcc_lo
.LBB167_2775:
	s_mov_b32 s16, 0
.LBB167_2776:
	s_delay_alu instid0(SALU_CYCLE_1)
	s_and_not1_b32 vcc_lo, exec_lo, s16
	s_cbranch_vccnz .LBB167_2778
; %bb.2777:
	global_load_u16 v7, v[22:23], off
	s_wait_loadcnt 0x0
	v_cvt_f32_f16_e32 v9, v7
	v_cmp_o_f16_e32 vcc_lo, v7, v7
	s_delay_alu instid0(VALU_DEP_2) | instskip(NEXT) | instid1(VALU_DEP_1)
	v_bfe_u32 v11, v9, 16, 1
	v_add3_u32 v9, v9, v11, 0x7fff
	s_delay_alu instid0(VALU_DEP_1) | instskip(SKIP_1) | instid1(VALU_DEP_1)
	v_lshrrev_b32_e32 v9, 16, v9
	s_wait_xcnt 0x1
	v_cndmask_b32_e32 v24, 0x7fc0, v9, vcc_lo
.LBB167_2778:
	s_mov_b32 s16, 0
.LBB167_2779:
	s_delay_alu instid0(SALU_CYCLE_1)
	s_and_not1_b32 vcc_lo, exec_lo, s16
	s_cbranch_vccnz .LBB167_2799
; %bb.2780:
	s_cmp_lt_i32 s14, 2
	s_cbranch_scc1 .LBB167_2784
; %bb.2781:
	s_cmp_lt_i32 s14, 3
	s_cbranch_scc1 .LBB167_2785
; %bb.2782:
	s_cmp_gt_i32 s14, 3
	s_cbranch_scc0 .LBB167_2786
; %bb.2783:
	s_wait_loadcnt 0x0
	global_load_b64 v[24:25], v[22:23], off
	s_mov_b32 s16, 0
	s_wait_loadcnt 0x0
	v_xor_b32_e32 v7, v24, v25
	v_cls_i32_e32 v9, v25
	s_delay_alu instid0(VALU_DEP_2) | instskip(NEXT) | instid1(VALU_DEP_1)
	v_ashrrev_i32_e32 v7, 31, v7
	v_add_nc_u32_e32 v7, 32, v7
	s_delay_alu instid0(VALU_DEP_1) | instskip(NEXT) | instid1(VALU_DEP_1)
	v_add_min_u32_e64 v7, v9, -1, v7
	v_lshlrev_b64_e32 v[24:25], v7, v[24:25]
	v_sub_nc_u32_e32 v7, 32, v7
	s_delay_alu instid0(VALU_DEP_2) | instskip(NEXT) | instid1(VALU_DEP_1)
	v_min_u32_e32 v9, 1, v24
	v_or_b32_e32 v9, v25, v9
	s_delay_alu instid0(VALU_DEP_1) | instskip(NEXT) | instid1(VALU_DEP_1)
	v_cvt_f32_i32_e32 v9, v9
	v_ldexp_f32 v7, v9, v7
	s_delay_alu instid0(VALU_DEP_1) | instskip(NEXT) | instid1(VALU_DEP_1)
	v_bfe_u32 v9, v7, 16, 1
	v_add3_u32 v7, v7, v9, 0x7fff
	s_delay_alu instid0(VALU_DEP_1)
	v_lshrrev_b32_e32 v24, 16, v7
	s_branch .LBB167_2787
.LBB167_2784:
	s_mov_b32 s16, -1
                                        ; implicit-def: $vgpr24
	s_branch .LBB167_2793
.LBB167_2785:
	s_mov_b32 s16, -1
                                        ; implicit-def: $vgpr24
	s_branch .LBB167_2790
.LBB167_2786:
	s_mov_b32 s16, -1
                                        ; implicit-def: $vgpr24
.LBB167_2787:
	s_delay_alu instid0(SALU_CYCLE_1)
	s_and_not1_b32 vcc_lo, exec_lo, s16
	s_cbranch_vccnz .LBB167_2789
; %bb.2788:
	global_load_b32 v7, v[22:23], off
	s_wait_loadcnt 0x0
	v_cvt_f32_i32_e32 v7, v7
	s_delay_alu instid0(VALU_DEP_1) | instskip(NEXT) | instid1(VALU_DEP_1)
	v_bfe_u32 v9, v7, 16, 1
	v_add3_u32 v7, v7, v9, 0x7fff
	s_wait_xcnt 0x1
	s_delay_alu instid0(VALU_DEP_1)
	v_lshrrev_b32_e32 v24, 16, v7
.LBB167_2789:
	s_mov_b32 s16, 0
.LBB167_2790:
	s_delay_alu instid0(SALU_CYCLE_1)
	s_and_not1_b32 vcc_lo, exec_lo, s16
	s_cbranch_vccnz .LBB167_2792
; %bb.2791:
	global_load_i16 v7, v[22:23], off
	s_wait_loadcnt 0x0
	v_cvt_f32_i32_e32 v7, v7
	s_delay_alu instid0(VALU_DEP_1) | instskip(NEXT) | instid1(VALU_DEP_1)
	v_bfe_u32 v9, v7, 16, 1
	v_add3_u32 v7, v7, v9, 0x7fff
	s_wait_xcnt 0x1
	s_delay_alu instid0(VALU_DEP_1)
	v_lshrrev_b32_e32 v24, 16, v7
.LBB167_2792:
	s_mov_b32 s16, 0
.LBB167_2793:
	s_delay_alu instid0(SALU_CYCLE_1)
	s_and_not1_b32 vcc_lo, exec_lo, s16
	s_cbranch_vccnz .LBB167_2799
; %bb.2794:
	s_cmp_gt_i32 s14, 0
	s_mov_b32 s16, 0
	s_cbranch_scc0 .LBB167_2796
; %bb.2795:
	global_load_i8 v7, v[22:23], off
	s_wait_loadcnt 0x0
	v_cvt_f32_i32_e32 v7, v7
	s_delay_alu instid0(VALU_DEP_1) | instskip(NEXT) | instid1(VALU_DEP_1)
	v_bfe_u32 v9, v7, 16, 1
	v_add3_u32 v7, v7, v9, 0x7fff
	s_wait_xcnt 0x1
	s_delay_alu instid0(VALU_DEP_1)
	v_lshrrev_b32_e32 v24, 16, v7
	s_branch .LBB167_2797
.LBB167_2796:
	s_mov_b32 s16, -1
                                        ; implicit-def: $vgpr24
.LBB167_2797:
	s_delay_alu instid0(SALU_CYCLE_1)
	s_and_not1_b32 vcc_lo, exec_lo, s16
	s_cbranch_vccnz .LBB167_2799
; %bb.2798:
	global_load_u8 v7, v[22:23], off
	s_wait_loadcnt 0x0
	v_cvt_f32_ubyte0_e32 v7, v7
	s_delay_alu instid0(VALU_DEP_1) | instskip(NEXT) | instid1(VALU_DEP_1)
	v_bfe_u32 v9, v7, 16, 1
	v_add3_u32 v7, v7, v9, 0x7fff
	s_wait_xcnt 0x1
	s_delay_alu instid0(VALU_DEP_1)
	v_lshrrev_b32_e32 v24, 16, v7
.LBB167_2799:
	s_mov_b32 s18, -1
.LBB167_2800:
	s_delay_alu instid0(SALU_CYCLE_1)
	s_and_not1_b32 vcc_lo, exec_lo, s18
	s_cbranch_vccnz .LBB167_4155
; %bb.2801:
	v_mov_b32_e32 v21, 0
	s_and_b32 s15, 0xffff, s15
	s_delay_alu instid0(SALU_CYCLE_1) | instskip(NEXT) | instid1(VALU_DEP_1)
	s_cmp_lt_i32 s15, 11
	v_add_nc_u64_e32 v[20:21], s[8:9], v[20:21]
	s_cbranch_scc1 .LBB167_2808
; %bb.2802:
	s_cmp_gt_i32 s15, 25
	s_mov_b32 s17, 0
	s_cbranch_scc0 .LBB167_2809
; %bb.2803:
	s_cmp_gt_i32 s15, 28
	s_cbranch_scc0 .LBB167_2810
; %bb.2804:
	s_cmp_gt_i32 s15, 43
	;; [unrolled: 3-line block ×3, first 2 shown]
	s_cbranch_scc0 .LBB167_2813
; %bb.2806:
	s_cmp_eq_u32 s15, 46
	s_mov_b32 s19, 0
	s_cbranch_scc0 .LBB167_2816
; %bb.2807:
	global_load_b32 v22, v[20:21], off
	s_mov_b32 s16, 0
	s_mov_b32 s18, -1
	s_branch .LBB167_2818
.LBB167_2808:
	s_mov_b32 s16, -1
	s_mov_b32 s18, 0
                                        ; implicit-def: $vgpr22
	s_branch .LBB167_2884
.LBB167_2809:
	s_mov_b32 s19, -1
	s_mov_b32 s18, 0
	s_mov_b32 s16, 0
                                        ; implicit-def: $vgpr22
	s_branch .LBB167_2847
.LBB167_2810:
	s_mov_b32 s19, -1
	s_mov_b32 s18, 0
	s_mov_b32 s16, 0
                                        ; implicit-def: $vgpr22
	s_branch .LBB167_2828
.LBB167_2811:
	s_mov_b32 s19, -1
	s_mov_b32 s18, 0
	s_mov_b32 s16, 0
                                        ; implicit-def: $vgpr22
	s_branch .LBB167_2823
.LBB167_2812:
	s_or_b32 s12, s12, exec_lo
	s_trap 2
	s_cbranch_execz .LBB167_2749
	s_branch .LBB167_2750
.LBB167_2813:
	s_mov_b32 s19, -1
	s_mov_b32 s18, 0
	s_mov_b32 s16, 0
	s_branch .LBB167_2817
.LBB167_2814:
	s_and_not1_saveexec_b32 s59, s59
	s_cbranch_execz .LBB167_1498
.LBB167_2815:
	v_add_f32_e64 v5, 0x46000000, |v6|
	s_and_not1_b32 s58, s58, exec_lo
	s_delay_alu instid0(VALU_DEP_1) | instskip(NEXT) | instid1(VALU_DEP_1)
	v_and_b32_e32 v5, 0xff, v5
	v_cmp_ne_u32_e32 vcc_lo, 0, v5
	s_and_b32 s60, vcc_lo, exec_lo
	s_delay_alu instid0(SALU_CYCLE_1)
	s_or_b32 s58, s58, s60
	s_or_b32 exec_lo, exec_lo, s59
	v_mov_b32_e32 v7, 0
	s_and_saveexec_b32 s59, s58
	s_cbranch_execnz .LBB167_1499
	s_branch .LBB167_1500
.LBB167_2816:
	s_mov_b32 s16, -1
	s_mov_b32 s18, 0
.LBB167_2817:
                                        ; implicit-def: $vgpr22
.LBB167_2818:
	s_and_b32 vcc_lo, exec_lo, s19
	s_cbranch_vccz .LBB167_2822
; %bb.2819:
	s_cmp_eq_u32 s15, 44
	s_cbranch_scc0 .LBB167_2821
; %bb.2820:
	global_load_u8 v7, v[20:21], off
	s_mov_b32 s16, 0
	s_mov_b32 s18, -1
	s_wait_loadcnt 0x0
	v_lshlrev_b32_e32 v9, 23, v7
	v_cmp_ne_u32_e32 vcc_lo, 0xff, v7
	s_delay_alu instid0(VALU_DEP_2) | instskip(SKIP_1) | instid1(VALU_DEP_2)
	v_cndmask_b32_e32 v9, 0x7f800001, v9, vcc_lo
	v_cmp_ne_u32_e32 vcc_lo, 0, v7
	v_cndmask_b32_e32 v7, 0x400000, v9, vcc_lo
	s_delay_alu instid0(VALU_DEP_1) | instskip(SKIP_1) | instid1(VALU_DEP_2)
	v_add_nc_u32_e32 v9, 0x7fff, v7
	v_cmp_o_f32_e32 vcc_lo, v7, v7
	v_lshrrev_b32_e32 v9, 16, v9
	s_wait_xcnt 0x1
	s_delay_alu instid0(VALU_DEP_1)
	v_cndmask_b32_e32 v22, 0x7fc0, v9, vcc_lo
	s_branch .LBB167_2822
.LBB167_2821:
	s_mov_b32 s16, -1
                                        ; implicit-def: $vgpr22
.LBB167_2822:
	s_mov_b32 s19, 0
.LBB167_2823:
	s_delay_alu instid0(SALU_CYCLE_1)
	s_and_b32 vcc_lo, exec_lo, s19
	s_cbranch_vccz .LBB167_2827
; %bb.2824:
	s_cmp_eq_u32 s15, 29
	s_cbranch_scc0 .LBB167_2826
; %bb.2825:
	s_wait_loadcnt 0x0
	global_load_b64 v[22:23], v[20:21], off
	s_mov_b32 s16, 0
	s_mov_b32 s18, -1
	s_mov_b32 s19, 0
	s_wait_loadcnt 0x0
	v_clz_i32_u32_e32 v7, v23
	s_delay_alu instid0(VALU_DEP_1) | instskip(NEXT) | instid1(VALU_DEP_1)
	v_min_u32_e32 v7, 32, v7
	v_lshlrev_b64_e32 v[22:23], v7, v[22:23]
	v_sub_nc_u32_e32 v7, 32, v7
	s_delay_alu instid0(VALU_DEP_2) | instskip(NEXT) | instid1(VALU_DEP_1)
	v_min_u32_e32 v9, 1, v22
	v_or_b32_e32 v9, v23, v9
	s_delay_alu instid0(VALU_DEP_1) | instskip(NEXT) | instid1(VALU_DEP_1)
	v_cvt_f32_u32_e32 v9, v9
	v_ldexp_f32 v7, v9, v7
	s_delay_alu instid0(VALU_DEP_1) | instskip(NEXT) | instid1(VALU_DEP_1)
	v_bfe_u32 v9, v7, 16, 1
	v_add3_u32 v7, v7, v9, 0x7fff
	s_delay_alu instid0(VALU_DEP_1)
	v_lshrrev_b32_e32 v22, 16, v7
	s_branch .LBB167_2828
.LBB167_2826:
	s_mov_b32 s16, -1
                                        ; implicit-def: $vgpr22
.LBB167_2827:
	s_mov_b32 s19, 0
.LBB167_2828:
	s_delay_alu instid0(SALU_CYCLE_1)
	s_and_b32 vcc_lo, exec_lo, s19
	s_cbranch_vccz .LBB167_2846
; %bb.2829:
	s_cmp_lt_i32 s15, 27
	s_cbranch_scc1 .LBB167_2832
; %bb.2830:
	s_cmp_gt_i32 s15, 27
	s_cbranch_scc0 .LBB167_2833
; %bb.2831:
	global_load_b32 v7, v[20:21], off
	s_mov_b32 s18, 0
	s_wait_loadcnt 0x0
	v_cvt_f32_u32_e32 v7, v7
	s_delay_alu instid0(VALU_DEP_1) | instskip(NEXT) | instid1(VALU_DEP_1)
	v_bfe_u32 v9, v7, 16, 1
	v_add3_u32 v7, v7, v9, 0x7fff
	s_wait_xcnt 0x1
	s_delay_alu instid0(VALU_DEP_1)
	v_lshrrev_b32_e32 v22, 16, v7
	s_branch .LBB167_2834
.LBB167_2832:
	s_mov_b32 s18, -1
                                        ; implicit-def: $vgpr22
	s_branch .LBB167_2837
.LBB167_2833:
	s_mov_b32 s18, -1
                                        ; implicit-def: $vgpr22
.LBB167_2834:
	s_delay_alu instid0(SALU_CYCLE_1)
	s_and_not1_b32 vcc_lo, exec_lo, s18
	s_cbranch_vccnz .LBB167_2836
; %bb.2835:
	global_load_u16 v7, v[20:21], off
	s_wait_loadcnt 0x0
	v_cvt_f32_u32_e32 v7, v7
	s_delay_alu instid0(VALU_DEP_1) | instskip(NEXT) | instid1(VALU_DEP_1)
	v_bfe_u32 v9, v7, 16, 1
	v_add3_u32 v7, v7, v9, 0x7fff
	s_wait_xcnt 0x1
	s_delay_alu instid0(VALU_DEP_1)
	v_lshrrev_b32_e32 v22, 16, v7
.LBB167_2836:
	s_mov_b32 s18, 0
.LBB167_2837:
	s_delay_alu instid0(SALU_CYCLE_1)
	s_and_not1_b32 vcc_lo, exec_lo, s18
	s_cbranch_vccnz .LBB167_2845
; %bb.2838:
	global_load_u8 v7, v[20:21], off
	s_mov_b32 s18, 0
	s_mov_b32 s19, exec_lo
	s_wait_loadcnt 0x0
	v_cmpx_lt_i16_e32 0x7f, v7
	s_xor_b32 s19, exec_lo, s19
	s_cbranch_execz .LBB167_2859
; %bb.2839:
	s_mov_b32 s18, -1
	s_mov_b32 s20, exec_lo
	v_cmpx_eq_u16_e32 0x80, v7
; %bb.2840:
	s_xor_b32 s18, exec_lo, -1
; %bb.2841:
	s_or_b32 exec_lo, exec_lo, s20
	s_delay_alu instid0(SALU_CYCLE_1)
	s_and_b32 s18, s18, exec_lo
	s_or_saveexec_b32 s19, s19
	v_mov_b32_e32 v9, 0x7f800001
	s_xor_b32 exec_lo, exec_lo, s19
	s_cbranch_execnz .LBB167_2860
.LBB167_2842:
	s_or_b32 exec_lo, exec_lo, s19
	s_and_saveexec_b32 s19, s18
	s_cbranch_execz .LBB167_2844
.LBB167_2843:
	v_and_b32_e32 v9, 0xffff, v7
	s_delay_alu instid0(VALU_DEP_1) | instskip(SKIP_1) | instid1(VALU_DEP_2)
	v_dual_lshlrev_b32 v7, 24, v7 :: v_dual_bitop2_b32 v11, 7, v9 bitop3:0x40
	v_bfe_u32 v17, v9, 3, 4
	v_and_b32_e32 v7, 0x80000000, v7
	s_delay_alu instid0(VALU_DEP_3) | instskip(NEXT) | instid1(VALU_DEP_3)
	v_clz_i32_u32_e32 v13, v11
	v_cmp_eq_u32_e32 vcc_lo, 0, v17
	s_delay_alu instid0(VALU_DEP_2) | instskip(NEXT) | instid1(VALU_DEP_1)
	v_min_u32_e32 v13, 32, v13
	v_subrev_nc_u32_e32 v15, 28, v13
	v_sub_nc_u32_e32 v13, 29, v13
	s_delay_alu instid0(VALU_DEP_2) | instskip(NEXT) | instid1(VALU_DEP_2)
	v_lshlrev_b32_e32 v9, v15, v9
	v_cndmask_b32_e32 v13, v17, v13, vcc_lo
	s_delay_alu instid0(VALU_DEP_2) | instskip(NEXT) | instid1(VALU_DEP_1)
	v_and_b32_e32 v9, 7, v9
	v_cndmask_b32_e32 v9, v11, v9, vcc_lo
	s_delay_alu instid0(VALU_DEP_3) | instskip(NEXT) | instid1(VALU_DEP_2)
	v_lshl_add_u32 v11, v13, 23, 0x3b800000
	v_lshlrev_b32_e32 v9, 20, v9
	s_delay_alu instid0(VALU_DEP_1)
	v_or3_b32 v9, v7, v11, v9
.LBB167_2844:
	s_or_b32 exec_lo, exec_lo, s19
	s_delay_alu instid0(VALU_DEP_1) | instskip(SKIP_1) | instid1(VALU_DEP_2)
	v_bfe_u32 v7, v9, 16, 1
	v_cmp_o_f32_e32 vcc_lo, v9, v9
	v_add3_u32 v7, v9, v7, 0x7fff
	s_delay_alu instid0(VALU_DEP_1) | instskip(NEXT) | instid1(VALU_DEP_1)
	v_lshrrev_b32_e32 v7, 16, v7
	v_cndmask_b32_e32 v22, 0x7fc0, v7, vcc_lo
.LBB167_2845:
	s_mov_b32 s18, -1
.LBB167_2846:
	s_mov_b32 s19, 0
.LBB167_2847:
	s_delay_alu instid0(SALU_CYCLE_1)
	s_and_b32 vcc_lo, exec_lo, s19
	s_cbranch_vccz .LBB167_2880
; %bb.2848:
	s_cmp_gt_i32 s15, 22
	s_cbranch_scc0 .LBB167_2858
; %bb.2849:
	s_cmp_lt_i32 s15, 24
	s_cbranch_scc1 .LBB167_2861
; %bb.2850:
	s_cmp_gt_i32 s15, 24
	s_cbranch_scc0 .LBB167_2862
; %bb.2851:
	global_load_u8 v7, v[20:21], off
	s_mov_b32 s18, exec_lo
	s_wait_loadcnt 0x0
	v_cmpx_lt_i16_e32 0x7f, v7
	s_xor_b32 s18, exec_lo, s18
	s_cbranch_execz .LBB167_2874
; %bb.2852:
	s_mov_b32 s17, -1
	s_mov_b32 s19, exec_lo
	v_cmpx_eq_u16_e32 0x80, v7
; %bb.2853:
	s_xor_b32 s17, exec_lo, -1
; %bb.2854:
	s_or_b32 exec_lo, exec_lo, s19
	s_delay_alu instid0(SALU_CYCLE_1)
	s_and_b32 s17, s17, exec_lo
	s_or_saveexec_b32 s18, s18
	v_mov_b32_e32 v9, 0x7f800001
	s_xor_b32 exec_lo, exec_lo, s18
	s_cbranch_execnz .LBB167_2875
.LBB167_2855:
	s_or_b32 exec_lo, exec_lo, s18
	s_and_saveexec_b32 s18, s17
	s_cbranch_execz .LBB167_2857
.LBB167_2856:
	v_and_b32_e32 v9, 0xffff, v7
	s_delay_alu instid0(VALU_DEP_1) | instskip(SKIP_1) | instid1(VALU_DEP_2)
	v_dual_lshlrev_b32 v7, 24, v7 :: v_dual_bitop2_b32 v11, 3, v9 bitop3:0x40
	v_bfe_u32 v17, v9, 2, 5
	v_and_b32_e32 v7, 0x80000000, v7
	s_delay_alu instid0(VALU_DEP_3) | instskip(NEXT) | instid1(VALU_DEP_3)
	v_clz_i32_u32_e32 v13, v11
	v_cmp_eq_u32_e32 vcc_lo, 0, v17
	s_delay_alu instid0(VALU_DEP_2) | instskip(NEXT) | instid1(VALU_DEP_1)
	v_min_u32_e32 v13, 32, v13
	v_subrev_nc_u32_e32 v15, 29, v13
	v_sub_nc_u32_e32 v13, 30, v13
	s_delay_alu instid0(VALU_DEP_2) | instskip(NEXT) | instid1(VALU_DEP_2)
	v_lshlrev_b32_e32 v9, v15, v9
	v_cndmask_b32_e32 v13, v17, v13, vcc_lo
	s_delay_alu instid0(VALU_DEP_2) | instskip(NEXT) | instid1(VALU_DEP_1)
	v_and_b32_e32 v9, 3, v9
	v_cndmask_b32_e32 v9, v11, v9, vcc_lo
	s_delay_alu instid0(VALU_DEP_3) | instskip(NEXT) | instid1(VALU_DEP_2)
	v_lshl_add_u32 v11, v13, 23, 0x37800000
	v_lshlrev_b32_e32 v9, 21, v9
	s_delay_alu instid0(VALU_DEP_1)
	v_or3_b32 v9, v7, v11, v9
.LBB167_2857:
	s_or_b32 exec_lo, exec_lo, s18
	s_delay_alu instid0(VALU_DEP_1) | instskip(SKIP_2) | instid1(VALU_DEP_2)
	v_bfe_u32 v7, v9, 16, 1
	v_cmp_o_f32_e32 vcc_lo, v9, v9
	s_mov_b32 s17, 0
	v_add3_u32 v7, v9, v7, 0x7fff
	s_delay_alu instid0(VALU_DEP_1) | instskip(NEXT) | instid1(VALU_DEP_1)
	v_lshrrev_b32_e32 v7, 16, v7
	v_cndmask_b32_e32 v22, 0x7fc0, v7, vcc_lo
	s_branch .LBB167_2863
.LBB167_2858:
	s_mov_b32 s17, -1
                                        ; implicit-def: $vgpr22
	s_branch .LBB167_2869
.LBB167_2859:
	s_or_saveexec_b32 s19, s19
	v_mov_b32_e32 v9, 0x7f800001
	s_xor_b32 exec_lo, exec_lo, s19
	s_cbranch_execz .LBB167_2842
.LBB167_2860:
	v_cmp_ne_u16_e32 vcc_lo, 0, v7
	v_mov_b32_e32 v9, 0
	s_and_not1_b32 s18, s18, exec_lo
	s_and_b32 s20, vcc_lo, exec_lo
	s_delay_alu instid0(SALU_CYCLE_1)
	s_or_b32 s18, s18, s20
	s_or_b32 exec_lo, exec_lo, s19
	s_and_saveexec_b32 s19, s18
	s_cbranch_execnz .LBB167_2843
	s_branch .LBB167_2844
.LBB167_2861:
	s_mov_b32 s17, -1
                                        ; implicit-def: $vgpr22
	s_branch .LBB167_2866
.LBB167_2862:
	s_mov_b32 s17, -1
                                        ; implicit-def: $vgpr22
.LBB167_2863:
	s_delay_alu instid0(SALU_CYCLE_1)
	s_and_b32 vcc_lo, exec_lo, s17
	s_cbranch_vccz .LBB167_2865
; %bb.2864:
	global_load_u8 v7, v[20:21], off
	s_wait_loadcnt 0x0
	v_lshlrev_b32_e32 v7, 24, v7
	s_delay_alu instid0(VALU_DEP_1) | instskip(NEXT) | instid1(VALU_DEP_1)
	v_and_b32_e32 v9, 0x7f000000, v7
	v_clz_i32_u32_e32 v11, v9
	v_add_nc_u32_e32 v15, 0x1000000, v9
	v_cmp_ne_u32_e32 vcc_lo, 0, v9
	s_delay_alu instid0(VALU_DEP_3) | instskip(NEXT) | instid1(VALU_DEP_1)
	v_min_u32_e32 v11, 32, v11
	v_sub_nc_u32_e64 v11, v11, 4 clamp
	s_delay_alu instid0(VALU_DEP_1) | instskip(NEXT) | instid1(VALU_DEP_1)
	v_dual_lshlrev_b32 v13, v11, v9 :: v_dual_lshlrev_b32 v11, 23, v11
	v_lshrrev_b32_e32 v13, 4, v13
	s_delay_alu instid0(VALU_DEP_1) | instskip(SKIP_1) | instid1(VALU_DEP_2)
	v_sub_nc_u32_e32 v11, v13, v11
	v_ashrrev_i32_e32 v13, 8, v15
	v_add_nc_u32_e32 v11, 0x3c000000, v11
	s_delay_alu instid0(VALU_DEP_1) | instskip(NEXT) | instid1(VALU_DEP_1)
	v_and_or_b32 v11, 0x7f800000, v13, v11
	v_cndmask_b32_e32 v9, 0, v11, vcc_lo
	s_delay_alu instid0(VALU_DEP_1) | instskip(SKIP_1) | instid1(VALU_DEP_2)
	v_and_or_b32 v7, 0x80000000, v7, v9
	v_bfe_u32 v9, v9, 16, 1
	v_cmp_o_f32_e32 vcc_lo, v7, v7
	s_delay_alu instid0(VALU_DEP_2) | instskip(NEXT) | instid1(VALU_DEP_1)
	v_add3_u32 v9, v7, v9, 0x7fff
	v_lshrrev_b32_e32 v9, 16, v9
	s_wait_xcnt 0x1
	s_delay_alu instid0(VALU_DEP_1)
	v_cndmask_b32_e32 v22, 0x7fc0, v9, vcc_lo
.LBB167_2865:
	s_mov_b32 s17, 0
.LBB167_2866:
	s_delay_alu instid0(SALU_CYCLE_1)
	s_and_not1_b32 vcc_lo, exec_lo, s17
	s_cbranch_vccnz .LBB167_2868
; %bb.2867:
	global_load_u8 v7, v[20:21], off
	s_wait_loadcnt 0x0
	v_lshlrev_b32_e32 v9, 25, v7
	v_lshlrev_b16 v7, 8, v7
	s_delay_alu instid0(VALU_DEP_1) | instskip(SKIP_1) | instid1(VALU_DEP_2)
	v_and_or_b32 v13, 0x7f00, v7, 0.5
	v_bfe_i32 v7, v7, 0, 16
	v_add_f32_e32 v13, -0.5, v13
	v_lshrrev_b32_e32 v11, 4, v9
	v_cmp_gt_u32_e32 vcc_lo, 0x8000000, v9
	s_delay_alu instid0(VALU_DEP_2) | instskip(NEXT) | instid1(VALU_DEP_1)
	v_or_b32_e32 v11, 0x70000000, v11
	v_mul_f32_e32 v11, 0x7800000, v11
	s_delay_alu instid0(VALU_DEP_1) | instskip(NEXT) | instid1(VALU_DEP_1)
	v_cndmask_b32_e32 v9, v11, v13, vcc_lo
	v_and_or_b32 v7, 0x80000000, v7, v9
	v_bfe_u32 v9, v9, 16, 1
	s_delay_alu instid0(VALU_DEP_2) | instskip(NEXT) | instid1(VALU_DEP_2)
	v_cmp_o_f32_e32 vcc_lo, v7, v7
	v_add3_u32 v9, v7, v9, 0x7fff
	s_delay_alu instid0(VALU_DEP_1) | instskip(SKIP_1) | instid1(VALU_DEP_1)
	v_lshrrev_b32_e32 v9, 16, v9
	s_wait_xcnt 0x1
	v_cndmask_b32_e32 v22, 0x7fc0, v9, vcc_lo
.LBB167_2868:
	s_mov_b32 s17, 0
	s_mov_b32 s18, -1
.LBB167_2869:
	s_and_not1_b32 vcc_lo, exec_lo, s17
	s_mov_b32 s17, 0
	s_cbranch_vccnz .LBB167_2880
; %bb.2870:
	s_cmp_gt_i32 s15, 14
	s_cbranch_scc0 .LBB167_2873
; %bb.2871:
	s_cmp_eq_u32 s15, 15
	s_cbranch_scc0 .LBB167_2876
; %bb.2872:
	s_wait_loadcnt 0x0
	global_load_u16 v22, v[20:21], off
	s_mov_b32 s16, 0
	s_mov_b32 s18, -1
	s_branch .LBB167_2878
.LBB167_2873:
	s_mov_b32 s17, -1
	s_branch .LBB167_2877
.LBB167_2874:
	s_or_saveexec_b32 s18, s18
	v_mov_b32_e32 v9, 0x7f800001
	s_xor_b32 exec_lo, exec_lo, s18
	s_cbranch_execz .LBB167_2855
.LBB167_2875:
	v_cmp_ne_u16_e32 vcc_lo, 0, v7
	v_mov_b32_e32 v9, 0
	s_and_not1_b32 s17, s17, exec_lo
	s_and_b32 s19, vcc_lo, exec_lo
	s_delay_alu instid0(SALU_CYCLE_1)
	s_or_b32 s17, s17, s19
	s_or_b32 exec_lo, exec_lo, s18
	s_and_saveexec_b32 s18, s17
	s_cbranch_execnz .LBB167_2856
	s_branch .LBB167_2857
.LBB167_2876:
	s_mov_b32 s16, -1
.LBB167_2877:
                                        ; implicit-def: $vgpr22
.LBB167_2878:
	s_and_b32 vcc_lo, exec_lo, s17
	s_mov_b32 s17, 0
	s_cbranch_vccz .LBB167_2880
; %bb.2879:
	s_cmp_lg_u32 s15, 11
	s_mov_b32 s17, -1
	s_cselect_b32 s16, -1, 0
.LBB167_2880:
	s_delay_alu instid0(SALU_CYCLE_1)
	s_and_b32 vcc_lo, exec_lo, s16
	s_cbranch_vccnz .LBB167_2945
; %bb.2881:
	s_and_not1_b32 vcc_lo, exec_lo, s17
	s_cbranch_vccnz .LBB167_2883
.LBB167_2882:
	global_load_u8 v7, v[20:21], off
	s_mov_b32 s18, -1
	s_wait_loadcnt 0x0
	v_cmp_ne_u16_e32 vcc_lo, 0, v7
	v_cndmask_b32_e64 v7, 0, 1.0, vcc_lo
	s_wait_xcnt 0x1
	s_delay_alu instid0(VALU_DEP_1)
	v_lshrrev_b32_e32 v22, 16, v7
.LBB167_2883:
	s_mov_b32 s16, 0
.LBB167_2884:
	s_delay_alu instid0(SALU_CYCLE_1)
	s_and_b32 vcc_lo, exec_lo, s16
	s_cbranch_vccz .LBB167_2933
; %bb.2885:
	s_cmp_lt_i32 s15, 5
	s_cbranch_scc1 .LBB167_2890
; %bb.2886:
	s_cmp_lt_i32 s15, 8
	s_cbranch_scc1 .LBB167_2891
	;; [unrolled: 3-line block ×3, first 2 shown]
; %bb.2888:
	s_cmp_gt_i32 s15, 9
	s_cbranch_scc0 .LBB167_2893
; %bb.2889:
	s_wait_loadcnt 0x0
	global_load_b64 v[22:23], v[20:21], off
	s_mov_b32 s16, 0
	s_wait_loadcnt 0x0
	v_cvt_f32_f64_e32 v7, v[22:23]
	s_delay_alu instid0(VALU_DEP_1) | instskip(SKIP_1) | instid1(VALU_DEP_2)
	v_bfe_u32 v9, v7, 16, 1
	v_cmp_o_f32_e32 vcc_lo, v7, v7
	v_add3_u32 v9, v7, v9, 0x7fff
	s_delay_alu instid0(VALU_DEP_1) | instskip(NEXT) | instid1(VALU_DEP_1)
	v_lshrrev_b32_e32 v9, 16, v9
	v_cndmask_b32_e32 v22, 0x7fc0, v9, vcc_lo
	s_branch .LBB167_2894
.LBB167_2890:
	s_mov_b32 s16, -1
                                        ; implicit-def: $vgpr22
	s_branch .LBB167_2912
.LBB167_2891:
	s_mov_b32 s16, -1
                                        ; implicit-def: $vgpr22
	s_branch .LBB167_2900
.LBB167_2892:
	s_mov_b32 s16, -1
                                        ; implicit-def: $vgpr22
	s_branch .LBB167_2897
.LBB167_2893:
	s_mov_b32 s16, -1
                                        ; implicit-def: $vgpr22
.LBB167_2894:
	s_delay_alu instid0(SALU_CYCLE_1)
	s_and_not1_b32 vcc_lo, exec_lo, s16
	s_cbranch_vccnz .LBB167_2896
; %bb.2895:
	global_load_b32 v7, v[20:21], off
	s_wait_loadcnt 0x0
	v_bfe_u32 v9, v7, 16, 1
	v_cmp_o_f32_e32 vcc_lo, v7, v7
	s_delay_alu instid0(VALU_DEP_2) | instskip(NEXT) | instid1(VALU_DEP_1)
	v_add3_u32 v9, v7, v9, 0x7fff
	v_lshrrev_b32_e32 v9, 16, v9
	s_wait_xcnt 0x1
	s_delay_alu instid0(VALU_DEP_1)
	v_cndmask_b32_e32 v22, 0x7fc0, v9, vcc_lo
.LBB167_2896:
	s_mov_b32 s16, 0
.LBB167_2897:
	s_delay_alu instid0(SALU_CYCLE_1)
	s_and_not1_b32 vcc_lo, exec_lo, s16
	s_cbranch_vccnz .LBB167_2899
; %bb.2898:
	global_load_b32 v7, v[20:21], off
	s_wait_loadcnt 0x0
	v_cvt_f32_f16_e32 v9, v7
	v_cmp_o_f16_e32 vcc_lo, v7, v7
	s_delay_alu instid0(VALU_DEP_2) | instskip(NEXT) | instid1(VALU_DEP_1)
	v_bfe_u32 v11, v9, 16, 1
	v_add3_u32 v9, v9, v11, 0x7fff
	s_delay_alu instid0(VALU_DEP_1) | instskip(SKIP_1) | instid1(VALU_DEP_1)
	v_lshrrev_b32_e32 v9, 16, v9
	s_wait_xcnt 0x1
	v_cndmask_b32_e32 v22, 0x7fc0, v9, vcc_lo
.LBB167_2899:
	s_mov_b32 s16, 0
.LBB167_2900:
	s_delay_alu instid0(SALU_CYCLE_1)
	s_and_not1_b32 vcc_lo, exec_lo, s16
	s_cbranch_vccnz .LBB167_2911
; %bb.2901:
	s_cmp_lt_i32 s15, 6
	s_cbranch_scc1 .LBB167_2904
; %bb.2902:
	s_cmp_gt_i32 s15, 6
	s_cbranch_scc0 .LBB167_2905
; %bb.2903:
	s_wait_loadcnt 0x0
	global_load_b64 v[22:23], v[20:21], off
	s_mov_b32 s16, 0
	s_wait_loadcnt 0x0
	v_cvt_f32_f64_e32 v7, v[22:23]
	s_delay_alu instid0(VALU_DEP_1) | instskip(SKIP_1) | instid1(VALU_DEP_2)
	v_bfe_u32 v9, v7, 16, 1
	v_cmp_o_f32_e32 vcc_lo, v7, v7
	v_add3_u32 v9, v7, v9, 0x7fff
	s_delay_alu instid0(VALU_DEP_1) | instskip(NEXT) | instid1(VALU_DEP_1)
	v_lshrrev_b32_e32 v9, 16, v9
	v_cndmask_b32_e32 v22, 0x7fc0, v9, vcc_lo
	s_branch .LBB167_2906
.LBB167_2904:
	s_mov_b32 s16, -1
                                        ; implicit-def: $vgpr22
	s_branch .LBB167_2909
.LBB167_2905:
	s_mov_b32 s16, -1
                                        ; implicit-def: $vgpr22
.LBB167_2906:
	s_delay_alu instid0(SALU_CYCLE_1)
	s_and_not1_b32 vcc_lo, exec_lo, s16
	s_cbranch_vccnz .LBB167_2908
; %bb.2907:
	global_load_b32 v7, v[20:21], off
	s_wait_loadcnt 0x0
	v_bfe_u32 v9, v7, 16, 1
	v_cmp_o_f32_e32 vcc_lo, v7, v7
	s_delay_alu instid0(VALU_DEP_2) | instskip(NEXT) | instid1(VALU_DEP_1)
	v_add3_u32 v9, v7, v9, 0x7fff
	v_lshrrev_b32_e32 v9, 16, v9
	s_wait_xcnt 0x1
	s_delay_alu instid0(VALU_DEP_1)
	v_cndmask_b32_e32 v22, 0x7fc0, v9, vcc_lo
.LBB167_2908:
	s_mov_b32 s16, 0
.LBB167_2909:
	s_delay_alu instid0(SALU_CYCLE_1)
	s_and_not1_b32 vcc_lo, exec_lo, s16
	s_cbranch_vccnz .LBB167_2911
; %bb.2910:
	global_load_u16 v7, v[20:21], off
	s_wait_loadcnt 0x0
	v_cvt_f32_f16_e32 v9, v7
	v_cmp_o_f16_e32 vcc_lo, v7, v7
	s_delay_alu instid0(VALU_DEP_2) | instskip(NEXT) | instid1(VALU_DEP_1)
	v_bfe_u32 v11, v9, 16, 1
	v_add3_u32 v9, v9, v11, 0x7fff
	s_delay_alu instid0(VALU_DEP_1) | instskip(SKIP_1) | instid1(VALU_DEP_1)
	v_lshrrev_b32_e32 v9, 16, v9
	s_wait_xcnt 0x1
	v_cndmask_b32_e32 v22, 0x7fc0, v9, vcc_lo
.LBB167_2911:
	s_mov_b32 s16, 0
.LBB167_2912:
	s_delay_alu instid0(SALU_CYCLE_1)
	s_and_not1_b32 vcc_lo, exec_lo, s16
	s_cbranch_vccnz .LBB167_2932
; %bb.2913:
	s_cmp_lt_i32 s15, 2
	s_cbranch_scc1 .LBB167_2917
; %bb.2914:
	s_cmp_lt_i32 s15, 3
	s_cbranch_scc1 .LBB167_2918
; %bb.2915:
	s_cmp_gt_i32 s15, 3
	s_cbranch_scc0 .LBB167_2919
; %bb.2916:
	s_wait_loadcnt 0x0
	global_load_b64 v[22:23], v[20:21], off
	s_mov_b32 s16, 0
	s_wait_loadcnt 0x0
	v_xor_b32_e32 v7, v22, v23
	v_cls_i32_e32 v9, v23
	s_delay_alu instid0(VALU_DEP_2) | instskip(NEXT) | instid1(VALU_DEP_1)
	v_ashrrev_i32_e32 v7, 31, v7
	v_add_nc_u32_e32 v7, 32, v7
	s_delay_alu instid0(VALU_DEP_1) | instskip(NEXT) | instid1(VALU_DEP_1)
	v_add_min_u32_e64 v7, v9, -1, v7
	v_lshlrev_b64_e32 v[22:23], v7, v[22:23]
	v_sub_nc_u32_e32 v7, 32, v7
	s_delay_alu instid0(VALU_DEP_2) | instskip(NEXT) | instid1(VALU_DEP_1)
	v_min_u32_e32 v9, 1, v22
	v_or_b32_e32 v9, v23, v9
	s_delay_alu instid0(VALU_DEP_1) | instskip(NEXT) | instid1(VALU_DEP_1)
	v_cvt_f32_i32_e32 v9, v9
	v_ldexp_f32 v7, v9, v7
	s_delay_alu instid0(VALU_DEP_1) | instskip(NEXT) | instid1(VALU_DEP_1)
	v_bfe_u32 v9, v7, 16, 1
	v_add3_u32 v7, v7, v9, 0x7fff
	s_delay_alu instid0(VALU_DEP_1)
	v_lshrrev_b32_e32 v22, 16, v7
	s_branch .LBB167_2920
.LBB167_2917:
	s_mov_b32 s16, -1
                                        ; implicit-def: $vgpr22
	s_branch .LBB167_2926
.LBB167_2918:
	s_mov_b32 s16, -1
                                        ; implicit-def: $vgpr22
	s_branch .LBB167_2923
.LBB167_2919:
	s_mov_b32 s16, -1
                                        ; implicit-def: $vgpr22
.LBB167_2920:
	s_delay_alu instid0(SALU_CYCLE_1)
	s_and_not1_b32 vcc_lo, exec_lo, s16
	s_cbranch_vccnz .LBB167_2922
; %bb.2921:
	global_load_b32 v7, v[20:21], off
	s_wait_loadcnt 0x0
	v_cvt_f32_i32_e32 v7, v7
	s_delay_alu instid0(VALU_DEP_1) | instskip(NEXT) | instid1(VALU_DEP_1)
	v_bfe_u32 v9, v7, 16, 1
	v_add3_u32 v7, v7, v9, 0x7fff
	s_wait_xcnt 0x1
	s_delay_alu instid0(VALU_DEP_1)
	v_lshrrev_b32_e32 v22, 16, v7
.LBB167_2922:
	s_mov_b32 s16, 0
.LBB167_2923:
	s_delay_alu instid0(SALU_CYCLE_1)
	s_and_not1_b32 vcc_lo, exec_lo, s16
	s_cbranch_vccnz .LBB167_2925
; %bb.2924:
	global_load_i16 v7, v[20:21], off
	s_wait_loadcnt 0x0
	v_cvt_f32_i32_e32 v7, v7
	s_delay_alu instid0(VALU_DEP_1) | instskip(NEXT) | instid1(VALU_DEP_1)
	v_bfe_u32 v9, v7, 16, 1
	v_add3_u32 v7, v7, v9, 0x7fff
	s_wait_xcnt 0x1
	s_delay_alu instid0(VALU_DEP_1)
	v_lshrrev_b32_e32 v22, 16, v7
.LBB167_2925:
	s_mov_b32 s16, 0
.LBB167_2926:
	s_delay_alu instid0(SALU_CYCLE_1)
	s_and_not1_b32 vcc_lo, exec_lo, s16
	s_cbranch_vccnz .LBB167_2932
; %bb.2927:
	s_cmp_gt_i32 s15, 0
	s_mov_b32 s16, 0
	s_cbranch_scc0 .LBB167_2929
; %bb.2928:
	global_load_i8 v7, v[20:21], off
	s_wait_loadcnt 0x0
	v_cvt_f32_i32_e32 v7, v7
	s_delay_alu instid0(VALU_DEP_1) | instskip(NEXT) | instid1(VALU_DEP_1)
	v_bfe_u32 v9, v7, 16, 1
	v_add3_u32 v7, v7, v9, 0x7fff
	s_wait_xcnt 0x1
	s_delay_alu instid0(VALU_DEP_1)
	v_lshrrev_b32_e32 v22, 16, v7
	s_branch .LBB167_2930
.LBB167_2929:
	s_mov_b32 s16, -1
                                        ; implicit-def: $vgpr22
.LBB167_2930:
	s_delay_alu instid0(SALU_CYCLE_1)
	s_and_not1_b32 vcc_lo, exec_lo, s16
	s_cbranch_vccnz .LBB167_2932
; %bb.2931:
	global_load_u8 v7, v[20:21], off
	s_wait_loadcnt 0x0
	v_cvt_f32_ubyte0_e32 v7, v7
	s_delay_alu instid0(VALU_DEP_1) | instskip(NEXT) | instid1(VALU_DEP_1)
	v_bfe_u32 v9, v7, 16, 1
	v_add3_u32 v7, v7, v9, 0x7fff
	s_wait_xcnt 0x1
	s_delay_alu instid0(VALU_DEP_1)
	v_lshrrev_b32_e32 v22, 16, v7
.LBB167_2932:
	s_mov_b32 s18, -1
.LBB167_2933:
	s_delay_alu instid0(SALU_CYCLE_1)
	s_and_not1_b32 vcc_lo, exec_lo, s18
	s_cbranch_vccnz .LBB167_4155
; %bb.2934:
	v_mov_b32_e32 v19, 0
	s_cmp_lt_i32 s13, 11
	s_delay_alu instid0(VALU_DEP_1)
	v_add_nc_u64_e32 v[18:19], s[6:7], v[18:19]
	s_cbranch_scc1 .LBB167_2941
; %bb.2935:
	s_cmp_gt_i32 s13, 25
	s_mov_b32 s17, 0
	s_cbranch_scc0 .LBB167_2942
; %bb.2936:
	s_cmp_gt_i32 s13, 28
	s_cbranch_scc0 .LBB167_2943
; %bb.2937:
	s_cmp_gt_i32 s13, 43
	;; [unrolled: 3-line block ×3, first 2 shown]
	s_cbranch_scc0 .LBB167_2946
; %bb.2939:
	s_cmp_eq_u32 s13, 46
	s_mov_b32 s19, 0
	s_cbranch_scc0 .LBB167_2949
; %bb.2940:
	global_load_b32 v20, v[18:19], off
	s_mov_b32 s16, 0
	s_mov_b32 s18, -1
	s_branch .LBB167_2951
.LBB167_2941:
	s_mov_b32 s16, -1
	s_mov_b32 s18, 0
                                        ; implicit-def: $vgpr20
	s_branch .LBB167_3017
.LBB167_2942:
	s_mov_b32 s19, -1
	s_mov_b32 s18, 0
	s_mov_b32 s16, 0
                                        ; implicit-def: $vgpr20
	s_branch .LBB167_2980
.LBB167_2943:
	s_mov_b32 s19, -1
	s_mov_b32 s18, 0
	s_mov_b32 s16, 0
                                        ; implicit-def: $vgpr20
	s_branch .LBB167_2961
.LBB167_2944:
	s_mov_b32 s19, -1
	s_mov_b32 s18, 0
	s_mov_b32 s16, 0
                                        ; implicit-def: $vgpr20
	s_branch .LBB167_2956
.LBB167_2945:
	s_or_b32 s12, s12, exec_lo
	s_trap 2
	s_cbranch_execz .LBB167_2882
	s_branch .LBB167_2883
.LBB167_2946:
	s_mov_b32 s19, -1
	s_mov_b32 s18, 0
	s_mov_b32 s16, 0
	s_branch .LBB167_2950
.LBB167_2947:
	s_and_not1_saveexec_b32 s59, s59
	s_cbranch_execz .LBB167_1511
.LBB167_2948:
	v_add_f32_e64 v5, 0x42800000, |v6|
	s_and_not1_b32 s58, s58, exec_lo
	s_delay_alu instid0(VALU_DEP_1) | instskip(NEXT) | instid1(VALU_DEP_1)
	v_and_b32_e32 v5, 0xff, v5
	v_cmp_ne_u32_e32 vcc_lo, 0, v5
	s_and_b32 s60, vcc_lo, exec_lo
	s_delay_alu instid0(SALU_CYCLE_1)
	s_or_b32 s58, s58, s60
	s_or_b32 exec_lo, exec_lo, s59
	v_mov_b32_e32 v7, 0
	s_and_saveexec_b32 s59, s58
	s_cbranch_execnz .LBB167_1512
	s_branch .LBB167_1513
.LBB167_2949:
	s_mov_b32 s16, -1
	s_mov_b32 s18, 0
.LBB167_2950:
                                        ; implicit-def: $vgpr20
.LBB167_2951:
	s_and_b32 vcc_lo, exec_lo, s19
	s_cbranch_vccz .LBB167_2955
; %bb.2952:
	s_cmp_eq_u32 s13, 44
	s_cbranch_scc0 .LBB167_2954
; %bb.2953:
	global_load_u8 v7, v[18:19], off
	s_mov_b32 s16, 0
	s_mov_b32 s18, -1
	s_wait_loadcnt 0x0
	v_lshlrev_b32_e32 v9, 23, v7
	v_cmp_ne_u32_e32 vcc_lo, 0xff, v7
	s_delay_alu instid0(VALU_DEP_2) | instskip(SKIP_1) | instid1(VALU_DEP_2)
	v_cndmask_b32_e32 v9, 0x7f800001, v9, vcc_lo
	v_cmp_ne_u32_e32 vcc_lo, 0, v7
	v_cndmask_b32_e32 v7, 0x400000, v9, vcc_lo
	s_delay_alu instid0(VALU_DEP_1) | instskip(SKIP_1) | instid1(VALU_DEP_2)
	v_add_nc_u32_e32 v9, 0x7fff, v7
	v_cmp_o_f32_e32 vcc_lo, v7, v7
	v_lshrrev_b32_e32 v9, 16, v9
	s_wait_xcnt 0x1
	s_delay_alu instid0(VALU_DEP_1)
	v_cndmask_b32_e32 v20, 0x7fc0, v9, vcc_lo
	s_branch .LBB167_2955
.LBB167_2954:
	s_mov_b32 s16, -1
                                        ; implicit-def: $vgpr20
.LBB167_2955:
	s_mov_b32 s19, 0
.LBB167_2956:
	s_delay_alu instid0(SALU_CYCLE_1)
	s_and_b32 vcc_lo, exec_lo, s19
	s_cbranch_vccz .LBB167_2960
; %bb.2957:
	s_cmp_eq_u32 s13, 29
	s_cbranch_scc0 .LBB167_2959
; %bb.2958:
	s_wait_loadcnt 0x0
	global_load_b64 v[20:21], v[18:19], off
	s_mov_b32 s16, 0
	s_mov_b32 s18, -1
	s_mov_b32 s19, 0
	s_wait_loadcnt 0x0
	v_clz_i32_u32_e32 v7, v21
	s_delay_alu instid0(VALU_DEP_1) | instskip(NEXT) | instid1(VALU_DEP_1)
	v_min_u32_e32 v7, 32, v7
	v_lshlrev_b64_e32 v[20:21], v7, v[20:21]
	v_sub_nc_u32_e32 v7, 32, v7
	s_delay_alu instid0(VALU_DEP_2) | instskip(NEXT) | instid1(VALU_DEP_1)
	v_min_u32_e32 v9, 1, v20
	v_or_b32_e32 v9, v21, v9
	s_delay_alu instid0(VALU_DEP_1) | instskip(NEXT) | instid1(VALU_DEP_1)
	v_cvt_f32_u32_e32 v9, v9
	v_ldexp_f32 v7, v9, v7
	s_delay_alu instid0(VALU_DEP_1) | instskip(NEXT) | instid1(VALU_DEP_1)
	v_bfe_u32 v9, v7, 16, 1
	v_add3_u32 v7, v7, v9, 0x7fff
	s_delay_alu instid0(VALU_DEP_1)
	v_lshrrev_b32_e32 v20, 16, v7
	s_branch .LBB167_2961
.LBB167_2959:
	s_mov_b32 s16, -1
                                        ; implicit-def: $vgpr20
.LBB167_2960:
	s_mov_b32 s19, 0
.LBB167_2961:
	s_delay_alu instid0(SALU_CYCLE_1)
	s_and_b32 vcc_lo, exec_lo, s19
	s_cbranch_vccz .LBB167_2979
; %bb.2962:
	s_cmp_lt_i32 s13, 27
	s_cbranch_scc1 .LBB167_2965
; %bb.2963:
	s_cmp_gt_i32 s13, 27
	s_cbranch_scc0 .LBB167_2966
; %bb.2964:
	global_load_b32 v7, v[18:19], off
	s_mov_b32 s18, 0
	s_wait_loadcnt 0x0
	v_cvt_f32_u32_e32 v7, v7
	s_delay_alu instid0(VALU_DEP_1) | instskip(NEXT) | instid1(VALU_DEP_1)
	v_bfe_u32 v9, v7, 16, 1
	v_add3_u32 v7, v7, v9, 0x7fff
	s_wait_xcnt 0x1
	s_delay_alu instid0(VALU_DEP_1)
	v_lshrrev_b32_e32 v20, 16, v7
	s_branch .LBB167_2967
.LBB167_2965:
	s_mov_b32 s18, -1
                                        ; implicit-def: $vgpr20
	s_branch .LBB167_2970
.LBB167_2966:
	s_mov_b32 s18, -1
                                        ; implicit-def: $vgpr20
.LBB167_2967:
	s_delay_alu instid0(SALU_CYCLE_1)
	s_and_not1_b32 vcc_lo, exec_lo, s18
	s_cbranch_vccnz .LBB167_2969
; %bb.2968:
	global_load_u16 v7, v[18:19], off
	s_wait_loadcnt 0x0
	v_cvt_f32_u32_e32 v7, v7
	s_delay_alu instid0(VALU_DEP_1) | instskip(NEXT) | instid1(VALU_DEP_1)
	v_bfe_u32 v9, v7, 16, 1
	v_add3_u32 v7, v7, v9, 0x7fff
	s_wait_xcnt 0x1
	s_delay_alu instid0(VALU_DEP_1)
	v_lshrrev_b32_e32 v20, 16, v7
.LBB167_2969:
	s_mov_b32 s18, 0
.LBB167_2970:
	s_delay_alu instid0(SALU_CYCLE_1)
	s_and_not1_b32 vcc_lo, exec_lo, s18
	s_cbranch_vccnz .LBB167_2978
; %bb.2971:
	global_load_u8 v7, v[18:19], off
	s_mov_b32 s18, 0
	s_mov_b32 s19, exec_lo
	s_wait_loadcnt 0x0
	v_cmpx_lt_i16_e32 0x7f, v7
	s_xor_b32 s19, exec_lo, s19
	s_cbranch_execz .LBB167_2992
; %bb.2972:
	s_mov_b32 s18, -1
	s_mov_b32 s20, exec_lo
	v_cmpx_eq_u16_e32 0x80, v7
; %bb.2973:
	s_xor_b32 s18, exec_lo, -1
; %bb.2974:
	s_or_b32 exec_lo, exec_lo, s20
	s_delay_alu instid0(SALU_CYCLE_1)
	s_and_b32 s18, s18, exec_lo
	s_or_saveexec_b32 s19, s19
	v_mov_b32_e32 v9, 0x7f800001
	s_xor_b32 exec_lo, exec_lo, s19
	s_cbranch_execnz .LBB167_2993
.LBB167_2975:
	s_or_b32 exec_lo, exec_lo, s19
	s_and_saveexec_b32 s19, s18
	s_cbranch_execz .LBB167_2977
.LBB167_2976:
	v_and_b32_e32 v9, 0xffff, v7
	s_delay_alu instid0(VALU_DEP_1) | instskip(SKIP_1) | instid1(VALU_DEP_2)
	v_dual_lshlrev_b32 v7, 24, v7 :: v_dual_bitop2_b32 v11, 7, v9 bitop3:0x40
	v_bfe_u32 v17, v9, 3, 4
	v_and_b32_e32 v7, 0x80000000, v7
	s_delay_alu instid0(VALU_DEP_3) | instskip(NEXT) | instid1(VALU_DEP_3)
	v_clz_i32_u32_e32 v13, v11
	v_cmp_eq_u32_e32 vcc_lo, 0, v17
	s_delay_alu instid0(VALU_DEP_2) | instskip(NEXT) | instid1(VALU_DEP_1)
	v_min_u32_e32 v13, 32, v13
	v_subrev_nc_u32_e32 v15, 28, v13
	v_sub_nc_u32_e32 v13, 29, v13
	s_delay_alu instid0(VALU_DEP_2) | instskip(NEXT) | instid1(VALU_DEP_2)
	v_lshlrev_b32_e32 v9, v15, v9
	v_cndmask_b32_e32 v13, v17, v13, vcc_lo
	s_delay_alu instid0(VALU_DEP_2) | instskip(NEXT) | instid1(VALU_DEP_1)
	v_and_b32_e32 v9, 7, v9
	v_cndmask_b32_e32 v9, v11, v9, vcc_lo
	s_delay_alu instid0(VALU_DEP_3) | instskip(NEXT) | instid1(VALU_DEP_2)
	v_lshl_add_u32 v11, v13, 23, 0x3b800000
	v_lshlrev_b32_e32 v9, 20, v9
	s_delay_alu instid0(VALU_DEP_1)
	v_or3_b32 v9, v7, v11, v9
.LBB167_2977:
	s_or_b32 exec_lo, exec_lo, s19
	s_delay_alu instid0(VALU_DEP_1) | instskip(SKIP_1) | instid1(VALU_DEP_2)
	v_bfe_u32 v7, v9, 16, 1
	v_cmp_o_f32_e32 vcc_lo, v9, v9
	v_add3_u32 v7, v9, v7, 0x7fff
	s_delay_alu instid0(VALU_DEP_1) | instskip(NEXT) | instid1(VALU_DEP_1)
	v_lshrrev_b32_e32 v7, 16, v7
	v_cndmask_b32_e32 v20, 0x7fc0, v7, vcc_lo
.LBB167_2978:
	s_mov_b32 s18, -1
.LBB167_2979:
	s_mov_b32 s19, 0
.LBB167_2980:
	s_delay_alu instid0(SALU_CYCLE_1)
	s_and_b32 vcc_lo, exec_lo, s19
	s_cbranch_vccz .LBB167_3013
; %bb.2981:
	s_cmp_gt_i32 s13, 22
	s_cbranch_scc0 .LBB167_2991
; %bb.2982:
	s_cmp_lt_i32 s13, 24
	s_cbranch_scc1 .LBB167_2994
; %bb.2983:
	s_cmp_gt_i32 s13, 24
	s_cbranch_scc0 .LBB167_2995
; %bb.2984:
	global_load_u8 v7, v[18:19], off
	s_mov_b32 s18, exec_lo
	s_wait_loadcnt 0x0
	v_cmpx_lt_i16_e32 0x7f, v7
	s_xor_b32 s18, exec_lo, s18
	s_cbranch_execz .LBB167_3007
; %bb.2985:
	s_mov_b32 s17, -1
	s_mov_b32 s19, exec_lo
	v_cmpx_eq_u16_e32 0x80, v7
; %bb.2986:
	s_xor_b32 s17, exec_lo, -1
; %bb.2987:
	s_or_b32 exec_lo, exec_lo, s19
	s_delay_alu instid0(SALU_CYCLE_1)
	s_and_b32 s17, s17, exec_lo
	s_or_saveexec_b32 s18, s18
	v_mov_b32_e32 v9, 0x7f800001
	s_xor_b32 exec_lo, exec_lo, s18
	s_cbranch_execnz .LBB167_3008
.LBB167_2988:
	s_or_b32 exec_lo, exec_lo, s18
	s_and_saveexec_b32 s18, s17
	s_cbranch_execz .LBB167_2990
.LBB167_2989:
	v_and_b32_e32 v9, 0xffff, v7
	s_delay_alu instid0(VALU_DEP_1) | instskip(SKIP_1) | instid1(VALU_DEP_2)
	v_dual_lshlrev_b32 v7, 24, v7 :: v_dual_bitop2_b32 v11, 3, v9 bitop3:0x40
	v_bfe_u32 v17, v9, 2, 5
	v_and_b32_e32 v7, 0x80000000, v7
	s_delay_alu instid0(VALU_DEP_3) | instskip(NEXT) | instid1(VALU_DEP_3)
	v_clz_i32_u32_e32 v13, v11
	v_cmp_eq_u32_e32 vcc_lo, 0, v17
	s_delay_alu instid0(VALU_DEP_2) | instskip(NEXT) | instid1(VALU_DEP_1)
	v_min_u32_e32 v13, 32, v13
	v_subrev_nc_u32_e32 v15, 29, v13
	v_sub_nc_u32_e32 v13, 30, v13
	s_delay_alu instid0(VALU_DEP_2) | instskip(NEXT) | instid1(VALU_DEP_2)
	v_lshlrev_b32_e32 v9, v15, v9
	v_cndmask_b32_e32 v13, v17, v13, vcc_lo
	s_delay_alu instid0(VALU_DEP_2) | instskip(NEXT) | instid1(VALU_DEP_1)
	v_and_b32_e32 v9, 3, v9
	v_cndmask_b32_e32 v9, v11, v9, vcc_lo
	s_delay_alu instid0(VALU_DEP_3) | instskip(NEXT) | instid1(VALU_DEP_2)
	v_lshl_add_u32 v11, v13, 23, 0x37800000
	v_lshlrev_b32_e32 v9, 21, v9
	s_delay_alu instid0(VALU_DEP_1)
	v_or3_b32 v9, v7, v11, v9
.LBB167_2990:
	s_or_b32 exec_lo, exec_lo, s18
	s_delay_alu instid0(VALU_DEP_1) | instskip(SKIP_2) | instid1(VALU_DEP_2)
	v_bfe_u32 v7, v9, 16, 1
	v_cmp_o_f32_e32 vcc_lo, v9, v9
	s_mov_b32 s17, 0
	v_add3_u32 v7, v9, v7, 0x7fff
	s_delay_alu instid0(VALU_DEP_1) | instskip(NEXT) | instid1(VALU_DEP_1)
	v_lshrrev_b32_e32 v7, 16, v7
	v_cndmask_b32_e32 v20, 0x7fc0, v7, vcc_lo
	s_branch .LBB167_2996
.LBB167_2991:
	s_mov_b32 s17, -1
                                        ; implicit-def: $vgpr20
	s_branch .LBB167_3002
.LBB167_2992:
	s_or_saveexec_b32 s19, s19
	v_mov_b32_e32 v9, 0x7f800001
	s_xor_b32 exec_lo, exec_lo, s19
	s_cbranch_execz .LBB167_2975
.LBB167_2993:
	v_cmp_ne_u16_e32 vcc_lo, 0, v7
	v_mov_b32_e32 v9, 0
	s_and_not1_b32 s18, s18, exec_lo
	s_and_b32 s20, vcc_lo, exec_lo
	s_delay_alu instid0(SALU_CYCLE_1)
	s_or_b32 s18, s18, s20
	s_or_b32 exec_lo, exec_lo, s19
	s_and_saveexec_b32 s19, s18
	s_cbranch_execnz .LBB167_2976
	s_branch .LBB167_2977
.LBB167_2994:
	s_mov_b32 s17, -1
                                        ; implicit-def: $vgpr20
	s_branch .LBB167_2999
.LBB167_2995:
	s_mov_b32 s17, -1
                                        ; implicit-def: $vgpr20
.LBB167_2996:
	s_delay_alu instid0(SALU_CYCLE_1)
	s_and_b32 vcc_lo, exec_lo, s17
	s_cbranch_vccz .LBB167_2998
; %bb.2997:
	global_load_u8 v7, v[18:19], off
	s_wait_loadcnt 0x0
	v_lshlrev_b32_e32 v7, 24, v7
	s_delay_alu instid0(VALU_DEP_1) | instskip(NEXT) | instid1(VALU_DEP_1)
	v_and_b32_e32 v9, 0x7f000000, v7
	v_clz_i32_u32_e32 v11, v9
	v_add_nc_u32_e32 v15, 0x1000000, v9
	v_cmp_ne_u32_e32 vcc_lo, 0, v9
	s_delay_alu instid0(VALU_DEP_3) | instskip(NEXT) | instid1(VALU_DEP_1)
	v_min_u32_e32 v11, 32, v11
	v_sub_nc_u32_e64 v11, v11, 4 clamp
	s_delay_alu instid0(VALU_DEP_1) | instskip(NEXT) | instid1(VALU_DEP_1)
	v_dual_lshlrev_b32 v13, v11, v9 :: v_dual_lshlrev_b32 v11, 23, v11
	v_lshrrev_b32_e32 v13, 4, v13
	s_delay_alu instid0(VALU_DEP_1) | instskip(SKIP_1) | instid1(VALU_DEP_2)
	v_sub_nc_u32_e32 v11, v13, v11
	v_ashrrev_i32_e32 v13, 8, v15
	v_add_nc_u32_e32 v11, 0x3c000000, v11
	s_delay_alu instid0(VALU_DEP_1) | instskip(NEXT) | instid1(VALU_DEP_1)
	v_and_or_b32 v11, 0x7f800000, v13, v11
	v_cndmask_b32_e32 v9, 0, v11, vcc_lo
	s_delay_alu instid0(VALU_DEP_1) | instskip(SKIP_1) | instid1(VALU_DEP_2)
	v_and_or_b32 v7, 0x80000000, v7, v9
	v_bfe_u32 v9, v9, 16, 1
	v_cmp_o_f32_e32 vcc_lo, v7, v7
	s_delay_alu instid0(VALU_DEP_2) | instskip(NEXT) | instid1(VALU_DEP_1)
	v_add3_u32 v9, v7, v9, 0x7fff
	v_lshrrev_b32_e32 v9, 16, v9
	s_wait_xcnt 0x1
	s_delay_alu instid0(VALU_DEP_1)
	v_cndmask_b32_e32 v20, 0x7fc0, v9, vcc_lo
.LBB167_2998:
	s_mov_b32 s17, 0
.LBB167_2999:
	s_delay_alu instid0(SALU_CYCLE_1)
	s_and_not1_b32 vcc_lo, exec_lo, s17
	s_cbranch_vccnz .LBB167_3001
; %bb.3000:
	global_load_u8 v7, v[18:19], off
	s_wait_loadcnt 0x0
	v_lshlrev_b32_e32 v9, 25, v7
	v_lshlrev_b16 v7, 8, v7
	s_delay_alu instid0(VALU_DEP_1) | instskip(SKIP_1) | instid1(VALU_DEP_2)
	v_and_or_b32 v13, 0x7f00, v7, 0.5
	v_bfe_i32 v7, v7, 0, 16
	v_add_f32_e32 v13, -0.5, v13
	v_lshrrev_b32_e32 v11, 4, v9
	v_cmp_gt_u32_e32 vcc_lo, 0x8000000, v9
	s_delay_alu instid0(VALU_DEP_2) | instskip(NEXT) | instid1(VALU_DEP_1)
	v_or_b32_e32 v11, 0x70000000, v11
	v_mul_f32_e32 v11, 0x7800000, v11
	s_delay_alu instid0(VALU_DEP_1) | instskip(NEXT) | instid1(VALU_DEP_1)
	v_cndmask_b32_e32 v9, v11, v13, vcc_lo
	v_and_or_b32 v7, 0x80000000, v7, v9
	v_bfe_u32 v9, v9, 16, 1
	s_delay_alu instid0(VALU_DEP_2) | instskip(NEXT) | instid1(VALU_DEP_2)
	v_cmp_o_f32_e32 vcc_lo, v7, v7
	v_add3_u32 v9, v7, v9, 0x7fff
	s_delay_alu instid0(VALU_DEP_1) | instskip(SKIP_1) | instid1(VALU_DEP_1)
	v_lshrrev_b32_e32 v9, 16, v9
	s_wait_xcnt 0x1
	v_cndmask_b32_e32 v20, 0x7fc0, v9, vcc_lo
.LBB167_3001:
	s_mov_b32 s17, 0
	s_mov_b32 s18, -1
.LBB167_3002:
	s_and_not1_b32 vcc_lo, exec_lo, s17
	s_mov_b32 s17, 0
	s_cbranch_vccnz .LBB167_3013
; %bb.3003:
	s_cmp_gt_i32 s13, 14
	s_cbranch_scc0 .LBB167_3006
; %bb.3004:
	s_cmp_eq_u32 s13, 15
	s_cbranch_scc0 .LBB167_3009
; %bb.3005:
	s_wait_loadcnt 0x0
	global_load_u16 v20, v[18:19], off
	s_mov_b32 s16, 0
	s_mov_b32 s18, -1
	s_branch .LBB167_3011
.LBB167_3006:
	s_mov_b32 s17, -1
	s_branch .LBB167_3010
.LBB167_3007:
	s_or_saveexec_b32 s18, s18
	v_mov_b32_e32 v9, 0x7f800001
	s_xor_b32 exec_lo, exec_lo, s18
	s_cbranch_execz .LBB167_2988
.LBB167_3008:
	v_cmp_ne_u16_e32 vcc_lo, 0, v7
	v_mov_b32_e32 v9, 0
	s_and_not1_b32 s17, s17, exec_lo
	s_and_b32 s19, vcc_lo, exec_lo
	s_delay_alu instid0(SALU_CYCLE_1)
	s_or_b32 s17, s17, s19
	s_or_b32 exec_lo, exec_lo, s18
	s_and_saveexec_b32 s18, s17
	s_cbranch_execnz .LBB167_2989
	s_branch .LBB167_2990
.LBB167_3009:
	s_mov_b32 s16, -1
.LBB167_3010:
                                        ; implicit-def: $vgpr20
.LBB167_3011:
	s_and_b32 vcc_lo, exec_lo, s17
	s_mov_b32 s17, 0
	s_cbranch_vccz .LBB167_3013
; %bb.3012:
	s_cmp_lg_u32 s13, 11
	s_mov_b32 s17, -1
	s_cselect_b32 s16, -1, 0
.LBB167_3013:
	s_delay_alu instid0(SALU_CYCLE_1)
	s_and_b32 vcc_lo, exec_lo, s16
	s_cbranch_vccnz .LBB167_3078
; %bb.3014:
	s_and_not1_b32 vcc_lo, exec_lo, s17
	s_cbranch_vccnz .LBB167_3016
.LBB167_3015:
	global_load_u8 v7, v[18:19], off
	s_mov_b32 s18, -1
	s_wait_loadcnt 0x0
	v_cmp_ne_u16_e32 vcc_lo, 0, v7
	v_cndmask_b32_e64 v7, 0, 1.0, vcc_lo
	s_wait_xcnt 0x1
	s_delay_alu instid0(VALU_DEP_1)
	v_lshrrev_b32_e32 v20, 16, v7
.LBB167_3016:
	s_mov_b32 s16, 0
.LBB167_3017:
	s_delay_alu instid0(SALU_CYCLE_1)
	s_and_b32 vcc_lo, exec_lo, s16
	s_cbranch_vccz .LBB167_3066
; %bb.3018:
	s_cmp_lt_i32 s13, 5
	s_cbranch_scc1 .LBB167_3023
; %bb.3019:
	s_cmp_lt_i32 s13, 8
	s_cbranch_scc1 .LBB167_3024
	;; [unrolled: 3-line block ×3, first 2 shown]
; %bb.3021:
	s_cmp_gt_i32 s13, 9
	s_cbranch_scc0 .LBB167_3026
; %bb.3022:
	s_wait_loadcnt 0x0
	global_load_b64 v[20:21], v[18:19], off
	s_mov_b32 s16, 0
	s_wait_loadcnt 0x0
	v_cvt_f32_f64_e32 v7, v[20:21]
	s_delay_alu instid0(VALU_DEP_1) | instskip(SKIP_1) | instid1(VALU_DEP_2)
	v_bfe_u32 v9, v7, 16, 1
	v_cmp_o_f32_e32 vcc_lo, v7, v7
	v_add3_u32 v9, v7, v9, 0x7fff
	s_delay_alu instid0(VALU_DEP_1) | instskip(NEXT) | instid1(VALU_DEP_1)
	v_lshrrev_b32_e32 v9, 16, v9
	v_cndmask_b32_e32 v20, 0x7fc0, v9, vcc_lo
	s_branch .LBB167_3027
.LBB167_3023:
	s_mov_b32 s16, -1
                                        ; implicit-def: $vgpr20
	s_branch .LBB167_3045
.LBB167_3024:
	s_mov_b32 s16, -1
                                        ; implicit-def: $vgpr20
	s_branch .LBB167_3033
.LBB167_3025:
	s_mov_b32 s16, -1
                                        ; implicit-def: $vgpr20
	s_branch .LBB167_3030
.LBB167_3026:
	s_mov_b32 s16, -1
                                        ; implicit-def: $vgpr20
.LBB167_3027:
	s_delay_alu instid0(SALU_CYCLE_1)
	s_and_not1_b32 vcc_lo, exec_lo, s16
	s_cbranch_vccnz .LBB167_3029
; %bb.3028:
	global_load_b32 v7, v[18:19], off
	s_wait_loadcnt 0x0
	v_bfe_u32 v9, v7, 16, 1
	v_cmp_o_f32_e32 vcc_lo, v7, v7
	s_delay_alu instid0(VALU_DEP_2) | instskip(NEXT) | instid1(VALU_DEP_1)
	v_add3_u32 v9, v7, v9, 0x7fff
	v_lshrrev_b32_e32 v9, 16, v9
	s_wait_xcnt 0x1
	s_delay_alu instid0(VALU_DEP_1)
	v_cndmask_b32_e32 v20, 0x7fc0, v9, vcc_lo
.LBB167_3029:
	s_mov_b32 s16, 0
.LBB167_3030:
	s_delay_alu instid0(SALU_CYCLE_1)
	s_and_not1_b32 vcc_lo, exec_lo, s16
	s_cbranch_vccnz .LBB167_3032
; %bb.3031:
	global_load_b32 v7, v[18:19], off
	s_wait_loadcnt 0x0
	v_cvt_f32_f16_e32 v9, v7
	v_cmp_o_f16_e32 vcc_lo, v7, v7
	s_delay_alu instid0(VALU_DEP_2) | instskip(NEXT) | instid1(VALU_DEP_1)
	v_bfe_u32 v11, v9, 16, 1
	v_add3_u32 v9, v9, v11, 0x7fff
	s_delay_alu instid0(VALU_DEP_1) | instskip(SKIP_1) | instid1(VALU_DEP_1)
	v_lshrrev_b32_e32 v9, 16, v9
	s_wait_xcnt 0x1
	v_cndmask_b32_e32 v20, 0x7fc0, v9, vcc_lo
.LBB167_3032:
	s_mov_b32 s16, 0
.LBB167_3033:
	s_delay_alu instid0(SALU_CYCLE_1)
	s_and_not1_b32 vcc_lo, exec_lo, s16
	s_cbranch_vccnz .LBB167_3044
; %bb.3034:
	s_cmp_lt_i32 s13, 6
	s_cbranch_scc1 .LBB167_3037
; %bb.3035:
	s_cmp_gt_i32 s13, 6
	s_cbranch_scc0 .LBB167_3038
; %bb.3036:
	s_wait_loadcnt 0x0
	global_load_b64 v[20:21], v[18:19], off
	s_mov_b32 s16, 0
	s_wait_loadcnt 0x0
	v_cvt_f32_f64_e32 v7, v[20:21]
	s_delay_alu instid0(VALU_DEP_1) | instskip(SKIP_1) | instid1(VALU_DEP_2)
	v_bfe_u32 v9, v7, 16, 1
	v_cmp_o_f32_e32 vcc_lo, v7, v7
	v_add3_u32 v9, v7, v9, 0x7fff
	s_delay_alu instid0(VALU_DEP_1) | instskip(NEXT) | instid1(VALU_DEP_1)
	v_lshrrev_b32_e32 v9, 16, v9
	v_cndmask_b32_e32 v20, 0x7fc0, v9, vcc_lo
	s_branch .LBB167_3039
.LBB167_3037:
	s_mov_b32 s16, -1
                                        ; implicit-def: $vgpr20
	s_branch .LBB167_3042
.LBB167_3038:
	s_mov_b32 s16, -1
                                        ; implicit-def: $vgpr20
.LBB167_3039:
	s_delay_alu instid0(SALU_CYCLE_1)
	s_and_not1_b32 vcc_lo, exec_lo, s16
	s_cbranch_vccnz .LBB167_3041
; %bb.3040:
	global_load_b32 v7, v[18:19], off
	s_wait_loadcnt 0x0
	v_bfe_u32 v9, v7, 16, 1
	v_cmp_o_f32_e32 vcc_lo, v7, v7
	s_delay_alu instid0(VALU_DEP_2) | instskip(NEXT) | instid1(VALU_DEP_1)
	v_add3_u32 v9, v7, v9, 0x7fff
	v_lshrrev_b32_e32 v9, 16, v9
	s_wait_xcnt 0x1
	s_delay_alu instid0(VALU_DEP_1)
	v_cndmask_b32_e32 v20, 0x7fc0, v9, vcc_lo
.LBB167_3041:
	s_mov_b32 s16, 0
.LBB167_3042:
	s_delay_alu instid0(SALU_CYCLE_1)
	s_and_not1_b32 vcc_lo, exec_lo, s16
	s_cbranch_vccnz .LBB167_3044
; %bb.3043:
	global_load_u16 v7, v[18:19], off
	s_wait_loadcnt 0x0
	v_cvt_f32_f16_e32 v9, v7
	v_cmp_o_f16_e32 vcc_lo, v7, v7
	s_delay_alu instid0(VALU_DEP_2) | instskip(NEXT) | instid1(VALU_DEP_1)
	v_bfe_u32 v11, v9, 16, 1
	v_add3_u32 v9, v9, v11, 0x7fff
	s_delay_alu instid0(VALU_DEP_1) | instskip(SKIP_1) | instid1(VALU_DEP_1)
	v_lshrrev_b32_e32 v9, 16, v9
	s_wait_xcnt 0x1
	v_cndmask_b32_e32 v20, 0x7fc0, v9, vcc_lo
.LBB167_3044:
	s_mov_b32 s16, 0
.LBB167_3045:
	s_delay_alu instid0(SALU_CYCLE_1)
	s_and_not1_b32 vcc_lo, exec_lo, s16
	s_cbranch_vccnz .LBB167_3065
; %bb.3046:
	s_cmp_lt_i32 s13, 2
	s_cbranch_scc1 .LBB167_3050
; %bb.3047:
	s_cmp_lt_i32 s13, 3
	s_cbranch_scc1 .LBB167_3051
; %bb.3048:
	s_cmp_gt_i32 s13, 3
	s_cbranch_scc0 .LBB167_3052
; %bb.3049:
	s_wait_loadcnt 0x0
	global_load_b64 v[20:21], v[18:19], off
	s_mov_b32 s16, 0
	s_wait_loadcnt 0x0
	v_xor_b32_e32 v7, v20, v21
	v_cls_i32_e32 v9, v21
	s_delay_alu instid0(VALU_DEP_2) | instskip(NEXT) | instid1(VALU_DEP_1)
	v_ashrrev_i32_e32 v7, 31, v7
	v_add_nc_u32_e32 v7, 32, v7
	s_delay_alu instid0(VALU_DEP_1) | instskip(NEXT) | instid1(VALU_DEP_1)
	v_add_min_u32_e64 v7, v9, -1, v7
	v_lshlrev_b64_e32 v[20:21], v7, v[20:21]
	v_sub_nc_u32_e32 v7, 32, v7
	s_delay_alu instid0(VALU_DEP_2) | instskip(NEXT) | instid1(VALU_DEP_1)
	v_min_u32_e32 v9, 1, v20
	v_or_b32_e32 v9, v21, v9
	s_delay_alu instid0(VALU_DEP_1) | instskip(NEXT) | instid1(VALU_DEP_1)
	v_cvt_f32_i32_e32 v9, v9
	v_ldexp_f32 v7, v9, v7
	s_delay_alu instid0(VALU_DEP_1) | instskip(NEXT) | instid1(VALU_DEP_1)
	v_bfe_u32 v9, v7, 16, 1
	v_add3_u32 v7, v7, v9, 0x7fff
	s_delay_alu instid0(VALU_DEP_1)
	v_lshrrev_b32_e32 v20, 16, v7
	s_branch .LBB167_3053
.LBB167_3050:
	s_mov_b32 s16, -1
                                        ; implicit-def: $vgpr20
	s_branch .LBB167_3059
.LBB167_3051:
	s_mov_b32 s16, -1
                                        ; implicit-def: $vgpr20
	s_branch .LBB167_3056
.LBB167_3052:
	s_mov_b32 s16, -1
                                        ; implicit-def: $vgpr20
.LBB167_3053:
	s_delay_alu instid0(SALU_CYCLE_1)
	s_and_not1_b32 vcc_lo, exec_lo, s16
	s_cbranch_vccnz .LBB167_3055
; %bb.3054:
	global_load_b32 v7, v[18:19], off
	s_wait_loadcnt 0x0
	v_cvt_f32_i32_e32 v7, v7
	s_delay_alu instid0(VALU_DEP_1) | instskip(NEXT) | instid1(VALU_DEP_1)
	v_bfe_u32 v9, v7, 16, 1
	v_add3_u32 v7, v7, v9, 0x7fff
	s_wait_xcnt 0x1
	s_delay_alu instid0(VALU_DEP_1)
	v_lshrrev_b32_e32 v20, 16, v7
.LBB167_3055:
	s_mov_b32 s16, 0
.LBB167_3056:
	s_delay_alu instid0(SALU_CYCLE_1)
	s_and_not1_b32 vcc_lo, exec_lo, s16
	s_cbranch_vccnz .LBB167_3058
; %bb.3057:
	global_load_i16 v7, v[18:19], off
	s_wait_loadcnt 0x0
	v_cvt_f32_i32_e32 v7, v7
	s_delay_alu instid0(VALU_DEP_1) | instskip(NEXT) | instid1(VALU_DEP_1)
	v_bfe_u32 v9, v7, 16, 1
	v_add3_u32 v7, v7, v9, 0x7fff
	s_wait_xcnt 0x1
	s_delay_alu instid0(VALU_DEP_1)
	v_lshrrev_b32_e32 v20, 16, v7
.LBB167_3058:
	s_mov_b32 s16, 0
.LBB167_3059:
	s_delay_alu instid0(SALU_CYCLE_1)
	s_and_not1_b32 vcc_lo, exec_lo, s16
	s_cbranch_vccnz .LBB167_3065
; %bb.3060:
	s_cmp_gt_i32 s13, 0
	s_mov_b32 s16, 0
	s_cbranch_scc0 .LBB167_3062
; %bb.3061:
	global_load_i8 v7, v[18:19], off
	s_wait_loadcnt 0x0
	v_cvt_f32_i32_e32 v7, v7
	s_delay_alu instid0(VALU_DEP_1) | instskip(NEXT) | instid1(VALU_DEP_1)
	v_bfe_u32 v9, v7, 16, 1
	v_add3_u32 v7, v7, v9, 0x7fff
	s_wait_xcnt 0x1
	s_delay_alu instid0(VALU_DEP_1)
	v_lshrrev_b32_e32 v20, 16, v7
	s_branch .LBB167_3063
.LBB167_3062:
	s_mov_b32 s16, -1
                                        ; implicit-def: $vgpr20
.LBB167_3063:
	s_delay_alu instid0(SALU_CYCLE_1)
	s_and_not1_b32 vcc_lo, exec_lo, s16
	s_cbranch_vccnz .LBB167_3065
; %bb.3064:
	global_load_u8 v7, v[18:19], off
	s_wait_loadcnt 0x0
	v_cvt_f32_ubyte0_e32 v7, v7
	s_delay_alu instid0(VALU_DEP_1) | instskip(NEXT) | instid1(VALU_DEP_1)
	v_bfe_u32 v9, v7, 16, 1
	v_add3_u32 v7, v7, v9, 0x7fff
	s_wait_xcnt 0x1
	s_delay_alu instid0(VALU_DEP_1)
	v_lshrrev_b32_e32 v20, 16, v7
.LBB167_3065:
	s_mov_b32 s18, -1
.LBB167_3066:
	s_delay_alu instid0(SALU_CYCLE_1)
	s_and_not1_b32 vcc_lo, exec_lo, s18
	s_cbranch_vccnz .LBB167_4155
; %bb.3067:
	v_mov_b32_e32 v17, 0
	s_cmp_lt_i32 s14, 11
	s_delay_alu instid0(VALU_DEP_1)
	v_add_nc_u64_e32 v[16:17], s[0:1], v[16:17]
	s_cbranch_scc1 .LBB167_3074
; %bb.3068:
	s_cmp_gt_i32 s14, 25
	s_mov_b32 s17, 0
	s_cbranch_scc0 .LBB167_3075
; %bb.3069:
	s_cmp_gt_i32 s14, 28
	s_cbranch_scc0 .LBB167_3076
; %bb.3070:
	s_cmp_gt_i32 s14, 43
	;; [unrolled: 3-line block ×3, first 2 shown]
	s_cbranch_scc0 .LBB167_3079
; %bb.3072:
	s_cmp_eq_u32 s14, 46
	s_mov_b32 s19, 0
	s_cbranch_scc0 .LBB167_3080
; %bb.3073:
	global_load_b32 v18, v[16:17], off
	s_mov_b32 s16, 0
	s_mov_b32 s18, -1
	s_branch .LBB167_3082
.LBB167_3074:
	s_mov_b32 s16, -1
	s_mov_b32 s18, 0
                                        ; implicit-def: $vgpr18
	s_branch .LBB167_3148
.LBB167_3075:
	s_mov_b32 s19, -1
	s_mov_b32 s18, 0
	s_mov_b32 s16, 0
                                        ; implicit-def: $vgpr18
	s_branch .LBB167_3111
.LBB167_3076:
	s_mov_b32 s19, -1
	s_mov_b32 s18, 0
	s_mov_b32 s16, 0
                                        ; implicit-def: $vgpr18
	s_branch .LBB167_3092
.LBB167_3077:
	s_mov_b32 s19, -1
	s_mov_b32 s18, 0
	s_mov_b32 s16, 0
                                        ; implicit-def: $vgpr18
	s_branch .LBB167_3087
.LBB167_3078:
	s_or_b32 s12, s12, exec_lo
	s_trap 2
	s_cbranch_execz .LBB167_3015
	s_branch .LBB167_3016
.LBB167_3079:
	s_mov_b32 s19, -1
	s_mov_b32 s18, 0
	s_mov_b32 s16, 0
	s_branch .LBB167_3081
.LBB167_3080:
	s_mov_b32 s16, -1
	s_mov_b32 s18, 0
.LBB167_3081:
                                        ; implicit-def: $vgpr18
.LBB167_3082:
	s_and_b32 vcc_lo, exec_lo, s19
	s_cbranch_vccz .LBB167_3086
; %bb.3083:
	s_cmp_eq_u32 s14, 44
	s_cbranch_scc0 .LBB167_3085
; %bb.3084:
	global_load_u8 v7, v[16:17], off
	s_mov_b32 s16, 0
	s_mov_b32 s18, -1
	s_wait_loadcnt 0x0
	v_lshlrev_b32_e32 v9, 23, v7
	v_cmp_ne_u32_e32 vcc_lo, 0xff, v7
	s_delay_alu instid0(VALU_DEP_2) | instskip(SKIP_1) | instid1(VALU_DEP_2)
	v_cndmask_b32_e32 v9, 0x7f800001, v9, vcc_lo
	v_cmp_ne_u32_e32 vcc_lo, 0, v7
	v_cndmask_b32_e32 v7, 0x400000, v9, vcc_lo
	s_delay_alu instid0(VALU_DEP_1) | instskip(SKIP_1) | instid1(VALU_DEP_2)
	v_add_nc_u32_e32 v9, 0x7fff, v7
	v_cmp_o_f32_e32 vcc_lo, v7, v7
	v_lshrrev_b32_e32 v9, 16, v9
	s_wait_xcnt 0x1
	s_delay_alu instid0(VALU_DEP_1)
	v_cndmask_b32_e32 v18, 0x7fc0, v9, vcc_lo
	s_branch .LBB167_3086
.LBB167_3085:
	s_mov_b32 s16, -1
                                        ; implicit-def: $vgpr18
.LBB167_3086:
	s_mov_b32 s19, 0
.LBB167_3087:
	s_delay_alu instid0(SALU_CYCLE_1)
	s_and_b32 vcc_lo, exec_lo, s19
	s_cbranch_vccz .LBB167_3091
; %bb.3088:
	s_cmp_eq_u32 s14, 29
	s_cbranch_scc0 .LBB167_3090
; %bb.3089:
	s_wait_loadcnt 0x0
	global_load_b64 v[18:19], v[16:17], off
	s_mov_b32 s16, 0
	s_mov_b32 s18, -1
	s_mov_b32 s19, 0
	s_wait_loadcnt 0x0
	v_clz_i32_u32_e32 v7, v19
	s_delay_alu instid0(VALU_DEP_1) | instskip(NEXT) | instid1(VALU_DEP_1)
	v_min_u32_e32 v7, 32, v7
	v_lshlrev_b64_e32 v[18:19], v7, v[18:19]
	v_sub_nc_u32_e32 v7, 32, v7
	s_delay_alu instid0(VALU_DEP_2) | instskip(NEXT) | instid1(VALU_DEP_1)
	v_min_u32_e32 v9, 1, v18
	v_or_b32_e32 v9, v19, v9
	s_delay_alu instid0(VALU_DEP_1) | instskip(NEXT) | instid1(VALU_DEP_1)
	v_cvt_f32_u32_e32 v9, v9
	v_ldexp_f32 v7, v9, v7
	s_delay_alu instid0(VALU_DEP_1) | instskip(NEXT) | instid1(VALU_DEP_1)
	v_bfe_u32 v9, v7, 16, 1
	v_add3_u32 v7, v7, v9, 0x7fff
	s_delay_alu instid0(VALU_DEP_1)
	v_lshrrev_b32_e32 v18, 16, v7
	s_branch .LBB167_3092
.LBB167_3090:
	s_mov_b32 s16, -1
                                        ; implicit-def: $vgpr18
.LBB167_3091:
	s_mov_b32 s19, 0
.LBB167_3092:
	s_delay_alu instid0(SALU_CYCLE_1)
	s_and_b32 vcc_lo, exec_lo, s19
	s_cbranch_vccz .LBB167_3110
; %bb.3093:
	s_cmp_lt_i32 s14, 27
	s_cbranch_scc1 .LBB167_3096
; %bb.3094:
	s_cmp_gt_i32 s14, 27
	s_cbranch_scc0 .LBB167_3097
; %bb.3095:
	global_load_b32 v7, v[16:17], off
	s_mov_b32 s18, 0
	s_wait_loadcnt 0x0
	v_cvt_f32_u32_e32 v7, v7
	s_delay_alu instid0(VALU_DEP_1) | instskip(NEXT) | instid1(VALU_DEP_1)
	v_bfe_u32 v9, v7, 16, 1
	v_add3_u32 v7, v7, v9, 0x7fff
	s_wait_xcnt 0x1
	s_delay_alu instid0(VALU_DEP_1)
	v_lshrrev_b32_e32 v18, 16, v7
	s_branch .LBB167_3098
.LBB167_3096:
	s_mov_b32 s18, -1
                                        ; implicit-def: $vgpr18
	s_branch .LBB167_3101
.LBB167_3097:
	s_mov_b32 s18, -1
                                        ; implicit-def: $vgpr18
.LBB167_3098:
	s_delay_alu instid0(SALU_CYCLE_1)
	s_and_not1_b32 vcc_lo, exec_lo, s18
	s_cbranch_vccnz .LBB167_3100
; %bb.3099:
	global_load_u16 v7, v[16:17], off
	s_wait_loadcnt 0x0
	v_cvt_f32_u32_e32 v7, v7
	s_delay_alu instid0(VALU_DEP_1) | instskip(NEXT) | instid1(VALU_DEP_1)
	v_bfe_u32 v9, v7, 16, 1
	v_add3_u32 v7, v7, v9, 0x7fff
	s_wait_xcnt 0x1
	s_delay_alu instid0(VALU_DEP_1)
	v_lshrrev_b32_e32 v18, 16, v7
.LBB167_3100:
	s_mov_b32 s18, 0
.LBB167_3101:
	s_delay_alu instid0(SALU_CYCLE_1)
	s_and_not1_b32 vcc_lo, exec_lo, s18
	s_cbranch_vccnz .LBB167_3109
; %bb.3102:
	global_load_u8 v7, v[16:17], off
	s_mov_b32 s18, 0
	s_mov_b32 s19, exec_lo
	s_wait_loadcnt 0x0
	v_cmpx_lt_i16_e32 0x7f, v7
	s_xor_b32 s19, exec_lo, s19
	s_cbranch_execz .LBB167_3123
; %bb.3103:
	s_mov_b32 s18, -1
	s_mov_b32 s20, exec_lo
	v_cmpx_eq_u16_e32 0x80, v7
; %bb.3104:
	s_xor_b32 s18, exec_lo, -1
; %bb.3105:
	s_or_b32 exec_lo, exec_lo, s20
	s_delay_alu instid0(SALU_CYCLE_1)
	s_and_b32 s18, s18, exec_lo
	s_or_saveexec_b32 s19, s19
	v_mov_b32_e32 v9, 0x7f800001
	s_xor_b32 exec_lo, exec_lo, s19
	s_cbranch_execnz .LBB167_3124
.LBB167_3106:
	s_or_b32 exec_lo, exec_lo, s19
	s_and_saveexec_b32 s19, s18
	s_cbranch_execz .LBB167_3108
.LBB167_3107:
	v_and_b32_e32 v9, 0xffff, v7
	s_delay_alu instid0(VALU_DEP_1) | instskip(SKIP_1) | instid1(VALU_DEP_2)
	v_dual_lshlrev_b32 v7, 24, v7 :: v_dual_bitop2_b32 v11, 7, v9 bitop3:0x40
	v_bfe_u32 v18, v9, 3, 4
	v_and_b32_e32 v7, 0x80000000, v7
	s_delay_alu instid0(VALU_DEP_3) | instskip(NEXT) | instid1(VALU_DEP_3)
	v_clz_i32_u32_e32 v13, v11
	v_cmp_eq_u32_e32 vcc_lo, 0, v18
	s_delay_alu instid0(VALU_DEP_2) | instskip(NEXT) | instid1(VALU_DEP_1)
	v_min_u32_e32 v13, 32, v13
	v_subrev_nc_u32_e32 v15, 28, v13
	v_sub_nc_u32_e32 v13, 29, v13
	s_delay_alu instid0(VALU_DEP_2) | instskip(NEXT) | instid1(VALU_DEP_2)
	v_lshlrev_b32_e32 v9, v15, v9
	v_cndmask_b32_e32 v13, v18, v13, vcc_lo
	s_delay_alu instid0(VALU_DEP_2) | instskip(NEXT) | instid1(VALU_DEP_1)
	v_and_b32_e32 v9, 7, v9
	v_cndmask_b32_e32 v9, v11, v9, vcc_lo
	s_delay_alu instid0(VALU_DEP_3) | instskip(NEXT) | instid1(VALU_DEP_2)
	v_lshl_add_u32 v11, v13, 23, 0x3b800000
	v_lshlrev_b32_e32 v9, 20, v9
	s_delay_alu instid0(VALU_DEP_1)
	v_or3_b32 v9, v7, v11, v9
.LBB167_3108:
	s_or_b32 exec_lo, exec_lo, s19
	s_delay_alu instid0(VALU_DEP_1) | instskip(SKIP_1) | instid1(VALU_DEP_2)
	v_bfe_u32 v7, v9, 16, 1
	v_cmp_o_f32_e32 vcc_lo, v9, v9
	v_add3_u32 v7, v9, v7, 0x7fff
	s_delay_alu instid0(VALU_DEP_1) | instskip(NEXT) | instid1(VALU_DEP_1)
	v_lshrrev_b32_e32 v7, 16, v7
	v_cndmask_b32_e32 v18, 0x7fc0, v7, vcc_lo
.LBB167_3109:
	s_mov_b32 s18, -1
.LBB167_3110:
	s_mov_b32 s19, 0
.LBB167_3111:
	s_delay_alu instid0(SALU_CYCLE_1)
	s_and_b32 vcc_lo, exec_lo, s19
	s_cbranch_vccz .LBB167_3144
; %bb.3112:
	s_cmp_gt_i32 s14, 22
	s_cbranch_scc0 .LBB167_3122
; %bb.3113:
	s_cmp_lt_i32 s14, 24
	s_cbranch_scc1 .LBB167_3125
; %bb.3114:
	s_cmp_gt_i32 s14, 24
	s_cbranch_scc0 .LBB167_3126
; %bb.3115:
	global_load_u8 v7, v[16:17], off
	s_mov_b32 s18, exec_lo
	s_wait_loadcnt 0x0
	v_cmpx_lt_i16_e32 0x7f, v7
	s_xor_b32 s18, exec_lo, s18
	s_cbranch_execz .LBB167_3138
; %bb.3116:
	s_mov_b32 s17, -1
	s_mov_b32 s19, exec_lo
	v_cmpx_eq_u16_e32 0x80, v7
; %bb.3117:
	s_xor_b32 s17, exec_lo, -1
; %bb.3118:
	s_or_b32 exec_lo, exec_lo, s19
	s_delay_alu instid0(SALU_CYCLE_1)
	s_and_b32 s17, s17, exec_lo
	s_or_saveexec_b32 s18, s18
	v_mov_b32_e32 v9, 0x7f800001
	s_xor_b32 exec_lo, exec_lo, s18
	s_cbranch_execnz .LBB167_3139
.LBB167_3119:
	s_or_b32 exec_lo, exec_lo, s18
	s_and_saveexec_b32 s18, s17
	s_cbranch_execz .LBB167_3121
.LBB167_3120:
	v_and_b32_e32 v9, 0xffff, v7
	s_delay_alu instid0(VALU_DEP_1) | instskip(SKIP_1) | instid1(VALU_DEP_2)
	v_dual_lshlrev_b32 v7, 24, v7 :: v_dual_bitop2_b32 v11, 3, v9 bitop3:0x40
	v_bfe_u32 v18, v9, 2, 5
	v_and_b32_e32 v7, 0x80000000, v7
	s_delay_alu instid0(VALU_DEP_3) | instskip(NEXT) | instid1(VALU_DEP_3)
	v_clz_i32_u32_e32 v13, v11
	v_cmp_eq_u32_e32 vcc_lo, 0, v18
	s_delay_alu instid0(VALU_DEP_2) | instskip(NEXT) | instid1(VALU_DEP_1)
	v_min_u32_e32 v13, 32, v13
	v_subrev_nc_u32_e32 v15, 29, v13
	v_sub_nc_u32_e32 v13, 30, v13
	s_delay_alu instid0(VALU_DEP_2) | instskip(NEXT) | instid1(VALU_DEP_2)
	v_lshlrev_b32_e32 v9, v15, v9
	v_cndmask_b32_e32 v13, v18, v13, vcc_lo
	s_delay_alu instid0(VALU_DEP_2) | instskip(NEXT) | instid1(VALU_DEP_1)
	v_and_b32_e32 v9, 3, v9
	v_cndmask_b32_e32 v9, v11, v9, vcc_lo
	s_delay_alu instid0(VALU_DEP_3) | instskip(NEXT) | instid1(VALU_DEP_2)
	v_lshl_add_u32 v11, v13, 23, 0x37800000
	v_lshlrev_b32_e32 v9, 21, v9
	s_delay_alu instid0(VALU_DEP_1)
	v_or3_b32 v9, v7, v11, v9
.LBB167_3121:
	s_or_b32 exec_lo, exec_lo, s18
	s_delay_alu instid0(VALU_DEP_1) | instskip(SKIP_2) | instid1(VALU_DEP_2)
	v_bfe_u32 v7, v9, 16, 1
	v_cmp_o_f32_e32 vcc_lo, v9, v9
	s_mov_b32 s17, 0
	v_add3_u32 v7, v9, v7, 0x7fff
	s_delay_alu instid0(VALU_DEP_1) | instskip(NEXT) | instid1(VALU_DEP_1)
	v_lshrrev_b32_e32 v7, 16, v7
	v_cndmask_b32_e32 v18, 0x7fc0, v7, vcc_lo
	s_branch .LBB167_3127
.LBB167_3122:
	s_mov_b32 s17, -1
                                        ; implicit-def: $vgpr18
	s_branch .LBB167_3133
.LBB167_3123:
	s_or_saveexec_b32 s19, s19
	v_mov_b32_e32 v9, 0x7f800001
	s_xor_b32 exec_lo, exec_lo, s19
	s_cbranch_execz .LBB167_3106
.LBB167_3124:
	v_cmp_ne_u16_e32 vcc_lo, 0, v7
	v_mov_b32_e32 v9, 0
	s_and_not1_b32 s18, s18, exec_lo
	s_and_b32 s20, vcc_lo, exec_lo
	s_delay_alu instid0(SALU_CYCLE_1)
	s_or_b32 s18, s18, s20
	s_or_b32 exec_lo, exec_lo, s19
	s_and_saveexec_b32 s19, s18
	s_cbranch_execnz .LBB167_3107
	s_branch .LBB167_3108
.LBB167_3125:
	s_mov_b32 s17, -1
                                        ; implicit-def: $vgpr18
	s_branch .LBB167_3130
.LBB167_3126:
	s_mov_b32 s17, -1
                                        ; implicit-def: $vgpr18
.LBB167_3127:
	s_delay_alu instid0(SALU_CYCLE_1)
	s_and_b32 vcc_lo, exec_lo, s17
	s_cbranch_vccz .LBB167_3129
; %bb.3128:
	global_load_u8 v7, v[16:17], off
	s_wait_loadcnt 0x0
	v_lshlrev_b32_e32 v7, 24, v7
	s_delay_alu instid0(VALU_DEP_1) | instskip(NEXT) | instid1(VALU_DEP_1)
	v_and_b32_e32 v9, 0x7f000000, v7
	v_clz_i32_u32_e32 v11, v9
	v_add_nc_u32_e32 v15, 0x1000000, v9
	v_cmp_ne_u32_e32 vcc_lo, 0, v9
	s_delay_alu instid0(VALU_DEP_3) | instskip(NEXT) | instid1(VALU_DEP_1)
	v_min_u32_e32 v11, 32, v11
	v_sub_nc_u32_e64 v11, v11, 4 clamp
	s_delay_alu instid0(VALU_DEP_1) | instskip(NEXT) | instid1(VALU_DEP_1)
	v_dual_lshlrev_b32 v13, v11, v9 :: v_dual_lshlrev_b32 v11, 23, v11
	v_lshrrev_b32_e32 v13, 4, v13
	s_delay_alu instid0(VALU_DEP_1) | instskip(SKIP_1) | instid1(VALU_DEP_2)
	v_sub_nc_u32_e32 v11, v13, v11
	v_ashrrev_i32_e32 v13, 8, v15
	v_add_nc_u32_e32 v11, 0x3c000000, v11
	s_delay_alu instid0(VALU_DEP_1) | instskip(NEXT) | instid1(VALU_DEP_1)
	v_and_or_b32 v11, 0x7f800000, v13, v11
	v_cndmask_b32_e32 v9, 0, v11, vcc_lo
	s_delay_alu instid0(VALU_DEP_1) | instskip(SKIP_1) | instid1(VALU_DEP_2)
	v_and_or_b32 v7, 0x80000000, v7, v9
	v_bfe_u32 v9, v9, 16, 1
	v_cmp_o_f32_e32 vcc_lo, v7, v7
	s_delay_alu instid0(VALU_DEP_2) | instskip(NEXT) | instid1(VALU_DEP_1)
	v_add3_u32 v9, v7, v9, 0x7fff
	v_lshrrev_b32_e32 v9, 16, v9
	s_wait_xcnt 0x1
	s_delay_alu instid0(VALU_DEP_1)
	v_cndmask_b32_e32 v18, 0x7fc0, v9, vcc_lo
.LBB167_3129:
	s_mov_b32 s17, 0
.LBB167_3130:
	s_delay_alu instid0(SALU_CYCLE_1)
	s_and_not1_b32 vcc_lo, exec_lo, s17
	s_cbranch_vccnz .LBB167_3132
; %bb.3131:
	global_load_u8 v7, v[16:17], off
	s_wait_loadcnt 0x0
	v_lshlrev_b32_e32 v9, 25, v7
	v_lshlrev_b16 v7, 8, v7
	s_delay_alu instid0(VALU_DEP_1) | instskip(SKIP_1) | instid1(VALU_DEP_2)
	v_and_or_b32 v13, 0x7f00, v7, 0.5
	v_bfe_i32 v7, v7, 0, 16
	v_add_f32_e32 v13, -0.5, v13
	v_lshrrev_b32_e32 v11, 4, v9
	v_cmp_gt_u32_e32 vcc_lo, 0x8000000, v9
	s_delay_alu instid0(VALU_DEP_2) | instskip(NEXT) | instid1(VALU_DEP_1)
	v_or_b32_e32 v11, 0x70000000, v11
	v_mul_f32_e32 v11, 0x7800000, v11
	s_delay_alu instid0(VALU_DEP_1) | instskip(NEXT) | instid1(VALU_DEP_1)
	v_cndmask_b32_e32 v9, v11, v13, vcc_lo
	v_and_or_b32 v7, 0x80000000, v7, v9
	v_bfe_u32 v9, v9, 16, 1
	s_delay_alu instid0(VALU_DEP_2) | instskip(NEXT) | instid1(VALU_DEP_2)
	v_cmp_o_f32_e32 vcc_lo, v7, v7
	v_add3_u32 v9, v7, v9, 0x7fff
	s_delay_alu instid0(VALU_DEP_1) | instskip(SKIP_1) | instid1(VALU_DEP_1)
	v_lshrrev_b32_e32 v9, 16, v9
	s_wait_xcnt 0x1
	v_cndmask_b32_e32 v18, 0x7fc0, v9, vcc_lo
.LBB167_3132:
	s_mov_b32 s17, 0
	s_mov_b32 s18, -1
.LBB167_3133:
	s_and_not1_b32 vcc_lo, exec_lo, s17
	s_mov_b32 s17, 0
	s_cbranch_vccnz .LBB167_3144
; %bb.3134:
	s_cmp_gt_i32 s14, 14
	s_cbranch_scc0 .LBB167_3137
; %bb.3135:
	s_cmp_eq_u32 s14, 15
	s_cbranch_scc0 .LBB167_3140
; %bb.3136:
	s_wait_loadcnt 0x0
	global_load_u16 v18, v[16:17], off
	s_mov_b32 s16, 0
	s_mov_b32 s18, -1
	s_branch .LBB167_3142
.LBB167_3137:
	s_mov_b32 s17, -1
	s_branch .LBB167_3141
.LBB167_3138:
	s_or_saveexec_b32 s18, s18
	v_mov_b32_e32 v9, 0x7f800001
	s_xor_b32 exec_lo, exec_lo, s18
	s_cbranch_execz .LBB167_3119
.LBB167_3139:
	v_cmp_ne_u16_e32 vcc_lo, 0, v7
	v_mov_b32_e32 v9, 0
	s_and_not1_b32 s17, s17, exec_lo
	s_and_b32 s19, vcc_lo, exec_lo
	s_delay_alu instid0(SALU_CYCLE_1)
	s_or_b32 s17, s17, s19
	s_or_b32 exec_lo, exec_lo, s18
	s_and_saveexec_b32 s18, s17
	s_cbranch_execnz .LBB167_3120
	s_branch .LBB167_3121
.LBB167_3140:
	s_mov_b32 s16, -1
.LBB167_3141:
                                        ; implicit-def: $vgpr18
.LBB167_3142:
	s_and_b32 vcc_lo, exec_lo, s17
	s_mov_b32 s17, 0
	s_cbranch_vccz .LBB167_3144
; %bb.3143:
	s_cmp_lg_u32 s14, 11
	s_mov_b32 s17, -1
	s_cselect_b32 s16, -1, 0
.LBB167_3144:
	s_delay_alu instid0(SALU_CYCLE_1)
	s_and_b32 vcc_lo, exec_lo, s16
	s_cbranch_vccnz .LBB167_3209
; %bb.3145:
	s_and_not1_b32 vcc_lo, exec_lo, s17
	s_cbranch_vccnz .LBB167_3147
.LBB167_3146:
	global_load_u8 v7, v[16:17], off
	s_mov_b32 s18, -1
	s_wait_loadcnt 0x0
	v_cmp_ne_u16_e32 vcc_lo, 0, v7
	v_cndmask_b32_e64 v7, 0, 1.0, vcc_lo
	s_wait_xcnt 0x1
	s_delay_alu instid0(VALU_DEP_1)
	v_lshrrev_b32_e32 v18, 16, v7
.LBB167_3147:
	s_mov_b32 s16, 0
.LBB167_3148:
	s_delay_alu instid0(SALU_CYCLE_1)
	s_and_b32 vcc_lo, exec_lo, s16
	s_cbranch_vccz .LBB167_3197
; %bb.3149:
	s_cmp_lt_i32 s14, 5
	s_cbranch_scc1 .LBB167_3154
; %bb.3150:
	s_cmp_lt_i32 s14, 8
	s_cbranch_scc1 .LBB167_3155
	;; [unrolled: 3-line block ×3, first 2 shown]
; %bb.3152:
	s_cmp_gt_i32 s14, 9
	s_cbranch_scc0 .LBB167_3157
; %bb.3153:
	s_wait_loadcnt 0x0
	global_load_b64 v[18:19], v[16:17], off
	s_mov_b32 s16, 0
	s_wait_loadcnt 0x0
	v_cvt_f32_f64_e32 v7, v[18:19]
	s_delay_alu instid0(VALU_DEP_1) | instskip(SKIP_1) | instid1(VALU_DEP_2)
	v_bfe_u32 v9, v7, 16, 1
	v_cmp_o_f32_e32 vcc_lo, v7, v7
	v_add3_u32 v9, v7, v9, 0x7fff
	s_delay_alu instid0(VALU_DEP_1) | instskip(NEXT) | instid1(VALU_DEP_1)
	v_lshrrev_b32_e32 v9, 16, v9
	v_cndmask_b32_e32 v18, 0x7fc0, v9, vcc_lo
	s_branch .LBB167_3158
.LBB167_3154:
	s_mov_b32 s16, -1
                                        ; implicit-def: $vgpr18
	s_branch .LBB167_3176
.LBB167_3155:
	s_mov_b32 s16, -1
                                        ; implicit-def: $vgpr18
	s_branch .LBB167_3164
.LBB167_3156:
	s_mov_b32 s16, -1
                                        ; implicit-def: $vgpr18
	s_branch .LBB167_3161
.LBB167_3157:
	s_mov_b32 s16, -1
                                        ; implicit-def: $vgpr18
.LBB167_3158:
	s_delay_alu instid0(SALU_CYCLE_1)
	s_and_not1_b32 vcc_lo, exec_lo, s16
	s_cbranch_vccnz .LBB167_3160
; %bb.3159:
	global_load_b32 v7, v[16:17], off
	s_wait_loadcnt 0x0
	v_bfe_u32 v9, v7, 16, 1
	v_cmp_o_f32_e32 vcc_lo, v7, v7
	s_delay_alu instid0(VALU_DEP_2) | instskip(NEXT) | instid1(VALU_DEP_1)
	v_add3_u32 v9, v7, v9, 0x7fff
	v_lshrrev_b32_e32 v9, 16, v9
	s_wait_xcnt 0x1
	s_delay_alu instid0(VALU_DEP_1)
	v_cndmask_b32_e32 v18, 0x7fc0, v9, vcc_lo
.LBB167_3160:
	s_mov_b32 s16, 0
.LBB167_3161:
	s_delay_alu instid0(SALU_CYCLE_1)
	s_and_not1_b32 vcc_lo, exec_lo, s16
	s_cbranch_vccnz .LBB167_3163
; %bb.3162:
	global_load_b32 v7, v[16:17], off
	s_wait_loadcnt 0x0
	v_cvt_f32_f16_e32 v9, v7
	v_cmp_o_f16_e32 vcc_lo, v7, v7
	s_delay_alu instid0(VALU_DEP_2) | instskip(NEXT) | instid1(VALU_DEP_1)
	v_bfe_u32 v11, v9, 16, 1
	v_add3_u32 v9, v9, v11, 0x7fff
	s_delay_alu instid0(VALU_DEP_1) | instskip(SKIP_1) | instid1(VALU_DEP_1)
	v_lshrrev_b32_e32 v9, 16, v9
	s_wait_xcnt 0x1
	v_cndmask_b32_e32 v18, 0x7fc0, v9, vcc_lo
.LBB167_3163:
	s_mov_b32 s16, 0
.LBB167_3164:
	s_delay_alu instid0(SALU_CYCLE_1)
	s_and_not1_b32 vcc_lo, exec_lo, s16
	s_cbranch_vccnz .LBB167_3175
; %bb.3165:
	s_cmp_lt_i32 s14, 6
	s_cbranch_scc1 .LBB167_3168
; %bb.3166:
	s_cmp_gt_i32 s14, 6
	s_cbranch_scc0 .LBB167_3169
; %bb.3167:
	s_wait_loadcnt 0x0
	global_load_b64 v[18:19], v[16:17], off
	s_mov_b32 s16, 0
	s_wait_loadcnt 0x0
	v_cvt_f32_f64_e32 v7, v[18:19]
	s_delay_alu instid0(VALU_DEP_1) | instskip(SKIP_1) | instid1(VALU_DEP_2)
	v_bfe_u32 v9, v7, 16, 1
	v_cmp_o_f32_e32 vcc_lo, v7, v7
	v_add3_u32 v9, v7, v9, 0x7fff
	s_delay_alu instid0(VALU_DEP_1) | instskip(NEXT) | instid1(VALU_DEP_1)
	v_lshrrev_b32_e32 v9, 16, v9
	v_cndmask_b32_e32 v18, 0x7fc0, v9, vcc_lo
	s_branch .LBB167_3170
.LBB167_3168:
	s_mov_b32 s16, -1
                                        ; implicit-def: $vgpr18
	s_branch .LBB167_3173
.LBB167_3169:
	s_mov_b32 s16, -1
                                        ; implicit-def: $vgpr18
.LBB167_3170:
	s_delay_alu instid0(SALU_CYCLE_1)
	s_and_not1_b32 vcc_lo, exec_lo, s16
	s_cbranch_vccnz .LBB167_3172
; %bb.3171:
	global_load_b32 v7, v[16:17], off
	s_wait_loadcnt 0x0
	v_bfe_u32 v9, v7, 16, 1
	v_cmp_o_f32_e32 vcc_lo, v7, v7
	s_delay_alu instid0(VALU_DEP_2) | instskip(NEXT) | instid1(VALU_DEP_1)
	v_add3_u32 v9, v7, v9, 0x7fff
	v_lshrrev_b32_e32 v9, 16, v9
	s_wait_xcnt 0x1
	s_delay_alu instid0(VALU_DEP_1)
	v_cndmask_b32_e32 v18, 0x7fc0, v9, vcc_lo
.LBB167_3172:
	s_mov_b32 s16, 0
.LBB167_3173:
	s_delay_alu instid0(SALU_CYCLE_1)
	s_and_not1_b32 vcc_lo, exec_lo, s16
	s_cbranch_vccnz .LBB167_3175
; %bb.3174:
	global_load_u16 v7, v[16:17], off
	s_wait_loadcnt 0x0
	v_cvt_f32_f16_e32 v9, v7
	v_cmp_o_f16_e32 vcc_lo, v7, v7
	s_delay_alu instid0(VALU_DEP_2) | instskip(NEXT) | instid1(VALU_DEP_1)
	v_bfe_u32 v11, v9, 16, 1
	v_add3_u32 v9, v9, v11, 0x7fff
	s_delay_alu instid0(VALU_DEP_1) | instskip(SKIP_1) | instid1(VALU_DEP_1)
	v_lshrrev_b32_e32 v9, 16, v9
	s_wait_xcnt 0x1
	v_cndmask_b32_e32 v18, 0x7fc0, v9, vcc_lo
.LBB167_3175:
	s_mov_b32 s16, 0
.LBB167_3176:
	s_delay_alu instid0(SALU_CYCLE_1)
	s_and_not1_b32 vcc_lo, exec_lo, s16
	s_cbranch_vccnz .LBB167_3196
; %bb.3177:
	s_cmp_lt_i32 s14, 2
	s_cbranch_scc1 .LBB167_3181
; %bb.3178:
	s_cmp_lt_i32 s14, 3
	s_cbranch_scc1 .LBB167_3182
; %bb.3179:
	s_cmp_gt_i32 s14, 3
	s_cbranch_scc0 .LBB167_3183
; %bb.3180:
	s_wait_loadcnt 0x0
	global_load_b64 v[18:19], v[16:17], off
	s_mov_b32 s16, 0
	s_wait_loadcnt 0x0
	v_xor_b32_e32 v7, v18, v19
	v_cls_i32_e32 v9, v19
	s_delay_alu instid0(VALU_DEP_2) | instskip(NEXT) | instid1(VALU_DEP_1)
	v_ashrrev_i32_e32 v7, 31, v7
	v_add_nc_u32_e32 v7, 32, v7
	s_delay_alu instid0(VALU_DEP_1) | instskip(NEXT) | instid1(VALU_DEP_1)
	v_add_min_u32_e64 v7, v9, -1, v7
	v_lshlrev_b64_e32 v[18:19], v7, v[18:19]
	v_sub_nc_u32_e32 v7, 32, v7
	s_delay_alu instid0(VALU_DEP_2) | instskip(NEXT) | instid1(VALU_DEP_1)
	v_min_u32_e32 v9, 1, v18
	v_or_b32_e32 v9, v19, v9
	s_delay_alu instid0(VALU_DEP_1) | instskip(NEXT) | instid1(VALU_DEP_1)
	v_cvt_f32_i32_e32 v9, v9
	v_ldexp_f32 v7, v9, v7
	s_delay_alu instid0(VALU_DEP_1) | instskip(NEXT) | instid1(VALU_DEP_1)
	v_bfe_u32 v9, v7, 16, 1
	v_add3_u32 v7, v7, v9, 0x7fff
	s_delay_alu instid0(VALU_DEP_1)
	v_lshrrev_b32_e32 v18, 16, v7
	s_branch .LBB167_3184
.LBB167_3181:
	s_mov_b32 s16, -1
                                        ; implicit-def: $vgpr18
	s_branch .LBB167_3190
.LBB167_3182:
	s_mov_b32 s16, -1
                                        ; implicit-def: $vgpr18
	s_branch .LBB167_3187
.LBB167_3183:
	s_mov_b32 s16, -1
                                        ; implicit-def: $vgpr18
.LBB167_3184:
	s_delay_alu instid0(SALU_CYCLE_1)
	s_and_not1_b32 vcc_lo, exec_lo, s16
	s_cbranch_vccnz .LBB167_3186
; %bb.3185:
	global_load_b32 v7, v[16:17], off
	s_wait_loadcnt 0x0
	v_cvt_f32_i32_e32 v7, v7
	s_delay_alu instid0(VALU_DEP_1) | instskip(NEXT) | instid1(VALU_DEP_1)
	v_bfe_u32 v9, v7, 16, 1
	v_add3_u32 v7, v7, v9, 0x7fff
	s_wait_xcnt 0x1
	s_delay_alu instid0(VALU_DEP_1)
	v_lshrrev_b32_e32 v18, 16, v7
.LBB167_3186:
	s_mov_b32 s16, 0
.LBB167_3187:
	s_delay_alu instid0(SALU_CYCLE_1)
	s_and_not1_b32 vcc_lo, exec_lo, s16
	s_cbranch_vccnz .LBB167_3189
; %bb.3188:
	global_load_i16 v7, v[16:17], off
	s_wait_loadcnt 0x0
	v_cvt_f32_i32_e32 v7, v7
	s_delay_alu instid0(VALU_DEP_1) | instskip(NEXT) | instid1(VALU_DEP_1)
	v_bfe_u32 v9, v7, 16, 1
	v_add3_u32 v7, v7, v9, 0x7fff
	s_wait_xcnt 0x1
	s_delay_alu instid0(VALU_DEP_1)
	v_lshrrev_b32_e32 v18, 16, v7
.LBB167_3189:
	s_mov_b32 s16, 0
.LBB167_3190:
	s_delay_alu instid0(SALU_CYCLE_1)
	s_and_not1_b32 vcc_lo, exec_lo, s16
	s_cbranch_vccnz .LBB167_3196
; %bb.3191:
	s_cmp_gt_i32 s14, 0
	s_mov_b32 s16, 0
	s_cbranch_scc0 .LBB167_3193
; %bb.3192:
	global_load_i8 v7, v[16:17], off
	s_wait_loadcnt 0x0
	v_cvt_f32_i32_e32 v7, v7
	s_delay_alu instid0(VALU_DEP_1) | instskip(NEXT) | instid1(VALU_DEP_1)
	v_bfe_u32 v9, v7, 16, 1
	v_add3_u32 v7, v7, v9, 0x7fff
	s_wait_xcnt 0x1
	s_delay_alu instid0(VALU_DEP_1)
	v_lshrrev_b32_e32 v18, 16, v7
	s_branch .LBB167_3194
.LBB167_3193:
	s_mov_b32 s16, -1
                                        ; implicit-def: $vgpr18
.LBB167_3194:
	s_delay_alu instid0(SALU_CYCLE_1)
	s_and_not1_b32 vcc_lo, exec_lo, s16
	s_cbranch_vccnz .LBB167_3196
; %bb.3195:
	global_load_u8 v7, v[16:17], off
	s_wait_loadcnt 0x0
	v_cvt_f32_ubyte0_e32 v7, v7
	s_delay_alu instid0(VALU_DEP_1) | instskip(NEXT) | instid1(VALU_DEP_1)
	v_bfe_u32 v9, v7, 16, 1
	v_add3_u32 v7, v7, v9, 0x7fff
	s_wait_xcnt 0x1
	s_delay_alu instid0(VALU_DEP_1)
	v_lshrrev_b32_e32 v18, 16, v7
.LBB167_3196:
	s_mov_b32 s18, -1
.LBB167_3197:
	s_delay_alu instid0(SALU_CYCLE_1)
	s_and_not1_b32 vcc_lo, exec_lo, s18
	s_cbranch_vccnz .LBB167_4155
; %bb.3198:
	v_mov_b32_e32 v15, 0
	s_cmp_lt_i32 s15, 11
	s_delay_alu instid0(VALU_DEP_1)
	v_add_nc_u64_e32 v[14:15], s[8:9], v[14:15]
	s_cbranch_scc1 .LBB167_3205
; %bb.3199:
	s_cmp_gt_i32 s15, 25
	s_mov_b32 s17, 0
	s_cbranch_scc0 .LBB167_3206
; %bb.3200:
	s_cmp_gt_i32 s15, 28
	s_cbranch_scc0 .LBB167_3207
; %bb.3201:
	s_cmp_gt_i32 s15, 43
	;; [unrolled: 3-line block ×3, first 2 shown]
	s_cbranch_scc0 .LBB167_3210
; %bb.3203:
	s_cmp_eq_u32 s15, 46
	s_mov_b32 s19, 0
	s_cbranch_scc0 .LBB167_3211
; %bb.3204:
	global_load_b32 v16, v[14:15], off
	s_mov_b32 s16, 0
	s_mov_b32 s18, -1
	s_branch .LBB167_3213
.LBB167_3205:
	s_mov_b32 s16, -1
	s_mov_b32 s18, 0
                                        ; implicit-def: $vgpr16
	s_branch .LBB167_3279
.LBB167_3206:
	s_mov_b32 s19, -1
	s_mov_b32 s18, 0
	s_mov_b32 s16, 0
                                        ; implicit-def: $vgpr16
	s_branch .LBB167_3242
.LBB167_3207:
	s_mov_b32 s19, -1
	s_mov_b32 s18, 0
	s_mov_b32 s16, 0
                                        ; implicit-def: $vgpr16
	s_branch .LBB167_3223
.LBB167_3208:
	s_mov_b32 s19, -1
	s_mov_b32 s18, 0
	s_mov_b32 s16, 0
                                        ; implicit-def: $vgpr16
	s_branch .LBB167_3218
.LBB167_3209:
	s_or_b32 s12, s12, exec_lo
	s_trap 2
	s_cbranch_execz .LBB167_3146
	s_branch .LBB167_3147
.LBB167_3210:
	s_mov_b32 s19, -1
	s_mov_b32 s18, 0
	s_mov_b32 s16, 0
	s_branch .LBB167_3212
.LBB167_3211:
	s_mov_b32 s16, -1
	s_mov_b32 s18, 0
.LBB167_3212:
                                        ; implicit-def: $vgpr16
.LBB167_3213:
	s_and_b32 vcc_lo, exec_lo, s19
	s_cbranch_vccz .LBB167_3217
; %bb.3214:
	s_cmp_eq_u32 s15, 44
	s_cbranch_scc0 .LBB167_3216
; %bb.3215:
	global_load_u8 v7, v[14:15], off
	s_mov_b32 s16, 0
	s_mov_b32 s18, -1
	s_wait_loadcnt 0x0
	v_lshlrev_b32_e32 v9, 23, v7
	v_cmp_ne_u32_e32 vcc_lo, 0xff, v7
	s_delay_alu instid0(VALU_DEP_2) | instskip(SKIP_1) | instid1(VALU_DEP_2)
	v_cndmask_b32_e32 v9, 0x7f800001, v9, vcc_lo
	v_cmp_ne_u32_e32 vcc_lo, 0, v7
	v_cndmask_b32_e32 v7, 0x400000, v9, vcc_lo
	s_delay_alu instid0(VALU_DEP_1) | instskip(SKIP_1) | instid1(VALU_DEP_2)
	v_add_nc_u32_e32 v9, 0x7fff, v7
	v_cmp_o_f32_e32 vcc_lo, v7, v7
	v_lshrrev_b32_e32 v9, 16, v9
	s_wait_xcnt 0x1
	s_delay_alu instid0(VALU_DEP_1)
	v_cndmask_b32_e32 v16, 0x7fc0, v9, vcc_lo
	s_branch .LBB167_3217
.LBB167_3216:
	s_mov_b32 s16, -1
                                        ; implicit-def: $vgpr16
.LBB167_3217:
	s_mov_b32 s19, 0
.LBB167_3218:
	s_delay_alu instid0(SALU_CYCLE_1)
	s_and_b32 vcc_lo, exec_lo, s19
	s_cbranch_vccz .LBB167_3222
; %bb.3219:
	s_cmp_eq_u32 s15, 29
	s_cbranch_scc0 .LBB167_3221
; %bb.3220:
	s_wait_loadcnt 0x0
	global_load_b64 v[16:17], v[14:15], off
	s_mov_b32 s16, 0
	s_mov_b32 s18, -1
	s_mov_b32 s19, 0
	s_wait_loadcnt 0x0
	v_clz_i32_u32_e32 v7, v17
	s_delay_alu instid0(VALU_DEP_1) | instskip(NEXT) | instid1(VALU_DEP_1)
	v_min_u32_e32 v7, 32, v7
	v_lshlrev_b64_e32 v[16:17], v7, v[16:17]
	v_sub_nc_u32_e32 v7, 32, v7
	s_delay_alu instid0(VALU_DEP_2) | instskip(NEXT) | instid1(VALU_DEP_1)
	v_min_u32_e32 v9, 1, v16
	v_or_b32_e32 v9, v17, v9
	s_delay_alu instid0(VALU_DEP_1) | instskip(NEXT) | instid1(VALU_DEP_1)
	v_cvt_f32_u32_e32 v9, v9
	v_ldexp_f32 v7, v9, v7
	s_delay_alu instid0(VALU_DEP_1) | instskip(NEXT) | instid1(VALU_DEP_1)
	v_bfe_u32 v9, v7, 16, 1
	v_add3_u32 v7, v7, v9, 0x7fff
	s_delay_alu instid0(VALU_DEP_1)
	v_lshrrev_b32_e32 v16, 16, v7
	s_branch .LBB167_3223
.LBB167_3221:
	s_mov_b32 s16, -1
                                        ; implicit-def: $vgpr16
.LBB167_3222:
	s_mov_b32 s19, 0
.LBB167_3223:
	s_delay_alu instid0(SALU_CYCLE_1)
	s_and_b32 vcc_lo, exec_lo, s19
	s_cbranch_vccz .LBB167_3241
; %bb.3224:
	s_cmp_lt_i32 s15, 27
	s_cbranch_scc1 .LBB167_3227
; %bb.3225:
	s_cmp_gt_i32 s15, 27
	s_cbranch_scc0 .LBB167_3228
; %bb.3226:
	global_load_b32 v7, v[14:15], off
	s_mov_b32 s18, 0
	s_wait_loadcnt 0x0
	v_cvt_f32_u32_e32 v7, v7
	s_delay_alu instid0(VALU_DEP_1) | instskip(NEXT) | instid1(VALU_DEP_1)
	v_bfe_u32 v9, v7, 16, 1
	v_add3_u32 v7, v7, v9, 0x7fff
	s_wait_xcnt 0x1
	s_delay_alu instid0(VALU_DEP_1)
	v_lshrrev_b32_e32 v16, 16, v7
	s_branch .LBB167_3229
.LBB167_3227:
	s_mov_b32 s18, -1
                                        ; implicit-def: $vgpr16
	s_branch .LBB167_3232
.LBB167_3228:
	s_mov_b32 s18, -1
                                        ; implicit-def: $vgpr16
.LBB167_3229:
	s_delay_alu instid0(SALU_CYCLE_1)
	s_and_not1_b32 vcc_lo, exec_lo, s18
	s_cbranch_vccnz .LBB167_3231
; %bb.3230:
	global_load_u16 v7, v[14:15], off
	s_wait_loadcnt 0x0
	v_cvt_f32_u32_e32 v7, v7
	s_delay_alu instid0(VALU_DEP_1) | instskip(NEXT) | instid1(VALU_DEP_1)
	v_bfe_u32 v9, v7, 16, 1
	v_add3_u32 v7, v7, v9, 0x7fff
	s_wait_xcnt 0x1
	s_delay_alu instid0(VALU_DEP_1)
	v_lshrrev_b32_e32 v16, 16, v7
.LBB167_3231:
	s_mov_b32 s18, 0
.LBB167_3232:
	s_delay_alu instid0(SALU_CYCLE_1)
	s_and_not1_b32 vcc_lo, exec_lo, s18
	s_cbranch_vccnz .LBB167_3240
; %bb.3233:
	global_load_u8 v7, v[14:15], off
	s_mov_b32 s18, 0
	s_mov_b32 s19, exec_lo
	s_wait_loadcnt 0x0
	v_cmpx_lt_i16_e32 0x7f, v7
	s_xor_b32 s19, exec_lo, s19
	s_cbranch_execz .LBB167_3254
; %bb.3234:
	s_mov_b32 s18, -1
	s_mov_b32 s20, exec_lo
	v_cmpx_eq_u16_e32 0x80, v7
; %bb.3235:
	s_xor_b32 s18, exec_lo, -1
; %bb.3236:
	s_or_b32 exec_lo, exec_lo, s20
	s_delay_alu instid0(SALU_CYCLE_1)
	s_and_b32 s18, s18, exec_lo
	s_or_saveexec_b32 s19, s19
	v_mov_b32_e32 v9, 0x7f800001
	s_xor_b32 exec_lo, exec_lo, s19
	s_cbranch_execnz .LBB167_3255
.LBB167_3237:
	s_or_b32 exec_lo, exec_lo, s19
	s_and_saveexec_b32 s19, s18
	s_cbranch_execz .LBB167_3239
.LBB167_3238:
	v_and_b32_e32 v9, 0xffff, v7
	s_delay_alu instid0(VALU_DEP_1) | instskip(SKIP_1) | instid1(VALU_DEP_2)
	v_dual_lshlrev_b32 v7, 24, v7 :: v_dual_bitop2_b32 v11, 7, v9 bitop3:0x40
	v_bfe_u32 v17, v9, 3, 4
	v_and_b32_e32 v7, 0x80000000, v7
	s_delay_alu instid0(VALU_DEP_3) | instskip(NEXT) | instid1(VALU_DEP_3)
	v_clz_i32_u32_e32 v13, v11
	v_cmp_eq_u32_e32 vcc_lo, 0, v17
	s_delay_alu instid0(VALU_DEP_2) | instskip(NEXT) | instid1(VALU_DEP_1)
	v_min_u32_e32 v13, 32, v13
	v_subrev_nc_u32_e32 v16, 28, v13
	v_sub_nc_u32_e32 v13, 29, v13
	s_delay_alu instid0(VALU_DEP_2) | instskip(NEXT) | instid1(VALU_DEP_2)
	v_lshlrev_b32_e32 v9, v16, v9
	v_cndmask_b32_e32 v13, v17, v13, vcc_lo
	s_delay_alu instid0(VALU_DEP_2) | instskip(NEXT) | instid1(VALU_DEP_1)
	v_and_b32_e32 v9, 7, v9
	v_cndmask_b32_e32 v9, v11, v9, vcc_lo
	s_delay_alu instid0(VALU_DEP_3) | instskip(NEXT) | instid1(VALU_DEP_2)
	v_lshl_add_u32 v11, v13, 23, 0x3b800000
	v_lshlrev_b32_e32 v9, 20, v9
	s_delay_alu instid0(VALU_DEP_1)
	v_or3_b32 v9, v7, v11, v9
.LBB167_3239:
	s_or_b32 exec_lo, exec_lo, s19
	s_delay_alu instid0(VALU_DEP_1) | instskip(SKIP_1) | instid1(VALU_DEP_2)
	v_bfe_u32 v7, v9, 16, 1
	v_cmp_o_f32_e32 vcc_lo, v9, v9
	v_add3_u32 v7, v9, v7, 0x7fff
	s_delay_alu instid0(VALU_DEP_1) | instskip(NEXT) | instid1(VALU_DEP_1)
	v_lshrrev_b32_e32 v7, 16, v7
	v_cndmask_b32_e32 v16, 0x7fc0, v7, vcc_lo
.LBB167_3240:
	s_mov_b32 s18, -1
.LBB167_3241:
	s_mov_b32 s19, 0
.LBB167_3242:
	s_delay_alu instid0(SALU_CYCLE_1)
	s_and_b32 vcc_lo, exec_lo, s19
	s_cbranch_vccz .LBB167_3275
; %bb.3243:
	s_cmp_gt_i32 s15, 22
	s_cbranch_scc0 .LBB167_3253
; %bb.3244:
	s_cmp_lt_i32 s15, 24
	s_cbranch_scc1 .LBB167_3256
; %bb.3245:
	s_cmp_gt_i32 s15, 24
	s_cbranch_scc0 .LBB167_3257
; %bb.3246:
	global_load_u8 v7, v[14:15], off
	s_mov_b32 s18, exec_lo
	s_wait_loadcnt 0x0
	v_cmpx_lt_i16_e32 0x7f, v7
	s_xor_b32 s18, exec_lo, s18
	s_cbranch_execz .LBB167_3269
; %bb.3247:
	s_mov_b32 s17, -1
	s_mov_b32 s19, exec_lo
	v_cmpx_eq_u16_e32 0x80, v7
; %bb.3248:
	s_xor_b32 s17, exec_lo, -1
; %bb.3249:
	s_or_b32 exec_lo, exec_lo, s19
	s_delay_alu instid0(SALU_CYCLE_1)
	s_and_b32 s17, s17, exec_lo
	s_or_saveexec_b32 s18, s18
	v_mov_b32_e32 v9, 0x7f800001
	s_xor_b32 exec_lo, exec_lo, s18
	s_cbranch_execnz .LBB167_3270
.LBB167_3250:
	s_or_b32 exec_lo, exec_lo, s18
	s_and_saveexec_b32 s18, s17
	s_cbranch_execz .LBB167_3252
.LBB167_3251:
	v_and_b32_e32 v9, 0xffff, v7
	s_delay_alu instid0(VALU_DEP_1) | instskip(SKIP_1) | instid1(VALU_DEP_2)
	v_dual_lshlrev_b32 v7, 24, v7 :: v_dual_bitop2_b32 v11, 3, v9 bitop3:0x40
	v_bfe_u32 v17, v9, 2, 5
	v_and_b32_e32 v7, 0x80000000, v7
	s_delay_alu instid0(VALU_DEP_3) | instskip(NEXT) | instid1(VALU_DEP_3)
	v_clz_i32_u32_e32 v13, v11
	v_cmp_eq_u32_e32 vcc_lo, 0, v17
	s_delay_alu instid0(VALU_DEP_2) | instskip(NEXT) | instid1(VALU_DEP_1)
	v_min_u32_e32 v13, 32, v13
	v_subrev_nc_u32_e32 v16, 29, v13
	v_sub_nc_u32_e32 v13, 30, v13
	s_delay_alu instid0(VALU_DEP_2) | instskip(NEXT) | instid1(VALU_DEP_2)
	v_lshlrev_b32_e32 v9, v16, v9
	v_cndmask_b32_e32 v13, v17, v13, vcc_lo
	s_delay_alu instid0(VALU_DEP_2) | instskip(NEXT) | instid1(VALU_DEP_1)
	v_and_b32_e32 v9, 3, v9
	v_cndmask_b32_e32 v9, v11, v9, vcc_lo
	s_delay_alu instid0(VALU_DEP_3) | instskip(NEXT) | instid1(VALU_DEP_2)
	v_lshl_add_u32 v11, v13, 23, 0x37800000
	v_lshlrev_b32_e32 v9, 21, v9
	s_delay_alu instid0(VALU_DEP_1)
	v_or3_b32 v9, v7, v11, v9
.LBB167_3252:
	s_or_b32 exec_lo, exec_lo, s18
	s_delay_alu instid0(VALU_DEP_1) | instskip(SKIP_2) | instid1(VALU_DEP_2)
	v_bfe_u32 v7, v9, 16, 1
	v_cmp_o_f32_e32 vcc_lo, v9, v9
	s_mov_b32 s17, 0
	v_add3_u32 v7, v9, v7, 0x7fff
	s_delay_alu instid0(VALU_DEP_1) | instskip(NEXT) | instid1(VALU_DEP_1)
	v_lshrrev_b32_e32 v7, 16, v7
	v_cndmask_b32_e32 v16, 0x7fc0, v7, vcc_lo
	s_branch .LBB167_3258
.LBB167_3253:
	s_mov_b32 s17, -1
                                        ; implicit-def: $vgpr16
	s_branch .LBB167_3264
.LBB167_3254:
	s_or_saveexec_b32 s19, s19
	v_mov_b32_e32 v9, 0x7f800001
	s_xor_b32 exec_lo, exec_lo, s19
	s_cbranch_execz .LBB167_3237
.LBB167_3255:
	v_cmp_ne_u16_e32 vcc_lo, 0, v7
	v_mov_b32_e32 v9, 0
	s_and_not1_b32 s18, s18, exec_lo
	s_and_b32 s20, vcc_lo, exec_lo
	s_delay_alu instid0(SALU_CYCLE_1)
	s_or_b32 s18, s18, s20
	s_or_b32 exec_lo, exec_lo, s19
	s_and_saveexec_b32 s19, s18
	s_cbranch_execnz .LBB167_3238
	s_branch .LBB167_3239
.LBB167_3256:
	s_mov_b32 s17, -1
                                        ; implicit-def: $vgpr16
	s_branch .LBB167_3261
.LBB167_3257:
	s_mov_b32 s17, -1
                                        ; implicit-def: $vgpr16
.LBB167_3258:
	s_delay_alu instid0(SALU_CYCLE_1)
	s_and_b32 vcc_lo, exec_lo, s17
	s_cbranch_vccz .LBB167_3260
; %bb.3259:
	global_load_u8 v7, v[14:15], off
	s_wait_loadcnt 0x0
	v_lshlrev_b32_e32 v7, 24, v7
	s_delay_alu instid0(VALU_DEP_1) | instskip(NEXT) | instid1(VALU_DEP_1)
	v_and_b32_e32 v9, 0x7f000000, v7
	v_clz_i32_u32_e32 v11, v9
	v_cmp_ne_u32_e32 vcc_lo, 0, v9
	s_wait_xcnt 0x1
	v_add_nc_u32_e32 v16, 0x1000000, v9
	s_delay_alu instid0(VALU_DEP_3) | instskip(NEXT) | instid1(VALU_DEP_1)
	v_min_u32_e32 v11, 32, v11
	v_sub_nc_u32_e64 v11, v11, 4 clamp
	s_delay_alu instid0(VALU_DEP_1) | instskip(NEXT) | instid1(VALU_DEP_1)
	v_dual_lshlrev_b32 v13, v11, v9 :: v_dual_lshlrev_b32 v11, 23, v11
	v_lshrrev_b32_e32 v13, 4, v13
	s_delay_alu instid0(VALU_DEP_1) | instskip(NEXT) | instid1(VALU_DEP_1)
	v_dual_sub_nc_u32 v11, v13, v11 :: v_dual_ashrrev_i32 v13, 8, v16
	v_add_nc_u32_e32 v11, 0x3c000000, v11
	s_delay_alu instid0(VALU_DEP_1) | instskip(NEXT) | instid1(VALU_DEP_1)
	v_and_or_b32 v11, 0x7f800000, v13, v11
	v_cndmask_b32_e32 v9, 0, v11, vcc_lo
	s_delay_alu instid0(VALU_DEP_1) | instskip(SKIP_1) | instid1(VALU_DEP_2)
	v_and_or_b32 v7, 0x80000000, v7, v9
	v_bfe_u32 v9, v9, 16, 1
	v_cmp_o_f32_e32 vcc_lo, v7, v7
	s_delay_alu instid0(VALU_DEP_2) | instskip(NEXT) | instid1(VALU_DEP_1)
	v_add3_u32 v9, v7, v9, 0x7fff
	v_lshrrev_b32_e32 v9, 16, v9
	s_delay_alu instid0(VALU_DEP_1)
	v_cndmask_b32_e32 v16, 0x7fc0, v9, vcc_lo
.LBB167_3260:
	s_mov_b32 s17, 0
.LBB167_3261:
	s_delay_alu instid0(SALU_CYCLE_1)
	s_and_not1_b32 vcc_lo, exec_lo, s17
	s_cbranch_vccnz .LBB167_3263
; %bb.3262:
	global_load_u8 v7, v[14:15], off
	s_wait_loadcnt 0x0
	v_lshlrev_b32_e32 v9, 25, v7
	v_lshlrev_b16 v7, 8, v7
	s_delay_alu instid0(VALU_DEP_1) | instskip(SKIP_1) | instid1(VALU_DEP_2)
	v_and_or_b32 v13, 0x7f00, v7, 0.5
	v_bfe_i32 v7, v7, 0, 16
	v_add_f32_e32 v13, -0.5, v13
	v_lshrrev_b32_e32 v11, 4, v9
	v_cmp_gt_u32_e32 vcc_lo, 0x8000000, v9
	s_delay_alu instid0(VALU_DEP_2) | instskip(NEXT) | instid1(VALU_DEP_1)
	v_or_b32_e32 v11, 0x70000000, v11
	v_mul_f32_e32 v11, 0x7800000, v11
	s_delay_alu instid0(VALU_DEP_1) | instskip(NEXT) | instid1(VALU_DEP_1)
	v_cndmask_b32_e32 v9, v11, v13, vcc_lo
	v_and_or_b32 v7, 0x80000000, v7, v9
	v_bfe_u32 v9, v9, 16, 1
	s_delay_alu instid0(VALU_DEP_2) | instskip(NEXT) | instid1(VALU_DEP_2)
	v_cmp_o_f32_e32 vcc_lo, v7, v7
	v_add3_u32 v9, v7, v9, 0x7fff
	s_delay_alu instid0(VALU_DEP_1) | instskip(SKIP_1) | instid1(VALU_DEP_1)
	v_lshrrev_b32_e32 v9, 16, v9
	s_wait_xcnt 0x1
	v_cndmask_b32_e32 v16, 0x7fc0, v9, vcc_lo
.LBB167_3263:
	s_mov_b32 s17, 0
	s_mov_b32 s18, -1
.LBB167_3264:
	s_and_not1_b32 vcc_lo, exec_lo, s17
	s_mov_b32 s17, 0
	s_cbranch_vccnz .LBB167_3275
; %bb.3265:
	s_cmp_gt_i32 s15, 14
	s_cbranch_scc0 .LBB167_3268
; %bb.3266:
	s_cmp_eq_u32 s15, 15
	s_cbranch_scc0 .LBB167_3271
; %bb.3267:
	s_wait_loadcnt 0x0
	global_load_u16 v16, v[14:15], off
	s_mov_b32 s16, 0
	s_mov_b32 s18, -1
	s_branch .LBB167_3273
.LBB167_3268:
	s_mov_b32 s17, -1
	s_branch .LBB167_3272
.LBB167_3269:
	s_or_saveexec_b32 s18, s18
	v_mov_b32_e32 v9, 0x7f800001
	s_xor_b32 exec_lo, exec_lo, s18
	s_cbranch_execz .LBB167_3250
.LBB167_3270:
	v_cmp_ne_u16_e32 vcc_lo, 0, v7
	v_mov_b32_e32 v9, 0
	s_and_not1_b32 s17, s17, exec_lo
	s_and_b32 s19, vcc_lo, exec_lo
	s_delay_alu instid0(SALU_CYCLE_1)
	s_or_b32 s17, s17, s19
	s_or_b32 exec_lo, exec_lo, s18
	s_and_saveexec_b32 s18, s17
	s_cbranch_execnz .LBB167_3251
	s_branch .LBB167_3252
.LBB167_3271:
	s_mov_b32 s16, -1
.LBB167_3272:
                                        ; implicit-def: $vgpr16
.LBB167_3273:
	s_and_b32 vcc_lo, exec_lo, s17
	s_mov_b32 s17, 0
	s_cbranch_vccz .LBB167_3275
; %bb.3274:
	s_cmp_lg_u32 s15, 11
	s_mov_b32 s17, -1
	s_cselect_b32 s16, -1, 0
.LBB167_3275:
	s_delay_alu instid0(SALU_CYCLE_1)
	s_and_b32 vcc_lo, exec_lo, s16
	s_cbranch_vccnz .LBB167_3340
; %bb.3276:
	s_and_not1_b32 vcc_lo, exec_lo, s17
	s_cbranch_vccnz .LBB167_3278
.LBB167_3277:
	global_load_u8 v7, v[14:15], off
	s_mov_b32 s18, -1
	s_wait_loadcnt 0x0
	v_cmp_ne_u16_e32 vcc_lo, 0, v7
	v_cndmask_b32_e64 v7, 0, 1.0, vcc_lo
	s_wait_xcnt 0x1
	s_delay_alu instid0(VALU_DEP_1)
	v_lshrrev_b32_e32 v16, 16, v7
.LBB167_3278:
	s_mov_b32 s16, 0
.LBB167_3279:
	s_delay_alu instid0(SALU_CYCLE_1)
	s_and_b32 vcc_lo, exec_lo, s16
	s_cbranch_vccz .LBB167_3328
; %bb.3280:
	s_cmp_lt_i32 s15, 5
	s_cbranch_scc1 .LBB167_3285
; %bb.3281:
	s_cmp_lt_i32 s15, 8
	s_cbranch_scc1 .LBB167_3286
	;; [unrolled: 3-line block ×3, first 2 shown]
; %bb.3283:
	s_cmp_gt_i32 s15, 9
	s_cbranch_scc0 .LBB167_3288
; %bb.3284:
	s_wait_loadcnt 0x0
	global_load_b64 v[16:17], v[14:15], off
	s_mov_b32 s16, 0
	s_wait_loadcnt 0x0
	v_cvt_f32_f64_e32 v7, v[16:17]
	s_delay_alu instid0(VALU_DEP_1) | instskip(SKIP_1) | instid1(VALU_DEP_2)
	v_bfe_u32 v9, v7, 16, 1
	v_cmp_o_f32_e32 vcc_lo, v7, v7
	v_add3_u32 v9, v7, v9, 0x7fff
	s_delay_alu instid0(VALU_DEP_1) | instskip(NEXT) | instid1(VALU_DEP_1)
	v_lshrrev_b32_e32 v9, 16, v9
	v_cndmask_b32_e32 v16, 0x7fc0, v9, vcc_lo
	s_branch .LBB167_3289
.LBB167_3285:
	s_mov_b32 s16, -1
                                        ; implicit-def: $vgpr16
	s_branch .LBB167_3307
.LBB167_3286:
	s_mov_b32 s16, -1
                                        ; implicit-def: $vgpr16
	s_branch .LBB167_3295
.LBB167_3287:
	s_mov_b32 s16, -1
                                        ; implicit-def: $vgpr16
	s_branch .LBB167_3292
.LBB167_3288:
	s_mov_b32 s16, -1
                                        ; implicit-def: $vgpr16
.LBB167_3289:
	s_delay_alu instid0(SALU_CYCLE_1)
	s_and_not1_b32 vcc_lo, exec_lo, s16
	s_cbranch_vccnz .LBB167_3291
; %bb.3290:
	global_load_b32 v7, v[14:15], off
	s_wait_loadcnt 0x0
	v_bfe_u32 v9, v7, 16, 1
	v_cmp_o_f32_e32 vcc_lo, v7, v7
	s_delay_alu instid0(VALU_DEP_2) | instskip(NEXT) | instid1(VALU_DEP_1)
	v_add3_u32 v9, v7, v9, 0x7fff
	v_lshrrev_b32_e32 v9, 16, v9
	s_wait_xcnt 0x1
	s_delay_alu instid0(VALU_DEP_1)
	v_cndmask_b32_e32 v16, 0x7fc0, v9, vcc_lo
.LBB167_3291:
	s_mov_b32 s16, 0
.LBB167_3292:
	s_delay_alu instid0(SALU_CYCLE_1)
	s_and_not1_b32 vcc_lo, exec_lo, s16
	s_cbranch_vccnz .LBB167_3294
; %bb.3293:
	global_load_b32 v7, v[14:15], off
	s_wait_loadcnt 0x0
	v_cvt_f32_f16_e32 v9, v7
	v_cmp_o_f16_e32 vcc_lo, v7, v7
	s_delay_alu instid0(VALU_DEP_2) | instskip(NEXT) | instid1(VALU_DEP_1)
	v_bfe_u32 v11, v9, 16, 1
	v_add3_u32 v9, v9, v11, 0x7fff
	s_delay_alu instid0(VALU_DEP_1) | instskip(SKIP_1) | instid1(VALU_DEP_1)
	v_lshrrev_b32_e32 v9, 16, v9
	s_wait_xcnt 0x1
	v_cndmask_b32_e32 v16, 0x7fc0, v9, vcc_lo
.LBB167_3294:
	s_mov_b32 s16, 0
.LBB167_3295:
	s_delay_alu instid0(SALU_CYCLE_1)
	s_and_not1_b32 vcc_lo, exec_lo, s16
	s_cbranch_vccnz .LBB167_3306
; %bb.3296:
	s_cmp_lt_i32 s15, 6
	s_cbranch_scc1 .LBB167_3299
; %bb.3297:
	s_cmp_gt_i32 s15, 6
	s_cbranch_scc0 .LBB167_3300
; %bb.3298:
	s_wait_loadcnt 0x0
	global_load_b64 v[16:17], v[14:15], off
	s_mov_b32 s16, 0
	s_wait_loadcnt 0x0
	v_cvt_f32_f64_e32 v7, v[16:17]
	s_delay_alu instid0(VALU_DEP_1) | instskip(SKIP_1) | instid1(VALU_DEP_2)
	v_bfe_u32 v9, v7, 16, 1
	v_cmp_o_f32_e32 vcc_lo, v7, v7
	v_add3_u32 v9, v7, v9, 0x7fff
	s_delay_alu instid0(VALU_DEP_1) | instskip(NEXT) | instid1(VALU_DEP_1)
	v_lshrrev_b32_e32 v9, 16, v9
	v_cndmask_b32_e32 v16, 0x7fc0, v9, vcc_lo
	s_branch .LBB167_3301
.LBB167_3299:
	s_mov_b32 s16, -1
                                        ; implicit-def: $vgpr16
	s_branch .LBB167_3304
.LBB167_3300:
	s_mov_b32 s16, -1
                                        ; implicit-def: $vgpr16
.LBB167_3301:
	s_delay_alu instid0(SALU_CYCLE_1)
	s_and_not1_b32 vcc_lo, exec_lo, s16
	s_cbranch_vccnz .LBB167_3303
; %bb.3302:
	global_load_b32 v7, v[14:15], off
	s_wait_loadcnt 0x0
	v_bfe_u32 v9, v7, 16, 1
	v_cmp_o_f32_e32 vcc_lo, v7, v7
	s_delay_alu instid0(VALU_DEP_2) | instskip(NEXT) | instid1(VALU_DEP_1)
	v_add3_u32 v9, v7, v9, 0x7fff
	v_lshrrev_b32_e32 v9, 16, v9
	s_wait_xcnt 0x1
	s_delay_alu instid0(VALU_DEP_1)
	v_cndmask_b32_e32 v16, 0x7fc0, v9, vcc_lo
.LBB167_3303:
	s_mov_b32 s16, 0
.LBB167_3304:
	s_delay_alu instid0(SALU_CYCLE_1)
	s_and_not1_b32 vcc_lo, exec_lo, s16
	s_cbranch_vccnz .LBB167_3306
; %bb.3305:
	global_load_u16 v7, v[14:15], off
	s_wait_loadcnt 0x0
	v_cvt_f32_f16_e32 v9, v7
	v_cmp_o_f16_e32 vcc_lo, v7, v7
	s_delay_alu instid0(VALU_DEP_2) | instskip(NEXT) | instid1(VALU_DEP_1)
	v_bfe_u32 v11, v9, 16, 1
	v_add3_u32 v9, v9, v11, 0x7fff
	s_delay_alu instid0(VALU_DEP_1) | instskip(SKIP_1) | instid1(VALU_DEP_1)
	v_lshrrev_b32_e32 v9, 16, v9
	s_wait_xcnt 0x1
	v_cndmask_b32_e32 v16, 0x7fc0, v9, vcc_lo
.LBB167_3306:
	s_mov_b32 s16, 0
.LBB167_3307:
	s_delay_alu instid0(SALU_CYCLE_1)
	s_and_not1_b32 vcc_lo, exec_lo, s16
	s_cbranch_vccnz .LBB167_3327
; %bb.3308:
	s_cmp_lt_i32 s15, 2
	s_cbranch_scc1 .LBB167_3312
; %bb.3309:
	s_cmp_lt_i32 s15, 3
	s_cbranch_scc1 .LBB167_3313
; %bb.3310:
	s_cmp_gt_i32 s15, 3
	s_cbranch_scc0 .LBB167_3314
; %bb.3311:
	s_wait_loadcnt 0x0
	global_load_b64 v[16:17], v[14:15], off
	s_mov_b32 s16, 0
	s_wait_loadcnt 0x0
	v_xor_b32_e32 v7, v16, v17
	v_cls_i32_e32 v9, v17
	s_delay_alu instid0(VALU_DEP_2) | instskip(NEXT) | instid1(VALU_DEP_1)
	v_ashrrev_i32_e32 v7, 31, v7
	v_add_nc_u32_e32 v7, 32, v7
	s_delay_alu instid0(VALU_DEP_1) | instskip(NEXT) | instid1(VALU_DEP_1)
	v_add_min_u32_e64 v7, v9, -1, v7
	v_lshlrev_b64_e32 v[16:17], v7, v[16:17]
	v_sub_nc_u32_e32 v7, 32, v7
	s_delay_alu instid0(VALU_DEP_2) | instskip(NEXT) | instid1(VALU_DEP_1)
	v_min_u32_e32 v9, 1, v16
	v_or_b32_e32 v9, v17, v9
	s_delay_alu instid0(VALU_DEP_1) | instskip(NEXT) | instid1(VALU_DEP_1)
	v_cvt_f32_i32_e32 v9, v9
	v_ldexp_f32 v7, v9, v7
	s_delay_alu instid0(VALU_DEP_1) | instskip(NEXT) | instid1(VALU_DEP_1)
	v_bfe_u32 v9, v7, 16, 1
	v_add3_u32 v7, v7, v9, 0x7fff
	s_delay_alu instid0(VALU_DEP_1)
	v_lshrrev_b32_e32 v16, 16, v7
	s_branch .LBB167_3315
.LBB167_3312:
	s_mov_b32 s16, -1
                                        ; implicit-def: $vgpr16
	s_branch .LBB167_3321
.LBB167_3313:
	s_mov_b32 s16, -1
                                        ; implicit-def: $vgpr16
	s_branch .LBB167_3318
.LBB167_3314:
	s_mov_b32 s16, -1
                                        ; implicit-def: $vgpr16
.LBB167_3315:
	s_delay_alu instid0(SALU_CYCLE_1)
	s_and_not1_b32 vcc_lo, exec_lo, s16
	s_cbranch_vccnz .LBB167_3317
; %bb.3316:
	global_load_b32 v7, v[14:15], off
	s_wait_loadcnt 0x0
	v_cvt_f32_i32_e32 v7, v7
	s_delay_alu instid0(VALU_DEP_1) | instskip(NEXT) | instid1(VALU_DEP_1)
	v_bfe_u32 v9, v7, 16, 1
	v_add3_u32 v7, v7, v9, 0x7fff
	s_wait_xcnt 0x1
	s_delay_alu instid0(VALU_DEP_1)
	v_lshrrev_b32_e32 v16, 16, v7
.LBB167_3317:
	s_mov_b32 s16, 0
.LBB167_3318:
	s_delay_alu instid0(SALU_CYCLE_1)
	s_and_not1_b32 vcc_lo, exec_lo, s16
	s_cbranch_vccnz .LBB167_3320
; %bb.3319:
	global_load_i16 v7, v[14:15], off
	s_wait_loadcnt 0x0
	v_cvt_f32_i32_e32 v7, v7
	s_delay_alu instid0(VALU_DEP_1) | instskip(NEXT) | instid1(VALU_DEP_1)
	v_bfe_u32 v9, v7, 16, 1
	v_add3_u32 v7, v7, v9, 0x7fff
	s_wait_xcnt 0x1
	s_delay_alu instid0(VALU_DEP_1)
	v_lshrrev_b32_e32 v16, 16, v7
.LBB167_3320:
	s_mov_b32 s16, 0
.LBB167_3321:
	s_delay_alu instid0(SALU_CYCLE_1)
	s_and_not1_b32 vcc_lo, exec_lo, s16
	s_cbranch_vccnz .LBB167_3327
; %bb.3322:
	s_cmp_gt_i32 s15, 0
	s_mov_b32 s16, 0
	s_cbranch_scc0 .LBB167_3324
; %bb.3323:
	global_load_i8 v7, v[14:15], off
	s_wait_loadcnt 0x0
	v_cvt_f32_i32_e32 v7, v7
	s_delay_alu instid0(VALU_DEP_1) | instskip(NEXT) | instid1(VALU_DEP_1)
	v_bfe_u32 v9, v7, 16, 1
	v_add3_u32 v7, v7, v9, 0x7fff
	s_wait_xcnt 0x1
	s_delay_alu instid0(VALU_DEP_1)
	v_lshrrev_b32_e32 v16, 16, v7
	s_branch .LBB167_3325
.LBB167_3324:
	s_mov_b32 s16, -1
                                        ; implicit-def: $vgpr16
.LBB167_3325:
	s_delay_alu instid0(SALU_CYCLE_1)
	s_and_not1_b32 vcc_lo, exec_lo, s16
	s_cbranch_vccnz .LBB167_3327
; %bb.3326:
	global_load_u8 v7, v[14:15], off
	s_wait_loadcnt 0x0
	v_cvt_f32_ubyte0_e32 v7, v7
	s_delay_alu instid0(VALU_DEP_1) | instskip(NEXT) | instid1(VALU_DEP_1)
	v_bfe_u32 v9, v7, 16, 1
	v_add3_u32 v7, v7, v9, 0x7fff
	s_wait_xcnt 0x1
	s_delay_alu instid0(VALU_DEP_1)
	v_lshrrev_b32_e32 v16, 16, v7
.LBB167_3327:
	s_mov_b32 s18, -1
.LBB167_3328:
	s_delay_alu instid0(SALU_CYCLE_1)
	s_and_not1_b32 vcc_lo, exec_lo, s18
	s_cbranch_vccnz .LBB167_4155
; %bb.3329:
	v_mov_b32_e32 v13, 0
	s_cmp_lt_i32 s13, 11
	s_delay_alu instid0(VALU_DEP_1)
	v_add_nc_u64_e32 v[12:13], s[6:7], v[12:13]
	s_cbranch_scc1 .LBB167_3336
; %bb.3330:
	s_cmp_gt_i32 s13, 25
	s_mov_b32 s7, 0
	s_cbranch_scc0 .LBB167_3337
; %bb.3331:
	s_cmp_gt_i32 s13, 28
	s_cbranch_scc0 .LBB167_3338
; %bb.3332:
	s_cmp_gt_i32 s13, 43
	;; [unrolled: 3-line block ×3, first 2 shown]
	s_cbranch_scc0 .LBB167_3341
; %bb.3334:
	s_cmp_eq_u32 s13, 46
	s_mov_b32 s17, 0
	s_cbranch_scc0 .LBB167_3342
; %bb.3335:
	global_load_b32 v14, v[12:13], off
	s_mov_b32 s6, 0
	s_mov_b32 s16, -1
	s_branch .LBB167_3344
.LBB167_3336:
	s_mov_b32 s6, -1
	s_mov_b32 s16, 0
                                        ; implicit-def: $vgpr14
	s_branch .LBB167_3410
.LBB167_3337:
	s_mov_b32 s17, -1
	s_mov_b32 s16, 0
	s_mov_b32 s6, 0
                                        ; implicit-def: $vgpr14
	s_branch .LBB167_3373
.LBB167_3338:
	s_mov_b32 s17, -1
	s_mov_b32 s16, 0
	s_mov_b32 s6, 0
                                        ; implicit-def: $vgpr14
	s_branch .LBB167_3354
.LBB167_3339:
	s_mov_b32 s17, -1
	s_mov_b32 s16, 0
	s_mov_b32 s6, 0
                                        ; implicit-def: $vgpr14
	s_branch .LBB167_3349
.LBB167_3340:
	s_or_b32 s12, s12, exec_lo
	s_trap 2
	s_cbranch_execz .LBB167_3277
	s_branch .LBB167_3278
.LBB167_3341:
	s_mov_b32 s17, -1
	s_mov_b32 s16, 0
	s_mov_b32 s6, 0
	s_branch .LBB167_3343
.LBB167_3342:
	s_mov_b32 s6, -1
	s_mov_b32 s16, 0
.LBB167_3343:
                                        ; implicit-def: $vgpr14
.LBB167_3344:
	s_and_b32 vcc_lo, exec_lo, s17
	s_cbranch_vccz .LBB167_3348
; %bb.3345:
	s_cmp_eq_u32 s13, 44
	s_cbranch_scc0 .LBB167_3347
; %bb.3346:
	global_load_u8 v7, v[12:13], off
	s_mov_b32 s6, 0
	s_mov_b32 s16, -1
	s_wait_loadcnt 0x0
	v_lshlrev_b32_e32 v9, 23, v7
	v_cmp_ne_u32_e32 vcc_lo, 0xff, v7
	s_delay_alu instid0(VALU_DEP_2) | instskip(SKIP_1) | instid1(VALU_DEP_2)
	v_cndmask_b32_e32 v9, 0x7f800001, v9, vcc_lo
	v_cmp_ne_u32_e32 vcc_lo, 0, v7
	v_cndmask_b32_e32 v7, 0x400000, v9, vcc_lo
	s_delay_alu instid0(VALU_DEP_1) | instskip(SKIP_1) | instid1(VALU_DEP_2)
	v_add_nc_u32_e32 v9, 0x7fff, v7
	v_cmp_o_f32_e32 vcc_lo, v7, v7
	v_lshrrev_b32_e32 v9, 16, v9
	s_wait_xcnt 0x1
	s_delay_alu instid0(VALU_DEP_1)
	v_cndmask_b32_e32 v14, 0x7fc0, v9, vcc_lo
	s_branch .LBB167_3348
.LBB167_3347:
	s_mov_b32 s6, -1
                                        ; implicit-def: $vgpr14
.LBB167_3348:
	s_mov_b32 s17, 0
.LBB167_3349:
	s_delay_alu instid0(SALU_CYCLE_1)
	s_and_b32 vcc_lo, exec_lo, s17
	s_cbranch_vccz .LBB167_3353
; %bb.3350:
	s_cmp_eq_u32 s13, 29
	s_cbranch_scc0 .LBB167_3352
; %bb.3351:
	s_wait_loadcnt 0x0
	global_load_b64 v[14:15], v[12:13], off
	s_mov_b32 s6, 0
	s_mov_b32 s16, -1
	s_mov_b32 s17, 0
	s_wait_loadcnt 0x0
	v_clz_i32_u32_e32 v7, v15
	s_delay_alu instid0(VALU_DEP_1) | instskip(NEXT) | instid1(VALU_DEP_1)
	v_min_u32_e32 v7, 32, v7
	v_lshlrev_b64_e32 v[14:15], v7, v[14:15]
	v_sub_nc_u32_e32 v7, 32, v7
	s_delay_alu instid0(VALU_DEP_2) | instskip(NEXT) | instid1(VALU_DEP_1)
	v_min_u32_e32 v9, 1, v14
	v_or_b32_e32 v9, v15, v9
	s_delay_alu instid0(VALU_DEP_1) | instskip(NEXT) | instid1(VALU_DEP_1)
	v_cvt_f32_u32_e32 v9, v9
	v_ldexp_f32 v7, v9, v7
	s_delay_alu instid0(VALU_DEP_1) | instskip(NEXT) | instid1(VALU_DEP_1)
	v_bfe_u32 v9, v7, 16, 1
	v_add3_u32 v7, v7, v9, 0x7fff
	s_delay_alu instid0(VALU_DEP_1)
	v_lshrrev_b32_e32 v14, 16, v7
	s_branch .LBB167_3354
.LBB167_3352:
	s_mov_b32 s6, -1
                                        ; implicit-def: $vgpr14
.LBB167_3353:
	s_mov_b32 s17, 0
.LBB167_3354:
	s_delay_alu instid0(SALU_CYCLE_1)
	s_and_b32 vcc_lo, exec_lo, s17
	s_cbranch_vccz .LBB167_3372
; %bb.3355:
	s_cmp_lt_i32 s13, 27
	s_cbranch_scc1 .LBB167_3358
; %bb.3356:
	s_cmp_gt_i32 s13, 27
	s_cbranch_scc0 .LBB167_3359
; %bb.3357:
	global_load_b32 v7, v[12:13], off
	s_mov_b32 s16, 0
	s_wait_loadcnt 0x0
	v_cvt_f32_u32_e32 v7, v7
	s_delay_alu instid0(VALU_DEP_1) | instskip(NEXT) | instid1(VALU_DEP_1)
	v_bfe_u32 v9, v7, 16, 1
	v_add3_u32 v7, v7, v9, 0x7fff
	s_wait_xcnt 0x1
	s_delay_alu instid0(VALU_DEP_1)
	v_lshrrev_b32_e32 v14, 16, v7
	s_branch .LBB167_3360
.LBB167_3358:
	s_mov_b32 s16, -1
                                        ; implicit-def: $vgpr14
	s_branch .LBB167_3363
.LBB167_3359:
	s_mov_b32 s16, -1
                                        ; implicit-def: $vgpr14
.LBB167_3360:
	s_delay_alu instid0(SALU_CYCLE_1)
	s_and_not1_b32 vcc_lo, exec_lo, s16
	s_cbranch_vccnz .LBB167_3362
; %bb.3361:
	global_load_u16 v7, v[12:13], off
	s_wait_loadcnt 0x0
	v_cvt_f32_u32_e32 v7, v7
	s_delay_alu instid0(VALU_DEP_1) | instskip(NEXT) | instid1(VALU_DEP_1)
	v_bfe_u32 v9, v7, 16, 1
	v_add3_u32 v7, v7, v9, 0x7fff
	s_wait_xcnt 0x1
	s_delay_alu instid0(VALU_DEP_1)
	v_lshrrev_b32_e32 v14, 16, v7
.LBB167_3362:
	s_mov_b32 s16, 0
.LBB167_3363:
	s_delay_alu instid0(SALU_CYCLE_1)
	s_and_not1_b32 vcc_lo, exec_lo, s16
	s_cbranch_vccnz .LBB167_3371
; %bb.3364:
	global_load_u8 v7, v[12:13], off
	s_mov_b32 s16, 0
	s_mov_b32 s17, exec_lo
	s_wait_loadcnt 0x0
	v_cmpx_lt_i16_e32 0x7f, v7
	s_xor_b32 s17, exec_lo, s17
	s_cbranch_execz .LBB167_3385
; %bb.3365:
	s_mov_b32 s16, -1
	s_mov_b32 s18, exec_lo
	v_cmpx_eq_u16_e32 0x80, v7
; %bb.3366:
	s_xor_b32 s16, exec_lo, -1
; %bb.3367:
	s_or_b32 exec_lo, exec_lo, s18
	s_delay_alu instid0(SALU_CYCLE_1)
	s_and_b32 s16, s16, exec_lo
	s_or_saveexec_b32 s17, s17
	v_mov_b32_e32 v9, 0x7f800001
	s_xor_b32 exec_lo, exec_lo, s17
	s_cbranch_execnz .LBB167_3386
.LBB167_3368:
	s_or_b32 exec_lo, exec_lo, s17
	s_and_saveexec_b32 s17, s16
	s_cbranch_execz .LBB167_3370
.LBB167_3369:
	v_and_b32_e32 v9, 0xffff, v7
	s_delay_alu instid0(VALU_DEP_1) | instskip(SKIP_1) | instid1(VALU_DEP_2)
	v_and_b32_e32 v11, 7, v9
	v_bfe_u32 v17, v9, 3, 4
	v_clz_i32_u32_e32 v14, v11
	s_delay_alu instid0(VALU_DEP_2) | instskip(NEXT) | instid1(VALU_DEP_2)
	v_cmp_eq_u32_e32 vcc_lo, 0, v17
	v_min_u32_e32 v14, 32, v14
	s_delay_alu instid0(VALU_DEP_1) | instskip(NEXT) | instid1(VALU_DEP_1)
	v_subrev_nc_u32_e32 v15, 28, v14
	v_dual_lshlrev_b32 v9, v15, v9 :: v_dual_sub_nc_u32 v14, 29, v14
	s_delay_alu instid0(VALU_DEP_1) | instskip(NEXT) | instid1(VALU_DEP_1)
	v_dual_lshlrev_b32 v7, 24, v7 :: v_dual_bitop2_b32 v9, 7, v9 bitop3:0x40
	v_dual_cndmask_b32 v14, v17, v14 :: v_dual_cndmask_b32 v9, v11, v9
	s_delay_alu instid0(VALU_DEP_2) | instskip(NEXT) | instid1(VALU_DEP_2)
	v_and_b32_e32 v7, 0x80000000, v7
	v_lshl_add_u32 v11, v14, 23, 0x3b800000
	s_delay_alu instid0(VALU_DEP_3) | instskip(NEXT) | instid1(VALU_DEP_1)
	v_lshlrev_b32_e32 v9, 20, v9
	v_or3_b32 v9, v7, v11, v9
.LBB167_3370:
	s_or_b32 exec_lo, exec_lo, s17
	s_delay_alu instid0(VALU_DEP_1) | instskip(SKIP_1) | instid1(VALU_DEP_2)
	v_bfe_u32 v7, v9, 16, 1
	v_cmp_o_f32_e32 vcc_lo, v9, v9
	v_add3_u32 v7, v9, v7, 0x7fff
	s_delay_alu instid0(VALU_DEP_1) | instskip(NEXT) | instid1(VALU_DEP_1)
	v_lshrrev_b32_e32 v7, 16, v7
	v_cndmask_b32_e32 v14, 0x7fc0, v7, vcc_lo
.LBB167_3371:
	s_mov_b32 s16, -1
.LBB167_3372:
	s_mov_b32 s17, 0
.LBB167_3373:
	s_delay_alu instid0(SALU_CYCLE_1)
	s_and_b32 vcc_lo, exec_lo, s17
	s_cbranch_vccz .LBB167_3406
; %bb.3374:
	s_cmp_gt_i32 s13, 22
	s_cbranch_scc0 .LBB167_3384
; %bb.3375:
	s_cmp_lt_i32 s13, 24
	s_cbranch_scc1 .LBB167_3387
; %bb.3376:
	s_cmp_gt_i32 s13, 24
	s_cbranch_scc0 .LBB167_3388
; %bb.3377:
	global_load_u8 v7, v[12:13], off
	s_mov_b32 s16, exec_lo
	s_wait_loadcnt 0x0
	v_cmpx_lt_i16_e32 0x7f, v7
	s_xor_b32 s16, exec_lo, s16
	s_cbranch_execz .LBB167_3400
; %bb.3378:
	s_mov_b32 s7, -1
	s_mov_b32 s17, exec_lo
	v_cmpx_eq_u16_e32 0x80, v7
; %bb.3379:
	s_xor_b32 s7, exec_lo, -1
; %bb.3380:
	s_or_b32 exec_lo, exec_lo, s17
	s_delay_alu instid0(SALU_CYCLE_1)
	s_and_b32 s7, s7, exec_lo
	s_or_saveexec_b32 s16, s16
	v_mov_b32_e32 v9, 0x7f800001
	s_xor_b32 exec_lo, exec_lo, s16
	s_cbranch_execnz .LBB167_3401
.LBB167_3381:
	s_or_b32 exec_lo, exec_lo, s16
	s_and_saveexec_b32 s16, s7
	s_cbranch_execz .LBB167_3383
.LBB167_3382:
	v_and_b32_e32 v9, 0xffff, v7
	s_delay_alu instid0(VALU_DEP_1) | instskip(SKIP_1) | instid1(VALU_DEP_2)
	v_and_b32_e32 v11, 3, v9
	v_bfe_u32 v17, v9, 2, 5
	v_clz_i32_u32_e32 v14, v11
	s_delay_alu instid0(VALU_DEP_2) | instskip(NEXT) | instid1(VALU_DEP_2)
	v_cmp_eq_u32_e32 vcc_lo, 0, v17
	v_min_u32_e32 v14, 32, v14
	s_delay_alu instid0(VALU_DEP_1) | instskip(NEXT) | instid1(VALU_DEP_1)
	v_subrev_nc_u32_e32 v15, 29, v14
	v_dual_lshlrev_b32 v9, v15, v9 :: v_dual_sub_nc_u32 v14, 30, v14
	s_delay_alu instid0(VALU_DEP_1) | instskip(NEXT) | instid1(VALU_DEP_1)
	v_dual_lshlrev_b32 v7, 24, v7 :: v_dual_bitop2_b32 v9, 3, v9 bitop3:0x40
	v_dual_cndmask_b32 v14, v17, v14 :: v_dual_cndmask_b32 v9, v11, v9
	s_delay_alu instid0(VALU_DEP_2) | instskip(NEXT) | instid1(VALU_DEP_2)
	v_and_b32_e32 v7, 0x80000000, v7
	v_lshl_add_u32 v11, v14, 23, 0x37800000
	s_delay_alu instid0(VALU_DEP_3) | instskip(NEXT) | instid1(VALU_DEP_1)
	v_lshlrev_b32_e32 v9, 21, v9
	v_or3_b32 v9, v7, v11, v9
.LBB167_3383:
	s_or_b32 exec_lo, exec_lo, s16
	s_delay_alu instid0(VALU_DEP_1) | instskip(SKIP_2) | instid1(VALU_DEP_2)
	v_bfe_u32 v7, v9, 16, 1
	v_cmp_o_f32_e32 vcc_lo, v9, v9
	s_mov_b32 s7, 0
	v_add3_u32 v7, v9, v7, 0x7fff
	s_delay_alu instid0(VALU_DEP_1) | instskip(NEXT) | instid1(VALU_DEP_1)
	v_lshrrev_b32_e32 v7, 16, v7
	v_cndmask_b32_e32 v14, 0x7fc0, v7, vcc_lo
	s_branch .LBB167_3389
.LBB167_3384:
	s_mov_b32 s7, -1
                                        ; implicit-def: $vgpr14
	s_branch .LBB167_3395
.LBB167_3385:
	s_or_saveexec_b32 s17, s17
	v_mov_b32_e32 v9, 0x7f800001
	s_xor_b32 exec_lo, exec_lo, s17
	s_cbranch_execz .LBB167_3368
.LBB167_3386:
	v_cmp_ne_u16_e32 vcc_lo, 0, v7
	v_mov_b32_e32 v9, 0
	s_and_not1_b32 s16, s16, exec_lo
	s_and_b32 s18, vcc_lo, exec_lo
	s_delay_alu instid0(SALU_CYCLE_1)
	s_or_b32 s16, s16, s18
	s_or_b32 exec_lo, exec_lo, s17
	s_and_saveexec_b32 s17, s16
	s_cbranch_execnz .LBB167_3369
	s_branch .LBB167_3370
.LBB167_3387:
	s_mov_b32 s7, -1
                                        ; implicit-def: $vgpr14
	s_branch .LBB167_3392
.LBB167_3388:
	s_mov_b32 s7, -1
                                        ; implicit-def: $vgpr14
.LBB167_3389:
	s_delay_alu instid0(SALU_CYCLE_1)
	s_and_b32 vcc_lo, exec_lo, s7
	s_cbranch_vccz .LBB167_3391
; %bb.3390:
	global_load_u8 v7, v[12:13], off
	s_wait_loadcnt 0x0
	v_lshlrev_b32_e32 v7, 24, v7
	s_delay_alu instid0(VALU_DEP_1) | instskip(NEXT) | instid1(VALU_DEP_1)
	v_and_b32_e32 v9, 0x7f000000, v7
	v_clz_i32_u32_e32 v11, v9
	s_wait_xcnt 0x1
	v_add_nc_u32_e32 v15, 0x1000000, v9
	v_cmp_ne_u32_e32 vcc_lo, 0, v9
	s_delay_alu instid0(VALU_DEP_3) | instskip(NEXT) | instid1(VALU_DEP_1)
	v_min_u32_e32 v11, 32, v11
	v_sub_nc_u32_e64 v11, v11, 4 clamp
	s_delay_alu instid0(VALU_DEP_1) | instskip(NEXT) | instid1(VALU_DEP_1)
	v_dual_lshlrev_b32 v14, v11, v9 :: v_dual_lshlrev_b32 v11, 23, v11
	v_lshrrev_b32_e32 v14, 4, v14
	s_delay_alu instid0(VALU_DEP_1) | instskip(SKIP_1) | instid1(VALU_DEP_2)
	v_sub_nc_u32_e32 v11, v14, v11
	v_ashrrev_i32_e32 v14, 8, v15
	v_add_nc_u32_e32 v11, 0x3c000000, v11
	s_delay_alu instid0(VALU_DEP_1) | instskip(NEXT) | instid1(VALU_DEP_1)
	v_and_or_b32 v11, 0x7f800000, v14, v11
	v_cndmask_b32_e32 v9, 0, v11, vcc_lo
	s_delay_alu instid0(VALU_DEP_1) | instskip(SKIP_1) | instid1(VALU_DEP_2)
	v_and_or_b32 v7, 0x80000000, v7, v9
	v_bfe_u32 v9, v9, 16, 1
	v_cmp_o_f32_e32 vcc_lo, v7, v7
	s_delay_alu instid0(VALU_DEP_2) | instskip(NEXT) | instid1(VALU_DEP_1)
	v_add3_u32 v9, v7, v9, 0x7fff
	v_lshrrev_b32_e32 v9, 16, v9
	s_delay_alu instid0(VALU_DEP_1)
	v_cndmask_b32_e32 v14, 0x7fc0, v9, vcc_lo
.LBB167_3391:
	s_mov_b32 s7, 0
.LBB167_3392:
	s_delay_alu instid0(SALU_CYCLE_1)
	s_and_not1_b32 vcc_lo, exec_lo, s7
	s_cbranch_vccnz .LBB167_3394
; %bb.3393:
	global_load_u8 v7, v[12:13], off
	s_wait_loadcnt 0x0
	v_lshlrev_b32_e32 v9, 25, v7
	v_lshlrev_b16 v7, 8, v7
	s_wait_xcnt 0x1
	s_delay_alu instid0(VALU_DEP_1) | instskip(SKIP_1) | instid1(VALU_DEP_2)
	v_and_or_b32 v14, 0x7f00, v7, 0.5
	v_bfe_i32 v7, v7, 0, 16
	v_dual_add_f32 v14, -0.5, v14 :: v_dual_lshrrev_b32 v11, 4, v9
	v_cmp_gt_u32_e32 vcc_lo, 0x8000000, v9
	s_delay_alu instid0(VALU_DEP_2) | instskip(NEXT) | instid1(VALU_DEP_1)
	v_or_b32_e32 v11, 0x70000000, v11
	v_mul_f32_e32 v11, 0x7800000, v11
	s_delay_alu instid0(VALU_DEP_1) | instskip(NEXT) | instid1(VALU_DEP_1)
	v_cndmask_b32_e32 v9, v11, v14, vcc_lo
	v_and_or_b32 v7, 0x80000000, v7, v9
	v_bfe_u32 v9, v9, 16, 1
	s_delay_alu instid0(VALU_DEP_2) | instskip(NEXT) | instid1(VALU_DEP_2)
	v_cmp_o_f32_e32 vcc_lo, v7, v7
	v_add3_u32 v9, v7, v9, 0x7fff
	s_delay_alu instid0(VALU_DEP_1) | instskip(NEXT) | instid1(VALU_DEP_1)
	v_lshrrev_b32_e32 v9, 16, v9
	v_cndmask_b32_e32 v14, 0x7fc0, v9, vcc_lo
.LBB167_3394:
	s_mov_b32 s7, 0
	s_mov_b32 s16, -1
.LBB167_3395:
	s_and_not1_b32 vcc_lo, exec_lo, s7
	s_mov_b32 s7, 0
	s_cbranch_vccnz .LBB167_3406
; %bb.3396:
	s_cmp_gt_i32 s13, 14
	s_cbranch_scc0 .LBB167_3399
; %bb.3397:
	s_cmp_eq_u32 s13, 15
	s_cbranch_scc0 .LBB167_3402
; %bb.3398:
	s_wait_loadcnt 0x0
	global_load_u16 v14, v[12:13], off
	s_mov_b32 s6, 0
	s_mov_b32 s16, -1
	s_branch .LBB167_3404
.LBB167_3399:
	s_mov_b32 s7, -1
	s_branch .LBB167_3403
.LBB167_3400:
	s_or_saveexec_b32 s16, s16
	v_mov_b32_e32 v9, 0x7f800001
	s_xor_b32 exec_lo, exec_lo, s16
	s_cbranch_execz .LBB167_3381
.LBB167_3401:
	v_cmp_ne_u16_e32 vcc_lo, 0, v7
	v_mov_b32_e32 v9, 0
	s_and_not1_b32 s7, s7, exec_lo
	s_and_b32 s17, vcc_lo, exec_lo
	s_delay_alu instid0(SALU_CYCLE_1)
	s_or_b32 s7, s7, s17
	s_or_b32 exec_lo, exec_lo, s16
	s_and_saveexec_b32 s16, s7
	s_cbranch_execnz .LBB167_3382
	s_branch .LBB167_3383
.LBB167_3402:
	s_mov_b32 s6, -1
.LBB167_3403:
                                        ; implicit-def: $vgpr14
.LBB167_3404:
	s_and_b32 vcc_lo, exec_lo, s7
	s_mov_b32 s7, 0
	s_cbranch_vccz .LBB167_3406
; %bb.3405:
	s_cmp_lg_u32 s13, 11
	s_mov_b32 s7, -1
	s_cselect_b32 s6, -1, 0
.LBB167_3406:
	s_delay_alu instid0(SALU_CYCLE_1)
	s_and_b32 vcc_lo, exec_lo, s6
	s_cbranch_vccnz .LBB167_3471
; %bb.3407:
	s_and_not1_b32 vcc_lo, exec_lo, s7
	s_cbranch_vccnz .LBB167_3409
.LBB167_3408:
	global_load_u8 v7, v[12:13], off
	s_mov_b32 s16, -1
	s_wait_loadcnt 0x0
	v_cmp_ne_u16_e32 vcc_lo, 0, v7
	v_cndmask_b32_e64 v7, 0, 1.0, vcc_lo
	s_wait_xcnt 0x1
	s_delay_alu instid0(VALU_DEP_1)
	v_lshrrev_b32_e32 v14, 16, v7
.LBB167_3409:
	s_mov_b32 s6, 0
.LBB167_3410:
	s_delay_alu instid0(SALU_CYCLE_1)
	s_and_b32 vcc_lo, exec_lo, s6
	s_cbranch_vccz .LBB167_3459
; %bb.3411:
	s_cmp_lt_i32 s13, 5
	s_cbranch_scc1 .LBB167_3416
; %bb.3412:
	s_cmp_lt_i32 s13, 8
	s_cbranch_scc1 .LBB167_3417
	;; [unrolled: 3-line block ×3, first 2 shown]
; %bb.3414:
	s_cmp_gt_i32 s13, 9
	s_cbranch_scc0 .LBB167_3419
; %bb.3415:
	s_wait_loadcnt 0x0
	global_load_b64 v[14:15], v[12:13], off
	s_mov_b32 s6, 0
	s_wait_loadcnt 0x0
	v_cvt_f32_f64_e32 v7, v[14:15]
	s_delay_alu instid0(VALU_DEP_1) | instskip(SKIP_1) | instid1(VALU_DEP_2)
	v_bfe_u32 v9, v7, 16, 1
	v_cmp_o_f32_e32 vcc_lo, v7, v7
	v_add3_u32 v9, v7, v9, 0x7fff
	s_delay_alu instid0(VALU_DEP_1) | instskip(NEXT) | instid1(VALU_DEP_1)
	v_lshrrev_b32_e32 v9, 16, v9
	v_cndmask_b32_e32 v14, 0x7fc0, v9, vcc_lo
	s_branch .LBB167_3420
.LBB167_3416:
	s_mov_b32 s6, -1
                                        ; implicit-def: $vgpr14
	s_branch .LBB167_3438
.LBB167_3417:
	s_mov_b32 s6, -1
                                        ; implicit-def: $vgpr14
	s_branch .LBB167_3426
.LBB167_3418:
	s_mov_b32 s6, -1
                                        ; implicit-def: $vgpr14
	s_branch .LBB167_3423
.LBB167_3419:
	s_mov_b32 s6, -1
                                        ; implicit-def: $vgpr14
.LBB167_3420:
	s_delay_alu instid0(SALU_CYCLE_1)
	s_and_not1_b32 vcc_lo, exec_lo, s6
	s_cbranch_vccnz .LBB167_3422
; %bb.3421:
	global_load_b32 v7, v[12:13], off
	s_wait_loadcnt 0x0
	v_bfe_u32 v9, v7, 16, 1
	v_cmp_o_f32_e32 vcc_lo, v7, v7
	s_delay_alu instid0(VALU_DEP_2) | instskip(NEXT) | instid1(VALU_DEP_1)
	v_add3_u32 v9, v7, v9, 0x7fff
	v_lshrrev_b32_e32 v9, 16, v9
	s_wait_xcnt 0x1
	s_delay_alu instid0(VALU_DEP_1)
	v_cndmask_b32_e32 v14, 0x7fc0, v9, vcc_lo
.LBB167_3422:
	s_mov_b32 s6, 0
.LBB167_3423:
	s_delay_alu instid0(SALU_CYCLE_1)
	s_and_not1_b32 vcc_lo, exec_lo, s6
	s_cbranch_vccnz .LBB167_3425
; %bb.3424:
	global_load_b32 v7, v[12:13], off
	s_wait_loadcnt 0x0
	v_cvt_f32_f16_e32 v9, v7
	v_cmp_o_f16_e32 vcc_lo, v7, v7
	s_delay_alu instid0(VALU_DEP_2) | instskip(NEXT) | instid1(VALU_DEP_1)
	v_bfe_u32 v11, v9, 16, 1
	v_add3_u32 v9, v9, v11, 0x7fff
	s_delay_alu instid0(VALU_DEP_1) | instskip(SKIP_1) | instid1(VALU_DEP_1)
	v_lshrrev_b32_e32 v9, 16, v9
	s_wait_xcnt 0x1
	v_cndmask_b32_e32 v14, 0x7fc0, v9, vcc_lo
.LBB167_3425:
	s_mov_b32 s6, 0
.LBB167_3426:
	s_delay_alu instid0(SALU_CYCLE_1)
	s_and_not1_b32 vcc_lo, exec_lo, s6
	s_cbranch_vccnz .LBB167_3437
; %bb.3427:
	s_cmp_lt_i32 s13, 6
	s_cbranch_scc1 .LBB167_3430
; %bb.3428:
	s_cmp_gt_i32 s13, 6
	s_cbranch_scc0 .LBB167_3431
; %bb.3429:
	s_wait_loadcnt 0x0
	global_load_b64 v[14:15], v[12:13], off
	s_mov_b32 s6, 0
	s_wait_loadcnt 0x0
	v_cvt_f32_f64_e32 v7, v[14:15]
	s_delay_alu instid0(VALU_DEP_1) | instskip(SKIP_1) | instid1(VALU_DEP_2)
	v_bfe_u32 v9, v7, 16, 1
	v_cmp_o_f32_e32 vcc_lo, v7, v7
	v_add3_u32 v9, v7, v9, 0x7fff
	s_delay_alu instid0(VALU_DEP_1) | instskip(NEXT) | instid1(VALU_DEP_1)
	v_lshrrev_b32_e32 v9, 16, v9
	v_cndmask_b32_e32 v14, 0x7fc0, v9, vcc_lo
	s_branch .LBB167_3432
.LBB167_3430:
	s_mov_b32 s6, -1
                                        ; implicit-def: $vgpr14
	s_branch .LBB167_3435
.LBB167_3431:
	s_mov_b32 s6, -1
                                        ; implicit-def: $vgpr14
.LBB167_3432:
	s_delay_alu instid0(SALU_CYCLE_1)
	s_and_not1_b32 vcc_lo, exec_lo, s6
	s_cbranch_vccnz .LBB167_3434
; %bb.3433:
	global_load_b32 v7, v[12:13], off
	s_wait_loadcnt 0x0
	v_bfe_u32 v9, v7, 16, 1
	v_cmp_o_f32_e32 vcc_lo, v7, v7
	s_delay_alu instid0(VALU_DEP_2) | instskip(NEXT) | instid1(VALU_DEP_1)
	v_add3_u32 v9, v7, v9, 0x7fff
	v_lshrrev_b32_e32 v9, 16, v9
	s_wait_xcnt 0x1
	s_delay_alu instid0(VALU_DEP_1)
	v_cndmask_b32_e32 v14, 0x7fc0, v9, vcc_lo
.LBB167_3434:
	s_mov_b32 s6, 0
.LBB167_3435:
	s_delay_alu instid0(SALU_CYCLE_1)
	s_and_not1_b32 vcc_lo, exec_lo, s6
	s_cbranch_vccnz .LBB167_3437
; %bb.3436:
	global_load_u16 v7, v[12:13], off
	s_wait_loadcnt 0x0
	v_cvt_f32_f16_e32 v9, v7
	v_cmp_o_f16_e32 vcc_lo, v7, v7
	s_delay_alu instid0(VALU_DEP_2) | instskip(NEXT) | instid1(VALU_DEP_1)
	v_bfe_u32 v11, v9, 16, 1
	v_add3_u32 v9, v9, v11, 0x7fff
	s_delay_alu instid0(VALU_DEP_1) | instskip(SKIP_1) | instid1(VALU_DEP_1)
	v_lshrrev_b32_e32 v9, 16, v9
	s_wait_xcnt 0x1
	v_cndmask_b32_e32 v14, 0x7fc0, v9, vcc_lo
.LBB167_3437:
	s_mov_b32 s6, 0
.LBB167_3438:
	s_delay_alu instid0(SALU_CYCLE_1)
	s_and_not1_b32 vcc_lo, exec_lo, s6
	s_cbranch_vccnz .LBB167_3458
; %bb.3439:
	s_cmp_lt_i32 s13, 2
	s_cbranch_scc1 .LBB167_3443
; %bb.3440:
	s_cmp_lt_i32 s13, 3
	s_cbranch_scc1 .LBB167_3444
; %bb.3441:
	s_cmp_gt_i32 s13, 3
	s_cbranch_scc0 .LBB167_3445
; %bb.3442:
	s_wait_loadcnt 0x0
	global_load_b64 v[14:15], v[12:13], off
	s_mov_b32 s6, 0
	s_wait_loadcnt 0x0
	v_xor_b32_e32 v7, v14, v15
	v_cls_i32_e32 v9, v15
	s_delay_alu instid0(VALU_DEP_2) | instskip(NEXT) | instid1(VALU_DEP_1)
	v_ashrrev_i32_e32 v7, 31, v7
	v_add_nc_u32_e32 v7, 32, v7
	s_delay_alu instid0(VALU_DEP_1) | instskip(NEXT) | instid1(VALU_DEP_1)
	v_add_min_u32_e64 v7, v9, -1, v7
	v_lshlrev_b64_e32 v[14:15], v7, v[14:15]
	v_sub_nc_u32_e32 v7, 32, v7
	s_delay_alu instid0(VALU_DEP_2) | instskip(NEXT) | instid1(VALU_DEP_1)
	v_min_u32_e32 v9, 1, v14
	v_or_b32_e32 v9, v15, v9
	s_delay_alu instid0(VALU_DEP_1) | instskip(NEXT) | instid1(VALU_DEP_1)
	v_cvt_f32_i32_e32 v9, v9
	v_ldexp_f32 v7, v9, v7
	s_delay_alu instid0(VALU_DEP_1) | instskip(NEXT) | instid1(VALU_DEP_1)
	v_bfe_u32 v9, v7, 16, 1
	v_add3_u32 v7, v7, v9, 0x7fff
	s_delay_alu instid0(VALU_DEP_1)
	v_lshrrev_b32_e32 v14, 16, v7
	s_branch .LBB167_3446
.LBB167_3443:
	s_mov_b32 s6, -1
                                        ; implicit-def: $vgpr14
	s_branch .LBB167_3452
.LBB167_3444:
	s_mov_b32 s6, -1
                                        ; implicit-def: $vgpr14
	s_branch .LBB167_3449
.LBB167_3445:
	s_mov_b32 s6, -1
                                        ; implicit-def: $vgpr14
.LBB167_3446:
	s_delay_alu instid0(SALU_CYCLE_1)
	s_and_not1_b32 vcc_lo, exec_lo, s6
	s_cbranch_vccnz .LBB167_3448
; %bb.3447:
	global_load_b32 v7, v[12:13], off
	s_wait_loadcnt 0x0
	v_cvt_f32_i32_e32 v7, v7
	s_delay_alu instid0(VALU_DEP_1) | instskip(NEXT) | instid1(VALU_DEP_1)
	v_bfe_u32 v9, v7, 16, 1
	v_add3_u32 v7, v7, v9, 0x7fff
	s_wait_xcnt 0x1
	s_delay_alu instid0(VALU_DEP_1)
	v_lshrrev_b32_e32 v14, 16, v7
.LBB167_3448:
	s_mov_b32 s6, 0
.LBB167_3449:
	s_delay_alu instid0(SALU_CYCLE_1)
	s_and_not1_b32 vcc_lo, exec_lo, s6
	s_cbranch_vccnz .LBB167_3451
; %bb.3450:
	global_load_i16 v7, v[12:13], off
	s_wait_loadcnt 0x0
	v_cvt_f32_i32_e32 v7, v7
	s_delay_alu instid0(VALU_DEP_1) | instskip(NEXT) | instid1(VALU_DEP_1)
	v_bfe_u32 v9, v7, 16, 1
	v_add3_u32 v7, v7, v9, 0x7fff
	s_wait_xcnt 0x1
	s_delay_alu instid0(VALU_DEP_1)
	v_lshrrev_b32_e32 v14, 16, v7
.LBB167_3451:
	s_mov_b32 s6, 0
.LBB167_3452:
	s_delay_alu instid0(SALU_CYCLE_1)
	s_and_not1_b32 vcc_lo, exec_lo, s6
	s_cbranch_vccnz .LBB167_3458
; %bb.3453:
	s_cmp_gt_i32 s13, 0
	s_mov_b32 s6, 0
	s_cbranch_scc0 .LBB167_3455
; %bb.3454:
	global_load_i8 v7, v[12:13], off
	s_wait_loadcnt 0x0
	v_cvt_f32_i32_e32 v7, v7
	s_delay_alu instid0(VALU_DEP_1) | instskip(NEXT) | instid1(VALU_DEP_1)
	v_bfe_u32 v9, v7, 16, 1
	v_add3_u32 v7, v7, v9, 0x7fff
	s_wait_xcnt 0x1
	s_delay_alu instid0(VALU_DEP_1)
	v_lshrrev_b32_e32 v14, 16, v7
	s_branch .LBB167_3456
.LBB167_3455:
	s_mov_b32 s6, -1
                                        ; implicit-def: $vgpr14
.LBB167_3456:
	s_delay_alu instid0(SALU_CYCLE_1)
	s_and_not1_b32 vcc_lo, exec_lo, s6
	s_cbranch_vccnz .LBB167_3458
; %bb.3457:
	global_load_u8 v7, v[12:13], off
	s_wait_loadcnt 0x0
	v_cvt_f32_ubyte0_e32 v7, v7
	s_delay_alu instid0(VALU_DEP_1) | instskip(NEXT) | instid1(VALU_DEP_1)
	v_bfe_u32 v9, v7, 16, 1
	v_add3_u32 v7, v7, v9, 0x7fff
	s_wait_xcnt 0x1
	s_delay_alu instid0(VALU_DEP_1)
	v_lshrrev_b32_e32 v14, 16, v7
.LBB167_3458:
	s_mov_b32 s16, -1
.LBB167_3459:
	s_delay_alu instid0(SALU_CYCLE_1)
	s_and_not1_b32 vcc_lo, exec_lo, s16
	s_cbranch_vccnz .LBB167_4155
; %bb.3460:
	v_mov_b32_e32 v11, 0
	s_cmp_lt_i32 s14, 11
	s_delay_alu instid0(VALU_DEP_1)
	v_add_nc_u64_e32 v[10:11], s[0:1], v[10:11]
	s_cbranch_scc1 .LBB167_3467
; %bb.3461:
	s_cmp_gt_i32 s14, 25
	s_mov_b32 s1, 0
	s_cbranch_scc0 .LBB167_3468
; %bb.3462:
	s_cmp_gt_i32 s14, 28
	s_cbranch_scc0 .LBB167_3469
; %bb.3463:
	s_cmp_gt_i32 s14, 43
	;; [unrolled: 3-line block ×3, first 2 shown]
	s_cbranch_scc0 .LBB167_3472
; %bb.3465:
	s_cmp_eq_u32 s14, 46
	s_mov_b32 s7, 0
	s_cbranch_scc0 .LBB167_3473
; %bb.3466:
	global_load_b32 v12, v[10:11], off
	s_mov_b32 s0, 0
	s_mov_b32 s6, -1
	s_branch .LBB167_3475
.LBB167_3467:
	s_mov_b32 s0, -1
	s_mov_b32 s6, 0
                                        ; implicit-def: $vgpr12
	s_branch .LBB167_3541
.LBB167_3468:
	s_mov_b32 s7, -1
	s_mov_b32 s6, 0
	s_mov_b32 s0, 0
                                        ; implicit-def: $vgpr12
	s_branch .LBB167_3504
.LBB167_3469:
	s_mov_b32 s7, -1
	s_mov_b32 s6, 0
	s_mov_b32 s0, 0
                                        ; implicit-def: $vgpr12
	s_branch .LBB167_3485
.LBB167_3470:
	s_mov_b32 s7, -1
	s_mov_b32 s6, 0
	s_mov_b32 s0, 0
                                        ; implicit-def: $vgpr12
	s_branch .LBB167_3480
.LBB167_3471:
	s_or_b32 s12, s12, exec_lo
	s_trap 2
	s_cbranch_execz .LBB167_3408
	s_branch .LBB167_3409
.LBB167_3472:
	s_mov_b32 s7, -1
	s_mov_b32 s6, 0
	s_mov_b32 s0, 0
	s_branch .LBB167_3474
.LBB167_3473:
	s_mov_b32 s0, -1
	s_mov_b32 s6, 0
.LBB167_3474:
                                        ; implicit-def: $vgpr12
.LBB167_3475:
	s_and_b32 vcc_lo, exec_lo, s7
	s_cbranch_vccz .LBB167_3479
; %bb.3476:
	s_cmp_eq_u32 s14, 44
	s_cbranch_scc0 .LBB167_3478
; %bb.3477:
	global_load_u8 v7, v[10:11], off
	s_mov_b32 s0, 0
	s_mov_b32 s6, -1
	s_wait_loadcnt 0x0
	v_lshlrev_b32_e32 v9, 23, v7
	v_cmp_ne_u32_e32 vcc_lo, 0xff, v7
	s_delay_alu instid0(VALU_DEP_2) | instskip(SKIP_1) | instid1(VALU_DEP_2)
	v_cndmask_b32_e32 v9, 0x7f800001, v9, vcc_lo
	v_cmp_ne_u32_e32 vcc_lo, 0, v7
	v_cndmask_b32_e32 v7, 0x400000, v9, vcc_lo
	s_delay_alu instid0(VALU_DEP_1) | instskip(SKIP_1) | instid1(VALU_DEP_2)
	v_add_nc_u32_e32 v9, 0x7fff, v7
	v_cmp_o_f32_e32 vcc_lo, v7, v7
	v_lshrrev_b32_e32 v9, 16, v9
	s_wait_xcnt 0x1
	s_delay_alu instid0(VALU_DEP_1)
	v_cndmask_b32_e32 v12, 0x7fc0, v9, vcc_lo
	s_branch .LBB167_3479
.LBB167_3478:
	s_mov_b32 s0, -1
                                        ; implicit-def: $vgpr12
.LBB167_3479:
	s_mov_b32 s7, 0
.LBB167_3480:
	s_delay_alu instid0(SALU_CYCLE_1)
	s_and_b32 vcc_lo, exec_lo, s7
	s_cbranch_vccz .LBB167_3484
; %bb.3481:
	s_cmp_eq_u32 s14, 29
	s_cbranch_scc0 .LBB167_3483
; %bb.3482:
	s_wait_loadcnt 0x0
	global_load_b64 v[12:13], v[10:11], off
	s_mov_b32 s0, 0
	s_mov_b32 s6, -1
	s_mov_b32 s7, 0
	s_wait_loadcnt 0x0
	v_clz_i32_u32_e32 v7, v13
	s_delay_alu instid0(VALU_DEP_1) | instskip(NEXT) | instid1(VALU_DEP_1)
	v_min_u32_e32 v7, 32, v7
	v_lshlrev_b64_e32 v[12:13], v7, v[12:13]
	v_sub_nc_u32_e32 v7, 32, v7
	s_delay_alu instid0(VALU_DEP_2) | instskip(NEXT) | instid1(VALU_DEP_1)
	v_min_u32_e32 v9, 1, v12
	v_or_b32_e32 v9, v13, v9
	s_delay_alu instid0(VALU_DEP_1) | instskip(NEXT) | instid1(VALU_DEP_1)
	v_cvt_f32_u32_e32 v9, v9
	v_ldexp_f32 v7, v9, v7
	s_delay_alu instid0(VALU_DEP_1) | instskip(NEXT) | instid1(VALU_DEP_1)
	v_bfe_u32 v9, v7, 16, 1
	v_add3_u32 v7, v7, v9, 0x7fff
	s_delay_alu instid0(VALU_DEP_1)
	v_lshrrev_b32_e32 v12, 16, v7
	s_branch .LBB167_3485
.LBB167_3483:
	s_mov_b32 s0, -1
                                        ; implicit-def: $vgpr12
.LBB167_3484:
	s_mov_b32 s7, 0
.LBB167_3485:
	s_delay_alu instid0(SALU_CYCLE_1)
	s_and_b32 vcc_lo, exec_lo, s7
	s_cbranch_vccz .LBB167_3503
; %bb.3486:
	s_cmp_lt_i32 s14, 27
	s_cbranch_scc1 .LBB167_3489
; %bb.3487:
	s_cmp_gt_i32 s14, 27
	s_cbranch_scc0 .LBB167_3490
; %bb.3488:
	global_load_b32 v7, v[10:11], off
	s_mov_b32 s6, 0
	s_wait_loadcnt 0x0
	v_cvt_f32_u32_e32 v7, v7
	s_delay_alu instid0(VALU_DEP_1) | instskip(NEXT) | instid1(VALU_DEP_1)
	v_bfe_u32 v9, v7, 16, 1
	v_add3_u32 v7, v7, v9, 0x7fff
	s_wait_xcnt 0x1
	s_delay_alu instid0(VALU_DEP_1)
	v_lshrrev_b32_e32 v12, 16, v7
	s_branch .LBB167_3491
.LBB167_3489:
	s_mov_b32 s6, -1
                                        ; implicit-def: $vgpr12
	s_branch .LBB167_3494
.LBB167_3490:
	s_mov_b32 s6, -1
                                        ; implicit-def: $vgpr12
.LBB167_3491:
	s_delay_alu instid0(SALU_CYCLE_1)
	s_and_not1_b32 vcc_lo, exec_lo, s6
	s_cbranch_vccnz .LBB167_3493
; %bb.3492:
	global_load_u16 v7, v[10:11], off
	s_wait_loadcnt 0x0
	v_cvt_f32_u32_e32 v7, v7
	s_delay_alu instid0(VALU_DEP_1) | instskip(NEXT) | instid1(VALU_DEP_1)
	v_bfe_u32 v9, v7, 16, 1
	v_add3_u32 v7, v7, v9, 0x7fff
	s_wait_xcnt 0x1
	s_delay_alu instid0(VALU_DEP_1)
	v_lshrrev_b32_e32 v12, 16, v7
.LBB167_3493:
	s_mov_b32 s6, 0
.LBB167_3494:
	s_delay_alu instid0(SALU_CYCLE_1)
	s_and_not1_b32 vcc_lo, exec_lo, s6
	s_cbranch_vccnz .LBB167_3502
; %bb.3495:
	global_load_u8 v7, v[10:11], off
	s_mov_b32 s6, 0
	s_mov_b32 s7, exec_lo
	s_wait_loadcnt 0x0
	v_cmpx_lt_i16_e32 0x7f, v7
	s_xor_b32 s7, exec_lo, s7
	s_cbranch_execz .LBB167_3516
; %bb.3496:
	s_mov_b32 s6, -1
	s_mov_b32 s13, exec_lo
	v_cmpx_eq_u16_e32 0x80, v7
; %bb.3497:
	s_xor_b32 s6, exec_lo, -1
; %bb.3498:
	s_or_b32 exec_lo, exec_lo, s13
	s_delay_alu instid0(SALU_CYCLE_1)
	s_and_b32 s6, s6, exec_lo
	s_or_saveexec_b32 s7, s7
	v_mov_b32_e32 v9, 0x7f800001
	s_xor_b32 exec_lo, exec_lo, s7
	s_cbranch_execnz .LBB167_3517
.LBB167_3499:
	s_or_b32 exec_lo, exec_lo, s7
	s_and_saveexec_b32 s7, s6
	s_cbranch_execz .LBB167_3501
.LBB167_3500:
	v_and_b32_e32 v9, 0xffff, v7
	s_delay_alu instid0(VALU_DEP_1) | instskip(SKIP_1) | instid1(VALU_DEP_2)
	v_dual_lshlrev_b32 v7, 24, v7 :: v_dual_bitop2_b32 v12, 7, v9 bitop3:0x40
	v_bfe_u32 v17, v9, 3, 4
	v_and_b32_e32 v7, 0x80000000, v7
	s_delay_alu instid0(VALU_DEP_3) | instskip(NEXT) | instid1(VALU_DEP_3)
	v_clz_i32_u32_e32 v13, v12
	v_cmp_eq_u32_e32 vcc_lo, 0, v17
	s_delay_alu instid0(VALU_DEP_2) | instskip(NEXT) | instid1(VALU_DEP_1)
	v_min_u32_e32 v13, 32, v13
	v_subrev_nc_u32_e32 v15, 28, v13
	v_sub_nc_u32_e32 v13, 29, v13
	s_delay_alu instid0(VALU_DEP_2) | instskip(NEXT) | instid1(VALU_DEP_2)
	v_lshlrev_b32_e32 v9, v15, v9
	v_cndmask_b32_e32 v13, v17, v13, vcc_lo
	s_delay_alu instid0(VALU_DEP_2) | instskip(NEXT) | instid1(VALU_DEP_1)
	v_and_b32_e32 v9, 7, v9
	v_cndmask_b32_e32 v9, v12, v9, vcc_lo
	s_delay_alu instid0(VALU_DEP_3) | instskip(NEXT) | instid1(VALU_DEP_2)
	v_lshl_add_u32 v12, v13, 23, 0x3b800000
	v_lshlrev_b32_e32 v9, 20, v9
	s_delay_alu instid0(VALU_DEP_1)
	v_or3_b32 v9, v7, v12, v9
.LBB167_3501:
	s_or_b32 exec_lo, exec_lo, s7
	s_delay_alu instid0(VALU_DEP_1) | instskip(SKIP_1) | instid1(VALU_DEP_2)
	v_bfe_u32 v7, v9, 16, 1
	v_cmp_o_f32_e32 vcc_lo, v9, v9
	v_add3_u32 v7, v9, v7, 0x7fff
	s_delay_alu instid0(VALU_DEP_1) | instskip(NEXT) | instid1(VALU_DEP_1)
	v_lshrrev_b32_e32 v7, 16, v7
	v_cndmask_b32_e32 v12, 0x7fc0, v7, vcc_lo
.LBB167_3502:
	s_mov_b32 s6, -1
.LBB167_3503:
	s_mov_b32 s7, 0
.LBB167_3504:
	s_delay_alu instid0(SALU_CYCLE_1)
	s_and_b32 vcc_lo, exec_lo, s7
	s_cbranch_vccz .LBB167_3537
; %bb.3505:
	s_cmp_gt_i32 s14, 22
	s_cbranch_scc0 .LBB167_3515
; %bb.3506:
	s_cmp_lt_i32 s14, 24
	s_cbranch_scc1 .LBB167_3518
; %bb.3507:
	s_cmp_gt_i32 s14, 24
	s_cbranch_scc0 .LBB167_3519
; %bb.3508:
	global_load_u8 v7, v[10:11], off
	s_mov_b32 s6, exec_lo
	s_wait_loadcnt 0x0
	v_cmpx_lt_i16_e32 0x7f, v7
	s_xor_b32 s6, exec_lo, s6
	s_cbranch_execz .LBB167_3531
; %bb.3509:
	s_mov_b32 s1, -1
	s_mov_b32 s7, exec_lo
	v_cmpx_eq_u16_e32 0x80, v7
; %bb.3510:
	s_xor_b32 s1, exec_lo, -1
; %bb.3511:
	s_or_b32 exec_lo, exec_lo, s7
	s_delay_alu instid0(SALU_CYCLE_1)
	s_and_b32 s1, s1, exec_lo
	s_or_saveexec_b32 s6, s6
	v_mov_b32_e32 v9, 0x7f800001
	s_xor_b32 exec_lo, exec_lo, s6
	s_cbranch_execnz .LBB167_3532
.LBB167_3512:
	s_or_b32 exec_lo, exec_lo, s6
	s_and_saveexec_b32 s6, s1
	s_cbranch_execz .LBB167_3514
.LBB167_3513:
	v_and_b32_e32 v9, 0xffff, v7
	s_delay_alu instid0(VALU_DEP_1) | instskip(SKIP_1) | instid1(VALU_DEP_2)
	v_dual_lshlrev_b32 v7, 24, v7 :: v_dual_bitop2_b32 v12, 3, v9 bitop3:0x40
	v_bfe_u32 v17, v9, 2, 5
	v_and_b32_e32 v7, 0x80000000, v7
	s_delay_alu instid0(VALU_DEP_3) | instskip(NEXT) | instid1(VALU_DEP_3)
	v_clz_i32_u32_e32 v13, v12
	v_cmp_eq_u32_e32 vcc_lo, 0, v17
	s_delay_alu instid0(VALU_DEP_2) | instskip(NEXT) | instid1(VALU_DEP_1)
	v_min_u32_e32 v13, 32, v13
	v_subrev_nc_u32_e32 v15, 29, v13
	v_sub_nc_u32_e32 v13, 30, v13
	s_delay_alu instid0(VALU_DEP_2) | instskip(NEXT) | instid1(VALU_DEP_2)
	v_lshlrev_b32_e32 v9, v15, v9
	v_cndmask_b32_e32 v13, v17, v13, vcc_lo
	s_delay_alu instid0(VALU_DEP_2) | instskip(NEXT) | instid1(VALU_DEP_1)
	v_and_b32_e32 v9, 3, v9
	v_cndmask_b32_e32 v9, v12, v9, vcc_lo
	s_delay_alu instid0(VALU_DEP_3) | instskip(NEXT) | instid1(VALU_DEP_2)
	v_lshl_add_u32 v12, v13, 23, 0x37800000
	v_lshlrev_b32_e32 v9, 21, v9
	s_delay_alu instid0(VALU_DEP_1)
	v_or3_b32 v9, v7, v12, v9
.LBB167_3514:
	s_or_b32 exec_lo, exec_lo, s6
	s_delay_alu instid0(VALU_DEP_1) | instskip(SKIP_2) | instid1(VALU_DEP_2)
	v_bfe_u32 v7, v9, 16, 1
	v_cmp_o_f32_e32 vcc_lo, v9, v9
	s_mov_b32 s1, 0
	v_add3_u32 v7, v9, v7, 0x7fff
	s_delay_alu instid0(VALU_DEP_1) | instskip(NEXT) | instid1(VALU_DEP_1)
	v_lshrrev_b32_e32 v7, 16, v7
	v_cndmask_b32_e32 v12, 0x7fc0, v7, vcc_lo
	s_branch .LBB167_3520
.LBB167_3515:
	s_mov_b32 s1, -1
                                        ; implicit-def: $vgpr12
	s_branch .LBB167_3526
.LBB167_3516:
	s_or_saveexec_b32 s7, s7
	v_mov_b32_e32 v9, 0x7f800001
	s_xor_b32 exec_lo, exec_lo, s7
	s_cbranch_execz .LBB167_3499
.LBB167_3517:
	v_cmp_ne_u16_e32 vcc_lo, 0, v7
	v_mov_b32_e32 v9, 0
	s_and_not1_b32 s6, s6, exec_lo
	s_and_b32 s13, vcc_lo, exec_lo
	s_delay_alu instid0(SALU_CYCLE_1)
	s_or_b32 s6, s6, s13
	s_or_b32 exec_lo, exec_lo, s7
	s_and_saveexec_b32 s7, s6
	s_cbranch_execnz .LBB167_3500
	s_branch .LBB167_3501
.LBB167_3518:
	s_mov_b32 s1, -1
                                        ; implicit-def: $vgpr12
	s_branch .LBB167_3523
.LBB167_3519:
	s_mov_b32 s1, -1
                                        ; implicit-def: $vgpr12
.LBB167_3520:
	s_delay_alu instid0(SALU_CYCLE_1)
	s_and_b32 vcc_lo, exec_lo, s1
	s_cbranch_vccz .LBB167_3522
; %bb.3521:
	global_load_u8 v7, v[10:11], off
	s_wait_loadcnt 0x0
	v_lshlrev_b32_e32 v7, 24, v7
	s_delay_alu instid0(VALU_DEP_1) | instskip(SKIP_1) | instid1(VALU_DEP_1)
	v_and_b32_e32 v9, 0x7f000000, v7
	s_wait_xcnt 0x1
	v_clz_i32_u32_e32 v12, v9
	v_add_nc_u32_e32 v15, 0x1000000, v9
	v_cmp_ne_u32_e32 vcc_lo, 0, v9
	s_delay_alu instid0(VALU_DEP_3) | instskip(NEXT) | instid1(VALU_DEP_1)
	v_min_u32_e32 v12, 32, v12
	v_sub_nc_u32_e64 v12, v12, 4 clamp
	s_delay_alu instid0(VALU_DEP_1) | instskip(NEXT) | instid1(VALU_DEP_1)
	v_dual_lshlrev_b32 v13, v12, v9 :: v_dual_lshlrev_b32 v12, 23, v12
	v_lshrrev_b32_e32 v13, 4, v13
	s_delay_alu instid0(VALU_DEP_1) | instskip(NEXT) | instid1(VALU_DEP_1)
	v_dual_sub_nc_u32 v12, v13, v12 :: v_dual_ashrrev_i32 v13, 8, v15
	v_add_nc_u32_e32 v12, 0x3c000000, v12
	s_delay_alu instid0(VALU_DEP_1) | instskip(NEXT) | instid1(VALU_DEP_1)
	v_and_or_b32 v12, 0x7f800000, v13, v12
	v_cndmask_b32_e32 v9, 0, v12, vcc_lo
	s_delay_alu instid0(VALU_DEP_1) | instskip(SKIP_1) | instid1(VALU_DEP_2)
	v_and_or_b32 v7, 0x80000000, v7, v9
	v_bfe_u32 v9, v9, 16, 1
	v_cmp_o_f32_e32 vcc_lo, v7, v7
	s_delay_alu instid0(VALU_DEP_2) | instskip(NEXT) | instid1(VALU_DEP_1)
	v_add3_u32 v9, v7, v9, 0x7fff
	v_lshrrev_b32_e32 v9, 16, v9
	s_delay_alu instid0(VALU_DEP_1)
	v_cndmask_b32_e32 v12, 0x7fc0, v9, vcc_lo
.LBB167_3522:
	s_mov_b32 s1, 0
.LBB167_3523:
	s_delay_alu instid0(SALU_CYCLE_1)
	s_and_not1_b32 vcc_lo, exec_lo, s1
	s_cbranch_vccnz .LBB167_3525
; %bb.3524:
	global_load_u8 v7, v[10:11], off
	s_wait_loadcnt 0x0
	v_lshlrev_b32_e32 v9, 25, v7
	v_lshlrev_b16 v7, 8, v7
	s_wait_xcnt 0x1
	s_delay_alu instid0(VALU_DEP_1) | instskip(SKIP_1) | instid1(VALU_DEP_2)
	v_and_or_b32 v13, 0x7f00, v7, 0.5
	v_bfe_i32 v7, v7, 0, 16
	v_add_f32_e32 v13, -0.5, v13
	v_lshrrev_b32_e32 v12, 4, v9
	v_cmp_gt_u32_e32 vcc_lo, 0x8000000, v9
	s_delay_alu instid0(VALU_DEP_2) | instskip(NEXT) | instid1(VALU_DEP_1)
	v_or_b32_e32 v12, 0x70000000, v12
	v_mul_f32_e32 v12, 0x7800000, v12
	s_delay_alu instid0(VALU_DEP_1) | instskip(NEXT) | instid1(VALU_DEP_1)
	v_cndmask_b32_e32 v9, v12, v13, vcc_lo
	v_and_or_b32 v7, 0x80000000, v7, v9
	v_bfe_u32 v9, v9, 16, 1
	s_delay_alu instid0(VALU_DEP_2) | instskip(NEXT) | instid1(VALU_DEP_2)
	v_cmp_o_f32_e32 vcc_lo, v7, v7
	v_add3_u32 v9, v7, v9, 0x7fff
	s_delay_alu instid0(VALU_DEP_1) | instskip(NEXT) | instid1(VALU_DEP_1)
	v_lshrrev_b32_e32 v9, 16, v9
	v_cndmask_b32_e32 v12, 0x7fc0, v9, vcc_lo
.LBB167_3525:
	s_mov_b32 s1, 0
	s_mov_b32 s6, -1
.LBB167_3526:
	s_and_not1_b32 vcc_lo, exec_lo, s1
	s_mov_b32 s1, 0
	s_cbranch_vccnz .LBB167_3537
; %bb.3527:
	s_cmp_gt_i32 s14, 14
	s_cbranch_scc0 .LBB167_3530
; %bb.3528:
	s_cmp_eq_u32 s14, 15
	s_cbranch_scc0 .LBB167_3533
; %bb.3529:
	s_wait_loadcnt 0x0
	global_load_u16 v12, v[10:11], off
	s_mov_b32 s0, 0
	s_mov_b32 s6, -1
	s_branch .LBB167_3535
.LBB167_3530:
	s_mov_b32 s1, -1
	s_branch .LBB167_3534
.LBB167_3531:
	s_or_saveexec_b32 s6, s6
	v_mov_b32_e32 v9, 0x7f800001
	s_xor_b32 exec_lo, exec_lo, s6
	s_cbranch_execz .LBB167_3512
.LBB167_3532:
	v_cmp_ne_u16_e32 vcc_lo, 0, v7
	v_mov_b32_e32 v9, 0
	s_and_not1_b32 s1, s1, exec_lo
	s_and_b32 s7, vcc_lo, exec_lo
	s_delay_alu instid0(SALU_CYCLE_1)
	s_or_b32 s1, s1, s7
	s_or_b32 exec_lo, exec_lo, s6
	s_and_saveexec_b32 s6, s1
	s_cbranch_execnz .LBB167_3513
	s_branch .LBB167_3514
.LBB167_3533:
	s_mov_b32 s0, -1
.LBB167_3534:
                                        ; implicit-def: $vgpr12
.LBB167_3535:
	s_and_b32 vcc_lo, exec_lo, s1
	s_mov_b32 s1, 0
	s_cbranch_vccz .LBB167_3537
; %bb.3536:
	s_cmp_lg_u32 s14, 11
	s_mov_b32 s1, -1
	s_cselect_b32 s0, -1, 0
.LBB167_3537:
	s_delay_alu instid0(SALU_CYCLE_1)
	s_and_b32 vcc_lo, exec_lo, s0
	s_cbranch_vccnz .LBB167_3602
; %bb.3538:
	s_and_not1_b32 vcc_lo, exec_lo, s1
	s_cbranch_vccnz .LBB167_3540
.LBB167_3539:
	global_load_u8 v7, v[10:11], off
	s_mov_b32 s6, -1
	s_wait_loadcnt 0x0
	v_cmp_ne_u16_e32 vcc_lo, 0, v7
	v_cndmask_b32_e64 v7, 0, 1.0, vcc_lo
	s_wait_xcnt 0x1
	s_delay_alu instid0(VALU_DEP_1)
	v_lshrrev_b32_e32 v12, 16, v7
.LBB167_3540:
	s_mov_b32 s0, 0
.LBB167_3541:
	s_delay_alu instid0(SALU_CYCLE_1)
	s_and_b32 vcc_lo, exec_lo, s0
	s_cbranch_vccz .LBB167_3590
; %bb.3542:
	s_cmp_lt_i32 s14, 5
	s_cbranch_scc1 .LBB167_3547
; %bb.3543:
	s_cmp_lt_i32 s14, 8
	s_cbranch_scc1 .LBB167_3548
; %bb.3544:
	s_cmp_lt_i32 s14, 9
	s_cbranch_scc1 .LBB167_3549
; %bb.3545:
	s_cmp_gt_i32 s14, 9
	s_cbranch_scc0 .LBB167_3550
; %bb.3546:
	s_wait_loadcnt 0x0
	global_load_b64 v[12:13], v[10:11], off
	s_mov_b32 s0, 0
	s_wait_loadcnt 0x0
	v_cvt_f32_f64_e32 v7, v[12:13]
	s_delay_alu instid0(VALU_DEP_1) | instskip(SKIP_1) | instid1(VALU_DEP_2)
	v_bfe_u32 v9, v7, 16, 1
	v_cmp_o_f32_e32 vcc_lo, v7, v7
	v_add3_u32 v9, v7, v9, 0x7fff
	s_delay_alu instid0(VALU_DEP_1) | instskip(NEXT) | instid1(VALU_DEP_1)
	v_lshrrev_b32_e32 v9, 16, v9
	v_cndmask_b32_e32 v12, 0x7fc0, v9, vcc_lo
	s_branch .LBB167_3551
.LBB167_3547:
	s_mov_b32 s0, -1
                                        ; implicit-def: $vgpr12
	s_branch .LBB167_3569
.LBB167_3548:
	s_mov_b32 s0, -1
                                        ; implicit-def: $vgpr12
	s_branch .LBB167_3557
.LBB167_3549:
	s_mov_b32 s0, -1
                                        ; implicit-def: $vgpr12
	s_branch .LBB167_3554
.LBB167_3550:
	s_mov_b32 s0, -1
                                        ; implicit-def: $vgpr12
.LBB167_3551:
	s_delay_alu instid0(SALU_CYCLE_1)
	s_and_not1_b32 vcc_lo, exec_lo, s0
	s_cbranch_vccnz .LBB167_3553
; %bb.3552:
	global_load_b32 v7, v[10:11], off
	s_wait_loadcnt 0x0
	v_bfe_u32 v9, v7, 16, 1
	v_cmp_o_f32_e32 vcc_lo, v7, v7
	s_delay_alu instid0(VALU_DEP_2) | instskip(NEXT) | instid1(VALU_DEP_1)
	v_add3_u32 v9, v7, v9, 0x7fff
	v_lshrrev_b32_e32 v9, 16, v9
	s_wait_xcnt 0x1
	s_delay_alu instid0(VALU_DEP_1)
	v_cndmask_b32_e32 v12, 0x7fc0, v9, vcc_lo
.LBB167_3553:
	s_mov_b32 s0, 0
.LBB167_3554:
	s_delay_alu instid0(SALU_CYCLE_1)
	s_and_not1_b32 vcc_lo, exec_lo, s0
	s_cbranch_vccnz .LBB167_3556
; %bb.3555:
	global_load_b32 v7, v[10:11], off
	s_wait_loadcnt 0x0
	v_cvt_f32_f16_e32 v9, v7
	v_cmp_o_f16_e32 vcc_lo, v7, v7
	s_wait_xcnt 0x1
	s_delay_alu instid0(VALU_DEP_2) | instskip(NEXT) | instid1(VALU_DEP_1)
	v_bfe_u32 v12, v9, 16, 1
	v_add3_u32 v9, v9, v12, 0x7fff
	s_delay_alu instid0(VALU_DEP_1) | instskip(NEXT) | instid1(VALU_DEP_1)
	v_lshrrev_b32_e32 v9, 16, v9
	v_cndmask_b32_e32 v12, 0x7fc0, v9, vcc_lo
.LBB167_3556:
	s_mov_b32 s0, 0
.LBB167_3557:
	s_delay_alu instid0(SALU_CYCLE_1)
	s_and_not1_b32 vcc_lo, exec_lo, s0
	s_cbranch_vccnz .LBB167_3568
; %bb.3558:
	s_cmp_lt_i32 s14, 6
	s_cbranch_scc1 .LBB167_3561
; %bb.3559:
	s_cmp_gt_i32 s14, 6
	s_cbranch_scc0 .LBB167_3562
; %bb.3560:
	s_wait_loadcnt 0x0
	global_load_b64 v[12:13], v[10:11], off
	s_mov_b32 s0, 0
	s_wait_loadcnt 0x0
	v_cvt_f32_f64_e32 v7, v[12:13]
	s_delay_alu instid0(VALU_DEP_1) | instskip(SKIP_1) | instid1(VALU_DEP_2)
	v_bfe_u32 v9, v7, 16, 1
	v_cmp_o_f32_e32 vcc_lo, v7, v7
	v_add3_u32 v9, v7, v9, 0x7fff
	s_delay_alu instid0(VALU_DEP_1) | instskip(NEXT) | instid1(VALU_DEP_1)
	v_lshrrev_b32_e32 v9, 16, v9
	v_cndmask_b32_e32 v12, 0x7fc0, v9, vcc_lo
	s_branch .LBB167_3563
.LBB167_3561:
	s_mov_b32 s0, -1
                                        ; implicit-def: $vgpr12
	s_branch .LBB167_3566
.LBB167_3562:
	s_mov_b32 s0, -1
                                        ; implicit-def: $vgpr12
.LBB167_3563:
	s_delay_alu instid0(SALU_CYCLE_1)
	s_and_not1_b32 vcc_lo, exec_lo, s0
	s_cbranch_vccnz .LBB167_3565
; %bb.3564:
	global_load_b32 v7, v[10:11], off
	s_wait_loadcnt 0x0
	v_bfe_u32 v9, v7, 16, 1
	v_cmp_o_f32_e32 vcc_lo, v7, v7
	s_delay_alu instid0(VALU_DEP_2) | instskip(NEXT) | instid1(VALU_DEP_1)
	v_add3_u32 v9, v7, v9, 0x7fff
	v_lshrrev_b32_e32 v9, 16, v9
	s_wait_xcnt 0x1
	s_delay_alu instid0(VALU_DEP_1)
	v_cndmask_b32_e32 v12, 0x7fc0, v9, vcc_lo
.LBB167_3565:
	s_mov_b32 s0, 0
.LBB167_3566:
	s_delay_alu instid0(SALU_CYCLE_1)
	s_and_not1_b32 vcc_lo, exec_lo, s0
	s_cbranch_vccnz .LBB167_3568
; %bb.3567:
	global_load_u16 v7, v[10:11], off
	s_wait_loadcnt 0x0
	v_cvt_f32_f16_e32 v9, v7
	v_cmp_o_f16_e32 vcc_lo, v7, v7
	s_wait_xcnt 0x1
	s_delay_alu instid0(VALU_DEP_2) | instskip(NEXT) | instid1(VALU_DEP_1)
	v_bfe_u32 v12, v9, 16, 1
	v_add3_u32 v9, v9, v12, 0x7fff
	s_delay_alu instid0(VALU_DEP_1) | instskip(NEXT) | instid1(VALU_DEP_1)
	v_lshrrev_b32_e32 v9, 16, v9
	v_cndmask_b32_e32 v12, 0x7fc0, v9, vcc_lo
.LBB167_3568:
	s_mov_b32 s0, 0
.LBB167_3569:
	s_delay_alu instid0(SALU_CYCLE_1)
	s_and_not1_b32 vcc_lo, exec_lo, s0
	s_cbranch_vccnz .LBB167_3589
; %bb.3570:
	s_cmp_lt_i32 s14, 2
	s_cbranch_scc1 .LBB167_3574
; %bb.3571:
	s_cmp_lt_i32 s14, 3
	s_cbranch_scc1 .LBB167_3575
; %bb.3572:
	s_cmp_gt_i32 s14, 3
	s_cbranch_scc0 .LBB167_3576
; %bb.3573:
	s_wait_loadcnt 0x0
	global_load_b64 v[12:13], v[10:11], off
	s_mov_b32 s0, 0
	s_wait_loadcnt 0x0
	v_xor_b32_e32 v7, v12, v13
	v_cls_i32_e32 v9, v13
	s_delay_alu instid0(VALU_DEP_2) | instskip(NEXT) | instid1(VALU_DEP_1)
	v_ashrrev_i32_e32 v7, 31, v7
	v_add_nc_u32_e32 v7, 32, v7
	s_delay_alu instid0(VALU_DEP_1) | instskip(NEXT) | instid1(VALU_DEP_1)
	v_add_min_u32_e64 v7, v9, -1, v7
	v_lshlrev_b64_e32 v[12:13], v7, v[12:13]
	v_sub_nc_u32_e32 v7, 32, v7
	s_delay_alu instid0(VALU_DEP_2) | instskip(NEXT) | instid1(VALU_DEP_1)
	v_min_u32_e32 v9, 1, v12
	v_or_b32_e32 v9, v13, v9
	s_delay_alu instid0(VALU_DEP_1) | instskip(NEXT) | instid1(VALU_DEP_1)
	v_cvt_f32_i32_e32 v9, v9
	v_ldexp_f32 v7, v9, v7
	s_delay_alu instid0(VALU_DEP_1) | instskip(NEXT) | instid1(VALU_DEP_1)
	v_bfe_u32 v9, v7, 16, 1
	v_add3_u32 v7, v7, v9, 0x7fff
	s_delay_alu instid0(VALU_DEP_1)
	v_lshrrev_b32_e32 v12, 16, v7
	s_branch .LBB167_3577
.LBB167_3574:
	s_mov_b32 s0, -1
                                        ; implicit-def: $vgpr12
	s_branch .LBB167_3583
.LBB167_3575:
	s_mov_b32 s0, -1
                                        ; implicit-def: $vgpr12
	s_branch .LBB167_3580
.LBB167_3576:
	s_mov_b32 s0, -1
                                        ; implicit-def: $vgpr12
.LBB167_3577:
	s_delay_alu instid0(SALU_CYCLE_1)
	s_and_not1_b32 vcc_lo, exec_lo, s0
	s_cbranch_vccnz .LBB167_3579
; %bb.3578:
	global_load_b32 v7, v[10:11], off
	s_wait_loadcnt 0x0
	v_cvt_f32_i32_e32 v7, v7
	s_delay_alu instid0(VALU_DEP_1) | instskip(NEXT) | instid1(VALU_DEP_1)
	v_bfe_u32 v9, v7, 16, 1
	v_add3_u32 v7, v7, v9, 0x7fff
	s_wait_xcnt 0x1
	s_delay_alu instid0(VALU_DEP_1)
	v_lshrrev_b32_e32 v12, 16, v7
.LBB167_3579:
	s_mov_b32 s0, 0
.LBB167_3580:
	s_delay_alu instid0(SALU_CYCLE_1)
	s_and_not1_b32 vcc_lo, exec_lo, s0
	s_cbranch_vccnz .LBB167_3582
; %bb.3581:
	global_load_i16 v7, v[10:11], off
	s_wait_loadcnt 0x0
	v_cvt_f32_i32_e32 v7, v7
	s_delay_alu instid0(VALU_DEP_1) | instskip(NEXT) | instid1(VALU_DEP_1)
	v_bfe_u32 v9, v7, 16, 1
	v_add3_u32 v7, v7, v9, 0x7fff
	s_wait_xcnt 0x1
	s_delay_alu instid0(VALU_DEP_1)
	v_lshrrev_b32_e32 v12, 16, v7
.LBB167_3582:
	s_mov_b32 s0, 0
.LBB167_3583:
	s_delay_alu instid0(SALU_CYCLE_1)
	s_and_not1_b32 vcc_lo, exec_lo, s0
	s_cbranch_vccnz .LBB167_3589
; %bb.3584:
	s_cmp_gt_i32 s14, 0
	s_mov_b32 s0, 0
	s_cbranch_scc0 .LBB167_3586
; %bb.3585:
	global_load_i8 v7, v[10:11], off
	s_wait_loadcnt 0x0
	v_cvt_f32_i32_e32 v7, v7
	s_delay_alu instid0(VALU_DEP_1) | instskip(NEXT) | instid1(VALU_DEP_1)
	v_bfe_u32 v9, v7, 16, 1
	v_add3_u32 v7, v7, v9, 0x7fff
	s_wait_xcnt 0x1
	s_delay_alu instid0(VALU_DEP_1)
	v_lshrrev_b32_e32 v12, 16, v7
	s_branch .LBB167_3587
.LBB167_3586:
	s_mov_b32 s0, -1
                                        ; implicit-def: $vgpr12
.LBB167_3587:
	s_delay_alu instid0(SALU_CYCLE_1)
	s_and_not1_b32 vcc_lo, exec_lo, s0
	s_cbranch_vccnz .LBB167_3589
; %bb.3588:
	global_load_u8 v7, v[10:11], off
	s_wait_loadcnt 0x0
	v_cvt_f32_ubyte0_e32 v7, v7
	s_delay_alu instid0(VALU_DEP_1) | instskip(NEXT) | instid1(VALU_DEP_1)
	v_bfe_u32 v9, v7, 16, 1
	v_add3_u32 v7, v7, v9, 0x7fff
	s_wait_xcnt 0x1
	s_delay_alu instid0(VALU_DEP_1)
	v_lshrrev_b32_e32 v12, 16, v7
.LBB167_3589:
	s_mov_b32 s6, -1
.LBB167_3590:
	s_delay_alu instid0(SALU_CYCLE_1)
	s_and_not1_b32 vcc_lo, exec_lo, s6
	s_cbranch_vccnz .LBB167_4155
; %bb.3591:
	v_mov_b32_e32 v9, 0
	s_cmp_lt_i32 s15, 11
	s_delay_alu instid0(VALU_DEP_1)
	v_add_nc_u64_e32 v[8:9], s[8:9], v[8:9]
	s_cbranch_scc1 .LBB167_3598
; %bb.3592:
	s_cmp_gt_i32 s15, 25
	s_mov_b32 s1, 0
	s_cbranch_scc0 .LBB167_3599
; %bb.3593:
	s_cmp_gt_i32 s15, 28
	s_cbranch_scc0 .LBB167_3600
; %bb.3594:
	s_cmp_gt_i32 s15, 43
	;; [unrolled: 3-line block ×3, first 2 shown]
	s_cbranch_scc0 .LBB167_3603
; %bb.3596:
	s_cmp_eq_u32 s15, 46
	s_mov_b32 s7, 0
	s_cbranch_scc0 .LBB167_3604
; %bb.3597:
	global_load_b32 v10, v[8:9], off
	s_mov_b32 s0, 0
	s_mov_b32 s6, -1
	s_branch .LBB167_3606
.LBB167_3598:
	s_mov_b32 s0, -1
	s_mov_b32 s6, 0
                                        ; implicit-def: $vgpr10
	s_branch .LBB167_3672
.LBB167_3599:
	s_mov_b32 s7, -1
	s_mov_b32 s6, 0
	s_mov_b32 s0, 0
                                        ; implicit-def: $vgpr10
	s_branch .LBB167_3635
.LBB167_3600:
	s_mov_b32 s7, -1
	s_mov_b32 s6, 0
	s_mov_b32 s0, 0
                                        ; implicit-def: $vgpr10
	s_branch .LBB167_3616
.LBB167_3601:
	s_mov_b32 s7, -1
	s_mov_b32 s6, 0
	s_mov_b32 s0, 0
                                        ; implicit-def: $vgpr10
	s_branch .LBB167_3611
.LBB167_3602:
	s_or_b32 s12, s12, exec_lo
	s_trap 2
	s_cbranch_execz .LBB167_3539
	s_branch .LBB167_3540
.LBB167_3603:
	s_mov_b32 s7, -1
	s_mov_b32 s6, 0
	s_mov_b32 s0, 0
	s_branch .LBB167_3605
.LBB167_3604:
	s_mov_b32 s0, -1
	s_mov_b32 s6, 0
.LBB167_3605:
                                        ; implicit-def: $vgpr10
.LBB167_3606:
	s_and_b32 vcc_lo, exec_lo, s7
	s_cbranch_vccz .LBB167_3610
; %bb.3607:
	s_cmp_eq_u32 s15, 44
	s_cbranch_scc0 .LBB167_3609
; %bb.3608:
	global_load_u8 v7, v[8:9], off
	s_mov_b32 s0, 0
	s_mov_b32 s6, -1
	s_wait_loadcnt 0x0
	s_wait_xcnt 0x1
	v_lshlrev_b32_e32 v10, 23, v7
	v_cmp_ne_u32_e32 vcc_lo, 0xff, v7
	s_delay_alu instid0(VALU_DEP_2) | instskip(SKIP_1) | instid1(VALU_DEP_2)
	v_cndmask_b32_e32 v10, 0x7f800001, v10, vcc_lo
	v_cmp_ne_u32_e32 vcc_lo, 0, v7
	v_cndmask_b32_e32 v7, 0x400000, v10, vcc_lo
	s_delay_alu instid0(VALU_DEP_1) | instskip(NEXT) | instid1(VALU_DEP_1)
	v_add_nc_u32_e32 v10, 0x7fff, v7
	v_lshrrev_b32_e32 v10, 16, v10
	v_cmp_o_f32_e32 vcc_lo, v7, v7
	s_delay_alu instid0(VALU_DEP_2)
	v_cndmask_b32_e32 v10, 0x7fc0, v10, vcc_lo
	s_branch .LBB167_3610
.LBB167_3609:
	s_mov_b32 s0, -1
                                        ; implicit-def: $vgpr10
.LBB167_3610:
	s_mov_b32 s7, 0
.LBB167_3611:
	s_delay_alu instid0(SALU_CYCLE_1)
	s_and_b32 vcc_lo, exec_lo, s7
	s_cbranch_vccz .LBB167_3615
; %bb.3612:
	s_cmp_eq_u32 s15, 29
	s_cbranch_scc0 .LBB167_3614
; %bb.3613:
	s_wait_loadcnt 0x0
	global_load_b64 v[10:11], v[8:9], off
	s_mov_b32 s0, 0
	s_mov_b32 s6, -1
	s_mov_b32 s7, 0
	s_wait_loadcnt 0x0
	v_clz_i32_u32_e32 v7, v11
	s_delay_alu instid0(VALU_DEP_1) | instskip(NEXT) | instid1(VALU_DEP_1)
	v_min_u32_e32 v7, 32, v7
	v_lshlrev_b64_e32 v[10:11], v7, v[10:11]
	v_sub_nc_u32_e32 v7, 32, v7
	s_delay_alu instid0(VALU_DEP_2) | instskip(NEXT) | instid1(VALU_DEP_1)
	v_min_u32_e32 v10, 1, v10
	v_or_b32_e32 v10, v11, v10
	s_delay_alu instid0(VALU_DEP_1) | instskip(NEXT) | instid1(VALU_DEP_1)
	v_cvt_f32_u32_e32 v10, v10
	v_ldexp_f32 v7, v10, v7
	s_delay_alu instid0(VALU_DEP_1) | instskip(NEXT) | instid1(VALU_DEP_1)
	v_bfe_u32 v10, v7, 16, 1
	v_add3_u32 v7, v7, v10, 0x7fff
	s_delay_alu instid0(VALU_DEP_1)
	v_lshrrev_b32_e32 v10, 16, v7
	s_branch .LBB167_3616
.LBB167_3614:
	s_mov_b32 s0, -1
                                        ; implicit-def: $vgpr10
.LBB167_3615:
	s_mov_b32 s7, 0
.LBB167_3616:
	s_delay_alu instid0(SALU_CYCLE_1)
	s_and_b32 vcc_lo, exec_lo, s7
	s_cbranch_vccz .LBB167_3634
; %bb.3617:
	s_cmp_lt_i32 s15, 27
	s_cbranch_scc1 .LBB167_3620
; %bb.3618:
	s_cmp_gt_i32 s15, 27
	s_cbranch_scc0 .LBB167_3621
; %bb.3619:
	global_load_b32 v7, v[8:9], off
	s_mov_b32 s6, 0
	s_wait_loadcnt 0x0
	v_cvt_f32_u32_e32 v7, v7
	s_wait_xcnt 0x1
	s_delay_alu instid0(VALU_DEP_1) | instskip(NEXT) | instid1(VALU_DEP_1)
	v_bfe_u32 v10, v7, 16, 1
	v_add3_u32 v7, v7, v10, 0x7fff
	s_delay_alu instid0(VALU_DEP_1)
	v_lshrrev_b32_e32 v10, 16, v7
	s_branch .LBB167_3622
.LBB167_3620:
	s_mov_b32 s6, -1
                                        ; implicit-def: $vgpr10
	s_branch .LBB167_3625
.LBB167_3621:
	s_mov_b32 s6, -1
                                        ; implicit-def: $vgpr10
.LBB167_3622:
	s_delay_alu instid0(SALU_CYCLE_1)
	s_and_not1_b32 vcc_lo, exec_lo, s6
	s_cbranch_vccnz .LBB167_3624
; %bb.3623:
	global_load_u16 v7, v[8:9], off
	s_wait_loadcnt 0x0
	v_cvt_f32_u32_e32 v7, v7
	s_wait_xcnt 0x1
	s_delay_alu instid0(VALU_DEP_1) | instskip(NEXT) | instid1(VALU_DEP_1)
	v_bfe_u32 v10, v7, 16, 1
	v_add3_u32 v7, v7, v10, 0x7fff
	s_delay_alu instid0(VALU_DEP_1)
	v_lshrrev_b32_e32 v10, 16, v7
.LBB167_3624:
	s_mov_b32 s6, 0
.LBB167_3625:
	s_delay_alu instid0(SALU_CYCLE_1)
	s_and_not1_b32 vcc_lo, exec_lo, s6
	s_cbranch_vccnz .LBB167_3633
; %bb.3626:
	global_load_u8 v7, v[8:9], off
	s_mov_b32 s6, 0
	s_mov_b32 s7, exec_lo
	s_wait_loadcnt 0x0
	v_cmpx_lt_i16_e32 0x7f, v7
	s_xor_b32 s7, exec_lo, s7
	s_cbranch_execz .LBB167_3647
; %bb.3627:
	s_mov_b32 s6, -1
	s_mov_b32 s8, exec_lo
	v_cmpx_eq_u16_e32 0x80, v7
; %bb.3628:
	s_xor_b32 s6, exec_lo, -1
; %bb.3629:
	s_or_b32 exec_lo, exec_lo, s8
	s_delay_alu instid0(SALU_CYCLE_1)
	s_and_b32 s6, s6, exec_lo
	s_or_saveexec_b32 s7, s7
	v_mov_b32_e32 v10, 0x7f800001
	s_xor_b32 exec_lo, exec_lo, s7
	s_cbranch_execnz .LBB167_3648
.LBB167_3630:
	s_or_b32 exec_lo, exec_lo, s7
	s_and_saveexec_b32 s7, s6
	s_cbranch_execz .LBB167_3632
.LBB167_3631:
	v_and_b32_e32 v10, 0xffff, v7
	s_delay_alu instid0(VALU_DEP_1) | instskip(SKIP_1) | instid1(VALU_DEP_2)
	v_and_b32_e32 v11, 7, v10
	v_bfe_u32 v17, v10, 3, 4
	v_clz_i32_u32_e32 v13, v11
	s_delay_alu instid0(VALU_DEP_2) | instskip(NEXT) | instid1(VALU_DEP_2)
	v_cmp_eq_u32_e32 vcc_lo, 0, v17
	v_min_u32_e32 v13, 32, v13
	s_delay_alu instid0(VALU_DEP_1) | instskip(NEXT) | instid1(VALU_DEP_1)
	v_subrev_nc_u32_e32 v15, 28, v13
	v_dual_lshlrev_b32 v10, v15, v10 :: v_dual_sub_nc_u32 v13, 29, v13
	s_delay_alu instid0(VALU_DEP_1) | instskip(NEXT) | instid1(VALU_DEP_1)
	v_dual_lshlrev_b32 v7, 24, v7 :: v_dual_bitop2_b32 v10, 7, v10 bitop3:0x40
	v_dual_cndmask_b32 v13, v17, v13 :: v_dual_cndmask_b32 v10, v11, v10
	s_delay_alu instid0(VALU_DEP_2) | instskip(NEXT) | instid1(VALU_DEP_2)
	v_and_b32_e32 v7, 0x80000000, v7
	v_lshl_add_u32 v11, v13, 23, 0x3b800000
	s_delay_alu instid0(VALU_DEP_3) | instskip(NEXT) | instid1(VALU_DEP_1)
	v_lshlrev_b32_e32 v10, 20, v10
	v_or3_b32 v10, v7, v11, v10
.LBB167_3632:
	s_or_b32 exec_lo, exec_lo, s7
	s_delay_alu instid0(VALU_DEP_1) | instskip(SKIP_1) | instid1(VALU_DEP_2)
	v_bfe_u32 v7, v10, 16, 1
	v_cmp_o_f32_e32 vcc_lo, v10, v10
	v_add3_u32 v7, v10, v7, 0x7fff
	s_delay_alu instid0(VALU_DEP_1) | instskip(NEXT) | instid1(VALU_DEP_1)
	v_lshrrev_b32_e32 v7, 16, v7
	v_cndmask_b32_e32 v10, 0x7fc0, v7, vcc_lo
.LBB167_3633:
	s_mov_b32 s6, -1
.LBB167_3634:
	s_mov_b32 s7, 0
.LBB167_3635:
	s_delay_alu instid0(SALU_CYCLE_1)
	s_and_b32 vcc_lo, exec_lo, s7
	s_cbranch_vccz .LBB167_3668
; %bb.3636:
	s_cmp_gt_i32 s15, 22
	s_cbranch_scc0 .LBB167_3646
; %bb.3637:
	s_cmp_lt_i32 s15, 24
	s_cbranch_scc1 .LBB167_3649
; %bb.3638:
	s_cmp_gt_i32 s15, 24
	s_cbranch_scc0 .LBB167_3650
; %bb.3639:
	global_load_u8 v7, v[8:9], off
	s_mov_b32 s6, exec_lo
	s_wait_loadcnt 0x0
	v_cmpx_lt_i16_e32 0x7f, v7
	s_xor_b32 s6, exec_lo, s6
	s_cbranch_execz .LBB167_3662
; %bb.3640:
	s_mov_b32 s1, -1
	s_mov_b32 s7, exec_lo
	v_cmpx_eq_u16_e32 0x80, v7
; %bb.3641:
	s_xor_b32 s1, exec_lo, -1
; %bb.3642:
	s_or_b32 exec_lo, exec_lo, s7
	s_delay_alu instid0(SALU_CYCLE_1)
	s_and_b32 s1, s1, exec_lo
	s_or_saveexec_b32 s6, s6
	v_mov_b32_e32 v10, 0x7f800001
	s_xor_b32 exec_lo, exec_lo, s6
	s_cbranch_execnz .LBB167_3663
.LBB167_3643:
	s_or_b32 exec_lo, exec_lo, s6
	s_and_saveexec_b32 s6, s1
	s_cbranch_execz .LBB167_3645
.LBB167_3644:
	v_and_b32_e32 v10, 0xffff, v7
	s_delay_alu instid0(VALU_DEP_1) | instskip(SKIP_1) | instid1(VALU_DEP_2)
	v_and_b32_e32 v11, 3, v10
	v_bfe_u32 v17, v10, 2, 5
	v_clz_i32_u32_e32 v13, v11
	s_delay_alu instid0(VALU_DEP_2) | instskip(NEXT) | instid1(VALU_DEP_2)
	v_cmp_eq_u32_e32 vcc_lo, 0, v17
	v_min_u32_e32 v13, 32, v13
	s_delay_alu instid0(VALU_DEP_1) | instskip(NEXT) | instid1(VALU_DEP_1)
	v_subrev_nc_u32_e32 v15, 29, v13
	v_dual_lshlrev_b32 v10, v15, v10 :: v_dual_sub_nc_u32 v13, 30, v13
	s_delay_alu instid0(VALU_DEP_1) | instskip(NEXT) | instid1(VALU_DEP_1)
	v_dual_lshlrev_b32 v7, 24, v7 :: v_dual_bitop2_b32 v10, 3, v10 bitop3:0x40
	v_dual_cndmask_b32 v13, v17, v13 :: v_dual_cndmask_b32 v10, v11, v10
	s_delay_alu instid0(VALU_DEP_2) | instskip(NEXT) | instid1(VALU_DEP_2)
	v_and_b32_e32 v7, 0x80000000, v7
	v_lshl_add_u32 v11, v13, 23, 0x37800000
	s_delay_alu instid0(VALU_DEP_3) | instskip(NEXT) | instid1(VALU_DEP_1)
	v_lshlrev_b32_e32 v10, 21, v10
	v_or3_b32 v10, v7, v11, v10
.LBB167_3645:
	s_or_b32 exec_lo, exec_lo, s6
	s_delay_alu instid0(VALU_DEP_1) | instskip(SKIP_2) | instid1(VALU_DEP_2)
	v_bfe_u32 v7, v10, 16, 1
	v_cmp_o_f32_e32 vcc_lo, v10, v10
	s_mov_b32 s1, 0
	v_add3_u32 v7, v10, v7, 0x7fff
	s_delay_alu instid0(VALU_DEP_1) | instskip(NEXT) | instid1(VALU_DEP_1)
	v_lshrrev_b32_e32 v7, 16, v7
	v_cndmask_b32_e32 v10, 0x7fc0, v7, vcc_lo
	s_branch .LBB167_3651
.LBB167_3646:
	s_mov_b32 s1, -1
                                        ; implicit-def: $vgpr10
	s_branch .LBB167_3657
.LBB167_3647:
	s_or_saveexec_b32 s7, s7
	v_mov_b32_e32 v10, 0x7f800001
	s_xor_b32 exec_lo, exec_lo, s7
	s_cbranch_execz .LBB167_3630
.LBB167_3648:
	v_cmp_ne_u16_e32 vcc_lo, 0, v7
	v_mov_b32_e32 v10, 0
	s_and_not1_b32 s6, s6, exec_lo
	s_and_b32 s8, vcc_lo, exec_lo
	s_delay_alu instid0(SALU_CYCLE_1)
	s_or_b32 s6, s6, s8
	s_or_b32 exec_lo, exec_lo, s7
	s_and_saveexec_b32 s7, s6
	s_cbranch_execnz .LBB167_3631
	s_branch .LBB167_3632
.LBB167_3649:
	s_mov_b32 s1, -1
                                        ; implicit-def: $vgpr10
	s_branch .LBB167_3654
.LBB167_3650:
	s_mov_b32 s1, -1
                                        ; implicit-def: $vgpr10
.LBB167_3651:
	s_delay_alu instid0(SALU_CYCLE_1)
	s_and_b32 vcc_lo, exec_lo, s1
	s_cbranch_vccz .LBB167_3653
; %bb.3652:
	global_load_u8 v7, v[8:9], off
	s_wait_loadcnt 0x0
	v_lshlrev_b32_e32 v7, 24, v7
	s_wait_xcnt 0x1
	s_delay_alu instid0(VALU_DEP_1) | instskip(NEXT) | instid1(VALU_DEP_1)
	v_and_b32_e32 v10, 0x7f000000, v7
	v_clz_i32_u32_e32 v11, v10
	v_cmp_ne_u32_e32 vcc_lo, 0, v10
	v_add_nc_u32_e32 v15, 0x1000000, v10
	s_delay_alu instid0(VALU_DEP_3) | instskip(NEXT) | instid1(VALU_DEP_1)
	v_min_u32_e32 v11, 32, v11
	v_sub_nc_u32_e64 v11, v11, 4 clamp
	s_delay_alu instid0(VALU_DEP_1) | instskip(NEXT) | instid1(VALU_DEP_1)
	v_dual_lshlrev_b32 v13, v11, v10 :: v_dual_lshlrev_b32 v11, 23, v11
	v_lshrrev_b32_e32 v13, 4, v13
	s_delay_alu instid0(VALU_DEP_1) | instskip(SKIP_1) | instid1(VALU_DEP_2)
	v_sub_nc_u32_e32 v11, v13, v11
	v_ashrrev_i32_e32 v13, 8, v15
	v_add_nc_u32_e32 v11, 0x3c000000, v11
	s_delay_alu instid0(VALU_DEP_1) | instskip(NEXT) | instid1(VALU_DEP_1)
	v_and_or_b32 v11, 0x7f800000, v13, v11
	v_cndmask_b32_e32 v10, 0, v11, vcc_lo
	s_delay_alu instid0(VALU_DEP_1) | instskip(SKIP_1) | instid1(VALU_DEP_2)
	v_and_or_b32 v7, 0x80000000, v7, v10
	v_bfe_u32 v10, v10, 16, 1
	v_cmp_o_f32_e32 vcc_lo, v7, v7
	s_delay_alu instid0(VALU_DEP_2) | instskip(NEXT) | instid1(VALU_DEP_1)
	v_add3_u32 v10, v7, v10, 0x7fff
	v_lshrrev_b32_e32 v10, 16, v10
	s_delay_alu instid0(VALU_DEP_1)
	v_cndmask_b32_e32 v10, 0x7fc0, v10, vcc_lo
.LBB167_3653:
	s_mov_b32 s1, 0
.LBB167_3654:
	s_delay_alu instid0(SALU_CYCLE_1)
	s_and_not1_b32 vcc_lo, exec_lo, s1
	s_cbranch_vccnz .LBB167_3656
; %bb.3655:
	global_load_u8 v7, v[8:9], off
	s_wait_loadcnt 0x0
	s_wait_xcnt 0x1
	v_lshlrev_b32_e32 v10, 25, v7
	v_lshlrev_b16 v7, 8, v7
	s_delay_alu instid0(VALU_DEP_1) | instskip(SKIP_1) | instid1(VALU_DEP_2)
	v_and_or_b32 v13, 0x7f00, v7, 0.5
	v_bfe_i32 v7, v7, 0, 16
	v_dual_add_f32 v13, -0.5, v13 :: v_dual_lshrrev_b32 v11, 4, v10
	v_cmp_gt_u32_e32 vcc_lo, 0x8000000, v10
	s_delay_alu instid0(VALU_DEP_2) | instskip(NEXT) | instid1(VALU_DEP_1)
	v_or_b32_e32 v11, 0x70000000, v11
	v_mul_f32_e32 v11, 0x7800000, v11
	s_delay_alu instid0(VALU_DEP_1) | instskip(NEXT) | instid1(VALU_DEP_1)
	v_cndmask_b32_e32 v10, v11, v13, vcc_lo
	v_and_or_b32 v7, 0x80000000, v7, v10
	v_bfe_u32 v10, v10, 16, 1
	s_delay_alu instid0(VALU_DEP_2) | instskip(NEXT) | instid1(VALU_DEP_2)
	v_cmp_o_f32_e32 vcc_lo, v7, v7
	v_add3_u32 v10, v7, v10, 0x7fff
	s_delay_alu instid0(VALU_DEP_1) | instskip(NEXT) | instid1(VALU_DEP_1)
	v_lshrrev_b32_e32 v10, 16, v10
	v_cndmask_b32_e32 v10, 0x7fc0, v10, vcc_lo
.LBB167_3656:
	s_mov_b32 s1, 0
	s_mov_b32 s6, -1
.LBB167_3657:
	s_and_not1_b32 vcc_lo, exec_lo, s1
	s_mov_b32 s1, 0
	s_cbranch_vccnz .LBB167_3668
; %bb.3658:
	s_cmp_gt_i32 s15, 14
	s_cbranch_scc0 .LBB167_3661
; %bb.3659:
	s_cmp_eq_u32 s15, 15
	s_cbranch_scc0 .LBB167_3664
; %bb.3660:
	s_wait_loadcnt 0x0
	global_load_u16 v10, v[8:9], off
	s_mov_b32 s0, 0
	s_mov_b32 s6, -1
	s_branch .LBB167_3666
.LBB167_3661:
	s_mov_b32 s1, -1
	s_branch .LBB167_3665
.LBB167_3662:
	s_or_saveexec_b32 s6, s6
	v_mov_b32_e32 v10, 0x7f800001
	s_xor_b32 exec_lo, exec_lo, s6
	s_cbranch_execz .LBB167_3643
.LBB167_3663:
	v_cmp_ne_u16_e32 vcc_lo, 0, v7
	v_mov_b32_e32 v10, 0
	s_and_not1_b32 s1, s1, exec_lo
	s_and_b32 s7, vcc_lo, exec_lo
	s_delay_alu instid0(SALU_CYCLE_1)
	s_or_b32 s1, s1, s7
	s_or_b32 exec_lo, exec_lo, s6
	s_and_saveexec_b32 s6, s1
	s_cbranch_execnz .LBB167_3644
	s_branch .LBB167_3645
.LBB167_3664:
	s_mov_b32 s0, -1
.LBB167_3665:
                                        ; implicit-def: $vgpr10
.LBB167_3666:
	s_and_b32 vcc_lo, exec_lo, s1
	s_mov_b32 s1, 0
	s_cbranch_vccz .LBB167_3668
; %bb.3667:
	s_cmp_lg_u32 s15, 11
	s_mov_b32 s1, -1
	s_cselect_b32 s0, -1, 0
.LBB167_3668:
	s_delay_alu instid0(SALU_CYCLE_1)
	s_and_b32 vcc_lo, exec_lo, s0
	s_cbranch_vccnz .LBB167_4201
; %bb.3669:
	s_and_not1_b32 vcc_lo, exec_lo, s1
	s_cbranch_vccnz .LBB167_3671
.LBB167_3670:
	global_load_u8 v7, v[8:9], off
	s_mov_b32 s6, -1
	s_wait_loadcnt 0x0
	v_cmp_ne_u16_e32 vcc_lo, 0, v7
	v_cndmask_b32_e64 v7, 0, 1.0, vcc_lo
	s_wait_xcnt 0x1
	s_delay_alu instid0(VALU_DEP_1)
	v_lshrrev_b32_e32 v10, 16, v7
.LBB167_3671:
	s_mov_b32 s0, 0
.LBB167_3672:
	s_delay_alu instid0(SALU_CYCLE_1)
	s_and_b32 vcc_lo, exec_lo, s0
	s_cbranch_vccz .LBB167_3721
; %bb.3673:
	s_cmp_lt_i32 s15, 5
	s_cbranch_scc1 .LBB167_3678
; %bb.3674:
	s_cmp_lt_i32 s15, 8
	s_cbranch_scc1 .LBB167_3679
	;; [unrolled: 3-line block ×3, first 2 shown]
; %bb.3676:
	s_cmp_gt_i32 s15, 9
	s_cbranch_scc0 .LBB167_3681
; %bb.3677:
	s_wait_loadcnt 0x0
	global_load_b64 v[10:11], v[8:9], off
	s_mov_b32 s0, 0
	s_wait_loadcnt 0x0
	v_cvt_f32_f64_e32 v7, v[10:11]
	s_delay_alu instid0(VALU_DEP_1) | instskip(SKIP_1) | instid1(VALU_DEP_2)
	v_bfe_u32 v10, v7, 16, 1
	v_cmp_o_f32_e32 vcc_lo, v7, v7
	v_add3_u32 v10, v7, v10, 0x7fff
	s_delay_alu instid0(VALU_DEP_1) | instskip(NEXT) | instid1(VALU_DEP_1)
	v_lshrrev_b32_e32 v10, 16, v10
	v_cndmask_b32_e32 v10, 0x7fc0, v10, vcc_lo
	s_branch .LBB167_3682
.LBB167_3678:
	s_mov_b32 s0, -1
                                        ; implicit-def: $vgpr10
	s_branch .LBB167_3700
.LBB167_3679:
	s_mov_b32 s0, -1
                                        ; implicit-def: $vgpr10
	s_branch .LBB167_3688
.LBB167_3680:
	s_mov_b32 s0, -1
                                        ; implicit-def: $vgpr10
	s_branch .LBB167_3685
.LBB167_3681:
	s_mov_b32 s0, -1
                                        ; implicit-def: $vgpr10
.LBB167_3682:
	s_delay_alu instid0(SALU_CYCLE_1)
	s_and_not1_b32 vcc_lo, exec_lo, s0
	s_cbranch_vccnz .LBB167_3684
; %bb.3683:
	global_load_b32 v7, v[8:9], off
	s_wait_loadcnt 0x0
	s_wait_xcnt 0x1
	v_bfe_u32 v10, v7, 16, 1
	v_cmp_o_f32_e32 vcc_lo, v7, v7
	s_delay_alu instid0(VALU_DEP_2) | instskip(NEXT) | instid1(VALU_DEP_1)
	v_add3_u32 v10, v7, v10, 0x7fff
	v_lshrrev_b32_e32 v10, 16, v10
	s_delay_alu instid0(VALU_DEP_1)
	v_cndmask_b32_e32 v10, 0x7fc0, v10, vcc_lo
.LBB167_3684:
	s_mov_b32 s0, 0
.LBB167_3685:
	s_delay_alu instid0(SALU_CYCLE_1)
	s_and_not1_b32 vcc_lo, exec_lo, s0
	s_cbranch_vccnz .LBB167_3687
; %bb.3686:
	global_load_b32 v7, v[8:9], off
	s_wait_loadcnt 0x0
	s_wait_xcnt 0x1
	v_cvt_f32_f16_e32 v10, v7
	v_cmp_o_f16_e32 vcc_lo, v7, v7
	s_delay_alu instid0(VALU_DEP_2) | instskip(NEXT) | instid1(VALU_DEP_1)
	v_bfe_u32 v11, v10, 16, 1
	v_add3_u32 v10, v10, v11, 0x7fff
	s_delay_alu instid0(VALU_DEP_1) | instskip(NEXT) | instid1(VALU_DEP_1)
	v_lshrrev_b32_e32 v10, 16, v10
	v_cndmask_b32_e32 v10, 0x7fc0, v10, vcc_lo
.LBB167_3687:
	s_mov_b32 s0, 0
.LBB167_3688:
	s_delay_alu instid0(SALU_CYCLE_1)
	s_and_not1_b32 vcc_lo, exec_lo, s0
	s_cbranch_vccnz .LBB167_3699
; %bb.3689:
	s_cmp_lt_i32 s15, 6
	s_cbranch_scc1 .LBB167_3692
; %bb.3690:
	s_cmp_gt_i32 s15, 6
	s_cbranch_scc0 .LBB167_3693
; %bb.3691:
	s_wait_loadcnt 0x0
	global_load_b64 v[10:11], v[8:9], off
	s_mov_b32 s0, 0
	s_wait_loadcnt 0x0
	v_cvt_f32_f64_e32 v7, v[10:11]
	s_delay_alu instid0(VALU_DEP_1) | instskip(SKIP_1) | instid1(VALU_DEP_2)
	v_bfe_u32 v10, v7, 16, 1
	v_cmp_o_f32_e32 vcc_lo, v7, v7
	v_add3_u32 v10, v7, v10, 0x7fff
	s_delay_alu instid0(VALU_DEP_1) | instskip(NEXT) | instid1(VALU_DEP_1)
	v_lshrrev_b32_e32 v10, 16, v10
	v_cndmask_b32_e32 v10, 0x7fc0, v10, vcc_lo
	s_branch .LBB167_3694
.LBB167_3692:
	s_mov_b32 s0, -1
                                        ; implicit-def: $vgpr10
	s_branch .LBB167_3697
.LBB167_3693:
	s_mov_b32 s0, -1
                                        ; implicit-def: $vgpr10
.LBB167_3694:
	s_delay_alu instid0(SALU_CYCLE_1)
	s_and_not1_b32 vcc_lo, exec_lo, s0
	s_cbranch_vccnz .LBB167_3696
; %bb.3695:
	global_load_b32 v7, v[8:9], off
	s_wait_loadcnt 0x0
	s_wait_xcnt 0x1
	v_bfe_u32 v10, v7, 16, 1
	v_cmp_o_f32_e32 vcc_lo, v7, v7
	s_delay_alu instid0(VALU_DEP_2) | instskip(NEXT) | instid1(VALU_DEP_1)
	v_add3_u32 v10, v7, v10, 0x7fff
	v_lshrrev_b32_e32 v10, 16, v10
	s_delay_alu instid0(VALU_DEP_1)
	v_cndmask_b32_e32 v10, 0x7fc0, v10, vcc_lo
.LBB167_3696:
	s_mov_b32 s0, 0
.LBB167_3697:
	s_delay_alu instid0(SALU_CYCLE_1)
	s_and_not1_b32 vcc_lo, exec_lo, s0
	s_cbranch_vccnz .LBB167_3699
; %bb.3698:
	global_load_u16 v7, v[8:9], off
	s_wait_loadcnt 0x0
	s_wait_xcnt 0x1
	v_cvt_f32_f16_e32 v10, v7
	v_cmp_o_f16_e32 vcc_lo, v7, v7
	s_delay_alu instid0(VALU_DEP_2) | instskip(NEXT) | instid1(VALU_DEP_1)
	v_bfe_u32 v11, v10, 16, 1
	v_add3_u32 v10, v10, v11, 0x7fff
	s_delay_alu instid0(VALU_DEP_1) | instskip(NEXT) | instid1(VALU_DEP_1)
	v_lshrrev_b32_e32 v10, 16, v10
	v_cndmask_b32_e32 v10, 0x7fc0, v10, vcc_lo
.LBB167_3699:
	s_mov_b32 s0, 0
.LBB167_3700:
	s_delay_alu instid0(SALU_CYCLE_1)
	s_and_not1_b32 vcc_lo, exec_lo, s0
	s_cbranch_vccnz .LBB167_3720
; %bb.3701:
	s_cmp_lt_i32 s15, 2
	s_cbranch_scc1 .LBB167_3705
; %bb.3702:
	s_cmp_lt_i32 s15, 3
	s_cbranch_scc1 .LBB167_3706
; %bb.3703:
	s_cmp_gt_i32 s15, 3
	s_cbranch_scc0 .LBB167_3707
; %bb.3704:
	s_wait_loadcnt 0x0
	global_load_b64 v[10:11], v[8:9], off
	s_mov_b32 s0, 0
	s_wait_loadcnt 0x0
	v_xor_b32_e32 v7, v10, v11
	v_cls_i32_e32 v13, v11
	s_delay_alu instid0(VALU_DEP_2) | instskip(NEXT) | instid1(VALU_DEP_1)
	v_ashrrev_i32_e32 v7, 31, v7
	v_add_nc_u32_e32 v7, 32, v7
	s_delay_alu instid0(VALU_DEP_1) | instskip(NEXT) | instid1(VALU_DEP_1)
	v_add_min_u32_e64 v7, v13, -1, v7
	v_lshlrev_b64_e32 v[10:11], v7, v[10:11]
	v_sub_nc_u32_e32 v7, 32, v7
	s_delay_alu instid0(VALU_DEP_2) | instskip(NEXT) | instid1(VALU_DEP_1)
	v_min_u32_e32 v10, 1, v10
	v_or_b32_e32 v10, v11, v10
	s_delay_alu instid0(VALU_DEP_1) | instskip(NEXT) | instid1(VALU_DEP_1)
	v_cvt_f32_i32_e32 v10, v10
	v_ldexp_f32 v7, v10, v7
	s_delay_alu instid0(VALU_DEP_1) | instskip(NEXT) | instid1(VALU_DEP_1)
	v_bfe_u32 v10, v7, 16, 1
	v_add3_u32 v7, v7, v10, 0x7fff
	s_delay_alu instid0(VALU_DEP_1)
	v_lshrrev_b32_e32 v10, 16, v7
	s_branch .LBB167_3708
.LBB167_3705:
	s_mov_b32 s0, -1
                                        ; implicit-def: $vgpr10
	s_branch .LBB167_3714
.LBB167_3706:
	s_mov_b32 s0, -1
                                        ; implicit-def: $vgpr10
	s_branch .LBB167_3711
.LBB167_3707:
	s_mov_b32 s0, -1
                                        ; implicit-def: $vgpr10
.LBB167_3708:
	s_delay_alu instid0(SALU_CYCLE_1)
	s_and_not1_b32 vcc_lo, exec_lo, s0
	s_cbranch_vccnz .LBB167_3710
; %bb.3709:
	global_load_b32 v7, v[8:9], off
	s_wait_loadcnt 0x0
	v_cvt_f32_i32_e32 v7, v7
	s_wait_xcnt 0x1
	s_delay_alu instid0(VALU_DEP_1) | instskip(NEXT) | instid1(VALU_DEP_1)
	v_bfe_u32 v10, v7, 16, 1
	v_add3_u32 v7, v7, v10, 0x7fff
	s_delay_alu instid0(VALU_DEP_1)
	v_lshrrev_b32_e32 v10, 16, v7
.LBB167_3710:
	s_mov_b32 s0, 0
.LBB167_3711:
	s_delay_alu instid0(SALU_CYCLE_1)
	s_and_not1_b32 vcc_lo, exec_lo, s0
	s_cbranch_vccnz .LBB167_3713
; %bb.3712:
	global_load_i16 v7, v[8:9], off
	s_wait_loadcnt 0x0
	v_cvt_f32_i32_e32 v7, v7
	s_wait_xcnt 0x1
	s_delay_alu instid0(VALU_DEP_1) | instskip(NEXT) | instid1(VALU_DEP_1)
	v_bfe_u32 v10, v7, 16, 1
	v_add3_u32 v7, v7, v10, 0x7fff
	s_delay_alu instid0(VALU_DEP_1)
	v_lshrrev_b32_e32 v10, 16, v7
.LBB167_3713:
	s_mov_b32 s0, 0
.LBB167_3714:
	s_delay_alu instid0(SALU_CYCLE_1)
	s_and_not1_b32 vcc_lo, exec_lo, s0
	s_cbranch_vccnz .LBB167_3720
; %bb.3715:
	s_cmp_gt_i32 s15, 0
	s_mov_b32 s0, 0
	s_cbranch_scc0 .LBB167_3717
; %bb.3716:
	global_load_i8 v7, v[8:9], off
	s_wait_loadcnt 0x0
	v_cvt_f32_i32_e32 v7, v7
	s_wait_xcnt 0x1
	s_delay_alu instid0(VALU_DEP_1) | instskip(NEXT) | instid1(VALU_DEP_1)
	v_bfe_u32 v10, v7, 16, 1
	v_add3_u32 v7, v7, v10, 0x7fff
	s_delay_alu instid0(VALU_DEP_1)
	v_lshrrev_b32_e32 v10, 16, v7
	s_branch .LBB167_3718
.LBB167_3717:
	s_mov_b32 s0, -1
                                        ; implicit-def: $vgpr10
.LBB167_3718:
	s_delay_alu instid0(SALU_CYCLE_1)
	s_and_not1_b32 vcc_lo, exec_lo, s0
	s_cbranch_vccnz .LBB167_3720
; %bb.3719:
	global_load_u8 v7, v[8:9], off
	s_wait_loadcnt 0x0
	v_cvt_f32_ubyte0_e32 v7, v7
	s_wait_xcnt 0x0
	s_delay_alu instid0(VALU_DEP_1) | instskip(NEXT) | instid1(VALU_DEP_1)
	v_bfe_u32 v8, v7, 16, 1
	v_add3_u32 v7, v7, v8, 0x7fff
	s_delay_alu instid0(VALU_DEP_1)
	v_lshrrev_b32_e32 v10, 16, v7
.LBB167_3720:
	s_mov_b32 s6, -1
.LBB167_3721:
	s_delay_alu instid0(SALU_CYCLE_1)
	s_and_not1_b32 vcc_lo, exec_lo, s6
	s_cbranch_vccnz .LBB167_4155
; %bb.3722:
	s_wait_loadcnt 0x0
	v_dual_mov_b32 v7, 0 :: v_dual_lshlrev_b32 v9, 16, v3
	v_lshlrev_b32_e32 v11, 16, v1
	v_lshlrev_b32_e32 v17, 16, v5
	global_load_u8 v8, v7, s[2:3] offset:489
	s_wait_xcnt 0x0
	v_add_nc_u64_e32 v[6:7], s[4:5], v[6:7]
	v_cmp_gt_f32_e32 vcc_lo, v11, v9
	v_cndmask_b32_e32 v13, v3, v1, vcc_lo
	v_cmp_u_f32_e64 s0, v11, v11
	s_delay_alu instid0(VALU_DEP_2) | instskip(NEXT) | instid1(VALU_DEP_1)
	v_lshlrev_b32_e32 v15, 16, v13
	v_cmp_lt_f32_e32 vcc_lo, v15, v17
	v_cndmask_b32_e32 v13, v5, v13, vcc_lo
	v_cmp_u_f32_e32 vcc_lo, v17, v17
	s_delay_alu instid0(VALU_DEP_2) | instskip(SKIP_1) | instid1(VALU_DEP_2)
	v_cndmask_b32_e32 v5, v13, v5, vcc_lo
	v_cmp_u_f32_e32 vcc_lo, v9, v9
	v_cndmask_b32_e32 v3, v5, v3, vcc_lo
	s_delay_alu instid0(VALU_DEP_1) | instskip(SKIP_3) | instid1(VALU_DEP_2)
	v_cndmask_b32_e64 v1, v3, v1, s0
	s_wait_loadcnt 0x0
	v_and_b32_e32 v13, 0xffff, v8
	v_readfirstlane_b32 s1, v8
	v_cmp_gt_i32_e32 vcc_lo, 11, v13
	s_cbranch_vccnz .LBB167_3800
; %bb.3723:
	s_and_b32 s2, 0xffff, s1
	s_mov_b32 s7, -1
	s_mov_b32 s3, 0
	s_cmp_gt_i32 s2, 25
	s_mov_b32 s6, 0
	s_mov_b32 s0, 0
	s_cbranch_scc0 .LBB167_3756
; %bb.3724:
	s_cmp_gt_i32 s2, 28
	s_cbranch_scc0 .LBB167_3739
; %bb.3725:
	s_cmp_gt_i32 s2, 43
	;; [unrolled: 3-line block ×3, first 2 shown]
	s_cbranch_scc0 .LBB167_3729
; %bb.3727:
	s_mov_b32 s0, -1
	s_mov_b32 s7, 0
	s_cmp_eq_u32 s2, 46
	s_cbranch_scc0 .LBB167_3729
; %bb.3728:
	v_and_b32_e32 v3, 0xffff, v1
	s_mov_b32 s0, 0
	s_mov_b32 s6, -1
	global_store_b32 v[6:7], v3, off
.LBB167_3729:
	s_and_b32 vcc_lo, exec_lo, s7
	s_cbranch_vccz .LBB167_3734
; %bb.3730:
	s_cmp_eq_u32 s2, 44
	s_mov_b32 s0, -1
	s_cbranch_scc0 .LBB167_3734
; %bb.3731:
	s_wait_xcnt 0x0
	v_and_b32_e32 v3, 0xffff, v1
	v_mov_b32_e32 v5, 0xff
	s_mov_b32 s6, exec_lo
	s_delay_alu instid0(VALU_DEP_2) | instskip(NEXT) | instid1(VALU_DEP_1)
	v_bfe_u32 v8, v3, 7, 8
	v_cmpx_ne_u32_e32 0xff, v8
	s_cbranch_execz .LBB167_3733
; %bb.3732:
	v_dual_lshlrev_b32 v5, 16, v3 :: v_dual_bitop2_b32 v9, 64, v3 bitop3:0x40
	v_lshrrev_b32_e32 v3, 7, v3
	s_delay_alu instid0(VALU_DEP_2) | instskip(NEXT) | instid1(VALU_DEP_3)
	v_and_or_b32 v5, 0x3f0000, v5, v8
	v_cmp_ne_u32_e32 vcc_lo, 0, v9
	s_delay_alu instid0(VALU_DEP_2) | instskip(SKIP_1) | instid1(SALU_CYCLE_1)
	v_cmp_ne_u32_e64 s0, 0, v5
	s_and_b32 s0, vcc_lo, s0
	v_cndmask_b32_e64 v5, 0, 1, s0
	s_delay_alu instid0(VALU_DEP_1)
	v_add_nc_u32_e32 v5, v3, v5
.LBB167_3733:
	s_or_b32 exec_lo, exec_lo, s6
	s_mov_b32 s0, 0
	s_mov_b32 s6, -1
	global_store_b8 v[6:7], v5, off
.LBB167_3734:
	s_mov_b32 s7, 0
.LBB167_3735:
	s_delay_alu instid0(SALU_CYCLE_1)
	s_and_b32 vcc_lo, exec_lo, s7
	s_cbranch_vccz .LBB167_3738
; %bb.3736:
	s_cmp_eq_u32 s2, 29
	s_mov_b32 s0, -1
	s_cbranch_scc0 .LBB167_3738
; %bb.3737:
	s_wait_xcnt 0x0
	v_lshlrev_b32_e32 v3, 16, v1
	s_mov_b32 s0, 0
	s_mov_b32 s6, -1
	s_delay_alu instid0(VALU_DEP_1) | instskip(NEXT) | instid1(VALU_DEP_1)
	v_trunc_f32_e32 v3, v3
	v_mul_f32_e32 v5, 0x2f800000, v3
	s_delay_alu instid0(VALU_DEP_1) | instskip(NEXT) | instid1(VALU_DEP_1)
	v_floor_f32_e32 v5, v5
	v_fmamk_f32 v3, v5, 0xcf800000, v3
	v_cvt_u32_f32_e32 v9, v5
	s_delay_alu instid0(VALU_DEP_2)
	v_cvt_u32_f32_e32 v8, v3
	global_store_b64 v[6:7], v[8:9], off
.LBB167_3738:
	s_mov_b32 s7, 0
.LBB167_3739:
	s_delay_alu instid0(SALU_CYCLE_1)
	s_and_b32 vcc_lo, exec_lo, s7
	s_cbranch_vccz .LBB167_3755
; %bb.3740:
	s_cmp_lt_i32 s2, 27
	s_mov_b32 s6, -1
	s_cbranch_scc1 .LBB167_3746
; %bb.3741:
	s_cmp_gt_i32 s2, 27
	s_cbranch_scc0 .LBB167_3743
; %bb.3742:
	s_wait_xcnt 0x0
	v_lshlrev_b32_e32 v3, 16, v1
	s_mov_b32 s6, 0
	s_delay_alu instid0(VALU_DEP_1)
	v_cvt_u32_f32_e32 v3, v3
	global_store_b32 v[6:7], v3, off
.LBB167_3743:
	s_and_not1_b32 vcc_lo, exec_lo, s6
	s_cbranch_vccnz .LBB167_3745
; %bb.3744:
	s_wait_xcnt 0x0
	v_lshlrev_b32_e32 v3, 16, v1
	s_delay_alu instid0(VALU_DEP_1)
	v_cvt_u32_f32_e32 v3, v3
	global_store_b16 v[6:7], v3, off
.LBB167_3745:
	s_mov_b32 s6, 0
.LBB167_3746:
	s_delay_alu instid0(SALU_CYCLE_1)
	s_and_not1_b32 vcc_lo, exec_lo, s6
	s_cbranch_vccnz .LBB167_3754
; %bb.3747:
	s_wait_xcnt 0x0
	v_dual_mov_b32 v9, 0x80 :: v_dual_lshlrev_b32 v8, 16, v1
	s_mov_b32 s6, exec_lo
	s_delay_alu instid0(VALU_DEP_1) | instskip(NEXT) | instid1(VALU_DEP_1)
	v_and_b32_e32 v5, 0x7fffffff, v8
	v_cmpx_gt_u32_e32 0x43800000, v5
	s_cbranch_execz .LBB167_3753
; %bb.3748:
	v_and_b32_e32 v3, 0xffff, v1
	v_cmp_lt_u32_e32 vcc_lo, 0x3bffffff, v5
	s_mov_b32 s7, 0
                                        ; implicit-def: $vgpr5
	s_and_saveexec_b32 s8, vcc_lo
	s_delay_alu instid0(SALU_CYCLE_1)
	s_xor_b32 s8, exec_lo, s8
	s_cbranch_execz .LBB167_4202
; %bb.3749:
	v_bfe_u32 v5, v3, 4, 1
	s_mov_b32 s7, exec_lo
	s_delay_alu instid0(VALU_DEP_1) | instskip(NEXT) | instid1(VALU_DEP_1)
	v_add3_u32 v5, v8, v5, 0x487ffff
                                        ; implicit-def: $vgpr8
	v_lshrrev_b32_e32 v5, 20, v5
	s_and_not1_saveexec_b32 s8, s8
	s_cbranch_execnz .LBB167_4203
.LBB167_3750:
	s_or_b32 exec_lo, exec_lo, s8
	v_mov_b32_e32 v9, 0
	s_and_saveexec_b32 s8, s7
.LBB167_3751:
	v_lshrrev_b32_e32 v3, 8, v3
	s_delay_alu instid0(VALU_DEP_1)
	v_and_or_b32 v9, 0x80, v3, v5
.LBB167_3752:
	s_or_b32 exec_lo, exec_lo, s8
.LBB167_3753:
	s_delay_alu instid0(SALU_CYCLE_1)
	s_or_b32 exec_lo, exec_lo, s6
	global_store_b8 v[6:7], v9, off
.LBB167_3754:
	s_mov_b32 s6, -1
.LBB167_3755:
	s_mov_b32 s7, 0
.LBB167_3756:
	s_delay_alu instid0(SALU_CYCLE_1)
	s_and_b32 vcc_lo, exec_lo, s7
	s_cbranch_vccz .LBB167_3796
; %bb.3757:
	s_cmp_gt_i32 s2, 22
	s_mov_b32 s3, -1
	s_cbranch_scc0 .LBB167_3789
; %bb.3758:
	s_cmp_lt_i32 s2, 24
	s_cbranch_scc1 .LBB167_3778
; %bb.3759:
	s_cmp_gt_i32 s2, 24
	s_cbranch_scc0 .LBB167_3767
; %bb.3760:
	s_wait_xcnt 0x0
	v_dual_mov_b32 v9, 0x80 :: v_dual_lshlrev_b32 v8, 16, v1
	s_mov_b32 s3, exec_lo
	s_delay_alu instid0(VALU_DEP_1) | instskip(NEXT) | instid1(VALU_DEP_1)
	v_and_b32_e32 v5, 0x7fffffff, v8
	v_cmpx_gt_u32_e32 0x47800000, v5
	s_cbranch_execz .LBB167_3766
; %bb.3761:
	v_and_b32_e32 v3, 0xffff, v1
	v_cmp_lt_u32_e32 vcc_lo, 0x37ffffff, v5
	s_mov_b32 s6, 0
                                        ; implicit-def: $vgpr5
	s_and_saveexec_b32 s7, vcc_lo
	s_delay_alu instid0(SALU_CYCLE_1)
	s_xor_b32 s7, exec_lo, s7
	s_cbranch_execz .LBB167_4205
; %bb.3762:
	v_bfe_u32 v5, v3, 5, 1
	s_mov_b32 s6, exec_lo
	s_delay_alu instid0(VALU_DEP_1) | instskip(NEXT) | instid1(VALU_DEP_1)
	v_add3_u32 v5, v8, v5, 0x88fffff
                                        ; implicit-def: $vgpr8
	v_lshrrev_b32_e32 v5, 21, v5
	s_and_not1_saveexec_b32 s7, s7
	s_cbranch_execnz .LBB167_4206
.LBB167_3763:
	s_or_b32 exec_lo, exec_lo, s7
	v_mov_b32_e32 v9, 0
	s_and_saveexec_b32 s7, s6
.LBB167_3764:
	v_lshrrev_b32_e32 v3, 8, v3
	s_delay_alu instid0(VALU_DEP_1)
	v_and_or_b32 v9, 0x80, v3, v5
.LBB167_3765:
	s_or_b32 exec_lo, exec_lo, s7
.LBB167_3766:
	s_delay_alu instid0(SALU_CYCLE_1)
	s_or_b32 exec_lo, exec_lo, s3
	s_mov_b32 s3, 0
	global_store_b8 v[6:7], v9, off
.LBB167_3767:
	s_and_b32 vcc_lo, exec_lo, s3
	s_cbranch_vccz .LBB167_3777
; %bb.3768:
	s_wait_xcnt 0x0
	v_lshlrev_b32_e32 v8, 16, v1
	v_and_b32_e32 v3, 0xffff, v1
	s_mov_b32 s3, exec_lo
                                        ; implicit-def: $vgpr5
	s_delay_alu instid0(VALU_DEP_2) | instskip(NEXT) | instid1(VALU_DEP_1)
	v_and_b32_e32 v9, 0x7fffffff, v8
	v_cmpx_gt_u32_e32 0x43f00000, v9
	s_xor_b32 s3, exec_lo, s3
	s_cbranch_execz .LBB167_3774
; %bb.3769:
	s_mov_b32 s6, exec_lo
                                        ; implicit-def: $vgpr5
	v_cmpx_lt_u32_e32 0x3c7fffff, v9
	s_xor_b32 s6, exec_lo, s6
; %bb.3770:
	v_bfe_u32 v5, v3, 4, 1
	s_delay_alu instid0(VALU_DEP_1) | instskip(NEXT) | instid1(VALU_DEP_1)
	v_add3_u32 v5, v8, v5, 0x407ffff
	v_and_b32_e32 v8, 0xff00000, v5
	v_lshrrev_b32_e32 v5, 20, v5
	s_delay_alu instid0(VALU_DEP_2) | instskip(NEXT) | instid1(VALU_DEP_2)
	v_cmp_ne_u32_e32 vcc_lo, 0x7f00000, v8
                                        ; implicit-def: $vgpr8
	v_cndmask_b32_e32 v5, 0x7e, v5, vcc_lo
; %bb.3771:
	s_and_not1_saveexec_b32 s6, s6
; %bb.3772:
	v_add_f32_e64 v5, 0x46800000, |v8|
; %bb.3773:
	s_or_b32 exec_lo, exec_lo, s6
                                        ; implicit-def: $vgpr9
.LBB167_3774:
	s_and_not1_saveexec_b32 s3, s3
; %bb.3775:
	v_mov_b32_e32 v5, 0x7f
	v_cmp_lt_u32_e32 vcc_lo, 0x7f800000, v9
	s_delay_alu instid0(VALU_DEP_2)
	v_cndmask_b32_e32 v5, 0x7e, v5, vcc_lo
; %bb.3776:
	s_or_b32 exec_lo, exec_lo, s3
	v_lshrrev_b32_e32 v3, 8, v3
	s_delay_alu instid0(VALU_DEP_1)
	v_and_or_b32 v3, 0x80, v3, v5
	global_store_b8 v[6:7], v3, off
.LBB167_3777:
	s_mov_b32 s3, 0
.LBB167_3778:
	s_delay_alu instid0(SALU_CYCLE_1)
	s_and_not1_b32 vcc_lo, exec_lo, s3
	s_cbranch_vccnz .LBB167_3788
; %bb.3779:
	s_wait_xcnt 0x0
	v_lshlrev_b32_e32 v8, 16, v1
	v_and_b32_e32 v3, 0xffff, v1
	s_mov_b32 s3, exec_lo
                                        ; implicit-def: $vgpr5
	s_delay_alu instid0(VALU_DEP_2) | instskip(NEXT) | instid1(VALU_DEP_1)
	v_and_b32_e32 v9, 0x7fffffff, v8
	v_cmpx_gt_u32_e32 0x47800000, v9
	s_xor_b32 s3, exec_lo, s3
	s_cbranch_execz .LBB167_3785
; %bb.3780:
	s_mov_b32 s6, exec_lo
                                        ; implicit-def: $vgpr5
	v_cmpx_lt_u32_e32 0x387fffff, v9
	s_xor_b32 s6, exec_lo, s6
; %bb.3781:
	v_bfe_u32 v5, v3, 5, 1
	s_delay_alu instid0(VALU_DEP_1) | instskip(NEXT) | instid1(VALU_DEP_1)
	v_add3_u32 v5, v8, v5, 0x80fffff
                                        ; implicit-def: $vgpr8
	v_lshrrev_b32_e32 v5, 21, v5
; %bb.3782:
	s_and_not1_saveexec_b32 s6, s6
; %bb.3783:
	v_add_f32_e64 v5, 0x43000000, |v8|
; %bb.3784:
	s_or_b32 exec_lo, exec_lo, s6
                                        ; implicit-def: $vgpr9
.LBB167_3785:
	s_and_not1_saveexec_b32 s3, s3
; %bb.3786:
	v_mov_b32_e32 v5, 0x7f
	v_cmp_lt_u32_e32 vcc_lo, 0x7f800000, v9
	s_delay_alu instid0(VALU_DEP_2)
	v_cndmask_b32_e32 v5, 0x7c, v5, vcc_lo
; %bb.3787:
	s_or_b32 exec_lo, exec_lo, s3
	v_lshrrev_b32_e32 v3, 8, v3
	s_delay_alu instid0(VALU_DEP_1)
	v_and_or_b32 v3, 0x80, v3, v5
	global_store_b8 v[6:7], v3, off
.LBB167_3788:
	s_mov_b32 s3, 0
	s_mov_b32 s6, -1
.LBB167_3789:
	s_and_not1_b32 vcc_lo, exec_lo, s3
	s_mov_b32 s3, 0
	s_cbranch_vccnz .LBB167_3796
; %bb.3790:
	s_cmp_gt_i32 s2, 14
	s_mov_b32 s3, -1
	s_cbranch_scc0 .LBB167_3794
; %bb.3791:
	s_cmp_eq_u32 s2, 15
	s_mov_b32 s0, -1
	s_cbranch_scc0 .LBB167_3793
; %bb.3792:
	s_mov_b32 s0, 0
	s_mov_b32 s6, -1
	global_store_b16 v[6:7], v1, off
.LBB167_3793:
	s_mov_b32 s3, 0
.LBB167_3794:
	s_delay_alu instid0(SALU_CYCLE_1)
	s_and_b32 vcc_lo, exec_lo, s3
	s_mov_b32 s3, 0
	s_cbranch_vccz .LBB167_3796
; %bb.3795:
	s_cmp_lg_u32 s2, 11
	s_mov_b32 s3, -1
	s_cselect_b32 s0, -1, 0
.LBB167_3796:
	s_delay_alu instid0(SALU_CYCLE_1)
	s_and_b32 vcc_lo, exec_lo, s0
	s_cbranch_vccnz .LBB167_4204
; %bb.3797:
	s_and_not1_b32 vcc_lo, exec_lo, s3
	s_cbranch_vccnz .LBB167_3799
.LBB167_3798:
	s_wait_xcnt 0x0
	v_and_b32_e32 v3, 0x7fff, v1
	s_mov_b32 s6, -1
	s_delay_alu instid0(VALU_DEP_1)
	v_cmp_ne_u16_e32 vcc_lo, 0, v3
	v_cndmask_b32_e64 v3, 0, 1, vcc_lo
	global_store_b8 v[6:7], v3, off
.LBB167_3799:
	s_mov_b32 s0, 0
	s_branch .LBB167_3801
.LBB167_3800:
	s_mov_b32 s0, -1
	s_mov_b32 s6, 0
.LBB167_3801:
	s_and_b32 vcc_lo, exec_lo, s0
	s_cbranch_vccz .LBB167_3840
; %bb.3802:
	s_and_b32 s0, 0xffff, s1
	s_mov_b32 s2, -1
	s_cmp_lt_i32 s0, 5
	s_cbranch_scc1 .LBB167_3823
; %bb.3803:
	s_cmp_lt_i32 s0, 8
	s_cbranch_scc1 .LBB167_3813
; %bb.3804:
	;; [unrolled: 3-line block ×3, first 2 shown]
	s_cmp_gt_i32 s0, 9
	s_cbranch_scc0 .LBB167_3807
; %bb.3806:
	s_wait_xcnt 0x0
	v_dual_mov_b32 v30, 0 :: v_dual_lshlrev_b32 v3, 16, v1
	s_mov_b32 s2, 0
	s_delay_alu instid0(VALU_DEP_1) | instskip(NEXT) | instid1(VALU_DEP_2)
	v_cvt_f64_f32_e32 v[28:29], v3
	v_mov_b32_e32 v31, v30
	global_store_b128 v[6:7], v[28:31], off
.LBB167_3807:
	s_and_not1_b32 vcc_lo, exec_lo, s2
	s_cbranch_vccnz .LBB167_3809
; %bb.3808:
	s_wait_xcnt 0x0
	v_dual_mov_b32 v9, 0 :: v_dual_lshlrev_b32 v8, 16, v1
	global_store_b64 v[6:7], v[8:9], off
.LBB167_3809:
	s_mov_b32 s2, 0
.LBB167_3810:
	s_delay_alu instid0(SALU_CYCLE_1)
	s_and_not1_b32 vcc_lo, exec_lo, s2
	s_cbranch_vccnz .LBB167_3812
; %bb.3811:
	s_wait_xcnt 0x0
	v_lshlrev_b32_e32 v3, 16, v1
	s_delay_alu instid0(VALU_DEP_1) | instskip(NEXT) | instid1(VALU_DEP_1)
	v_cvt_f16_f32_e32 v3, v3
	v_and_b32_e32 v3, 0xffff, v3
	global_store_b32 v[6:7], v3, off
.LBB167_3812:
	s_mov_b32 s2, 0
.LBB167_3813:
	s_delay_alu instid0(SALU_CYCLE_1)
	s_and_not1_b32 vcc_lo, exec_lo, s2
	s_cbranch_vccnz .LBB167_3822
; %bb.3814:
	s_cmp_lt_i32 s0, 6
	s_mov_b32 s2, -1
	s_cbranch_scc1 .LBB167_3820
; %bb.3815:
	s_cmp_gt_i32 s0, 6
	s_cbranch_scc0 .LBB167_3817
; %bb.3816:
	s_wait_xcnt 0x0
	v_lshlrev_b32_e32 v3, 16, v1
	s_mov_b32 s2, 0
	s_delay_alu instid0(VALU_DEP_1)
	v_cvt_f64_f32_e32 v[8:9], v3
	global_store_b64 v[6:7], v[8:9], off
.LBB167_3817:
	s_and_not1_b32 vcc_lo, exec_lo, s2
	s_cbranch_vccnz .LBB167_3819
; %bb.3818:
	s_wait_xcnt 0x0
	v_lshlrev_b32_e32 v3, 16, v1
	global_store_b32 v[6:7], v3, off
.LBB167_3819:
	s_mov_b32 s2, 0
.LBB167_3820:
	s_delay_alu instid0(SALU_CYCLE_1)
	s_and_not1_b32 vcc_lo, exec_lo, s2
	s_cbranch_vccnz .LBB167_3822
; %bb.3821:
	s_wait_xcnt 0x0
	v_lshlrev_b32_e32 v3, 16, v1
	s_delay_alu instid0(VALU_DEP_1)
	v_cvt_f16_f32_e32 v3, v3
	global_store_b16 v[6:7], v3, off
.LBB167_3822:
	s_mov_b32 s2, 0
.LBB167_3823:
	s_delay_alu instid0(SALU_CYCLE_1)
	s_and_not1_b32 vcc_lo, exec_lo, s2
	s_cbranch_vccnz .LBB167_3839
; %bb.3824:
	s_cmp_lt_i32 s0, 2
	s_mov_b32 s2, -1
	s_cbranch_scc1 .LBB167_3834
; %bb.3825:
	s_cmp_lt_i32 s0, 3
	s_cbranch_scc1 .LBB167_3831
; %bb.3826:
	s_cmp_gt_i32 s0, 3
	s_cbranch_scc0 .LBB167_3828
; %bb.3827:
	s_wait_xcnt 0x0
	v_lshlrev_b32_e32 v3, 16, v1
	s_mov_b32 s2, 0
	s_delay_alu instid0(VALU_DEP_1) | instskip(NEXT) | instid1(VALU_DEP_1)
	v_trunc_f32_e32 v3, v3
	v_mul_f32_e64 v5, 0x2f800000, |v3|
	v_ashrrev_i32_e32 v8, 31, v3
	s_delay_alu instid0(VALU_DEP_2) | instskip(NEXT) | instid1(VALU_DEP_1)
	v_floor_f32_e32 v5, v5
	v_fma_f32 v9, 0xcf800000, v5, |v3|
	v_cvt_u32_f32_e32 v3, v5
	s_delay_alu instid0(VALU_DEP_2) | instskip(NEXT) | instid1(VALU_DEP_2)
	v_cvt_u32_f32_e32 v5, v9
	v_dual_mov_b32 v9, v8 :: v_dual_bitop2_b32 v29, v3, v8 bitop3:0x14
	s_delay_alu instid0(VALU_DEP_2) | instskip(NEXT) | instid1(VALU_DEP_1)
	v_xor_b32_e32 v28, v5, v8
	v_sub_nc_u64_e32 v[8:9], v[28:29], v[8:9]
	global_store_b64 v[6:7], v[8:9], off
.LBB167_3828:
	s_and_not1_b32 vcc_lo, exec_lo, s2
	s_cbranch_vccnz .LBB167_3830
; %bb.3829:
	s_wait_xcnt 0x0
	v_lshlrev_b32_e32 v3, 16, v1
	s_delay_alu instid0(VALU_DEP_1)
	v_cvt_i32_f32_e32 v3, v3
	global_store_b32 v[6:7], v3, off
.LBB167_3830:
	s_mov_b32 s2, 0
.LBB167_3831:
	s_delay_alu instid0(SALU_CYCLE_1)
	s_and_not1_b32 vcc_lo, exec_lo, s2
	s_cbranch_vccnz .LBB167_3833
; %bb.3832:
	s_wait_xcnt 0x0
	v_lshlrev_b32_e32 v3, 16, v1
	s_delay_alu instid0(VALU_DEP_1)
	v_cvt_i32_f32_e32 v3, v3
	global_store_b16 v[6:7], v3, off
.LBB167_3833:
	s_mov_b32 s2, 0
.LBB167_3834:
	s_delay_alu instid0(SALU_CYCLE_1)
	s_and_not1_b32 vcc_lo, exec_lo, s2
	s_cbranch_vccnz .LBB167_3839
; %bb.3835:
	s_wait_xcnt 0x0
	v_lshlrev_b32_e32 v1, 16, v1
	s_cmp_gt_i32 s0, 0
	s_mov_b32 s0, -1
	s_cbranch_scc0 .LBB167_3837
; %bb.3836:
	s_delay_alu instid0(VALU_DEP_1)
	v_cvt_i32_f32_e32 v3, v1
	s_mov_b32 s0, 0
	global_store_b8 v[6:7], v3, off
.LBB167_3837:
	s_and_not1_b32 vcc_lo, exec_lo, s0
	s_cbranch_vccnz .LBB167_3839
; %bb.3838:
	v_trunc_f32_e32 v1, v1
	s_wait_xcnt 0x0
	s_delay_alu instid0(VALU_DEP_1) | instskip(NEXT) | instid1(VALU_DEP_1)
	v_mul_f32_e64 v3, 0x2f800000, |v1|
	v_floor_f32_e32 v3, v3
	s_delay_alu instid0(VALU_DEP_1) | instskip(SKIP_1) | instid1(VALU_DEP_2)
	v_fma_f32 v3, 0xcf800000, v3, |v1|
	v_ashrrev_i32_e32 v1, 31, v1
	v_cvt_u32_f32_e32 v3, v3
	s_delay_alu instid0(VALU_DEP_1) | instskip(NEXT) | instid1(VALU_DEP_1)
	v_xor_b32_e32 v3, v3, v1
	v_sub_nc_u32_e32 v1, v3, v1
	global_store_b8 v[6:7], v1, off
.LBB167_3839:
	s_mov_b32 s6, -1
.LBB167_3840:
	s_delay_alu instid0(SALU_CYCLE_1)
	s_and_not1_b32 vcc_lo, exec_lo, s6
	s_cbranch_vccnz .LBB167_4155
; %bb.3841:
	s_wait_xcnt 0x0
	v_dual_lshlrev_b32 v1, 16, v24 :: v_dual_lshlrev_b32 v3, 16, v26
	s_and_b32 s2, 0xffff, s1
	s_delay_alu instid0(SALU_CYCLE_1) | instskip(NEXT) | instid1(VALU_DEP_1)
	s_cmp_lt_i32 s2, 11
	v_cmp_gt_f32_e32 vcc_lo, v3, v1
	v_cndmask_b32_e32 v5, v24, v26, vcc_lo
	s_delay_alu instid0(VALU_DEP_1) | instskip(NEXT) | instid1(VALU_DEP_1)
	v_dual_lshlrev_b32 v6, 16, v22 :: v_dual_lshlrev_b32 v7, 16, v5
	v_cmp_lt_f32_e32 vcc_lo, v7, v6
	v_cndmask_b32_e32 v5, v22, v5, vcc_lo
	v_cmp_u_f32_e32 vcc_lo, v6, v6
	s_delay_alu instid0(VALU_DEP_2) | instskip(SKIP_1) | instid1(VALU_DEP_2)
	v_dual_cndmask_b32 v6, v5, v22 :: v_dual_mov_b32 v5, 0
	v_cmp_u_f32_e32 vcc_lo, v1, v1
	v_add_nc_u64_e32 v[4:5], s[4:5], v[4:5]
	s_delay_alu instid0(VALU_DEP_3) | instskip(SKIP_1) | instid1(VALU_DEP_2)
	v_cndmask_b32_e32 v1, v6, v24, vcc_lo
	v_cmp_u_f32_e32 vcc_lo, v3, v3
	v_cndmask_b32_e32 v1, v1, v26, vcc_lo
	s_cbranch_scc1 .LBB167_3919
; %bb.3842:
	s_mov_b32 s7, -1
	s_mov_b32 s3, 0
	s_cmp_gt_i32 s2, 25
	s_mov_b32 s6, 0
	s_mov_b32 s0, 0
	s_cbranch_scc0 .LBB167_3875
; %bb.3843:
	s_cmp_gt_i32 s2, 28
	s_cbranch_scc0 .LBB167_3858
; %bb.3844:
	s_cmp_gt_i32 s2, 43
	;; [unrolled: 3-line block ×3, first 2 shown]
	s_cbranch_scc0 .LBB167_3848
; %bb.3846:
	s_mov_b32 s0, -1
	s_mov_b32 s7, 0
	s_cmp_eq_u32 s2, 46
	s_cbranch_scc0 .LBB167_3848
; %bb.3847:
	v_and_b32_e32 v3, 0xffff, v1
	s_mov_b32 s0, 0
	s_mov_b32 s6, -1
	global_store_b32 v[4:5], v3, off
.LBB167_3848:
	s_and_b32 vcc_lo, exec_lo, s7
	s_cbranch_vccz .LBB167_3853
; %bb.3849:
	s_cmp_eq_u32 s2, 44
	s_mov_b32 s0, -1
	s_cbranch_scc0 .LBB167_3853
; %bb.3850:
	s_wait_xcnt 0x0
	v_and_b32_e32 v3, 0xffff, v1
	v_mov_b32_e32 v6, 0xff
	s_mov_b32 s6, exec_lo
	s_delay_alu instid0(VALU_DEP_2) | instskip(NEXT) | instid1(VALU_DEP_1)
	v_bfe_u32 v7, v3, 7, 8
	v_cmpx_ne_u32_e32 0xff, v7
	s_cbranch_execz .LBB167_3852
; %bb.3851:
	v_dual_lshlrev_b32 v6, 16, v3 :: v_dual_bitop2_b32 v8, 64, v3 bitop3:0x40
	v_lshrrev_b32_e32 v3, 7, v3
	s_delay_alu instid0(VALU_DEP_2) | instskip(NEXT) | instid1(VALU_DEP_3)
	v_and_or_b32 v6, 0x3f0000, v6, v7
	v_cmp_ne_u32_e32 vcc_lo, 0, v8
	s_delay_alu instid0(VALU_DEP_2) | instskip(SKIP_1) | instid1(SALU_CYCLE_1)
	v_cmp_ne_u32_e64 s0, 0, v6
	s_and_b32 s0, vcc_lo, s0
	v_cndmask_b32_e64 v6, 0, 1, s0
	s_delay_alu instid0(VALU_DEP_1)
	v_add_nc_u32_e32 v6, v3, v6
.LBB167_3852:
	s_or_b32 exec_lo, exec_lo, s6
	s_mov_b32 s0, 0
	s_mov_b32 s6, -1
	global_store_b8 v[4:5], v6, off
.LBB167_3853:
	s_mov_b32 s7, 0
.LBB167_3854:
	s_delay_alu instid0(SALU_CYCLE_1)
	s_and_b32 vcc_lo, exec_lo, s7
	s_cbranch_vccz .LBB167_3857
; %bb.3855:
	s_cmp_eq_u32 s2, 29
	s_mov_b32 s0, -1
	s_cbranch_scc0 .LBB167_3857
; %bb.3856:
	s_wait_xcnt 0x0
	v_lshlrev_b32_e32 v3, 16, v1
	s_mov_b32 s0, 0
	s_mov_b32 s6, -1
	s_delay_alu instid0(VALU_DEP_1) | instskip(NEXT) | instid1(VALU_DEP_1)
	v_trunc_f32_e32 v3, v3
	v_mul_f32_e32 v6, 0x2f800000, v3
	s_delay_alu instid0(VALU_DEP_1) | instskip(NEXT) | instid1(VALU_DEP_1)
	v_floor_f32_e32 v6, v6
	v_fmamk_f32 v3, v6, 0xcf800000, v3
	v_cvt_u32_f32_e32 v7, v6
	s_delay_alu instid0(VALU_DEP_2)
	v_cvt_u32_f32_e32 v6, v3
	global_store_b64 v[4:5], v[6:7], off
.LBB167_3857:
	s_mov_b32 s7, 0
.LBB167_3858:
	s_delay_alu instid0(SALU_CYCLE_1)
	s_and_b32 vcc_lo, exec_lo, s7
	s_cbranch_vccz .LBB167_3874
; %bb.3859:
	s_cmp_lt_i32 s2, 27
	s_mov_b32 s6, -1
	s_cbranch_scc1 .LBB167_3865
; %bb.3860:
	s_cmp_gt_i32 s2, 27
	s_cbranch_scc0 .LBB167_3862
; %bb.3861:
	s_wait_xcnt 0x0
	v_lshlrev_b32_e32 v3, 16, v1
	s_mov_b32 s6, 0
	s_delay_alu instid0(VALU_DEP_1)
	v_cvt_u32_f32_e32 v3, v3
	global_store_b32 v[4:5], v3, off
.LBB167_3862:
	s_and_not1_b32 vcc_lo, exec_lo, s6
	s_cbranch_vccnz .LBB167_3864
; %bb.3863:
	s_wait_xcnt 0x0
	v_lshlrev_b32_e32 v3, 16, v1
	s_delay_alu instid0(VALU_DEP_1)
	v_cvt_u32_f32_e32 v3, v3
	global_store_b16 v[4:5], v3, off
.LBB167_3864:
	s_mov_b32 s6, 0
.LBB167_3865:
	s_delay_alu instid0(SALU_CYCLE_1)
	s_and_not1_b32 vcc_lo, exec_lo, s6
	s_cbranch_vccnz .LBB167_3873
; %bb.3866:
	s_wait_xcnt 0x0
	v_dual_mov_b32 v8, 0x80 :: v_dual_lshlrev_b32 v7, 16, v1
	s_mov_b32 s6, exec_lo
	s_delay_alu instid0(VALU_DEP_1) | instskip(NEXT) | instid1(VALU_DEP_1)
	v_and_b32_e32 v6, 0x7fffffff, v7
	v_cmpx_gt_u32_e32 0x43800000, v6
	s_cbranch_execz .LBB167_3872
; %bb.3867:
	v_and_b32_e32 v3, 0xffff, v1
	v_cmp_lt_u32_e32 vcc_lo, 0x3bffffff, v6
	s_mov_b32 s7, 0
                                        ; implicit-def: $vgpr6
	s_and_saveexec_b32 s8, vcc_lo
	s_delay_alu instid0(SALU_CYCLE_1)
	s_xor_b32 s8, exec_lo, s8
	s_cbranch_execz .LBB167_4207
; %bb.3868:
	v_bfe_u32 v6, v3, 4, 1
	s_mov_b32 s7, exec_lo
	s_delay_alu instid0(VALU_DEP_1) | instskip(NEXT) | instid1(VALU_DEP_1)
	v_add3_u32 v6, v7, v6, 0x487ffff
                                        ; implicit-def: $vgpr7
	v_lshrrev_b32_e32 v6, 20, v6
	s_and_not1_saveexec_b32 s8, s8
	s_cbranch_execnz .LBB167_4208
.LBB167_3869:
	s_or_b32 exec_lo, exec_lo, s8
	v_mov_b32_e32 v8, 0
	s_and_saveexec_b32 s8, s7
.LBB167_3870:
	v_lshrrev_b32_e32 v3, 8, v3
	s_delay_alu instid0(VALU_DEP_1)
	v_and_or_b32 v8, 0x80, v3, v6
.LBB167_3871:
	s_or_b32 exec_lo, exec_lo, s8
.LBB167_3872:
	s_delay_alu instid0(SALU_CYCLE_1)
	s_or_b32 exec_lo, exec_lo, s6
	global_store_b8 v[4:5], v8, off
.LBB167_3873:
	s_mov_b32 s6, -1
.LBB167_3874:
	s_mov_b32 s7, 0
.LBB167_3875:
	s_delay_alu instid0(SALU_CYCLE_1)
	s_and_b32 vcc_lo, exec_lo, s7
	s_cbranch_vccz .LBB167_3915
; %bb.3876:
	s_cmp_gt_i32 s2, 22
	s_mov_b32 s3, -1
	s_cbranch_scc0 .LBB167_3908
; %bb.3877:
	s_cmp_lt_i32 s2, 24
	s_cbranch_scc1 .LBB167_3897
; %bb.3878:
	s_cmp_gt_i32 s2, 24
	s_cbranch_scc0 .LBB167_3886
; %bb.3879:
	s_wait_xcnt 0x0
	v_dual_mov_b32 v8, 0x80 :: v_dual_lshlrev_b32 v7, 16, v1
	s_mov_b32 s3, exec_lo
	s_delay_alu instid0(VALU_DEP_1) | instskip(NEXT) | instid1(VALU_DEP_1)
	v_and_b32_e32 v6, 0x7fffffff, v7
	v_cmpx_gt_u32_e32 0x47800000, v6
	s_cbranch_execz .LBB167_3885
; %bb.3880:
	v_and_b32_e32 v3, 0xffff, v1
	v_cmp_lt_u32_e32 vcc_lo, 0x37ffffff, v6
	s_mov_b32 s6, 0
                                        ; implicit-def: $vgpr6
	s_and_saveexec_b32 s7, vcc_lo
	s_delay_alu instid0(SALU_CYCLE_1)
	s_xor_b32 s7, exec_lo, s7
	s_cbranch_execz .LBB167_4210
; %bb.3881:
	v_bfe_u32 v6, v3, 5, 1
	s_mov_b32 s6, exec_lo
	s_delay_alu instid0(VALU_DEP_1) | instskip(NEXT) | instid1(VALU_DEP_1)
	v_add3_u32 v6, v7, v6, 0x88fffff
                                        ; implicit-def: $vgpr7
	v_lshrrev_b32_e32 v6, 21, v6
	s_and_not1_saveexec_b32 s7, s7
	s_cbranch_execnz .LBB167_4211
.LBB167_3882:
	s_or_b32 exec_lo, exec_lo, s7
	v_mov_b32_e32 v8, 0
	s_and_saveexec_b32 s7, s6
.LBB167_3883:
	v_lshrrev_b32_e32 v3, 8, v3
	s_delay_alu instid0(VALU_DEP_1)
	v_and_or_b32 v8, 0x80, v3, v6
.LBB167_3884:
	s_or_b32 exec_lo, exec_lo, s7
.LBB167_3885:
	s_delay_alu instid0(SALU_CYCLE_1)
	s_or_b32 exec_lo, exec_lo, s3
	s_mov_b32 s3, 0
	global_store_b8 v[4:5], v8, off
.LBB167_3886:
	s_and_b32 vcc_lo, exec_lo, s3
	s_cbranch_vccz .LBB167_3896
; %bb.3887:
	s_wait_xcnt 0x0
	v_lshlrev_b32_e32 v7, 16, v1
	v_and_b32_e32 v3, 0xffff, v1
	s_mov_b32 s3, exec_lo
                                        ; implicit-def: $vgpr6
	s_delay_alu instid0(VALU_DEP_2) | instskip(NEXT) | instid1(VALU_DEP_1)
	v_and_b32_e32 v8, 0x7fffffff, v7
	v_cmpx_gt_u32_e32 0x43f00000, v8
	s_xor_b32 s3, exec_lo, s3
	s_cbranch_execz .LBB167_3893
; %bb.3888:
	s_mov_b32 s6, exec_lo
                                        ; implicit-def: $vgpr6
	v_cmpx_lt_u32_e32 0x3c7fffff, v8
	s_xor_b32 s6, exec_lo, s6
; %bb.3889:
	v_bfe_u32 v6, v3, 4, 1
	s_delay_alu instid0(VALU_DEP_1) | instskip(NEXT) | instid1(VALU_DEP_1)
	v_add3_u32 v6, v7, v6, 0x407ffff
	v_and_b32_e32 v7, 0xff00000, v6
	v_lshrrev_b32_e32 v6, 20, v6
	s_delay_alu instid0(VALU_DEP_2) | instskip(NEXT) | instid1(VALU_DEP_2)
	v_cmp_ne_u32_e32 vcc_lo, 0x7f00000, v7
                                        ; implicit-def: $vgpr7
	v_cndmask_b32_e32 v6, 0x7e, v6, vcc_lo
; %bb.3890:
	s_and_not1_saveexec_b32 s6, s6
; %bb.3891:
	v_add_f32_e64 v6, 0x46800000, |v7|
; %bb.3892:
	s_or_b32 exec_lo, exec_lo, s6
                                        ; implicit-def: $vgpr8
.LBB167_3893:
	s_and_not1_saveexec_b32 s3, s3
; %bb.3894:
	v_mov_b32_e32 v6, 0x7f
	v_cmp_lt_u32_e32 vcc_lo, 0x7f800000, v8
	s_delay_alu instid0(VALU_DEP_2)
	v_cndmask_b32_e32 v6, 0x7e, v6, vcc_lo
; %bb.3895:
	s_or_b32 exec_lo, exec_lo, s3
	v_lshrrev_b32_e32 v3, 8, v3
	s_delay_alu instid0(VALU_DEP_1)
	v_and_or_b32 v3, 0x80, v3, v6
	global_store_b8 v[4:5], v3, off
.LBB167_3896:
	s_mov_b32 s3, 0
.LBB167_3897:
	s_delay_alu instid0(SALU_CYCLE_1)
	s_and_not1_b32 vcc_lo, exec_lo, s3
	s_cbranch_vccnz .LBB167_3907
; %bb.3898:
	s_wait_xcnt 0x0
	v_lshlrev_b32_e32 v7, 16, v1
	v_and_b32_e32 v3, 0xffff, v1
	s_mov_b32 s3, exec_lo
                                        ; implicit-def: $vgpr6
	s_delay_alu instid0(VALU_DEP_2) | instskip(NEXT) | instid1(VALU_DEP_1)
	v_and_b32_e32 v8, 0x7fffffff, v7
	v_cmpx_gt_u32_e32 0x47800000, v8
	s_xor_b32 s3, exec_lo, s3
	s_cbranch_execz .LBB167_3904
; %bb.3899:
	s_mov_b32 s6, exec_lo
                                        ; implicit-def: $vgpr6
	v_cmpx_lt_u32_e32 0x387fffff, v8
	s_xor_b32 s6, exec_lo, s6
; %bb.3900:
	v_bfe_u32 v6, v3, 5, 1
	s_delay_alu instid0(VALU_DEP_1) | instskip(NEXT) | instid1(VALU_DEP_1)
	v_add3_u32 v6, v7, v6, 0x80fffff
                                        ; implicit-def: $vgpr7
	v_lshrrev_b32_e32 v6, 21, v6
; %bb.3901:
	s_and_not1_saveexec_b32 s6, s6
; %bb.3902:
	v_add_f32_e64 v6, 0x43000000, |v7|
; %bb.3903:
	s_or_b32 exec_lo, exec_lo, s6
                                        ; implicit-def: $vgpr8
.LBB167_3904:
	s_and_not1_saveexec_b32 s3, s3
; %bb.3905:
	v_mov_b32_e32 v6, 0x7f
	v_cmp_lt_u32_e32 vcc_lo, 0x7f800000, v8
	s_delay_alu instid0(VALU_DEP_2)
	v_cndmask_b32_e32 v6, 0x7c, v6, vcc_lo
; %bb.3906:
	s_or_b32 exec_lo, exec_lo, s3
	v_lshrrev_b32_e32 v3, 8, v3
	s_delay_alu instid0(VALU_DEP_1)
	v_and_or_b32 v3, 0x80, v3, v6
	global_store_b8 v[4:5], v3, off
.LBB167_3907:
	s_mov_b32 s3, 0
	s_mov_b32 s6, -1
.LBB167_3908:
	s_and_not1_b32 vcc_lo, exec_lo, s3
	s_mov_b32 s3, 0
	s_cbranch_vccnz .LBB167_3915
; %bb.3909:
	s_cmp_gt_i32 s2, 14
	s_mov_b32 s3, -1
	s_cbranch_scc0 .LBB167_3913
; %bb.3910:
	s_cmp_eq_u32 s2, 15
	s_mov_b32 s0, -1
	s_cbranch_scc0 .LBB167_3912
; %bb.3911:
	s_mov_b32 s0, 0
	s_mov_b32 s6, -1
	global_store_b16 v[4:5], v1, off
.LBB167_3912:
	s_mov_b32 s3, 0
.LBB167_3913:
	s_delay_alu instid0(SALU_CYCLE_1)
	s_and_b32 vcc_lo, exec_lo, s3
	s_mov_b32 s3, 0
	s_cbranch_vccz .LBB167_3915
; %bb.3914:
	s_cmp_lg_u32 s2, 11
	s_mov_b32 s3, -1
	s_cselect_b32 s0, -1, 0
.LBB167_3915:
	s_delay_alu instid0(SALU_CYCLE_1)
	s_and_b32 vcc_lo, exec_lo, s0
	s_cbranch_vccnz .LBB167_4209
; %bb.3916:
	s_and_not1_b32 vcc_lo, exec_lo, s3
	s_cbranch_vccnz .LBB167_3918
.LBB167_3917:
	s_wait_xcnt 0x0
	v_and_b32_e32 v3, 0x7fff, v1
	s_mov_b32 s6, -1
	s_delay_alu instid0(VALU_DEP_1)
	v_cmp_ne_u16_e32 vcc_lo, 0, v3
	v_cndmask_b32_e64 v3, 0, 1, vcc_lo
	global_store_b8 v[4:5], v3, off
.LBB167_3918:
	s_mov_b32 s0, 0
	s_branch .LBB167_3920
.LBB167_3919:
	s_mov_b32 s0, -1
	s_mov_b32 s6, 0
.LBB167_3920:
	s_and_b32 vcc_lo, exec_lo, s0
	s_cbranch_vccz .LBB167_3959
; %bb.3921:
	s_cmp_lt_i32 s2, 5
	s_mov_b32 s0, -1
	s_cbranch_scc1 .LBB167_3942
; %bb.3922:
	s_cmp_lt_i32 s2, 8
	s_cbranch_scc1 .LBB167_3932
; %bb.3923:
	s_cmp_lt_i32 s2, 9
	s_cbranch_scc1 .LBB167_3929
; %bb.3924:
	s_cmp_gt_i32 s2, 9
	s_cbranch_scc0 .LBB167_3926
; %bb.3925:
	s_wait_xcnt 0x0
	v_dual_mov_b32 v8, 0 :: v_dual_lshlrev_b32 v3, 16, v1
	s_mov_b32 s0, 0
	s_delay_alu instid0(VALU_DEP_1) | instskip(NEXT) | instid1(VALU_DEP_2)
	v_cvt_f64_f32_e32 v[6:7], v3
	v_mov_b32_e32 v9, v8
	global_store_b128 v[4:5], v[6:9], off
.LBB167_3926:
	s_and_not1_b32 vcc_lo, exec_lo, s0
	s_cbranch_vccnz .LBB167_3928
; %bb.3927:
	s_wait_xcnt 0x0
	v_dual_mov_b32 v7, 0 :: v_dual_lshlrev_b32 v6, 16, v1
	global_store_b64 v[4:5], v[6:7], off
.LBB167_3928:
	s_mov_b32 s0, 0
.LBB167_3929:
	s_delay_alu instid0(SALU_CYCLE_1)
	s_and_not1_b32 vcc_lo, exec_lo, s0
	s_cbranch_vccnz .LBB167_3931
; %bb.3930:
	s_wait_xcnt 0x0
	v_lshlrev_b32_e32 v3, 16, v1
	s_delay_alu instid0(VALU_DEP_1) | instskip(NEXT) | instid1(VALU_DEP_1)
	v_cvt_f16_f32_e32 v3, v3
	v_and_b32_e32 v3, 0xffff, v3
	global_store_b32 v[4:5], v3, off
.LBB167_3931:
	s_mov_b32 s0, 0
.LBB167_3932:
	s_delay_alu instid0(SALU_CYCLE_1)
	s_and_not1_b32 vcc_lo, exec_lo, s0
	s_cbranch_vccnz .LBB167_3941
; %bb.3933:
	s_cmp_lt_i32 s2, 6
	s_mov_b32 s0, -1
	s_cbranch_scc1 .LBB167_3939
; %bb.3934:
	s_cmp_gt_i32 s2, 6
	s_cbranch_scc0 .LBB167_3936
; %bb.3935:
	s_wait_xcnt 0x0
	v_lshlrev_b32_e32 v3, 16, v1
	s_mov_b32 s0, 0
	s_delay_alu instid0(VALU_DEP_1)
	v_cvt_f64_f32_e32 v[6:7], v3
	global_store_b64 v[4:5], v[6:7], off
.LBB167_3936:
	s_and_not1_b32 vcc_lo, exec_lo, s0
	s_cbranch_vccnz .LBB167_3938
; %bb.3937:
	s_wait_xcnt 0x0
	v_lshlrev_b32_e32 v3, 16, v1
	global_store_b32 v[4:5], v3, off
.LBB167_3938:
	s_mov_b32 s0, 0
.LBB167_3939:
	s_delay_alu instid0(SALU_CYCLE_1)
	s_and_not1_b32 vcc_lo, exec_lo, s0
	s_cbranch_vccnz .LBB167_3941
; %bb.3940:
	s_wait_xcnt 0x0
	v_lshlrev_b32_e32 v3, 16, v1
	s_delay_alu instid0(VALU_DEP_1)
	v_cvt_f16_f32_e32 v3, v3
	global_store_b16 v[4:5], v3, off
.LBB167_3941:
	s_mov_b32 s0, 0
.LBB167_3942:
	s_delay_alu instid0(SALU_CYCLE_1)
	s_and_not1_b32 vcc_lo, exec_lo, s0
	s_cbranch_vccnz .LBB167_3958
; %bb.3943:
	s_cmp_lt_i32 s2, 2
	s_mov_b32 s0, -1
	s_cbranch_scc1 .LBB167_3953
; %bb.3944:
	s_cmp_lt_i32 s2, 3
	s_cbranch_scc1 .LBB167_3950
; %bb.3945:
	s_cmp_gt_i32 s2, 3
	s_cbranch_scc0 .LBB167_3947
; %bb.3946:
	s_wait_xcnt 0x0
	v_lshlrev_b32_e32 v3, 16, v1
	s_mov_b32 s0, 0
	s_delay_alu instid0(VALU_DEP_1) | instskip(NEXT) | instid1(VALU_DEP_1)
	v_trunc_f32_e32 v3, v3
	v_mul_f32_e64 v6, 0x2f800000, |v3|
	s_delay_alu instid0(VALU_DEP_1) | instskip(SKIP_1) | instid1(VALU_DEP_2)
	v_floor_f32_e32 v7, v6
	v_ashrrev_i32_e32 v6, 31, v3
	v_fma_f32 v8, 0xcf800000, v7, |v3|
	v_cvt_u32_f32_e32 v3, v7
	s_delay_alu instid0(VALU_DEP_3) | instskip(NEXT) | instid1(VALU_DEP_3)
	v_mov_b32_e32 v7, v6
	v_cvt_u32_f32_e32 v8, v8
	s_delay_alu instid0(VALU_DEP_3) | instskip(NEXT) | instid1(VALU_DEP_2)
	v_xor_b32_e32 v9, v3, v6
	v_xor_b32_e32 v8, v8, v6
	s_delay_alu instid0(VALU_DEP_1)
	v_sub_nc_u64_e32 v[6:7], v[8:9], v[6:7]
	global_store_b64 v[4:5], v[6:7], off
.LBB167_3947:
	s_and_not1_b32 vcc_lo, exec_lo, s0
	s_cbranch_vccnz .LBB167_3949
; %bb.3948:
	s_wait_xcnt 0x0
	v_lshlrev_b32_e32 v3, 16, v1
	s_delay_alu instid0(VALU_DEP_1)
	v_cvt_i32_f32_e32 v3, v3
	global_store_b32 v[4:5], v3, off
.LBB167_3949:
	s_mov_b32 s0, 0
.LBB167_3950:
	s_delay_alu instid0(SALU_CYCLE_1)
	s_and_not1_b32 vcc_lo, exec_lo, s0
	s_cbranch_vccnz .LBB167_3952
; %bb.3951:
	s_wait_xcnt 0x0
	v_lshlrev_b32_e32 v3, 16, v1
	s_delay_alu instid0(VALU_DEP_1)
	v_cvt_i32_f32_e32 v3, v3
	global_store_b16 v[4:5], v3, off
.LBB167_3952:
	s_mov_b32 s0, 0
.LBB167_3953:
	s_delay_alu instid0(SALU_CYCLE_1)
	s_and_not1_b32 vcc_lo, exec_lo, s0
	s_cbranch_vccnz .LBB167_3958
; %bb.3954:
	s_wait_xcnt 0x0
	v_lshlrev_b32_e32 v1, 16, v1
	s_cmp_gt_i32 s2, 0
	s_mov_b32 s0, -1
	s_cbranch_scc0 .LBB167_3956
; %bb.3955:
	s_delay_alu instid0(VALU_DEP_1)
	v_cvt_i32_f32_e32 v3, v1
	s_mov_b32 s0, 0
	global_store_b8 v[4:5], v3, off
.LBB167_3956:
	s_and_not1_b32 vcc_lo, exec_lo, s0
	s_cbranch_vccnz .LBB167_3958
; %bb.3957:
	v_trunc_f32_e32 v1, v1
	s_wait_xcnt 0x0
	s_delay_alu instid0(VALU_DEP_1) | instskip(NEXT) | instid1(VALU_DEP_1)
	v_mul_f32_e64 v3, 0x2f800000, |v1|
	v_floor_f32_e32 v3, v3
	s_delay_alu instid0(VALU_DEP_1) | instskip(SKIP_1) | instid1(VALU_DEP_2)
	v_fma_f32 v3, 0xcf800000, v3, |v1|
	v_ashrrev_i32_e32 v1, 31, v1
	v_cvt_u32_f32_e32 v3, v3
	s_delay_alu instid0(VALU_DEP_1) | instskip(NEXT) | instid1(VALU_DEP_1)
	v_xor_b32_e32 v3, v3, v1
	v_sub_nc_u32_e32 v1, v3, v1
	global_store_b8 v[4:5], v1, off
.LBB167_3958:
	s_mov_b32 s6, -1
.LBB167_3959:
	s_delay_alu instid0(SALU_CYCLE_1)
	s_and_not1_b32 vcc_lo, exec_lo, s6
	s_cbranch_vccnz .LBB167_4155
; %bb.3960:
	s_wait_xcnt 0x0
	v_dual_lshlrev_b32 v1, 16, v18 :: v_dual_lshlrev_b32 v4, 16, v20
	s_cmp_lt_i32 s2, 11
	s_delay_alu instid0(VALU_DEP_1) | instskip(SKIP_1) | instid1(VALU_DEP_1)
	v_cmp_gt_f32_e32 vcc_lo, v4, v1
	v_cndmask_b32_e32 v3, v18, v20, vcc_lo
	v_dual_lshlrev_b32 v5, 16, v16 :: v_dual_lshlrev_b32 v6, 16, v3
	s_delay_alu instid0(VALU_DEP_1) | instskip(SKIP_2) | instid1(VALU_DEP_2)
	v_cmp_lt_f32_e32 vcc_lo, v6, v5
	v_cndmask_b32_e32 v3, v16, v3, vcc_lo
	v_cmp_u_f32_e32 vcc_lo, v5, v5
	v_dual_cndmask_b32 v5, v3, v16, vcc_lo :: v_dual_mov_b32 v3, 0
	v_cmp_u_f32_e32 vcc_lo, v1, v1
	s_delay_alu instid0(VALU_DEP_2) | instskip(NEXT) | instid1(VALU_DEP_3)
	v_add_nc_u64_e32 v[2:3], s[4:5], v[2:3]
	v_cndmask_b32_e32 v1, v5, v18, vcc_lo
	v_cmp_u_f32_e32 vcc_lo, v4, v4
	s_delay_alu instid0(VALU_DEP_2)
	v_cndmask_b32_e32 v1, v1, v20, vcc_lo
	s_cbranch_scc1 .LBB167_4038
; %bb.3961:
	s_mov_b32 s7, -1
	s_mov_b32 s3, 0
	s_cmp_gt_i32 s2, 25
	s_mov_b32 s6, 0
	s_mov_b32 s0, 0
	s_cbranch_scc0 .LBB167_3994
; %bb.3962:
	s_cmp_gt_i32 s2, 28
	s_cbranch_scc0 .LBB167_3977
; %bb.3963:
	s_cmp_gt_i32 s2, 43
	;; [unrolled: 3-line block ×3, first 2 shown]
	s_cbranch_scc0 .LBB167_3967
; %bb.3965:
	s_mov_b32 s0, -1
	s_mov_b32 s7, 0
	s_cmp_eq_u32 s2, 46
	s_cbranch_scc0 .LBB167_3967
; %bb.3966:
	v_and_b32_e32 v4, 0xffff, v1
	s_mov_b32 s0, 0
	s_mov_b32 s6, -1
	global_store_b32 v[2:3], v4, off
.LBB167_3967:
	s_and_b32 vcc_lo, exec_lo, s7
	s_cbranch_vccz .LBB167_3972
; %bb.3968:
	s_cmp_eq_u32 s2, 44
	s_mov_b32 s0, -1
	s_cbranch_scc0 .LBB167_3972
; %bb.3969:
	s_wait_xcnt 0x0
	v_and_b32_e32 v4, 0xffff, v1
	v_mov_b32_e32 v5, 0xff
	s_mov_b32 s6, exec_lo
	s_delay_alu instid0(VALU_DEP_2) | instskip(NEXT) | instid1(VALU_DEP_1)
	v_bfe_u32 v6, v4, 7, 8
	v_cmpx_ne_u32_e32 0xff, v6
	s_cbranch_execz .LBB167_3971
; %bb.3970:
	v_dual_lshlrev_b32 v5, 16, v4 :: v_dual_bitop2_b32 v7, 64, v4 bitop3:0x40
	v_lshrrev_b32_e32 v4, 7, v4
	s_delay_alu instid0(VALU_DEP_2) | instskip(NEXT) | instid1(VALU_DEP_3)
	v_and_or_b32 v5, 0x3f0000, v5, v6
	v_cmp_ne_u32_e32 vcc_lo, 0, v7
	s_delay_alu instid0(VALU_DEP_2) | instskip(SKIP_1) | instid1(SALU_CYCLE_1)
	v_cmp_ne_u32_e64 s0, 0, v5
	s_and_b32 s0, vcc_lo, s0
	v_cndmask_b32_e64 v5, 0, 1, s0
	s_delay_alu instid0(VALU_DEP_1)
	v_add_nc_u32_e32 v5, v4, v5
.LBB167_3971:
	s_or_b32 exec_lo, exec_lo, s6
	s_mov_b32 s0, 0
	s_mov_b32 s6, -1
	global_store_b8 v[2:3], v5, off
.LBB167_3972:
	s_mov_b32 s7, 0
.LBB167_3973:
	s_delay_alu instid0(SALU_CYCLE_1)
	s_and_b32 vcc_lo, exec_lo, s7
	s_cbranch_vccz .LBB167_3976
; %bb.3974:
	s_cmp_eq_u32 s2, 29
	s_mov_b32 s0, -1
	s_cbranch_scc0 .LBB167_3976
; %bb.3975:
	s_wait_xcnt 0x0
	v_lshlrev_b32_e32 v4, 16, v1
	s_mov_b32 s0, 0
	s_mov_b32 s6, -1
	s_delay_alu instid0(VALU_DEP_1) | instskip(NEXT) | instid1(VALU_DEP_1)
	v_trunc_f32_e32 v4, v4
	v_mul_f32_e32 v5, 0x2f800000, v4
	s_delay_alu instid0(VALU_DEP_1) | instskip(NEXT) | instid1(VALU_DEP_1)
	v_floor_f32_e32 v5, v5
	v_fmamk_f32 v4, v5, 0xcf800000, v4
	v_cvt_u32_f32_e32 v5, v5
	s_delay_alu instid0(VALU_DEP_2)
	v_cvt_u32_f32_e32 v4, v4
	global_store_b64 v[2:3], v[4:5], off
.LBB167_3976:
	s_mov_b32 s7, 0
.LBB167_3977:
	s_delay_alu instid0(SALU_CYCLE_1)
	s_and_b32 vcc_lo, exec_lo, s7
	s_cbranch_vccz .LBB167_3993
; %bb.3978:
	s_cmp_lt_i32 s2, 27
	s_mov_b32 s6, -1
	s_cbranch_scc1 .LBB167_3984
; %bb.3979:
	s_cmp_gt_i32 s2, 27
	s_cbranch_scc0 .LBB167_3981
; %bb.3980:
	s_wait_xcnt 0x0
	v_lshlrev_b32_e32 v4, 16, v1
	s_mov_b32 s6, 0
	s_delay_alu instid0(VALU_DEP_1)
	v_cvt_u32_f32_e32 v4, v4
	global_store_b32 v[2:3], v4, off
.LBB167_3981:
	s_and_not1_b32 vcc_lo, exec_lo, s6
	s_cbranch_vccnz .LBB167_3983
; %bb.3982:
	s_wait_xcnt 0x0
	v_lshlrev_b32_e32 v4, 16, v1
	s_delay_alu instid0(VALU_DEP_1)
	v_cvt_u32_f32_e32 v4, v4
	global_store_b16 v[2:3], v4, off
.LBB167_3983:
	s_mov_b32 s6, 0
.LBB167_3984:
	s_delay_alu instid0(SALU_CYCLE_1)
	s_and_not1_b32 vcc_lo, exec_lo, s6
	s_cbranch_vccnz .LBB167_3992
; %bb.3985:
	v_dual_mov_b32 v7, 0x80 :: v_dual_lshlrev_b32 v6, 16, v1
	s_mov_b32 s6, exec_lo
	s_wait_xcnt 0x0
	s_delay_alu instid0(VALU_DEP_1) | instskip(NEXT) | instid1(VALU_DEP_1)
	v_and_b32_e32 v5, 0x7fffffff, v6
	v_cmpx_gt_u32_e32 0x43800000, v5
	s_cbranch_execz .LBB167_3991
; %bb.3986:
	v_and_b32_e32 v4, 0xffff, v1
	v_cmp_lt_u32_e32 vcc_lo, 0x3bffffff, v5
	s_mov_b32 s7, 0
                                        ; implicit-def: $vgpr5
	s_and_saveexec_b32 s8, vcc_lo
	s_delay_alu instid0(SALU_CYCLE_1)
	s_xor_b32 s8, exec_lo, s8
	s_cbranch_execz .LBB167_4212
; %bb.3987:
	v_bfe_u32 v5, v4, 4, 1
	s_mov_b32 s7, exec_lo
	s_delay_alu instid0(VALU_DEP_1) | instskip(NEXT) | instid1(VALU_DEP_1)
	v_add3_u32 v5, v6, v5, 0x487ffff
                                        ; implicit-def: $vgpr6
	v_lshrrev_b32_e32 v5, 20, v5
	s_and_not1_saveexec_b32 s8, s8
	s_cbranch_execnz .LBB167_4213
.LBB167_3988:
	s_or_b32 exec_lo, exec_lo, s8
	v_mov_b32_e32 v7, 0
	s_and_saveexec_b32 s8, s7
.LBB167_3989:
	v_lshrrev_b32_e32 v4, 8, v4
	s_delay_alu instid0(VALU_DEP_1)
	v_and_or_b32 v7, 0x80, v4, v5
.LBB167_3990:
	s_or_b32 exec_lo, exec_lo, s8
.LBB167_3991:
	s_delay_alu instid0(SALU_CYCLE_1)
	s_or_b32 exec_lo, exec_lo, s6
	global_store_b8 v[2:3], v7, off
.LBB167_3992:
	s_mov_b32 s6, -1
.LBB167_3993:
	s_mov_b32 s7, 0
.LBB167_3994:
	s_delay_alu instid0(SALU_CYCLE_1)
	s_and_b32 vcc_lo, exec_lo, s7
	s_cbranch_vccz .LBB167_4034
; %bb.3995:
	s_cmp_gt_i32 s2, 22
	s_mov_b32 s3, -1
	s_cbranch_scc0 .LBB167_4027
; %bb.3996:
	s_cmp_lt_i32 s2, 24
	s_cbranch_scc1 .LBB167_4016
; %bb.3997:
	s_cmp_gt_i32 s2, 24
	s_cbranch_scc0 .LBB167_4005
; %bb.3998:
	s_wait_xcnt 0x0
	v_dual_mov_b32 v7, 0x80 :: v_dual_lshlrev_b32 v6, 16, v1
	s_mov_b32 s3, exec_lo
	s_delay_alu instid0(VALU_DEP_1) | instskip(NEXT) | instid1(VALU_DEP_1)
	v_and_b32_e32 v5, 0x7fffffff, v6
	v_cmpx_gt_u32_e32 0x47800000, v5
	s_cbranch_execz .LBB167_4004
; %bb.3999:
	v_and_b32_e32 v4, 0xffff, v1
	v_cmp_lt_u32_e32 vcc_lo, 0x37ffffff, v5
	s_mov_b32 s6, 0
                                        ; implicit-def: $vgpr5
	s_and_saveexec_b32 s7, vcc_lo
	s_delay_alu instid0(SALU_CYCLE_1)
	s_xor_b32 s7, exec_lo, s7
	s_cbranch_execz .LBB167_4215
; %bb.4000:
	v_bfe_u32 v5, v4, 5, 1
	s_mov_b32 s6, exec_lo
	s_delay_alu instid0(VALU_DEP_1) | instskip(NEXT) | instid1(VALU_DEP_1)
	v_add3_u32 v5, v6, v5, 0x88fffff
                                        ; implicit-def: $vgpr6
	v_lshrrev_b32_e32 v5, 21, v5
	s_and_not1_saveexec_b32 s7, s7
	s_cbranch_execnz .LBB167_4216
.LBB167_4001:
	s_or_b32 exec_lo, exec_lo, s7
	v_mov_b32_e32 v7, 0
	s_and_saveexec_b32 s7, s6
.LBB167_4002:
	v_lshrrev_b32_e32 v4, 8, v4
	s_delay_alu instid0(VALU_DEP_1)
	v_and_or_b32 v7, 0x80, v4, v5
.LBB167_4003:
	s_or_b32 exec_lo, exec_lo, s7
.LBB167_4004:
	s_delay_alu instid0(SALU_CYCLE_1)
	s_or_b32 exec_lo, exec_lo, s3
	s_mov_b32 s3, 0
	global_store_b8 v[2:3], v7, off
.LBB167_4005:
	s_and_b32 vcc_lo, exec_lo, s3
	s_cbranch_vccz .LBB167_4015
; %bb.4006:
	v_lshlrev_b32_e32 v6, 16, v1
	s_wait_xcnt 0x0
	v_and_b32_e32 v4, 0xffff, v1
	s_mov_b32 s3, exec_lo
                                        ; implicit-def: $vgpr5
	s_delay_alu instid0(VALU_DEP_2) | instskip(NEXT) | instid1(VALU_DEP_1)
	v_and_b32_e32 v7, 0x7fffffff, v6
	v_cmpx_gt_u32_e32 0x43f00000, v7
	s_xor_b32 s3, exec_lo, s3
	s_cbranch_execz .LBB167_4012
; %bb.4007:
	s_mov_b32 s6, exec_lo
                                        ; implicit-def: $vgpr5
	v_cmpx_lt_u32_e32 0x3c7fffff, v7
	s_xor_b32 s6, exec_lo, s6
; %bb.4008:
	v_bfe_u32 v5, v4, 4, 1
	s_delay_alu instid0(VALU_DEP_1) | instskip(NEXT) | instid1(VALU_DEP_1)
	v_add3_u32 v5, v6, v5, 0x407ffff
	v_and_b32_e32 v6, 0xff00000, v5
	v_lshrrev_b32_e32 v5, 20, v5
	s_delay_alu instid0(VALU_DEP_2) | instskip(NEXT) | instid1(VALU_DEP_2)
	v_cmp_ne_u32_e32 vcc_lo, 0x7f00000, v6
                                        ; implicit-def: $vgpr6
	v_cndmask_b32_e32 v5, 0x7e, v5, vcc_lo
; %bb.4009:
	s_and_not1_saveexec_b32 s6, s6
; %bb.4010:
	v_add_f32_e64 v5, 0x46800000, |v6|
; %bb.4011:
	s_or_b32 exec_lo, exec_lo, s6
                                        ; implicit-def: $vgpr7
.LBB167_4012:
	s_and_not1_saveexec_b32 s3, s3
; %bb.4013:
	v_mov_b32_e32 v5, 0x7f
	v_cmp_lt_u32_e32 vcc_lo, 0x7f800000, v7
	s_delay_alu instid0(VALU_DEP_2)
	v_cndmask_b32_e32 v5, 0x7e, v5, vcc_lo
; %bb.4014:
	s_or_b32 exec_lo, exec_lo, s3
	v_lshrrev_b32_e32 v4, 8, v4
	s_delay_alu instid0(VALU_DEP_1)
	v_and_or_b32 v4, 0x80, v4, v5
	global_store_b8 v[2:3], v4, off
.LBB167_4015:
	s_mov_b32 s3, 0
.LBB167_4016:
	s_delay_alu instid0(SALU_CYCLE_1)
	s_and_not1_b32 vcc_lo, exec_lo, s3
	s_cbranch_vccnz .LBB167_4026
; %bb.4017:
	v_lshlrev_b32_e32 v6, 16, v1
	s_wait_xcnt 0x0
	v_and_b32_e32 v4, 0xffff, v1
	s_mov_b32 s3, exec_lo
                                        ; implicit-def: $vgpr5
	s_delay_alu instid0(VALU_DEP_2) | instskip(NEXT) | instid1(VALU_DEP_1)
	v_and_b32_e32 v7, 0x7fffffff, v6
	v_cmpx_gt_u32_e32 0x47800000, v7
	s_xor_b32 s3, exec_lo, s3
	s_cbranch_execz .LBB167_4023
; %bb.4018:
	s_mov_b32 s6, exec_lo
                                        ; implicit-def: $vgpr5
	v_cmpx_lt_u32_e32 0x387fffff, v7
	s_xor_b32 s6, exec_lo, s6
; %bb.4019:
	v_bfe_u32 v5, v4, 5, 1
	s_delay_alu instid0(VALU_DEP_1) | instskip(NEXT) | instid1(VALU_DEP_1)
	v_add3_u32 v5, v6, v5, 0x80fffff
                                        ; implicit-def: $vgpr6
	v_lshrrev_b32_e32 v5, 21, v5
; %bb.4020:
	s_and_not1_saveexec_b32 s6, s6
; %bb.4021:
	v_add_f32_e64 v5, 0x43000000, |v6|
; %bb.4022:
	s_or_b32 exec_lo, exec_lo, s6
                                        ; implicit-def: $vgpr7
.LBB167_4023:
	s_and_not1_saveexec_b32 s3, s3
; %bb.4024:
	v_mov_b32_e32 v5, 0x7f
	v_cmp_lt_u32_e32 vcc_lo, 0x7f800000, v7
	s_delay_alu instid0(VALU_DEP_2)
	v_cndmask_b32_e32 v5, 0x7c, v5, vcc_lo
; %bb.4025:
	s_or_b32 exec_lo, exec_lo, s3
	v_lshrrev_b32_e32 v4, 8, v4
	s_delay_alu instid0(VALU_DEP_1)
	v_and_or_b32 v4, 0x80, v4, v5
	global_store_b8 v[2:3], v4, off
.LBB167_4026:
	s_mov_b32 s3, 0
	s_mov_b32 s6, -1
.LBB167_4027:
	s_and_not1_b32 vcc_lo, exec_lo, s3
	s_mov_b32 s3, 0
	s_cbranch_vccnz .LBB167_4034
; %bb.4028:
	s_cmp_gt_i32 s2, 14
	s_mov_b32 s3, -1
	s_cbranch_scc0 .LBB167_4032
; %bb.4029:
	s_cmp_eq_u32 s2, 15
	s_mov_b32 s0, -1
	s_cbranch_scc0 .LBB167_4031
; %bb.4030:
	s_mov_b32 s0, 0
	s_mov_b32 s6, -1
	global_store_b16 v[2:3], v1, off
.LBB167_4031:
	s_mov_b32 s3, 0
.LBB167_4032:
	s_delay_alu instid0(SALU_CYCLE_1)
	s_and_b32 vcc_lo, exec_lo, s3
	s_mov_b32 s3, 0
	s_cbranch_vccz .LBB167_4034
; %bb.4033:
	s_cmp_lg_u32 s2, 11
	s_mov_b32 s3, -1
	s_cselect_b32 s0, -1, 0
.LBB167_4034:
	s_delay_alu instid0(SALU_CYCLE_1)
	s_and_b32 vcc_lo, exec_lo, s0
	s_cbranch_vccnz .LBB167_4214
; %bb.4035:
	s_and_not1_b32 vcc_lo, exec_lo, s3
	s_cbranch_vccnz .LBB167_4037
.LBB167_4036:
	s_wait_xcnt 0x0
	v_and_b32_e32 v4, 0x7fff, v1
	s_mov_b32 s6, -1
	s_delay_alu instid0(VALU_DEP_1)
	v_cmp_ne_u16_e32 vcc_lo, 0, v4
	v_cndmask_b32_e64 v4, 0, 1, vcc_lo
	global_store_b8 v[2:3], v4, off
.LBB167_4037:
	s_mov_b32 s0, 0
	s_branch .LBB167_4039
.LBB167_4038:
	s_mov_b32 s0, -1
	s_mov_b32 s6, 0
.LBB167_4039:
	s_and_b32 vcc_lo, exec_lo, s0
	s_cbranch_vccz .LBB167_4078
; %bb.4040:
	s_cmp_lt_i32 s2, 5
	s_mov_b32 s0, -1
	s_cbranch_scc1 .LBB167_4061
; %bb.4041:
	s_cmp_lt_i32 s2, 8
	s_cbranch_scc1 .LBB167_4051
; %bb.4042:
	s_cmp_lt_i32 s2, 9
	s_cbranch_scc1 .LBB167_4048
; %bb.4043:
	s_cmp_gt_i32 s2, 9
	s_cbranch_scc0 .LBB167_4045
; %bb.4044:
	s_wait_xcnt 0x0
	v_dual_lshlrev_b32 v4, 16, v1 :: v_dual_mov_b32 v6, 0
	s_mov_b32 s0, 0
	s_delay_alu instid0(VALU_DEP_1) | instskip(NEXT) | instid1(VALU_DEP_2)
	v_cvt_f64_f32_e32 v[4:5], v4
	v_mov_b32_e32 v7, v6
	global_store_b128 v[2:3], v[4:7], off
.LBB167_4045:
	s_and_not1_b32 vcc_lo, exec_lo, s0
	s_cbranch_vccnz .LBB167_4047
; %bb.4046:
	s_wait_xcnt 0x0
	v_dual_mov_b32 v5, 0 :: v_dual_lshlrev_b32 v4, 16, v1
	global_store_b64 v[2:3], v[4:5], off
.LBB167_4047:
	s_mov_b32 s0, 0
.LBB167_4048:
	s_delay_alu instid0(SALU_CYCLE_1)
	s_and_not1_b32 vcc_lo, exec_lo, s0
	s_cbranch_vccnz .LBB167_4050
; %bb.4049:
	s_wait_xcnt 0x0
	v_lshlrev_b32_e32 v4, 16, v1
	s_delay_alu instid0(VALU_DEP_1) | instskip(NEXT) | instid1(VALU_DEP_1)
	v_cvt_f16_f32_e32 v4, v4
	v_and_b32_e32 v4, 0xffff, v4
	global_store_b32 v[2:3], v4, off
.LBB167_4050:
	s_mov_b32 s0, 0
.LBB167_4051:
	s_delay_alu instid0(SALU_CYCLE_1)
	s_and_not1_b32 vcc_lo, exec_lo, s0
	s_cbranch_vccnz .LBB167_4060
; %bb.4052:
	s_cmp_lt_i32 s2, 6
	s_mov_b32 s0, -1
	s_cbranch_scc1 .LBB167_4058
; %bb.4053:
	s_cmp_gt_i32 s2, 6
	s_cbranch_scc0 .LBB167_4055
; %bb.4054:
	s_wait_xcnt 0x0
	v_lshlrev_b32_e32 v4, 16, v1
	s_mov_b32 s0, 0
	s_delay_alu instid0(VALU_DEP_1)
	v_cvt_f64_f32_e32 v[4:5], v4
	global_store_b64 v[2:3], v[4:5], off
.LBB167_4055:
	s_and_not1_b32 vcc_lo, exec_lo, s0
	s_cbranch_vccnz .LBB167_4057
; %bb.4056:
	s_wait_xcnt 0x0
	v_lshlrev_b32_e32 v4, 16, v1
	global_store_b32 v[2:3], v4, off
.LBB167_4057:
	s_mov_b32 s0, 0
.LBB167_4058:
	s_delay_alu instid0(SALU_CYCLE_1)
	s_and_not1_b32 vcc_lo, exec_lo, s0
	s_cbranch_vccnz .LBB167_4060
; %bb.4059:
	s_wait_xcnt 0x0
	v_lshlrev_b32_e32 v4, 16, v1
	s_delay_alu instid0(VALU_DEP_1)
	v_cvt_f16_f32_e32 v4, v4
	global_store_b16 v[2:3], v4, off
.LBB167_4060:
	s_mov_b32 s0, 0
.LBB167_4061:
	s_delay_alu instid0(SALU_CYCLE_1)
	s_and_not1_b32 vcc_lo, exec_lo, s0
	s_cbranch_vccnz .LBB167_4077
; %bb.4062:
	s_cmp_lt_i32 s2, 2
	s_mov_b32 s0, -1
	s_cbranch_scc1 .LBB167_4072
; %bb.4063:
	s_cmp_lt_i32 s2, 3
	s_cbranch_scc1 .LBB167_4069
; %bb.4064:
	s_cmp_gt_i32 s2, 3
	s_cbranch_scc0 .LBB167_4066
; %bb.4065:
	s_wait_xcnt 0x0
	v_lshlrev_b32_e32 v4, 16, v1
	s_mov_b32 s0, 0
	s_delay_alu instid0(VALU_DEP_1) | instskip(NEXT) | instid1(VALU_DEP_1)
	v_trunc_f32_e32 v4, v4
	v_mul_f32_e64 v5, 0x2f800000, |v4|
	s_delay_alu instid0(VALU_DEP_1) | instskip(NEXT) | instid1(VALU_DEP_1)
	v_floor_f32_e32 v5, v5
	v_fma_f32 v6, 0xcf800000, v5, |v4|
	v_ashrrev_i32_e32 v4, 31, v4
	v_cvt_u32_f32_e32 v7, v5
	s_delay_alu instid0(VALU_DEP_3) | instskip(NEXT) | instid1(VALU_DEP_2)
	v_cvt_u32_f32_e32 v6, v6
	v_dual_mov_b32 v5, v4 :: v_dual_bitop2_b32 v7, v7, v4 bitop3:0x14
	s_delay_alu instid0(VALU_DEP_2) | instskip(NEXT) | instid1(VALU_DEP_1)
	v_xor_b32_e32 v6, v6, v4
	v_sub_nc_u64_e32 v[4:5], v[6:7], v[4:5]
	global_store_b64 v[2:3], v[4:5], off
.LBB167_4066:
	s_and_not1_b32 vcc_lo, exec_lo, s0
	s_cbranch_vccnz .LBB167_4068
; %bb.4067:
	s_wait_xcnt 0x0
	v_lshlrev_b32_e32 v4, 16, v1
	s_delay_alu instid0(VALU_DEP_1)
	v_cvt_i32_f32_e32 v4, v4
	global_store_b32 v[2:3], v4, off
.LBB167_4068:
	s_mov_b32 s0, 0
.LBB167_4069:
	s_delay_alu instid0(SALU_CYCLE_1)
	s_and_not1_b32 vcc_lo, exec_lo, s0
	s_cbranch_vccnz .LBB167_4071
; %bb.4070:
	s_wait_xcnt 0x0
	v_lshlrev_b32_e32 v4, 16, v1
	s_delay_alu instid0(VALU_DEP_1)
	v_cvt_i32_f32_e32 v4, v4
	global_store_b16 v[2:3], v4, off
.LBB167_4071:
	s_mov_b32 s0, 0
.LBB167_4072:
	s_delay_alu instid0(SALU_CYCLE_1)
	s_and_not1_b32 vcc_lo, exec_lo, s0
	s_cbranch_vccnz .LBB167_4077
; %bb.4073:
	s_cmp_gt_i32 s2, 0
	s_mov_b32 s0, -1
	s_cbranch_scc0 .LBB167_4075
; %bb.4074:
	s_wait_xcnt 0x0
	v_lshlrev_b32_e32 v4, 16, v1
	s_mov_b32 s0, 0
	s_delay_alu instid0(VALU_DEP_1)
	v_cvt_i32_f32_e32 v4, v4
	global_store_b8 v[2:3], v4, off
.LBB167_4075:
	s_and_not1_b32 vcc_lo, exec_lo, s0
	s_cbranch_vccnz .LBB167_4077
; %bb.4076:
	s_wait_xcnt 0x0
	v_lshlrev_b32_e32 v1, 16, v1
	s_delay_alu instid0(VALU_DEP_1) | instskip(NEXT) | instid1(VALU_DEP_1)
	v_trunc_f32_e32 v1, v1
	v_mul_f32_e64 v4, 0x2f800000, |v1|
	s_delay_alu instid0(VALU_DEP_1) | instskip(NEXT) | instid1(VALU_DEP_1)
	v_floor_f32_e32 v4, v4
	v_fma_f32 v4, 0xcf800000, v4, |v1|
	v_ashrrev_i32_e32 v1, 31, v1
	s_delay_alu instid0(VALU_DEP_2) | instskip(NEXT) | instid1(VALU_DEP_1)
	v_cvt_u32_f32_e32 v4, v4
	v_xor_b32_e32 v4, v4, v1
	s_delay_alu instid0(VALU_DEP_1)
	v_sub_nc_u32_e32 v1, v4, v1
	global_store_b8 v[2:3], v1, off
.LBB167_4077:
	s_mov_b32 s6, -1
.LBB167_4078:
	s_delay_alu instid0(SALU_CYCLE_1)
	s_and_not1_b32 vcc_lo, exec_lo, s6
	s_cbranch_vccnz .LBB167_4155
; %bb.4079:
	s_wait_xcnt 0x0
	v_dual_lshlrev_b32 v2, 16, v12 :: v_dual_lshlrev_b32 v4, 16, v14
	s_cmp_lt_i32 s2, 11
	s_delay_alu instid0(VALU_DEP_1) | instskip(SKIP_1) | instid1(VALU_DEP_1)
	v_cmp_gt_f32_e32 vcc_lo, v4, v2
	v_cndmask_b32_e32 v1, v12, v14, vcc_lo
	v_dual_lshlrev_b32 v3, 16, v10 :: v_dual_lshlrev_b32 v5, 16, v1
	s_delay_alu instid0(VALU_DEP_1) | instskip(SKIP_2) | instid1(VALU_DEP_2)
	v_cmp_lt_f32_e32 vcc_lo, v5, v3
	v_cndmask_b32_e32 v1, v10, v1, vcc_lo
	v_cmp_u_f32_e32 vcc_lo, v3, v3
	v_dual_cndmask_b32 v3, v1, v10, vcc_lo :: v_dual_mov_b32 v1, 0
	v_cmp_u_f32_e32 vcc_lo, v2, v2
	s_delay_alu instid0(VALU_DEP_2) | instskip(SKIP_1) | instid1(VALU_DEP_4)
	v_cndmask_b32_e32 v5, v3, v12, vcc_lo
	v_cmp_u_f32_e32 vcc_lo, v4, v4
	v_add_nc_u64_e32 v[2:3], s[4:5], v[0:1]
	s_delay_alu instid0(VALU_DEP_3)
	v_cndmask_b32_e32 v1, v5, v14, vcc_lo
	s_cbranch_scc1 .LBB167_4200
; %bb.4080:
	s_mov_b32 s4, -1
	s_mov_b32 s3, 0
	s_cmp_gt_i32 s2, 25
	s_mov_b32 s0, 0
	s_cbranch_scc0 .LBB167_4113
; %bb.4081:
	s_cmp_gt_i32 s2, 28
	s_cbranch_scc0 .LBB167_4097
; %bb.4082:
	s_cmp_gt_i32 s2, 43
	;; [unrolled: 3-line block ×3, first 2 shown]
	s_cbranch_scc0 .LBB167_4087
; %bb.4084:
	s_cmp_eq_u32 s2, 46
	s_mov_b32 s0, -1
	s_cbranch_scc0 .LBB167_4086
; %bb.4085:
	v_and_b32_e32 v0, 0xffff, v1
	s_mov_b32 s0, 0
	global_store_b32 v[2:3], v0, off
.LBB167_4086:
	s_mov_b32 s4, 0
.LBB167_4087:
	s_delay_alu instid0(SALU_CYCLE_1)
	s_and_b32 vcc_lo, exec_lo, s4
	s_cbranch_vccz .LBB167_4092
; %bb.4088:
	s_cmp_eq_u32 s2, 44
	s_mov_b32 s0, -1
	s_cbranch_scc0 .LBB167_4092
; %bb.4089:
	s_wait_xcnt 0x0
	v_and_b32_e32 v0, 0xffff, v1
	v_mov_b32_e32 v4, 0xff
	s_mov_b32 s4, exec_lo
	s_delay_alu instid0(VALU_DEP_2) | instskip(NEXT) | instid1(VALU_DEP_1)
	v_bfe_u32 v5, v0, 7, 8
	v_cmpx_ne_u32_e32 0xff, v5
	s_cbranch_execz .LBB167_4091
; %bb.4090:
	v_dual_lshlrev_b32 v4, 16, v0 :: v_dual_bitop2_b32 v6, 64, v0 bitop3:0x40
	v_lshrrev_b32_e32 v0, 7, v0
	s_delay_alu instid0(VALU_DEP_2) | instskip(NEXT) | instid1(VALU_DEP_3)
	v_and_or_b32 v4, 0x3f0000, v4, v5
	v_cmp_ne_u32_e32 vcc_lo, 0, v6
	s_delay_alu instid0(VALU_DEP_2) | instskip(SKIP_1) | instid1(SALU_CYCLE_1)
	v_cmp_ne_u32_e64 s0, 0, v4
	s_and_b32 s0, vcc_lo, s0
	v_cndmask_b32_e64 v4, 0, 1, s0
	s_delay_alu instid0(VALU_DEP_1)
	v_add_nc_u32_e32 v4, v0, v4
.LBB167_4091:
	s_or_b32 exec_lo, exec_lo, s4
	s_mov_b32 s0, 0
	global_store_b8 v[2:3], v4, off
.LBB167_4092:
	s_mov_b32 s4, 0
.LBB167_4093:
	s_delay_alu instid0(SALU_CYCLE_1)
	s_and_b32 vcc_lo, exec_lo, s4
	s_cbranch_vccz .LBB167_4096
; %bb.4094:
	s_cmp_eq_u32 s2, 29
	s_mov_b32 s0, -1
	s_cbranch_scc0 .LBB167_4096
; %bb.4095:
	s_wait_xcnt 0x0
	v_lshlrev_b32_e32 v0, 16, v1
	s_mov_b32 s0, 0
	s_delay_alu instid0(VALU_DEP_1) | instskip(NEXT) | instid1(VALU_DEP_1)
	v_trunc_f32_e32 v0, v0
	v_mul_f32_e32 v4, 0x2f800000, v0
	s_delay_alu instid0(VALU_DEP_1) | instskip(NEXT) | instid1(VALU_DEP_1)
	v_floor_f32_e32 v4, v4
	v_fmamk_f32 v0, v4, 0xcf800000, v0
	v_cvt_u32_f32_e32 v5, v4
	s_delay_alu instid0(VALU_DEP_2)
	v_cvt_u32_f32_e32 v4, v0
	global_store_b64 v[2:3], v[4:5], off
.LBB167_4096:
	s_mov_b32 s4, 0
.LBB167_4097:
	s_delay_alu instid0(SALU_CYCLE_1)
	s_and_b32 vcc_lo, exec_lo, s4
	s_cbranch_vccz .LBB167_4112
; %bb.4098:
	s_cmp_lt_i32 s2, 27
	s_mov_b32 s4, -1
	s_cbranch_scc1 .LBB167_4104
; %bb.4099:
	s_cmp_gt_i32 s2, 27
	s_cbranch_scc0 .LBB167_4101
; %bb.4100:
	s_wait_xcnt 0x0
	v_lshlrev_b32_e32 v0, 16, v1
	s_mov_b32 s4, 0
	s_delay_alu instid0(VALU_DEP_1)
	v_cvt_u32_f32_e32 v0, v0
	global_store_b32 v[2:3], v0, off
.LBB167_4101:
	s_and_not1_b32 vcc_lo, exec_lo, s4
	s_cbranch_vccnz .LBB167_4103
; %bb.4102:
	s_wait_xcnt 0x0
	v_lshlrev_b32_e32 v0, 16, v1
	s_delay_alu instid0(VALU_DEP_1)
	v_cvt_u32_f32_e32 v0, v0
	global_store_b16 v[2:3], v0, off
.LBB167_4103:
	s_mov_b32 s4, 0
.LBB167_4104:
	s_delay_alu instid0(SALU_CYCLE_1)
	s_and_not1_b32 vcc_lo, exec_lo, s4
	s_cbranch_vccnz .LBB167_4112
; %bb.4105:
	s_wait_xcnt 0x0
	v_dual_mov_b32 v6, 0x80 :: v_dual_lshlrev_b32 v5, 16, v1
	s_mov_b32 s4, exec_lo
	s_delay_alu instid0(VALU_DEP_1) | instskip(NEXT) | instid1(VALU_DEP_1)
	v_and_b32_e32 v4, 0x7fffffff, v5
	v_cmpx_gt_u32_e32 0x43800000, v4
	s_cbranch_execz .LBB167_4111
; %bb.4106:
	v_and_b32_e32 v0, 0xffff, v1
	v_cmp_lt_u32_e32 vcc_lo, 0x3bffffff, v4
	s_mov_b32 s5, 0
                                        ; implicit-def: $vgpr4
	s_and_saveexec_b32 s6, vcc_lo
	s_delay_alu instid0(SALU_CYCLE_1)
	s_xor_b32 s6, exec_lo, s6
	s_cbranch_execz .LBB167_4217
; %bb.4107:
	v_bfe_u32 v4, v0, 4, 1
	s_mov_b32 s5, exec_lo
	s_delay_alu instid0(VALU_DEP_1) | instskip(NEXT) | instid1(VALU_DEP_1)
	v_add3_u32 v4, v5, v4, 0x487ffff
                                        ; implicit-def: $vgpr5
	v_lshrrev_b32_e32 v4, 20, v4
	s_and_not1_saveexec_b32 s6, s6
	s_cbranch_execnz .LBB167_4218
.LBB167_4108:
	s_or_b32 exec_lo, exec_lo, s6
	v_mov_b32_e32 v6, 0
	s_and_saveexec_b32 s6, s5
.LBB167_4109:
	v_lshrrev_b32_e32 v0, 8, v0
	s_delay_alu instid0(VALU_DEP_1)
	v_and_or_b32 v6, 0x80, v0, v4
.LBB167_4110:
	s_or_b32 exec_lo, exec_lo, s6
.LBB167_4111:
	s_delay_alu instid0(SALU_CYCLE_1)
	s_or_b32 exec_lo, exec_lo, s4
	global_store_b8 v[2:3], v6, off
.LBB167_4112:
	s_mov_b32 s4, 0
.LBB167_4113:
	s_delay_alu instid0(SALU_CYCLE_1)
	s_and_b32 vcc_lo, exec_lo, s4
	s_cbranch_vccz .LBB167_4153
; %bb.4114:
	s_cmp_gt_i32 s2, 22
	s_mov_b32 s3, -1
	s_cbranch_scc0 .LBB167_4146
; %bb.4115:
	s_cmp_lt_i32 s2, 24
	s_cbranch_scc1 .LBB167_4135
; %bb.4116:
	s_cmp_gt_i32 s2, 24
	s_cbranch_scc0 .LBB167_4124
; %bb.4117:
	s_wait_xcnt 0x0
	v_dual_mov_b32 v6, 0x80 :: v_dual_lshlrev_b32 v5, 16, v1
	s_mov_b32 s3, exec_lo
	s_delay_alu instid0(VALU_DEP_1) | instskip(NEXT) | instid1(VALU_DEP_1)
	v_and_b32_e32 v4, 0x7fffffff, v5
	v_cmpx_gt_u32_e32 0x47800000, v4
	s_cbranch_execz .LBB167_4123
; %bb.4118:
	v_and_b32_e32 v0, 0xffff, v1
	v_cmp_lt_u32_e32 vcc_lo, 0x37ffffff, v4
	s_mov_b32 s4, 0
                                        ; implicit-def: $vgpr4
	s_and_saveexec_b32 s5, vcc_lo
	s_delay_alu instid0(SALU_CYCLE_1)
	s_xor_b32 s5, exec_lo, s5
	s_cbranch_execz .LBB167_4220
; %bb.4119:
	v_bfe_u32 v4, v0, 5, 1
	s_mov_b32 s4, exec_lo
	s_delay_alu instid0(VALU_DEP_1) | instskip(NEXT) | instid1(VALU_DEP_1)
	v_add3_u32 v4, v5, v4, 0x88fffff
                                        ; implicit-def: $vgpr5
	v_lshrrev_b32_e32 v4, 21, v4
	s_and_not1_saveexec_b32 s5, s5
	s_cbranch_execnz .LBB167_4221
.LBB167_4120:
	s_or_b32 exec_lo, exec_lo, s5
	v_mov_b32_e32 v6, 0
	s_and_saveexec_b32 s5, s4
.LBB167_4121:
	v_lshrrev_b32_e32 v0, 8, v0
	s_delay_alu instid0(VALU_DEP_1)
	v_and_or_b32 v6, 0x80, v0, v4
.LBB167_4122:
	s_or_b32 exec_lo, exec_lo, s5
.LBB167_4123:
	s_delay_alu instid0(SALU_CYCLE_1)
	s_or_b32 exec_lo, exec_lo, s3
	s_mov_b32 s3, 0
	global_store_b8 v[2:3], v6, off
.LBB167_4124:
	s_and_b32 vcc_lo, exec_lo, s3
	s_cbranch_vccz .LBB167_4134
; %bb.4125:
	s_wait_xcnt 0x0
	v_lshlrev_b32_e32 v5, 16, v1
	v_and_b32_e32 v0, 0xffff, v1
	s_mov_b32 s3, exec_lo
                                        ; implicit-def: $vgpr4
	s_delay_alu instid0(VALU_DEP_2) | instskip(NEXT) | instid1(VALU_DEP_1)
	v_and_b32_e32 v6, 0x7fffffff, v5
	v_cmpx_gt_u32_e32 0x43f00000, v6
	s_xor_b32 s3, exec_lo, s3
	s_cbranch_execz .LBB167_4131
; %bb.4126:
	s_mov_b32 s4, exec_lo
                                        ; implicit-def: $vgpr4
	v_cmpx_lt_u32_e32 0x3c7fffff, v6
	s_xor_b32 s4, exec_lo, s4
; %bb.4127:
	v_bfe_u32 v4, v0, 4, 1
	s_delay_alu instid0(VALU_DEP_1) | instskip(NEXT) | instid1(VALU_DEP_1)
	v_add3_u32 v4, v5, v4, 0x407ffff
	v_and_b32_e32 v5, 0xff00000, v4
	v_lshrrev_b32_e32 v4, 20, v4
	s_delay_alu instid0(VALU_DEP_2) | instskip(NEXT) | instid1(VALU_DEP_2)
	v_cmp_ne_u32_e32 vcc_lo, 0x7f00000, v5
                                        ; implicit-def: $vgpr5
	v_cndmask_b32_e32 v4, 0x7e, v4, vcc_lo
; %bb.4128:
	s_and_not1_saveexec_b32 s4, s4
; %bb.4129:
	v_add_f32_e64 v4, 0x46800000, |v5|
; %bb.4130:
	s_or_b32 exec_lo, exec_lo, s4
                                        ; implicit-def: $vgpr6
.LBB167_4131:
	s_and_not1_saveexec_b32 s3, s3
; %bb.4132:
	v_mov_b32_e32 v4, 0x7f
	v_cmp_lt_u32_e32 vcc_lo, 0x7f800000, v6
	s_delay_alu instid0(VALU_DEP_2)
	v_cndmask_b32_e32 v4, 0x7e, v4, vcc_lo
; %bb.4133:
	s_or_b32 exec_lo, exec_lo, s3
	v_lshrrev_b32_e32 v0, 8, v0
	s_delay_alu instid0(VALU_DEP_1)
	v_and_or_b32 v0, 0x80, v0, v4
	global_store_b8 v[2:3], v0, off
.LBB167_4134:
	s_mov_b32 s3, 0
.LBB167_4135:
	s_delay_alu instid0(SALU_CYCLE_1)
	s_and_not1_b32 vcc_lo, exec_lo, s3
	s_cbranch_vccnz .LBB167_4145
; %bb.4136:
	s_wait_xcnt 0x0
	v_lshlrev_b32_e32 v5, 16, v1
	v_and_b32_e32 v0, 0xffff, v1
	s_mov_b32 s3, exec_lo
                                        ; implicit-def: $vgpr4
	s_delay_alu instid0(VALU_DEP_2) | instskip(NEXT) | instid1(VALU_DEP_1)
	v_and_b32_e32 v6, 0x7fffffff, v5
	v_cmpx_gt_u32_e32 0x47800000, v6
	s_xor_b32 s3, exec_lo, s3
	s_cbranch_execz .LBB167_4142
; %bb.4137:
	s_mov_b32 s4, exec_lo
                                        ; implicit-def: $vgpr4
	v_cmpx_lt_u32_e32 0x387fffff, v6
	s_xor_b32 s4, exec_lo, s4
; %bb.4138:
	v_bfe_u32 v4, v0, 5, 1
	s_delay_alu instid0(VALU_DEP_1) | instskip(NEXT) | instid1(VALU_DEP_1)
	v_add3_u32 v4, v5, v4, 0x80fffff
                                        ; implicit-def: $vgpr5
	v_lshrrev_b32_e32 v4, 21, v4
; %bb.4139:
	s_and_not1_saveexec_b32 s4, s4
; %bb.4140:
	v_add_f32_e64 v4, 0x43000000, |v5|
; %bb.4141:
	s_or_b32 exec_lo, exec_lo, s4
                                        ; implicit-def: $vgpr6
.LBB167_4142:
	s_and_not1_saveexec_b32 s3, s3
; %bb.4143:
	v_mov_b32_e32 v4, 0x7f
	v_cmp_lt_u32_e32 vcc_lo, 0x7f800000, v6
	s_delay_alu instid0(VALU_DEP_2)
	v_cndmask_b32_e32 v4, 0x7c, v4, vcc_lo
; %bb.4144:
	s_or_b32 exec_lo, exec_lo, s3
	v_lshrrev_b32_e32 v0, 8, v0
	s_delay_alu instid0(VALU_DEP_1)
	v_and_or_b32 v0, 0x80, v0, v4
	global_store_b8 v[2:3], v0, off
.LBB167_4145:
	s_mov_b32 s3, 0
.LBB167_4146:
	s_delay_alu instid0(SALU_CYCLE_1)
	s_and_not1_b32 vcc_lo, exec_lo, s3
	s_mov_b32 s3, 0
	s_cbranch_vccnz .LBB167_4153
; %bb.4147:
	s_cmp_gt_i32 s2, 14
	s_mov_b32 s3, -1
	s_cbranch_scc0 .LBB167_4151
; %bb.4148:
	s_cmp_eq_u32 s2, 15
	s_mov_b32 s0, -1
	s_cbranch_scc0 .LBB167_4150
; %bb.4149:
	s_mov_b32 s0, 0
	global_store_b16 v[2:3], v1, off
.LBB167_4150:
	s_mov_b32 s3, 0
.LBB167_4151:
	s_delay_alu instid0(SALU_CYCLE_1)
	s_and_b32 vcc_lo, exec_lo, s3
	s_mov_b32 s3, 0
	s_cbranch_vccz .LBB167_4153
; %bb.4152:
	s_cmp_lg_u32 s2, 11
	s_mov_b32 s3, -1
	s_cselect_b32 s0, -1, 0
.LBB167_4153:
	s_delay_alu instid0(SALU_CYCLE_1)
	s_and_b32 vcc_lo, exec_lo, s0
	s_cbranch_vccnz .LBB167_4219
.LBB167_4154:
	s_mov_b32 s0, 0
	s_branch .LBB167_4156
.LBB167_4155:
	s_mov_b32 s0, 0
	s_mov_b32 s3, 0
                                        ; implicit-def: $vgpr2_vgpr3
                                        ; implicit-def: $sgpr1
                                        ; implicit-def: $vgpr1
.LBB167_4156:
	s_and_not1_b32 s2, s10, exec_lo
	s_and_b32 s4, s12, exec_lo
	s_and_b32 s0, s0, exec_lo
	;; [unrolled: 1-line block ×3, first 2 shown]
	s_or_b32 s10, s2, s4
.LBB167_4157:
	s_wait_xcnt 0x0
	s_or_b32 exec_lo, exec_lo, s11
	s_and_saveexec_b32 s2, s10
	s_cbranch_execz .LBB167_4160
; %bb.4158:
	; divergent unreachable
	s_or_b32 exec_lo, exec_lo, s2
	s_and_saveexec_b32 s2, s35
	s_delay_alu instid0(SALU_CYCLE_1)
	s_xor_b32 s2, exec_lo, s2
	s_cbranch_execnz .LBB167_4161
.LBB167_4159:
	s_or_b32 exec_lo, exec_lo, s2
	s_and_saveexec_b32 s2, s0
	s_cbranch_execnz .LBB167_4162
	s_branch .LBB167_4199
.LBB167_4160:
	s_or_b32 exec_lo, exec_lo, s2
	s_and_saveexec_b32 s2, s35
	s_delay_alu instid0(SALU_CYCLE_1)
	s_xor_b32 s2, exec_lo, s2
	s_cbranch_execz .LBB167_4159
.LBB167_4161:
	s_wait_loadcnt 0x0
	v_and_b32_e32 v0, 0x7fff, v1
	s_delay_alu instid0(VALU_DEP_1)
	v_cmp_ne_u16_e32 vcc_lo, 0, v0
	v_cndmask_b32_e64 v0, 0, 1, vcc_lo
	global_store_b8 v[2:3], v0, off
	s_wait_xcnt 0x0
	s_or_b32 exec_lo, exec_lo, s2
	s_and_saveexec_b32 s2, s0
	s_cbranch_execz .LBB167_4199
.LBB167_4162:
	s_sext_i32_i16 s2, s1
	s_mov_b32 s0, -1
	s_cmp_lt_i32 s2, 5
	s_cbranch_scc1 .LBB167_4183
; %bb.4163:
	s_cmp_lt_i32 s2, 8
	s_cbranch_scc1 .LBB167_4173
; %bb.4164:
	;; [unrolled: 3-line block ×3, first 2 shown]
	s_cmp_gt_i32 s2, 9
	s_cbranch_scc0 .LBB167_4167
; %bb.4166:
	s_wait_loadcnt 0x0
	v_dual_lshlrev_b32 v0, 16, v1 :: v_dual_mov_b32 v6, 0
	s_mov_b32 s0, 0
	s_delay_alu instid0(VALU_DEP_1) | instskip(NEXT) | instid1(VALU_DEP_2)
	v_cvt_f64_f32_e32 v[4:5], v0
	v_mov_b32_e32 v7, v6
	global_store_b128 v[2:3], v[4:7], off
.LBB167_4167:
	s_and_not1_b32 vcc_lo, exec_lo, s0
	s_cbranch_vccnz .LBB167_4169
; %bb.4168:
	s_wait_loadcnt 0x0
	v_dual_mov_b32 v5, 0 :: v_dual_lshlrev_b32 v4, 16, v1
	global_store_b64 v[2:3], v[4:5], off
.LBB167_4169:
	s_mov_b32 s0, 0
.LBB167_4170:
	s_delay_alu instid0(SALU_CYCLE_1)
	s_and_not1_b32 vcc_lo, exec_lo, s0
	s_cbranch_vccnz .LBB167_4172
; %bb.4171:
	s_wait_loadcnt 0x0
	v_lshlrev_b32_e32 v0, 16, v1
	s_delay_alu instid0(VALU_DEP_1) | instskip(NEXT) | instid1(VALU_DEP_1)
	v_cvt_f16_f32_e32 v0, v0
	v_and_b32_e32 v0, 0xffff, v0
	global_store_b32 v[2:3], v0, off
.LBB167_4172:
	s_mov_b32 s0, 0
.LBB167_4173:
	s_delay_alu instid0(SALU_CYCLE_1)
	s_and_not1_b32 vcc_lo, exec_lo, s0
	s_cbranch_vccnz .LBB167_4182
; %bb.4174:
	s_sext_i32_i16 s2, s1
	s_mov_b32 s0, -1
	s_cmp_lt_i32 s2, 6
	s_cbranch_scc1 .LBB167_4180
; %bb.4175:
	s_cmp_gt_i32 s2, 6
	s_cbranch_scc0 .LBB167_4177
; %bb.4176:
	s_wait_loadcnt 0x0
	v_lshlrev_b32_e32 v0, 16, v1
	s_mov_b32 s0, 0
	s_delay_alu instid0(VALU_DEP_1)
	v_cvt_f64_f32_e32 v[4:5], v0
	global_store_b64 v[2:3], v[4:5], off
.LBB167_4177:
	s_and_not1_b32 vcc_lo, exec_lo, s0
	s_cbranch_vccnz .LBB167_4179
; %bb.4178:
	s_wait_loadcnt 0x0
	v_lshlrev_b32_e32 v0, 16, v1
	global_store_b32 v[2:3], v0, off
.LBB167_4179:
	s_mov_b32 s0, 0
.LBB167_4180:
	s_delay_alu instid0(SALU_CYCLE_1)
	s_and_not1_b32 vcc_lo, exec_lo, s0
	s_cbranch_vccnz .LBB167_4182
; %bb.4181:
	s_wait_loadcnt 0x0
	v_lshlrev_b32_e32 v0, 16, v1
	s_delay_alu instid0(VALU_DEP_1)
	v_cvt_f16_f32_e32 v0, v0
	global_store_b16 v[2:3], v0, off
.LBB167_4182:
	s_mov_b32 s0, 0
.LBB167_4183:
	s_delay_alu instid0(SALU_CYCLE_1)
	s_and_not1_b32 vcc_lo, exec_lo, s0
	s_cbranch_vccnz .LBB167_4199
; %bb.4184:
	s_sext_i32_i16 s2, s1
	s_mov_b32 s0, -1
	s_cmp_lt_i32 s2, 2
	s_cbranch_scc1 .LBB167_4194
; %bb.4185:
	s_cmp_lt_i32 s2, 3
	s_cbranch_scc1 .LBB167_4191
; %bb.4186:
	s_cmp_gt_i32 s2, 3
	s_cbranch_scc0 .LBB167_4188
; %bb.4187:
	s_wait_loadcnt 0x0
	v_lshlrev_b32_e32 v0, 16, v1
	s_mov_b32 s0, 0
	s_delay_alu instid0(VALU_DEP_1) | instskip(NEXT) | instid1(VALU_DEP_1)
	v_trunc_f32_e32 v0, v0
	v_mul_f32_e64 v4, 0x2f800000, |v0|
	s_delay_alu instid0(VALU_DEP_1) | instskip(SKIP_1) | instid1(VALU_DEP_2)
	v_floor_f32_e32 v5, v4
	v_ashrrev_i32_e32 v4, 31, v0
	v_fma_f32 v6, 0xcf800000, v5, |v0|
	v_cvt_u32_f32_e32 v0, v5
	s_delay_alu instid0(VALU_DEP_3) | instskip(NEXT) | instid1(VALU_DEP_3)
	v_mov_b32_e32 v5, v4
	v_cvt_u32_f32_e32 v6, v6
	s_delay_alu instid0(VALU_DEP_3) | instskip(NEXT) | instid1(VALU_DEP_2)
	v_xor_b32_e32 v7, v0, v4
	v_xor_b32_e32 v6, v6, v4
	s_delay_alu instid0(VALU_DEP_1)
	v_sub_nc_u64_e32 v[4:5], v[6:7], v[4:5]
	global_store_b64 v[2:3], v[4:5], off
.LBB167_4188:
	s_and_not1_b32 vcc_lo, exec_lo, s0
	s_cbranch_vccnz .LBB167_4190
; %bb.4189:
	s_wait_loadcnt 0x0
	v_lshlrev_b32_e32 v0, 16, v1
	s_delay_alu instid0(VALU_DEP_1)
	v_cvt_i32_f32_e32 v0, v0
	global_store_b32 v[2:3], v0, off
.LBB167_4190:
	s_mov_b32 s0, 0
.LBB167_4191:
	s_delay_alu instid0(SALU_CYCLE_1)
	s_and_not1_b32 vcc_lo, exec_lo, s0
	s_cbranch_vccnz .LBB167_4193
; %bb.4192:
	s_wait_loadcnt 0x0
	v_lshlrev_b32_e32 v0, 16, v1
	s_delay_alu instid0(VALU_DEP_1)
	v_cvt_i32_f32_e32 v0, v0
	global_store_b16 v[2:3], v0, off
.LBB167_4193:
	s_mov_b32 s0, 0
.LBB167_4194:
	s_delay_alu instid0(SALU_CYCLE_1)
	s_and_not1_b32 vcc_lo, exec_lo, s0
	s_cbranch_vccnz .LBB167_4199
; %bb.4195:
	s_sext_i32_i16 s0, s1
	s_delay_alu instid0(SALU_CYCLE_1)
	s_cmp_gt_i32 s0, 0
	s_mov_b32 s0, -1
	s_cbranch_scc0 .LBB167_4197
; %bb.4196:
	s_wait_loadcnt 0x0
	v_lshlrev_b32_e32 v0, 16, v1
	s_mov_b32 s0, 0
	s_delay_alu instid0(VALU_DEP_1)
	v_cvt_i32_f32_e32 v0, v0
	global_store_b8 v[2:3], v0, off
.LBB167_4197:
	s_and_not1_b32 vcc_lo, exec_lo, s0
	s_cbranch_vccnz .LBB167_4199
; %bb.4198:
	s_wait_loadcnt 0x0
	v_lshlrev_b32_e32 v0, 16, v1
	s_delay_alu instid0(VALU_DEP_1) | instskip(NEXT) | instid1(VALU_DEP_1)
	v_trunc_f32_e32 v0, v0
	v_mul_f32_e64 v1, 0x2f800000, |v0|
	s_delay_alu instid0(VALU_DEP_1) | instskip(NEXT) | instid1(VALU_DEP_1)
	v_floor_f32_e32 v1, v1
	v_fma_f32 v1, 0xcf800000, v1, |v0|
	v_ashrrev_i32_e32 v0, 31, v0
	s_delay_alu instid0(VALU_DEP_2) | instskip(NEXT) | instid1(VALU_DEP_1)
	v_cvt_u32_f32_e32 v1, v1
	v_xor_b32_e32 v1, v1, v0
	s_delay_alu instid0(VALU_DEP_1)
	v_sub_nc_u32_e32 v0, v1, v0
	global_store_b8 v[2:3], v0, off
	s_endpgm
.LBB167_4199:
	s_endpgm
.LBB167_4200:
	s_mov_b32 s3, 0
	s_mov_b32 s0, -1
	s_branch .LBB167_4156
.LBB167_4201:
	s_or_b32 s12, s12, exec_lo
	s_trap 2
	s_cbranch_execz .LBB167_3670
	s_branch .LBB167_3671
.LBB167_4202:
	s_and_not1_saveexec_b32 s8, s8
	s_cbranch_execz .LBB167_3750
.LBB167_4203:
	v_add_f32_e64 v5, 0x46000000, |v8|
	s_and_not1_b32 s7, s7, exec_lo
	s_delay_alu instid0(VALU_DEP_1) | instskip(NEXT) | instid1(VALU_DEP_1)
	v_and_b32_e32 v5, 0xff, v5
	v_cmp_ne_u32_e32 vcc_lo, 0, v5
	s_and_b32 s9, vcc_lo, exec_lo
	s_delay_alu instid0(SALU_CYCLE_1)
	s_or_b32 s7, s7, s9
	s_or_b32 exec_lo, exec_lo, s8
	v_mov_b32_e32 v9, 0
	s_and_saveexec_b32 s8, s7
	s_cbranch_execnz .LBB167_3751
	s_branch .LBB167_3752
.LBB167_4204:
	s_or_b32 s12, s12, exec_lo
	s_trap 2
	s_cbranch_execz .LBB167_3798
	s_branch .LBB167_3799
.LBB167_4205:
	s_and_not1_saveexec_b32 s7, s7
	s_cbranch_execz .LBB167_3763
.LBB167_4206:
	v_add_f32_e64 v5, 0x42800000, |v8|
	s_and_not1_b32 s6, s6, exec_lo
	s_delay_alu instid0(VALU_DEP_1) | instskip(NEXT) | instid1(VALU_DEP_1)
	v_and_b32_e32 v5, 0xff, v5
	v_cmp_ne_u32_e32 vcc_lo, 0, v5
	s_and_b32 s8, vcc_lo, exec_lo
	s_delay_alu instid0(SALU_CYCLE_1)
	s_or_b32 s6, s6, s8
	s_or_b32 exec_lo, exec_lo, s7
	v_mov_b32_e32 v9, 0
	s_and_saveexec_b32 s7, s6
	s_cbranch_execnz .LBB167_3764
	s_branch .LBB167_3765
.LBB167_4207:
	s_and_not1_saveexec_b32 s8, s8
	s_cbranch_execz .LBB167_3869
.LBB167_4208:
	v_add_f32_e64 v6, 0x46000000, |v7|
	s_and_not1_b32 s7, s7, exec_lo
	s_delay_alu instid0(VALU_DEP_1) | instskip(NEXT) | instid1(VALU_DEP_1)
	v_and_b32_e32 v6, 0xff, v6
	v_cmp_ne_u32_e32 vcc_lo, 0, v6
	s_and_b32 s9, vcc_lo, exec_lo
	s_delay_alu instid0(SALU_CYCLE_1)
	s_or_b32 s7, s7, s9
	s_or_b32 exec_lo, exec_lo, s8
	v_mov_b32_e32 v8, 0
	s_and_saveexec_b32 s8, s7
	s_cbranch_execnz .LBB167_3870
	s_branch .LBB167_3871
.LBB167_4209:
	s_or_b32 s12, s12, exec_lo
	s_trap 2
	s_cbranch_execz .LBB167_3917
	s_branch .LBB167_3918
.LBB167_4210:
	s_and_not1_saveexec_b32 s7, s7
	s_cbranch_execz .LBB167_3882
.LBB167_4211:
	v_add_f32_e64 v6, 0x42800000, |v7|
	s_and_not1_b32 s6, s6, exec_lo
	s_delay_alu instid0(VALU_DEP_1) | instskip(NEXT) | instid1(VALU_DEP_1)
	v_and_b32_e32 v6, 0xff, v6
	v_cmp_ne_u32_e32 vcc_lo, 0, v6
	s_and_b32 s8, vcc_lo, exec_lo
	s_delay_alu instid0(SALU_CYCLE_1)
	s_or_b32 s6, s6, s8
	s_or_b32 exec_lo, exec_lo, s7
	v_mov_b32_e32 v8, 0
	s_and_saveexec_b32 s7, s6
	s_cbranch_execnz .LBB167_3883
	s_branch .LBB167_3884
.LBB167_4212:
	s_and_not1_saveexec_b32 s8, s8
	s_cbranch_execz .LBB167_3988
.LBB167_4213:
	v_add_f32_e64 v5, 0x46000000, |v6|
	s_and_not1_b32 s7, s7, exec_lo
	s_delay_alu instid0(VALU_DEP_1) | instskip(NEXT) | instid1(VALU_DEP_1)
	v_and_b32_e32 v5, 0xff, v5
	v_cmp_ne_u32_e32 vcc_lo, 0, v5
	s_and_b32 s9, vcc_lo, exec_lo
	s_delay_alu instid0(SALU_CYCLE_1)
	s_or_b32 s7, s7, s9
	s_or_b32 exec_lo, exec_lo, s8
	v_mov_b32_e32 v7, 0
	s_and_saveexec_b32 s8, s7
	s_cbranch_execnz .LBB167_3989
	s_branch .LBB167_3990
.LBB167_4214:
	s_or_b32 s12, s12, exec_lo
	s_trap 2
	s_cbranch_execz .LBB167_4036
	s_branch .LBB167_4037
.LBB167_4215:
	s_and_not1_saveexec_b32 s7, s7
	s_cbranch_execz .LBB167_4001
.LBB167_4216:
	v_add_f32_e64 v5, 0x42800000, |v6|
	s_and_not1_b32 s6, s6, exec_lo
	s_delay_alu instid0(VALU_DEP_1) | instskip(NEXT) | instid1(VALU_DEP_1)
	v_and_b32_e32 v5, 0xff, v5
	v_cmp_ne_u32_e32 vcc_lo, 0, v5
	s_and_b32 s8, vcc_lo, exec_lo
	s_delay_alu instid0(SALU_CYCLE_1)
	s_or_b32 s6, s6, s8
	s_or_b32 exec_lo, exec_lo, s7
	v_mov_b32_e32 v7, 0
	s_and_saveexec_b32 s7, s6
	s_cbranch_execnz .LBB167_4002
	s_branch .LBB167_4003
.LBB167_4217:
	s_and_not1_saveexec_b32 s6, s6
	s_cbranch_execz .LBB167_4108
.LBB167_4218:
	v_add_f32_e64 v4, 0x46000000, |v5|
	s_and_not1_b32 s5, s5, exec_lo
	s_delay_alu instid0(VALU_DEP_1) | instskip(NEXT) | instid1(VALU_DEP_1)
	v_and_b32_e32 v4, 0xff, v4
	v_cmp_ne_u32_e32 vcc_lo, 0, v4
	s_and_b32 s7, vcc_lo, exec_lo
	s_delay_alu instid0(SALU_CYCLE_1)
	s_or_b32 s5, s5, s7
	s_or_b32 exec_lo, exec_lo, s6
	v_mov_b32_e32 v6, 0
	s_and_saveexec_b32 s6, s5
	s_cbranch_execnz .LBB167_4109
	s_branch .LBB167_4110
.LBB167_4219:
	s_mov_b32 s3, 0
	s_or_b32 s12, s12, exec_lo
	s_trap 2
	s_branch .LBB167_4154
.LBB167_4220:
	s_and_not1_saveexec_b32 s5, s5
	s_cbranch_execz .LBB167_4120
.LBB167_4221:
	v_add_f32_e64 v4, 0x42800000, |v5|
	s_and_not1_b32 s4, s4, exec_lo
	s_delay_alu instid0(VALU_DEP_1) | instskip(NEXT) | instid1(VALU_DEP_1)
	v_and_b32_e32 v4, 0xff, v4
	v_cmp_ne_u32_e32 vcc_lo, 0, v4
	s_and_b32 s6, vcc_lo, exec_lo
	s_delay_alu instid0(SALU_CYCLE_1)
	s_or_b32 s4, s4, s6
	s_or_b32 exec_lo, exec_lo, s5
	v_mov_b32_e32 v6, 0
	s_and_saveexec_b32 s5, s4
	s_cbranch_execnz .LBB167_4121
	s_branch .LBB167_4122
	.section	.rodata,"a",@progbits
	.p2align	6, 0x0
	.amdhsa_kernel _ZN2at6native32elementwise_kernel_manual_unrollILi128ELi4EZNS0_15gpu_kernel_implIZZZNS0_12_GLOBAL__N_117clamp_kernel_implERNS_18TensorIteratorBaseEENKUlvE_clEvENKUlvE7_clEvEUlN3c108BFloat16ES9_S9_E_EEvS5_RKT_EUlibE0_EEviT1_
		.amdhsa_group_segment_fixed_size 0
		.amdhsa_private_segment_fixed_size 0
		.amdhsa_kernarg_size 504
		.amdhsa_user_sgpr_count 2
		.amdhsa_user_sgpr_dispatch_ptr 0
		.amdhsa_user_sgpr_queue_ptr 0
		.amdhsa_user_sgpr_kernarg_segment_ptr 1
		.amdhsa_user_sgpr_dispatch_id 0
		.amdhsa_user_sgpr_kernarg_preload_length 0
		.amdhsa_user_sgpr_kernarg_preload_offset 0
		.amdhsa_user_sgpr_private_segment_size 0
		.amdhsa_wavefront_size32 1
		.amdhsa_uses_dynamic_stack 0
		.amdhsa_enable_private_segment 0
		.amdhsa_system_sgpr_workgroup_id_x 1
		.amdhsa_system_sgpr_workgroup_id_y 0
		.amdhsa_system_sgpr_workgroup_id_z 0
		.amdhsa_system_sgpr_workgroup_info 0
		.amdhsa_system_vgpr_workitem_id 0
		.amdhsa_next_free_vgpr 34
		.amdhsa_next_free_sgpr 74
		.amdhsa_named_barrier_count 0
		.amdhsa_reserve_vcc 1
		.amdhsa_float_round_mode_32 0
		.amdhsa_float_round_mode_16_64 0
		.amdhsa_float_denorm_mode_32 3
		.amdhsa_float_denorm_mode_16_64 3
		.amdhsa_fp16_overflow 0
		.amdhsa_memory_ordered 1
		.amdhsa_forward_progress 1
		.amdhsa_inst_pref_size 255
		.amdhsa_round_robin_scheduling 0
		.amdhsa_exception_fp_ieee_invalid_op 0
		.amdhsa_exception_fp_denorm_src 0
		.amdhsa_exception_fp_ieee_div_zero 0
		.amdhsa_exception_fp_ieee_overflow 0
		.amdhsa_exception_fp_ieee_underflow 0
		.amdhsa_exception_fp_ieee_inexact 0
		.amdhsa_exception_int_div_zero 0
	.end_amdhsa_kernel
	.section	.text._ZN2at6native32elementwise_kernel_manual_unrollILi128ELi4EZNS0_15gpu_kernel_implIZZZNS0_12_GLOBAL__N_117clamp_kernel_implERNS_18TensorIteratorBaseEENKUlvE_clEvENKUlvE7_clEvEUlN3c108BFloat16ES9_S9_E_EEvS5_RKT_EUlibE0_EEviT1_,"axG",@progbits,_ZN2at6native32elementwise_kernel_manual_unrollILi128ELi4EZNS0_15gpu_kernel_implIZZZNS0_12_GLOBAL__N_117clamp_kernel_implERNS_18TensorIteratorBaseEENKUlvE_clEvENKUlvE7_clEvEUlN3c108BFloat16ES9_S9_E_EEvS5_RKT_EUlibE0_EEviT1_,comdat
.Lfunc_end167:
	.size	_ZN2at6native32elementwise_kernel_manual_unrollILi128ELi4EZNS0_15gpu_kernel_implIZZZNS0_12_GLOBAL__N_117clamp_kernel_implERNS_18TensorIteratorBaseEENKUlvE_clEvENKUlvE7_clEvEUlN3c108BFloat16ES9_S9_E_EEvS5_RKT_EUlibE0_EEviT1_, .Lfunc_end167-_ZN2at6native32elementwise_kernel_manual_unrollILi128ELi4EZNS0_15gpu_kernel_implIZZZNS0_12_GLOBAL__N_117clamp_kernel_implERNS_18TensorIteratorBaseEENKUlvE_clEvENKUlvE7_clEvEUlN3c108BFloat16ES9_S9_E_EEvS5_RKT_EUlibE0_EEviT1_
                                        ; -- End function
	.set _ZN2at6native32elementwise_kernel_manual_unrollILi128ELi4EZNS0_15gpu_kernel_implIZZZNS0_12_GLOBAL__N_117clamp_kernel_implERNS_18TensorIteratorBaseEENKUlvE_clEvENKUlvE7_clEvEUlN3c108BFloat16ES9_S9_E_EEvS5_RKT_EUlibE0_EEviT1_.num_vgpr, 34
	.set _ZN2at6native32elementwise_kernel_manual_unrollILi128ELi4EZNS0_15gpu_kernel_implIZZZNS0_12_GLOBAL__N_117clamp_kernel_implERNS_18TensorIteratorBaseEENKUlvE_clEvENKUlvE7_clEvEUlN3c108BFloat16ES9_S9_E_EEvS5_RKT_EUlibE0_EEviT1_.num_agpr, 0
	.set _ZN2at6native32elementwise_kernel_manual_unrollILi128ELi4EZNS0_15gpu_kernel_implIZZZNS0_12_GLOBAL__N_117clamp_kernel_implERNS_18TensorIteratorBaseEENKUlvE_clEvENKUlvE7_clEvEUlN3c108BFloat16ES9_S9_E_EEvS5_RKT_EUlibE0_EEviT1_.numbered_sgpr, 74
	.set _ZN2at6native32elementwise_kernel_manual_unrollILi128ELi4EZNS0_15gpu_kernel_implIZZZNS0_12_GLOBAL__N_117clamp_kernel_implERNS_18TensorIteratorBaseEENKUlvE_clEvENKUlvE7_clEvEUlN3c108BFloat16ES9_S9_E_EEvS5_RKT_EUlibE0_EEviT1_.num_named_barrier, 0
	.set _ZN2at6native32elementwise_kernel_manual_unrollILi128ELi4EZNS0_15gpu_kernel_implIZZZNS0_12_GLOBAL__N_117clamp_kernel_implERNS_18TensorIteratorBaseEENKUlvE_clEvENKUlvE7_clEvEUlN3c108BFloat16ES9_S9_E_EEvS5_RKT_EUlibE0_EEviT1_.private_seg_size, 0
	.set _ZN2at6native32elementwise_kernel_manual_unrollILi128ELi4EZNS0_15gpu_kernel_implIZZZNS0_12_GLOBAL__N_117clamp_kernel_implERNS_18TensorIteratorBaseEENKUlvE_clEvENKUlvE7_clEvEUlN3c108BFloat16ES9_S9_E_EEvS5_RKT_EUlibE0_EEviT1_.uses_vcc, 1
	.set _ZN2at6native32elementwise_kernel_manual_unrollILi128ELi4EZNS0_15gpu_kernel_implIZZZNS0_12_GLOBAL__N_117clamp_kernel_implERNS_18TensorIteratorBaseEENKUlvE_clEvENKUlvE7_clEvEUlN3c108BFloat16ES9_S9_E_EEvS5_RKT_EUlibE0_EEviT1_.uses_flat_scratch, 0
	.set _ZN2at6native32elementwise_kernel_manual_unrollILi128ELi4EZNS0_15gpu_kernel_implIZZZNS0_12_GLOBAL__N_117clamp_kernel_implERNS_18TensorIteratorBaseEENKUlvE_clEvENKUlvE7_clEvEUlN3c108BFloat16ES9_S9_E_EEvS5_RKT_EUlibE0_EEviT1_.has_dyn_sized_stack, 0
	.set _ZN2at6native32elementwise_kernel_manual_unrollILi128ELi4EZNS0_15gpu_kernel_implIZZZNS0_12_GLOBAL__N_117clamp_kernel_implERNS_18TensorIteratorBaseEENKUlvE_clEvENKUlvE7_clEvEUlN3c108BFloat16ES9_S9_E_EEvS5_RKT_EUlibE0_EEviT1_.has_recursion, 0
	.set _ZN2at6native32elementwise_kernel_manual_unrollILi128ELi4EZNS0_15gpu_kernel_implIZZZNS0_12_GLOBAL__N_117clamp_kernel_implERNS_18TensorIteratorBaseEENKUlvE_clEvENKUlvE7_clEvEUlN3c108BFloat16ES9_S9_E_EEvS5_RKT_EUlibE0_EEviT1_.has_indirect_call, 0
	.section	.AMDGPU.csdata,"",@progbits
; Kernel info:
; codeLenInByte = 98532
; TotalNumSgprs: 76
; NumVgprs: 34
; ScratchSize: 0
; MemoryBound: 0
; FloatMode: 240
; IeeeMode: 1
; LDSByteSize: 0 bytes/workgroup (compile time only)
; SGPRBlocks: 0
; VGPRBlocks: 2
; NumSGPRsForWavesPerEU: 76
; NumVGPRsForWavesPerEU: 34
; NamedBarCnt: 0
; Occupancy: 16
; WaveLimiterHint : 1
; COMPUTE_PGM_RSRC2:SCRATCH_EN: 0
; COMPUTE_PGM_RSRC2:USER_SGPR: 2
; COMPUTE_PGM_RSRC2:TRAP_HANDLER: 0
; COMPUTE_PGM_RSRC2:TGID_X_EN: 1
; COMPUTE_PGM_RSRC2:TGID_Y_EN: 0
; COMPUTE_PGM_RSRC2:TGID_Z_EN: 0
; COMPUTE_PGM_RSRC2:TIDIG_COMP_CNT: 0
	.section	.text._ZN2at6native29vectorized_elementwise_kernelILi16EZZZNS0_12_GLOBAL__N_119launch_clamp_scalarERNS_18TensorIteratorBaseEN3c106ScalarES6_NS0_6detail11ClampLimitsEENKUlvE_clEvENKUlvE_clEvEUlhE_St5arrayIPcLm2EEEEviT0_T1_,"axG",@progbits,_ZN2at6native29vectorized_elementwise_kernelILi16EZZZNS0_12_GLOBAL__N_119launch_clamp_scalarERNS_18TensorIteratorBaseEN3c106ScalarES6_NS0_6detail11ClampLimitsEENKUlvE_clEvENKUlvE_clEvEUlhE_St5arrayIPcLm2EEEEviT0_T1_,comdat
	.globl	_ZN2at6native29vectorized_elementwise_kernelILi16EZZZNS0_12_GLOBAL__N_119launch_clamp_scalarERNS_18TensorIteratorBaseEN3c106ScalarES6_NS0_6detail11ClampLimitsEENKUlvE_clEvENKUlvE_clEvEUlhE_St5arrayIPcLm2EEEEviT0_T1_ ; -- Begin function _ZN2at6native29vectorized_elementwise_kernelILi16EZZZNS0_12_GLOBAL__N_119launch_clamp_scalarERNS_18TensorIteratorBaseEN3c106ScalarES6_NS0_6detail11ClampLimitsEENKUlvE_clEvENKUlvE_clEvEUlhE_St5arrayIPcLm2EEEEviT0_T1_
	.p2align	8
	.type	_ZN2at6native29vectorized_elementwise_kernelILi16EZZZNS0_12_GLOBAL__N_119launch_clamp_scalarERNS_18TensorIteratorBaseEN3c106ScalarES6_NS0_6detail11ClampLimitsEENKUlvE_clEvENKUlvE_clEvEUlhE_St5arrayIPcLm2EEEEviT0_T1_,@function
_ZN2at6native29vectorized_elementwise_kernelILi16EZZZNS0_12_GLOBAL__N_119launch_clamp_scalarERNS_18TensorIteratorBaseEN3c106ScalarES6_NS0_6detail11ClampLimitsEENKUlvE_clEvENKUlvE_clEvEUlhE_St5arrayIPcLm2EEEEviT0_T1_: ; @_ZN2at6native29vectorized_elementwise_kernelILi16EZZZNS0_12_GLOBAL__N_119launch_clamp_scalarERNS_18TensorIteratorBaseEN3c106ScalarES6_NS0_6detail11ClampLimitsEENKUlvE_clEvENKUlvE_clEvEUlhE_St5arrayIPcLm2EEEEviT0_T1_
; %bb.0:
	s_clause 0x1
	s_load_b96 s[8:10], s[0:1], 0x0
	s_load_b128 s[4:7], s[0:1], 0x10
	s_wait_xcnt 0x0
	s_bfe_u32 s0, ttmp6, 0x4000c
	s_and_b32 s1, ttmp6, 15
	s_add_co_i32 s0, s0, 1
	s_getreg_b32 s2, hwreg(HW_REG_IB_STS2, 6, 4)
	s_mul_i32 s0, ttmp9, s0
	s_mov_b32 s3, -1
	s_add_co_i32 s1, s1, s0
	s_cmp_eq_u32 s2, 0
	s_cselect_b32 s0, ttmp9, s1
	s_delay_alu instid0(SALU_CYCLE_1) | instskip(SKIP_3) | instid1(SALU_CYCLE_1)
	s_lshl_b32 s2, s0, 12
	s_mov_b32 s0, 0
	s_wait_kmcnt 0x0
	s_sub_co_i32 s1, s8, s2
	s_cmp_gt_i32 s1, 0xfff
	s_cbranch_scc0 .LBB168_177
; %bb.1:
	s_ashr_i32 s3, s2, 31
	s_cmp_lt_i32 s9, 1
	s_add_nc_u64 s[12:13], s[6:7], s[2:3]
	global_load_b128 v[2:5], v0, s[12:13] scale_offset
	s_cbranch_scc1 .LBB168_4
; %bb.2:
	s_cmp_eq_u32 s9, 1
	s_cbranch_scc0 .LBB168_5
; %bb.3:
	s_wait_loadcnt 0x0
	v_and_b32_e32 v1, 0xff, v2
	s_and_b32 s0, s10, 0xff
	s_delay_alu instid0(VALU_DEP_1) | instid1(SALU_CYCLE_1)
	v_min_u16 v1, v1, s0
	s_mov_b32 s0, 0
	s_branch .LBB168_6
.LBB168_4:
                                        ; implicit-def: $vgpr1
	s_mov_b32 s8, 0
	s_cbranch_execnz .LBB168_7
	s_branch .LBB168_8
.LBB168_5:
	s_mov_b32 s0, -1
                                        ; implicit-def: $vgpr1
.LBB168_6:
	s_mov_b32 s8, 0
	s_branch .LBB168_8
.LBB168_7:
	s_cmp_lg_u32 s9, 0
	s_mov_b32 s8, -1
	s_cselect_b32 s0, -1, 0
.LBB168_8:
	s_wait_loadcnt 0x0
	v_and_b32_e32 v6, 0xff, v2
	s_and_not1_b32 vcc_lo, exec_lo, s0
	s_lshr_b32 s0, s10, 8
	s_cbranch_vccz .LBB168_13
; %bb.9:
	s_and_not1_b32 vcc_lo, exec_lo, s8
	s_cbranch_vccz .LBB168_14
.LBB168_10:
	v_lshrrev_b32_e32 v6, 8, v2
	s_cmp_lt_i32 s9, 1
	s_mov_b32 s8, 0
	s_cbranch_scc1 .LBB168_15
.LBB168_11:
	s_cmp_eq_u32 s9, 1
	s_cbranch_scc0 .LBB168_16
; %bb.12:
	v_and_b32_e32 v7, 0xff, v6
	s_and_b32 s11, s10, 0xff
	s_delay_alu instid0(VALU_DEP_1) | instid1(SALU_CYCLE_1)
	v_min_u16 v8, v7, s11
	s_mov_b32 s11, 0
	s_branch .LBB168_17
.LBB168_13:
	s_and_b32 s8, s10, 0xff
	s_delay_alu instid0(SALU_CYCLE_1)
	v_max_u16 v1, v6, s8
	s_and_b32 s8, s0, 0xff
	s_delay_alu instid0(VALU_DEP_1) | instid1(SALU_CYCLE_1)
	v_min_u16 v1, v1, s8
	s_cbranch_execnz .LBB168_10
.LBB168_14:
	s_and_b32 s8, s10, 0xff
	s_delay_alu instid0(SALU_CYCLE_1)
	v_max_u16 v1, v6, s8
	v_lshrrev_b32_e32 v6, 8, v2
	s_cmp_lt_i32 s9, 1
	s_mov_b32 s8, 0
	s_cbranch_scc0 .LBB168_11
.LBB168_15:
	s_mov_b32 s11, 0
                                        ; implicit-def: $vgpr8
	s_cbranch_execnz .LBB168_18
	s_branch .LBB168_19
.LBB168_16:
	s_mov_b32 s11, -1
                                        ; implicit-def: $vgpr8
.LBB168_17:
	s_branch .LBB168_19
.LBB168_18:
	s_cmp_lg_u32 s9, 0
	s_mov_b32 s8, -1
	s_cselect_b32 s11, -1, 0
.LBB168_19:
	v_and_b32_e32 v6, 0xff, v6
	s_and_not1_b32 vcc_lo, exec_lo, s11
	s_cbranch_vccz .LBB168_24
; %bb.20:
	s_and_not1_b32 vcc_lo, exec_lo, s8
	s_cbranch_vccz .LBB168_25
.LBB168_21:
	v_lshrrev_b32_e32 v6, 16, v2
	s_cmp_lt_i32 s9, 1
	s_mov_b32 s8, 0
	s_cbranch_scc1 .LBB168_26
.LBB168_22:
	s_cmp_eq_u32 s9, 1
	s_cbranch_scc0 .LBB168_27
; %bb.23:
	v_and_b32_e32 v7, 0xff, v6
	s_and_b32 s11, s10, 0xff
	s_delay_alu instid0(VALU_DEP_1) | instid1(SALU_CYCLE_1)
	v_min_u16 v9, v7, s11
	s_mov_b32 s11, 0
	s_branch .LBB168_28
.LBB168_24:
	s_and_b32 s8, s10, 0xff
	s_delay_alu instid0(VALU_DEP_1) | instid1(SALU_CYCLE_1)
	v_max_u16 v7, v6, s8
	s_and_b32 s8, s0, 0xff
	s_delay_alu instid0(VALU_DEP_1) | instid1(SALU_CYCLE_1)
	v_min_u16 v8, v7, s8
	s_cbranch_execnz .LBB168_21
.LBB168_25:
	s_and_b32 s8, s10, 0xff
	s_delay_alu instid0(SALU_CYCLE_1)
	v_max_u16 v8, v6, s8
	v_lshrrev_b32_e32 v6, 16, v2
	s_cmp_lt_i32 s9, 1
	s_mov_b32 s8, 0
	s_cbranch_scc0 .LBB168_22
.LBB168_26:
	s_mov_b32 s11, 0
                                        ; implicit-def: $vgpr9
	s_cbranch_execnz .LBB168_29
	s_branch .LBB168_30
.LBB168_27:
	s_mov_b32 s11, -1
                                        ; implicit-def: $vgpr9
.LBB168_28:
	s_branch .LBB168_30
.LBB168_29:
	s_cmp_lg_u32 s9, 0
	s_mov_b32 s8, -1
	s_cselect_b32 s11, -1, 0
.LBB168_30:
	v_and_b32_e32 v6, 0xff, v6
	s_and_not1_b32 vcc_lo, exec_lo, s11
	s_cbranch_vccz .LBB168_35
; %bb.31:
	s_and_not1_b32 vcc_lo, exec_lo, s8
	s_cbranch_vccz .LBB168_36
.LBB168_32:
	v_lshrrev_b64 v[6:7], 24, v[2:3]
	s_cmp_lt_i32 s9, 1
	s_mov_b32 s8, 0
	s_cbranch_scc1 .LBB168_37
.LBB168_33:
	s_cmp_eq_u32 s9, 1
	s_cbranch_scc0 .LBB168_38
; %bb.34:
	s_delay_alu instid0(VALU_DEP_1)
	v_and_b32_e32 v2, 0xff, v6
	s_and_b32 s11, s10, 0xff
	s_delay_alu instid0(VALU_DEP_1) | instid1(SALU_CYCLE_1)
	v_min_u16 v7, v2, s11
	s_mov_b32 s11, 0
	s_branch .LBB168_39
.LBB168_35:
	s_and_b32 s8, s10, 0xff
	s_delay_alu instid0(VALU_DEP_1) | instid1(SALU_CYCLE_1)
	v_max_u16 v7, v6, s8
	s_and_b32 s8, s0, 0xff
	s_delay_alu instid0(VALU_DEP_1) | instid1(SALU_CYCLE_1)
	v_min_u16 v9, v7, s8
	s_cbranch_execnz .LBB168_32
.LBB168_36:
	s_and_b32 s8, s10, 0xff
	s_delay_alu instid0(SALU_CYCLE_1)
	v_max_u16 v9, v6, s8
	v_lshrrev_b64 v[6:7], 24, v[2:3]
	s_cmp_lt_i32 s9, 1
	s_mov_b32 s8, 0
	s_cbranch_scc0 .LBB168_33
.LBB168_37:
	s_mov_b32 s11, 0
                                        ; implicit-def: $vgpr7
	s_cbranch_execnz .LBB168_40
	s_branch .LBB168_41
.LBB168_38:
	s_mov_b32 s11, -1
                                        ; implicit-def: $vgpr7
.LBB168_39:
	s_branch .LBB168_41
.LBB168_40:
	s_cmp_lg_u32 s9, 0
	s_mov_b32 s8, -1
	s_cselect_b32 s11, -1, 0
.LBB168_41:
	v_and_b32_e32 v2, 0xff, v6
	s_and_not1_b32 vcc_lo, exec_lo, s11
	s_cbranch_vccz .LBB168_46
; %bb.42:
	s_and_not1_b32 vcc_lo, exec_lo, s8
	s_cbranch_vccz .LBB168_47
.LBB168_43:
	s_cmp_lt_i32 s9, 1
	s_mov_b32 s8, 0
	s_cbranch_scc1 .LBB168_48
.LBB168_44:
	s_cmp_eq_u32 s9, 1
	s_cbranch_scc0 .LBB168_49
; %bb.45:
	v_and_b32_e32 v2, 0xff, v3
	s_and_b32 s11, s10, 0xff
	s_delay_alu instid0(VALU_DEP_1) | instid1(SALU_CYCLE_1)
	v_min_u16 v6, v2, s11
	s_mov_b32 s11, 0
	s_branch .LBB168_50
.LBB168_46:
	s_and_b32 s8, s10, 0xff
	s_delay_alu instid0(VALU_DEP_1) | instid1(SALU_CYCLE_1)
	v_max_u16 v6, v2, s8
	s_and_b32 s8, s0, 0xff
	s_delay_alu instid0(VALU_DEP_1) | instid1(SALU_CYCLE_1)
	v_min_u16 v7, v6, s8
	s_cbranch_execnz .LBB168_43
.LBB168_47:
	s_and_b32 s8, s10, 0xff
	s_delay_alu instid0(SALU_CYCLE_1)
	v_max_u16 v7, v2, s8
	s_cmp_lt_i32 s9, 1
	s_mov_b32 s8, 0
	s_cbranch_scc0 .LBB168_44
.LBB168_48:
	s_mov_b32 s11, 0
                                        ; implicit-def: $vgpr6
	s_cbranch_execnz .LBB168_51
	s_branch .LBB168_52
.LBB168_49:
	s_mov_b32 s11, -1
                                        ; implicit-def: $vgpr6
.LBB168_50:
	s_branch .LBB168_52
.LBB168_51:
	s_cmp_lg_u32 s9, 0
	s_mov_b32 s8, -1
	s_cselect_b32 s11, -1, 0
.LBB168_52:
	v_and_b32_e32 v2, 0xff, v3
	s_and_not1_b32 vcc_lo, exec_lo, s11
	s_cbranch_vccz .LBB168_57
; %bb.53:
	s_and_not1_b32 vcc_lo, exec_lo, s8
	s_cbranch_vccz .LBB168_58
.LBB168_54:
	v_lshrrev_b32_e32 v2, 8, v3
	s_cmp_lt_i32 s9, 1
	s_mov_b32 s8, 0
	s_cbranch_scc1 .LBB168_59
.LBB168_55:
	s_cmp_eq_u32 s9, 1
	s_cbranch_scc0 .LBB168_60
; %bb.56:
	v_and_b32_e32 v10, 0xff, v2
	s_and_b32 s11, s10, 0xff
	s_delay_alu instid0(VALU_DEP_1) | instid1(SALU_CYCLE_1)
	v_min_u16 v10, v10, s11
	s_mov_b32 s11, 0
	s_branch .LBB168_61
.LBB168_57:
	s_and_b32 s8, s10, 0xff
	s_delay_alu instid0(VALU_DEP_1) | instid1(SALU_CYCLE_1)
	v_max_u16 v6, v2, s8
	s_and_b32 s8, s0, 0xff
	s_delay_alu instid0(VALU_DEP_1) | instid1(SALU_CYCLE_1)
	v_min_u16 v6, v6, s8
	s_cbranch_execnz .LBB168_54
.LBB168_58:
	s_and_b32 s8, s10, 0xff
	s_delay_alu instid0(SALU_CYCLE_1)
	v_max_u16 v6, v2, s8
	v_lshrrev_b32_e32 v2, 8, v3
	s_cmp_lt_i32 s9, 1
	s_mov_b32 s8, 0
	s_cbranch_scc0 .LBB168_55
.LBB168_59:
	s_mov_b32 s11, 0
                                        ; implicit-def: $vgpr10
	s_cbranch_execnz .LBB168_62
	s_branch .LBB168_63
.LBB168_60:
	s_mov_b32 s11, -1
                                        ; implicit-def: $vgpr10
.LBB168_61:
	s_branch .LBB168_63
.LBB168_62:
	s_cmp_lg_u32 s9, 0
	s_mov_b32 s8, -1
	s_cselect_b32 s11, -1, 0
.LBB168_63:
	v_and_b32_e32 v2, 0xff, v2
	s_and_not1_b32 vcc_lo, exec_lo, s11
	s_cbranch_vccz .LBB168_68
; %bb.64:
	s_and_not1_b32 vcc_lo, exec_lo, s8
	s_cbranch_vccz .LBB168_69
.LBB168_65:
	v_lshrrev_b32_e32 v2, 16, v3
	s_cmp_lt_i32 s9, 1
	s_mov_b32 s8, 0
	s_cbranch_scc1 .LBB168_70
.LBB168_66:
	s_cmp_eq_u32 s9, 1
	s_cbranch_scc0 .LBB168_71
; %bb.67:
	v_and_b32_e32 v11, 0xff, v2
	s_and_b32 s11, s10, 0xff
	s_delay_alu instid0(VALU_DEP_1) | instid1(SALU_CYCLE_1)
	v_min_u16 v11, v11, s11
	s_mov_b32 s11, 0
	s_branch .LBB168_72
.LBB168_68:
	s_and_b32 s8, s10, 0xff
	s_delay_alu instid0(VALU_DEP_1) | instid1(SALU_CYCLE_1)
	v_max_u16 v10, v2, s8
	s_and_b32 s8, s0, 0xff
	s_delay_alu instid0(VALU_DEP_1) | instid1(SALU_CYCLE_1)
	v_min_u16 v10, v10, s8
	s_cbranch_execnz .LBB168_65
.LBB168_69:
	s_and_b32 s8, s10, 0xff
	s_delay_alu instid0(SALU_CYCLE_1)
	v_max_u16 v10, v2, s8
	v_lshrrev_b32_e32 v2, 16, v3
	s_cmp_lt_i32 s9, 1
	s_mov_b32 s8, 0
	s_cbranch_scc0 .LBB168_66
.LBB168_70:
	s_mov_b32 s11, 0
                                        ; implicit-def: $vgpr11
	s_cbranch_execnz .LBB168_73
	s_branch .LBB168_74
.LBB168_71:
	s_mov_b32 s11, -1
                                        ; implicit-def: $vgpr11
.LBB168_72:
	s_branch .LBB168_74
.LBB168_73:
	s_cmp_lg_u32 s9, 0
	s_mov_b32 s8, -1
	s_cselect_b32 s11, -1, 0
.LBB168_74:
	v_and_b32_e32 v2, 0xff, v2
	s_and_not1_b32 vcc_lo, exec_lo, s11
	s_cbranch_vccz .LBB168_79
; %bb.75:
	s_and_not1_b32 vcc_lo, exec_lo, s8
	s_cbranch_vccz .LBB168_80
.LBB168_76:
	v_lshrrev_b32_e32 v2, 24, v3
	s_cmp_lt_i32 s9, 1
	s_mov_b32 s8, 0
	s_cbranch_scc1 .LBB168_81
.LBB168_77:
	s_cmp_eq_u32 s9, 1
	s_cbranch_scc0 .LBB168_82
; %bb.78:
	s_and_b32 s11, s10, 0xff
	s_delay_alu instid0(SALU_CYCLE_1)
	v_min_u16 v12, v2, s11
	s_mov_b32 s11, 0
	s_branch .LBB168_83
.LBB168_79:
	s_and_b32 s8, s10, 0xff
	s_delay_alu instid0(VALU_DEP_1) | instid1(SALU_CYCLE_1)
	v_max_u16 v11, v2, s8
	s_and_b32 s8, s0, 0xff
	s_delay_alu instid0(VALU_DEP_1) | instid1(SALU_CYCLE_1)
	v_min_u16 v11, v11, s8
	s_cbranch_execnz .LBB168_76
.LBB168_80:
	s_and_b32 s8, s10, 0xff
	s_delay_alu instid0(SALU_CYCLE_1)
	v_max_u16 v11, v2, s8
	v_lshrrev_b32_e32 v2, 24, v3
	s_cmp_lt_i32 s9, 1
	s_mov_b32 s8, 0
	s_cbranch_scc0 .LBB168_77
.LBB168_81:
	s_mov_b32 s11, 0
                                        ; implicit-def: $vgpr12
	s_cbranch_execnz .LBB168_84
	s_branch .LBB168_85
.LBB168_82:
	s_mov_b32 s11, -1
                                        ; implicit-def: $vgpr12
.LBB168_83:
	s_branch .LBB168_85
.LBB168_84:
	s_cmp_lg_u32 s9, 0
	s_mov_b32 s8, -1
	s_cselect_b32 s11, -1, 0
.LBB168_85:
	s_delay_alu instid0(SALU_CYCLE_1)
	s_and_not1_b32 vcc_lo, exec_lo, s11
	s_cbranch_vccz .LBB168_90
; %bb.86:
	s_and_not1_b32 vcc_lo, exec_lo, s8
	s_cbranch_vccz .LBB168_91
.LBB168_87:
	s_cmp_lt_i32 s9, 1
	s_mov_b32 s8, 0
	s_cbranch_scc1 .LBB168_92
.LBB168_88:
	s_cmp_eq_u32 s9, 1
	s_cbranch_scc0 .LBB168_93
; %bb.89:
	v_and_b32_e32 v2, 0xff, v4
	s_and_b32 s11, s10, 0xff
	s_delay_alu instid0(VALU_DEP_1) | instid1(SALU_CYCLE_1)
	v_min_u16 v13, v2, s11
	s_mov_b32 s11, 0
	s_branch .LBB168_94
.LBB168_90:
	s_and_b32 s8, s10, 0xff
	s_delay_alu instid0(SALU_CYCLE_1)
	v_max_u16 v3, v2, s8
	s_and_b32 s8, s0, 0xff
	s_delay_alu instid0(VALU_DEP_1) | instid1(SALU_CYCLE_1)
	v_min_u16 v12, v3, s8
	s_cbranch_execnz .LBB168_87
.LBB168_91:
	s_and_b32 s8, s10, 0xff
	s_delay_alu instid0(SALU_CYCLE_1)
	v_max_u16 v12, v2, s8
	s_cmp_lt_i32 s9, 1
	s_mov_b32 s8, 0
	s_cbranch_scc0 .LBB168_88
.LBB168_92:
	s_mov_b32 s11, 0
                                        ; implicit-def: $vgpr13
	s_cbranch_execnz .LBB168_95
	s_branch .LBB168_96
.LBB168_93:
	s_mov_b32 s11, -1
                                        ; implicit-def: $vgpr13
.LBB168_94:
	s_branch .LBB168_96
.LBB168_95:
	s_cmp_lg_u32 s9, 0
	s_mov_b32 s8, -1
	s_cselect_b32 s11, -1, 0
.LBB168_96:
	v_and_b32_e32 v2, 0xff, v4
	s_and_not1_b32 vcc_lo, exec_lo, s11
	s_cbranch_vccz .LBB168_101
; %bb.97:
	s_and_not1_b32 vcc_lo, exec_lo, s8
	s_cbranch_vccz .LBB168_102
.LBB168_98:
	v_lshrrev_b32_e32 v2, 8, v4
	s_cmp_lt_i32 s9, 1
	s_mov_b32 s8, 0
	s_cbranch_scc1 .LBB168_103
.LBB168_99:
	s_cmp_eq_u32 s9, 1
	s_cbranch_scc0 .LBB168_104
; %bb.100:
	v_and_b32_e32 v3, 0xff, v2
	s_and_b32 s11, s10, 0xff
	s_delay_alu instid0(VALU_DEP_1) | instid1(SALU_CYCLE_1)
	v_min_u16 v14, v3, s11
	s_mov_b32 s11, 0
	s_branch .LBB168_105
.LBB168_101:
	s_and_b32 s8, s10, 0xff
	s_delay_alu instid0(VALU_DEP_1) | instid1(SALU_CYCLE_1)
	v_max_u16 v3, v2, s8
	s_and_b32 s8, s0, 0xff
	s_delay_alu instid0(VALU_DEP_1) | instid1(SALU_CYCLE_1)
	v_min_u16 v13, v3, s8
	s_cbranch_execnz .LBB168_98
.LBB168_102:
	s_and_b32 s8, s10, 0xff
	s_delay_alu instid0(SALU_CYCLE_1)
	v_max_u16 v13, v2, s8
	v_lshrrev_b32_e32 v2, 8, v4
	s_cmp_lt_i32 s9, 1
	s_mov_b32 s8, 0
	s_cbranch_scc0 .LBB168_99
.LBB168_103:
	s_mov_b32 s11, 0
                                        ; implicit-def: $vgpr14
	s_cbranch_execnz .LBB168_106
	s_branch .LBB168_107
.LBB168_104:
	s_mov_b32 s11, -1
                                        ; implicit-def: $vgpr14
.LBB168_105:
	s_branch .LBB168_107
.LBB168_106:
	s_cmp_lg_u32 s9, 0
	s_mov_b32 s8, -1
	s_cselect_b32 s11, -1, 0
.LBB168_107:
	v_and_b32_e32 v2, 0xff, v2
	s_and_not1_b32 vcc_lo, exec_lo, s11
	s_cbranch_vccz .LBB168_112
; %bb.108:
	s_and_not1_b32 vcc_lo, exec_lo, s8
	s_cbranch_vccz .LBB168_113
.LBB168_109:
	v_lshrrev_b32_e32 v2, 16, v4
	s_cmp_lt_i32 s9, 1
	s_mov_b32 s8, 0
	s_cbranch_scc1 .LBB168_114
.LBB168_110:
	s_cmp_eq_u32 s9, 1
	s_cbranch_scc0 .LBB168_115
; %bb.111:
	v_and_b32_e32 v3, 0xff, v2
	s_and_b32 s11, s10, 0xff
	s_delay_alu instid0(VALU_DEP_1) | instid1(SALU_CYCLE_1)
	v_min_u16 v15, v3, s11
	s_mov_b32 s11, 0
	s_branch .LBB168_116
.LBB168_112:
	s_and_b32 s8, s10, 0xff
	s_delay_alu instid0(VALU_DEP_1) | instid1(SALU_CYCLE_1)
	v_max_u16 v3, v2, s8
	s_and_b32 s8, s0, 0xff
	s_delay_alu instid0(VALU_DEP_1) | instid1(SALU_CYCLE_1)
	v_min_u16 v14, v3, s8
	s_cbranch_execnz .LBB168_109
.LBB168_113:
	s_and_b32 s8, s10, 0xff
	s_delay_alu instid0(SALU_CYCLE_1)
	v_max_u16 v14, v2, s8
	v_lshrrev_b32_e32 v2, 16, v4
	s_cmp_lt_i32 s9, 1
	s_mov_b32 s8, 0
	s_cbranch_scc0 .LBB168_110
.LBB168_114:
	s_mov_b32 s11, 0
                                        ; implicit-def: $vgpr15
	s_cbranch_execnz .LBB168_117
	s_branch .LBB168_118
.LBB168_115:
	s_mov_b32 s11, -1
                                        ; implicit-def: $vgpr15
.LBB168_116:
	s_branch .LBB168_118
.LBB168_117:
	s_cmp_lg_u32 s9, 0
	s_mov_b32 s8, -1
	s_cselect_b32 s11, -1, 0
.LBB168_118:
	v_and_b32_e32 v2, 0xff, v2
	s_and_not1_b32 vcc_lo, exec_lo, s11
	s_cbranch_vccz .LBB168_123
; %bb.119:
	s_and_not1_b32 vcc_lo, exec_lo, s8
	s_cbranch_vccz .LBB168_124
.LBB168_120:
	v_lshrrev_b64 v[2:3], 24, v[4:5]
	s_cmp_lt_i32 s9, 1
	s_mov_b32 s8, 0
	s_cbranch_scc1 .LBB168_125
.LBB168_121:
	s_cmp_eq_u32 s9, 1
	s_cbranch_scc0 .LBB168_126
; %bb.122:
	s_delay_alu instid0(VALU_DEP_1)
	v_and_b32_e32 v3, 0xff, v2
	s_and_b32 s11, s10, 0xff
	s_delay_alu instid0(VALU_DEP_1) | instid1(SALU_CYCLE_1)
	v_min_u16 v3, v3, s11
	s_mov_b32 s11, 0
	s_branch .LBB168_127
.LBB168_123:
	s_and_b32 s8, s10, 0xff
	s_delay_alu instid0(VALU_DEP_1) | instid1(SALU_CYCLE_1)
	v_max_u16 v3, v2, s8
	s_and_b32 s8, s0, 0xff
	s_delay_alu instid0(VALU_DEP_1) | instid1(SALU_CYCLE_1)
	v_min_u16 v15, v3, s8
	s_cbranch_execnz .LBB168_120
.LBB168_124:
	s_and_b32 s8, s10, 0xff
	s_delay_alu instid0(SALU_CYCLE_1)
	v_max_u16 v15, v2, s8
	v_lshrrev_b64 v[2:3], 24, v[4:5]
	s_cmp_lt_i32 s9, 1
	s_mov_b32 s8, 0
	s_cbranch_scc0 .LBB168_121
.LBB168_125:
	s_mov_b32 s11, 0
                                        ; implicit-def: $vgpr3
	s_cbranch_execnz .LBB168_128
	s_branch .LBB168_129
.LBB168_126:
	s_mov_b32 s11, -1
                                        ; implicit-def: $vgpr3
.LBB168_127:
	s_branch .LBB168_129
.LBB168_128:
	s_cmp_lg_u32 s9, 0
	s_mov_b32 s8, -1
	s_cselect_b32 s11, -1, 0
.LBB168_129:
	v_and_b32_e32 v2, 0xff, v2
	s_and_not1_b32 vcc_lo, exec_lo, s11
	s_cbranch_vccz .LBB168_134
; %bb.130:
	s_and_not1_b32 vcc_lo, exec_lo, s8
	s_cbranch_vccz .LBB168_135
.LBB168_131:
	s_cmp_lt_i32 s9, 1
	s_mov_b32 s8, 0
	s_cbranch_scc1 .LBB168_136
.LBB168_132:
	s_cmp_eq_u32 s9, 1
	s_cbranch_scc0 .LBB168_137
; %bb.133:
	v_and_b32_e32 v2, 0xff, v5
	s_and_b32 s11, s10, 0xff
	s_delay_alu instid0(VALU_DEP_1) | instid1(SALU_CYCLE_1)
	v_min_u16 v2, v2, s11
	s_mov_b32 s11, 0
	s_branch .LBB168_138
.LBB168_134:
	s_and_b32 s8, s10, 0xff
	s_delay_alu instid0(VALU_DEP_1) | instid1(SALU_CYCLE_1)
	v_max_u16 v3, v2, s8
	s_and_b32 s8, s0, 0xff
	s_delay_alu instid0(VALU_DEP_1) | instid1(SALU_CYCLE_1)
	v_min_u16 v3, v3, s8
	s_cbranch_execnz .LBB168_131
.LBB168_135:
	s_and_b32 s8, s10, 0xff
	s_delay_alu instid0(SALU_CYCLE_1)
	v_max_u16 v3, v2, s8
	s_cmp_lt_i32 s9, 1
	s_mov_b32 s8, 0
	s_cbranch_scc0 .LBB168_132
.LBB168_136:
	s_mov_b32 s11, 0
                                        ; implicit-def: $vgpr2
	s_cbranch_execnz .LBB168_139
	s_branch .LBB168_140
.LBB168_137:
	s_mov_b32 s11, -1
                                        ; implicit-def: $vgpr2
.LBB168_138:
	s_branch .LBB168_140
.LBB168_139:
	s_cmp_lg_u32 s9, 0
	s_mov_b32 s8, -1
	s_cselect_b32 s11, -1, 0
.LBB168_140:
	v_and_b32_e32 v4, 0xff, v5
	s_and_not1_b32 vcc_lo, exec_lo, s11
	s_cbranch_vccz .LBB168_145
; %bb.141:
	s_and_not1_b32 vcc_lo, exec_lo, s8
	s_cbranch_vccz .LBB168_146
.LBB168_142:
	v_lshrrev_b32_e32 v16, 8, v5
	s_cmp_lt_i32 s9, 1
	s_mov_b32 s8, 0
	s_cbranch_scc1 .LBB168_147
.LBB168_143:
	s_cmp_eq_u32 s9, 1
	s_cbranch_scc0 .LBB168_148
; %bb.144:
	v_and_b32_e32 v4, 0xff, v16
	s_and_b32 s11, s10, 0xff
	s_delay_alu instid0(VALU_DEP_1) | instid1(SALU_CYCLE_1)
	v_min_u16 v4, v4, s11
	s_mov_b32 s11, 0
	s_branch .LBB168_149
.LBB168_145:
	s_and_b32 s8, s10, 0xff
	s_delay_alu instid0(VALU_DEP_1) | instid1(SALU_CYCLE_1)
	v_max_u16 v2, v4, s8
	s_and_b32 s8, s0, 0xff
	s_delay_alu instid0(VALU_DEP_1) | instid1(SALU_CYCLE_1)
	v_min_u16 v2, v2, s8
	s_cbranch_execnz .LBB168_142
.LBB168_146:
	s_and_b32 s8, s10, 0xff
	s_delay_alu instid0(SALU_CYCLE_1)
	v_max_u16 v2, v4, s8
	v_lshrrev_b32_e32 v16, 8, v5
	s_cmp_lt_i32 s9, 1
	s_mov_b32 s8, 0
	s_cbranch_scc0 .LBB168_143
.LBB168_147:
	s_mov_b32 s11, 0
                                        ; implicit-def: $vgpr4
	s_cbranch_execnz .LBB168_150
	s_branch .LBB168_151
.LBB168_148:
	s_mov_b32 s11, -1
                                        ; implicit-def: $vgpr4
.LBB168_149:
	s_branch .LBB168_151
.LBB168_150:
	s_cmp_lg_u32 s9, 0
	s_mov_b32 s8, -1
	s_cselect_b32 s11, -1, 0
.LBB168_151:
	v_and_b32_e32 v16, 0xff, v16
	s_and_not1_b32 vcc_lo, exec_lo, s11
	s_cbranch_vccz .LBB168_156
; %bb.152:
	s_and_not1_b32 vcc_lo, exec_lo, s8
	s_cbranch_vccz .LBB168_157
.LBB168_153:
	v_lshrrev_b32_e32 v17, 16, v5
	s_cmp_lt_i32 s9, 1
	s_mov_b32 s8, 0
	s_cbranch_scc1 .LBB168_158
.LBB168_154:
	s_cmp_eq_u32 s9, 1
	s_cbranch_scc0 .LBB168_159
; %bb.155:
	v_and_b32_e32 v16, 0xff, v17
	s_and_b32 s11, s10, 0xff
	s_delay_alu instid0(VALU_DEP_1) | instid1(SALU_CYCLE_1)
	v_min_u16 v16, v16, s11
	s_mov_b32 s11, 0
	s_branch .LBB168_160
.LBB168_156:
	s_and_b32 s8, s10, 0xff
	s_delay_alu instid0(VALU_DEP_1) | instid1(SALU_CYCLE_1)
	v_max_u16 v4, v16, s8
	s_and_b32 s8, s0, 0xff
	s_delay_alu instid0(VALU_DEP_1) | instid1(SALU_CYCLE_1)
	v_min_u16 v4, v4, s8
	s_cbranch_execnz .LBB168_153
.LBB168_157:
	s_and_b32 s8, s10, 0xff
	s_delay_alu instid0(SALU_CYCLE_1)
	v_max_u16 v4, v16, s8
	v_lshrrev_b32_e32 v17, 16, v5
	s_cmp_lt_i32 s9, 1
	s_mov_b32 s8, 0
	s_cbranch_scc0 .LBB168_154
.LBB168_158:
	s_mov_b32 s11, 0
                                        ; implicit-def: $vgpr16
	s_cbranch_execnz .LBB168_161
	s_branch .LBB168_162
.LBB168_159:
	s_mov_b32 s11, -1
                                        ; implicit-def: $vgpr16
.LBB168_160:
	s_branch .LBB168_162
.LBB168_161:
	s_cmp_lg_u32 s9, 0
	s_mov_b32 s8, -1
	s_cselect_b32 s11, -1, 0
.LBB168_162:
	v_and_b32_e32 v17, 0xff, v17
	s_and_not1_b32 vcc_lo, exec_lo, s11
	s_cbranch_vccz .LBB168_167
; %bb.163:
	s_and_not1_b32 vcc_lo, exec_lo, s8
	s_cbranch_vccz .LBB168_168
.LBB168_164:
	v_lshrrev_b32_e32 v5, 24, v5
	s_cmp_lt_i32 s9, 1
	s_mov_b32 s8, 0
	s_cbranch_scc1 .LBB168_169
.LBB168_165:
	s_cmp_eq_u32 s9, 1
	s_cbranch_scc0 .LBB168_170
; %bb.166:
	s_and_b32 s11, s10, 0xff
	s_delay_alu instid0(SALU_CYCLE_1)
	v_min_u16 v17, v5, s11
	s_mov_b32 s11, 0
	s_branch .LBB168_171
.LBB168_167:
	s_and_b32 s8, s10, 0xff
	s_delay_alu instid0(VALU_DEP_1) | instid1(SALU_CYCLE_1)
	v_max_u16 v16, v17, s8
	s_and_b32 s8, s0, 0xff
	s_delay_alu instid0(VALU_DEP_1) | instid1(SALU_CYCLE_1)
	v_min_u16 v16, v16, s8
	s_cbranch_execnz .LBB168_164
.LBB168_168:
	s_and_b32 s8, s10, 0xff
	s_delay_alu instid0(SALU_CYCLE_1)
	v_max_u16 v16, v17, s8
	v_lshrrev_b32_e32 v5, 24, v5
	s_cmp_lt_i32 s9, 1
	s_mov_b32 s8, 0
	s_cbranch_scc0 .LBB168_165
.LBB168_169:
	s_mov_b32 s11, 0
                                        ; implicit-def: $vgpr17
	s_cbranch_execnz .LBB168_172
	s_branch .LBB168_173
.LBB168_170:
	s_mov_b32 s11, -1
                                        ; implicit-def: $vgpr17
.LBB168_171:
	s_branch .LBB168_173
.LBB168_172:
	s_cmp_lg_u32 s9, 0
	s_mov_b32 s8, -1
	s_cselect_b32 s11, -1, 0
.LBB168_173:
	s_delay_alu instid0(SALU_CYCLE_1)
	s_and_not1_b32 vcc_lo, exec_lo, s11
	s_cbranch_vccz .LBB168_214
; %bb.174:
	s_and_not1_b32 vcc_lo, exec_lo, s8
	s_cbranch_vccnz .LBB168_176
.LBB168_175:
	s_and_b32 s0, s10, 0xff
	s_delay_alu instid0(SALU_CYCLE_1)
	v_max_u16 v17, v5, s0
.LBB168_176:
	v_perm_b32 v2, v2, v4, 0xc0c0004
	s_delay_alu instid0(VALU_DEP_2)
	v_perm_b32 v4, v16, v17, 0xc0c0004
	v_perm_b32 v13, v13, v14, 0xc0c0004
	;; [unrolled: 1-line block ×7, first 2 shown]
	v_lshl_or_b32 v5, v4, 16, v2
	v_lshl_or_b32 v4, v3, 16, v13
	;; [unrolled: 1-line block ×3, first 2 shown]
	s_add_nc_u64 s[12:13], s[4:5], s[2:3]
	v_lshl_or_b32 v2, v7, 16, v1
	s_mov_b32 s3, 0
	global_store_b128 v0, v[2:5], s[12:13] scale_offset
.LBB168_177:
	s_and_b32 vcc_lo, exec_lo, s3
	s_cbranch_vccz .LBB168_436
; %bb.178:
	v_cmp_gt_i32_e64 s0, s1, v0
	s_wait_xcnt 0x0
	v_dual_mov_b32 v2, 0 :: v_dual_bitop2_b32 v8, s2, v0 bitop3:0x54
	v_or_b32_e32 v9, 0x100, v0
	v_dual_mov_b32 v10, 0 :: v_dual_mov_b32 v11, 0
	v_dual_mov_b32 v12, 0 :: v_dual_mov_b32 v13, 0
	;; [unrolled: 1-line block ×8, first 2 shown]
	s_and_saveexec_b32 s3, s0
	s_cbranch_execz .LBB168_210
; %bb.179:
	global_load_u8 v23, v8, s[6:7]
	v_or_b32_e32 v1, 0x100, v0
	v_dual_mov_b32 v22, 0 :: v_dual_mov_b32 v5, 0
	v_dual_mov_b32 v6, 0 :: v_dual_mov_b32 v21, 0
	;; [unrolled: 1-line block ×7, first 2 shown]
	v_mov_b32_e32 v10, 0
	s_mov_b32 s8, exec_lo
	s_wait_xcnt 0x0
	v_cmpx_gt_u32_e64 s1, v1
	s_cbranch_execz .LBB168_209
; %bb.180:
	v_dual_mov_b32 v5, 0 :: v_dual_add_nc_u32 v4, s2, v0
	v_or_b32_e32 v1, 0x200, v0
	v_dual_mov_b32 v6, 0 :: v_dual_mov_b32 v21, 0
	global_load_u8 v22, v4, s[6:7] offset:256
	v_dual_mov_b32 v20, 0 :: v_dual_mov_b32 v19, 0
	v_dual_mov_b32 v18, 0 :: v_dual_mov_b32 v17, 0
	v_dual_mov_b32 v16, 0 :: v_dual_mov_b32 v15, 0
	v_dual_mov_b32 v14, 0 :: v_dual_mov_b32 v13, 0
	v_dual_mov_b32 v12, 0 :: v_dual_mov_b32 v11, 0
	v_mov_b32_e32 v10, 0
	s_mov_b32 s11, exec_lo
	s_wait_xcnt 0x0
	v_cmpx_gt_u32_e64 s1, v1
	s_cbranch_execz .LBB168_208
; %bb.181:
	v_add_nc_u64_e32 v[6:7], s[6:7], v[4:5]
	v_or_b32_e32 v3, 0x300, v0
	v_dual_mov_b32 v21, 0 :: v_dual_mov_b32 v20, 0
	v_dual_mov_b32 v19, 0 :: v_dual_mov_b32 v18, 0
	;; [unrolled: 1-line block ×3, first 2 shown]
	global_load_u8 v1, v[6:7], off offset:512
	v_dual_mov_b32 v15, 0 :: v_dual_mov_b32 v14, 0
	v_dual_mov_b32 v13, 0 :: v_dual_mov_b32 v12, 0
	;; [unrolled: 1-line block ×3, first 2 shown]
	s_mov_b32 s6, exec_lo
	s_wait_xcnt 0x0
	v_cmpx_gt_u32_e64 s1, v3
	s_cbranch_execz .LBB168_207
; %bb.182:
	global_load_u8 v5, v[6:7], off offset:768
	v_or_b32_e32 v3, 0x400, v0
	v_dual_mov_b32 v21, 0 :: v_dual_mov_b32 v20, 0
	v_dual_mov_b32 v19, 0 :: v_dual_mov_b32 v18, 0
	;; [unrolled: 1-line block ×6, first 2 shown]
	s_mov_b32 s7, exec_lo
	s_wait_xcnt 0x0
	v_cmpx_gt_u32_e64 s1, v3
	s_cbranch_execz .LBB168_206
; %bb.183:
	global_load_u8 v21, v[6:7], off offset:1024
	v_or_b32_e32 v3, 0x500, v0
	v_dual_mov_b32 v20, 0 :: v_dual_mov_b32 v19, 0
	v_dual_mov_b32 v18, 0 :: v_dual_mov_b32 v17, 0
	;; [unrolled: 1-line block ×5, first 2 shown]
	v_mov_b32_e32 v10, 0
	s_mov_b32 s12, exec_lo
	s_wait_xcnt 0x0
	v_cmpx_gt_u32_e64 s1, v3
	s_cbranch_execz .LBB168_205
; %bb.184:
	global_load_u8 v20, v[6:7], off offset:1280
	v_or_b32_e32 v3, 0x600, v0
	v_dual_mov_b32 v19, 0 :: v_dual_mov_b32 v18, 0
	v_dual_mov_b32 v17, 0 :: v_dual_mov_b32 v16, 0
	;; [unrolled: 1-line block ×5, first 2 shown]
	s_mov_b32 s13, exec_lo
	s_wait_xcnt 0x0
	v_cmpx_gt_u32_e64 s1, v3
	s_cbranch_execz .LBB168_204
; %bb.185:
	global_load_u8 v19, v[6:7], off offset:1536
	v_or_b32_e32 v3, 0x700, v0
	v_dual_mov_b32 v18, 0 :: v_dual_mov_b32 v17, 0
	v_dual_mov_b32 v16, 0 :: v_dual_mov_b32 v15, 0
	;; [unrolled: 1-line block ×4, first 2 shown]
	v_mov_b32_e32 v10, 0
	s_mov_b32 s14, exec_lo
	s_wait_xcnt 0x0
	v_cmpx_gt_u32_e64 s1, v3
	s_cbranch_execz .LBB168_203
; %bb.186:
	global_load_u8 v18, v[6:7], off offset:1792
	v_or_b32_e32 v3, 0x800, v0
	v_dual_mov_b32 v17, 0 :: v_dual_mov_b32 v16, 0
	v_dual_mov_b32 v15, 0 :: v_dual_mov_b32 v14, 0
	;; [unrolled: 1-line block ×4, first 2 shown]
	s_mov_b32 s15, exec_lo
	s_wait_xcnt 0x0
	v_cmpx_gt_u32_e64 s1, v3
	s_cbranch_execz .LBB168_202
; %bb.187:
	global_load_u8 v17, v[6:7], off offset:2048
	v_or_b32_e32 v3, 0x900, v0
	v_dual_mov_b32 v16, 0 :: v_dual_mov_b32 v15, 0
	v_dual_mov_b32 v14, 0 :: v_dual_mov_b32 v13, 0
	;; [unrolled: 1-line block ×3, first 2 shown]
	v_mov_b32_e32 v10, 0
	s_mov_b32 s16, exec_lo
	s_wait_xcnt 0x0
	v_cmpx_gt_u32_e64 s1, v3
	s_cbranch_execz .LBB168_201
; %bb.188:
	global_load_u8 v16, v[6:7], off offset:2304
	v_or_b32_e32 v3, 0xa00, v0
	v_dual_mov_b32 v15, 0 :: v_dual_mov_b32 v14, 0
	v_dual_mov_b32 v13, 0 :: v_dual_mov_b32 v12, 0
	;; [unrolled: 1-line block ×3, first 2 shown]
	s_mov_b32 s17, exec_lo
	s_wait_xcnt 0x0
	v_cmpx_gt_u32_e64 s1, v3
	s_cbranch_execz .LBB168_200
; %bb.189:
	global_load_u8 v15, v[6:7], off offset:2560
	v_or_b32_e32 v3, 0xb00, v0
	v_dual_mov_b32 v14, 0 :: v_dual_mov_b32 v13, 0
	v_dual_mov_b32 v12, 0 :: v_dual_mov_b32 v11, 0
	v_mov_b32_e32 v10, 0
	s_mov_b32 s18, exec_lo
	s_wait_xcnt 0x0
	v_cmpx_gt_u32_e64 s1, v3
	s_cbranch_execz .LBB168_199
; %bb.190:
	global_load_u8 v14, v[6:7], off offset:2816
	v_or_b32_e32 v3, 0xc00, v0
	v_dual_mov_b32 v13, 0 :: v_dual_mov_b32 v12, 0
	v_dual_mov_b32 v11, 0 :: v_dual_mov_b32 v10, 0
	s_mov_b32 s19, exec_lo
	s_wait_xcnt 0x0
	v_cmpx_gt_u32_e64 s1, v3
	s_cbranch_execz .LBB168_198
; %bb.191:
	global_load_u8 v13, v[6:7], off offset:3072
	v_or_b32_e32 v3, 0xd00, v0
	v_dual_mov_b32 v12, 0 :: v_dual_mov_b32 v11, 0
	v_mov_b32_e32 v10, 0
	s_mov_b32 s20, exec_lo
	s_wait_xcnt 0x0
	v_cmpx_gt_u32_e64 s1, v3
	s_cbranch_execz .LBB168_197
; %bb.192:
	global_load_u8 v12, v[6:7], off offset:3328
	v_or_b32_e32 v3, 0xe00, v0
	v_dual_mov_b32 v11, 0 :: v_dual_mov_b32 v10, 0
	s_mov_b32 s21, exec_lo
	s_wait_xcnt 0x0
	s_delay_alu instid0(VALU_DEP_2)
	v_cmpx_gt_u32_e64 s1, v3
	s_cbranch_execz .LBB168_196
; %bb.193:
	global_load_u8 v11, v[6:7], off offset:3584
	v_or_b32_e32 v3, 0xf00, v0
	v_mov_b32_e32 v10, 0
	s_mov_b32 s22, exec_lo
	s_wait_xcnt 0x0
	s_delay_alu instid0(VALU_DEP_2)
	v_cmpx_gt_u32_e64 s1, v3
	s_cbranch_execz .LBB168_195
; %bb.194:
	global_load_u8 v10, v[6:7], off offset:3840
.LBB168_195:
	s_wait_xcnt 0x0
	s_or_b32 exec_lo, exec_lo, s22
.LBB168_196:
	s_delay_alu instid0(SALU_CYCLE_1)
	s_or_b32 exec_lo, exec_lo, s21
.LBB168_197:
	s_delay_alu instid0(SALU_CYCLE_1)
	s_or_b32 exec_lo, exec_lo, s20
.LBB168_198:
	s_delay_alu instid0(SALU_CYCLE_1)
	s_or_b32 exec_lo, exec_lo, s19
.LBB168_199:
	s_delay_alu instid0(SALU_CYCLE_1)
	s_or_b32 exec_lo, exec_lo, s18
.LBB168_200:
	s_delay_alu instid0(SALU_CYCLE_1)
	s_or_b32 exec_lo, exec_lo, s17
.LBB168_201:
	s_delay_alu instid0(SALU_CYCLE_1)
	s_or_b32 exec_lo, exec_lo, s16
.LBB168_202:
	s_delay_alu instid0(SALU_CYCLE_1)
	s_or_b32 exec_lo, exec_lo, s15
.LBB168_203:
	s_delay_alu instid0(SALU_CYCLE_1)
	s_or_b32 exec_lo, exec_lo, s14
.LBB168_204:
	s_delay_alu instid0(SALU_CYCLE_1)
	s_or_b32 exec_lo, exec_lo, s13
.LBB168_205:
	s_delay_alu instid0(SALU_CYCLE_1)
	s_or_b32 exec_lo, exec_lo, s12
.LBB168_206:
	s_delay_alu instid0(SALU_CYCLE_1)
	s_or_b32 exec_lo, exec_lo, s7
.LBB168_207:
	s_delay_alu instid0(SALU_CYCLE_1)
	s_or_b32 exec_lo, exec_lo, s6
	s_wait_loadcnt 0x0
	v_dual_mov_b32 v6, v5 :: v_dual_mov_b32 v5, v1
.LBB168_208:
	s_or_b32 exec_lo, exec_lo, s11
.LBB168_209:
	s_delay_alu instid0(SALU_CYCLE_1)
	s_or_b32 exec_lo, exec_lo, s8
.LBB168_210:
	s_delay_alu instid0(SALU_CYCLE_1)
	s_or_b32 exec_lo, exec_lo, s3
	v_dual_mov_b32 v1, v2 :: v_dual_mov_b32 v4, v2
	v_mov_b32_e32 v3, v2
	s_lshr_b32 s3, s10, 8
	s_and_saveexec_b32 s6, s0
	s_cbranch_execz .LBB168_223
; %bb.211:
	s_cmp_lt_i32 s9, 1
	s_mov_b32 s7, 0
	s_cbranch_scc1 .LBB168_215
; %bb.212:
	s_cmp_eq_u32 s9, 1
	s_cbranch_scc0 .LBB168_216
; %bb.213:
	s_wait_loadcnt 0x0
	v_and_b32_e32 v1, 0xff, v23
	s_and_b32 s8, s10, 0xff
	s_delay_alu instid0(VALU_DEP_1) | instid1(SALU_CYCLE_1)
	v_min_u16 v1, v1, s8
	s_mov_b32 s8, 0
	s_branch .LBB168_217
.LBB168_214:
	s_and_b32 s8, s10, 0xff
	s_and_b32 s0, s0, 0xff
	v_max_u16 v17, v5, s8
	s_delay_alu instid0(VALU_DEP_1)
	v_min_u16 v17, v17, s0
	s_cbranch_execz .LBB168_175
	s_branch .LBB168_176
.LBB168_215:
	s_mov_b32 s8, 0
                                        ; implicit-def: $vgpr1
	s_cbranch_execnz .LBB168_218
	s_branch .LBB168_219
.LBB168_216:
	s_mov_b32 s8, -1
                                        ; implicit-def: $vgpr1
.LBB168_217:
	s_branch .LBB168_219
.LBB168_218:
	s_cmp_lg_u32 s9, 0
	s_mov_b32 s7, -1
	s_cselect_b32 s8, -1, 0
.LBB168_219:
	s_wait_loadcnt 0x0
	v_and_b32_e32 v2, 0xff, v23
	s_and_not1_b32 vcc_lo, exec_lo, s8
	s_cbranch_vccz .LBB168_227
; %bb.220:
	s_and_not1_b32 vcc_lo, exec_lo, s7
	s_cbranch_vccnz .LBB168_222
.LBB168_221:
	s_and_b32 s7, s10, 0xff
	s_delay_alu instid0(SALU_CYCLE_1)
	v_max_u16 v1, v2, s7
.LBB168_222:
	s_delay_alu instid0(VALU_DEP_1) | instskip(SKIP_1) | instid1(VALU_DEP_2)
	v_and_b32_e32 v2, 0xff, v1
	v_mov_b32_e32 v1, 0
	v_and_b32_e32 v2, 0xffff, v2
	s_delay_alu instid0(VALU_DEP_2)
	v_dual_mov_b32 v4, v1 :: v_dual_mov_b32 v3, v1
.LBB168_223:
	s_or_b32 exec_lo, exec_lo, s6
	s_delay_alu instid0(SALU_CYCLE_1)
	s_mov_b32 s6, exec_lo
	v_cmpx_gt_i32_e64 s1, v9
	s_cbranch_execz .LBB168_236
; %bb.224:
	s_cmp_lt_i32 s9, 1
	s_mov_b32 s7, 0
	s_cbranch_scc1 .LBB168_228
; %bb.225:
	s_cmp_eq_u32 s9, 1
	s_cbranch_scc0 .LBB168_229
; %bb.226:
	s_wait_loadcnt 0x0
	v_and_b32_e32 v7, 0xff, v22
	s_and_b32 s8, s10, 0xff
	s_delay_alu instid0(VALU_DEP_1) | instid1(SALU_CYCLE_1)
	v_min_u16 v7, v7, s8
	s_mov_b32 s8, 0
	s_branch .LBB168_230
.LBB168_227:
	s_and_b32 s7, s10, 0xff
	s_delay_alu instid0(VALU_DEP_1) | instid1(SALU_CYCLE_1)
	v_max_u16 v1, v2, s7
	s_and_b32 s7, s3, 0xff
	s_delay_alu instid0(VALU_DEP_1) | instid1(SALU_CYCLE_1)
	v_min_u16 v1, v1, s7
	s_cbranch_execz .LBB168_221
	s_branch .LBB168_222
.LBB168_228:
	s_mov_b32 s8, 0
                                        ; implicit-def: $vgpr7
	s_cbranch_execnz .LBB168_231
	s_branch .LBB168_232
.LBB168_229:
	s_mov_b32 s8, -1
                                        ; implicit-def: $vgpr7
.LBB168_230:
	s_branch .LBB168_232
.LBB168_231:
	s_cmp_lg_u32 s9, 0
	s_mov_b32 s7, -1
	s_cselect_b32 s8, -1, 0
.LBB168_232:
	s_wait_loadcnt 0x0
	v_and_b32_e32 v22, 0xff, v22
	s_and_not1_b32 vcc_lo, exec_lo, s8
	s_cbranch_vccz .LBB168_240
; %bb.233:
	s_and_not1_b32 vcc_lo, exec_lo, s7
	s_cbranch_vccnz .LBB168_235
.LBB168_234:
	s_and_b32 s7, s10, 0xff
	s_delay_alu instid0(SALU_CYCLE_1)
	v_max_u16 v7, v22, s7
.LBB168_235:
	s_delay_alu instid0(VALU_DEP_1)
	v_perm_b32 v2, v2, v7, 0x7060004
.LBB168_236:
	s_or_b32 exec_lo, exec_lo, s6
	v_or_b32_e32 v7, 0x200, v0
	s_mov_b32 s6, exec_lo
	s_delay_alu instid0(VALU_DEP_1)
	v_cmpx_gt_i32_e64 s1, v7
	s_cbranch_execz .LBB168_249
; %bb.237:
	s_cmp_lt_i32 s9, 1
	s_mov_b32 s7, 0
	s_cbranch_scc1 .LBB168_241
; %bb.238:
	s_cmp_eq_u32 s9, 1
	s_cbranch_scc0 .LBB168_242
; %bb.239:
	v_and_b32_e32 v7, 0xff, v5
	s_and_b32 s8, s10, 0xff
	s_delay_alu instid0(VALU_DEP_1) | instid1(SALU_CYCLE_1)
	v_min_u16 v7, v7, s8
	s_mov_b32 s8, 0
	s_branch .LBB168_243
.LBB168_240:
	s_and_b32 s7, s10, 0xff
	s_delay_alu instid0(VALU_DEP_1) | instid1(SALU_CYCLE_1)
	v_max_u16 v7, v22, s7
	s_and_b32 s7, s3, 0xff
	s_delay_alu instid0(VALU_DEP_1) | instid1(SALU_CYCLE_1)
	v_min_u16 v7, v7, s7
	s_cbranch_execz .LBB168_234
	s_branch .LBB168_235
.LBB168_241:
	s_mov_b32 s8, 0
                                        ; implicit-def: $vgpr7
	s_cbranch_execnz .LBB168_244
	s_branch .LBB168_245
.LBB168_242:
	s_mov_b32 s8, -1
                                        ; implicit-def: $vgpr7
.LBB168_243:
	s_branch .LBB168_245
.LBB168_244:
	s_cmp_lg_u32 s9, 0
	s_mov_b32 s7, -1
	s_cselect_b32 s8, -1, 0
.LBB168_245:
	v_and_b32_e32 v5, 0xff, v5
	s_and_not1_b32 vcc_lo, exec_lo, s8
	s_cbranch_vccz .LBB168_253
; %bb.246:
	s_and_not1_b32 vcc_lo, exec_lo, s7
	s_cbranch_vccnz .LBB168_248
.LBB168_247:
	s_and_b32 s7, s10, 0xff
	s_delay_alu instid0(SALU_CYCLE_1)
	v_max_u16 v7, v5, s7
.LBB168_248:
	s_delay_alu instid0(VALU_DEP_1)
	v_perm_b32 v2, v2, v7, 0x7000504
.LBB168_249:
	s_or_b32 exec_lo, exec_lo, s6
	v_or_b32_e32 v5, 0x300, v0
	s_mov_b32 s6, exec_lo
	s_delay_alu instid0(VALU_DEP_1)
	v_cmpx_gt_i32_e64 s1, v5
	s_cbranch_execz .LBB168_262
; %bb.250:
	s_cmp_lt_i32 s9, 1
	s_mov_b32 s7, 0
	s_cbranch_scc1 .LBB168_254
; %bb.251:
	s_cmp_eq_u32 s9, 1
	s_cbranch_scc0 .LBB168_255
; %bb.252:
	v_and_b32_e32 v5, 0xff, v6
	s_and_b32 s8, s10, 0xff
	s_delay_alu instid0(VALU_DEP_1) | instid1(SALU_CYCLE_1)
	v_min_u16 v5, v5, s8
	s_mov_b32 s8, 0
	s_branch .LBB168_256
.LBB168_253:
	s_and_b32 s7, s10, 0xff
	s_delay_alu instid0(VALU_DEP_1) | instid1(SALU_CYCLE_1)
	v_max_u16 v7, v5, s7
	s_and_b32 s7, s3, 0xff
	s_delay_alu instid0(VALU_DEP_1) | instid1(SALU_CYCLE_1)
	v_min_u16 v7, v7, s7
	s_cbranch_execz .LBB168_247
	s_branch .LBB168_248
.LBB168_254:
	s_mov_b32 s8, 0
                                        ; implicit-def: $vgpr5
	s_cbranch_execnz .LBB168_257
	s_branch .LBB168_258
.LBB168_255:
	s_mov_b32 s8, -1
                                        ; implicit-def: $vgpr5
.LBB168_256:
	s_branch .LBB168_258
.LBB168_257:
	s_cmp_lg_u32 s9, 0
	s_mov_b32 s7, -1
	s_cselect_b32 s8, -1, 0
.LBB168_258:
	v_and_b32_e32 v6, 0xff, v6
	s_and_not1_b32 vcc_lo, exec_lo, s8
	s_cbranch_vccz .LBB168_266
; %bb.259:
	s_and_not1_b32 vcc_lo, exec_lo, s7
	s_cbranch_vccnz .LBB168_261
.LBB168_260:
	s_and_b32 s7, s10, 0xff
	s_delay_alu instid0(SALU_CYCLE_1)
	v_max_u16 v5, v6, s7
.LBB168_261:
	s_delay_alu instid0(VALU_DEP_1)
	v_perm_b32 v2, v2, v5, 0x60504
.LBB168_262:
	s_or_b32 exec_lo, exec_lo, s6
	v_or_b32_e32 v5, 0x400, v0
	s_mov_b32 s6, exec_lo
	s_delay_alu instid0(VALU_DEP_1)
	v_cmpx_gt_i32_e64 s1, v5
	s_cbranch_execz .LBB168_275
; %bb.263:
	s_cmp_lt_i32 s9, 1
	s_mov_b32 s7, 0
	s_cbranch_scc1 .LBB168_267
; %bb.264:
	s_cmp_eq_u32 s9, 1
	s_cbranch_scc0 .LBB168_268
; %bb.265:
	v_and_b32_e32 v5, 0xff, v21
	s_and_b32 s8, s10, 0xff
	s_delay_alu instid0(VALU_DEP_1) | instid1(SALU_CYCLE_1)
	v_min_u16 v5, v5, s8
	s_mov_b32 s8, 0
	s_branch .LBB168_269
.LBB168_266:
	s_and_b32 s7, s10, 0xff
	s_delay_alu instid0(VALU_DEP_1) | instid1(SALU_CYCLE_1)
	v_max_u16 v5, v6, s7
	s_and_b32 s7, s3, 0xff
	s_delay_alu instid0(VALU_DEP_1) | instid1(SALU_CYCLE_1)
	v_min_u16 v5, v5, s7
	s_cbranch_execz .LBB168_260
	s_branch .LBB168_261
.LBB168_267:
	s_mov_b32 s8, 0
                                        ; implicit-def: $vgpr5
	s_cbranch_execnz .LBB168_270
	s_branch .LBB168_271
.LBB168_268:
	s_mov_b32 s8, -1
                                        ; implicit-def: $vgpr5
.LBB168_269:
	s_branch .LBB168_271
.LBB168_270:
	s_cmp_lg_u32 s9, 0
	s_mov_b32 s7, -1
	s_cselect_b32 s8, -1, 0
.LBB168_271:
	v_and_b32_e32 v6, 0xff, v21
	s_and_not1_b32 vcc_lo, exec_lo, s8
	s_cbranch_vccz .LBB168_279
; %bb.272:
	s_and_not1_b32 vcc_lo, exec_lo, s7
	s_cbranch_vccnz .LBB168_274
.LBB168_273:
	s_and_b32 s7, s10, 0xff
	s_delay_alu instid0(SALU_CYCLE_1)
	v_max_u16 v5, v6, s7
.LBB168_274:
	s_delay_alu instid0(VALU_DEP_1)
	v_perm_b32 v1, v5, v1, 0x3020104
.LBB168_275:
	s_or_b32 exec_lo, exec_lo, s6
	v_or_b32_e32 v5, 0x500, v0
	s_mov_b32 s6, exec_lo
	s_delay_alu instid0(VALU_DEP_1)
	v_cmpx_gt_i32_e64 s1, v5
	s_cbranch_execz .LBB168_288
; %bb.276:
	s_cmp_lt_i32 s9, 1
	s_mov_b32 s7, 0
	s_cbranch_scc1 .LBB168_280
; %bb.277:
	s_cmp_eq_u32 s9, 1
	s_cbranch_scc0 .LBB168_281
; %bb.278:
	v_and_b32_e32 v5, 0xff, v20
	s_and_b32 s8, s10, 0xff
	s_delay_alu instid0(VALU_DEP_1) | instid1(SALU_CYCLE_1)
	v_min_u16 v5, v5, s8
	s_mov_b32 s8, 0
	s_branch .LBB168_282
.LBB168_279:
	s_and_b32 s7, s10, 0xff
	s_delay_alu instid0(VALU_DEP_1) | instid1(SALU_CYCLE_1)
	v_max_u16 v5, v6, s7
	s_and_b32 s7, s3, 0xff
	s_delay_alu instid0(VALU_DEP_1) | instid1(SALU_CYCLE_1)
	v_min_u16 v5, v5, s7
	s_cbranch_execz .LBB168_273
	s_branch .LBB168_274
.LBB168_280:
	s_mov_b32 s8, 0
                                        ; implicit-def: $vgpr5
	s_cbranch_execnz .LBB168_283
	s_branch .LBB168_284
.LBB168_281:
	s_mov_b32 s8, -1
                                        ; implicit-def: $vgpr5
.LBB168_282:
	s_branch .LBB168_284
.LBB168_283:
	s_cmp_lg_u32 s9, 0
	s_mov_b32 s7, -1
	s_cselect_b32 s8, -1, 0
.LBB168_284:
	v_and_b32_e32 v6, 0xff, v20
	s_and_not1_b32 vcc_lo, exec_lo, s8
	s_cbranch_vccz .LBB168_292
; %bb.285:
	s_and_not1_b32 vcc_lo, exec_lo, s7
	s_cbranch_vccnz .LBB168_287
.LBB168_286:
	s_and_b32 s7, s10, 0xff
	s_delay_alu instid0(SALU_CYCLE_1)
	v_max_u16 v5, v6, s7
.LBB168_287:
	s_delay_alu instid0(VALU_DEP_1)
	v_perm_b32 v1, v1, v5, 0x7060004
.LBB168_288:
	s_or_b32 exec_lo, exec_lo, s6
	v_or_b32_e32 v5, 0x600, v0
	s_mov_b32 s6, exec_lo
	s_delay_alu instid0(VALU_DEP_1)
	v_cmpx_gt_i32_e64 s1, v5
	s_cbranch_execz .LBB168_301
; %bb.289:
	s_cmp_lt_i32 s9, 1
	s_mov_b32 s7, 0
	s_cbranch_scc1 .LBB168_293
; %bb.290:
	s_cmp_eq_u32 s9, 1
	s_cbranch_scc0 .LBB168_294
; %bb.291:
	v_and_b32_e32 v5, 0xff, v19
	s_and_b32 s8, s10, 0xff
	s_delay_alu instid0(VALU_DEP_1) | instid1(SALU_CYCLE_1)
	v_min_u16 v5, v5, s8
	s_mov_b32 s8, 0
	s_branch .LBB168_295
.LBB168_292:
	s_and_b32 s7, s10, 0xff
	s_delay_alu instid0(VALU_DEP_1) | instid1(SALU_CYCLE_1)
	v_max_u16 v5, v6, s7
	s_and_b32 s7, s3, 0xff
	s_delay_alu instid0(VALU_DEP_1) | instid1(SALU_CYCLE_1)
	v_min_u16 v5, v5, s7
	s_cbranch_execz .LBB168_286
	s_branch .LBB168_287
.LBB168_293:
	s_mov_b32 s8, 0
                                        ; implicit-def: $vgpr5
	s_cbranch_execnz .LBB168_296
	s_branch .LBB168_297
.LBB168_294:
	s_mov_b32 s8, -1
                                        ; implicit-def: $vgpr5
.LBB168_295:
	s_branch .LBB168_297
.LBB168_296:
	s_cmp_lg_u32 s9, 0
	s_mov_b32 s7, -1
	s_cselect_b32 s8, -1, 0
.LBB168_297:
	v_and_b32_e32 v6, 0xff, v19
	s_and_not1_b32 vcc_lo, exec_lo, s8
	s_cbranch_vccz .LBB168_305
; %bb.298:
	s_and_not1_b32 vcc_lo, exec_lo, s7
	s_cbranch_vccnz .LBB168_300
.LBB168_299:
	s_and_b32 s7, s10, 0xff
	s_delay_alu instid0(SALU_CYCLE_1)
	v_max_u16 v5, v6, s7
.LBB168_300:
	s_delay_alu instid0(VALU_DEP_1)
	v_perm_b32 v1, v1, v5, 0x7000504
.LBB168_301:
	s_or_b32 exec_lo, exec_lo, s6
	v_or_b32_e32 v5, 0x700, v0
	s_mov_b32 s6, exec_lo
	s_delay_alu instid0(VALU_DEP_1)
	v_cmpx_gt_i32_e64 s1, v5
	s_cbranch_execz .LBB168_314
; %bb.302:
	s_cmp_lt_i32 s9, 1
	s_mov_b32 s7, 0
	s_cbranch_scc1 .LBB168_306
; %bb.303:
	s_cmp_eq_u32 s9, 1
	s_cbranch_scc0 .LBB168_307
; %bb.304:
	v_and_b32_e32 v5, 0xff, v18
	s_and_b32 s8, s10, 0xff
	s_delay_alu instid0(VALU_DEP_1) | instid1(SALU_CYCLE_1)
	v_min_u16 v5, v5, s8
	s_mov_b32 s8, 0
	s_branch .LBB168_308
.LBB168_305:
	s_and_b32 s7, s10, 0xff
	s_delay_alu instid0(VALU_DEP_1) | instid1(SALU_CYCLE_1)
	v_max_u16 v5, v6, s7
	s_and_b32 s7, s3, 0xff
	s_delay_alu instid0(VALU_DEP_1) | instid1(SALU_CYCLE_1)
	v_min_u16 v5, v5, s7
	s_cbranch_execz .LBB168_299
	s_branch .LBB168_300
.LBB168_306:
	s_mov_b32 s8, 0
                                        ; implicit-def: $vgpr5
	s_cbranch_execnz .LBB168_309
	s_branch .LBB168_310
.LBB168_307:
	s_mov_b32 s8, -1
                                        ; implicit-def: $vgpr5
.LBB168_308:
	s_branch .LBB168_310
.LBB168_309:
	s_cmp_lg_u32 s9, 0
	s_mov_b32 s7, -1
	s_cselect_b32 s8, -1, 0
.LBB168_310:
	v_and_b32_e32 v6, 0xff, v18
	s_and_not1_b32 vcc_lo, exec_lo, s8
	s_cbranch_vccz .LBB168_318
; %bb.311:
	s_and_not1_b32 vcc_lo, exec_lo, s7
	s_cbranch_vccnz .LBB168_313
.LBB168_312:
	s_and_b32 s7, s10, 0xff
	s_delay_alu instid0(SALU_CYCLE_1)
	v_max_u16 v5, v6, s7
.LBB168_313:
	s_delay_alu instid0(VALU_DEP_1)
	v_perm_b32 v1, v1, v5, 0x60504
.LBB168_314:
	s_or_b32 exec_lo, exec_lo, s6
	v_or_b32_e32 v5, 0x800, v0
	s_mov_b32 s6, exec_lo
	s_delay_alu instid0(VALU_DEP_1)
	v_cmpx_gt_i32_e64 s1, v5
	s_cbranch_execz .LBB168_327
; %bb.315:
	s_cmp_lt_i32 s9, 1
	s_mov_b32 s7, 0
	s_cbranch_scc1 .LBB168_319
; %bb.316:
	s_cmp_eq_u32 s9, 1
	s_cbranch_scc0 .LBB168_320
; %bb.317:
	v_and_b32_e32 v5, 0xff, v17
	s_and_b32 s8, s10, 0xff
	s_delay_alu instid0(VALU_DEP_1) | instid1(SALU_CYCLE_1)
	v_min_u16 v5, v5, s8
	s_mov_b32 s8, 0
	s_branch .LBB168_321
.LBB168_318:
	s_and_b32 s7, s10, 0xff
	s_delay_alu instid0(VALU_DEP_1) | instid1(SALU_CYCLE_1)
	v_max_u16 v5, v6, s7
	s_and_b32 s7, s3, 0xff
	s_delay_alu instid0(VALU_DEP_1) | instid1(SALU_CYCLE_1)
	v_min_u16 v5, v5, s7
	s_cbranch_execz .LBB168_312
	s_branch .LBB168_313
.LBB168_319:
	s_mov_b32 s8, 0
                                        ; implicit-def: $vgpr5
	s_cbranch_execnz .LBB168_322
	s_branch .LBB168_323
.LBB168_320:
	s_mov_b32 s8, -1
                                        ; implicit-def: $vgpr5
.LBB168_321:
	s_branch .LBB168_323
.LBB168_322:
	s_cmp_lg_u32 s9, 0
	s_mov_b32 s7, -1
	s_cselect_b32 s8, -1, 0
.LBB168_323:
	v_and_b32_e32 v6, 0xff, v17
	s_and_not1_b32 vcc_lo, exec_lo, s8
	s_cbranch_vccz .LBB168_331
; %bb.324:
	s_and_not1_b32 vcc_lo, exec_lo, s7
	s_cbranch_vccnz .LBB168_326
.LBB168_325:
	s_and_b32 s7, s10, 0xff
	s_delay_alu instid0(SALU_CYCLE_1)
	v_max_u16 v5, v6, s7
.LBB168_326:
	s_delay_alu instid0(VALU_DEP_1)
	v_perm_b32 v4, v5, v4, 0x3020104
.LBB168_327:
	s_or_b32 exec_lo, exec_lo, s6
	v_or_b32_e32 v5, 0x900, v0
	s_mov_b32 s6, exec_lo
	s_delay_alu instid0(VALU_DEP_1)
	v_cmpx_gt_i32_e64 s1, v5
	s_cbranch_execz .LBB168_340
; %bb.328:
	s_cmp_lt_i32 s9, 1
	s_mov_b32 s7, 0
	s_cbranch_scc1 .LBB168_332
; %bb.329:
	s_cmp_eq_u32 s9, 1
	s_cbranch_scc0 .LBB168_333
; %bb.330:
	v_and_b32_e32 v5, 0xff, v16
	s_and_b32 s8, s10, 0xff
	s_delay_alu instid0(VALU_DEP_1) | instid1(SALU_CYCLE_1)
	v_min_u16 v5, v5, s8
	s_mov_b32 s8, 0
	s_branch .LBB168_334
.LBB168_331:
	s_and_b32 s7, s10, 0xff
	s_delay_alu instid0(VALU_DEP_1) | instid1(SALU_CYCLE_1)
	v_max_u16 v5, v6, s7
	s_and_b32 s7, s3, 0xff
	s_delay_alu instid0(VALU_DEP_1) | instid1(SALU_CYCLE_1)
	v_min_u16 v5, v5, s7
	s_cbranch_execz .LBB168_325
	s_branch .LBB168_326
.LBB168_332:
	s_mov_b32 s8, 0
                                        ; implicit-def: $vgpr5
	s_cbranch_execnz .LBB168_335
	s_branch .LBB168_336
.LBB168_333:
	s_mov_b32 s8, -1
                                        ; implicit-def: $vgpr5
.LBB168_334:
	s_branch .LBB168_336
.LBB168_335:
	s_cmp_lg_u32 s9, 0
	s_mov_b32 s7, -1
	s_cselect_b32 s8, -1, 0
.LBB168_336:
	v_and_b32_e32 v6, 0xff, v16
	s_and_not1_b32 vcc_lo, exec_lo, s8
	s_cbranch_vccz .LBB168_344
; %bb.337:
	s_and_not1_b32 vcc_lo, exec_lo, s7
	s_cbranch_vccnz .LBB168_339
.LBB168_338:
	s_and_b32 s7, s10, 0xff
	s_delay_alu instid0(SALU_CYCLE_1)
	v_max_u16 v5, v6, s7
.LBB168_339:
	s_delay_alu instid0(VALU_DEP_1)
	v_perm_b32 v4, v4, v5, 0x7060004
.LBB168_340:
	s_or_b32 exec_lo, exec_lo, s6
	v_or_b32_e32 v5, 0xa00, v0
	s_mov_b32 s6, exec_lo
	s_delay_alu instid0(VALU_DEP_1)
	v_cmpx_gt_i32_e64 s1, v5
	s_cbranch_execz .LBB168_353
; %bb.341:
	s_cmp_lt_i32 s9, 1
	s_mov_b32 s7, 0
	s_cbranch_scc1 .LBB168_345
; %bb.342:
	s_cmp_eq_u32 s9, 1
	s_cbranch_scc0 .LBB168_346
; %bb.343:
	v_and_b32_e32 v5, 0xff, v15
	s_and_b32 s8, s10, 0xff
	s_delay_alu instid0(VALU_DEP_1) | instid1(SALU_CYCLE_1)
	v_min_u16 v5, v5, s8
	s_mov_b32 s8, 0
	s_branch .LBB168_347
.LBB168_344:
	s_and_b32 s7, s10, 0xff
	s_delay_alu instid0(VALU_DEP_1) | instid1(SALU_CYCLE_1)
	v_max_u16 v5, v6, s7
	s_and_b32 s7, s3, 0xff
	s_delay_alu instid0(VALU_DEP_1) | instid1(SALU_CYCLE_1)
	v_min_u16 v5, v5, s7
	s_cbranch_execz .LBB168_338
	s_branch .LBB168_339
.LBB168_345:
	s_mov_b32 s8, 0
                                        ; implicit-def: $vgpr5
	s_cbranch_execnz .LBB168_348
	s_branch .LBB168_349
.LBB168_346:
	s_mov_b32 s8, -1
                                        ; implicit-def: $vgpr5
.LBB168_347:
	s_branch .LBB168_349
.LBB168_348:
	s_cmp_lg_u32 s9, 0
	s_mov_b32 s7, -1
	s_cselect_b32 s8, -1, 0
.LBB168_349:
	v_and_b32_e32 v6, 0xff, v15
	s_and_not1_b32 vcc_lo, exec_lo, s8
	s_cbranch_vccz .LBB168_357
; %bb.350:
	s_and_not1_b32 vcc_lo, exec_lo, s7
	s_cbranch_vccnz .LBB168_352
.LBB168_351:
	s_and_b32 s7, s10, 0xff
	s_delay_alu instid0(SALU_CYCLE_1)
	v_max_u16 v5, v6, s7
.LBB168_352:
	s_delay_alu instid0(VALU_DEP_1)
	v_perm_b32 v4, v4, v5, 0x7000504
.LBB168_353:
	s_or_b32 exec_lo, exec_lo, s6
	v_or_b32_e32 v5, 0xb00, v0
	s_mov_b32 s6, exec_lo
	s_delay_alu instid0(VALU_DEP_1)
	v_cmpx_gt_i32_e64 s1, v5
	s_cbranch_execz .LBB168_366
; %bb.354:
	s_cmp_lt_i32 s9, 1
	s_mov_b32 s7, 0
	s_cbranch_scc1 .LBB168_358
; %bb.355:
	s_cmp_eq_u32 s9, 1
	s_cbranch_scc0 .LBB168_359
; %bb.356:
	v_and_b32_e32 v5, 0xff, v14
	s_and_b32 s8, s10, 0xff
	s_delay_alu instid0(VALU_DEP_1) | instid1(SALU_CYCLE_1)
	v_min_u16 v5, v5, s8
	s_mov_b32 s8, 0
	s_branch .LBB168_360
.LBB168_357:
	s_and_b32 s7, s10, 0xff
	s_delay_alu instid0(VALU_DEP_1) | instid1(SALU_CYCLE_1)
	v_max_u16 v5, v6, s7
	s_and_b32 s7, s3, 0xff
	s_delay_alu instid0(VALU_DEP_1) | instid1(SALU_CYCLE_1)
	v_min_u16 v5, v5, s7
	s_cbranch_execz .LBB168_351
	s_branch .LBB168_352
.LBB168_358:
	s_mov_b32 s8, 0
                                        ; implicit-def: $vgpr5
	s_cbranch_execnz .LBB168_361
	s_branch .LBB168_362
.LBB168_359:
	s_mov_b32 s8, -1
                                        ; implicit-def: $vgpr5
.LBB168_360:
	s_branch .LBB168_362
.LBB168_361:
	s_cmp_lg_u32 s9, 0
	s_mov_b32 s7, -1
	s_cselect_b32 s8, -1, 0
.LBB168_362:
	v_and_b32_e32 v6, 0xff, v14
	s_and_not1_b32 vcc_lo, exec_lo, s8
	s_cbranch_vccz .LBB168_370
; %bb.363:
	s_and_not1_b32 vcc_lo, exec_lo, s7
	s_cbranch_vccnz .LBB168_365
.LBB168_364:
	s_and_b32 s7, s10, 0xff
	s_delay_alu instid0(SALU_CYCLE_1)
	v_max_u16 v5, v6, s7
.LBB168_365:
	s_delay_alu instid0(VALU_DEP_1)
	v_perm_b32 v4, v4, v5, 0x60504
.LBB168_366:
	s_or_b32 exec_lo, exec_lo, s6
	v_or_b32_e32 v5, 0xc00, v0
	s_mov_b32 s6, exec_lo
	s_delay_alu instid0(VALU_DEP_1)
	v_cmpx_gt_i32_e64 s1, v5
	s_cbranch_execz .LBB168_379
; %bb.367:
	s_cmp_lt_i32 s9, 1
	s_mov_b32 s7, 0
	s_cbranch_scc1 .LBB168_371
; %bb.368:
	s_cmp_eq_u32 s9, 1
	s_cbranch_scc0 .LBB168_372
; %bb.369:
	v_and_b32_e32 v5, 0xff, v13
	s_and_b32 s8, s10, 0xff
	s_delay_alu instid0(VALU_DEP_1) | instid1(SALU_CYCLE_1)
	v_min_u16 v5, v5, s8
	s_mov_b32 s8, 0
	s_branch .LBB168_373
.LBB168_370:
	s_and_b32 s7, s10, 0xff
	s_delay_alu instid0(VALU_DEP_1) | instid1(SALU_CYCLE_1)
	v_max_u16 v5, v6, s7
	s_and_b32 s7, s3, 0xff
	s_delay_alu instid0(VALU_DEP_1) | instid1(SALU_CYCLE_1)
	v_min_u16 v5, v5, s7
	s_cbranch_execz .LBB168_364
	s_branch .LBB168_365
.LBB168_371:
	s_mov_b32 s8, 0
                                        ; implicit-def: $vgpr5
	s_cbranch_execnz .LBB168_374
	s_branch .LBB168_375
.LBB168_372:
	s_mov_b32 s8, -1
                                        ; implicit-def: $vgpr5
.LBB168_373:
	s_branch .LBB168_375
.LBB168_374:
	s_cmp_lg_u32 s9, 0
	s_mov_b32 s7, -1
	s_cselect_b32 s8, -1, 0
.LBB168_375:
	v_and_b32_e32 v6, 0xff, v13
	s_and_not1_b32 vcc_lo, exec_lo, s8
	s_cbranch_vccz .LBB168_383
; %bb.376:
	s_and_not1_b32 vcc_lo, exec_lo, s7
	s_cbranch_vccnz .LBB168_378
.LBB168_377:
	s_and_b32 s7, s10, 0xff
	s_delay_alu instid0(SALU_CYCLE_1)
	v_max_u16 v5, v6, s7
.LBB168_378:
	s_delay_alu instid0(VALU_DEP_1)
	v_perm_b32 v3, v5, v3, 0x3020104
.LBB168_379:
	s_or_b32 exec_lo, exec_lo, s6
	v_or_b32_e32 v5, 0xd00, v0
	s_mov_b32 s6, exec_lo
	s_delay_alu instid0(VALU_DEP_1)
	v_cmpx_gt_i32_e64 s1, v5
	s_cbranch_execz .LBB168_392
; %bb.380:
	s_cmp_lt_i32 s9, 1
	s_mov_b32 s7, 0
	s_cbranch_scc1 .LBB168_384
; %bb.381:
	s_cmp_eq_u32 s9, 1
	s_cbranch_scc0 .LBB168_385
; %bb.382:
	v_and_b32_e32 v5, 0xff, v12
	s_and_b32 s8, s10, 0xff
	s_delay_alu instid0(VALU_DEP_1) | instid1(SALU_CYCLE_1)
	v_min_u16 v5, v5, s8
	s_mov_b32 s8, 0
	s_branch .LBB168_386
.LBB168_383:
	s_and_b32 s7, s10, 0xff
	s_delay_alu instid0(VALU_DEP_1) | instid1(SALU_CYCLE_1)
	v_max_u16 v5, v6, s7
	s_and_b32 s7, s3, 0xff
	s_delay_alu instid0(VALU_DEP_1) | instid1(SALU_CYCLE_1)
	v_min_u16 v5, v5, s7
	s_cbranch_execz .LBB168_377
	s_branch .LBB168_378
.LBB168_384:
	s_mov_b32 s8, 0
                                        ; implicit-def: $vgpr5
	s_cbranch_execnz .LBB168_387
	s_branch .LBB168_388
.LBB168_385:
	s_mov_b32 s8, -1
                                        ; implicit-def: $vgpr5
.LBB168_386:
	s_branch .LBB168_388
.LBB168_387:
	s_cmp_lg_u32 s9, 0
	s_mov_b32 s7, -1
	s_cselect_b32 s8, -1, 0
.LBB168_388:
	v_and_b32_e32 v6, 0xff, v12
	s_and_not1_b32 vcc_lo, exec_lo, s8
	s_cbranch_vccz .LBB168_396
; %bb.389:
	s_and_not1_b32 vcc_lo, exec_lo, s7
	s_cbranch_vccnz .LBB168_391
.LBB168_390:
	s_and_b32 s7, s10, 0xff
	s_delay_alu instid0(SALU_CYCLE_1)
	v_max_u16 v5, v6, s7
.LBB168_391:
	s_delay_alu instid0(VALU_DEP_1)
	v_perm_b32 v3, v3, v5, 0x7060004
.LBB168_392:
	s_or_b32 exec_lo, exec_lo, s6
	v_or_b32_e32 v5, 0xe00, v0
	s_mov_b32 s6, exec_lo
	s_delay_alu instid0(VALU_DEP_1)
	v_cmpx_gt_i32_e64 s1, v5
	s_cbranch_execz .LBB168_405
; %bb.393:
	s_cmp_lt_i32 s9, 1
	s_mov_b32 s7, 0
	s_cbranch_scc1 .LBB168_397
; %bb.394:
	s_cmp_eq_u32 s9, 1
	s_cbranch_scc0 .LBB168_398
; %bb.395:
	v_and_b32_e32 v5, 0xff, v11
	s_and_b32 s8, s10, 0xff
	s_delay_alu instid0(VALU_DEP_1) | instid1(SALU_CYCLE_1)
	v_min_u16 v5, v5, s8
	s_mov_b32 s8, 0
	s_branch .LBB168_399
.LBB168_396:
	s_and_b32 s7, s10, 0xff
	s_delay_alu instid0(VALU_DEP_1) | instid1(SALU_CYCLE_1)
	v_max_u16 v5, v6, s7
	s_and_b32 s7, s3, 0xff
	s_delay_alu instid0(VALU_DEP_1) | instid1(SALU_CYCLE_1)
	v_min_u16 v5, v5, s7
	s_cbranch_execz .LBB168_390
	s_branch .LBB168_391
.LBB168_397:
	s_mov_b32 s8, 0
                                        ; implicit-def: $vgpr5
	s_cbranch_execnz .LBB168_400
	s_branch .LBB168_401
.LBB168_398:
	s_mov_b32 s8, -1
                                        ; implicit-def: $vgpr5
.LBB168_399:
	s_branch .LBB168_401
.LBB168_400:
	s_cmp_lg_u32 s9, 0
	s_mov_b32 s7, -1
	s_cselect_b32 s8, -1, 0
.LBB168_401:
	v_and_b32_e32 v6, 0xff, v11
	s_and_not1_b32 vcc_lo, exec_lo, s8
	s_cbranch_vccz .LBB168_409
; %bb.402:
	s_and_not1_b32 vcc_lo, exec_lo, s7
	s_cbranch_vccnz .LBB168_404
.LBB168_403:
	s_and_b32 s7, s10, 0xff
	s_delay_alu instid0(SALU_CYCLE_1)
	v_max_u16 v5, v6, s7
.LBB168_404:
	s_delay_alu instid0(VALU_DEP_1)
	v_perm_b32 v3, v3, v5, 0x7000504
.LBB168_405:
	s_or_b32 exec_lo, exec_lo, s6
	v_or_b32_e32 v5, 0xf00, v0
	s_mov_b32 s6, exec_lo
	s_delay_alu instid0(VALU_DEP_1)
	v_cmpx_gt_i32_e64 s1, v5
	s_cbranch_execz .LBB168_418
; %bb.406:
	s_cmp_lt_i32 s9, 1
	s_mov_b32 s7, 0
	s_cbranch_scc1 .LBB168_410
; %bb.407:
	s_cmp_eq_u32 s9, 1
	s_cbranch_scc0 .LBB168_411
; %bb.408:
	v_and_b32_e32 v5, 0xff, v10
	s_and_b32 s8, s10, 0xff
	s_delay_alu instid0(VALU_DEP_1) | instid1(SALU_CYCLE_1)
	v_min_u16 v5, v5, s8
	s_mov_b32 s8, 0
	s_branch .LBB168_412
.LBB168_409:
	s_and_b32 s7, s10, 0xff
	s_delay_alu instid0(VALU_DEP_1) | instid1(SALU_CYCLE_1)
	v_max_u16 v5, v6, s7
	s_and_b32 s7, s3, 0xff
	s_delay_alu instid0(VALU_DEP_1) | instid1(SALU_CYCLE_1)
	v_min_u16 v5, v5, s7
	s_cbranch_execz .LBB168_403
	s_branch .LBB168_404
.LBB168_410:
	s_mov_b32 s8, 0
                                        ; implicit-def: $vgpr5
	s_cbranch_execnz .LBB168_413
	s_branch .LBB168_414
.LBB168_411:
	s_mov_b32 s8, -1
                                        ; implicit-def: $vgpr5
.LBB168_412:
	s_branch .LBB168_414
.LBB168_413:
	s_cmp_lg_u32 s9, 0
	s_mov_b32 s7, -1
	s_cselect_b32 s8, -1, 0
.LBB168_414:
	v_and_b32_e32 v6, 0xff, v10
	s_and_not1_b32 vcc_lo, exec_lo, s8
	s_cbranch_vccz .LBB168_451
; %bb.415:
	s_and_not1_b32 vcc_lo, exec_lo, s7
	s_cbranch_vccnz .LBB168_417
.LBB168_416:
	s_and_b32 s3, s10, 0xff
	s_delay_alu instid0(SALU_CYCLE_1)
	v_max_u16 v5, v6, s3
.LBB168_417:
	s_delay_alu instid0(VALU_DEP_1)
	v_perm_b32 v3, v3, v5, 0x60504
.LBB168_418:
	s_or_b32 exec_lo, exec_lo, s6
	s_and_saveexec_b32 s3, s0
	s_delay_alu instid0(SALU_CYCLE_1)
	s_xor_b32 s0, exec_lo, s3
	s_cbranch_execz .LBB168_420
; %bb.419:
	v_mov_b32_e32 v0, v9
	global_store_b8 v8, v2, s[4:5]
.LBB168_420:
	s_wait_xcnt 0x0
	s_or_b32 exec_lo, exec_lo, s0
	s_delay_alu instid0(SALU_CYCLE_1)
	s_mov_b32 s0, exec_lo
	v_cmpx_gt_i32_e64 s1, v0
	s_cbranch_execnz .LBB168_437
; %bb.421:
	s_or_b32 exec_lo, exec_lo, s0
	s_delay_alu instid0(SALU_CYCLE_1)
	s_mov_b32 s0, exec_lo
	v_cmpx_gt_i32_e64 s1, v0
	s_cbranch_execnz .LBB168_438
.LBB168_422:
	s_or_b32 exec_lo, exec_lo, s0
	s_delay_alu instid0(SALU_CYCLE_1)
	s_mov_b32 s0, exec_lo
	v_cmpx_gt_i32_e64 s1, v0
	s_cbranch_execnz .LBB168_439
.LBB168_423:
	s_or_b32 exec_lo, exec_lo, s0
	s_delay_alu instid0(SALU_CYCLE_1)
	s_mov_b32 s0, exec_lo
	v_cmpx_gt_i32_e64 s1, v0
	s_cbranch_execnz .LBB168_440
.LBB168_424:
	s_or_b32 exec_lo, exec_lo, s0
	s_delay_alu instid0(SALU_CYCLE_1)
	s_mov_b32 s0, exec_lo
	v_cmpx_gt_i32_e64 s1, v0
	s_cbranch_execnz .LBB168_441
.LBB168_425:
	s_or_b32 exec_lo, exec_lo, s0
	s_delay_alu instid0(SALU_CYCLE_1)
	s_mov_b32 s0, exec_lo
	v_cmpx_gt_i32_e64 s1, v0
	s_cbranch_execnz .LBB168_442
.LBB168_426:
	s_or_b32 exec_lo, exec_lo, s0
	s_delay_alu instid0(SALU_CYCLE_1)
	s_mov_b32 s0, exec_lo
	v_cmpx_gt_i32_e64 s1, v0
	s_cbranch_execnz .LBB168_443
.LBB168_427:
	s_or_b32 exec_lo, exec_lo, s0
	s_delay_alu instid0(SALU_CYCLE_1)
	s_mov_b32 s0, exec_lo
	v_cmpx_gt_i32_e64 s1, v0
	s_cbranch_execnz .LBB168_444
.LBB168_428:
	s_or_b32 exec_lo, exec_lo, s0
	s_delay_alu instid0(SALU_CYCLE_1)
	s_mov_b32 s0, exec_lo
	v_cmpx_gt_i32_e64 s1, v0
	s_cbranch_execnz .LBB168_445
.LBB168_429:
	s_or_b32 exec_lo, exec_lo, s0
	s_delay_alu instid0(SALU_CYCLE_1)
	s_mov_b32 s0, exec_lo
	v_cmpx_gt_i32_e64 s1, v0
	s_cbranch_execnz .LBB168_446
.LBB168_430:
	s_or_b32 exec_lo, exec_lo, s0
	s_delay_alu instid0(SALU_CYCLE_1)
	s_mov_b32 s0, exec_lo
	v_cmpx_gt_i32_e64 s1, v0
	s_cbranch_execnz .LBB168_447
.LBB168_431:
	s_or_b32 exec_lo, exec_lo, s0
	s_delay_alu instid0(SALU_CYCLE_1)
	s_mov_b32 s0, exec_lo
	v_cmpx_gt_i32_e64 s1, v0
	s_cbranch_execnz .LBB168_448
.LBB168_432:
	s_or_b32 exec_lo, exec_lo, s0
	s_delay_alu instid0(SALU_CYCLE_1)
	s_mov_b32 s0, exec_lo
	v_cmpx_gt_i32_e64 s1, v0
	s_cbranch_execnz .LBB168_449
.LBB168_433:
	s_or_b32 exec_lo, exec_lo, s0
	s_delay_alu instid0(SALU_CYCLE_1)
	s_mov_b32 s0, exec_lo
	v_cmpx_gt_i32_e64 s1, v0
	s_cbranch_execnz .LBB168_450
.LBB168_434:
	s_or_b32 exec_lo, exec_lo, s0
	s_delay_alu instid0(SALU_CYCLE_1)
	s_mov_b32 s0, exec_lo
	v_cmpx_gt_i32_e64 s1, v0
	s_cbranch_execz .LBB168_436
.LBB168_435:
	v_dual_lshrrev_b32 v1, 24, v3 :: v_dual_add_nc_u32 v0, s2, v0
	global_store_b8 v0, v1, s[4:5]
.LBB168_436:
	s_endpgm
.LBB168_437:
	v_dual_lshrrev_b32 v5, 8, v2 :: v_dual_add_nc_u32 v6, s2, v0
	v_add_nc_u32_e32 v0, 0x100, v0
	global_store_b8 v6, v5, s[4:5]
	s_wait_xcnt 0x0
	s_or_b32 exec_lo, exec_lo, s0
	s_delay_alu instid0(SALU_CYCLE_1)
	s_mov_b32 s0, exec_lo
	v_cmpx_gt_i32_e64 s1, v0
	s_cbranch_execz .LBB168_422
.LBB168_438:
	v_add_nc_u32_e32 v5, s2, v0
	v_add_nc_u32_e32 v0, 0x100, v0
	global_store_d16_hi_b8 v5, v2, s[4:5]
	s_wait_xcnt 0x0
	s_or_b32 exec_lo, exec_lo, s0
	s_delay_alu instid0(SALU_CYCLE_1)
	s_mov_b32 s0, exec_lo
	v_cmpx_gt_i32_e64 s1, v0
	s_cbranch_execz .LBB168_423
.LBB168_439:
	v_dual_lshrrev_b32 v2, 24, v2 :: v_dual_add_nc_u32 v5, s2, v0
	v_add_nc_u32_e32 v0, 0x100, v0
	global_store_b8 v5, v2, s[4:5]
	s_wait_xcnt 0x0
	s_or_b32 exec_lo, exec_lo, s0
	s_delay_alu instid0(SALU_CYCLE_1)
	s_mov_b32 s0, exec_lo
	v_cmpx_gt_i32_e64 s1, v0
	s_cbranch_execz .LBB168_424
.LBB168_440:
	v_add_nc_u32_e32 v2, s2, v0
	v_add_nc_u32_e32 v0, 0x100, v0
	global_store_b8 v2, v1, s[4:5]
	s_wait_xcnt 0x0
	s_or_b32 exec_lo, exec_lo, s0
	s_delay_alu instid0(SALU_CYCLE_1)
	s_mov_b32 s0, exec_lo
	v_cmpx_gt_i32_e64 s1, v0
	s_cbranch_execz .LBB168_425
.LBB168_441:
	v_dual_lshrrev_b32 v2, 8, v1 :: v_dual_add_nc_u32 v5, s2, v0
	v_add_nc_u32_e32 v0, 0x100, v0
	global_store_b8 v5, v2, s[4:5]
	s_wait_xcnt 0x0
	s_or_b32 exec_lo, exec_lo, s0
	s_delay_alu instid0(SALU_CYCLE_1)
	s_mov_b32 s0, exec_lo
	v_cmpx_gt_i32_e64 s1, v0
	s_cbranch_execz .LBB168_426
.LBB168_442:
	v_add_nc_u32_e32 v2, s2, v0
	v_add_nc_u32_e32 v0, 0x100, v0
	global_store_d16_hi_b8 v2, v1, s[4:5]
	s_wait_xcnt 0x0
	s_or_b32 exec_lo, exec_lo, s0
	s_delay_alu instid0(SALU_CYCLE_1)
	s_mov_b32 s0, exec_lo
	v_cmpx_gt_i32_e64 s1, v0
	s_cbranch_execz .LBB168_427
.LBB168_443:
	v_dual_lshrrev_b32 v1, 24, v1 :: v_dual_add_nc_u32 v2, s2, v0
	v_add_nc_u32_e32 v0, 0x100, v0
	global_store_b8 v2, v1, s[4:5]
	s_wait_xcnt 0x0
	s_or_b32 exec_lo, exec_lo, s0
	s_delay_alu instid0(SALU_CYCLE_1)
	s_mov_b32 s0, exec_lo
	v_cmpx_gt_i32_e64 s1, v0
	s_cbranch_execz .LBB168_428
.LBB168_444:
	v_add_nc_u32_e32 v1, s2, v0
	v_add_nc_u32_e32 v0, 0x100, v0
	global_store_b8 v1, v4, s[4:5]
	s_wait_xcnt 0x0
	s_or_b32 exec_lo, exec_lo, s0
	s_delay_alu instid0(SALU_CYCLE_1)
	s_mov_b32 s0, exec_lo
	v_cmpx_gt_i32_e64 s1, v0
	s_cbranch_execz .LBB168_429
.LBB168_445:
	v_lshrrev_b32_e32 v1, 8, v4
	v_add_nc_u32_e32 v2, s2, v0
	v_add_nc_u32_e32 v0, 0x100, v0
	global_store_b8 v2, v1, s[4:5]
	s_wait_xcnt 0x0
	s_or_b32 exec_lo, exec_lo, s0
	s_delay_alu instid0(SALU_CYCLE_1)
	s_mov_b32 s0, exec_lo
	v_cmpx_gt_i32_e64 s1, v0
	s_cbranch_execz .LBB168_430
.LBB168_446:
	v_add_nc_u32_e32 v1, s2, v0
	v_add_nc_u32_e32 v0, 0x100, v0
	global_store_d16_hi_b8 v1, v4, s[4:5]
	s_wait_xcnt 0x0
	s_or_b32 exec_lo, exec_lo, s0
	s_delay_alu instid0(SALU_CYCLE_1)
	s_mov_b32 s0, exec_lo
	v_cmpx_gt_i32_e64 s1, v0
	s_cbranch_execz .LBB168_431
.LBB168_447:
	v_lshrrev_b32_e32 v1, 24, v4
	v_add_nc_u32_e32 v2, s2, v0
	v_add_nc_u32_e32 v0, 0x100, v0
	global_store_b8 v2, v1, s[4:5]
	s_wait_xcnt 0x0
	s_or_b32 exec_lo, exec_lo, s0
	s_delay_alu instid0(SALU_CYCLE_1)
	s_mov_b32 s0, exec_lo
	v_cmpx_gt_i32_e64 s1, v0
	s_cbranch_execz .LBB168_432
.LBB168_448:
	v_add_nc_u32_e32 v1, s2, v0
	v_add_nc_u32_e32 v0, 0x100, v0
	global_store_b8 v1, v3, s[4:5]
	s_wait_xcnt 0x0
	s_or_b32 exec_lo, exec_lo, s0
	s_delay_alu instid0(SALU_CYCLE_1)
	s_mov_b32 s0, exec_lo
	v_cmpx_gt_i32_e64 s1, v0
	s_cbranch_execz .LBB168_433
.LBB168_449:
	v_dual_lshrrev_b32 v1, 8, v3 :: v_dual_add_nc_u32 v2, s2, v0
	v_add_nc_u32_e32 v0, 0x100, v0
	global_store_b8 v2, v1, s[4:5]
	s_wait_xcnt 0x0
	s_or_b32 exec_lo, exec_lo, s0
	s_delay_alu instid0(SALU_CYCLE_1)
	s_mov_b32 s0, exec_lo
	v_cmpx_gt_i32_e64 s1, v0
	s_cbranch_execz .LBB168_434
.LBB168_450:
	v_add_nc_u32_e32 v1, s2, v0
	v_add_nc_u32_e32 v0, 0x100, v0
	global_store_d16_hi_b8 v1, v3, s[4:5]
	s_wait_xcnt 0x0
	s_or_b32 exec_lo, exec_lo, s0
	s_delay_alu instid0(SALU_CYCLE_1)
	s_mov_b32 s0, exec_lo
	v_cmpx_gt_i32_e64 s1, v0
	s_cbranch_execnz .LBB168_435
	s_branch .LBB168_436
.LBB168_451:
	s_and_b32 s7, s10, 0xff
	s_and_b32 s3, s3, 0xff
	v_max_u16 v5, v6, s7
	s_delay_alu instid0(VALU_DEP_1)
	v_min_u16 v5, v5, s3
	s_cbranch_execz .LBB168_416
	s_branch .LBB168_417
	.section	.rodata,"a",@progbits
	.p2align	6, 0x0
	.amdhsa_kernel _ZN2at6native29vectorized_elementwise_kernelILi16EZZZNS0_12_GLOBAL__N_119launch_clamp_scalarERNS_18TensorIteratorBaseEN3c106ScalarES6_NS0_6detail11ClampLimitsEENKUlvE_clEvENKUlvE_clEvEUlhE_St5arrayIPcLm2EEEEviT0_T1_
		.amdhsa_group_segment_fixed_size 0
		.amdhsa_private_segment_fixed_size 0
		.amdhsa_kernarg_size 32
		.amdhsa_user_sgpr_count 2
		.amdhsa_user_sgpr_dispatch_ptr 0
		.amdhsa_user_sgpr_queue_ptr 0
		.amdhsa_user_sgpr_kernarg_segment_ptr 1
		.amdhsa_user_sgpr_dispatch_id 0
		.amdhsa_user_sgpr_kernarg_preload_length 0
		.amdhsa_user_sgpr_kernarg_preload_offset 0
		.amdhsa_user_sgpr_private_segment_size 0
		.amdhsa_wavefront_size32 1
		.amdhsa_uses_dynamic_stack 0
		.amdhsa_enable_private_segment 0
		.amdhsa_system_sgpr_workgroup_id_x 1
		.amdhsa_system_sgpr_workgroup_id_y 0
		.amdhsa_system_sgpr_workgroup_id_z 0
		.amdhsa_system_sgpr_workgroup_info 0
		.amdhsa_system_vgpr_workitem_id 0
		.amdhsa_next_free_vgpr 24
		.amdhsa_next_free_sgpr 23
		.amdhsa_named_barrier_count 0
		.amdhsa_reserve_vcc 1
		.amdhsa_float_round_mode_32 0
		.amdhsa_float_round_mode_16_64 0
		.amdhsa_float_denorm_mode_32 3
		.amdhsa_float_denorm_mode_16_64 3
		.amdhsa_fp16_overflow 0
		.amdhsa_memory_ordered 1
		.amdhsa_forward_progress 1
		.amdhsa_inst_pref_size 75
		.amdhsa_round_robin_scheduling 0
		.amdhsa_exception_fp_ieee_invalid_op 0
		.amdhsa_exception_fp_denorm_src 0
		.amdhsa_exception_fp_ieee_div_zero 0
		.amdhsa_exception_fp_ieee_overflow 0
		.amdhsa_exception_fp_ieee_underflow 0
		.amdhsa_exception_fp_ieee_inexact 0
		.amdhsa_exception_int_div_zero 0
	.end_amdhsa_kernel
	.section	.text._ZN2at6native29vectorized_elementwise_kernelILi16EZZZNS0_12_GLOBAL__N_119launch_clamp_scalarERNS_18TensorIteratorBaseEN3c106ScalarES6_NS0_6detail11ClampLimitsEENKUlvE_clEvENKUlvE_clEvEUlhE_St5arrayIPcLm2EEEEviT0_T1_,"axG",@progbits,_ZN2at6native29vectorized_elementwise_kernelILi16EZZZNS0_12_GLOBAL__N_119launch_clamp_scalarERNS_18TensorIteratorBaseEN3c106ScalarES6_NS0_6detail11ClampLimitsEENKUlvE_clEvENKUlvE_clEvEUlhE_St5arrayIPcLm2EEEEviT0_T1_,comdat
.Lfunc_end168:
	.size	_ZN2at6native29vectorized_elementwise_kernelILi16EZZZNS0_12_GLOBAL__N_119launch_clamp_scalarERNS_18TensorIteratorBaseEN3c106ScalarES6_NS0_6detail11ClampLimitsEENKUlvE_clEvENKUlvE_clEvEUlhE_St5arrayIPcLm2EEEEviT0_T1_, .Lfunc_end168-_ZN2at6native29vectorized_elementwise_kernelILi16EZZZNS0_12_GLOBAL__N_119launch_clamp_scalarERNS_18TensorIteratorBaseEN3c106ScalarES6_NS0_6detail11ClampLimitsEENKUlvE_clEvENKUlvE_clEvEUlhE_St5arrayIPcLm2EEEEviT0_T1_
                                        ; -- End function
	.set _ZN2at6native29vectorized_elementwise_kernelILi16EZZZNS0_12_GLOBAL__N_119launch_clamp_scalarERNS_18TensorIteratorBaseEN3c106ScalarES6_NS0_6detail11ClampLimitsEENKUlvE_clEvENKUlvE_clEvEUlhE_St5arrayIPcLm2EEEEviT0_T1_.num_vgpr, 24
	.set _ZN2at6native29vectorized_elementwise_kernelILi16EZZZNS0_12_GLOBAL__N_119launch_clamp_scalarERNS_18TensorIteratorBaseEN3c106ScalarES6_NS0_6detail11ClampLimitsEENKUlvE_clEvENKUlvE_clEvEUlhE_St5arrayIPcLm2EEEEviT0_T1_.num_agpr, 0
	.set _ZN2at6native29vectorized_elementwise_kernelILi16EZZZNS0_12_GLOBAL__N_119launch_clamp_scalarERNS_18TensorIteratorBaseEN3c106ScalarES6_NS0_6detail11ClampLimitsEENKUlvE_clEvENKUlvE_clEvEUlhE_St5arrayIPcLm2EEEEviT0_T1_.numbered_sgpr, 23
	.set _ZN2at6native29vectorized_elementwise_kernelILi16EZZZNS0_12_GLOBAL__N_119launch_clamp_scalarERNS_18TensorIteratorBaseEN3c106ScalarES6_NS0_6detail11ClampLimitsEENKUlvE_clEvENKUlvE_clEvEUlhE_St5arrayIPcLm2EEEEviT0_T1_.num_named_barrier, 0
	.set _ZN2at6native29vectorized_elementwise_kernelILi16EZZZNS0_12_GLOBAL__N_119launch_clamp_scalarERNS_18TensorIteratorBaseEN3c106ScalarES6_NS0_6detail11ClampLimitsEENKUlvE_clEvENKUlvE_clEvEUlhE_St5arrayIPcLm2EEEEviT0_T1_.private_seg_size, 0
	.set _ZN2at6native29vectorized_elementwise_kernelILi16EZZZNS0_12_GLOBAL__N_119launch_clamp_scalarERNS_18TensorIteratorBaseEN3c106ScalarES6_NS0_6detail11ClampLimitsEENKUlvE_clEvENKUlvE_clEvEUlhE_St5arrayIPcLm2EEEEviT0_T1_.uses_vcc, 1
	.set _ZN2at6native29vectorized_elementwise_kernelILi16EZZZNS0_12_GLOBAL__N_119launch_clamp_scalarERNS_18TensorIteratorBaseEN3c106ScalarES6_NS0_6detail11ClampLimitsEENKUlvE_clEvENKUlvE_clEvEUlhE_St5arrayIPcLm2EEEEviT0_T1_.uses_flat_scratch, 0
	.set _ZN2at6native29vectorized_elementwise_kernelILi16EZZZNS0_12_GLOBAL__N_119launch_clamp_scalarERNS_18TensorIteratorBaseEN3c106ScalarES6_NS0_6detail11ClampLimitsEENKUlvE_clEvENKUlvE_clEvEUlhE_St5arrayIPcLm2EEEEviT0_T1_.has_dyn_sized_stack, 0
	.set _ZN2at6native29vectorized_elementwise_kernelILi16EZZZNS0_12_GLOBAL__N_119launch_clamp_scalarERNS_18TensorIteratorBaseEN3c106ScalarES6_NS0_6detail11ClampLimitsEENKUlvE_clEvENKUlvE_clEvEUlhE_St5arrayIPcLm2EEEEviT0_T1_.has_recursion, 0
	.set _ZN2at6native29vectorized_elementwise_kernelILi16EZZZNS0_12_GLOBAL__N_119launch_clamp_scalarERNS_18TensorIteratorBaseEN3c106ScalarES6_NS0_6detail11ClampLimitsEENKUlvE_clEvENKUlvE_clEvEUlhE_St5arrayIPcLm2EEEEviT0_T1_.has_indirect_call, 0
	.section	.AMDGPU.csdata,"",@progbits
; Kernel info:
; codeLenInByte = 9596
; TotalNumSgprs: 25
; NumVgprs: 24
; ScratchSize: 0
; MemoryBound: 0
; FloatMode: 240
; IeeeMode: 1
; LDSByteSize: 0 bytes/workgroup (compile time only)
; SGPRBlocks: 0
; VGPRBlocks: 1
; NumSGPRsForWavesPerEU: 25
; NumVGPRsForWavesPerEU: 24
; NamedBarCnt: 0
; Occupancy: 16
; WaveLimiterHint : 0
; COMPUTE_PGM_RSRC2:SCRATCH_EN: 0
; COMPUTE_PGM_RSRC2:USER_SGPR: 2
; COMPUTE_PGM_RSRC2:TRAP_HANDLER: 0
; COMPUTE_PGM_RSRC2:TGID_X_EN: 1
; COMPUTE_PGM_RSRC2:TGID_Y_EN: 0
; COMPUTE_PGM_RSRC2:TGID_Z_EN: 0
; COMPUTE_PGM_RSRC2:TIDIG_COMP_CNT: 0
	.section	.text._ZN2at6native29vectorized_elementwise_kernelILi8EZZZNS0_12_GLOBAL__N_119launch_clamp_scalarERNS_18TensorIteratorBaseEN3c106ScalarES6_NS0_6detail11ClampLimitsEENKUlvE_clEvENKUlvE_clEvEUlhE_St5arrayIPcLm2EEEEviT0_T1_,"axG",@progbits,_ZN2at6native29vectorized_elementwise_kernelILi8EZZZNS0_12_GLOBAL__N_119launch_clamp_scalarERNS_18TensorIteratorBaseEN3c106ScalarES6_NS0_6detail11ClampLimitsEENKUlvE_clEvENKUlvE_clEvEUlhE_St5arrayIPcLm2EEEEviT0_T1_,comdat
	.globl	_ZN2at6native29vectorized_elementwise_kernelILi8EZZZNS0_12_GLOBAL__N_119launch_clamp_scalarERNS_18TensorIteratorBaseEN3c106ScalarES6_NS0_6detail11ClampLimitsEENKUlvE_clEvENKUlvE_clEvEUlhE_St5arrayIPcLm2EEEEviT0_T1_ ; -- Begin function _ZN2at6native29vectorized_elementwise_kernelILi8EZZZNS0_12_GLOBAL__N_119launch_clamp_scalarERNS_18TensorIteratorBaseEN3c106ScalarES6_NS0_6detail11ClampLimitsEENKUlvE_clEvENKUlvE_clEvEUlhE_St5arrayIPcLm2EEEEviT0_T1_
	.p2align	8
	.type	_ZN2at6native29vectorized_elementwise_kernelILi8EZZZNS0_12_GLOBAL__N_119launch_clamp_scalarERNS_18TensorIteratorBaseEN3c106ScalarES6_NS0_6detail11ClampLimitsEENKUlvE_clEvENKUlvE_clEvEUlhE_St5arrayIPcLm2EEEEviT0_T1_,@function
_ZN2at6native29vectorized_elementwise_kernelILi8EZZZNS0_12_GLOBAL__N_119launch_clamp_scalarERNS_18TensorIteratorBaseEN3c106ScalarES6_NS0_6detail11ClampLimitsEENKUlvE_clEvENKUlvE_clEvEUlhE_St5arrayIPcLm2EEEEviT0_T1_: ; @_ZN2at6native29vectorized_elementwise_kernelILi8EZZZNS0_12_GLOBAL__N_119launch_clamp_scalarERNS_18TensorIteratorBaseEN3c106ScalarES6_NS0_6detail11ClampLimitsEENKUlvE_clEvENKUlvE_clEvEUlhE_St5arrayIPcLm2EEEEviT0_T1_
; %bb.0:
	s_clause 0x1
	s_load_b96 s[8:10], s[0:1], 0x0
	s_load_b128 s[4:7], s[0:1], 0x10
	s_wait_xcnt 0x0
	s_bfe_u32 s0, ttmp6, 0x4000c
	s_and_b32 s1, ttmp6, 15
	s_add_co_i32 s0, s0, 1
	s_getreg_b32 s2, hwreg(HW_REG_IB_STS2, 6, 4)
	s_mul_i32 s0, ttmp9, s0
	s_mov_b32 s3, -1
	s_add_co_i32 s1, s1, s0
	s_cmp_eq_u32 s2, 0
	s_cselect_b32 s0, ttmp9, s1
	s_delay_alu instid0(SALU_CYCLE_1) | instskip(SKIP_3) | instid1(SALU_CYCLE_1)
	s_lshl_b32 s2, s0, 12
	s_mov_b32 s0, 0
	s_wait_kmcnt 0x0
	s_sub_co_i32 s1, s8, s2
	s_cmp_gt_i32 s1, 0xfff
	s_cbranch_scc0 .LBB169_177
; %bb.1:
	s_ashr_i32 s3, s2, 31
	s_cmp_lt_i32 s9, 1
	s_add_nc_u64 s[12:13], s[6:7], s[2:3]
	s_clause 0x1
	global_load_b64 v[4:5], v0, s[12:13] scale_offset
	global_load_b64 v[2:3], v0, s[12:13] offset:2048 scale_offset
	s_cbranch_scc1 .LBB169_4
; %bb.2:
	s_cmp_eq_u32 s9, 1
	s_cbranch_scc0 .LBB169_5
; %bb.3:
	s_wait_loadcnt 0x1
	v_and_b32_e32 v1, 0xff, v4
	s_and_b32 s0, s10, 0xff
	s_delay_alu instid0(VALU_DEP_1) | instid1(SALU_CYCLE_1)
	v_min_u16 v1, v1, s0
	s_mov_b32 s0, 0
	s_branch .LBB169_6
.LBB169_4:
                                        ; implicit-def: $vgpr1
	s_mov_b32 s8, 0
	s_cbranch_execnz .LBB169_7
	s_branch .LBB169_8
.LBB169_5:
	s_mov_b32 s0, -1
                                        ; implicit-def: $vgpr1
.LBB169_6:
	s_mov_b32 s8, 0
	s_branch .LBB169_8
.LBB169_7:
	s_cmp_lg_u32 s9, 0
	s_mov_b32 s8, -1
	s_cselect_b32 s0, -1, 0
.LBB169_8:
	s_wait_loadcnt 0x1
	v_and_b32_e32 v6, 0xff, v4
	s_and_not1_b32 vcc_lo, exec_lo, s0
	s_lshr_b32 s0, s10, 8
	s_cbranch_vccz .LBB169_13
; %bb.9:
	s_and_not1_b32 vcc_lo, exec_lo, s8
	s_cbranch_vccz .LBB169_14
.LBB169_10:
	v_lshrrev_b32_e32 v7, 8, v4
	s_cmp_lt_i32 s9, 1
	s_mov_b32 s8, 0
	s_cbranch_scc1 .LBB169_15
.LBB169_11:
	s_cmp_eq_u32 s9, 1
	s_cbranch_scc0 .LBB169_16
; %bb.12:
	v_and_b32_e32 v6, 0xff, v7
	s_and_b32 s11, s10, 0xff
	s_delay_alu instid0(VALU_DEP_1) | instid1(SALU_CYCLE_1)
	v_min_u16 v6, v6, s11
	s_mov_b32 s11, 0
	s_branch .LBB169_17
.LBB169_13:
	s_and_b32 s8, s10, 0xff
	s_delay_alu instid0(SALU_CYCLE_1)
	v_max_u16 v1, v6, s8
	s_and_b32 s8, s0, 0xff
	s_delay_alu instid0(VALU_DEP_1) | instid1(SALU_CYCLE_1)
	v_min_u16 v1, v1, s8
	s_cbranch_execnz .LBB169_10
.LBB169_14:
	s_and_b32 s8, s10, 0xff
	s_delay_alu instid0(SALU_CYCLE_1)
	v_max_u16 v1, v6, s8
	v_lshrrev_b32_e32 v7, 8, v4
	s_cmp_lt_i32 s9, 1
	s_mov_b32 s8, 0
	s_cbranch_scc0 .LBB169_11
.LBB169_15:
	s_wait_xcnt 0x0
	s_mov_b32 s11, 0
                                        ; implicit-def: $vgpr6
	s_cbranch_execnz .LBB169_18
	s_branch .LBB169_19
.LBB169_16:
	s_mov_b32 s11, -1
                                        ; implicit-def: $vgpr6
.LBB169_17:
	s_wait_xcnt 0x0
	s_branch .LBB169_19
.LBB169_18:
	s_cmp_lg_u32 s9, 0
	s_mov_b32 s8, -1
	s_cselect_b32 s11, -1, 0
.LBB169_19:
	v_and_b32_e32 v7, 0xff, v7
	s_and_not1_b32 vcc_lo, exec_lo, s11
	s_cbranch_vccz .LBB169_24
; %bb.20:
	s_and_not1_b32 vcc_lo, exec_lo, s8
	s_cbranch_vccz .LBB169_25
.LBB169_21:
	v_lshrrev_b32_e32 v8, 16, v4
	s_cmp_lt_i32 s9, 1
	s_mov_b32 s8, 0
	s_cbranch_scc1 .LBB169_26
.LBB169_22:
	s_cmp_eq_u32 s9, 1
	s_cbranch_scc0 .LBB169_27
; %bb.23:
	v_and_b32_e32 v7, 0xff, v8
	s_and_b32 s11, s10, 0xff
	s_delay_alu instid0(VALU_DEP_1) | instid1(SALU_CYCLE_1)
	v_min_u16 v7, v7, s11
	s_mov_b32 s11, 0
	s_branch .LBB169_28
.LBB169_24:
	s_and_b32 s8, s10, 0xff
	s_delay_alu instid0(VALU_DEP_1) | instid1(SALU_CYCLE_1)
	v_max_u16 v6, v7, s8
	s_and_b32 s8, s0, 0xff
	s_delay_alu instid0(VALU_DEP_1) | instid1(SALU_CYCLE_1)
	v_min_u16 v6, v6, s8
	s_cbranch_execnz .LBB169_21
.LBB169_25:
	s_and_b32 s8, s10, 0xff
	s_delay_alu instid0(SALU_CYCLE_1)
	v_max_u16 v6, v7, s8
	v_lshrrev_b32_e32 v8, 16, v4
	s_cmp_lt_i32 s9, 1
	s_mov_b32 s8, 0
	s_cbranch_scc0 .LBB169_22
.LBB169_26:
	s_mov_b32 s11, 0
                                        ; implicit-def: $vgpr7
	s_cbranch_execnz .LBB169_29
	s_branch .LBB169_30
.LBB169_27:
	s_mov_b32 s11, -1
                                        ; implicit-def: $vgpr7
.LBB169_28:
	s_branch .LBB169_30
.LBB169_29:
	s_cmp_lg_u32 s9, 0
	s_mov_b32 s8, -1
	s_cselect_b32 s11, -1, 0
.LBB169_30:
	v_and_b32_e32 v8, 0xff, v8
	s_and_not1_b32 vcc_lo, exec_lo, s11
	s_cbranch_vccz .LBB169_35
; %bb.31:
	s_and_not1_b32 vcc_lo, exec_lo, s8
	s_cbranch_vccz .LBB169_36
.LBB169_32:
	v_lshrrev_b32_e32 v8, 24, v4
	s_cmp_lt_i32 s9, 1
	s_mov_b32 s8, 0
	s_cbranch_scc1 .LBB169_37
.LBB169_33:
	s_cmp_eq_u32 s9, 1
	s_cbranch_scc0 .LBB169_38
; %bb.34:
	s_and_b32 s11, s10, 0xff
	s_delay_alu instid0(SALU_CYCLE_1)
	v_min_u16 v4, v8, s11
	s_mov_b32 s11, 0
	s_branch .LBB169_39
.LBB169_35:
	s_and_b32 s8, s10, 0xff
	s_delay_alu instid0(VALU_DEP_1) | instid1(SALU_CYCLE_1)
	v_max_u16 v7, v8, s8
	s_and_b32 s8, s0, 0xff
	s_delay_alu instid0(VALU_DEP_1) | instid1(SALU_CYCLE_1)
	v_min_u16 v7, v7, s8
	s_cbranch_execnz .LBB169_32
.LBB169_36:
	s_and_b32 s8, s10, 0xff
	s_delay_alu instid0(SALU_CYCLE_1)
	v_max_u16 v7, v8, s8
	v_lshrrev_b32_e32 v8, 24, v4
	s_cmp_lt_i32 s9, 1
	s_mov_b32 s8, 0
	s_cbranch_scc0 .LBB169_33
.LBB169_37:
	s_mov_b32 s11, 0
                                        ; implicit-def: $vgpr4
	s_cbranch_execnz .LBB169_40
	s_branch .LBB169_41
.LBB169_38:
	s_mov_b32 s11, -1
                                        ; implicit-def: $vgpr4
.LBB169_39:
	s_branch .LBB169_41
.LBB169_40:
	s_cmp_lg_u32 s9, 0
	s_mov_b32 s8, -1
	s_cselect_b32 s11, -1, 0
.LBB169_41:
	s_delay_alu instid0(SALU_CYCLE_1)
	s_and_not1_b32 vcc_lo, exec_lo, s11
	s_cbranch_vccz .LBB169_46
; %bb.42:
	s_and_not1_b32 vcc_lo, exec_lo, s8
	s_cbranch_vccz .LBB169_47
.LBB169_43:
	s_cmp_lt_i32 s9, 1
	s_mov_b32 s8, 0
	s_cbranch_scc1 .LBB169_48
.LBB169_44:
	s_cmp_eq_u32 s9, 1
	s_cbranch_scc0 .LBB169_49
; %bb.45:
	v_and_b32_e32 v8, 0xff, v5
	s_and_b32 s11, s10, 0xff
	s_delay_alu instid0(VALU_DEP_1) | instid1(SALU_CYCLE_1)
	v_min_u16 v8, v8, s11
	s_mov_b32 s11, 0
	s_branch .LBB169_50
.LBB169_46:
	s_and_b32 s8, s10, 0xff
	s_delay_alu instid0(SALU_CYCLE_1)
	v_max_u16 v4, v8, s8
	s_and_b32 s8, s0, 0xff
	s_delay_alu instid0(VALU_DEP_1) | instid1(SALU_CYCLE_1)
	v_min_u16 v4, v4, s8
	s_cbranch_execnz .LBB169_43
.LBB169_47:
	s_and_b32 s8, s10, 0xff
	s_delay_alu instid0(SALU_CYCLE_1)
	v_max_u16 v4, v8, s8
	s_cmp_lt_i32 s9, 1
	s_mov_b32 s8, 0
	s_cbranch_scc0 .LBB169_44
.LBB169_48:
	s_mov_b32 s11, 0
                                        ; implicit-def: $vgpr8
	s_cbranch_execnz .LBB169_51
	s_branch .LBB169_52
.LBB169_49:
	s_mov_b32 s11, -1
                                        ; implicit-def: $vgpr8
.LBB169_50:
	s_branch .LBB169_52
.LBB169_51:
	s_cmp_lg_u32 s9, 0
	s_mov_b32 s8, -1
	s_cselect_b32 s11, -1, 0
.LBB169_52:
	v_and_b32_e32 v9, 0xff, v5
	s_and_not1_b32 vcc_lo, exec_lo, s11
	s_cbranch_vccz .LBB169_57
; %bb.53:
	s_and_not1_b32 vcc_lo, exec_lo, s8
	s_cbranch_vccz .LBB169_58
.LBB169_54:
	v_lshrrev_b32_e32 v10, 8, v5
	s_cmp_lt_i32 s9, 1
	s_mov_b32 s8, 0
	s_cbranch_scc1 .LBB169_59
.LBB169_55:
	s_cmp_eq_u32 s9, 1
	s_cbranch_scc0 .LBB169_60
; %bb.56:
	v_and_b32_e32 v9, 0xff, v10
	s_and_b32 s11, s10, 0xff
	s_delay_alu instid0(VALU_DEP_1) | instid1(SALU_CYCLE_1)
	v_min_u16 v9, v9, s11
	s_mov_b32 s11, 0
	s_branch .LBB169_61
.LBB169_57:
	s_and_b32 s8, s10, 0xff
	s_delay_alu instid0(VALU_DEP_1) | instid1(SALU_CYCLE_1)
	v_max_u16 v8, v9, s8
	s_and_b32 s8, s0, 0xff
	s_delay_alu instid0(VALU_DEP_1) | instid1(SALU_CYCLE_1)
	v_min_u16 v8, v8, s8
	s_cbranch_execnz .LBB169_54
.LBB169_58:
	s_and_b32 s8, s10, 0xff
	s_delay_alu instid0(SALU_CYCLE_1)
	v_max_u16 v8, v9, s8
	v_lshrrev_b32_e32 v10, 8, v5
	s_cmp_lt_i32 s9, 1
	s_mov_b32 s8, 0
	s_cbranch_scc0 .LBB169_55
.LBB169_59:
	s_mov_b32 s11, 0
                                        ; implicit-def: $vgpr9
	s_cbranch_execnz .LBB169_62
	s_branch .LBB169_63
.LBB169_60:
	s_mov_b32 s11, -1
                                        ; implicit-def: $vgpr9
.LBB169_61:
	s_branch .LBB169_63
.LBB169_62:
	s_cmp_lg_u32 s9, 0
	s_mov_b32 s8, -1
	s_cselect_b32 s11, -1, 0
.LBB169_63:
	v_and_b32_e32 v10, 0xff, v10
	s_and_not1_b32 vcc_lo, exec_lo, s11
	s_cbranch_vccz .LBB169_68
; %bb.64:
	s_and_not1_b32 vcc_lo, exec_lo, s8
	s_cbranch_vccz .LBB169_69
.LBB169_65:
	v_lshrrev_b32_e32 v11, 16, v5
	s_cmp_lt_i32 s9, 1
	s_mov_b32 s8, 0
	s_cbranch_scc1 .LBB169_70
.LBB169_66:
	s_cmp_eq_u32 s9, 1
	s_cbranch_scc0 .LBB169_71
; %bb.67:
	v_and_b32_e32 v10, 0xff, v11
	s_and_b32 s11, s10, 0xff
	s_delay_alu instid0(VALU_DEP_1) | instid1(SALU_CYCLE_1)
	v_min_u16 v10, v10, s11
	s_mov_b32 s11, 0
	s_branch .LBB169_72
.LBB169_68:
	s_and_b32 s8, s10, 0xff
	s_delay_alu instid0(VALU_DEP_1) | instid1(SALU_CYCLE_1)
	v_max_u16 v9, v10, s8
	s_and_b32 s8, s0, 0xff
	s_delay_alu instid0(VALU_DEP_1) | instid1(SALU_CYCLE_1)
	v_min_u16 v9, v9, s8
	s_cbranch_execnz .LBB169_65
.LBB169_69:
	s_and_b32 s8, s10, 0xff
	s_delay_alu instid0(SALU_CYCLE_1)
	v_max_u16 v9, v10, s8
	v_lshrrev_b32_e32 v11, 16, v5
	s_cmp_lt_i32 s9, 1
	s_mov_b32 s8, 0
	s_cbranch_scc0 .LBB169_66
.LBB169_70:
	s_mov_b32 s11, 0
                                        ; implicit-def: $vgpr10
	s_cbranch_execnz .LBB169_73
	s_branch .LBB169_74
.LBB169_71:
	s_mov_b32 s11, -1
                                        ; implicit-def: $vgpr10
.LBB169_72:
	s_branch .LBB169_74
.LBB169_73:
	s_cmp_lg_u32 s9, 0
	s_mov_b32 s8, -1
	s_cselect_b32 s11, -1, 0
.LBB169_74:
	v_and_b32_e32 v11, 0xff, v11
	s_and_not1_b32 vcc_lo, exec_lo, s11
	s_cbranch_vccz .LBB169_79
; %bb.75:
	s_and_not1_b32 vcc_lo, exec_lo, s8
	s_cbranch_vccz .LBB169_80
.LBB169_76:
	v_lshrrev_b32_e32 v11, 24, v5
	s_cmp_lt_i32 s9, 1
	s_mov_b32 s8, 0
	s_cbranch_scc1 .LBB169_81
.LBB169_77:
	s_cmp_eq_u32 s9, 1
	s_cbranch_scc0 .LBB169_82
; %bb.78:
	s_and_b32 s11, s10, 0xff
	s_delay_alu instid0(SALU_CYCLE_1)
	v_min_u16 v5, v11, s11
	s_mov_b32 s11, 0
	s_branch .LBB169_83
.LBB169_79:
	s_and_b32 s8, s10, 0xff
	s_delay_alu instid0(VALU_DEP_1) | instid1(SALU_CYCLE_1)
	v_max_u16 v10, v11, s8
	s_and_b32 s8, s0, 0xff
	s_delay_alu instid0(VALU_DEP_1) | instid1(SALU_CYCLE_1)
	v_min_u16 v10, v10, s8
	s_cbranch_execnz .LBB169_76
.LBB169_80:
	s_and_b32 s8, s10, 0xff
	s_delay_alu instid0(SALU_CYCLE_1)
	v_max_u16 v10, v11, s8
	v_lshrrev_b32_e32 v11, 24, v5
	s_cmp_lt_i32 s9, 1
	s_mov_b32 s8, 0
	s_cbranch_scc0 .LBB169_77
.LBB169_81:
	s_mov_b32 s11, 0
                                        ; implicit-def: $vgpr5
	s_cbranch_execnz .LBB169_84
	s_branch .LBB169_85
.LBB169_82:
	s_mov_b32 s11, -1
                                        ; implicit-def: $vgpr5
.LBB169_83:
	s_branch .LBB169_85
.LBB169_84:
	s_cmp_lg_u32 s9, 0
	s_mov_b32 s8, -1
	s_cselect_b32 s11, -1, 0
.LBB169_85:
	s_delay_alu instid0(SALU_CYCLE_1)
	s_and_not1_b32 vcc_lo, exec_lo, s11
	s_cbranch_vccz .LBB169_90
; %bb.86:
	s_and_not1_b32 vcc_lo, exec_lo, s8
	s_cbranch_vccz .LBB169_91
.LBB169_87:
	s_cmp_lt_i32 s9, 1
	s_mov_b32 s8, 0
	s_cbranch_scc1 .LBB169_92
.LBB169_88:
	s_cmp_eq_u32 s9, 1
	s_cbranch_scc0 .LBB169_93
; %bb.89:
	s_wait_loadcnt 0x0
	v_and_b32_e32 v11, 0xff, v2
	s_and_b32 s11, s10, 0xff
	s_delay_alu instid0(VALU_DEP_1) | instid1(SALU_CYCLE_1)
	v_min_u16 v11, v11, s11
	s_mov_b32 s11, 0
	s_branch .LBB169_94
.LBB169_90:
	s_and_b32 s8, s10, 0xff
	s_delay_alu instid0(SALU_CYCLE_1)
	v_max_u16 v5, v11, s8
	s_and_b32 s8, s0, 0xff
	s_delay_alu instid0(VALU_DEP_1) | instid1(SALU_CYCLE_1)
	v_min_u16 v5, v5, s8
	s_cbranch_execnz .LBB169_87
.LBB169_91:
	s_and_b32 s8, s10, 0xff
	s_delay_alu instid0(SALU_CYCLE_1)
	v_max_u16 v5, v11, s8
	s_cmp_lt_i32 s9, 1
	s_mov_b32 s8, 0
	s_cbranch_scc0 .LBB169_88
.LBB169_92:
	s_mov_b32 s11, 0
                                        ; implicit-def: $vgpr11
	s_cbranch_execnz .LBB169_95
	s_branch .LBB169_96
.LBB169_93:
	s_mov_b32 s11, -1
                                        ; implicit-def: $vgpr11
.LBB169_94:
	s_branch .LBB169_96
.LBB169_95:
	s_cmp_lg_u32 s9, 0
	s_mov_b32 s8, -1
	s_cselect_b32 s11, -1, 0
.LBB169_96:
	s_wait_loadcnt 0x0
	v_and_b32_e32 v12, 0xff, v2
	s_and_not1_b32 vcc_lo, exec_lo, s11
	s_cbranch_vccz .LBB169_101
; %bb.97:
	s_and_not1_b32 vcc_lo, exec_lo, s8
	s_cbranch_vccz .LBB169_102
.LBB169_98:
	v_lshrrev_b32_e32 v13, 8, v2
	s_cmp_lt_i32 s9, 1
	s_mov_b32 s8, 0
	s_cbranch_scc1 .LBB169_103
.LBB169_99:
	s_cmp_eq_u32 s9, 1
	s_cbranch_scc0 .LBB169_104
; %bb.100:
	v_and_b32_e32 v12, 0xff, v13
	s_and_b32 s11, s10, 0xff
	s_delay_alu instid0(VALU_DEP_1) | instid1(SALU_CYCLE_1)
	v_min_u16 v12, v12, s11
	s_mov_b32 s11, 0
	s_branch .LBB169_105
.LBB169_101:
	s_and_b32 s8, s10, 0xff
	s_delay_alu instid0(VALU_DEP_1) | instid1(SALU_CYCLE_1)
	v_max_u16 v11, v12, s8
	s_and_b32 s8, s0, 0xff
	s_delay_alu instid0(VALU_DEP_1) | instid1(SALU_CYCLE_1)
	v_min_u16 v11, v11, s8
	s_cbranch_execnz .LBB169_98
.LBB169_102:
	s_and_b32 s8, s10, 0xff
	s_delay_alu instid0(SALU_CYCLE_1)
	v_max_u16 v11, v12, s8
	v_lshrrev_b32_e32 v13, 8, v2
	s_cmp_lt_i32 s9, 1
	s_mov_b32 s8, 0
	s_cbranch_scc0 .LBB169_99
.LBB169_103:
	s_mov_b32 s11, 0
                                        ; implicit-def: $vgpr12
	s_cbranch_execnz .LBB169_106
	s_branch .LBB169_107
.LBB169_104:
	s_mov_b32 s11, -1
                                        ; implicit-def: $vgpr12
.LBB169_105:
	s_branch .LBB169_107
.LBB169_106:
	s_cmp_lg_u32 s9, 0
	s_mov_b32 s8, -1
	s_cselect_b32 s11, -1, 0
.LBB169_107:
	v_and_b32_e32 v13, 0xff, v13
	s_and_not1_b32 vcc_lo, exec_lo, s11
	s_cbranch_vccz .LBB169_112
; %bb.108:
	s_and_not1_b32 vcc_lo, exec_lo, s8
	s_cbranch_vccz .LBB169_113
.LBB169_109:
	v_lshrrev_b32_e32 v14, 16, v2
	s_cmp_lt_i32 s9, 1
	s_mov_b32 s8, 0
	s_cbranch_scc1 .LBB169_114
.LBB169_110:
	s_cmp_eq_u32 s9, 1
	s_cbranch_scc0 .LBB169_115
; %bb.111:
	v_and_b32_e32 v13, 0xff, v14
	s_and_b32 s11, s10, 0xff
	s_delay_alu instid0(VALU_DEP_1) | instid1(SALU_CYCLE_1)
	v_min_u16 v13, v13, s11
	s_mov_b32 s11, 0
	s_branch .LBB169_116
.LBB169_112:
	s_and_b32 s8, s10, 0xff
	s_delay_alu instid0(VALU_DEP_1) | instid1(SALU_CYCLE_1)
	v_max_u16 v12, v13, s8
	s_and_b32 s8, s0, 0xff
	s_delay_alu instid0(VALU_DEP_1) | instid1(SALU_CYCLE_1)
	v_min_u16 v12, v12, s8
	s_cbranch_execnz .LBB169_109
.LBB169_113:
	s_and_b32 s8, s10, 0xff
	s_delay_alu instid0(SALU_CYCLE_1)
	v_max_u16 v12, v13, s8
	v_lshrrev_b32_e32 v14, 16, v2
	s_cmp_lt_i32 s9, 1
	s_mov_b32 s8, 0
	s_cbranch_scc0 .LBB169_110
.LBB169_114:
	s_mov_b32 s11, 0
                                        ; implicit-def: $vgpr13
	s_cbranch_execnz .LBB169_117
	s_branch .LBB169_118
.LBB169_115:
	s_mov_b32 s11, -1
                                        ; implicit-def: $vgpr13
.LBB169_116:
	s_branch .LBB169_118
.LBB169_117:
	s_cmp_lg_u32 s9, 0
	s_mov_b32 s8, -1
	s_cselect_b32 s11, -1, 0
.LBB169_118:
	v_and_b32_e32 v14, 0xff, v14
	s_and_not1_b32 vcc_lo, exec_lo, s11
	s_cbranch_vccz .LBB169_123
; %bb.119:
	s_and_not1_b32 vcc_lo, exec_lo, s8
	s_cbranch_vccz .LBB169_124
.LBB169_120:
	v_lshrrev_b32_e32 v14, 24, v2
	s_cmp_lt_i32 s9, 1
	s_mov_b32 s8, 0
	s_cbranch_scc1 .LBB169_125
.LBB169_121:
	s_cmp_eq_u32 s9, 1
	s_cbranch_scc0 .LBB169_126
; %bb.122:
	s_and_b32 s11, s10, 0xff
	s_delay_alu instid0(SALU_CYCLE_1)
	v_min_u16 v2, v14, s11
	s_mov_b32 s11, 0
	s_branch .LBB169_127
.LBB169_123:
	s_and_b32 s8, s10, 0xff
	s_delay_alu instid0(VALU_DEP_1) | instid1(SALU_CYCLE_1)
	v_max_u16 v13, v14, s8
	s_and_b32 s8, s0, 0xff
	s_delay_alu instid0(VALU_DEP_1) | instid1(SALU_CYCLE_1)
	v_min_u16 v13, v13, s8
	s_cbranch_execnz .LBB169_120
.LBB169_124:
	s_and_b32 s8, s10, 0xff
	s_delay_alu instid0(SALU_CYCLE_1)
	v_max_u16 v13, v14, s8
	v_lshrrev_b32_e32 v14, 24, v2
	s_cmp_lt_i32 s9, 1
	s_mov_b32 s8, 0
	s_cbranch_scc0 .LBB169_121
.LBB169_125:
	s_mov_b32 s11, 0
                                        ; implicit-def: $vgpr2
	s_cbranch_execnz .LBB169_128
	s_branch .LBB169_129
.LBB169_126:
	s_mov_b32 s11, -1
                                        ; implicit-def: $vgpr2
.LBB169_127:
	s_branch .LBB169_129
.LBB169_128:
	s_cmp_lg_u32 s9, 0
	s_mov_b32 s8, -1
	s_cselect_b32 s11, -1, 0
.LBB169_129:
	s_delay_alu instid0(SALU_CYCLE_1)
	s_and_not1_b32 vcc_lo, exec_lo, s11
	s_cbranch_vccz .LBB169_134
; %bb.130:
	s_and_not1_b32 vcc_lo, exec_lo, s8
	s_cbranch_vccz .LBB169_135
.LBB169_131:
	s_cmp_lt_i32 s9, 1
	s_mov_b32 s8, 0
	s_cbranch_scc1 .LBB169_136
.LBB169_132:
	s_cmp_eq_u32 s9, 1
	s_cbranch_scc0 .LBB169_137
; %bb.133:
	v_and_b32_e32 v14, 0xff, v3
	s_and_b32 s11, s10, 0xff
	s_delay_alu instid0(VALU_DEP_1) | instid1(SALU_CYCLE_1)
	v_min_u16 v14, v14, s11
	s_mov_b32 s11, 0
	s_branch .LBB169_138
.LBB169_134:
	s_and_b32 s8, s10, 0xff
	s_delay_alu instid0(SALU_CYCLE_1)
	v_max_u16 v2, v14, s8
	s_and_b32 s8, s0, 0xff
	s_delay_alu instid0(VALU_DEP_1) | instid1(SALU_CYCLE_1)
	v_min_u16 v2, v2, s8
	s_cbranch_execnz .LBB169_131
.LBB169_135:
	s_and_b32 s8, s10, 0xff
	s_delay_alu instid0(SALU_CYCLE_1)
	v_max_u16 v2, v14, s8
	s_cmp_lt_i32 s9, 1
	s_mov_b32 s8, 0
	s_cbranch_scc0 .LBB169_132
.LBB169_136:
	s_mov_b32 s11, 0
                                        ; implicit-def: $vgpr14
	s_cbranch_execnz .LBB169_139
	s_branch .LBB169_140
.LBB169_137:
	s_mov_b32 s11, -1
                                        ; implicit-def: $vgpr14
.LBB169_138:
	s_branch .LBB169_140
.LBB169_139:
	s_cmp_lg_u32 s9, 0
	s_mov_b32 s8, -1
	s_cselect_b32 s11, -1, 0
.LBB169_140:
	v_and_b32_e32 v15, 0xff, v3
	s_and_not1_b32 vcc_lo, exec_lo, s11
	s_cbranch_vccz .LBB169_145
; %bb.141:
	s_and_not1_b32 vcc_lo, exec_lo, s8
	s_cbranch_vccz .LBB169_146
.LBB169_142:
	v_lshrrev_b32_e32 v16, 8, v3
	s_cmp_lt_i32 s9, 1
	s_mov_b32 s8, 0
	s_cbranch_scc1 .LBB169_147
.LBB169_143:
	s_cmp_eq_u32 s9, 1
	s_cbranch_scc0 .LBB169_148
; %bb.144:
	v_and_b32_e32 v15, 0xff, v16
	s_and_b32 s11, s10, 0xff
	s_delay_alu instid0(VALU_DEP_1) | instid1(SALU_CYCLE_1)
	v_min_u16 v15, v15, s11
	s_mov_b32 s11, 0
	s_branch .LBB169_149
.LBB169_145:
	s_and_b32 s8, s10, 0xff
	s_delay_alu instid0(VALU_DEP_1) | instid1(SALU_CYCLE_1)
	v_max_u16 v14, v15, s8
	s_and_b32 s8, s0, 0xff
	s_delay_alu instid0(VALU_DEP_1) | instid1(SALU_CYCLE_1)
	v_min_u16 v14, v14, s8
	s_cbranch_execnz .LBB169_142
.LBB169_146:
	s_and_b32 s8, s10, 0xff
	s_delay_alu instid0(SALU_CYCLE_1)
	v_max_u16 v14, v15, s8
	v_lshrrev_b32_e32 v16, 8, v3
	s_cmp_lt_i32 s9, 1
	s_mov_b32 s8, 0
	s_cbranch_scc0 .LBB169_143
.LBB169_147:
	s_mov_b32 s11, 0
                                        ; implicit-def: $vgpr15
	s_cbranch_execnz .LBB169_150
	s_branch .LBB169_151
.LBB169_148:
	s_mov_b32 s11, -1
                                        ; implicit-def: $vgpr15
.LBB169_149:
	s_branch .LBB169_151
.LBB169_150:
	s_cmp_lg_u32 s9, 0
	s_mov_b32 s8, -1
	s_cselect_b32 s11, -1, 0
.LBB169_151:
	v_and_b32_e32 v16, 0xff, v16
	s_and_not1_b32 vcc_lo, exec_lo, s11
	s_cbranch_vccz .LBB169_156
; %bb.152:
	s_and_not1_b32 vcc_lo, exec_lo, s8
	s_cbranch_vccz .LBB169_157
.LBB169_153:
	v_lshrrev_b32_e32 v17, 16, v3
	s_cmp_lt_i32 s9, 1
	s_mov_b32 s8, 0
	s_cbranch_scc1 .LBB169_158
.LBB169_154:
	s_cmp_eq_u32 s9, 1
	s_cbranch_scc0 .LBB169_159
; %bb.155:
	v_and_b32_e32 v16, 0xff, v17
	s_and_b32 s11, s10, 0xff
	s_delay_alu instid0(VALU_DEP_1) | instid1(SALU_CYCLE_1)
	v_min_u16 v16, v16, s11
	s_mov_b32 s11, 0
	s_branch .LBB169_160
.LBB169_156:
	s_and_b32 s8, s10, 0xff
	s_delay_alu instid0(VALU_DEP_1) | instid1(SALU_CYCLE_1)
	v_max_u16 v15, v16, s8
	s_and_b32 s8, s0, 0xff
	s_delay_alu instid0(VALU_DEP_1) | instid1(SALU_CYCLE_1)
	v_min_u16 v15, v15, s8
	s_cbranch_execnz .LBB169_153
.LBB169_157:
	s_and_b32 s8, s10, 0xff
	s_delay_alu instid0(SALU_CYCLE_1)
	v_max_u16 v15, v16, s8
	v_lshrrev_b32_e32 v17, 16, v3
	s_cmp_lt_i32 s9, 1
	s_mov_b32 s8, 0
	s_cbranch_scc0 .LBB169_154
.LBB169_158:
	s_mov_b32 s11, 0
                                        ; implicit-def: $vgpr16
	s_cbranch_execnz .LBB169_161
	s_branch .LBB169_162
.LBB169_159:
	s_mov_b32 s11, -1
                                        ; implicit-def: $vgpr16
.LBB169_160:
	s_branch .LBB169_162
.LBB169_161:
	s_cmp_lg_u32 s9, 0
	s_mov_b32 s8, -1
	s_cselect_b32 s11, -1, 0
.LBB169_162:
	v_and_b32_e32 v17, 0xff, v17
	s_and_not1_b32 vcc_lo, exec_lo, s11
	s_cbranch_vccz .LBB169_167
; %bb.163:
	s_and_not1_b32 vcc_lo, exec_lo, s8
	s_cbranch_vccz .LBB169_168
.LBB169_164:
	v_lshrrev_b32_e32 v3, 24, v3
	s_cmp_lt_i32 s9, 1
	s_mov_b32 s8, 0
	s_cbranch_scc1 .LBB169_169
.LBB169_165:
	s_cmp_eq_u32 s9, 1
	s_cbranch_scc0 .LBB169_170
; %bb.166:
	s_and_b32 s11, s10, 0xff
	s_delay_alu instid0(SALU_CYCLE_1)
	v_min_u16 v17, v3, s11
	s_mov_b32 s11, 0
	s_branch .LBB169_171
.LBB169_167:
	s_and_b32 s8, s10, 0xff
	s_delay_alu instid0(VALU_DEP_1) | instid1(SALU_CYCLE_1)
	v_max_u16 v16, v17, s8
	s_and_b32 s8, s0, 0xff
	s_delay_alu instid0(VALU_DEP_1) | instid1(SALU_CYCLE_1)
	v_min_u16 v16, v16, s8
	s_cbranch_execnz .LBB169_164
.LBB169_168:
	s_and_b32 s8, s10, 0xff
	s_delay_alu instid0(SALU_CYCLE_1)
	v_max_u16 v16, v17, s8
	v_lshrrev_b32_e32 v3, 24, v3
	s_cmp_lt_i32 s9, 1
	s_mov_b32 s8, 0
	s_cbranch_scc0 .LBB169_165
.LBB169_169:
	s_mov_b32 s11, 0
                                        ; implicit-def: $vgpr17
	s_cbranch_execnz .LBB169_172
	s_branch .LBB169_173
.LBB169_170:
	s_mov_b32 s11, -1
                                        ; implicit-def: $vgpr17
.LBB169_171:
	s_branch .LBB169_173
.LBB169_172:
	s_cmp_lg_u32 s9, 0
	s_mov_b32 s8, -1
	s_cselect_b32 s11, -1, 0
.LBB169_173:
	s_delay_alu instid0(SALU_CYCLE_1)
	s_and_not1_b32 vcc_lo, exec_lo, s11
	s_cbranch_vccz .LBB169_214
; %bb.174:
	s_and_not1_b32 vcc_lo, exec_lo, s8
	s_cbranch_vccnz .LBB169_176
.LBB169_175:
	s_and_b32 s0, s10, 0xff
	s_delay_alu instid0(SALU_CYCLE_1)
	v_max_u16 v17, v3, s0
.LBB169_176:
	v_perm_b32 v8, v8, v9, 0xc0c0004
	v_perm_b32 v5, v10, v5, 0xc0c0004
	;; [unrolled: 1-line block ×8, first 2 shown]
	v_lshl_or_b32 v5, v5, 16, v8
	v_lshl_or_b32 v4, v4, 16, v1
	;; [unrolled: 1-line block ×3, first 2 shown]
	s_add_nc_u64 s[12:13], s[4:5], s[2:3]
	v_lshl_or_b32 v2, v2, 16, v11
	s_mov_b32 s3, 0
	s_clause 0x1
	global_store_b64 v0, v[4:5], s[12:13] scale_offset
	global_store_b64 v0, v[2:3], s[12:13] offset:2048 scale_offset
.LBB169_177:
	s_and_b32 vcc_lo, exec_lo, s3
	s_cbranch_vccz .LBB169_436
; %bb.178:
	v_cmp_gt_i32_e64 s0, s1, v0
	s_wait_xcnt 0x0
	v_dual_mov_b32 v2, 0 :: v_dual_bitop2_b32 v8, s2, v0 bitop3:0x54
	v_or_b32_e32 v9, 0x100, v0
	v_dual_mov_b32 v10, 0 :: v_dual_mov_b32 v11, 0
	v_dual_mov_b32 v12, 0 :: v_dual_mov_b32 v13, 0
	;; [unrolled: 1-line block ×8, first 2 shown]
	s_and_saveexec_b32 s3, s0
	s_cbranch_execz .LBB169_210
; %bb.179:
	global_load_u8 v23, v8, s[6:7]
	v_or_b32_e32 v1, 0x100, v0
	v_dual_mov_b32 v22, 0 :: v_dual_mov_b32 v5, 0
	v_dual_mov_b32 v6, 0 :: v_dual_mov_b32 v21, 0
	;; [unrolled: 1-line block ×7, first 2 shown]
	v_mov_b32_e32 v10, 0
	s_mov_b32 s8, exec_lo
	s_wait_xcnt 0x0
	v_cmpx_gt_u32_e64 s1, v1
	s_cbranch_execz .LBB169_209
; %bb.180:
	v_dual_mov_b32 v5, 0 :: v_dual_add_nc_u32 v4, s2, v0
	v_or_b32_e32 v1, 0x200, v0
	v_dual_mov_b32 v6, 0 :: v_dual_mov_b32 v21, 0
	global_load_u8 v22, v4, s[6:7] offset:256
	v_dual_mov_b32 v20, 0 :: v_dual_mov_b32 v19, 0
	v_dual_mov_b32 v18, 0 :: v_dual_mov_b32 v17, 0
	;; [unrolled: 1-line block ×5, first 2 shown]
	v_mov_b32_e32 v10, 0
	s_mov_b32 s11, exec_lo
	s_wait_xcnt 0x0
	v_cmpx_gt_u32_e64 s1, v1
	s_cbranch_execz .LBB169_208
; %bb.181:
	v_add_nc_u64_e32 v[6:7], s[6:7], v[4:5]
	v_or_b32_e32 v3, 0x300, v0
	v_dual_mov_b32 v21, 0 :: v_dual_mov_b32 v20, 0
	v_dual_mov_b32 v19, 0 :: v_dual_mov_b32 v18, 0
	;; [unrolled: 1-line block ×3, first 2 shown]
	global_load_u8 v1, v[6:7], off offset:512
	v_dual_mov_b32 v15, 0 :: v_dual_mov_b32 v14, 0
	v_dual_mov_b32 v13, 0 :: v_dual_mov_b32 v12, 0
	;; [unrolled: 1-line block ×3, first 2 shown]
	s_mov_b32 s6, exec_lo
	s_wait_xcnt 0x0
	v_cmpx_gt_u32_e64 s1, v3
	s_cbranch_execz .LBB169_207
; %bb.182:
	global_load_u8 v5, v[6:7], off offset:768
	v_or_b32_e32 v3, 0x400, v0
	v_dual_mov_b32 v21, 0 :: v_dual_mov_b32 v20, 0
	v_dual_mov_b32 v19, 0 :: v_dual_mov_b32 v18, 0
	;; [unrolled: 1-line block ×6, first 2 shown]
	s_mov_b32 s7, exec_lo
	s_wait_xcnt 0x0
	v_cmpx_gt_u32_e64 s1, v3
	s_cbranch_execz .LBB169_206
; %bb.183:
	global_load_u8 v21, v[6:7], off offset:1024
	v_or_b32_e32 v3, 0x500, v0
	v_dual_mov_b32 v20, 0 :: v_dual_mov_b32 v19, 0
	v_dual_mov_b32 v18, 0 :: v_dual_mov_b32 v17, 0
	;; [unrolled: 1-line block ×5, first 2 shown]
	v_mov_b32_e32 v10, 0
	s_mov_b32 s12, exec_lo
	s_wait_xcnt 0x0
	v_cmpx_gt_u32_e64 s1, v3
	s_cbranch_execz .LBB169_205
; %bb.184:
	global_load_u8 v20, v[6:7], off offset:1280
	v_or_b32_e32 v3, 0x600, v0
	v_dual_mov_b32 v19, 0 :: v_dual_mov_b32 v18, 0
	v_dual_mov_b32 v17, 0 :: v_dual_mov_b32 v16, 0
	;; [unrolled: 1-line block ×5, first 2 shown]
	s_mov_b32 s13, exec_lo
	s_wait_xcnt 0x0
	v_cmpx_gt_u32_e64 s1, v3
	s_cbranch_execz .LBB169_204
; %bb.185:
	global_load_u8 v19, v[6:7], off offset:1536
	v_or_b32_e32 v3, 0x700, v0
	v_dual_mov_b32 v18, 0 :: v_dual_mov_b32 v17, 0
	v_dual_mov_b32 v16, 0 :: v_dual_mov_b32 v15, 0
	;; [unrolled: 1-line block ×4, first 2 shown]
	v_mov_b32_e32 v10, 0
	s_mov_b32 s14, exec_lo
	s_wait_xcnt 0x0
	v_cmpx_gt_u32_e64 s1, v3
	s_cbranch_execz .LBB169_203
; %bb.186:
	global_load_u8 v18, v[6:7], off offset:1792
	v_or_b32_e32 v3, 0x800, v0
	v_dual_mov_b32 v17, 0 :: v_dual_mov_b32 v16, 0
	v_dual_mov_b32 v15, 0 :: v_dual_mov_b32 v14, 0
	;; [unrolled: 1-line block ×4, first 2 shown]
	s_mov_b32 s15, exec_lo
	s_wait_xcnt 0x0
	v_cmpx_gt_u32_e64 s1, v3
	s_cbranch_execz .LBB169_202
; %bb.187:
	global_load_u8 v17, v[6:7], off offset:2048
	v_or_b32_e32 v3, 0x900, v0
	v_dual_mov_b32 v16, 0 :: v_dual_mov_b32 v15, 0
	v_dual_mov_b32 v14, 0 :: v_dual_mov_b32 v13, 0
	;; [unrolled: 1-line block ×3, first 2 shown]
	v_mov_b32_e32 v10, 0
	s_mov_b32 s16, exec_lo
	s_wait_xcnt 0x0
	v_cmpx_gt_u32_e64 s1, v3
	s_cbranch_execz .LBB169_201
; %bb.188:
	global_load_u8 v16, v[6:7], off offset:2304
	v_or_b32_e32 v3, 0xa00, v0
	v_dual_mov_b32 v15, 0 :: v_dual_mov_b32 v14, 0
	v_dual_mov_b32 v13, 0 :: v_dual_mov_b32 v12, 0
	;; [unrolled: 1-line block ×3, first 2 shown]
	s_mov_b32 s17, exec_lo
	s_wait_xcnt 0x0
	v_cmpx_gt_u32_e64 s1, v3
	s_cbranch_execz .LBB169_200
; %bb.189:
	global_load_u8 v15, v[6:7], off offset:2560
	v_or_b32_e32 v3, 0xb00, v0
	v_dual_mov_b32 v14, 0 :: v_dual_mov_b32 v13, 0
	v_dual_mov_b32 v12, 0 :: v_dual_mov_b32 v11, 0
	v_mov_b32_e32 v10, 0
	s_mov_b32 s18, exec_lo
	s_wait_xcnt 0x0
	v_cmpx_gt_u32_e64 s1, v3
	s_cbranch_execz .LBB169_199
; %bb.190:
	global_load_u8 v14, v[6:7], off offset:2816
	v_or_b32_e32 v3, 0xc00, v0
	v_dual_mov_b32 v13, 0 :: v_dual_mov_b32 v12, 0
	v_dual_mov_b32 v11, 0 :: v_dual_mov_b32 v10, 0
	s_mov_b32 s19, exec_lo
	s_wait_xcnt 0x0
	v_cmpx_gt_u32_e64 s1, v3
	s_cbranch_execz .LBB169_198
; %bb.191:
	global_load_u8 v13, v[6:7], off offset:3072
	v_or_b32_e32 v3, 0xd00, v0
	v_dual_mov_b32 v12, 0 :: v_dual_mov_b32 v11, 0
	v_mov_b32_e32 v10, 0
	s_mov_b32 s20, exec_lo
	s_wait_xcnt 0x0
	v_cmpx_gt_u32_e64 s1, v3
	s_cbranch_execz .LBB169_197
; %bb.192:
	global_load_u8 v12, v[6:7], off offset:3328
	v_or_b32_e32 v3, 0xe00, v0
	v_dual_mov_b32 v11, 0 :: v_dual_mov_b32 v10, 0
	s_mov_b32 s21, exec_lo
	s_wait_xcnt 0x0
	s_delay_alu instid0(VALU_DEP_2)
	v_cmpx_gt_u32_e64 s1, v3
	s_cbranch_execz .LBB169_196
; %bb.193:
	global_load_u8 v11, v[6:7], off offset:3584
	v_or_b32_e32 v3, 0xf00, v0
	v_mov_b32_e32 v10, 0
	s_mov_b32 s22, exec_lo
	s_wait_xcnt 0x0
	s_delay_alu instid0(VALU_DEP_2)
	v_cmpx_gt_u32_e64 s1, v3
	s_cbranch_execz .LBB169_195
; %bb.194:
	global_load_u8 v10, v[6:7], off offset:3840
.LBB169_195:
	s_wait_xcnt 0x0
	s_or_b32 exec_lo, exec_lo, s22
.LBB169_196:
	s_delay_alu instid0(SALU_CYCLE_1)
	s_or_b32 exec_lo, exec_lo, s21
.LBB169_197:
	s_delay_alu instid0(SALU_CYCLE_1)
	s_or_b32 exec_lo, exec_lo, s20
.LBB169_198:
	s_delay_alu instid0(SALU_CYCLE_1)
	s_or_b32 exec_lo, exec_lo, s19
.LBB169_199:
	s_delay_alu instid0(SALU_CYCLE_1)
	s_or_b32 exec_lo, exec_lo, s18
.LBB169_200:
	s_delay_alu instid0(SALU_CYCLE_1)
	s_or_b32 exec_lo, exec_lo, s17
.LBB169_201:
	s_delay_alu instid0(SALU_CYCLE_1)
	s_or_b32 exec_lo, exec_lo, s16
.LBB169_202:
	s_delay_alu instid0(SALU_CYCLE_1)
	s_or_b32 exec_lo, exec_lo, s15
.LBB169_203:
	s_delay_alu instid0(SALU_CYCLE_1)
	s_or_b32 exec_lo, exec_lo, s14
.LBB169_204:
	s_delay_alu instid0(SALU_CYCLE_1)
	s_or_b32 exec_lo, exec_lo, s13
.LBB169_205:
	s_delay_alu instid0(SALU_CYCLE_1)
	s_or_b32 exec_lo, exec_lo, s12
.LBB169_206:
	s_delay_alu instid0(SALU_CYCLE_1)
	s_or_b32 exec_lo, exec_lo, s7
.LBB169_207:
	s_delay_alu instid0(SALU_CYCLE_1)
	s_or_b32 exec_lo, exec_lo, s6
	s_wait_loadcnt 0x0
	v_dual_mov_b32 v6, v5 :: v_dual_mov_b32 v5, v1
.LBB169_208:
	s_or_b32 exec_lo, exec_lo, s11
.LBB169_209:
	s_delay_alu instid0(SALU_CYCLE_1)
	s_or_b32 exec_lo, exec_lo, s8
.LBB169_210:
	s_delay_alu instid0(SALU_CYCLE_1)
	s_or_b32 exec_lo, exec_lo, s3
	v_dual_mov_b32 v1, v2 :: v_dual_mov_b32 v4, v2
	v_mov_b32_e32 v3, v2
	s_lshr_b32 s3, s10, 8
	s_and_saveexec_b32 s6, s0
	s_cbranch_execz .LBB169_223
; %bb.211:
	s_cmp_lt_i32 s9, 1
	s_mov_b32 s7, 0
	s_cbranch_scc1 .LBB169_215
; %bb.212:
	s_cmp_eq_u32 s9, 1
	s_cbranch_scc0 .LBB169_216
; %bb.213:
	s_wait_loadcnt 0x0
	v_and_b32_e32 v1, 0xff, v23
	s_and_b32 s8, s10, 0xff
	s_delay_alu instid0(VALU_DEP_1) | instid1(SALU_CYCLE_1)
	v_min_u16 v1, v1, s8
	s_mov_b32 s8, 0
	s_branch .LBB169_217
.LBB169_214:
	s_and_b32 s8, s10, 0xff
	s_and_b32 s0, s0, 0xff
	v_max_u16 v17, v3, s8
	s_delay_alu instid0(VALU_DEP_1)
	v_min_u16 v17, v17, s0
	s_cbranch_execz .LBB169_175
	s_branch .LBB169_176
.LBB169_215:
	s_mov_b32 s8, 0
                                        ; implicit-def: $vgpr1
	s_cbranch_execnz .LBB169_218
	s_branch .LBB169_219
.LBB169_216:
	s_mov_b32 s8, -1
                                        ; implicit-def: $vgpr1
.LBB169_217:
	s_branch .LBB169_219
.LBB169_218:
	s_cmp_lg_u32 s9, 0
	s_mov_b32 s7, -1
	s_cselect_b32 s8, -1, 0
.LBB169_219:
	s_wait_loadcnt 0x0
	v_and_b32_e32 v2, 0xff, v23
	s_and_not1_b32 vcc_lo, exec_lo, s8
	s_cbranch_vccz .LBB169_227
; %bb.220:
	s_and_not1_b32 vcc_lo, exec_lo, s7
	s_cbranch_vccnz .LBB169_222
.LBB169_221:
	s_and_b32 s7, s10, 0xff
	s_delay_alu instid0(SALU_CYCLE_1)
	v_max_u16 v1, v2, s7
.LBB169_222:
	s_delay_alu instid0(VALU_DEP_1) | instskip(SKIP_1) | instid1(VALU_DEP_2)
	v_and_b32_e32 v2, 0xff, v1
	v_mov_b32_e32 v1, 0
	v_and_b32_e32 v2, 0xffff, v2
	s_delay_alu instid0(VALU_DEP_2)
	v_dual_mov_b32 v4, v1 :: v_dual_mov_b32 v3, v1
.LBB169_223:
	s_or_b32 exec_lo, exec_lo, s6
	s_delay_alu instid0(SALU_CYCLE_1)
	s_mov_b32 s6, exec_lo
	v_cmpx_gt_i32_e64 s1, v9
	s_cbranch_execz .LBB169_236
; %bb.224:
	s_cmp_lt_i32 s9, 1
	s_mov_b32 s7, 0
	s_cbranch_scc1 .LBB169_228
; %bb.225:
	s_cmp_eq_u32 s9, 1
	s_cbranch_scc0 .LBB169_229
; %bb.226:
	s_wait_loadcnt 0x0
	v_and_b32_e32 v7, 0xff, v22
	s_and_b32 s8, s10, 0xff
	s_delay_alu instid0(VALU_DEP_1) | instid1(SALU_CYCLE_1)
	v_min_u16 v7, v7, s8
	s_mov_b32 s8, 0
	s_branch .LBB169_230
.LBB169_227:
	s_and_b32 s7, s10, 0xff
	s_delay_alu instid0(VALU_DEP_1) | instid1(SALU_CYCLE_1)
	v_max_u16 v1, v2, s7
	s_and_b32 s7, s3, 0xff
	s_delay_alu instid0(VALU_DEP_1) | instid1(SALU_CYCLE_1)
	v_min_u16 v1, v1, s7
	s_cbranch_execz .LBB169_221
	s_branch .LBB169_222
.LBB169_228:
	s_mov_b32 s8, 0
                                        ; implicit-def: $vgpr7
	s_cbranch_execnz .LBB169_231
	s_branch .LBB169_232
.LBB169_229:
	s_mov_b32 s8, -1
                                        ; implicit-def: $vgpr7
.LBB169_230:
	s_branch .LBB169_232
.LBB169_231:
	s_cmp_lg_u32 s9, 0
	s_mov_b32 s7, -1
	s_cselect_b32 s8, -1, 0
.LBB169_232:
	s_wait_loadcnt 0x0
	v_and_b32_e32 v22, 0xff, v22
	s_and_not1_b32 vcc_lo, exec_lo, s8
	s_cbranch_vccz .LBB169_240
; %bb.233:
	s_and_not1_b32 vcc_lo, exec_lo, s7
	s_cbranch_vccnz .LBB169_235
.LBB169_234:
	s_and_b32 s7, s10, 0xff
	s_delay_alu instid0(SALU_CYCLE_1)
	v_max_u16 v7, v22, s7
.LBB169_235:
	s_delay_alu instid0(VALU_DEP_1)
	v_perm_b32 v2, v2, v7, 0x7060004
.LBB169_236:
	s_or_b32 exec_lo, exec_lo, s6
	v_or_b32_e32 v7, 0x200, v0
	s_mov_b32 s6, exec_lo
	s_delay_alu instid0(VALU_DEP_1)
	v_cmpx_gt_i32_e64 s1, v7
	s_cbranch_execz .LBB169_249
; %bb.237:
	s_cmp_lt_i32 s9, 1
	s_mov_b32 s7, 0
	s_cbranch_scc1 .LBB169_241
; %bb.238:
	s_cmp_eq_u32 s9, 1
	s_cbranch_scc0 .LBB169_242
; %bb.239:
	v_and_b32_e32 v7, 0xff, v5
	s_and_b32 s8, s10, 0xff
	s_delay_alu instid0(VALU_DEP_1) | instid1(SALU_CYCLE_1)
	v_min_u16 v7, v7, s8
	s_mov_b32 s8, 0
	s_branch .LBB169_243
.LBB169_240:
	s_and_b32 s7, s10, 0xff
	s_delay_alu instid0(VALU_DEP_1) | instid1(SALU_CYCLE_1)
	v_max_u16 v7, v22, s7
	s_and_b32 s7, s3, 0xff
	s_delay_alu instid0(VALU_DEP_1) | instid1(SALU_CYCLE_1)
	v_min_u16 v7, v7, s7
	s_cbranch_execz .LBB169_234
	s_branch .LBB169_235
.LBB169_241:
	s_mov_b32 s8, 0
                                        ; implicit-def: $vgpr7
	s_cbranch_execnz .LBB169_244
	s_branch .LBB169_245
.LBB169_242:
	s_mov_b32 s8, -1
                                        ; implicit-def: $vgpr7
.LBB169_243:
	s_branch .LBB169_245
.LBB169_244:
	s_cmp_lg_u32 s9, 0
	s_mov_b32 s7, -1
	s_cselect_b32 s8, -1, 0
.LBB169_245:
	v_and_b32_e32 v5, 0xff, v5
	s_and_not1_b32 vcc_lo, exec_lo, s8
	s_cbranch_vccz .LBB169_253
; %bb.246:
	s_and_not1_b32 vcc_lo, exec_lo, s7
	s_cbranch_vccnz .LBB169_248
.LBB169_247:
	s_and_b32 s7, s10, 0xff
	s_delay_alu instid0(SALU_CYCLE_1)
	v_max_u16 v7, v5, s7
.LBB169_248:
	s_delay_alu instid0(VALU_DEP_1)
	v_perm_b32 v2, v2, v7, 0x7000504
.LBB169_249:
	s_or_b32 exec_lo, exec_lo, s6
	v_or_b32_e32 v5, 0x300, v0
	s_mov_b32 s6, exec_lo
	s_delay_alu instid0(VALU_DEP_1)
	v_cmpx_gt_i32_e64 s1, v5
	s_cbranch_execz .LBB169_262
; %bb.250:
	s_cmp_lt_i32 s9, 1
	s_mov_b32 s7, 0
	s_cbranch_scc1 .LBB169_254
; %bb.251:
	s_cmp_eq_u32 s9, 1
	s_cbranch_scc0 .LBB169_255
; %bb.252:
	v_and_b32_e32 v5, 0xff, v6
	s_and_b32 s8, s10, 0xff
	s_delay_alu instid0(VALU_DEP_1) | instid1(SALU_CYCLE_1)
	v_min_u16 v5, v5, s8
	s_mov_b32 s8, 0
	s_branch .LBB169_256
.LBB169_253:
	s_and_b32 s7, s10, 0xff
	s_delay_alu instid0(VALU_DEP_1) | instid1(SALU_CYCLE_1)
	v_max_u16 v7, v5, s7
	s_and_b32 s7, s3, 0xff
	s_delay_alu instid0(VALU_DEP_1) | instid1(SALU_CYCLE_1)
	v_min_u16 v7, v7, s7
	s_cbranch_execz .LBB169_247
	s_branch .LBB169_248
.LBB169_254:
	s_mov_b32 s8, 0
                                        ; implicit-def: $vgpr5
	s_cbranch_execnz .LBB169_257
	s_branch .LBB169_258
.LBB169_255:
	s_mov_b32 s8, -1
                                        ; implicit-def: $vgpr5
.LBB169_256:
	s_branch .LBB169_258
.LBB169_257:
	s_cmp_lg_u32 s9, 0
	s_mov_b32 s7, -1
	s_cselect_b32 s8, -1, 0
.LBB169_258:
	v_and_b32_e32 v6, 0xff, v6
	s_and_not1_b32 vcc_lo, exec_lo, s8
	s_cbranch_vccz .LBB169_266
; %bb.259:
	s_and_not1_b32 vcc_lo, exec_lo, s7
	s_cbranch_vccnz .LBB169_261
.LBB169_260:
	s_and_b32 s7, s10, 0xff
	s_delay_alu instid0(SALU_CYCLE_1)
	v_max_u16 v5, v6, s7
.LBB169_261:
	s_delay_alu instid0(VALU_DEP_1)
	v_perm_b32 v2, v2, v5, 0x60504
.LBB169_262:
	s_or_b32 exec_lo, exec_lo, s6
	v_or_b32_e32 v5, 0x400, v0
	s_mov_b32 s6, exec_lo
	s_delay_alu instid0(VALU_DEP_1)
	v_cmpx_gt_i32_e64 s1, v5
	s_cbranch_execz .LBB169_275
; %bb.263:
	s_cmp_lt_i32 s9, 1
	s_mov_b32 s7, 0
	s_cbranch_scc1 .LBB169_267
; %bb.264:
	s_cmp_eq_u32 s9, 1
	s_cbranch_scc0 .LBB169_268
; %bb.265:
	v_and_b32_e32 v5, 0xff, v21
	s_and_b32 s8, s10, 0xff
	s_delay_alu instid0(VALU_DEP_1) | instid1(SALU_CYCLE_1)
	v_min_u16 v5, v5, s8
	s_mov_b32 s8, 0
	s_branch .LBB169_269
.LBB169_266:
	s_and_b32 s7, s10, 0xff
	s_delay_alu instid0(VALU_DEP_1) | instid1(SALU_CYCLE_1)
	v_max_u16 v5, v6, s7
	s_and_b32 s7, s3, 0xff
	s_delay_alu instid0(VALU_DEP_1) | instid1(SALU_CYCLE_1)
	v_min_u16 v5, v5, s7
	s_cbranch_execz .LBB169_260
	s_branch .LBB169_261
.LBB169_267:
	s_mov_b32 s8, 0
                                        ; implicit-def: $vgpr5
	s_cbranch_execnz .LBB169_270
	s_branch .LBB169_271
.LBB169_268:
	s_mov_b32 s8, -1
                                        ; implicit-def: $vgpr5
.LBB169_269:
	s_branch .LBB169_271
.LBB169_270:
	s_cmp_lg_u32 s9, 0
	s_mov_b32 s7, -1
	s_cselect_b32 s8, -1, 0
.LBB169_271:
	v_and_b32_e32 v6, 0xff, v21
	s_and_not1_b32 vcc_lo, exec_lo, s8
	s_cbranch_vccz .LBB169_279
; %bb.272:
	s_and_not1_b32 vcc_lo, exec_lo, s7
	s_cbranch_vccnz .LBB169_274
.LBB169_273:
	s_and_b32 s7, s10, 0xff
	s_delay_alu instid0(SALU_CYCLE_1)
	v_max_u16 v5, v6, s7
.LBB169_274:
	s_delay_alu instid0(VALU_DEP_1)
	v_perm_b32 v1, v5, v1, 0x3020104
.LBB169_275:
	s_or_b32 exec_lo, exec_lo, s6
	v_or_b32_e32 v5, 0x500, v0
	s_mov_b32 s6, exec_lo
	s_delay_alu instid0(VALU_DEP_1)
	v_cmpx_gt_i32_e64 s1, v5
	s_cbranch_execz .LBB169_288
; %bb.276:
	s_cmp_lt_i32 s9, 1
	s_mov_b32 s7, 0
	s_cbranch_scc1 .LBB169_280
; %bb.277:
	s_cmp_eq_u32 s9, 1
	s_cbranch_scc0 .LBB169_281
; %bb.278:
	v_and_b32_e32 v5, 0xff, v20
	s_and_b32 s8, s10, 0xff
	s_delay_alu instid0(VALU_DEP_1) | instid1(SALU_CYCLE_1)
	v_min_u16 v5, v5, s8
	s_mov_b32 s8, 0
	s_branch .LBB169_282
.LBB169_279:
	s_and_b32 s7, s10, 0xff
	s_delay_alu instid0(VALU_DEP_1) | instid1(SALU_CYCLE_1)
	v_max_u16 v5, v6, s7
	s_and_b32 s7, s3, 0xff
	s_delay_alu instid0(VALU_DEP_1) | instid1(SALU_CYCLE_1)
	v_min_u16 v5, v5, s7
	s_cbranch_execz .LBB169_273
	s_branch .LBB169_274
.LBB169_280:
	s_mov_b32 s8, 0
                                        ; implicit-def: $vgpr5
	s_cbranch_execnz .LBB169_283
	s_branch .LBB169_284
.LBB169_281:
	s_mov_b32 s8, -1
                                        ; implicit-def: $vgpr5
.LBB169_282:
	s_branch .LBB169_284
.LBB169_283:
	s_cmp_lg_u32 s9, 0
	s_mov_b32 s7, -1
	s_cselect_b32 s8, -1, 0
.LBB169_284:
	v_and_b32_e32 v6, 0xff, v20
	s_and_not1_b32 vcc_lo, exec_lo, s8
	s_cbranch_vccz .LBB169_292
; %bb.285:
	s_and_not1_b32 vcc_lo, exec_lo, s7
	s_cbranch_vccnz .LBB169_287
.LBB169_286:
	s_and_b32 s7, s10, 0xff
	s_delay_alu instid0(SALU_CYCLE_1)
	v_max_u16 v5, v6, s7
.LBB169_287:
	s_delay_alu instid0(VALU_DEP_1)
	v_perm_b32 v1, v1, v5, 0x7060004
.LBB169_288:
	s_or_b32 exec_lo, exec_lo, s6
	v_or_b32_e32 v5, 0x600, v0
	s_mov_b32 s6, exec_lo
	s_delay_alu instid0(VALU_DEP_1)
	v_cmpx_gt_i32_e64 s1, v5
	s_cbranch_execz .LBB169_301
; %bb.289:
	s_cmp_lt_i32 s9, 1
	s_mov_b32 s7, 0
	s_cbranch_scc1 .LBB169_293
; %bb.290:
	s_cmp_eq_u32 s9, 1
	s_cbranch_scc0 .LBB169_294
; %bb.291:
	v_and_b32_e32 v5, 0xff, v19
	s_and_b32 s8, s10, 0xff
	s_delay_alu instid0(VALU_DEP_1) | instid1(SALU_CYCLE_1)
	v_min_u16 v5, v5, s8
	s_mov_b32 s8, 0
	s_branch .LBB169_295
.LBB169_292:
	s_and_b32 s7, s10, 0xff
	s_delay_alu instid0(VALU_DEP_1) | instid1(SALU_CYCLE_1)
	v_max_u16 v5, v6, s7
	s_and_b32 s7, s3, 0xff
	s_delay_alu instid0(VALU_DEP_1) | instid1(SALU_CYCLE_1)
	v_min_u16 v5, v5, s7
	s_cbranch_execz .LBB169_286
	s_branch .LBB169_287
.LBB169_293:
	s_mov_b32 s8, 0
                                        ; implicit-def: $vgpr5
	s_cbranch_execnz .LBB169_296
	s_branch .LBB169_297
.LBB169_294:
	s_mov_b32 s8, -1
                                        ; implicit-def: $vgpr5
.LBB169_295:
	s_branch .LBB169_297
.LBB169_296:
	s_cmp_lg_u32 s9, 0
	s_mov_b32 s7, -1
	s_cselect_b32 s8, -1, 0
.LBB169_297:
	v_and_b32_e32 v6, 0xff, v19
	s_and_not1_b32 vcc_lo, exec_lo, s8
	s_cbranch_vccz .LBB169_305
; %bb.298:
	s_and_not1_b32 vcc_lo, exec_lo, s7
	s_cbranch_vccnz .LBB169_300
.LBB169_299:
	s_and_b32 s7, s10, 0xff
	s_delay_alu instid0(SALU_CYCLE_1)
	v_max_u16 v5, v6, s7
.LBB169_300:
	s_delay_alu instid0(VALU_DEP_1)
	v_perm_b32 v1, v1, v5, 0x7000504
.LBB169_301:
	s_or_b32 exec_lo, exec_lo, s6
	v_or_b32_e32 v5, 0x700, v0
	s_mov_b32 s6, exec_lo
	s_delay_alu instid0(VALU_DEP_1)
	v_cmpx_gt_i32_e64 s1, v5
	s_cbranch_execz .LBB169_314
; %bb.302:
	s_cmp_lt_i32 s9, 1
	s_mov_b32 s7, 0
	s_cbranch_scc1 .LBB169_306
; %bb.303:
	s_cmp_eq_u32 s9, 1
	s_cbranch_scc0 .LBB169_307
; %bb.304:
	v_and_b32_e32 v5, 0xff, v18
	s_and_b32 s8, s10, 0xff
	s_delay_alu instid0(VALU_DEP_1) | instid1(SALU_CYCLE_1)
	v_min_u16 v5, v5, s8
	s_mov_b32 s8, 0
	s_branch .LBB169_308
.LBB169_305:
	s_and_b32 s7, s10, 0xff
	s_delay_alu instid0(VALU_DEP_1) | instid1(SALU_CYCLE_1)
	v_max_u16 v5, v6, s7
	s_and_b32 s7, s3, 0xff
	s_delay_alu instid0(VALU_DEP_1) | instid1(SALU_CYCLE_1)
	v_min_u16 v5, v5, s7
	s_cbranch_execz .LBB169_299
	s_branch .LBB169_300
.LBB169_306:
	s_mov_b32 s8, 0
                                        ; implicit-def: $vgpr5
	s_cbranch_execnz .LBB169_309
	s_branch .LBB169_310
.LBB169_307:
	s_mov_b32 s8, -1
                                        ; implicit-def: $vgpr5
.LBB169_308:
	s_branch .LBB169_310
.LBB169_309:
	s_cmp_lg_u32 s9, 0
	s_mov_b32 s7, -1
	s_cselect_b32 s8, -1, 0
.LBB169_310:
	v_and_b32_e32 v6, 0xff, v18
	s_and_not1_b32 vcc_lo, exec_lo, s8
	s_cbranch_vccz .LBB169_318
; %bb.311:
	s_and_not1_b32 vcc_lo, exec_lo, s7
	s_cbranch_vccnz .LBB169_313
.LBB169_312:
	s_and_b32 s7, s10, 0xff
	s_delay_alu instid0(SALU_CYCLE_1)
	v_max_u16 v5, v6, s7
.LBB169_313:
	s_delay_alu instid0(VALU_DEP_1)
	v_perm_b32 v1, v1, v5, 0x60504
.LBB169_314:
	s_or_b32 exec_lo, exec_lo, s6
	v_or_b32_e32 v5, 0x800, v0
	s_mov_b32 s6, exec_lo
	s_delay_alu instid0(VALU_DEP_1)
	v_cmpx_gt_i32_e64 s1, v5
	s_cbranch_execz .LBB169_327
; %bb.315:
	s_cmp_lt_i32 s9, 1
	s_mov_b32 s7, 0
	s_cbranch_scc1 .LBB169_319
; %bb.316:
	s_cmp_eq_u32 s9, 1
	s_cbranch_scc0 .LBB169_320
; %bb.317:
	v_and_b32_e32 v5, 0xff, v17
	s_and_b32 s8, s10, 0xff
	s_delay_alu instid0(VALU_DEP_1) | instid1(SALU_CYCLE_1)
	v_min_u16 v5, v5, s8
	s_mov_b32 s8, 0
	s_branch .LBB169_321
.LBB169_318:
	s_and_b32 s7, s10, 0xff
	s_delay_alu instid0(VALU_DEP_1) | instid1(SALU_CYCLE_1)
	v_max_u16 v5, v6, s7
	s_and_b32 s7, s3, 0xff
	s_delay_alu instid0(VALU_DEP_1) | instid1(SALU_CYCLE_1)
	v_min_u16 v5, v5, s7
	s_cbranch_execz .LBB169_312
	s_branch .LBB169_313
.LBB169_319:
	s_mov_b32 s8, 0
                                        ; implicit-def: $vgpr5
	s_cbranch_execnz .LBB169_322
	s_branch .LBB169_323
.LBB169_320:
	s_mov_b32 s8, -1
                                        ; implicit-def: $vgpr5
.LBB169_321:
	s_branch .LBB169_323
.LBB169_322:
	s_cmp_lg_u32 s9, 0
	s_mov_b32 s7, -1
	s_cselect_b32 s8, -1, 0
.LBB169_323:
	v_and_b32_e32 v6, 0xff, v17
	s_and_not1_b32 vcc_lo, exec_lo, s8
	s_cbranch_vccz .LBB169_331
; %bb.324:
	s_and_not1_b32 vcc_lo, exec_lo, s7
	s_cbranch_vccnz .LBB169_326
.LBB169_325:
	s_and_b32 s7, s10, 0xff
	s_delay_alu instid0(SALU_CYCLE_1)
	v_max_u16 v5, v6, s7
.LBB169_326:
	s_delay_alu instid0(VALU_DEP_1)
	v_perm_b32 v4, v5, v4, 0x3020104
.LBB169_327:
	s_or_b32 exec_lo, exec_lo, s6
	v_or_b32_e32 v5, 0x900, v0
	s_mov_b32 s6, exec_lo
	s_delay_alu instid0(VALU_DEP_1)
	v_cmpx_gt_i32_e64 s1, v5
	s_cbranch_execz .LBB169_340
; %bb.328:
	s_cmp_lt_i32 s9, 1
	s_mov_b32 s7, 0
	s_cbranch_scc1 .LBB169_332
; %bb.329:
	s_cmp_eq_u32 s9, 1
	s_cbranch_scc0 .LBB169_333
; %bb.330:
	v_and_b32_e32 v5, 0xff, v16
	s_and_b32 s8, s10, 0xff
	s_delay_alu instid0(VALU_DEP_1) | instid1(SALU_CYCLE_1)
	v_min_u16 v5, v5, s8
	s_mov_b32 s8, 0
	s_branch .LBB169_334
.LBB169_331:
	s_and_b32 s7, s10, 0xff
	s_delay_alu instid0(VALU_DEP_1) | instid1(SALU_CYCLE_1)
	v_max_u16 v5, v6, s7
	s_and_b32 s7, s3, 0xff
	s_delay_alu instid0(VALU_DEP_1) | instid1(SALU_CYCLE_1)
	v_min_u16 v5, v5, s7
	s_cbranch_execz .LBB169_325
	s_branch .LBB169_326
.LBB169_332:
	s_mov_b32 s8, 0
                                        ; implicit-def: $vgpr5
	s_cbranch_execnz .LBB169_335
	s_branch .LBB169_336
.LBB169_333:
	s_mov_b32 s8, -1
                                        ; implicit-def: $vgpr5
.LBB169_334:
	s_branch .LBB169_336
.LBB169_335:
	s_cmp_lg_u32 s9, 0
	s_mov_b32 s7, -1
	s_cselect_b32 s8, -1, 0
.LBB169_336:
	v_and_b32_e32 v6, 0xff, v16
	s_and_not1_b32 vcc_lo, exec_lo, s8
	s_cbranch_vccz .LBB169_344
; %bb.337:
	s_and_not1_b32 vcc_lo, exec_lo, s7
	s_cbranch_vccnz .LBB169_339
.LBB169_338:
	s_and_b32 s7, s10, 0xff
	s_delay_alu instid0(SALU_CYCLE_1)
	v_max_u16 v5, v6, s7
.LBB169_339:
	s_delay_alu instid0(VALU_DEP_1)
	v_perm_b32 v4, v4, v5, 0x7060004
.LBB169_340:
	s_or_b32 exec_lo, exec_lo, s6
	v_or_b32_e32 v5, 0xa00, v0
	s_mov_b32 s6, exec_lo
	s_delay_alu instid0(VALU_DEP_1)
	v_cmpx_gt_i32_e64 s1, v5
	s_cbranch_execz .LBB169_353
; %bb.341:
	s_cmp_lt_i32 s9, 1
	s_mov_b32 s7, 0
	s_cbranch_scc1 .LBB169_345
; %bb.342:
	s_cmp_eq_u32 s9, 1
	s_cbranch_scc0 .LBB169_346
; %bb.343:
	v_and_b32_e32 v5, 0xff, v15
	s_and_b32 s8, s10, 0xff
	s_delay_alu instid0(VALU_DEP_1) | instid1(SALU_CYCLE_1)
	v_min_u16 v5, v5, s8
	s_mov_b32 s8, 0
	s_branch .LBB169_347
.LBB169_344:
	s_and_b32 s7, s10, 0xff
	s_delay_alu instid0(VALU_DEP_1) | instid1(SALU_CYCLE_1)
	v_max_u16 v5, v6, s7
	s_and_b32 s7, s3, 0xff
	s_delay_alu instid0(VALU_DEP_1) | instid1(SALU_CYCLE_1)
	v_min_u16 v5, v5, s7
	s_cbranch_execz .LBB169_338
	s_branch .LBB169_339
.LBB169_345:
	s_mov_b32 s8, 0
                                        ; implicit-def: $vgpr5
	s_cbranch_execnz .LBB169_348
	s_branch .LBB169_349
.LBB169_346:
	s_mov_b32 s8, -1
                                        ; implicit-def: $vgpr5
.LBB169_347:
	s_branch .LBB169_349
.LBB169_348:
	s_cmp_lg_u32 s9, 0
	s_mov_b32 s7, -1
	s_cselect_b32 s8, -1, 0
.LBB169_349:
	v_and_b32_e32 v6, 0xff, v15
	s_and_not1_b32 vcc_lo, exec_lo, s8
	s_cbranch_vccz .LBB169_357
; %bb.350:
	s_and_not1_b32 vcc_lo, exec_lo, s7
	s_cbranch_vccnz .LBB169_352
.LBB169_351:
	s_and_b32 s7, s10, 0xff
	s_delay_alu instid0(SALU_CYCLE_1)
	v_max_u16 v5, v6, s7
.LBB169_352:
	s_delay_alu instid0(VALU_DEP_1)
	v_perm_b32 v4, v4, v5, 0x7000504
.LBB169_353:
	s_or_b32 exec_lo, exec_lo, s6
	v_or_b32_e32 v5, 0xb00, v0
	s_mov_b32 s6, exec_lo
	s_delay_alu instid0(VALU_DEP_1)
	v_cmpx_gt_i32_e64 s1, v5
	s_cbranch_execz .LBB169_366
; %bb.354:
	s_cmp_lt_i32 s9, 1
	s_mov_b32 s7, 0
	s_cbranch_scc1 .LBB169_358
; %bb.355:
	s_cmp_eq_u32 s9, 1
	s_cbranch_scc0 .LBB169_359
; %bb.356:
	v_and_b32_e32 v5, 0xff, v14
	s_and_b32 s8, s10, 0xff
	s_delay_alu instid0(VALU_DEP_1) | instid1(SALU_CYCLE_1)
	v_min_u16 v5, v5, s8
	s_mov_b32 s8, 0
	s_branch .LBB169_360
.LBB169_357:
	s_and_b32 s7, s10, 0xff
	s_delay_alu instid0(VALU_DEP_1) | instid1(SALU_CYCLE_1)
	v_max_u16 v5, v6, s7
	s_and_b32 s7, s3, 0xff
	s_delay_alu instid0(VALU_DEP_1) | instid1(SALU_CYCLE_1)
	v_min_u16 v5, v5, s7
	s_cbranch_execz .LBB169_351
	s_branch .LBB169_352
.LBB169_358:
	s_mov_b32 s8, 0
                                        ; implicit-def: $vgpr5
	s_cbranch_execnz .LBB169_361
	s_branch .LBB169_362
.LBB169_359:
	s_mov_b32 s8, -1
                                        ; implicit-def: $vgpr5
.LBB169_360:
	s_branch .LBB169_362
.LBB169_361:
	s_cmp_lg_u32 s9, 0
	s_mov_b32 s7, -1
	s_cselect_b32 s8, -1, 0
.LBB169_362:
	v_and_b32_e32 v6, 0xff, v14
	s_and_not1_b32 vcc_lo, exec_lo, s8
	s_cbranch_vccz .LBB169_370
; %bb.363:
	s_and_not1_b32 vcc_lo, exec_lo, s7
	s_cbranch_vccnz .LBB169_365
.LBB169_364:
	s_and_b32 s7, s10, 0xff
	s_delay_alu instid0(SALU_CYCLE_1)
	v_max_u16 v5, v6, s7
.LBB169_365:
	s_delay_alu instid0(VALU_DEP_1)
	v_perm_b32 v4, v4, v5, 0x60504
.LBB169_366:
	s_or_b32 exec_lo, exec_lo, s6
	v_or_b32_e32 v5, 0xc00, v0
	s_mov_b32 s6, exec_lo
	s_delay_alu instid0(VALU_DEP_1)
	v_cmpx_gt_i32_e64 s1, v5
	s_cbranch_execz .LBB169_379
; %bb.367:
	s_cmp_lt_i32 s9, 1
	s_mov_b32 s7, 0
	s_cbranch_scc1 .LBB169_371
; %bb.368:
	s_cmp_eq_u32 s9, 1
	s_cbranch_scc0 .LBB169_372
; %bb.369:
	v_and_b32_e32 v5, 0xff, v13
	s_and_b32 s8, s10, 0xff
	s_delay_alu instid0(VALU_DEP_1) | instid1(SALU_CYCLE_1)
	v_min_u16 v5, v5, s8
	s_mov_b32 s8, 0
	s_branch .LBB169_373
.LBB169_370:
	s_and_b32 s7, s10, 0xff
	s_delay_alu instid0(VALU_DEP_1) | instid1(SALU_CYCLE_1)
	v_max_u16 v5, v6, s7
	s_and_b32 s7, s3, 0xff
	s_delay_alu instid0(VALU_DEP_1) | instid1(SALU_CYCLE_1)
	v_min_u16 v5, v5, s7
	s_cbranch_execz .LBB169_364
	s_branch .LBB169_365
.LBB169_371:
	s_mov_b32 s8, 0
                                        ; implicit-def: $vgpr5
	s_cbranch_execnz .LBB169_374
	s_branch .LBB169_375
.LBB169_372:
	s_mov_b32 s8, -1
                                        ; implicit-def: $vgpr5
.LBB169_373:
	s_branch .LBB169_375
.LBB169_374:
	s_cmp_lg_u32 s9, 0
	s_mov_b32 s7, -1
	s_cselect_b32 s8, -1, 0
.LBB169_375:
	v_and_b32_e32 v6, 0xff, v13
	s_and_not1_b32 vcc_lo, exec_lo, s8
	s_cbranch_vccz .LBB169_383
; %bb.376:
	s_and_not1_b32 vcc_lo, exec_lo, s7
	s_cbranch_vccnz .LBB169_378
.LBB169_377:
	s_and_b32 s7, s10, 0xff
	s_delay_alu instid0(SALU_CYCLE_1)
	v_max_u16 v5, v6, s7
.LBB169_378:
	s_delay_alu instid0(VALU_DEP_1)
	v_perm_b32 v3, v5, v3, 0x3020104
.LBB169_379:
	s_or_b32 exec_lo, exec_lo, s6
	v_or_b32_e32 v5, 0xd00, v0
	s_mov_b32 s6, exec_lo
	s_delay_alu instid0(VALU_DEP_1)
	v_cmpx_gt_i32_e64 s1, v5
	s_cbranch_execz .LBB169_392
; %bb.380:
	s_cmp_lt_i32 s9, 1
	s_mov_b32 s7, 0
	s_cbranch_scc1 .LBB169_384
; %bb.381:
	s_cmp_eq_u32 s9, 1
	s_cbranch_scc0 .LBB169_385
; %bb.382:
	v_and_b32_e32 v5, 0xff, v12
	s_and_b32 s8, s10, 0xff
	s_delay_alu instid0(VALU_DEP_1) | instid1(SALU_CYCLE_1)
	v_min_u16 v5, v5, s8
	s_mov_b32 s8, 0
	s_branch .LBB169_386
.LBB169_383:
	s_and_b32 s7, s10, 0xff
	s_delay_alu instid0(VALU_DEP_1) | instid1(SALU_CYCLE_1)
	v_max_u16 v5, v6, s7
	s_and_b32 s7, s3, 0xff
	s_delay_alu instid0(VALU_DEP_1) | instid1(SALU_CYCLE_1)
	v_min_u16 v5, v5, s7
	s_cbranch_execz .LBB169_377
	s_branch .LBB169_378
.LBB169_384:
	s_mov_b32 s8, 0
                                        ; implicit-def: $vgpr5
	s_cbranch_execnz .LBB169_387
	s_branch .LBB169_388
.LBB169_385:
	s_mov_b32 s8, -1
                                        ; implicit-def: $vgpr5
.LBB169_386:
	s_branch .LBB169_388
.LBB169_387:
	s_cmp_lg_u32 s9, 0
	s_mov_b32 s7, -1
	s_cselect_b32 s8, -1, 0
.LBB169_388:
	v_and_b32_e32 v6, 0xff, v12
	s_and_not1_b32 vcc_lo, exec_lo, s8
	s_cbranch_vccz .LBB169_396
; %bb.389:
	s_and_not1_b32 vcc_lo, exec_lo, s7
	s_cbranch_vccnz .LBB169_391
.LBB169_390:
	s_and_b32 s7, s10, 0xff
	s_delay_alu instid0(SALU_CYCLE_1)
	v_max_u16 v5, v6, s7
.LBB169_391:
	s_delay_alu instid0(VALU_DEP_1)
	v_perm_b32 v3, v3, v5, 0x7060004
.LBB169_392:
	s_or_b32 exec_lo, exec_lo, s6
	v_or_b32_e32 v5, 0xe00, v0
	s_mov_b32 s6, exec_lo
	s_delay_alu instid0(VALU_DEP_1)
	v_cmpx_gt_i32_e64 s1, v5
	s_cbranch_execz .LBB169_405
; %bb.393:
	s_cmp_lt_i32 s9, 1
	s_mov_b32 s7, 0
	s_cbranch_scc1 .LBB169_397
; %bb.394:
	s_cmp_eq_u32 s9, 1
	s_cbranch_scc0 .LBB169_398
; %bb.395:
	v_and_b32_e32 v5, 0xff, v11
	s_and_b32 s8, s10, 0xff
	s_delay_alu instid0(VALU_DEP_1) | instid1(SALU_CYCLE_1)
	v_min_u16 v5, v5, s8
	s_mov_b32 s8, 0
	s_branch .LBB169_399
.LBB169_396:
	s_and_b32 s7, s10, 0xff
	s_delay_alu instid0(VALU_DEP_1) | instid1(SALU_CYCLE_1)
	v_max_u16 v5, v6, s7
	s_and_b32 s7, s3, 0xff
	s_delay_alu instid0(VALU_DEP_1) | instid1(SALU_CYCLE_1)
	v_min_u16 v5, v5, s7
	s_cbranch_execz .LBB169_390
	s_branch .LBB169_391
.LBB169_397:
	s_mov_b32 s8, 0
                                        ; implicit-def: $vgpr5
	s_cbranch_execnz .LBB169_400
	s_branch .LBB169_401
.LBB169_398:
	s_mov_b32 s8, -1
                                        ; implicit-def: $vgpr5
.LBB169_399:
	s_branch .LBB169_401
.LBB169_400:
	s_cmp_lg_u32 s9, 0
	s_mov_b32 s7, -1
	s_cselect_b32 s8, -1, 0
.LBB169_401:
	v_and_b32_e32 v6, 0xff, v11
	s_and_not1_b32 vcc_lo, exec_lo, s8
	s_cbranch_vccz .LBB169_409
; %bb.402:
	s_and_not1_b32 vcc_lo, exec_lo, s7
	s_cbranch_vccnz .LBB169_404
.LBB169_403:
	s_and_b32 s7, s10, 0xff
	s_delay_alu instid0(SALU_CYCLE_1)
	v_max_u16 v5, v6, s7
.LBB169_404:
	s_delay_alu instid0(VALU_DEP_1)
	v_perm_b32 v3, v3, v5, 0x7000504
.LBB169_405:
	s_or_b32 exec_lo, exec_lo, s6
	v_or_b32_e32 v5, 0xf00, v0
	s_mov_b32 s6, exec_lo
	s_delay_alu instid0(VALU_DEP_1)
	v_cmpx_gt_i32_e64 s1, v5
	s_cbranch_execz .LBB169_418
; %bb.406:
	s_cmp_lt_i32 s9, 1
	s_mov_b32 s7, 0
	s_cbranch_scc1 .LBB169_410
; %bb.407:
	s_cmp_eq_u32 s9, 1
	s_cbranch_scc0 .LBB169_411
; %bb.408:
	v_and_b32_e32 v5, 0xff, v10
	s_and_b32 s8, s10, 0xff
	s_delay_alu instid0(VALU_DEP_1) | instid1(SALU_CYCLE_1)
	v_min_u16 v5, v5, s8
	s_mov_b32 s8, 0
	s_branch .LBB169_412
.LBB169_409:
	s_and_b32 s7, s10, 0xff
	s_delay_alu instid0(VALU_DEP_1) | instid1(SALU_CYCLE_1)
	v_max_u16 v5, v6, s7
	s_and_b32 s7, s3, 0xff
	s_delay_alu instid0(VALU_DEP_1) | instid1(SALU_CYCLE_1)
	v_min_u16 v5, v5, s7
	s_cbranch_execz .LBB169_403
	s_branch .LBB169_404
.LBB169_410:
	s_mov_b32 s8, 0
                                        ; implicit-def: $vgpr5
	s_cbranch_execnz .LBB169_413
	s_branch .LBB169_414
.LBB169_411:
	s_mov_b32 s8, -1
                                        ; implicit-def: $vgpr5
.LBB169_412:
	s_branch .LBB169_414
.LBB169_413:
	s_cmp_lg_u32 s9, 0
	s_mov_b32 s7, -1
	s_cselect_b32 s8, -1, 0
.LBB169_414:
	v_and_b32_e32 v6, 0xff, v10
	s_and_not1_b32 vcc_lo, exec_lo, s8
	s_cbranch_vccz .LBB169_451
; %bb.415:
	s_and_not1_b32 vcc_lo, exec_lo, s7
	s_cbranch_vccnz .LBB169_417
.LBB169_416:
	s_and_b32 s3, s10, 0xff
	s_delay_alu instid0(SALU_CYCLE_1)
	v_max_u16 v5, v6, s3
.LBB169_417:
	s_delay_alu instid0(VALU_DEP_1)
	v_perm_b32 v3, v3, v5, 0x60504
.LBB169_418:
	s_or_b32 exec_lo, exec_lo, s6
	s_and_saveexec_b32 s3, s0
	s_delay_alu instid0(SALU_CYCLE_1)
	s_xor_b32 s0, exec_lo, s3
	s_cbranch_execz .LBB169_420
; %bb.419:
	v_mov_b32_e32 v0, v9
	global_store_b8 v8, v2, s[4:5]
.LBB169_420:
	s_wait_xcnt 0x0
	s_or_b32 exec_lo, exec_lo, s0
	s_delay_alu instid0(SALU_CYCLE_1)
	s_mov_b32 s0, exec_lo
	v_cmpx_gt_i32_e64 s1, v0
	s_cbranch_execnz .LBB169_437
; %bb.421:
	s_or_b32 exec_lo, exec_lo, s0
	s_delay_alu instid0(SALU_CYCLE_1)
	s_mov_b32 s0, exec_lo
	v_cmpx_gt_i32_e64 s1, v0
	s_cbranch_execnz .LBB169_438
.LBB169_422:
	s_or_b32 exec_lo, exec_lo, s0
	s_delay_alu instid0(SALU_CYCLE_1)
	s_mov_b32 s0, exec_lo
	v_cmpx_gt_i32_e64 s1, v0
	s_cbranch_execnz .LBB169_439
.LBB169_423:
	s_or_b32 exec_lo, exec_lo, s0
	s_delay_alu instid0(SALU_CYCLE_1)
	s_mov_b32 s0, exec_lo
	v_cmpx_gt_i32_e64 s1, v0
	s_cbranch_execnz .LBB169_440
.LBB169_424:
	s_or_b32 exec_lo, exec_lo, s0
	s_delay_alu instid0(SALU_CYCLE_1)
	s_mov_b32 s0, exec_lo
	v_cmpx_gt_i32_e64 s1, v0
	s_cbranch_execnz .LBB169_441
.LBB169_425:
	s_or_b32 exec_lo, exec_lo, s0
	s_delay_alu instid0(SALU_CYCLE_1)
	s_mov_b32 s0, exec_lo
	v_cmpx_gt_i32_e64 s1, v0
	s_cbranch_execnz .LBB169_442
.LBB169_426:
	s_or_b32 exec_lo, exec_lo, s0
	s_delay_alu instid0(SALU_CYCLE_1)
	s_mov_b32 s0, exec_lo
	v_cmpx_gt_i32_e64 s1, v0
	s_cbranch_execnz .LBB169_443
.LBB169_427:
	s_or_b32 exec_lo, exec_lo, s0
	s_delay_alu instid0(SALU_CYCLE_1)
	s_mov_b32 s0, exec_lo
	v_cmpx_gt_i32_e64 s1, v0
	s_cbranch_execnz .LBB169_444
.LBB169_428:
	s_or_b32 exec_lo, exec_lo, s0
	s_delay_alu instid0(SALU_CYCLE_1)
	s_mov_b32 s0, exec_lo
	v_cmpx_gt_i32_e64 s1, v0
	s_cbranch_execnz .LBB169_445
.LBB169_429:
	s_or_b32 exec_lo, exec_lo, s0
	s_delay_alu instid0(SALU_CYCLE_1)
	s_mov_b32 s0, exec_lo
	v_cmpx_gt_i32_e64 s1, v0
	s_cbranch_execnz .LBB169_446
.LBB169_430:
	s_or_b32 exec_lo, exec_lo, s0
	s_delay_alu instid0(SALU_CYCLE_1)
	s_mov_b32 s0, exec_lo
	v_cmpx_gt_i32_e64 s1, v0
	s_cbranch_execnz .LBB169_447
.LBB169_431:
	s_or_b32 exec_lo, exec_lo, s0
	s_delay_alu instid0(SALU_CYCLE_1)
	s_mov_b32 s0, exec_lo
	v_cmpx_gt_i32_e64 s1, v0
	s_cbranch_execnz .LBB169_448
.LBB169_432:
	s_or_b32 exec_lo, exec_lo, s0
	s_delay_alu instid0(SALU_CYCLE_1)
	s_mov_b32 s0, exec_lo
	v_cmpx_gt_i32_e64 s1, v0
	s_cbranch_execnz .LBB169_449
.LBB169_433:
	s_or_b32 exec_lo, exec_lo, s0
	s_delay_alu instid0(SALU_CYCLE_1)
	s_mov_b32 s0, exec_lo
	v_cmpx_gt_i32_e64 s1, v0
	s_cbranch_execnz .LBB169_450
.LBB169_434:
	s_or_b32 exec_lo, exec_lo, s0
	s_delay_alu instid0(SALU_CYCLE_1)
	s_mov_b32 s0, exec_lo
	v_cmpx_gt_i32_e64 s1, v0
	s_cbranch_execz .LBB169_436
.LBB169_435:
	v_dual_lshrrev_b32 v1, 24, v3 :: v_dual_add_nc_u32 v0, s2, v0
	global_store_b8 v0, v1, s[4:5]
.LBB169_436:
	s_endpgm
.LBB169_437:
	v_dual_lshrrev_b32 v5, 8, v2 :: v_dual_add_nc_u32 v6, s2, v0
	v_add_nc_u32_e32 v0, 0x100, v0
	global_store_b8 v6, v5, s[4:5]
	s_wait_xcnt 0x0
	s_or_b32 exec_lo, exec_lo, s0
	s_delay_alu instid0(SALU_CYCLE_1)
	s_mov_b32 s0, exec_lo
	v_cmpx_gt_i32_e64 s1, v0
	s_cbranch_execz .LBB169_422
.LBB169_438:
	v_add_nc_u32_e32 v5, s2, v0
	v_add_nc_u32_e32 v0, 0x100, v0
	global_store_d16_hi_b8 v5, v2, s[4:5]
	s_wait_xcnt 0x0
	s_or_b32 exec_lo, exec_lo, s0
	s_delay_alu instid0(SALU_CYCLE_1)
	s_mov_b32 s0, exec_lo
	v_cmpx_gt_i32_e64 s1, v0
	s_cbranch_execz .LBB169_423
.LBB169_439:
	v_dual_lshrrev_b32 v2, 24, v2 :: v_dual_add_nc_u32 v5, s2, v0
	v_add_nc_u32_e32 v0, 0x100, v0
	global_store_b8 v5, v2, s[4:5]
	s_wait_xcnt 0x0
	s_or_b32 exec_lo, exec_lo, s0
	s_delay_alu instid0(SALU_CYCLE_1)
	s_mov_b32 s0, exec_lo
	v_cmpx_gt_i32_e64 s1, v0
	s_cbranch_execz .LBB169_424
.LBB169_440:
	v_add_nc_u32_e32 v2, s2, v0
	v_add_nc_u32_e32 v0, 0x100, v0
	global_store_b8 v2, v1, s[4:5]
	s_wait_xcnt 0x0
	s_or_b32 exec_lo, exec_lo, s0
	s_delay_alu instid0(SALU_CYCLE_1)
	s_mov_b32 s0, exec_lo
	v_cmpx_gt_i32_e64 s1, v0
	s_cbranch_execz .LBB169_425
.LBB169_441:
	v_dual_lshrrev_b32 v2, 8, v1 :: v_dual_add_nc_u32 v5, s2, v0
	v_add_nc_u32_e32 v0, 0x100, v0
	global_store_b8 v5, v2, s[4:5]
	s_wait_xcnt 0x0
	s_or_b32 exec_lo, exec_lo, s0
	s_delay_alu instid0(SALU_CYCLE_1)
	s_mov_b32 s0, exec_lo
	v_cmpx_gt_i32_e64 s1, v0
	s_cbranch_execz .LBB169_426
.LBB169_442:
	v_add_nc_u32_e32 v2, s2, v0
	v_add_nc_u32_e32 v0, 0x100, v0
	global_store_d16_hi_b8 v2, v1, s[4:5]
	s_wait_xcnt 0x0
	s_or_b32 exec_lo, exec_lo, s0
	s_delay_alu instid0(SALU_CYCLE_1)
	s_mov_b32 s0, exec_lo
	v_cmpx_gt_i32_e64 s1, v0
	s_cbranch_execz .LBB169_427
.LBB169_443:
	v_dual_lshrrev_b32 v1, 24, v1 :: v_dual_add_nc_u32 v2, s2, v0
	v_add_nc_u32_e32 v0, 0x100, v0
	global_store_b8 v2, v1, s[4:5]
	s_wait_xcnt 0x0
	s_or_b32 exec_lo, exec_lo, s0
	s_delay_alu instid0(SALU_CYCLE_1)
	s_mov_b32 s0, exec_lo
	v_cmpx_gt_i32_e64 s1, v0
	s_cbranch_execz .LBB169_428
.LBB169_444:
	v_add_nc_u32_e32 v1, s2, v0
	v_add_nc_u32_e32 v0, 0x100, v0
	global_store_b8 v1, v4, s[4:5]
	s_wait_xcnt 0x0
	s_or_b32 exec_lo, exec_lo, s0
	s_delay_alu instid0(SALU_CYCLE_1)
	s_mov_b32 s0, exec_lo
	v_cmpx_gt_i32_e64 s1, v0
	s_cbranch_execz .LBB169_429
.LBB169_445:
	v_lshrrev_b32_e32 v1, 8, v4
	v_add_nc_u32_e32 v2, s2, v0
	v_add_nc_u32_e32 v0, 0x100, v0
	global_store_b8 v2, v1, s[4:5]
	s_wait_xcnt 0x0
	s_or_b32 exec_lo, exec_lo, s0
	s_delay_alu instid0(SALU_CYCLE_1)
	s_mov_b32 s0, exec_lo
	v_cmpx_gt_i32_e64 s1, v0
	s_cbranch_execz .LBB169_430
.LBB169_446:
	v_add_nc_u32_e32 v1, s2, v0
	v_add_nc_u32_e32 v0, 0x100, v0
	global_store_d16_hi_b8 v1, v4, s[4:5]
	s_wait_xcnt 0x0
	s_or_b32 exec_lo, exec_lo, s0
	s_delay_alu instid0(SALU_CYCLE_1)
	s_mov_b32 s0, exec_lo
	v_cmpx_gt_i32_e64 s1, v0
	s_cbranch_execz .LBB169_431
.LBB169_447:
	v_lshrrev_b32_e32 v1, 24, v4
	v_add_nc_u32_e32 v2, s2, v0
	v_add_nc_u32_e32 v0, 0x100, v0
	global_store_b8 v2, v1, s[4:5]
	s_wait_xcnt 0x0
	s_or_b32 exec_lo, exec_lo, s0
	s_delay_alu instid0(SALU_CYCLE_1)
	s_mov_b32 s0, exec_lo
	v_cmpx_gt_i32_e64 s1, v0
	s_cbranch_execz .LBB169_432
.LBB169_448:
	v_add_nc_u32_e32 v1, s2, v0
	v_add_nc_u32_e32 v0, 0x100, v0
	global_store_b8 v1, v3, s[4:5]
	s_wait_xcnt 0x0
	s_or_b32 exec_lo, exec_lo, s0
	s_delay_alu instid0(SALU_CYCLE_1)
	s_mov_b32 s0, exec_lo
	v_cmpx_gt_i32_e64 s1, v0
	s_cbranch_execz .LBB169_433
.LBB169_449:
	v_dual_lshrrev_b32 v1, 8, v3 :: v_dual_add_nc_u32 v2, s2, v0
	v_add_nc_u32_e32 v0, 0x100, v0
	global_store_b8 v2, v1, s[4:5]
	s_wait_xcnt 0x0
	s_or_b32 exec_lo, exec_lo, s0
	s_delay_alu instid0(SALU_CYCLE_1)
	s_mov_b32 s0, exec_lo
	v_cmpx_gt_i32_e64 s1, v0
	s_cbranch_execz .LBB169_434
.LBB169_450:
	v_add_nc_u32_e32 v1, s2, v0
	v_add_nc_u32_e32 v0, 0x100, v0
	global_store_d16_hi_b8 v1, v3, s[4:5]
	s_wait_xcnt 0x0
	s_or_b32 exec_lo, exec_lo, s0
	s_delay_alu instid0(SALU_CYCLE_1)
	s_mov_b32 s0, exec_lo
	v_cmpx_gt_i32_e64 s1, v0
	s_cbranch_execnz .LBB169_435
	s_branch .LBB169_436
.LBB169_451:
	s_and_b32 s7, s10, 0xff
	s_and_b32 s3, s3, 0xff
	v_max_u16 v5, v6, s7
	s_delay_alu instid0(VALU_DEP_1)
	v_min_u16 v5, v5, s3
	s_cbranch_execz .LBB169_416
	s_branch .LBB169_417
	.section	.rodata,"a",@progbits
	.p2align	6, 0x0
	.amdhsa_kernel _ZN2at6native29vectorized_elementwise_kernelILi8EZZZNS0_12_GLOBAL__N_119launch_clamp_scalarERNS_18TensorIteratorBaseEN3c106ScalarES6_NS0_6detail11ClampLimitsEENKUlvE_clEvENKUlvE_clEvEUlhE_St5arrayIPcLm2EEEEviT0_T1_
		.amdhsa_group_segment_fixed_size 0
		.amdhsa_private_segment_fixed_size 0
		.amdhsa_kernarg_size 32
		.amdhsa_user_sgpr_count 2
		.amdhsa_user_sgpr_dispatch_ptr 0
		.amdhsa_user_sgpr_queue_ptr 0
		.amdhsa_user_sgpr_kernarg_segment_ptr 1
		.amdhsa_user_sgpr_dispatch_id 0
		.amdhsa_user_sgpr_kernarg_preload_length 0
		.amdhsa_user_sgpr_kernarg_preload_offset 0
		.amdhsa_user_sgpr_private_segment_size 0
		.amdhsa_wavefront_size32 1
		.amdhsa_uses_dynamic_stack 0
		.amdhsa_enable_private_segment 0
		.amdhsa_system_sgpr_workgroup_id_x 1
		.amdhsa_system_sgpr_workgroup_id_y 0
		.amdhsa_system_sgpr_workgroup_id_z 0
		.amdhsa_system_sgpr_workgroup_info 0
		.amdhsa_system_vgpr_workitem_id 0
		.amdhsa_next_free_vgpr 24
		.amdhsa_next_free_sgpr 23
		.amdhsa_named_barrier_count 0
		.amdhsa_reserve_vcc 1
		.amdhsa_float_round_mode_32 0
		.amdhsa_float_round_mode_16_64 0
		.amdhsa_float_denorm_mode_32 3
		.amdhsa_float_denorm_mode_16_64 3
		.amdhsa_fp16_overflow 0
		.amdhsa_memory_ordered 1
		.amdhsa_forward_progress 1
		.amdhsa_inst_pref_size 75
		.amdhsa_round_robin_scheduling 0
		.amdhsa_exception_fp_ieee_invalid_op 0
		.amdhsa_exception_fp_denorm_src 0
		.amdhsa_exception_fp_ieee_div_zero 0
		.amdhsa_exception_fp_ieee_overflow 0
		.amdhsa_exception_fp_ieee_underflow 0
		.amdhsa_exception_fp_ieee_inexact 0
		.amdhsa_exception_int_div_zero 0
	.end_amdhsa_kernel
	.section	.text._ZN2at6native29vectorized_elementwise_kernelILi8EZZZNS0_12_GLOBAL__N_119launch_clamp_scalarERNS_18TensorIteratorBaseEN3c106ScalarES6_NS0_6detail11ClampLimitsEENKUlvE_clEvENKUlvE_clEvEUlhE_St5arrayIPcLm2EEEEviT0_T1_,"axG",@progbits,_ZN2at6native29vectorized_elementwise_kernelILi8EZZZNS0_12_GLOBAL__N_119launch_clamp_scalarERNS_18TensorIteratorBaseEN3c106ScalarES6_NS0_6detail11ClampLimitsEENKUlvE_clEvENKUlvE_clEvEUlhE_St5arrayIPcLm2EEEEviT0_T1_,comdat
.Lfunc_end169:
	.size	_ZN2at6native29vectorized_elementwise_kernelILi8EZZZNS0_12_GLOBAL__N_119launch_clamp_scalarERNS_18TensorIteratorBaseEN3c106ScalarES6_NS0_6detail11ClampLimitsEENKUlvE_clEvENKUlvE_clEvEUlhE_St5arrayIPcLm2EEEEviT0_T1_, .Lfunc_end169-_ZN2at6native29vectorized_elementwise_kernelILi8EZZZNS0_12_GLOBAL__N_119launch_clamp_scalarERNS_18TensorIteratorBaseEN3c106ScalarES6_NS0_6detail11ClampLimitsEENKUlvE_clEvENKUlvE_clEvEUlhE_St5arrayIPcLm2EEEEviT0_T1_
                                        ; -- End function
	.set _ZN2at6native29vectorized_elementwise_kernelILi8EZZZNS0_12_GLOBAL__N_119launch_clamp_scalarERNS_18TensorIteratorBaseEN3c106ScalarES6_NS0_6detail11ClampLimitsEENKUlvE_clEvENKUlvE_clEvEUlhE_St5arrayIPcLm2EEEEviT0_T1_.num_vgpr, 24
	.set _ZN2at6native29vectorized_elementwise_kernelILi8EZZZNS0_12_GLOBAL__N_119launch_clamp_scalarERNS_18TensorIteratorBaseEN3c106ScalarES6_NS0_6detail11ClampLimitsEENKUlvE_clEvENKUlvE_clEvEUlhE_St5arrayIPcLm2EEEEviT0_T1_.num_agpr, 0
	.set _ZN2at6native29vectorized_elementwise_kernelILi8EZZZNS0_12_GLOBAL__N_119launch_clamp_scalarERNS_18TensorIteratorBaseEN3c106ScalarES6_NS0_6detail11ClampLimitsEENKUlvE_clEvENKUlvE_clEvEUlhE_St5arrayIPcLm2EEEEviT0_T1_.numbered_sgpr, 23
	.set _ZN2at6native29vectorized_elementwise_kernelILi8EZZZNS0_12_GLOBAL__N_119launch_clamp_scalarERNS_18TensorIteratorBaseEN3c106ScalarES6_NS0_6detail11ClampLimitsEENKUlvE_clEvENKUlvE_clEvEUlhE_St5arrayIPcLm2EEEEviT0_T1_.num_named_barrier, 0
	.set _ZN2at6native29vectorized_elementwise_kernelILi8EZZZNS0_12_GLOBAL__N_119launch_clamp_scalarERNS_18TensorIteratorBaseEN3c106ScalarES6_NS0_6detail11ClampLimitsEENKUlvE_clEvENKUlvE_clEvEUlhE_St5arrayIPcLm2EEEEviT0_T1_.private_seg_size, 0
	.set _ZN2at6native29vectorized_elementwise_kernelILi8EZZZNS0_12_GLOBAL__N_119launch_clamp_scalarERNS_18TensorIteratorBaseEN3c106ScalarES6_NS0_6detail11ClampLimitsEENKUlvE_clEvENKUlvE_clEvEUlhE_St5arrayIPcLm2EEEEviT0_T1_.uses_vcc, 1
	.set _ZN2at6native29vectorized_elementwise_kernelILi8EZZZNS0_12_GLOBAL__N_119launch_clamp_scalarERNS_18TensorIteratorBaseEN3c106ScalarES6_NS0_6detail11ClampLimitsEENKUlvE_clEvENKUlvE_clEvEUlhE_St5arrayIPcLm2EEEEviT0_T1_.uses_flat_scratch, 0
	.set _ZN2at6native29vectorized_elementwise_kernelILi8EZZZNS0_12_GLOBAL__N_119launch_clamp_scalarERNS_18TensorIteratorBaseEN3c106ScalarES6_NS0_6detail11ClampLimitsEENKUlvE_clEvENKUlvE_clEvEUlhE_St5arrayIPcLm2EEEEviT0_T1_.has_dyn_sized_stack, 0
	.set _ZN2at6native29vectorized_elementwise_kernelILi8EZZZNS0_12_GLOBAL__N_119launch_clamp_scalarERNS_18TensorIteratorBaseEN3c106ScalarES6_NS0_6detail11ClampLimitsEENKUlvE_clEvENKUlvE_clEvEUlhE_St5arrayIPcLm2EEEEviT0_T1_.has_recursion, 0
	.set _ZN2at6native29vectorized_elementwise_kernelILi8EZZZNS0_12_GLOBAL__N_119launch_clamp_scalarERNS_18TensorIteratorBaseEN3c106ScalarES6_NS0_6detail11ClampLimitsEENKUlvE_clEvENKUlvE_clEvEUlhE_St5arrayIPcLm2EEEEviT0_T1_.has_indirect_call, 0
	.section	.AMDGPU.csdata,"",@progbits
; Kernel info:
; codeLenInByte = 9592
; TotalNumSgprs: 25
; NumVgprs: 24
; ScratchSize: 0
; MemoryBound: 0
; FloatMode: 240
; IeeeMode: 1
; LDSByteSize: 0 bytes/workgroup (compile time only)
; SGPRBlocks: 0
; VGPRBlocks: 1
; NumSGPRsForWavesPerEU: 25
; NumVGPRsForWavesPerEU: 24
; NamedBarCnt: 0
; Occupancy: 16
; WaveLimiterHint : 1
; COMPUTE_PGM_RSRC2:SCRATCH_EN: 0
; COMPUTE_PGM_RSRC2:USER_SGPR: 2
; COMPUTE_PGM_RSRC2:TRAP_HANDLER: 0
; COMPUTE_PGM_RSRC2:TGID_X_EN: 1
; COMPUTE_PGM_RSRC2:TGID_Y_EN: 0
; COMPUTE_PGM_RSRC2:TGID_Z_EN: 0
; COMPUTE_PGM_RSRC2:TIDIG_COMP_CNT: 0
	.section	.text._ZN2at6native29vectorized_elementwise_kernelILi4EZZZNS0_12_GLOBAL__N_119launch_clamp_scalarERNS_18TensorIteratorBaseEN3c106ScalarES6_NS0_6detail11ClampLimitsEENKUlvE_clEvENKUlvE_clEvEUlhE_St5arrayIPcLm2EEEEviT0_T1_,"axG",@progbits,_ZN2at6native29vectorized_elementwise_kernelILi4EZZZNS0_12_GLOBAL__N_119launch_clamp_scalarERNS_18TensorIteratorBaseEN3c106ScalarES6_NS0_6detail11ClampLimitsEENKUlvE_clEvENKUlvE_clEvEUlhE_St5arrayIPcLm2EEEEviT0_T1_,comdat
	.globl	_ZN2at6native29vectorized_elementwise_kernelILi4EZZZNS0_12_GLOBAL__N_119launch_clamp_scalarERNS_18TensorIteratorBaseEN3c106ScalarES6_NS0_6detail11ClampLimitsEENKUlvE_clEvENKUlvE_clEvEUlhE_St5arrayIPcLm2EEEEviT0_T1_ ; -- Begin function _ZN2at6native29vectorized_elementwise_kernelILi4EZZZNS0_12_GLOBAL__N_119launch_clamp_scalarERNS_18TensorIteratorBaseEN3c106ScalarES6_NS0_6detail11ClampLimitsEENKUlvE_clEvENKUlvE_clEvEUlhE_St5arrayIPcLm2EEEEviT0_T1_
	.p2align	8
	.type	_ZN2at6native29vectorized_elementwise_kernelILi4EZZZNS0_12_GLOBAL__N_119launch_clamp_scalarERNS_18TensorIteratorBaseEN3c106ScalarES6_NS0_6detail11ClampLimitsEENKUlvE_clEvENKUlvE_clEvEUlhE_St5arrayIPcLm2EEEEviT0_T1_,@function
_ZN2at6native29vectorized_elementwise_kernelILi4EZZZNS0_12_GLOBAL__N_119launch_clamp_scalarERNS_18TensorIteratorBaseEN3c106ScalarES6_NS0_6detail11ClampLimitsEENKUlvE_clEvENKUlvE_clEvEUlhE_St5arrayIPcLm2EEEEviT0_T1_: ; @_ZN2at6native29vectorized_elementwise_kernelILi4EZZZNS0_12_GLOBAL__N_119launch_clamp_scalarERNS_18TensorIteratorBaseEN3c106ScalarES6_NS0_6detail11ClampLimitsEENKUlvE_clEvENKUlvE_clEvEUlhE_St5arrayIPcLm2EEEEviT0_T1_
; %bb.0:
	s_clause 0x1
	s_load_b96 s[8:10], s[0:1], 0x0
	s_load_b128 s[4:7], s[0:1], 0x10
	s_wait_xcnt 0x0
	s_bfe_u32 s0, ttmp6, 0x4000c
	s_and_b32 s1, ttmp6, 15
	s_add_co_i32 s0, s0, 1
	s_getreg_b32 s2, hwreg(HW_REG_IB_STS2, 6, 4)
	s_mul_i32 s0, ttmp9, s0
	s_mov_b32 s3, -1
	s_add_co_i32 s1, s1, s0
	s_cmp_eq_u32 s2, 0
	s_cselect_b32 s0, ttmp9, s1
	s_delay_alu instid0(SALU_CYCLE_1) | instskip(SKIP_3) | instid1(SALU_CYCLE_1)
	s_lshl_b32 s2, s0, 12
	s_mov_b32 s0, 0
	s_wait_kmcnt 0x0
	s_sub_co_i32 s1, s8, s2
	s_cmp_gt_i32 s1, 0xfff
	s_cbranch_scc0 .LBB170_177
; %bb.1:
	s_ashr_i32 s3, s2, 31
	s_cmp_lt_i32 s9, 1
	s_add_nc_u64 s[12:13], s[6:7], s[2:3]
	s_clause 0x3
	global_load_b32 v5, v0, s[12:13] scale_offset
	global_load_b32 v10, v0, s[12:13] offset:1024 scale_offset
	global_load_b32 v7, v0, s[12:13] offset:2048 scale_offset
	;; [unrolled: 1-line block ×3, first 2 shown]
	s_cbranch_scc1 .LBB170_4
; %bb.2:
	s_cmp_eq_u32 s9, 1
	s_cbranch_scc0 .LBB170_5
; %bb.3:
	s_wait_loadcnt 0x3
	v_and_b32_e32 v1, 0xff, v5
	s_and_b32 s0, s10, 0xff
	s_delay_alu instid0(VALU_DEP_1) | instid1(SALU_CYCLE_1)
	v_min_u16 v1, v1, s0
	s_mov_b32 s0, 0
	s_branch .LBB170_6
.LBB170_4:
                                        ; implicit-def: $vgpr1
	s_mov_b32 s8, 0
	s_cbranch_execnz .LBB170_7
	s_branch .LBB170_8
.LBB170_5:
	s_mov_b32 s0, -1
                                        ; implicit-def: $vgpr1
.LBB170_6:
	s_mov_b32 s8, 0
	s_branch .LBB170_8
.LBB170_7:
	s_cmp_lg_u32 s9, 0
	s_mov_b32 s8, -1
	s_cselect_b32 s0, -1, 0
.LBB170_8:
	s_wait_loadcnt 0x3
	v_and_b32_e32 v3, 0xff, v5
	s_and_not1_b32 vcc_lo, exec_lo, s0
	s_lshr_b32 s0, s10, 8
	s_cbranch_vccz .LBB170_13
; %bb.9:
	s_and_not1_b32 vcc_lo, exec_lo, s8
	s_cbranch_vccz .LBB170_14
.LBB170_10:
	v_lshrrev_b32_e32 v4, 8, v5
	s_cmp_lt_i32 s9, 1
	s_mov_b32 s8, 0
	s_cbranch_scc1 .LBB170_15
.LBB170_11:
	s_cmp_eq_u32 s9, 1
	s_cbranch_scc0 .LBB170_16
; %bb.12:
	v_and_b32_e32 v3, 0xff, v4
	s_and_b32 s11, s10, 0xff
	s_delay_alu instid0(VALU_DEP_1) | instid1(SALU_CYCLE_1)
	v_min_u16 v3, v3, s11
	s_mov_b32 s11, 0
	s_branch .LBB170_17
.LBB170_13:
	s_and_b32 s8, s10, 0xff
	s_delay_alu instid0(SALU_CYCLE_1)
	v_max_u16 v1, v3, s8
	s_and_b32 s8, s0, 0xff
	s_delay_alu instid0(VALU_DEP_1) | instid1(SALU_CYCLE_1)
	v_min_u16 v1, v1, s8
	s_cbranch_execnz .LBB170_10
.LBB170_14:
	s_and_b32 s8, s10, 0xff
	s_delay_alu instid0(SALU_CYCLE_1)
	v_max_u16 v1, v3, s8
	v_lshrrev_b32_e32 v4, 8, v5
	s_cmp_lt_i32 s9, 1
	s_mov_b32 s8, 0
	s_cbranch_scc0 .LBB170_11
.LBB170_15:
	s_wait_xcnt 0x0
	s_mov_b32 s11, 0
                                        ; implicit-def: $vgpr3
	s_cbranch_execnz .LBB170_18
	s_branch .LBB170_19
.LBB170_16:
	s_mov_b32 s11, -1
                                        ; implicit-def: $vgpr3
.LBB170_17:
	s_wait_xcnt 0x0
	s_branch .LBB170_19
.LBB170_18:
	s_cmp_lg_u32 s9, 0
	s_mov_b32 s8, -1
	s_cselect_b32 s11, -1, 0
.LBB170_19:
	v_and_b32_e32 v4, 0xff, v4
	s_and_not1_b32 vcc_lo, exec_lo, s11
	s_cbranch_vccz .LBB170_24
; %bb.20:
	s_and_not1_b32 vcc_lo, exec_lo, s8
	s_cbranch_vccz .LBB170_25
.LBB170_21:
	v_lshrrev_b32_e32 v6, 16, v5
	s_cmp_lt_i32 s9, 1
	s_mov_b32 s8, 0
	s_cbranch_scc1 .LBB170_26
.LBB170_22:
	s_cmp_eq_u32 s9, 1
	s_cbranch_scc0 .LBB170_27
; %bb.23:
	v_and_b32_e32 v4, 0xff, v6
	s_and_b32 s11, s10, 0xff
	s_delay_alu instid0(VALU_DEP_1) | instid1(SALU_CYCLE_1)
	v_min_u16 v4, v4, s11
	s_mov_b32 s11, 0
	s_branch .LBB170_28
.LBB170_24:
	s_and_b32 s8, s10, 0xff
	s_delay_alu instid0(VALU_DEP_1) | instid1(SALU_CYCLE_1)
	v_max_u16 v3, v4, s8
	s_and_b32 s8, s0, 0xff
	s_delay_alu instid0(VALU_DEP_1) | instid1(SALU_CYCLE_1)
	v_min_u16 v3, v3, s8
	s_cbranch_execnz .LBB170_21
.LBB170_25:
	s_and_b32 s8, s10, 0xff
	s_delay_alu instid0(SALU_CYCLE_1)
	v_max_u16 v3, v4, s8
	v_lshrrev_b32_e32 v6, 16, v5
	s_cmp_lt_i32 s9, 1
	s_mov_b32 s8, 0
	s_cbranch_scc0 .LBB170_22
.LBB170_26:
	s_mov_b32 s11, 0
                                        ; implicit-def: $vgpr4
	s_cbranch_execnz .LBB170_29
	s_branch .LBB170_30
.LBB170_27:
	s_mov_b32 s11, -1
                                        ; implicit-def: $vgpr4
.LBB170_28:
	s_branch .LBB170_30
.LBB170_29:
	s_cmp_lg_u32 s9, 0
	s_mov_b32 s8, -1
	s_cselect_b32 s11, -1, 0
.LBB170_30:
	v_and_b32_e32 v6, 0xff, v6
	s_and_not1_b32 vcc_lo, exec_lo, s11
	s_cbranch_vccz .LBB170_35
; %bb.31:
	s_and_not1_b32 vcc_lo, exec_lo, s8
	s_cbranch_vccz .LBB170_36
.LBB170_32:
	v_lshrrev_b32_e32 v6, 24, v5
	s_cmp_lt_i32 s9, 1
	s_mov_b32 s8, 0
	s_cbranch_scc1 .LBB170_37
.LBB170_33:
	s_cmp_eq_u32 s9, 1
	s_cbranch_scc0 .LBB170_38
; %bb.34:
	s_and_b32 s11, s10, 0xff
	s_delay_alu instid0(SALU_CYCLE_1)
	v_min_u16 v5, v6, s11
	s_mov_b32 s11, 0
	s_branch .LBB170_39
.LBB170_35:
	s_and_b32 s8, s10, 0xff
	s_delay_alu instid0(VALU_DEP_1) | instid1(SALU_CYCLE_1)
	v_max_u16 v4, v6, s8
	s_and_b32 s8, s0, 0xff
	s_delay_alu instid0(VALU_DEP_1) | instid1(SALU_CYCLE_1)
	v_min_u16 v4, v4, s8
	s_cbranch_execnz .LBB170_32
.LBB170_36:
	s_and_b32 s8, s10, 0xff
	s_delay_alu instid0(SALU_CYCLE_1)
	v_max_u16 v4, v6, s8
	v_lshrrev_b32_e32 v6, 24, v5
	s_cmp_lt_i32 s9, 1
	s_mov_b32 s8, 0
	s_cbranch_scc0 .LBB170_33
.LBB170_37:
	s_mov_b32 s11, 0
                                        ; implicit-def: $vgpr5
	s_cbranch_execnz .LBB170_40
	s_branch .LBB170_41
.LBB170_38:
	s_mov_b32 s11, -1
                                        ; implicit-def: $vgpr5
.LBB170_39:
	s_branch .LBB170_41
.LBB170_40:
	s_cmp_lg_u32 s9, 0
	s_mov_b32 s8, -1
	s_cselect_b32 s11, -1, 0
.LBB170_41:
	s_delay_alu instid0(SALU_CYCLE_1)
	s_and_not1_b32 vcc_lo, exec_lo, s11
	s_cbranch_vccz .LBB170_46
; %bb.42:
	s_and_not1_b32 vcc_lo, exec_lo, s8
	s_cbranch_vccz .LBB170_47
.LBB170_43:
	s_cmp_lt_i32 s9, 1
	s_mov_b32 s8, 0
	s_cbranch_scc1 .LBB170_48
.LBB170_44:
	s_cmp_eq_u32 s9, 1
	s_cbranch_scc0 .LBB170_49
; %bb.45:
	s_wait_loadcnt 0x2
	v_and_b32_e32 v6, 0xff, v10
	s_and_b32 s11, s10, 0xff
	s_delay_alu instid0(VALU_DEP_1) | instid1(SALU_CYCLE_1)
	v_min_u16 v6, v6, s11
	s_mov_b32 s11, 0
	s_branch .LBB170_50
.LBB170_46:
	s_and_b32 s8, s10, 0xff
	s_delay_alu instid0(SALU_CYCLE_1)
	v_max_u16 v5, v6, s8
	s_and_b32 s8, s0, 0xff
	s_delay_alu instid0(VALU_DEP_1) | instid1(SALU_CYCLE_1)
	v_min_u16 v5, v5, s8
	s_cbranch_execnz .LBB170_43
.LBB170_47:
	s_and_b32 s8, s10, 0xff
	s_delay_alu instid0(SALU_CYCLE_1)
	v_max_u16 v5, v6, s8
	s_cmp_lt_i32 s9, 1
	s_mov_b32 s8, 0
	s_cbranch_scc0 .LBB170_44
.LBB170_48:
	s_mov_b32 s11, 0
                                        ; implicit-def: $vgpr6
	s_cbranch_execnz .LBB170_51
	s_branch .LBB170_52
.LBB170_49:
	s_mov_b32 s11, -1
                                        ; implicit-def: $vgpr6
.LBB170_50:
	s_branch .LBB170_52
.LBB170_51:
	s_cmp_lg_u32 s9, 0
	s_mov_b32 s8, -1
	s_cselect_b32 s11, -1, 0
.LBB170_52:
	s_wait_loadcnt 0x2
	v_and_b32_e32 v8, 0xff, v10
	s_and_not1_b32 vcc_lo, exec_lo, s11
	s_cbranch_vccz .LBB170_57
; %bb.53:
	s_and_not1_b32 vcc_lo, exec_lo, s8
	s_cbranch_vccz .LBB170_58
.LBB170_54:
	v_lshrrev_b32_e32 v9, 8, v10
	s_cmp_lt_i32 s9, 1
	s_mov_b32 s8, 0
	s_cbranch_scc1 .LBB170_59
.LBB170_55:
	s_cmp_eq_u32 s9, 1
	s_cbranch_scc0 .LBB170_60
; %bb.56:
	v_and_b32_e32 v8, 0xff, v9
	s_and_b32 s11, s10, 0xff
	s_delay_alu instid0(VALU_DEP_1) | instid1(SALU_CYCLE_1)
	v_min_u16 v8, v8, s11
	s_mov_b32 s11, 0
	s_branch .LBB170_61
.LBB170_57:
	s_and_b32 s8, s10, 0xff
	s_delay_alu instid0(VALU_DEP_1) | instid1(SALU_CYCLE_1)
	v_max_u16 v6, v8, s8
	s_and_b32 s8, s0, 0xff
	s_delay_alu instid0(VALU_DEP_1) | instid1(SALU_CYCLE_1)
	v_min_u16 v6, v6, s8
	s_cbranch_execnz .LBB170_54
.LBB170_58:
	s_and_b32 s8, s10, 0xff
	s_delay_alu instid0(SALU_CYCLE_1)
	v_max_u16 v6, v8, s8
	v_lshrrev_b32_e32 v9, 8, v10
	s_cmp_lt_i32 s9, 1
	s_mov_b32 s8, 0
	s_cbranch_scc0 .LBB170_55
.LBB170_59:
	s_mov_b32 s11, 0
                                        ; implicit-def: $vgpr8
	s_cbranch_execnz .LBB170_62
	s_branch .LBB170_63
.LBB170_60:
	s_mov_b32 s11, -1
                                        ; implicit-def: $vgpr8
.LBB170_61:
	s_branch .LBB170_63
.LBB170_62:
	s_cmp_lg_u32 s9, 0
	s_mov_b32 s8, -1
	s_cselect_b32 s11, -1, 0
.LBB170_63:
	v_and_b32_e32 v9, 0xff, v9
	s_and_not1_b32 vcc_lo, exec_lo, s11
	s_cbranch_vccz .LBB170_68
; %bb.64:
	s_and_not1_b32 vcc_lo, exec_lo, s8
	s_cbranch_vccz .LBB170_69
.LBB170_65:
	v_lshrrev_b32_e32 v11, 16, v10
	s_cmp_lt_i32 s9, 1
	s_mov_b32 s8, 0
	s_cbranch_scc1 .LBB170_70
.LBB170_66:
	s_cmp_eq_u32 s9, 1
	s_cbranch_scc0 .LBB170_71
; %bb.67:
	v_and_b32_e32 v9, 0xff, v11
	s_and_b32 s11, s10, 0xff
	s_delay_alu instid0(VALU_DEP_1) | instid1(SALU_CYCLE_1)
	v_min_u16 v9, v9, s11
	s_mov_b32 s11, 0
	s_branch .LBB170_72
.LBB170_68:
	s_and_b32 s8, s10, 0xff
	s_delay_alu instid0(VALU_DEP_1) | instid1(SALU_CYCLE_1)
	v_max_u16 v8, v9, s8
	s_and_b32 s8, s0, 0xff
	s_delay_alu instid0(VALU_DEP_1) | instid1(SALU_CYCLE_1)
	v_min_u16 v8, v8, s8
	s_cbranch_execnz .LBB170_65
.LBB170_69:
	s_and_b32 s8, s10, 0xff
	s_delay_alu instid0(SALU_CYCLE_1)
	v_max_u16 v8, v9, s8
	v_lshrrev_b32_e32 v11, 16, v10
	s_cmp_lt_i32 s9, 1
	s_mov_b32 s8, 0
	s_cbranch_scc0 .LBB170_66
.LBB170_70:
	s_mov_b32 s11, 0
                                        ; implicit-def: $vgpr9
	s_cbranch_execnz .LBB170_73
	s_branch .LBB170_74
.LBB170_71:
	s_mov_b32 s11, -1
                                        ; implicit-def: $vgpr9
.LBB170_72:
	s_branch .LBB170_74
.LBB170_73:
	s_cmp_lg_u32 s9, 0
	s_mov_b32 s8, -1
	s_cselect_b32 s11, -1, 0
.LBB170_74:
	v_and_b32_e32 v11, 0xff, v11
	s_and_not1_b32 vcc_lo, exec_lo, s11
	s_cbranch_vccz .LBB170_79
; %bb.75:
	s_and_not1_b32 vcc_lo, exec_lo, s8
	s_cbranch_vccz .LBB170_80
.LBB170_76:
	v_lshrrev_b32_e32 v11, 24, v10
	s_cmp_lt_i32 s9, 1
	s_mov_b32 s8, 0
	s_cbranch_scc1 .LBB170_81
.LBB170_77:
	s_cmp_eq_u32 s9, 1
	s_cbranch_scc0 .LBB170_82
; %bb.78:
	s_and_b32 s11, s10, 0xff
	s_delay_alu instid0(SALU_CYCLE_1)
	v_min_u16 v10, v11, s11
	s_mov_b32 s11, 0
	s_branch .LBB170_83
.LBB170_79:
	s_and_b32 s8, s10, 0xff
	s_delay_alu instid0(VALU_DEP_1) | instid1(SALU_CYCLE_1)
	v_max_u16 v9, v11, s8
	s_and_b32 s8, s0, 0xff
	s_delay_alu instid0(VALU_DEP_1) | instid1(SALU_CYCLE_1)
	v_min_u16 v9, v9, s8
	s_cbranch_execnz .LBB170_76
.LBB170_80:
	s_and_b32 s8, s10, 0xff
	s_delay_alu instid0(SALU_CYCLE_1)
	v_max_u16 v9, v11, s8
	v_lshrrev_b32_e32 v11, 24, v10
	s_cmp_lt_i32 s9, 1
	s_mov_b32 s8, 0
	s_cbranch_scc0 .LBB170_77
.LBB170_81:
	s_mov_b32 s11, 0
                                        ; implicit-def: $vgpr10
	s_cbranch_execnz .LBB170_84
	s_branch .LBB170_85
.LBB170_82:
	s_mov_b32 s11, -1
                                        ; implicit-def: $vgpr10
.LBB170_83:
	s_branch .LBB170_85
.LBB170_84:
	s_cmp_lg_u32 s9, 0
	s_mov_b32 s8, -1
	s_cselect_b32 s11, -1, 0
.LBB170_85:
	s_delay_alu instid0(SALU_CYCLE_1)
	s_and_not1_b32 vcc_lo, exec_lo, s11
	s_cbranch_vccz .LBB170_90
; %bb.86:
	s_and_not1_b32 vcc_lo, exec_lo, s8
	s_cbranch_vccz .LBB170_91
.LBB170_87:
	s_cmp_lt_i32 s9, 1
	s_mov_b32 s8, 0
	s_cbranch_scc1 .LBB170_92
.LBB170_88:
	s_cmp_eq_u32 s9, 1
	s_cbranch_scc0 .LBB170_93
; %bb.89:
	s_wait_loadcnt 0x1
	v_and_b32_e32 v11, 0xff, v7
	s_and_b32 s11, s10, 0xff
	s_delay_alu instid0(VALU_DEP_1) | instid1(SALU_CYCLE_1)
	v_min_u16 v11, v11, s11
	s_mov_b32 s11, 0
	s_branch .LBB170_94
.LBB170_90:
	s_and_b32 s8, s10, 0xff
	s_delay_alu instid0(SALU_CYCLE_1)
	v_max_u16 v10, v11, s8
	s_and_b32 s8, s0, 0xff
	s_delay_alu instid0(VALU_DEP_1) | instid1(SALU_CYCLE_1)
	v_min_u16 v10, v10, s8
	s_cbranch_execnz .LBB170_87
.LBB170_91:
	s_and_b32 s8, s10, 0xff
	s_delay_alu instid0(SALU_CYCLE_1)
	v_max_u16 v10, v11, s8
	s_cmp_lt_i32 s9, 1
	s_mov_b32 s8, 0
	s_cbranch_scc0 .LBB170_88
.LBB170_92:
	s_mov_b32 s11, 0
                                        ; implicit-def: $vgpr11
	s_cbranch_execnz .LBB170_95
	s_branch .LBB170_96
.LBB170_93:
	s_mov_b32 s11, -1
                                        ; implicit-def: $vgpr11
.LBB170_94:
	s_branch .LBB170_96
.LBB170_95:
	s_cmp_lg_u32 s9, 0
	s_mov_b32 s8, -1
	s_cselect_b32 s11, -1, 0
.LBB170_96:
	s_wait_loadcnt 0x1
	v_and_b32_e32 v12, 0xff, v7
	s_and_not1_b32 vcc_lo, exec_lo, s11
	s_cbranch_vccz .LBB170_101
; %bb.97:
	s_and_not1_b32 vcc_lo, exec_lo, s8
	s_cbranch_vccz .LBB170_102
.LBB170_98:
	v_lshrrev_b32_e32 v13, 8, v7
	s_cmp_lt_i32 s9, 1
	s_mov_b32 s8, 0
	s_cbranch_scc1 .LBB170_103
.LBB170_99:
	s_cmp_eq_u32 s9, 1
	s_cbranch_scc0 .LBB170_104
; %bb.100:
	v_and_b32_e32 v12, 0xff, v13
	s_and_b32 s11, s10, 0xff
	s_delay_alu instid0(VALU_DEP_1) | instid1(SALU_CYCLE_1)
	v_min_u16 v12, v12, s11
	s_mov_b32 s11, 0
	s_branch .LBB170_105
.LBB170_101:
	s_and_b32 s8, s10, 0xff
	s_delay_alu instid0(VALU_DEP_1) | instid1(SALU_CYCLE_1)
	v_max_u16 v11, v12, s8
	s_and_b32 s8, s0, 0xff
	s_delay_alu instid0(VALU_DEP_1) | instid1(SALU_CYCLE_1)
	v_min_u16 v11, v11, s8
	s_cbranch_execnz .LBB170_98
.LBB170_102:
	s_and_b32 s8, s10, 0xff
	s_delay_alu instid0(SALU_CYCLE_1)
	v_max_u16 v11, v12, s8
	v_lshrrev_b32_e32 v13, 8, v7
	s_cmp_lt_i32 s9, 1
	s_mov_b32 s8, 0
	s_cbranch_scc0 .LBB170_99
.LBB170_103:
	s_mov_b32 s11, 0
                                        ; implicit-def: $vgpr12
	s_cbranch_execnz .LBB170_106
	s_branch .LBB170_107
.LBB170_104:
	s_mov_b32 s11, -1
                                        ; implicit-def: $vgpr12
.LBB170_105:
	s_branch .LBB170_107
.LBB170_106:
	s_cmp_lg_u32 s9, 0
	s_mov_b32 s8, -1
	s_cselect_b32 s11, -1, 0
.LBB170_107:
	v_and_b32_e32 v13, 0xff, v13
	s_and_not1_b32 vcc_lo, exec_lo, s11
	s_cbranch_vccz .LBB170_112
; %bb.108:
	s_and_not1_b32 vcc_lo, exec_lo, s8
	s_cbranch_vccz .LBB170_113
.LBB170_109:
	v_lshrrev_b32_e32 v14, 16, v7
	s_cmp_lt_i32 s9, 1
	s_mov_b32 s8, 0
	s_cbranch_scc1 .LBB170_114
.LBB170_110:
	s_cmp_eq_u32 s9, 1
	s_cbranch_scc0 .LBB170_115
; %bb.111:
	v_and_b32_e32 v13, 0xff, v14
	s_and_b32 s11, s10, 0xff
	s_delay_alu instid0(VALU_DEP_1) | instid1(SALU_CYCLE_1)
	v_min_u16 v13, v13, s11
	s_mov_b32 s11, 0
	s_branch .LBB170_116
.LBB170_112:
	s_and_b32 s8, s10, 0xff
	s_delay_alu instid0(VALU_DEP_1) | instid1(SALU_CYCLE_1)
	v_max_u16 v12, v13, s8
	s_and_b32 s8, s0, 0xff
	s_delay_alu instid0(VALU_DEP_1) | instid1(SALU_CYCLE_1)
	v_min_u16 v12, v12, s8
	s_cbranch_execnz .LBB170_109
.LBB170_113:
	s_and_b32 s8, s10, 0xff
	s_delay_alu instid0(SALU_CYCLE_1)
	v_max_u16 v12, v13, s8
	v_lshrrev_b32_e32 v14, 16, v7
	s_cmp_lt_i32 s9, 1
	s_mov_b32 s8, 0
	s_cbranch_scc0 .LBB170_110
.LBB170_114:
	s_mov_b32 s11, 0
                                        ; implicit-def: $vgpr13
	s_cbranch_execnz .LBB170_117
	s_branch .LBB170_118
.LBB170_115:
	s_mov_b32 s11, -1
                                        ; implicit-def: $vgpr13
.LBB170_116:
	s_branch .LBB170_118
.LBB170_117:
	s_cmp_lg_u32 s9, 0
	s_mov_b32 s8, -1
	s_cselect_b32 s11, -1, 0
.LBB170_118:
	v_and_b32_e32 v14, 0xff, v14
	s_and_not1_b32 vcc_lo, exec_lo, s11
	s_cbranch_vccz .LBB170_123
; %bb.119:
	s_and_not1_b32 vcc_lo, exec_lo, s8
	s_cbranch_vccz .LBB170_124
.LBB170_120:
	v_lshrrev_b32_e32 v14, 24, v7
	s_cmp_lt_i32 s9, 1
	s_mov_b32 s8, 0
	s_cbranch_scc1 .LBB170_125
.LBB170_121:
	s_cmp_eq_u32 s9, 1
	s_cbranch_scc0 .LBB170_126
; %bb.122:
	s_and_b32 s11, s10, 0xff
	s_delay_alu instid0(SALU_CYCLE_1)
	v_min_u16 v7, v14, s11
	s_mov_b32 s11, 0
	s_branch .LBB170_127
.LBB170_123:
	s_and_b32 s8, s10, 0xff
	s_delay_alu instid0(VALU_DEP_1) | instid1(SALU_CYCLE_1)
	v_max_u16 v13, v14, s8
	s_and_b32 s8, s0, 0xff
	s_delay_alu instid0(VALU_DEP_1) | instid1(SALU_CYCLE_1)
	v_min_u16 v13, v13, s8
	s_cbranch_execnz .LBB170_120
.LBB170_124:
	s_and_b32 s8, s10, 0xff
	s_delay_alu instid0(SALU_CYCLE_1)
	v_max_u16 v13, v14, s8
	v_lshrrev_b32_e32 v14, 24, v7
	s_cmp_lt_i32 s9, 1
	s_mov_b32 s8, 0
	s_cbranch_scc0 .LBB170_121
.LBB170_125:
	s_mov_b32 s11, 0
                                        ; implicit-def: $vgpr7
	s_cbranch_execnz .LBB170_128
	s_branch .LBB170_129
.LBB170_126:
	s_mov_b32 s11, -1
                                        ; implicit-def: $vgpr7
.LBB170_127:
	s_branch .LBB170_129
.LBB170_128:
	s_cmp_lg_u32 s9, 0
	s_mov_b32 s8, -1
	s_cselect_b32 s11, -1, 0
.LBB170_129:
	s_delay_alu instid0(SALU_CYCLE_1)
	s_and_not1_b32 vcc_lo, exec_lo, s11
	s_cbranch_vccz .LBB170_134
; %bb.130:
	s_and_not1_b32 vcc_lo, exec_lo, s8
	s_cbranch_vccz .LBB170_135
.LBB170_131:
	s_cmp_lt_i32 s9, 1
	s_mov_b32 s8, 0
	s_cbranch_scc1 .LBB170_136
.LBB170_132:
	s_cmp_eq_u32 s9, 1
	s_cbranch_scc0 .LBB170_137
; %bb.133:
	s_wait_loadcnt 0x0
	v_and_b32_e32 v14, 0xff, v2
	s_and_b32 s11, s10, 0xff
	s_delay_alu instid0(VALU_DEP_1) | instid1(SALU_CYCLE_1)
	v_min_u16 v14, v14, s11
	s_mov_b32 s11, 0
	s_branch .LBB170_138
.LBB170_134:
	s_and_b32 s8, s10, 0xff
	s_delay_alu instid0(SALU_CYCLE_1)
	v_max_u16 v7, v14, s8
	s_and_b32 s8, s0, 0xff
	s_delay_alu instid0(VALU_DEP_1) | instid1(SALU_CYCLE_1)
	v_min_u16 v7, v7, s8
	s_cbranch_execnz .LBB170_131
.LBB170_135:
	s_and_b32 s8, s10, 0xff
	s_delay_alu instid0(SALU_CYCLE_1)
	v_max_u16 v7, v14, s8
	s_cmp_lt_i32 s9, 1
	s_mov_b32 s8, 0
	s_cbranch_scc0 .LBB170_132
.LBB170_136:
	s_mov_b32 s11, 0
                                        ; implicit-def: $vgpr14
	s_cbranch_execnz .LBB170_139
	s_branch .LBB170_140
.LBB170_137:
	s_mov_b32 s11, -1
                                        ; implicit-def: $vgpr14
.LBB170_138:
	s_branch .LBB170_140
.LBB170_139:
	s_cmp_lg_u32 s9, 0
	s_mov_b32 s8, -1
	s_cselect_b32 s11, -1, 0
.LBB170_140:
	s_wait_loadcnt 0x0
	v_and_b32_e32 v15, 0xff, v2
	s_and_not1_b32 vcc_lo, exec_lo, s11
	s_cbranch_vccz .LBB170_145
; %bb.141:
	s_and_not1_b32 vcc_lo, exec_lo, s8
	s_cbranch_vccz .LBB170_146
.LBB170_142:
	v_lshrrev_b32_e32 v16, 8, v2
	s_cmp_lt_i32 s9, 1
	s_mov_b32 s8, 0
	s_cbranch_scc1 .LBB170_147
.LBB170_143:
	s_cmp_eq_u32 s9, 1
	s_cbranch_scc0 .LBB170_148
; %bb.144:
	v_and_b32_e32 v15, 0xff, v16
	s_and_b32 s11, s10, 0xff
	s_delay_alu instid0(VALU_DEP_1) | instid1(SALU_CYCLE_1)
	v_min_u16 v15, v15, s11
	s_mov_b32 s11, 0
	s_branch .LBB170_149
.LBB170_145:
	s_and_b32 s8, s10, 0xff
	s_delay_alu instid0(VALU_DEP_1) | instid1(SALU_CYCLE_1)
	v_max_u16 v14, v15, s8
	s_and_b32 s8, s0, 0xff
	s_delay_alu instid0(VALU_DEP_1) | instid1(SALU_CYCLE_1)
	v_min_u16 v14, v14, s8
	s_cbranch_execnz .LBB170_142
.LBB170_146:
	s_and_b32 s8, s10, 0xff
	s_delay_alu instid0(SALU_CYCLE_1)
	v_max_u16 v14, v15, s8
	v_lshrrev_b32_e32 v16, 8, v2
	s_cmp_lt_i32 s9, 1
	s_mov_b32 s8, 0
	s_cbranch_scc0 .LBB170_143
.LBB170_147:
	s_mov_b32 s11, 0
                                        ; implicit-def: $vgpr15
	s_cbranch_execnz .LBB170_150
	s_branch .LBB170_151
.LBB170_148:
	s_mov_b32 s11, -1
                                        ; implicit-def: $vgpr15
.LBB170_149:
	s_branch .LBB170_151
.LBB170_150:
	s_cmp_lg_u32 s9, 0
	s_mov_b32 s8, -1
	s_cselect_b32 s11, -1, 0
.LBB170_151:
	v_and_b32_e32 v16, 0xff, v16
	s_and_not1_b32 vcc_lo, exec_lo, s11
	s_cbranch_vccz .LBB170_156
; %bb.152:
	s_and_not1_b32 vcc_lo, exec_lo, s8
	s_cbranch_vccz .LBB170_157
.LBB170_153:
	v_lshrrev_b32_e32 v17, 16, v2
	s_cmp_lt_i32 s9, 1
	s_mov_b32 s8, 0
	s_cbranch_scc1 .LBB170_158
.LBB170_154:
	s_cmp_eq_u32 s9, 1
	s_cbranch_scc0 .LBB170_159
; %bb.155:
	v_and_b32_e32 v16, 0xff, v17
	s_and_b32 s11, s10, 0xff
	s_delay_alu instid0(VALU_DEP_1) | instid1(SALU_CYCLE_1)
	v_min_u16 v16, v16, s11
	s_mov_b32 s11, 0
	s_branch .LBB170_160
.LBB170_156:
	s_and_b32 s8, s10, 0xff
	s_delay_alu instid0(VALU_DEP_1) | instid1(SALU_CYCLE_1)
	v_max_u16 v15, v16, s8
	s_and_b32 s8, s0, 0xff
	s_delay_alu instid0(VALU_DEP_1) | instid1(SALU_CYCLE_1)
	v_min_u16 v15, v15, s8
	s_cbranch_execnz .LBB170_153
.LBB170_157:
	s_and_b32 s8, s10, 0xff
	s_delay_alu instid0(SALU_CYCLE_1)
	v_max_u16 v15, v16, s8
	v_lshrrev_b32_e32 v17, 16, v2
	s_cmp_lt_i32 s9, 1
	s_mov_b32 s8, 0
	s_cbranch_scc0 .LBB170_154
.LBB170_158:
	s_mov_b32 s11, 0
                                        ; implicit-def: $vgpr16
	s_cbranch_execnz .LBB170_161
	s_branch .LBB170_162
.LBB170_159:
	s_mov_b32 s11, -1
                                        ; implicit-def: $vgpr16
.LBB170_160:
	s_branch .LBB170_162
.LBB170_161:
	s_cmp_lg_u32 s9, 0
	s_mov_b32 s8, -1
	s_cselect_b32 s11, -1, 0
.LBB170_162:
	v_and_b32_e32 v17, 0xff, v17
	s_and_not1_b32 vcc_lo, exec_lo, s11
	s_cbranch_vccz .LBB170_167
; %bb.163:
	s_and_not1_b32 vcc_lo, exec_lo, s8
	s_cbranch_vccz .LBB170_168
.LBB170_164:
	v_lshrrev_b32_e32 v2, 24, v2
	s_cmp_lt_i32 s9, 1
	s_mov_b32 s8, 0
	s_cbranch_scc1 .LBB170_169
.LBB170_165:
	s_cmp_eq_u32 s9, 1
	s_cbranch_scc0 .LBB170_170
; %bb.166:
	s_and_b32 s11, s10, 0xff
	s_delay_alu instid0(SALU_CYCLE_1)
	v_min_u16 v17, v2, s11
	s_mov_b32 s11, 0
	s_branch .LBB170_171
.LBB170_167:
	s_and_b32 s8, s10, 0xff
	s_delay_alu instid0(VALU_DEP_1) | instid1(SALU_CYCLE_1)
	v_max_u16 v16, v17, s8
	s_and_b32 s8, s0, 0xff
	s_delay_alu instid0(VALU_DEP_1) | instid1(SALU_CYCLE_1)
	v_min_u16 v16, v16, s8
	s_cbranch_execnz .LBB170_164
.LBB170_168:
	s_and_b32 s8, s10, 0xff
	s_delay_alu instid0(SALU_CYCLE_1)
	v_max_u16 v16, v17, s8
	v_lshrrev_b32_e32 v2, 24, v2
	s_cmp_lt_i32 s9, 1
	s_mov_b32 s8, 0
	s_cbranch_scc0 .LBB170_165
.LBB170_169:
	s_mov_b32 s11, 0
                                        ; implicit-def: $vgpr17
	s_cbranch_execnz .LBB170_172
	s_branch .LBB170_173
.LBB170_170:
	s_mov_b32 s11, -1
                                        ; implicit-def: $vgpr17
.LBB170_171:
	s_branch .LBB170_173
.LBB170_172:
	s_cmp_lg_u32 s9, 0
	s_mov_b32 s8, -1
	s_cselect_b32 s11, -1, 0
.LBB170_173:
	s_delay_alu instid0(SALU_CYCLE_1)
	s_and_not1_b32 vcc_lo, exec_lo, s11
	s_cbranch_vccz .LBB170_214
; %bb.174:
	s_and_not1_b32 vcc_lo, exec_lo, s8
	s_cbranch_vccnz .LBB170_176
.LBB170_175:
	s_and_b32 s0, s10, 0xff
	s_delay_alu instid0(SALU_CYCLE_1)
	v_max_u16 v17, v2, s0
.LBB170_176:
	v_perm_b32 v1, v1, v3, 0xc0c0004
	v_perm_b32 v3, v4, v5, 0xc0c0004
	v_perm_b32 v6, v6, v8, 0xc0c0004
	v_perm_b32 v4, v9, v10, 0xc0c0004
	v_perm_b32 v11, v11, v12, 0xc0c0004
	v_perm_b32 v5, v13, v7, 0xc0c0004
	v_perm_b32 v2, v14, v15, 0xc0c0004
	v_perm_b32 v14, v16, v17, 0xc0c0004
	v_lshl_or_b32 v1, v3, 16, v1
	v_lshl_or_b32 v3, v4, 16, v6
	v_lshl_or_b32 v4, v5, 16, v11
	s_add_nc_u64 s[12:13], s[4:5], s[2:3]
	v_lshl_or_b32 v2, v14, 16, v2
	s_mov_b32 s3, 0
	s_clause 0x3
	global_store_b32 v0, v1, s[12:13] scale_offset
	global_store_b32 v0, v3, s[12:13] offset:1024 scale_offset
	global_store_b32 v0, v4, s[12:13] offset:2048 scale_offset
	;; [unrolled: 1-line block ×3, first 2 shown]
.LBB170_177:
	s_and_b32 vcc_lo, exec_lo, s3
	s_cbranch_vccz .LBB170_436
; %bb.178:
	v_cmp_gt_i32_e64 s0, s1, v0
	s_wait_xcnt 0x0
	v_dual_mov_b32 v2, 0 :: v_dual_bitop2_b32 v8, s2, v0 bitop3:0x54
	v_or_b32_e32 v9, 0x100, v0
	v_dual_mov_b32 v10, 0 :: v_dual_mov_b32 v11, 0
	v_dual_mov_b32 v12, 0 :: v_dual_mov_b32 v13, 0
	;; [unrolled: 1-line block ×8, first 2 shown]
	s_and_saveexec_b32 s3, s0
	s_cbranch_execz .LBB170_210
; %bb.179:
	global_load_u8 v23, v8, s[6:7]
	v_or_b32_e32 v1, 0x100, v0
	v_dual_mov_b32 v22, 0 :: v_dual_mov_b32 v5, 0
	v_dual_mov_b32 v6, 0 :: v_dual_mov_b32 v21, 0
	;; [unrolled: 1-line block ×7, first 2 shown]
	v_mov_b32_e32 v10, 0
	s_mov_b32 s8, exec_lo
	s_wait_xcnt 0x0
	v_cmpx_gt_u32_e64 s1, v1
	s_cbranch_execz .LBB170_209
; %bb.180:
	v_dual_mov_b32 v5, 0 :: v_dual_add_nc_u32 v4, s2, v0
	v_or_b32_e32 v1, 0x200, v0
	v_dual_mov_b32 v6, 0 :: v_dual_mov_b32 v21, 0
	global_load_u8 v22, v4, s[6:7] offset:256
	v_dual_mov_b32 v20, 0 :: v_dual_mov_b32 v19, 0
	v_dual_mov_b32 v18, 0 :: v_dual_mov_b32 v17, 0
	;; [unrolled: 1-line block ×5, first 2 shown]
	v_mov_b32_e32 v10, 0
	s_mov_b32 s11, exec_lo
	s_wait_xcnt 0x0
	v_cmpx_gt_u32_e64 s1, v1
	s_cbranch_execz .LBB170_208
; %bb.181:
	v_add_nc_u64_e32 v[6:7], s[6:7], v[4:5]
	v_or_b32_e32 v3, 0x300, v0
	v_dual_mov_b32 v21, 0 :: v_dual_mov_b32 v20, 0
	v_dual_mov_b32 v19, 0 :: v_dual_mov_b32 v18, 0
	;; [unrolled: 1-line block ×3, first 2 shown]
	global_load_u8 v1, v[6:7], off offset:512
	v_dual_mov_b32 v15, 0 :: v_dual_mov_b32 v14, 0
	v_dual_mov_b32 v13, 0 :: v_dual_mov_b32 v12, 0
	;; [unrolled: 1-line block ×3, first 2 shown]
	s_mov_b32 s6, exec_lo
	s_wait_xcnt 0x0
	v_cmpx_gt_u32_e64 s1, v3
	s_cbranch_execz .LBB170_207
; %bb.182:
	global_load_u8 v5, v[6:7], off offset:768
	v_or_b32_e32 v3, 0x400, v0
	v_dual_mov_b32 v21, 0 :: v_dual_mov_b32 v20, 0
	v_dual_mov_b32 v19, 0 :: v_dual_mov_b32 v18, 0
	;; [unrolled: 1-line block ×6, first 2 shown]
	s_mov_b32 s7, exec_lo
	s_wait_xcnt 0x0
	v_cmpx_gt_u32_e64 s1, v3
	s_cbranch_execz .LBB170_206
; %bb.183:
	global_load_u8 v21, v[6:7], off offset:1024
	v_or_b32_e32 v3, 0x500, v0
	v_dual_mov_b32 v20, 0 :: v_dual_mov_b32 v19, 0
	v_dual_mov_b32 v18, 0 :: v_dual_mov_b32 v17, 0
	;; [unrolled: 1-line block ×5, first 2 shown]
	v_mov_b32_e32 v10, 0
	s_mov_b32 s12, exec_lo
	s_wait_xcnt 0x0
	v_cmpx_gt_u32_e64 s1, v3
	s_cbranch_execz .LBB170_205
; %bb.184:
	global_load_u8 v20, v[6:7], off offset:1280
	v_or_b32_e32 v3, 0x600, v0
	v_dual_mov_b32 v19, 0 :: v_dual_mov_b32 v18, 0
	v_dual_mov_b32 v17, 0 :: v_dual_mov_b32 v16, 0
	;; [unrolled: 1-line block ×5, first 2 shown]
	s_mov_b32 s13, exec_lo
	s_wait_xcnt 0x0
	v_cmpx_gt_u32_e64 s1, v3
	s_cbranch_execz .LBB170_204
; %bb.185:
	global_load_u8 v19, v[6:7], off offset:1536
	v_or_b32_e32 v3, 0x700, v0
	v_dual_mov_b32 v18, 0 :: v_dual_mov_b32 v17, 0
	v_dual_mov_b32 v16, 0 :: v_dual_mov_b32 v15, 0
	;; [unrolled: 1-line block ×4, first 2 shown]
	v_mov_b32_e32 v10, 0
	s_mov_b32 s14, exec_lo
	s_wait_xcnt 0x0
	v_cmpx_gt_u32_e64 s1, v3
	s_cbranch_execz .LBB170_203
; %bb.186:
	global_load_u8 v18, v[6:7], off offset:1792
	v_or_b32_e32 v3, 0x800, v0
	v_dual_mov_b32 v17, 0 :: v_dual_mov_b32 v16, 0
	v_dual_mov_b32 v15, 0 :: v_dual_mov_b32 v14, 0
	;; [unrolled: 1-line block ×4, first 2 shown]
	s_mov_b32 s15, exec_lo
	s_wait_xcnt 0x0
	v_cmpx_gt_u32_e64 s1, v3
	s_cbranch_execz .LBB170_202
; %bb.187:
	global_load_u8 v17, v[6:7], off offset:2048
	v_or_b32_e32 v3, 0x900, v0
	v_dual_mov_b32 v16, 0 :: v_dual_mov_b32 v15, 0
	v_dual_mov_b32 v14, 0 :: v_dual_mov_b32 v13, 0
	;; [unrolled: 1-line block ×3, first 2 shown]
	v_mov_b32_e32 v10, 0
	s_mov_b32 s16, exec_lo
	s_wait_xcnt 0x0
	v_cmpx_gt_u32_e64 s1, v3
	s_cbranch_execz .LBB170_201
; %bb.188:
	global_load_u8 v16, v[6:7], off offset:2304
	v_or_b32_e32 v3, 0xa00, v0
	v_dual_mov_b32 v15, 0 :: v_dual_mov_b32 v14, 0
	v_dual_mov_b32 v13, 0 :: v_dual_mov_b32 v12, 0
	;; [unrolled: 1-line block ×3, first 2 shown]
	s_mov_b32 s17, exec_lo
	s_wait_xcnt 0x0
	v_cmpx_gt_u32_e64 s1, v3
	s_cbranch_execz .LBB170_200
; %bb.189:
	global_load_u8 v15, v[6:7], off offset:2560
	v_or_b32_e32 v3, 0xb00, v0
	v_dual_mov_b32 v14, 0 :: v_dual_mov_b32 v13, 0
	v_dual_mov_b32 v12, 0 :: v_dual_mov_b32 v11, 0
	v_mov_b32_e32 v10, 0
	s_mov_b32 s18, exec_lo
	s_wait_xcnt 0x0
	v_cmpx_gt_u32_e64 s1, v3
	s_cbranch_execz .LBB170_199
; %bb.190:
	global_load_u8 v14, v[6:7], off offset:2816
	v_or_b32_e32 v3, 0xc00, v0
	v_dual_mov_b32 v13, 0 :: v_dual_mov_b32 v12, 0
	v_dual_mov_b32 v11, 0 :: v_dual_mov_b32 v10, 0
	s_mov_b32 s19, exec_lo
	s_wait_xcnt 0x0
	v_cmpx_gt_u32_e64 s1, v3
	s_cbranch_execz .LBB170_198
; %bb.191:
	global_load_u8 v13, v[6:7], off offset:3072
	v_or_b32_e32 v3, 0xd00, v0
	v_dual_mov_b32 v12, 0 :: v_dual_mov_b32 v11, 0
	v_mov_b32_e32 v10, 0
	s_mov_b32 s20, exec_lo
	s_wait_xcnt 0x0
	v_cmpx_gt_u32_e64 s1, v3
	s_cbranch_execz .LBB170_197
; %bb.192:
	global_load_u8 v12, v[6:7], off offset:3328
	v_or_b32_e32 v3, 0xe00, v0
	v_dual_mov_b32 v11, 0 :: v_dual_mov_b32 v10, 0
	s_mov_b32 s21, exec_lo
	s_wait_xcnt 0x0
	s_delay_alu instid0(VALU_DEP_2)
	v_cmpx_gt_u32_e64 s1, v3
	s_cbranch_execz .LBB170_196
; %bb.193:
	global_load_u8 v11, v[6:7], off offset:3584
	v_or_b32_e32 v3, 0xf00, v0
	v_mov_b32_e32 v10, 0
	s_mov_b32 s22, exec_lo
	s_wait_xcnt 0x0
	s_delay_alu instid0(VALU_DEP_2)
	v_cmpx_gt_u32_e64 s1, v3
	s_cbranch_execz .LBB170_195
; %bb.194:
	global_load_u8 v10, v[6:7], off offset:3840
.LBB170_195:
	s_wait_xcnt 0x0
	s_or_b32 exec_lo, exec_lo, s22
.LBB170_196:
	s_delay_alu instid0(SALU_CYCLE_1)
	s_or_b32 exec_lo, exec_lo, s21
.LBB170_197:
	s_delay_alu instid0(SALU_CYCLE_1)
	s_or_b32 exec_lo, exec_lo, s20
.LBB170_198:
	s_delay_alu instid0(SALU_CYCLE_1)
	s_or_b32 exec_lo, exec_lo, s19
.LBB170_199:
	s_delay_alu instid0(SALU_CYCLE_1)
	s_or_b32 exec_lo, exec_lo, s18
.LBB170_200:
	s_delay_alu instid0(SALU_CYCLE_1)
	s_or_b32 exec_lo, exec_lo, s17
.LBB170_201:
	s_delay_alu instid0(SALU_CYCLE_1)
	s_or_b32 exec_lo, exec_lo, s16
.LBB170_202:
	s_delay_alu instid0(SALU_CYCLE_1)
	s_or_b32 exec_lo, exec_lo, s15
.LBB170_203:
	s_delay_alu instid0(SALU_CYCLE_1)
	s_or_b32 exec_lo, exec_lo, s14
.LBB170_204:
	s_delay_alu instid0(SALU_CYCLE_1)
	s_or_b32 exec_lo, exec_lo, s13
.LBB170_205:
	s_delay_alu instid0(SALU_CYCLE_1)
	s_or_b32 exec_lo, exec_lo, s12
.LBB170_206:
	s_delay_alu instid0(SALU_CYCLE_1)
	s_or_b32 exec_lo, exec_lo, s7
.LBB170_207:
	s_delay_alu instid0(SALU_CYCLE_1)
	s_or_b32 exec_lo, exec_lo, s6
	s_wait_loadcnt 0x0
	v_dual_mov_b32 v6, v5 :: v_dual_mov_b32 v5, v1
.LBB170_208:
	s_or_b32 exec_lo, exec_lo, s11
.LBB170_209:
	s_delay_alu instid0(SALU_CYCLE_1)
	s_or_b32 exec_lo, exec_lo, s8
.LBB170_210:
	s_delay_alu instid0(SALU_CYCLE_1)
	s_or_b32 exec_lo, exec_lo, s3
	v_dual_mov_b32 v1, v2 :: v_dual_mov_b32 v4, v2
	v_mov_b32_e32 v3, v2
	s_lshr_b32 s3, s10, 8
	s_and_saveexec_b32 s6, s0
	s_cbranch_execz .LBB170_223
; %bb.211:
	s_cmp_lt_i32 s9, 1
	s_mov_b32 s7, 0
	s_cbranch_scc1 .LBB170_215
; %bb.212:
	s_cmp_eq_u32 s9, 1
	s_cbranch_scc0 .LBB170_216
; %bb.213:
	s_wait_loadcnt 0x0
	v_and_b32_e32 v1, 0xff, v23
	s_and_b32 s8, s10, 0xff
	s_delay_alu instid0(VALU_DEP_1) | instid1(SALU_CYCLE_1)
	v_min_u16 v1, v1, s8
	s_mov_b32 s8, 0
	s_branch .LBB170_217
.LBB170_214:
	s_and_b32 s8, s10, 0xff
	s_and_b32 s0, s0, 0xff
	v_max_u16 v17, v2, s8
	s_delay_alu instid0(VALU_DEP_1)
	v_min_u16 v17, v17, s0
	s_cbranch_execz .LBB170_175
	s_branch .LBB170_176
.LBB170_215:
	s_mov_b32 s8, 0
                                        ; implicit-def: $vgpr1
	s_cbranch_execnz .LBB170_218
	s_branch .LBB170_219
.LBB170_216:
	s_mov_b32 s8, -1
                                        ; implicit-def: $vgpr1
.LBB170_217:
	s_branch .LBB170_219
.LBB170_218:
	s_cmp_lg_u32 s9, 0
	s_mov_b32 s7, -1
	s_cselect_b32 s8, -1, 0
.LBB170_219:
	s_wait_loadcnt 0x0
	v_and_b32_e32 v2, 0xff, v23
	s_and_not1_b32 vcc_lo, exec_lo, s8
	s_cbranch_vccz .LBB170_227
; %bb.220:
	s_and_not1_b32 vcc_lo, exec_lo, s7
	s_cbranch_vccnz .LBB170_222
.LBB170_221:
	s_and_b32 s7, s10, 0xff
	s_delay_alu instid0(SALU_CYCLE_1)
	v_max_u16 v1, v2, s7
.LBB170_222:
	s_delay_alu instid0(VALU_DEP_1) | instskip(SKIP_1) | instid1(VALU_DEP_2)
	v_and_b32_e32 v2, 0xff, v1
	v_mov_b32_e32 v1, 0
	v_and_b32_e32 v2, 0xffff, v2
	s_delay_alu instid0(VALU_DEP_2)
	v_dual_mov_b32 v4, v1 :: v_dual_mov_b32 v3, v1
.LBB170_223:
	s_or_b32 exec_lo, exec_lo, s6
	s_delay_alu instid0(SALU_CYCLE_1)
	s_mov_b32 s6, exec_lo
	v_cmpx_gt_i32_e64 s1, v9
	s_cbranch_execz .LBB170_236
; %bb.224:
	s_cmp_lt_i32 s9, 1
	s_mov_b32 s7, 0
	s_cbranch_scc1 .LBB170_228
; %bb.225:
	s_cmp_eq_u32 s9, 1
	s_cbranch_scc0 .LBB170_229
; %bb.226:
	s_wait_loadcnt 0x0
	v_and_b32_e32 v7, 0xff, v22
	s_and_b32 s8, s10, 0xff
	s_delay_alu instid0(VALU_DEP_1) | instid1(SALU_CYCLE_1)
	v_min_u16 v7, v7, s8
	s_mov_b32 s8, 0
	s_branch .LBB170_230
.LBB170_227:
	s_and_b32 s7, s10, 0xff
	s_delay_alu instid0(VALU_DEP_1) | instid1(SALU_CYCLE_1)
	v_max_u16 v1, v2, s7
	s_and_b32 s7, s3, 0xff
	s_delay_alu instid0(VALU_DEP_1) | instid1(SALU_CYCLE_1)
	v_min_u16 v1, v1, s7
	s_cbranch_execz .LBB170_221
	s_branch .LBB170_222
.LBB170_228:
	s_mov_b32 s8, 0
                                        ; implicit-def: $vgpr7
	s_cbranch_execnz .LBB170_231
	s_branch .LBB170_232
.LBB170_229:
	s_mov_b32 s8, -1
                                        ; implicit-def: $vgpr7
.LBB170_230:
	s_branch .LBB170_232
.LBB170_231:
	s_cmp_lg_u32 s9, 0
	s_mov_b32 s7, -1
	s_cselect_b32 s8, -1, 0
.LBB170_232:
	s_wait_loadcnt 0x0
	v_and_b32_e32 v22, 0xff, v22
	s_and_not1_b32 vcc_lo, exec_lo, s8
	s_cbranch_vccz .LBB170_240
; %bb.233:
	s_and_not1_b32 vcc_lo, exec_lo, s7
	s_cbranch_vccnz .LBB170_235
.LBB170_234:
	s_and_b32 s7, s10, 0xff
	s_delay_alu instid0(SALU_CYCLE_1)
	v_max_u16 v7, v22, s7
.LBB170_235:
	s_delay_alu instid0(VALU_DEP_1)
	v_perm_b32 v2, v2, v7, 0x7060004
.LBB170_236:
	s_or_b32 exec_lo, exec_lo, s6
	v_or_b32_e32 v7, 0x200, v0
	s_mov_b32 s6, exec_lo
	s_delay_alu instid0(VALU_DEP_1)
	v_cmpx_gt_i32_e64 s1, v7
	s_cbranch_execz .LBB170_249
; %bb.237:
	s_cmp_lt_i32 s9, 1
	s_mov_b32 s7, 0
	s_cbranch_scc1 .LBB170_241
; %bb.238:
	s_cmp_eq_u32 s9, 1
	s_cbranch_scc0 .LBB170_242
; %bb.239:
	v_and_b32_e32 v7, 0xff, v5
	s_and_b32 s8, s10, 0xff
	s_delay_alu instid0(VALU_DEP_1) | instid1(SALU_CYCLE_1)
	v_min_u16 v7, v7, s8
	s_mov_b32 s8, 0
	s_branch .LBB170_243
.LBB170_240:
	s_and_b32 s7, s10, 0xff
	s_delay_alu instid0(VALU_DEP_1) | instid1(SALU_CYCLE_1)
	v_max_u16 v7, v22, s7
	s_and_b32 s7, s3, 0xff
	s_delay_alu instid0(VALU_DEP_1) | instid1(SALU_CYCLE_1)
	v_min_u16 v7, v7, s7
	s_cbranch_execz .LBB170_234
	s_branch .LBB170_235
.LBB170_241:
	s_mov_b32 s8, 0
                                        ; implicit-def: $vgpr7
	s_cbranch_execnz .LBB170_244
	s_branch .LBB170_245
.LBB170_242:
	s_mov_b32 s8, -1
                                        ; implicit-def: $vgpr7
.LBB170_243:
	s_branch .LBB170_245
.LBB170_244:
	s_cmp_lg_u32 s9, 0
	s_mov_b32 s7, -1
	s_cselect_b32 s8, -1, 0
.LBB170_245:
	v_and_b32_e32 v5, 0xff, v5
	s_and_not1_b32 vcc_lo, exec_lo, s8
	s_cbranch_vccz .LBB170_253
; %bb.246:
	s_and_not1_b32 vcc_lo, exec_lo, s7
	s_cbranch_vccnz .LBB170_248
.LBB170_247:
	s_and_b32 s7, s10, 0xff
	s_delay_alu instid0(SALU_CYCLE_1)
	v_max_u16 v7, v5, s7
.LBB170_248:
	s_delay_alu instid0(VALU_DEP_1)
	v_perm_b32 v2, v2, v7, 0x7000504
.LBB170_249:
	s_or_b32 exec_lo, exec_lo, s6
	v_or_b32_e32 v5, 0x300, v0
	s_mov_b32 s6, exec_lo
	s_delay_alu instid0(VALU_DEP_1)
	v_cmpx_gt_i32_e64 s1, v5
	s_cbranch_execz .LBB170_262
; %bb.250:
	s_cmp_lt_i32 s9, 1
	s_mov_b32 s7, 0
	s_cbranch_scc1 .LBB170_254
; %bb.251:
	s_cmp_eq_u32 s9, 1
	s_cbranch_scc0 .LBB170_255
; %bb.252:
	v_and_b32_e32 v5, 0xff, v6
	s_and_b32 s8, s10, 0xff
	s_delay_alu instid0(VALU_DEP_1) | instid1(SALU_CYCLE_1)
	v_min_u16 v5, v5, s8
	s_mov_b32 s8, 0
	s_branch .LBB170_256
.LBB170_253:
	s_and_b32 s7, s10, 0xff
	s_delay_alu instid0(VALU_DEP_1) | instid1(SALU_CYCLE_1)
	v_max_u16 v7, v5, s7
	s_and_b32 s7, s3, 0xff
	s_delay_alu instid0(VALU_DEP_1) | instid1(SALU_CYCLE_1)
	v_min_u16 v7, v7, s7
	s_cbranch_execz .LBB170_247
	s_branch .LBB170_248
.LBB170_254:
	s_mov_b32 s8, 0
                                        ; implicit-def: $vgpr5
	s_cbranch_execnz .LBB170_257
	s_branch .LBB170_258
.LBB170_255:
	s_mov_b32 s8, -1
                                        ; implicit-def: $vgpr5
.LBB170_256:
	s_branch .LBB170_258
.LBB170_257:
	s_cmp_lg_u32 s9, 0
	s_mov_b32 s7, -1
	s_cselect_b32 s8, -1, 0
.LBB170_258:
	v_and_b32_e32 v6, 0xff, v6
	s_and_not1_b32 vcc_lo, exec_lo, s8
	s_cbranch_vccz .LBB170_266
; %bb.259:
	s_and_not1_b32 vcc_lo, exec_lo, s7
	s_cbranch_vccnz .LBB170_261
.LBB170_260:
	s_and_b32 s7, s10, 0xff
	s_delay_alu instid0(SALU_CYCLE_1)
	v_max_u16 v5, v6, s7
.LBB170_261:
	s_delay_alu instid0(VALU_DEP_1)
	v_perm_b32 v2, v2, v5, 0x60504
.LBB170_262:
	s_or_b32 exec_lo, exec_lo, s6
	v_or_b32_e32 v5, 0x400, v0
	s_mov_b32 s6, exec_lo
	s_delay_alu instid0(VALU_DEP_1)
	v_cmpx_gt_i32_e64 s1, v5
	s_cbranch_execz .LBB170_275
; %bb.263:
	s_cmp_lt_i32 s9, 1
	s_mov_b32 s7, 0
	s_cbranch_scc1 .LBB170_267
; %bb.264:
	s_cmp_eq_u32 s9, 1
	s_cbranch_scc0 .LBB170_268
; %bb.265:
	v_and_b32_e32 v5, 0xff, v21
	s_and_b32 s8, s10, 0xff
	s_delay_alu instid0(VALU_DEP_1) | instid1(SALU_CYCLE_1)
	v_min_u16 v5, v5, s8
	s_mov_b32 s8, 0
	s_branch .LBB170_269
.LBB170_266:
	s_and_b32 s7, s10, 0xff
	s_delay_alu instid0(VALU_DEP_1) | instid1(SALU_CYCLE_1)
	v_max_u16 v5, v6, s7
	s_and_b32 s7, s3, 0xff
	s_delay_alu instid0(VALU_DEP_1) | instid1(SALU_CYCLE_1)
	v_min_u16 v5, v5, s7
	s_cbranch_execz .LBB170_260
	s_branch .LBB170_261
.LBB170_267:
	s_mov_b32 s8, 0
                                        ; implicit-def: $vgpr5
	s_cbranch_execnz .LBB170_270
	s_branch .LBB170_271
.LBB170_268:
	s_mov_b32 s8, -1
                                        ; implicit-def: $vgpr5
.LBB170_269:
	s_branch .LBB170_271
.LBB170_270:
	s_cmp_lg_u32 s9, 0
	s_mov_b32 s7, -1
	s_cselect_b32 s8, -1, 0
.LBB170_271:
	v_and_b32_e32 v6, 0xff, v21
	s_and_not1_b32 vcc_lo, exec_lo, s8
	s_cbranch_vccz .LBB170_279
; %bb.272:
	s_and_not1_b32 vcc_lo, exec_lo, s7
	s_cbranch_vccnz .LBB170_274
.LBB170_273:
	s_and_b32 s7, s10, 0xff
	s_delay_alu instid0(SALU_CYCLE_1)
	v_max_u16 v5, v6, s7
.LBB170_274:
	s_delay_alu instid0(VALU_DEP_1)
	v_perm_b32 v1, v5, v1, 0x3020104
.LBB170_275:
	s_or_b32 exec_lo, exec_lo, s6
	v_or_b32_e32 v5, 0x500, v0
	s_mov_b32 s6, exec_lo
	s_delay_alu instid0(VALU_DEP_1)
	v_cmpx_gt_i32_e64 s1, v5
	s_cbranch_execz .LBB170_288
; %bb.276:
	s_cmp_lt_i32 s9, 1
	s_mov_b32 s7, 0
	s_cbranch_scc1 .LBB170_280
; %bb.277:
	s_cmp_eq_u32 s9, 1
	s_cbranch_scc0 .LBB170_281
; %bb.278:
	v_and_b32_e32 v5, 0xff, v20
	s_and_b32 s8, s10, 0xff
	s_delay_alu instid0(VALU_DEP_1) | instid1(SALU_CYCLE_1)
	v_min_u16 v5, v5, s8
	s_mov_b32 s8, 0
	s_branch .LBB170_282
.LBB170_279:
	s_and_b32 s7, s10, 0xff
	s_delay_alu instid0(VALU_DEP_1) | instid1(SALU_CYCLE_1)
	v_max_u16 v5, v6, s7
	s_and_b32 s7, s3, 0xff
	s_delay_alu instid0(VALU_DEP_1) | instid1(SALU_CYCLE_1)
	v_min_u16 v5, v5, s7
	s_cbranch_execz .LBB170_273
	s_branch .LBB170_274
.LBB170_280:
	s_mov_b32 s8, 0
                                        ; implicit-def: $vgpr5
	s_cbranch_execnz .LBB170_283
	s_branch .LBB170_284
.LBB170_281:
	s_mov_b32 s8, -1
                                        ; implicit-def: $vgpr5
.LBB170_282:
	s_branch .LBB170_284
.LBB170_283:
	s_cmp_lg_u32 s9, 0
	s_mov_b32 s7, -1
	s_cselect_b32 s8, -1, 0
.LBB170_284:
	v_and_b32_e32 v6, 0xff, v20
	s_and_not1_b32 vcc_lo, exec_lo, s8
	s_cbranch_vccz .LBB170_292
; %bb.285:
	s_and_not1_b32 vcc_lo, exec_lo, s7
	s_cbranch_vccnz .LBB170_287
.LBB170_286:
	s_and_b32 s7, s10, 0xff
	s_delay_alu instid0(SALU_CYCLE_1)
	v_max_u16 v5, v6, s7
.LBB170_287:
	s_delay_alu instid0(VALU_DEP_1)
	v_perm_b32 v1, v1, v5, 0x7060004
.LBB170_288:
	s_or_b32 exec_lo, exec_lo, s6
	v_or_b32_e32 v5, 0x600, v0
	s_mov_b32 s6, exec_lo
	s_delay_alu instid0(VALU_DEP_1)
	v_cmpx_gt_i32_e64 s1, v5
	s_cbranch_execz .LBB170_301
; %bb.289:
	s_cmp_lt_i32 s9, 1
	s_mov_b32 s7, 0
	s_cbranch_scc1 .LBB170_293
; %bb.290:
	s_cmp_eq_u32 s9, 1
	s_cbranch_scc0 .LBB170_294
; %bb.291:
	v_and_b32_e32 v5, 0xff, v19
	s_and_b32 s8, s10, 0xff
	s_delay_alu instid0(VALU_DEP_1) | instid1(SALU_CYCLE_1)
	v_min_u16 v5, v5, s8
	s_mov_b32 s8, 0
	s_branch .LBB170_295
.LBB170_292:
	s_and_b32 s7, s10, 0xff
	s_delay_alu instid0(VALU_DEP_1) | instid1(SALU_CYCLE_1)
	v_max_u16 v5, v6, s7
	s_and_b32 s7, s3, 0xff
	s_delay_alu instid0(VALU_DEP_1) | instid1(SALU_CYCLE_1)
	v_min_u16 v5, v5, s7
	s_cbranch_execz .LBB170_286
	s_branch .LBB170_287
.LBB170_293:
	s_mov_b32 s8, 0
                                        ; implicit-def: $vgpr5
	s_cbranch_execnz .LBB170_296
	s_branch .LBB170_297
.LBB170_294:
	s_mov_b32 s8, -1
                                        ; implicit-def: $vgpr5
.LBB170_295:
	s_branch .LBB170_297
.LBB170_296:
	s_cmp_lg_u32 s9, 0
	s_mov_b32 s7, -1
	s_cselect_b32 s8, -1, 0
.LBB170_297:
	v_and_b32_e32 v6, 0xff, v19
	s_and_not1_b32 vcc_lo, exec_lo, s8
	s_cbranch_vccz .LBB170_305
; %bb.298:
	s_and_not1_b32 vcc_lo, exec_lo, s7
	s_cbranch_vccnz .LBB170_300
.LBB170_299:
	s_and_b32 s7, s10, 0xff
	s_delay_alu instid0(SALU_CYCLE_1)
	v_max_u16 v5, v6, s7
.LBB170_300:
	s_delay_alu instid0(VALU_DEP_1)
	v_perm_b32 v1, v1, v5, 0x7000504
.LBB170_301:
	s_or_b32 exec_lo, exec_lo, s6
	v_or_b32_e32 v5, 0x700, v0
	s_mov_b32 s6, exec_lo
	s_delay_alu instid0(VALU_DEP_1)
	v_cmpx_gt_i32_e64 s1, v5
	s_cbranch_execz .LBB170_314
; %bb.302:
	s_cmp_lt_i32 s9, 1
	s_mov_b32 s7, 0
	s_cbranch_scc1 .LBB170_306
; %bb.303:
	s_cmp_eq_u32 s9, 1
	s_cbranch_scc0 .LBB170_307
; %bb.304:
	v_and_b32_e32 v5, 0xff, v18
	s_and_b32 s8, s10, 0xff
	s_delay_alu instid0(VALU_DEP_1) | instid1(SALU_CYCLE_1)
	v_min_u16 v5, v5, s8
	s_mov_b32 s8, 0
	s_branch .LBB170_308
.LBB170_305:
	s_and_b32 s7, s10, 0xff
	s_delay_alu instid0(VALU_DEP_1) | instid1(SALU_CYCLE_1)
	v_max_u16 v5, v6, s7
	s_and_b32 s7, s3, 0xff
	s_delay_alu instid0(VALU_DEP_1) | instid1(SALU_CYCLE_1)
	v_min_u16 v5, v5, s7
	s_cbranch_execz .LBB170_299
	s_branch .LBB170_300
.LBB170_306:
	s_mov_b32 s8, 0
                                        ; implicit-def: $vgpr5
	s_cbranch_execnz .LBB170_309
	s_branch .LBB170_310
.LBB170_307:
	s_mov_b32 s8, -1
                                        ; implicit-def: $vgpr5
.LBB170_308:
	s_branch .LBB170_310
.LBB170_309:
	s_cmp_lg_u32 s9, 0
	s_mov_b32 s7, -1
	s_cselect_b32 s8, -1, 0
.LBB170_310:
	v_and_b32_e32 v6, 0xff, v18
	s_and_not1_b32 vcc_lo, exec_lo, s8
	s_cbranch_vccz .LBB170_318
; %bb.311:
	s_and_not1_b32 vcc_lo, exec_lo, s7
	s_cbranch_vccnz .LBB170_313
.LBB170_312:
	s_and_b32 s7, s10, 0xff
	s_delay_alu instid0(SALU_CYCLE_1)
	v_max_u16 v5, v6, s7
.LBB170_313:
	s_delay_alu instid0(VALU_DEP_1)
	v_perm_b32 v1, v1, v5, 0x60504
.LBB170_314:
	s_or_b32 exec_lo, exec_lo, s6
	v_or_b32_e32 v5, 0x800, v0
	s_mov_b32 s6, exec_lo
	s_delay_alu instid0(VALU_DEP_1)
	v_cmpx_gt_i32_e64 s1, v5
	s_cbranch_execz .LBB170_327
; %bb.315:
	s_cmp_lt_i32 s9, 1
	s_mov_b32 s7, 0
	s_cbranch_scc1 .LBB170_319
; %bb.316:
	s_cmp_eq_u32 s9, 1
	s_cbranch_scc0 .LBB170_320
; %bb.317:
	v_and_b32_e32 v5, 0xff, v17
	s_and_b32 s8, s10, 0xff
	s_delay_alu instid0(VALU_DEP_1) | instid1(SALU_CYCLE_1)
	v_min_u16 v5, v5, s8
	s_mov_b32 s8, 0
	s_branch .LBB170_321
.LBB170_318:
	s_and_b32 s7, s10, 0xff
	s_delay_alu instid0(VALU_DEP_1) | instid1(SALU_CYCLE_1)
	v_max_u16 v5, v6, s7
	s_and_b32 s7, s3, 0xff
	s_delay_alu instid0(VALU_DEP_1) | instid1(SALU_CYCLE_1)
	v_min_u16 v5, v5, s7
	s_cbranch_execz .LBB170_312
	s_branch .LBB170_313
.LBB170_319:
	s_mov_b32 s8, 0
                                        ; implicit-def: $vgpr5
	s_cbranch_execnz .LBB170_322
	s_branch .LBB170_323
.LBB170_320:
	s_mov_b32 s8, -1
                                        ; implicit-def: $vgpr5
.LBB170_321:
	s_branch .LBB170_323
.LBB170_322:
	s_cmp_lg_u32 s9, 0
	s_mov_b32 s7, -1
	s_cselect_b32 s8, -1, 0
.LBB170_323:
	v_and_b32_e32 v6, 0xff, v17
	s_and_not1_b32 vcc_lo, exec_lo, s8
	s_cbranch_vccz .LBB170_331
; %bb.324:
	s_and_not1_b32 vcc_lo, exec_lo, s7
	s_cbranch_vccnz .LBB170_326
.LBB170_325:
	s_and_b32 s7, s10, 0xff
	s_delay_alu instid0(SALU_CYCLE_1)
	v_max_u16 v5, v6, s7
.LBB170_326:
	s_delay_alu instid0(VALU_DEP_1)
	v_perm_b32 v4, v5, v4, 0x3020104
.LBB170_327:
	s_or_b32 exec_lo, exec_lo, s6
	v_or_b32_e32 v5, 0x900, v0
	s_mov_b32 s6, exec_lo
	s_delay_alu instid0(VALU_DEP_1)
	v_cmpx_gt_i32_e64 s1, v5
	s_cbranch_execz .LBB170_340
; %bb.328:
	s_cmp_lt_i32 s9, 1
	s_mov_b32 s7, 0
	s_cbranch_scc1 .LBB170_332
; %bb.329:
	s_cmp_eq_u32 s9, 1
	s_cbranch_scc0 .LBB170_333
; %bb.330:
	v_and_b32_e32 v5, 0xff, v16
	s_and_b32 s8, s10, 0xff
	s_delay_alu instid0(VALU_DEP_1) | instid1(SALU_CYCLE_1)
	v_min_u16 v5, v5, s8
	s_mov_b32 s8, 0
	s_branch .LBB170_334
.LBB170_331:
	s_and_b32 s7, s10, 0xff
	s_delay_alu instid0(VALU_DEP_1) | instid1(SALU_CYCLE_1)
	v_max_u16 v5, v6, s7
	s_and_b32 s7, s3, 0xff
	s_delay_alu instid0(VALU_DEP_1) | instid1(SALU_CYCLE_1)
	v_min_u16 v5, v5, s7
	s_cbranch_execz .LBB170_325
	s_branch .LBB170_326
.LBB170_332:
	s_mov_b32 s8, 0
                                        ; implicit-def: $vgpr5
	s_cbranch_execnz .LBB170_335
	s_branch .LBB170_336
.LBB170_333:
	s_mov_b32 s8, -1
                                        ; implicit-def: $vgpr5
.LBB170_334:
	s_branch .LBB170_336
.LBB170_335:
	s_cmp_lg_u32 s9, 0
	s_mov_b32 s7, -1
	s_cselect_b32 s8, -1, 0
.LBB170_336:
	v_and_b32_e32 v6, 0xff, v16
	s_and_not1_b32 vcc_lo, exec_lo, s8
	s_cbranch_vccz .LBB170_344
; %bb.337:
	s_and_not1_b32 vcc_lo, exec_lo, s7
	s_cbranch_vccnz .LBB170_339
.LBB170_338:
	s_and_b32 s7, s10, 0xff
	s_delay_alu instid0(SALU_CYCLE_1)
	v_max_u16 v5, v6, s7
.LBB170_339:
	s_delay_alu instid0(VALU_DEP_1)
	v_perm_b32 v4, v4, v5, 0x7060004
.LBB170_340:
	s_or_b32 exec_lo, exec_lo, s6
	v_or_b32_e32 v5, 0xa00, v0
	s_mov_b32 s6, exec_lo
	s_delay_alu instid0(VALU_DEP_1)
	v_cmpx_gt_i32_e64 s1, v5
	s_cbranch_execz .LBB170_353
; %bb.341:
	s_cmp_lt_i32 s9, 1
	s_mov_b32 s7, 0
	s_cbranch_scc1 .LBB170_345
; %bb.342:
	s_cmp_eq_u32 s9, 1
	s_cbranch_scc0 .LBB170_346
; %bb.343:
	v_and_b32_e32 v5, 0xff, v15
	s_and_b32 s8, s10, 0xff
	s_delay_alu instid0(VALU_DEP_1) | instid1(SALU_CYCLE_1)
	v_min_u16 v5, v5, s8
	s_mov_b32 s8, 0
	s_branch .LBB170_347
.LBB170_344:
	s_and_b32 s7, s10, 0xff
	s_delay_alu instid0(VALU_DEP_1) | instid1(SALU_CYCLE_1)
	v_max_u16 v5, v6, s7
	s_and_b32 s7, s3, 0xff
	s_delay_alu instid0(VALU_DEP_1) | instid1(SALU_CYCLE_1)
	v_min_u16 v5, v5, s7
	s_cbranch_execz .LBB170_338
	s_branch .LBB170_339
.LBB170_345:
	s_mov_b32 s8, 0
                                        ; implicit-def: $vgpr5
	s_cbranch_execnz .LBB170_348
	s_branch .LBB170_349
.LBB170_346:
	s_mov_b32 s8, -1
                                        ; implicit-def: $vgpr5
.LBB170_347:
	s_branch .LBB170_349
.LBB170_348:
	s_cmp_lg_u32 s9, 0
	s_mov_b32 s7, -1
	s_cselect_b32 s8, -1, 0
.LBB170_349:
	v_and_b32_e32 v6, 0xff, v15
	s_and_not1_b32 vcc_lo, exec_lo, s8
	s_cbranch_vccz .LBB170_357
; %bb.350:
	s_and_not1_b32 vcc_lo, exec_lo, s7
	s_cbranch_vccnz .LBB170_352
.LBB170_351:
	s_and_b32 s7, s10, 0xff
	s_delay_alu instid0(SALU_CYCLE_1)
	v_max_u16 v5, v6, s7
.LBB170_352:
	s_delay_alu instid0(VALU_DEP_1)
	v_perm_b32 v4, v4, v5, 0x7000504
.LBB170_353:
	s_or_b32 exec_lo, exec_lo, s6
	v_or_b32_e32 v5, 0xb00, v0
	s_mov_b32 s6, exec_lo
	s_delay_alu instid0(VALU_DEP_1)
	v_cmpx_gt_i32_e64 s1, v5
	s_cbranch_execz .LBB170_366
; %bb.354:
	s_cmp_lt_i32 s9, 1
	s_mov_b32 s7, 0
	s_cbranch_scc1 .LBB170_358
; %bb.355:
	s_cmp_eq_u32 s9, 1
	s_cbranch_scc0 .LBB170_359
; %bb.356:
	v_and_b32_e32 v5, 0xff, v14
	s_and_b32 s8, s10, 0xff
	s_delay_alu instid0(VALU_DEP_1) | instid1(SALU_CYCLE_1)
	v_min_u16 v5, v5, s8
	s_mov_b32 s8, 0
	s_branch .LBB170_360
.LBB170_357:
	s_and_b32 s7, s10, 0xff
	s_delay_alu instid0(VALU_DEP_1) | instid1(SALU_CYCLE_1)
	v_max_u16 v5, v6, s7
	s_and_b32 s7, s3, 0xff
	s_delay_alu instid0(VALU_DEP_1) | instid1(SALU_CYCLE_1)
	v_min_u16 v5, v5, s7
	s_cbranch_execz .LBB170_351
	s_branch .LBB170_352
.LBB170_358:
	s_mov_b32 s8, 0
                                        ; implicit-def: $vgpr5
	s_cbranch_execnz .LBB170_361
	s_branch .LBB170_362
.LBB170_359:
	s_mov_b32 s8, -1
                                        ; implicit-def: $vgpr5
.LBB170_360:
	s_branch .LBB170_362
.LBB170_361:
	s_cmp_lg_u32 s9, 0
	s_mov_b32 s7, -1
	s_cselect_b32 s8, -1, 0
.LBB170_362:
	v_and_b32_e32 v6, 0xff, v14
	s_and_not1_b32 vcc_lo, exec_lo, s8
	s_cbranch_vccz .LBB170_370
; %bb.363:
	s_and_not1_b32 vcc_lo, exec_lo, s7
	s_cbranch_vccnz .LBB170_365
.LBB170_364:
	s_and_b32 s7, s10, 0xff
	s_delay_alu instid0(SALU_CYCLE_1)
	v_max_u16 v5, v6, s7
.LBB170_365:
	s_delay_alu instid0(VALU_DEP_1)
	v_perm_b32 v4, v4, v5, 0x60504
.LBB170_366:
	s_or_b32 exec_lo, exec_lo, s6
	v_or_b32_e32 v5, 0xc00, v0
	s_mov_b32 s6, exec_lo
	s_delay_alu instid0(VALU_DEP_1)
	v_cmpx_gt_i32_e64 s1, v5
	s_cbranch_execz .LBB170_379
; %bb.367:
	s_cmp_lt_i32 s9, 1
	s_mov_b32 s7, 0
	s_cbranch_scc1 .LBB170_371
; %bb.368:
	s_cmp_eq_u32 s9, 1
	s_cbranch_scc0 .LBB170_372
; %bb.369:
	v_and_b32_e32 v5, 0xff, v13
	s_and_b32 s8, s10, 0xff
	s_delay_alu instid0(VALU_DEP_1) | instid1(SALU_CYCLE_1)
	v_min_u16 v5, v5, s8
	s_mov_b32 s8, 0
	s_branch .LBB170_373
.LBB170_370:
	s_and_b32 s7, s10, 0xff
	s_delay_alu instid0(VALU_DEP_1) | instid1(SALU_CYCLE_1)
	v_max_u16 v5, v6, s7
	s_and_b32 s7, s3, 0xff
	s_delay_alu instid0(VALU_DEP_1) | instid1(SALU_CYCLE_1)
	v_min_u16 v5, v5, s7
	s_cbranch_execz .LBB170_364
	s_branch .LBB170_365
.LBB170_371:
	s_mov_b32 s8, 0
                                        ; implicit-def: $vgpr5
	s_cbranch_execnz .LBB170_374
	s_branch .LBB170_375
.LBB170_372:
	s_mov_b32 s8, -1
                                        ; implicit-def: $vgpr5
.LBB170_373:
	s_branch .LBB170_375
.LBB170_374:
	s_cmp_lg_u32 s9, 0
	s_mov_b32 s7, -1
	s_cselect_b32 s8, -1, 0
.LBB170_375:
	v_and_b32_e32 v6, 0xff, v13
	s_and_not1_b32 vcc_lo, exec_lo, s8
	s_cbranch_vccz .LBB170_383
; %bb.376:
	s_and_not1_b32 vcc_lo, exec_lo, s7
	s_cbranch_vccnz .LBB170_378
.LBB170_377:
	s_and_b32 s7, s10, 0xff
	s_delay_alu instid0(SALU_CYCLE_1)
	v_max_u16 v5, v6, s7
.LBB170_378:
	s_delay_alu instid0(VALU_DEP_1)
	v_perm_b32 v3, v5, v3, 0x3020104
.LBB170_379:
	s_or_b32 exec_lo, exec_lo, s6
	v_or_b32_e32 v5, 0xd00, v0
	s_mov_b32 s6, exec_lo
	s_delay_alu instid0(VALU_DEP_1)
	v_cmpx_gt_i32_e64 s1, v5
	s_cbranch_execz .LBB170_392
; %bb.380:
	s_cmp_lt_i32 s9, 1
	s_mov_b32 s7, 0
	s_cbranch_scc1 .LBB170_384
; %bb.381:
	s_cmp_eq_u32 s9, 1
	s_cbranch_scc0 .LBB170_385
; %bb.382:
	v_and_b32_e32 v5, 0xff, v12
	s_and_b32 s8, s10, 0xff
	s_delay_alu instid0(VALU_DEP_1) | instid1(SALU_CYCLE_1)
	v_min_u16 v5, v5, s8
	s_mov_b32 s8, 0
	s_branch .LBB170_386
.LBB170_383:
	s_and_b32 s7, s10, 0xff
	s_delay_alu instid0(VALU_DEP_1) | instid1(SALU_CYCLE_1)
	v_max_u16 v5, v6, s7
	s_and_b32 s7, s3, 0xff
	s_delay_alu instid0(VALU_DEP_1) | instid1(SALU_CYCLE_1)
	v_min_u16 v5, v5, s7
	s_cbranch_execz .LBB170_377
	s_branch .LBB170_378
.LBB170_384:
	s_mov_b32 s8, 0
                                        ; implicit-def: $vgpr5
	s_cbranch_execnz .LBB170_387
	s_branch .LBB170_388
.LBB170_385:
	s_mov_b32 s8, -1
                                        ; implicit-def: $vgpr5
.LBB170_386:
	s_branch .LBB170_388
.LBB170_387:
	s_cmp_lg_u32 s9, 0
	s_mov_b32 s7, -1
	s_cselect_b32 s8, -1, 0
.LBB170_388:
	v_and_b32_e32 v6, 0xff, v12
	s_and_not1_b32 vcc_lo, exec_lo, s8
	s_cbranch_vccz .LBB170_396
; %bb.389:
	s_and_not1_b32 vcc_lo, exec_lo, s7
	s_cbranch_vccnz .LBB170_391
.LBB170_390:
	s_and_b32 s7, s10, 0xff
	s_delay_alu instid0(SALU_CYCLE_1)
	v_max_u16 v5, v6, s7
.LBB170_391:
	s_delay_alu instid0(VALU_DEP_1)
	v_perm_b32 v3, v3, v5, 0x7060004
.LBB170_392:
	s_or_b32 exec_lo, exec_lo, s6
	v_or_b32_e32 v5, 0xe00, v0
	s_mov_b32 s6, exec_lo
	s_delay_alu instid0(VALU_DEP_1)
	v_cmpx_gt_i32_e64 s1, v5
	s_cbranch_execz .LBB170_405
; %bb.393:
	s_cmp_lt_i32 s9, 1
	s_mov_b32 s7, 0
	s_cbranch_scc1 .LBB170_397
; %bb.394:
	s_cmp_eq_u32 s9, 1
	s_cbranch_scc0 .LBB170_398
; %bb.395:
	v_and_b32_e32 v5, 0xff, v11
	s_and_b32 s8, s10, 0xff
	s_delay_alu instid0(VALU_DEP_1) | instid1(SALU_CYCLE_1)
	v_min_u16 v5, v5, s8
	s_mov_b32 s8, 0
	s_branch .LBB170_399
.LBB170_396:
	s_and_b32 s7, s10, 0xff
	s_delay_alu instid0(VALU_DEP_1) | instid1(SALU_CYCLE_1)
	v_max_u16 v5, v6, s7
	s_and_b32 s7, s3, 0xff
	s_delay_alu instid0(VALU_DEP_1) | instid1(SALU_CYCLE_1)
	v_min_u16 v5, v5, s7
	s_cbranch_execz .LBB170_390
	s_branch .LBB170_391
.LBB170_397:
	s_mov_b32 s8, 0
                                        ; implicit-def: $vgpr5
	s_cbranch_execnz .LBB170_400
	s_branch .LBB170_401
.LBB170_398:
	s_mov_b32 s8, -1
                                        ; implicit-def: $vgpr5
.LBB170_399:
	s_branch .LBB170_401
.LBB170_400:
	s_cmp_lg_u32 s9, 0
	s_mov_b32 s7, -1
	s_cselect_b32 s8, -1, 0
.LBB170_401:
	v_and_b32_e32 v6, 0xff, v11
	s_and_not1_b32 vcc_lo, exec_lo, s8
	s_cbranch_vccz .LBB170_409
; %bb.402:
	s_and_not1_b32 vcc_lo, exec_lo, s7
	s_cbranch_vccnz .LBB170_404
.LBB170_403:
	s_and_b32 s7, s10, 0xff
	s_delay_alu instid0(SALU_CYCLE_1)
	v_max_u16 v5, v6, s7
.LBB170_404:
	s_delay_alu instid0(VALU_DEP_1)
	v_perm_b32 v3, v3, v5, 0x7000504
.LBB170_405:
	s_or_b32 exec_lo, exec_lo, s6
	v_or_b32_e32 v5, 0xf00, v0
	s_mov_b32 s6, exec_lo
	s_delay_alu instid0(VALU_DEP_1)
	v_cmpx_gt_i32_e64 s1, v5
	s_cbranch_execz .LBB170_418
; %bb.406:
	s_cmp_lt_i32 s9, 1
	s_mov_b32 s7, 0
	s_cbranch_scc1 .LBB170_410
; %bb.407:
	s_cmp_eq_u32 s9, 1
	s_cbranch_scc0 .LBB170_411
; %bb.408:
	v_and_b32_e32 v5, 0xff, v10
	s_and_b32 s8, s10, 0xff
	s_delay_alu instid0(VALU_DEP_1) | instid1(SALU_CYCLE_1)
	v_min_u16 v5, v5, s8
	s_mov_b32 s8, 0
	s_branch .LBB170_412
.LBB170_409:
	s_and_b32 s7, s10, 0xff
	s_delay_alu instid0(VALU_DEP_1) | instid1(SALU_CYCLE_1)
	v_max_u16 v5, v6, s7
	s_and_b32 s7, s3, 0xff
	s_delay_alu instid0(VALU_DEP_1) | instid1(SALU_CYCLE_1)
	v_min_u16 v5, v5, s7
	s_cbranch_execz .LBB170_403
	s_branch .LBB170_404
.LBB170_410:
	s_mov_b32 s8, 0
                                        ; implicit-def: $vgpr5
	s_cbranch_execnz .LBB170_413
	s_branch .LBB170_414
.LBB170_411:
	s_mov_b32 s8, -1
                                        ; implicit-def: $vgpr5
.LBB170_412:
	s_branch .LBB170_414
.LBB170_413:
	s_cmp_lg_u32 s9, 0
	s_mov_b32 s7, -1
	s_cselect_b32 s8, -1, 0
.LBB170_414:
	v_and_b32_e32 v6, 0xff, v10
	s_and_not1_b32 vcc_lo, exec_lo, s8
	s_cbranch_vccz .LBB170_451
; %bb.415:
	s_and_not1_b32 vcc_lo, exec_lo, s7
	s_cbranch_vccnz .LBB170_417
.LBB170_416:
	s_and_b32 s3, s10, 0xff
	s_delay_alu instid0(SALU_CYCLE_1)
	v_max_u16 v5, v6, s3
.LBB170_417:
	s_delay_alu instid0(VALU_DEP_1)
	v_perm_b32 v3, v3, v5, 0x60504
.LBB170_418:
	s_or_b32 exec_lo, exec_lo, s6
	s_and_saveexec_b32 s3, s0
	s_delay_alu instid0(SALU_CYCLE_1)
	s_xor_b32 s0, exec_lo, s3
	s_cbranch_execz .LBB170_420
; %bb.419:
	v_mov_b32_e32 v0, v9
	global_store_b8 v8, v2, s[4:5]
.LBB170_420:
	s_wait_xcnt 0x0
	s_or_b32 exec_lo, exec_lo, s0
	s_delay_alu instid0(SALU_CYCLE_1)
	s_mov_b32 s0, exec_lo
	v_cmpx_gt_i32_e64 s1, v0
	s_cbranch_execnz .LBB170_437
; %bb.421:
	s_or_b32 exec_lo, exec_lo, s0
	s_delay_alu instid0(SALU_CYCLE_1)
	s_mov_b32 s0, exec_lo
	v_cmpx_gt_i32_e64 s1, v0
	s_cbranch_execnz .LBB170_438
.LBB170_422:
	s_or_b32 exec_lo, exec_lo, s0
	s_delay_alu instid0(SALU_CYCLE_1)
	s_mov_b32 s0, exec_lo
	v_cmpx_gt_i32_e64 s1, v0
	s_cbranch_execnz .LBB170_439
.LBB170_423:
	s_or_b32 exec_lo, exec_lo, s0
	s_delay_alu instid0(SALU_CYCLE_1)
	s_mov_b32 s0, exec_lo
	v_cmpx_gt_i32_e64 s1, v0
	s_cbranch_execnz .LBB170_440
.LBB170_424:
	s_or_b32 exec_lo, exec_lo, s0
	s_delay_alu instid0(SALU_CYCLE_1)
	s_mov_b32 s0, exec_lo
	v_cmpx_gt_i32_e64 s1, v0
	s_cbranch_execnz .LBB170_441
.LBB170_425:
	s_or_b32 exec_lo, exec_lo, s0
	s_delay_alu instid0(SALU_CYCLE_1)
	s_mov_b32 s0, exec_lo
	v_cmpx_gt_i32_e64 s1, v0
	s_cbranch_execnz .LBB170_442
.LBB170_426:
	s_or_b32 exec_lo, exec_lo, s0
	s_delay_alu instid0(SALU_CYCLE_1)
	s_mov_b32 s0, exec_lo
	v_cmpx_gt_i32_e64 s1, v0
	s_cbranch_execnz .LBB170_443
.LBB170_427:
	s_or_b32 exec_lo, exec_lo, s0
	s_delay_alu instid0(SALU_CYCLE_1)
	s_mov_b32 s0, exec_lo
	v_cmpx_gt_i32_e64 s1, v0
	s_cbranch_execnz .LBB170_444
.LBB170_428:
	s_or_b32 exec_lo, exec_lo, s0
	s_delay_alu instid0(SALU_CYCLE_1)
	s_mov_b32 s0, exec_lo
	v_cmpx_gt_i32_e64 s1, v0
	s_cbranch_execnz .LBB170_445
.LBB170_429:
	s_or_b32 exec_lo, exec_lo, s0
	s_delay_alu instid0(SALU_CYCLE_1)
	s_mov_b32 s0, exec_lo
	v_cmpx_gt_i32_e64 s1, v0
	s_cbranch_execnz .LBB170_446
.LBB170_430:
	s_or_b32 exec_lo, exec_lo, s0
	s_delay_alu instid0(SALU_CYCLE_1)
	s_mov_b32 s0, exec_lo
	v_cmpx_gt_i32_e64 s1, v0
	s_cbranch_execnz .LBB170_447
.LBB170_431:
	s_or_b32 exec_lo, exec_lo, s0
	s_delay_alu instid0(SALU_CYCLE_1)
	s_mov_b32 s0, exec_lo
	v_cmpx_gt_i32_e64 s1, v0
	s_cbranch_execnz .LBB170_448
.LBB170_432:
	s_or_b32 exec_lo, exec_lo, s0
	s_delay_alu instid0(SALU_CYCLE_1)
	s_mov_b32 s0, exec_lo
	v_cmpx_gt_i32_e64 s1, v0
	s_cbranch_execnz .LBB170_449
.LBB170_433:
	s_or_b32 exec_lo, exec_lo, s0
	s_delay_alu instid0(SALU_CYCLE_1)
	s_mov_b32 s0, exec_lo
	v_cmpx_gt_i32_e64 s1, v0
	s_cbranch_execnz .LBB170_450
.LBB170_434:
	s_or_b32 exec_lo, exec_lo, s0
	s_delay_alu instid0(SALU_CYCLE_1)
	s_mov_b32 s0, exec_lo
	v_cmpx_gt_i32_e64 s1, v0
	s_cbranch_execz .LBB170_436
.LBB170_435:
	v_dual_lshrrev_b32 v1, 24, v3 :: v_dual_add_nc_u32 v0, s2, v0
	global_store_b8 v0, v1, s[4:5]
.LBB170_436:
	s_endpgm
.LBB170_437:
	v_dual_lshrrev_b32 v5, 8, v2 :: v_dual_add_nc_u32 v6, s2, v0
	v_add_nc_u32_e32 v0, 0x100, v0
	global_store_b8 v6, v5, s[4:5]
	s_wait_xcnt 0x0
	s_or_b32 exec_lo, exec_lo, s0
	s_delay_alu instid0(SALU_CYCLE_1)
	s_mov_b32 s0, exec_lo
	v_cmpx_gt_i32_e64 s1, v0
	s_cbranch_execz .LBB170_422
.LBB170_438:
	v_add_nc_u32_e32 v5, s2, v0
	v_add_nc_u32_e32 v0, 0x100, v0
	global_store_d16_hi_b8 v5, v2, s[4:5]
	s_wait_xcnt 0x0
	s_or_b32 exec_lo, exec_lo, s0
	s_delay_alu instid0(SALU_CYCLE_1)
	s_mov_b32 s0, exec_lo
	v_cmpx_gt_i32_e64 s1, v0
	s_cbranch_execz .LBB170_423
.LBB170_439:
	v_dual_lshrrev_b32 v2, 24, v2 :: v_dual_add_nc_u32 v5, s2, v0
	v_add_nc_u32_e32 v0, 0x100, v0
	global_store_b8 v5, v2, s[4:5]
	s_wait_xcnt 0x0
	s_or_b32 exec_lo, exec_lo, s0
	s_delay_alu instid0(SALU_CYCLE_1)
	s_mov_b32 s0, exec_lo
	v_cmpx_gt_i32_e64 s1, v0
	s_cbranch_execz .LBB170_424
.LBB170_440:
	v_add_nc_u32_e32 v2, s2, v0
	v_add_nc_u32_e32 v0, 0x100, v0
	global_store_b8 v2, v1, s[4:5]
	s_wait_xcnt 0x0
	s_or_b32 exec_lo, exec_lo, s0
	s_delay_alu instid0(SALU_CYCLE_1)
	s_mov_b32 s0, exec_lo
	v_cmpx_gt_i32_e64 s1, v0
	s_cbranch_execz .LBB170_425
.LBB170_441:
	v_dual_lshrrev_b32 v2, 8, v1 :: v_dual_add_nc_u32 v5, s2, v0
	v_add_nc_u32_e32 v0, 0x100, v0
	global_store_b8 v5, v2, s[4:5]
	s_wait_xcnt 0x0
	s_or_b32 exec_lo, exec_lo, s0
	s_delay_alu instid0(SALU_CYCLE_1)
	s_mov_b32 s0, exec_lo
	v_cmpx_gt_i32_e64 s1, v0
	s_cbranch_execz .LBB170_426
.LBB170_442:
	v_add_nc_u32_e32 v2, s2, v0
	v_add_nc_u32_e32 v0, 0x100, v0
	global_store_d16_hi_b8 v2, v1, s[4:5]
	s_wait_xcnt 0x0
	s_or_b32 exec_lo, exec_lo, s0
	s_delay_alu instid0(SALU_CYCLE_1)
	s_mov_b32 s0, exec_lo
	v_cmpx_gt_i32_e64 s1, v0
	s_cbranch_execz .LBB170_427
.LBB170_443:
	v_dual_lshrrev_b32 v1, 24, v1 :: v_dual_add_nc_u32 v2, s2, v0
	v_add_nc_u32_e32 v0, 0x100, v0
	global_store_b8 v2, v1, s[4:5]
	s_wait_xcnt 0x0
	s_or_b32 exec_lo, exec_lo, s0
	s_delay_alu instid0(SALU_CYCLE_1)
	s_mov_b32 s0, exec_lo
	v_cmpx_gt_i32_e64 s1, v0
	s_cbranch_execz .LBB170_428
.LBB170_444:
	v_add_nc_u32_e32 v1, s2, v0
	v_add_nc_u32_e32 v0, 0x100, v0
	global_store_b8 v1, v4, s[4:5]
	s_wait_xcnt 0x0
	s_or_b32 exec_lo, exec_lo, s0
	s_delay_alu instid0(SALU_CYCLE_1)
	s_mov_b32 s0, exec_lo
	v_cmpx_gt_i32_e64 s1, v0
	s_cbranch_execz .LBB170_429
.LBB170_445:
	v_lshrrev_b32_e32 v1, 8, v4
	v_add_nc_u32_e32 v2, s2, v0
	v_add_nc_u32_e32 v0, 0x100, v0
	global_store_b8 v2, v1, s[4:5]
	s_wait_xcnt 0x0
	s_or_b32 exec_lo, exec_lo, s0
	s_delay_alu instid0(SALU_CYCLE_1)
	s_mov_b32 s0, exec_lo
	v_cmpx_gt_i32_e64 s1, v0
	s_cbranch_execz .LBB170_430
.LBB170_446:
	v_add_nc_u32_e32 v1, s2, v0
	v_add_nc_u32_e32 v0, 0x100, v0
	global_store_d16_hi_b8 v1, v4, s[4:5]
	s_wait_xcnt 0x0
	s_or_b32 exec_lo, exec_lo, s0
	s_delay_alu instid0(SALU_CYCLE_1)
	s_mov_b32 s0, exec_lo
	v_cmpx_gt_i32_e64 s1, v0
	s_cbranch_execz .LBB170_431
.LBB170_447:
	v_lshrrev_b32_e32 v1, 24, v4
	v_add_nc_u32_e32 v2, s2, v0
	v_add_nc_u32_e32 v0, 0x100, v0
	global_store_b8 v2, v1, s[4:5]
	s_wait_xcnt 0x0
	s_or_b32 exec_lo, exec_lo, s0
	s_delay_alu instid0(SALU_CYCLE_1)
	s_mov_b32 s0, exec_lo
	v_cmpx_gt_i32_e64 s1, v0
	s_cbranch_execz .LBB170_432
.LBB170_448:
	v_add_nc_u32_e32 v1, s2, v0
	v_add_nc_u32_e32 v0, 0x100, v0
	global_store_b8 v1, v3, s[4:5]
	s_wait_xcnt 0x0
	s_or_b32 exec_lo, exec_lo, s0
	s_delay_alu instid0(SALU_CYCLE_1)
	s_mov_b32 s0, exec_lo
	v_cmpx_gt_i32_e64 s1, v0
	s_cbranch_execz .LBB170_433
.LBB170_449:
	v_dual_lshrrev_b32 v1, 8, v3 :: v_dual_add_nc_u32 v2, s2, v0
	v_add_nc_u32_e32 v0, 0x100, v0
	global_store_b8 v2, v1, s[4:5]
	s_wait_xcnt 0x0
	s_or_b32 exec_lo, exec_lo, s0
	s_delay_alu instid0(SALU_CYCLE_1)
	s_mov_b32 s0, exec_lo
	v_cmpx_gt_i32_e64 s1, v0
	s_cbranch_execz .LBB170_434
.LBB170_450:
	v_add_nc_u32_e32 v1, s2, v0
	v_add_nc_u32_e32 v0, 0x100, v0
	global_store_d16_hi_b8 v1, v3, s[4:5]
	s_wait_xcnt 0x0
	s_or_b32 exec_lo, exec_lo, s0
	s_delay_alu instid0(SALU_CYCLE_1)
	s_mov_b32 s0, exec_lo
	v_cmpx_gt_i32_e64 s1, v0
	s_cbranch_execnz .LBB170_435
	s_branch .LBB170_436
.LBB170_451:
	s_and_b32 s7, s10, 0xff
	s_and_b32 s3, s3, 0xff
	v_max_u16 v5, v6, s7
	s_delay_alu instid0(VALU_DEP_1)
	v_min_u16 v5, v5, s3
	s_cbranch_execz .LBB170_416
	s_branch .LBB170_417
	.section	.rodata,"a",@progbits
	.p2align	6, 0x0
	.amdhsa_kernel _ZN2at6native29vectorized_elementwise_kernelILi4EZZZNS0_12_GLOBAL__N_119launch_clamp_scalarERNS_18TensorIteratorBaseEN3c106ScalarES6_NS0_6detail11ClampLimitsEENKUlvE_clEvENKUlvE_clEvEUlhE_St5arrayIPcLm2EEEEviT0_T1_
		.amdhsa_group_segment_fixed_size 0
		.amdhsa_private_segment_fixed_size 0
		.amdhsa_kernarg_size 32
		.amdhsa_user_sgpr_count 2
		.amdhsa_user_sgpr_dispatch_ptr 0
		.amdhsa_user_sgpr_queue_ptr 0
		.amdhsa_user_sgpr_kernarg_segment_ptr 1
		.amdhsa_user_sgpr_dispatch_id 0
		.amdhsa_user_sgpr_kernarg_preload_length 0
		.amdhsa_user_sgpr_kernarg_preload_offset 0
		.amdhsa_user_sgpr_private_segment_size 0
		.amdhsa_wavefront_size32 1
		.amdhsa_uses_dynamic_stack 0
		.amdhsa_enable_private_segment 0
		.amdhsa_system_sgpr_workgroup_id_x 1
		.amdhsa_system_sgpr_workgroup_id_y 0
		.amdhsa_system_sgpr_workgroup_id_z 0
		.amdhsa_system_sgpr_workgroup_info 0
		.amdhsa_system_vgpr_workitem_id 0
		.amdhsa_next_free_vgpr 24
		.amdhsa_next_free_sgpr 23
		.amdhsa_named_barrier_count 0
		.amdhsa_reserve_vcc 1
		.amdhsa_float_round_mode_32 0
		.amdhsa_float_round_mode_16_64 0
		.amdhsa_float_denorm_mode_32 3
		.amdhsa_float_denorm_mode_16_64 3
		.amdhsa_fp16_overflow 0
		.amdhsa_memory_ordered 1
		.amdhsa_forward_progress 1
		.amdhsa_inst_pref_size 76
		.amdhsa_round_robin_scheduling 0
		.amdhsa_exception_fp_ieee_invalid_op 0
		.amdhsa_exception_fp_denorm_src 0
		.amdhsa_exception_fp_ieee_div_zero 0
		.amdhsa_exception_fp_ieee_overflow 0
		.amdhsa_exception_fp_ieee_underflow 0
		.amdhsa_exception_fp_ieee_inexact 0
		.amdhsa_exception_int_div_zero 0
	.end_amdhsa_kernel
	.section	.text._ZN2at6native29vectorized_elementwise_kernelILi4EZZZNS0_12_GLOBAL__N_119launch_clamp_scalarERNS_18TensorIteratorBaseEN3c106ScalarES6_NS0_6detail11ClampLimitsEENKUlvE_clEvENKUlvE_clEvEUlhE_St5arrayIPcLm2EEEEviT0_T1_,"axG",@progbits,_ZN2at6native29vectorized_elementwise_kernelILi4EZZZNS0_12_GLOBAL__N_119launch_clamp_scalarERNS_18TensorIteratorBaseEN3c106ScalarES6_NS0_6detail11ClampLimitsEENKUlvE_clEvENKUlvE_clEvEUlhE_St5arrayIPcLm2EEEEviT0_T1_,comdat
.Lfunc_end170:
	.size	_ZN2at6native29vectorized_elementwise_kernelILi4EZZZNS0_12_GLOBAL__N_119launch_clamp_scalarERNS_18TensorIteratorBaseEN3c106ScalarES6_NS0_6detail11ClampLimitsEENKUlvE_clEvENKUlvE_clEvEUlhE_St5arrayIPcLm2EEEEviT0_T1_, .Lfunc_end170-_ZN2at6native29vectorized_elementwise_kernelILi4EZZZNS0_12_GLOBAL__N_119launch_clamp_scalarERNS_18TensorIteratorBaseEN3c106ScalarES6_NS0_6detail11ClampLimitsEENKUlvE_clEvENKUlvE_clEvEUlhE_St5arrayIPcLm2EEEEviT0_T1_
                                        ; -- End function
	.set _ZN2at6native29vectorized_elementwise_kernelILi4EZZZNS0_12_GLOBAL__N_119launch_clamp_scalarERNS_18TensorIteratorBaseEN3c106ScalarES6_NS0_6detail11ClampLimitsEENKUlvE_clEvENKUlvE_clEvEUlhE_St5arrayIPcLm2EEEEviT0_T1_.num_vgpr, 24
	.set _ZN2at6native29vectorized_elementwise_kernelILi4EZZZNS0_12_GLOBAL__N_119launch_clamp_scalarERNS_18TensorIteratorBaseEN3c106ScalarES6_NS0_6detail11ClampLimitsEENKUlvE_clEvENKUlvE_clEvEUlhE_St5arrayIPcLm2EEEEviT0_T1_.num_agpr, 0
	.set _ZN2at6native29vectorized_elementwise_kernelILi4EZZZNS0_12_GLOBAL__N_119launch_clamp_scalarERNS_18TensorIteratorBaseEN3c106ScalarES6_NS0_6detail11ClampLimitsEENKUlvE_clEvENKUlvE_clEvEUlhE_St5arrayIPcLm2EEEEviT0_T1_.numbered_sgpr, 23
	.set _ZN2at6native29vectorized_elementwise_kernelILi4EZZZNS0_12_GLOBAL__N_119launch_clamp_scalarERNS_18TensorIteratorBaseEN3c106ScalarES6_NS0_6detail11ClampLimitsEENKUlvE_clEvENKUlvE_clEvEUlhE_St5arrayIPcLm2EEEEviT0_T1_.num_named_barrier, 0
	.set _ZN2at6native29vectorized_elementwise_kernelILi4EZZZNS0_12_GLOBAL__N_119launch_clamp_scalarERNS_18TensorIteratorBaseEN3c106ScalarES6_NS0_6detail11ClampLimitsEENKUlvE_clEvENKUlvE_clEvEUlhE_St5arrayIPcLm2EEEEviT0_T1_.private_seg_size, 0
	.set _ZN2at6native29vectorized_elementwise_kernelILi4EZZZNS0_12_GLOBAL__N_119launch_clamp_scalarERNS_18TensorIteratorBaseEN3c106ScalarES6_NS0_6detail11ClampLimitsEENKUlvE_clEvENKUlvE_clEvEUlhE_St5arrayIPcLm2EEEEviT0_T1_.uses_vcc, 1
	.set _ZN2at6native29vectorized_elementwise_kernelILi4EZZZNS0_12_GLOBAL__N_119launch_clamp_scalarERNS_18TensorIteratorBaseEN3c106ScalarES6_NS0_6detail11ClampLimitsEENKUlvE_clEvENKUlvE_clEvEUlhE_St5arrayIPcLm2EEEEviT0_T1_.uses_flat_scratch, 0
	.set _ZN2at6native29vectorized_elementwise_kernelILi4EZZZNS0_12_GLOBAL__N_119launch_clamp_scalarERNS_18TensorIteratorBaseEN3c106ScalarES6_NS0_6detail11ClampLimitsEENKUlvE_clEvENKUlvE_clEvEUlhE_St5arrayIPcLm2EEEEviT0_T1_.has_dyn_sized_stack, 0
	.set _ZN2at6native29vectorized_elementwise_kernelILi4EZZZNS0_12_GLOBAL__N_119launch_clamp_scalarERNS_18TensorIteratorBaseEN3c106ScalarES6_NS0_6detail11ClampLimitsEENKUlvE_clEvENKUlvE_clEvEUlhE_St5arrayIPcLm2EEEEviT0_T1_.has_recursion, 0
	.set _ZN2at6native29vectorized_elementwise_kernelILi4EZZZNS0_12_GLOBAL__N_119launch_clamp_scalarERNS_18TensorIteratorBaseEN3c106ScalarES6_NS0_6detail11ClampLimitsEENKUlvE_clEvENKUlvE_clEvEUlhE_St5arrayIPcLm2EEEEviT0_T1_.has_indirect_call, 0
	.section	.AMDGPU.csdata,"",@progbits
; Kernel info:
; codeLenInByte = 9656
; TotalNumSgprs: 25
; NumVgprs: 24
; ScratchSize: 0
; MemoryBound: 0
; FloatMode: 240
; IeeeMode: 1
; LDSByteSize: 0 bytes/workgroup (compile time only)
; SGPRBlocks: 0
; VGPRBlocks: 1
; NumSGPRsForWavesPerEU: 25
; NumVGPRsForWavesPerEU: 24
; NamedBarCnt: 0
; Occupancy: 16
; WaveLimiterHint : 1
; COMPUTE_PGM_RSRC2:SCRATCH_EN: 0
; COMPUTE_PGM_RSRC2:USER_SGPR: 2
; COMPUTE_PGM_RSRC2:TRAP_HANDLER: 0
; COMPUTE_PGM_RSRC2:TGID_X_EN: 1
; COMPUTE_PGM_RSRC2:TGID_Y_EN: 0
; COMPUTE_PGM_RSRC2:TGID_Z_EN: 0
; COMPUTE_PGM_RSRC2:TIDIG_COMP_CNT: 0
	.section	.text._ZN2at6native29vectorized_elementwise_kernelILi2EZZZNS0_12_GLOBAL__N_119launch_clamp_scalarERNS_18TensorIteratorBaseEN3c106ScalarES6_NS0_6detail11ClampLimitsEENKUlvE_clEvENKUlvE_clEvEUlhE_St5arrayIPcLm2EEEEviT0_T1_,"axG",@progbits,_ZN2at6native29vectorized_elementwise_kernelILi2EZZZNS0_12_GLOBAL__N_119launch_clamp_scalarERNS_18TensorIteratorBaseEN3c106ScalarES6_NS0_6detail11ClampLimitsEENKUlvE_clEvENKUlvE_clEvEUlhE_St5arrayIPcLm2EEEEviT0_T1_,comdat
	.globl	_ZN2at6native29vectorized_elementwise_kernelILi2EZZZNS0_12_GLOBAL__N_119launch_clamp_scalarERNS_18TensorIteratorBaseEN3c106ScalarES6_NS0_6detail11ClampLimitsEENKUlvE_clEvENKUlvE_clEvEUlhE_St5arrayIPcLm2EEEEviT0_T1_ ; -- Begin function _ZN2at6native29vectorized_elementwise_kernelILi2EZZZNS0_12_GLOBAL__N_119launch_clamp_scalarERNS_18TensorIteratorBaseEN3c106ScalarES6_NS0_6detail11ClampLimitsEENKUlvE_clEvENKUlvE_clEvEUlhE_St5arrayIPcLm2EEEEviT0_T1_
	.p2align	8
	.type	_ZN2at6native29vectorized_elementwise_kernelILi2EZZZNS0_12_GLOBAL__N_119launch_clamp_scalarERNS_18TensorIteratorBaseEN3c106ScalarES6_NS0_6detail11ClampLimitsEENKUlvE_clEvENKUlvE_clEvEUlhE_St5arrayIPcLm2EEEEviT0_T1_,@function
_ZN2at6native29vectorized_elementwise_kernelILi2EZZZNS0_12_GLOBAL__N_119launch_clamp_scalarERNS_18TensorIteratorBaseEN3c106ScalarES6_NS0_6detail11ClampLimitsEENKUlvE_clEvENKUlvE_clEvEUlhE_St5arrayIPcLm2EEEEviT0_T1_: ; @_ZN2at6native29vectorized_elementwise_kernelILi2EZZZNS0_12_GLOBAL__N_119launch_clamp_scalarERNS_18TensorIteratorBaseEN3c106ScalarES6_NS0_6detail11ClampLimitsEENKUlvE_clEvENKUlvE_clEvEUlhE_St5arrayIPcLm2EEEEviT0_T1_
; %bb.0:
	s_clause 0x1
	s_load_b96 s[8:10], s[0:1], 0x0
	s_load_b128 s[4:7], s[0:1], 0x10
	s_wait_xcnt 0x0
	s_bfe_u32 s0, ttmp6, 0x4000c
	s_and_b32 s1, ttmp6, 15
	s_add_co_i32 s0, s0, 1
	s_getreg_b32 s2, hwreg(HW_REG_IB_STS2, 6, 4)
	s_mul_i32 s0, ttmp9, s0
	s_mov_b32 s3, -1
	s_add_co_i32 s1, s1, s0
	s_cmp_eq_u32 s2, 0
	s_cselect_b32 s0, ttmp9, s1
	s_delay_alu instid0(SALU_CYCLE_1) | instskip(SKIP_3) | instid1(SALU_CYCLE_1)
	s_lshl_b32 s2, s0, 12
	s_mov_b32 s0, 0
	s_wait_kmcnt 0x0
	s_sub_co_i32 s1, s8, s2
	s_cmp_gt_i32 s1, 0xfff
	s_cbranch_scc0 .LBB171_177
; %bb.1:
	s_ashr_i32 s3, s2, 31
	s_cmp_lt_i32 s9, 1
	s_add_nc_u64 s[12:13], s[6:7], s[2:3]
	s_clause 0x7
	global_load_u16 v4, v0, s[12:13] scale_offset
	global_load_u16 v7, v0, s[12:13] offset:512 scale_offset
	global_load_u16 v10, v0, s[12:13] offset:1024 scale_offset
	global_load_u16 v13, v0, s[12:13] offset:1536 scale_offset
	global_load_u16 v11, v0, s[12:13] offset:2048 scale_offset
	global_load_u16 v8, v0, s[12:13] offset:2560 scale_offset
	global_load_u16 v5, v0, s[12:13] offset:3072 scale_offset
	global_load_u16 v2, v0, s[12:13] offset:3584 scale_offset
	s_cbranch_scc1 .LBB171_4
; %bb.2:
	s_cmp_eq_u32 s9, 1
	s_cbranch_scc0 .LBB171_5
; %bb.3:
	s_wait_loadcnt 0x7
	v_and_b32_e32 v1, 0xff, v4
	s_and_b32 s0, s10, 0xff
	s_delay_alu instid0(VALU_DEP_1) | instid1(SALU_CYCLE_1)
	v_min_u16 v1, v1, s0
	s_mov_b32 s0, 0
	s_branch .LBB171_6
.LBB171_4:
                                        ; implicit-def: $vgpr1
	s_mov_b32 s8, 0
	s_cbranch_execnz .LBB171_7
	s_branch .LBB171_8
.LBB171_5:
	s_mov_b32 s0, -1
                                        ; implicit-def: $vgpr1
.LBB171_6:
	s_mov_b32 s8, 0
	s_branch .LBB171_8
.LBB171_7:
	s_cmp_lg_u32 s9, 0
	s_mov_b32 s8, -1
	s_cselect_b32 s0, -1, 0
.LBB171_8:
	s_wait_loadcnt 0x7
	v_and_b32_e32 v3, 0xff, v4
	s_and_not1_b32 vcc_lo, exec_lo, s0
	s_lshr_b32 s0, s10, 8
	s_cbranch_vccz .LBB171_13
; %bb.9:
	s_and_not1_b32 vcc_lo, exec_lo, s8
	s_cbranch_vccz .LBB171_14
.LBB171_10:
	s_cmp_lt_i32 s9, 1
	s_mov_b32 s8, 0
	s_cbranch_scc1 .LBB171_15
.LBB171_11:
	s_cmp_eq_u32 s9, 1
	s_cbranch_scc0 .LBB171_16
; %bb.12:
	v_lshrrev_b16 v3, 8, v4
	s_and_b32 s11, s10, 0xff
	s_delay_alu instid0(VALU_DEP_1) | instid1(SALU_CYCLE_1)
	v_min_u16 v3, v3, s11
	s_mov_b32 s11, 0
	s_branch .LBB171_17
.LBB171_13:
	s_and_b32 s8, s10, 0xff
	s_delay_alu instid0(SALU_CYCLE_1)
	v_max_u16 v1, v3, s8
	s_and_b32 s8, s0, 0xff
	s_delay_alu instid0(VALU_DEP_1) | instid1(SALU_CYCLE_1)
	v_min_u16 v1, v1, s8
	s_cbranch_execnz .LBB171_10
.LBB171_14:
	s_and_b32 s8, s10, 0xff
	s_delay_alu instid0(SALU_CYCLE_1)
	v_max_u16 v1, v3, s8
	s_cmp_lt_i32 s9, 1
	s_mov_b32 s8, 0
	s_cbranch_scc0 .LBB171_11
.LBB171_15:
	s_wait_xcnt 0x0
	s_mov_b32 s11, 0
                                        ; implicit-def: $vgpr3
	s_cbranch_execnz .LBB171_18
	s_branch .LBB171_19
.LBB171_16:
	s_mov_b32 s11, -1
                                        ; implicit-def: $vgpr3
.LBB171_17:
	s_wait_xcnt 0x0
	s_branch .LBB171_19
.LBB171_18:
	s_cmp_lg_u32 s9, 0
	s_mov_b32 s8, -1
	s_cselect_b32 s11, -1, 0
.LBB171_19:
	v_lshrrev_b16 v4, 8, v4
	s_and_not1_b32 vcc_lo, exec_lo, s11
	s_cbranch_vccz .LBB171_24
; %bb.20:
	s_and_not1_b32 vcc_lo, exec_lo, s8
	s_cbranch_vccz .LBB171_25
.LBB171_21:
	s_cmp_lt_i32 s9, 1
	s_mov_b32 s8, 0
	s_cbranch_scc1 .LBB171_26
.LBB171_22:
	s_cmp_eq_u32 s9, 1
	s_cbranch_scc0 .LBB171_27
; %bb.23:
	s_wait_loadcnt 0x6
	v_and_b32_e32 v4, 0xff, v7
	s_and_b32 s11, s10, 0xff
	s_delay_alu instid0(VALU_DEP_1) | instid1(SALU_CYCLE_1)
	v_min_u16 v4, v4, s11
	s_mov_b32 s11, 0
	s_branch .LBB171_28
.LBB171_24:
	s_and_b32 s8, s10, 0xff
	s_delay_alu instid0(VALU_DEP_1) | instid1(SALU_CYCLE_1)
	v_max_u16 v3, v4, s8
	s_and_b32 s8, s0, 0xff
	s_delay_alu instid0(VALU_DEP_1) | instid1(SALU_CYCLE_1)
	v_min_u16 v3, v3, s8
	s_cbranch_execnz .LBB171_21
.LBB171_25:
	s_and_b32 s8, s10, 0xff
	s_delay_alu instid0(SALU_CYCLE_1)
	v_max_u16 v3, v4, s8
	s_cmp_lt_i32 s9, 1
	s_mov_b32 s8, 0
	s_cbranch_scc0 .LBB171_22
.LBB171_26:
	s_mov_b32 s11, 0
                                        ; implicit-def: $vgpr4
	s_cbranch_execnz .LBB171_29
	s_branch .LBB171_30
.LBB171_27:
	s_mov_b32 s11, -1
                                        ; implicit-def: $vgpr4
.LBB171_28:
	s_branch .LBB171_30
.LBB171_29:
	s_cmp_lg_u32 s9, 0
	s_mov_b32 s8, -1
	s_cselect_b32 s11, -1, 0
.LBB171_30:
	s_wait_loadcnt 0x6
	v_and_b32_e32 v6, 0xff, v7
	s_and_not1_b32 vcc_lo, exec_lo, s11
	s_cbranch_vccz .LBB171_35
; %bb.31:
	s_and_not1_b32 vcc_lo, exec_lo, s8
	s_cbranch_vccz .LBB171_36
.LBB171_32:
	s_cmp_lt_i32 s9, 1
	s_mov_b32 s8, 0
	s_cbranch_scc1 .LBB171_37
.LBB171_33:
	s_cmp_eq_u32 s9, 1
	s_cbranch_scc0 .LBB171_38
; %bb.34:
	v_lshrrev_b16 v6, 8, v7
	s_and_b32 s11, s10, 0xff
	s_delay_alu instid0(VALU_DEP_1) | instid1(SALU_CYCLE_1)
	v_min_u16 v6, v6, s11
	s_mov_b32 s11, 0
	s_branch .LBB171_39
.LBB171_35:
	s_and_b32 s8, s10, 0xff
	s_delay_alu instid0(VALU_DEP_1) | instid1(SALU_CYCLE_1)
	v_max_u16 v4, v6, s8
	s_and_b32 s8, s0, 0xff
	s_delay_alu instid0(VALU_DEP_1) | instid1(SALU_CYCLE_1)
	v_min_u16 v4, v4, s8
	s_cbranch_execnz .LBB171_32
.LBB171_36:
	s_and_b32 s8, s10, 0xff
	s_delay_alu instid0(SALU_CYCLE_1)
	v_max_u16 v4, v6, s8
	s_cmp_lt_i32 s9, 1
	s_mov_b32 s8, 0
	s_cbranch_scc0 .LBB171_33
.LBB171_37:
	s_mov_b32 s11, 0
                                        ; implicit-def: $vgpr6
	s_cbranch_execnz .LBB171_40
	s_branch .LBB171_41
.LBB171_38:
	s_mov_b32 s11, -1
                                        ; implicit-def: $vgpr6
.LBB171_39:
	s_branch .LBB171_41
.LBB171_40:
	s_cmp_lg_u32 s9, 0
	s_mov_b32 s8, -1
	s_cselect_b32 s11, -1, 0
.LBB171_41:
	v_lshrrev_b16 v7, 8, v7
	s_and_not1_b32 vcc_lo, exec_lo, s11
	s_cbranch_vccz .LBB171_46
; %bb.42:
	s_and_not1_b32 vcc_lo, exec_lo, s8
	s_cbranch_vccz .LBB171_47
.LBB171_43:
	s_cmp_lt_i32 s9, 1
	s_mov_b32 s8, 0
	s_cbranch_scc1 .LBB171_48
.LBB171_44:
	s_cmp_eq_u32 s9, 1
	s_cbranch_scc0 .LBB171_49
; %bb.45:
	s_wait_loadcnt 0x5
	v_and_b32_e32 v7, 0xff, v10
	s_and_b32 s11, s10, 0xff
	s_delay_alu instid0(VALU_DEP_1) | instid1(SALU_CYCLE_1)
	v_min_u16 v7, v7, s11
	s_mov_b32 s11, 0
	s_branch .LBB171_50
.LBB171_46:
	s_and_b32 s8, s10, 0xff
	s_delay_alu instid0(VALU_DEP_1) | instid1(SALU_CYCLE_1)
	v_max_u16 v6, v7, s8
	s_and_b32 s8, s0, 0xff
	s_delay_alu instid0(VALU_DEP_1) | instid1(SALU_CYCLE_1)
	v_min_u16 v6, v6, s8
	s_cbranch_execnz .LBB171_43
.LBB171_47:
	s_and_b32 s8, s10, 0xff
	s_delay_alu instid0(SALU_CYCLE_1)
	v_max_u16 v6, v7, s8
	s_cmp_lt_i32 s9, 1
	s_mov_b32 s8, 0
	s_cbranch_scc0 .LBB171_44
.LBB171_48:
	s_mov_b32 s11, 0
                                        ; implicit-def: $vgpr7
	s_cbranch_execnz .LBB171_51
	s_branch .LBB171_52
.LBB171_49:
	s_mov_b32 s11, -1
                                        ; implicit-def: $vgpr7
.LBB171_50:
	s_branch .LBB171_52
.LBB171_51:
	s_cmp_lg_u32 s9, 0
	s_mov_b32 s8, -1
	s_cselect_b32 s11, -1, 0
.LBB171_52:
	s_wait_loadcnt 0x5
	v_and_b32_e32 v9, 0xff, v10
	s_and_not1_b32 vcc_lo, exec_lo, s11
	s_cbranch_vccz .LBB171_57
; %bb.53:
	s_and_not1_b32 vcc_lo, exec_lo, s8
	s_cbranch_vccz .LBB171_58
.LBB171_54:
	s_cmp_lt_i32 s9, 1
	s_mov_b32 s8, 0
	s_cbranch_scc1 .LBB171_59
.LBB171_55:
	s_cmp_eq_u32 s9, 1
	s_cbranch_scc0 .LBB171_60
; %bb.56:
	v_lshrrev_b16 v9, 8, v10
	s_and_b32 s11, s10, 0xff
	s_delay_alu instid0(VALU_DEP_1) | instid1(SALU_CYCLE_1)
	v_min_u16 v9, v9, s11
	s_mov_b32 s11, 0
	s_branch .LBB171_61
.LBB171_57:
	s_and_b32 s8, s10, 0xff
	s_delay_alu instid0(VALU_DEP_1) | instid1(SALU_CYCLE_1)
	v_max_u16 v7, v9, s8
	s_and_b32 s8, s0, 0xff
	s_delay_alu instid0(VALU_DEP_1) | instid1(SALU_CYCLE_1)
	v_min_u16 v7, v7, s8
	s_cbranch_execnz .LBB171_54
.LBB171_58:
	s_and_b32 s8, s10, 0xff
	s_delay_alu instid0(SALU_CYCLE_1)
	v_max_u16 v7, v9, s8
	s_cmp_lt_i32 s9, 1
	s_mov_b32 s8, 0
	s_cbranch_scc0 .LBB171_55
.LBB171_59:
	s_mov_b32 s11, 0
                                        ; implicit-def: $vgpr9
	s_cbranch_execnz .LBB171_62
	s_branch .LBB171_63
.LBB171_60:
	s_mov_b32 s11, -1
                                        ; implicit-def: $vgpr9
.LBB171_61:
	s_branch .LBB171_63
.LBB171_62:
	s_cmp_lg_u32 s9, 0
	s_mov_b32 s8, -1
	s_cselect_b32 s11, -1, 0
.LBB171_63:
	v_lshrrev_b16 v10, 8, v10
	s_and_not1_b32 vcc_lo, exec_lo, s11
	s_cbranch_vccz .LBB171_68
; %bb.64:
	s_and_not1_b32 vcc_lo, exec_lo, s8
	s_cbranch_vccz .LBB171_69
.LBB171_65:
	s_cmp_lt_i32 s9, 1
	s_mov_b32 s8, 0
	s_cbranch_scc1 .LBB171_70
.LBB171_66:
	s_cmp_eq_u32 s9, 1
	s_cbranch_scc0 .LBB171_71
; %bb.67:
	s_wait_loadcnt 0x4
	v_and_b32_e32 v10, 0xff, v13
	s_and_b32 s11, s10, 0xff
	s_delay_alu instid0(VALU_DEP_1) | instid1(SALU_CYCLE_1)
	v_min_u16 v10, v10, s11
	s_mov_b32 s11, 0
	s_branch .LBB171_72
.LBB171_68:
	s_and_b32 s8, s10, 0xff
	s_delay_alu instid0(VALU_DEP_1) | instid1(SALU_CYCLE_1)
	v_max_u16 v9, v10, s8
	s_and_b32 s8, s0, 0xff
	s_delay_alu instid0(VALU_DEP_1) | instid1(SALU_CYCLE_1)
	v_min_u16 v9, v9, s8
	s_cbranch_execnz .LBB171_65
.LBB171_69:
	s_and_b32 s8, s10, 0xff
	s_delay_alu instid0(SALU_CYCLE_1)
	v_max_u16 v9, v10, s8
	s_cmp_lt_i32 s9, 1
	s_mov_b32 s8, 0
	s_cbranch_scc0 .LBB171_66
.LBB171_70:
	s_mov_b32 s11, 0
                                        ; implicit-def: $vgpr10
	s_cbranch_execnz .LBB171_73
	s_branch .LBB171_74
.LBB171_71:
	s_mov_b32 s11, -1
                                        ; implicit-def: $vgpr10
.LBB171_72:
	s_branch .LBB171_74
.LBB171_73:
	s_cmp_lg_u32 s9, 0
	s_mov_b32 s8, -1
	s_cselect_b32 s11, -1, 0
.LBB171_74:
	s_wait_loadcnt 0x4
	v_and_b32_e32 v12, 0xff, v13
	s_and_not1_b32 vcc_lo, exec_lo, s11
	s_cbranch_vccz .LBB171_79
; %bb.75:
	s_and_not1_b32 vcc_lo, exec_lo, s8
	s_cbranch_vccz .LBB171_80
.LBB171_76:
	s_cmp_lt_i32 s9, 1
	s_mov_b32 s8, 0
	s_cbranch_scc1 .LBB171_81
.LBB171_77:
	s_cmp_eq_u32 s9, 1
	s_cbranch_scc0 .LBB171_82
; %bb.78:
	v_lshrrev_b16 v12, 8, v13
	s_and_b32 s11, s10, 0xff
	s_delay_alu instid0(VALU_DEP_1) | instid1(SALU_CYCLE_1)
	v_min_u16 v12, v12, s11
	s_mov_b32 s11, 0
	s_branch .LBB171_83
.LBB171_79:
	s_and_b32 s8, s10, 0xff
	s_delay_alu instid0(VALU_DEP_1) | instid1(SALU_CYCLE_1)
	v_max_u16 v10, v12, s8
	s_and_b32 s8, s0, 0xff
	s_delay_alu instid0(VALU_DEP_1) | instid1(SALU_CYCLE_1)
	v_min_u16 v10, v10, s8
	s_cbranch_execnz .LBB171_76
.LBB171_80:
	s_and_b32 s8, s10, 0xff
	s_delay_alu instid0(SALU_CYCLE_1)
	v_max_u16 v10, v12, s8
	s_cmp_lt_i32 s9, 1
	s_mov_b32 s8, 0
	s_cbranch_scc0 .LBB171_77
.LBB171_81:
	s_mov_b32 s11, 0
                                        ; implicit-def: $vgpr12
	s_cbranch_execnz .LBB171_84
	s_branch .LBB171_85
.LBB171_82:
	s_mov_b32 s11, -1
                                        ; implicit-def: $vgpr12
.LBB171_83:
	s_branch .LBB171_85
.LBB171_84:
	s_cmp_lg_u32 s9, 0
	s_mov_b32 s8, -1
	s_cselect_b32 s11, -1, 0
.LBB171_85:
	v_lshrrev_b16 v13, 8, v13
	s_and_not1_b32 vcc_lo, exec_lo, s11
	s_cbranch_vccz .LBB171_90
; %bb.86:
	s_and_not1_b32 vcc_lo, exec_lo, s8
	s_cbranch_vccz .LBB171_91
.LBB171_87:
	s_cmp_lt_i32 s9, 1
	s_mov_b32 s8, 0
	s_cbranch_scc1 .LBB171_92
.LBB171_88:
	s_cmp_eq_u32 s9, 1
	s_cbranch_scc0 .LBB171_93
; %bb.89:
	s_wait_loadcnt 0x3
	v_and_b32_e32 v13, 0xff, v11
	s_and_b32 s11, s10, 0xff
	s_delay_alu instid0(VALU_DEP_1) | instid1(SALU_CYCLE_1)
	v_min_u16 v13, v13, s11
	s_mov_b32 s11, 0
	s_branch .LBB171_94
.LBB171_90:
	s_and_b32 s8, s10, 0xff
	s_delay_alu instid0(VALU_DEP_1) | instid1(SALU_CYCLE_1)
	v_max_u16 v12, v13, s8
	s_and_b32 s8, s0, 0xff
	s_delay_alu instid0(VALU_DEP_1) | instid1(SALU_CYCLE_1)
	v_min_u16 v12, v12, s8
	s_cbranch_execnz .LBB171_87
.LBB171_91:
	s_and_b32 s8, s10, 0xff
	s_delay_alu instid0(SALU_CYCLE_1)
	v_max_u16 v12, v13, s8
	s_cmp_lt_i32 s9, 1
	s_mov_b32 s8, 0
	s_cbranch_scc0 .LBB171_88
.LBB171_92:
	s_mov_b32 s11, 0
                                        ; implicit-def: $vgpr13
	s_cbranch_execnz .LBB171_95
	s_branch .LBB171_96
.LBB171_93:
	s_mov_b32 s11, -1
                                        ; implicit-def: $vgpr13
.LBB171_94:
	s_branch .LBB171_96
.LBB171_95:
	s_cmp_lg_u32 s9, 0
	s_mov_b32 s8, -1
	s_cselect_b32 s11, -1, 0
.LBB171_96:
	s_wait_loadcnt 0x3
	v_and_b32_e32 v14, 0xff, v11
	s_and_not1_b32 vcc_lo, exec_lo, s11
	s_cbranch_vccz .LBB171_101
; %bb.97:
	s_and_not1_b32 vcc_lo, exec_lo, s8
	s_cbranch_vccz .LBB171_102
.LBB171_98:
	s_cmp_lt_i32 s9, 1
	s_mov_b32 s8, 0
	s_cbranch_scc1 .LBB171_103
.LBB171_99:
	s_cmp_eq_u32 s9, 1
	s_cbranch_scc0 .LBB171_104
; %bb.100:
	v_lshrrev_b16 v14, 8, v11
	s_and_b32 s11, s10, 0xff
	s_delay_alu instid0(VALU_DEP_1) | instid1(SALU_CYCLE_1)
	v_min_u16 v14, v14, s11
	s_mov_b32 s11, 0
	s_branch .LBB171_105
.LBB171_101:
	s_and_b32 s8, s10, 0xff
	s_delay_alu instid0(VALU_DEP_1) | instid1(SALU_CYCLE_1)
	v_max_u16 v13, v14, s8
	s_and_b32 s8, s0, 0xff
	s_delay_alu instid0(VALU_DEP_1) | instid1(SALU_CYCLE_1)
	v_min_u16 v13, v13, s8
	s_cbranch_execnz .LBB171_98
.LBB171_102:
	s_and_b32 s8, s10, 0xff
	s_delay_alu instid0(SALU_CYCLE_1)
	v_max_u16 v13, v14, s8
	s_cmp_lt_i32 s9, 1
	s_mov_b32 s8, 0
	s_cbranch_scc0 .LBB171_99
.LBB171_103:
	s_mov_b32 s11, 0
                                        ; implicit-def: $vgpr14
	s_cbranch_execnz .LBB171_106
	s_branch .LBB171_107
.LBB171_104:
	s_mov_b32 s11, -1
                                        ; implicit-def: $vgpr14
.LBB171_105:
	s_branch .LBB171_107
.LBB171_106:
	s_cmp_lg_u32 s9, 0
	s_mov_b32 s8, -1
	s_cselect_b32 s11, -1, 0
.LBB171_107:
	v_lshrrev_b16 v11, 8, v11
	s_and_not1_b32 vcc_lo, exec_lo, s11
	s_cbranch_vccz .LBB171_112
; %bb.108:
	s_and_not1_b32 vcc_lo, exec_lo, s8
	s_cbranch_vccz .LBB171_113
.LBB171_109:
	s_cmp_lt_i32 s9, 1
	s_mov_b32 s8, 0
	s_cbranch_scc1 .LBB171_114
.LBB171_110:
	s_cmp_eq_u32 s9, 1
	s_cbranch_scc0 .LBB171_115
; %bb.111:
	s_wait_loadcnt 0x2
	v_and_b32_e32 v11, 0xff, v8
	s_and_b32 s11, s10, 0xff
	s_delay_alu instid0(VALU_DEP_1) | instid1(SALU_CYCLE_1)
	v_min_u16 v11, v11, s11
	s_mov_b32 s11, 0
	s_branch .LBB171_116
.LBB171_112:
	s_and_b32 s8, s10, 0xff
	s_delay_alu instid0(VALU_DEP_1) | instid1(SALU_CYCLE_1)
	v_max_u16 v14, v11, s8
	s_and_b32 s8, s0, 0xff
	s_delay_alu instid0(VALU_DEP_1) | instid1(SALU_CYCLE_1)
	v_min_u16 v14, v14, s8
	s_cbranch_execnz .LBB171_109
.LBB171_113:
	s_and_b32 s8, s10, 0xff
	s_delay_alu instid0(SALU_CYCLE_1)
	v_max_u16 v14, v11, s8
	s_cmp_lt_i32 s9, 1
	s_mov_b32 s8, 0
	s_cbranch_scc0 .LBB171_110
.LBB171_114:
	s_mov_b32 s11, 0
                                        ; implicit-def: $vgpr11
	s_cbranch_execnz .LBB171_117
	s_branch .LBB171_118
.LBB171_115:
	s_mov_b32 s11, -1
                                        ; implicit-def: $vgpr11
.LBB171_116:
	s_branch .LBB171_118
.LBB171_117:
	s_cmp_lg_u32 s9, 0
	s_mov_b32 s8, -1
	s_cselect_b32 s11, -1, 0
.LBB171_118:
	s_wait_loadcnt 0x2
	v_and_b32_e32 v15, 0xff, v8
	s_and_not1_b32 vcc_lo, exec_lo, s11
	s_cbranch_vccz .LBB171_123
; %bb.119:
	s_and_not1_b32 vcc_lo, exec_lo, s8
	s_cbranch_vccz .LBB171_124
.LBB171_120:
	s_cmp_lt_i32 s9, 1
	s_mov_b32 s8, 0
	s_cbranch_scc1 .LBB171_125
.LBB171_121:
	s_cmp_eq_u32 s9, 1
	s_cbranch_scc0 .LBB171_126
; %bb.122:
	v_lshrrev_b16 v15, 8, v8
	s_and_b32 s11, s10, 0xff
	s_delay_alu instid0(VALU_DEP_1) | instid1(SALU_CYCLE_1)
	v_min_u16 v15, v15, s11
	s_mov_b32 s11, 0
	s_branch .LBB171_127
.LBB171_123:
	s_and_b32 s8, s10, 0xff
	s_delay_alu instid0(VALU_DEP_1) | instid1(SALU_CYCLE_1)
	v_max_u16 v11, v15, s8
	s_and_b32 s8, s0, 0xff
	s_delay_alu instid0(VALU_DEP_1) | instid1(SALU_CYCLE_1)
	v_min_u16 v11, v11, s8
	s_cbranch_execnz .LBB171_120
.LBB171_124:
	s_and_b32 s8, s10, 0xff
	s_delay_alu instid0(SALU_CYCLE_1)
	v_max_u16 v11, v15, s8
	s_cmp_lt_i32 s9, 1
	s_mov_b32 s8, 0
	s_cbranch_scc0 .LBB171_121
.LBB171_125:
	s_mov_b32 s11, 0
                                        ; implicit-def: $vgpr15
	s_cbranch_execnz .LBB171_128
	s_branch .LBB171_129
.LBB171_126:
	s_mov_b32 s11, -1
                                        ; implicit-def: $vgpr15
.LBB171_127:
	s_branch .LBB171_129
.LBB171_128:
	s_cmp_lg_u32 s9, 0
	s_mov_b32 s8, -1
	s_cselect_b32 s11, -1, 0
.LBB171_129:
	v_lshrrev_b16 v8, 8, v8
	s_and_not1_b32 vcc_lo, exec_lo, s11
	s_cbranch_vccz .LBB171_134
; %bb.130:
	s_and_not1_b32 vcc_lo, exec_lo, s8
	s_cbranch_vccz .LBB171_135
.LBB171_131:
	s_cmp_lt_i32 s9, 1
	s_mov_b32 s8, 0
	s_cbranch_scc1 .LBB171_136
.LBB171_132:
	s_cmp_eq_u32 s9, 1
	s_cbranch_scc0 .LBB171_137
; %bb.133:
	s_wait_loadcnt 0x1
	v_and_b32_e32 v8, 0xff, v5
	s_and_b32 s11, s10, 0xff
	s_delay_alu instid0(VALU_DEP_1) | instid1(SALU_CYCLE_1)
	v_min_u16 v8, v8, s11
	s_mov_b32 s11, 0
	s_branch .LBB171_138
.LBB171_134:
	s_and_b32 s8, s10, 0xff
	s_delay_alu instid0(VALU_DEP_1) | instid1(SALU_CYCLE_1)
	v_max_u16 v15, v8, s8
	s_and_b32 s8, s0, 0xff
	s_delay_alu instid0(VALU_DEP_1) | instid1(SALU_CYCLE_1)
	v_min_u16 v15, v15, s8
	s_cbranch_execnz .LBB171_131
.LBB171_135:
	s_and_b32 s8, s10, 0xff
	s_delay_alu instid0(SALU_CYCLE_1)
	v_max_u16 v15, v8, s8
	s_cmp_lt_i32 s9, 1
	s_mov_b32 s8, 0
	s_cbranch_scc0 .LBB171_132
.LBB171_136:
	s_mov_b32 s11, 0
                                        ; implicit-def: $vgpr8
	s_cbranch_execnz .LBB171_139
	s_branch .LBB171_140
.LBB171_137:
	s_mov_b32 s11, -1
                                        ; implicit-def: $vgpr8
.LBB171_138:
	s_branch .LBB171_140
.LBB171_139:
	s_cmp_lg_u32 s9, 0
	s_mov_b32 s8, -1
	s_cselect_b32 s11, -1, 0
.LBB171_140:
	s_wait_loadcnt 0x1
	v_and_b32_e32 v16, 0xff, v5
	s_and_not1_b32 vcc_lo, exec_lo, s11
	s_cbranch_vccz .LBB171_145
; %bb.141:
	s_and_not1_b32 vcc_lo, exec_lo, s8
	s_cbranch_vccz .LBB171_146
.LBB171_142:
	s_cmp_lt_i32 s9, 1
	s_mov_b32 s8, 0
	s_cbranch_scc1 .LBB171_147
.LBB171_143:
	s_cmp_eq_u32 s9, 1
	s_cbranch_scc0 .LBB171_148
; %bb.144:
	v_lshrrev_b16 v16, 8, v5
	s_and_b32 s11, s10, 0xff
	s_delay_alu instid0(VALU_DEP_1) | instid1(SALU_CYCLE_1)
	v_min_u16 v16, v16, s11
	s_mov_b32 s11, 0
	s_branch .LBB171_149
.LBB171_145:
	s_and_b32 s8, s10, 0xff
	s_delay_alu instid0(VALU_DEP_1) | instid1(SALU_CYCLE_1)
	v_max_u16 v8, v16, s8
	s_and_b32 s8, s0, 0xff
	s_delay_alu instid0(VALU_DEP_1) | instid1(SALU_CYCLE_1)
	v_min_u16 v8, v8, s8
	s_cbranch_execnz .LBB171_142
.LBB171_146:
	s_and_b32 s8, s10, 0xff
	s_delay_alu instid0(SALU_CYCLE_1)
	v_max_u16 v8, v16, s8
	s_cmp_lt_i32 s9, 1
	s_mov_b32 s8, 0
	s_cbranch_scc0 .LBB171_143
.LBB171_147:
	s_mov_b32 s11, 0
                                        ; implicit-def: $vgpr16
	s_cbranch_execnz .LBB171_150
	s_branch .LBB171_151
.LBB171_148:
	s_mov_b32 s11, -1
                                        ; implicit-def: $vgpr16
.LBB171_149:
	s_branch .LBB171_151
.LBB171_150:
	s_cmp_lg_u32 s9, 0
	s_mov_b32 s8, -1
	s_cselect_b32 s11, -1, 0
.LBB171_151:
	v_lshrrev_b16 v5, 8, v5
	s_and_not1_b32 vcc_lo, exec_lo, s11
	s_cbranch_vccz .LBB171_156
; %bb.152:
	s_and_not1_b32 vcc_lo, exec_lo, s8
	s_cbranch_vccz .LBB171_157
.LBB171_153:
	s_cmp_lt_i32 s9, 1
	s_mov_b32 s8, 0
	s_cbranch_scc1 .LBB171_158
.LBB171_154:
	s_cmp_eq_u32 s9, 1
	s_cbranch_scc0 .LBB171_159
; %bb.155:
	s_wait_loadcnt 0x0
	v_and_b32_e32 v5, 0xff, v2
	s_and_b32 s11, s10, 0xff
	s_delay_alu instid0(VALU_DEP_1) | instid1(SALU_CYCLE_1)
	v_min_u16 v5, v5, s11
	s_mov_b32 s11, 0
	s_branch .LBB171_160
.LBB171_156:
	s_and_b32 s8, s10, 0xff
	s_delay_alu instid0(VALU_DEP_1) | instid1(SALU_CYCLE_1)
	v_max_u16 v16, v5, s8
	s_and_b32 s8, s0, 0xff
	s_delay_alu instid0(VALU_DEP_1) | instid1(SALU_CYCLE_1)
	v_min_u16 v16, v16, s8
	s_cbranch_execnz .LBB171_153
.LBB171_157:
	s_and_b32 s8, s10, 0xff
	s_delay_alu instid0(SALU_CYCLE_1)
	v_max_u16 v16, v5, s8
	s_cmp_lt_i32 s9, 1
	s_mov_b32 s8, 0
	s_cbranch_scc0 .LBB171_154
.LBB171_158:
	s_mov_b32 s11, 0
                                        ; implicit-def: $vgpr5
	s_cbranch_execnz .LBB171_161
	s_branch .LBB171_162
.LBB171_159:
	s_mov_b32 s11, -1
                                        ; implicit-def: $vgpr5
.LBB171_160:
	s_branch .LBB171_162
.LBB171_161:
	s_cmp_lg_u32 s9, 0
	s_mov_b32 s8, -1
	s_cselect_b32 s11, -1, 0
.LBB171_162:
	s_wait_loadcnt 0x0
	v_and_b32_e32 v17, 0xff, v2
	s_and_not1_b32 vcc_lo, exec_lo, s11
	s_cbranch_vccz .LBB171_167
; %bb.163:
	s_and_not1_b32 vcc_lo, exec_lo, s8
	s_cbranch_vccz .LBB171_168
.LBB171_164:
	s_cmp_lt_i32 s9, 1
	s_mov_b32 s8, 0
	s_cbranch_scc1 .LBB171_169
.LBB171_165:
	s_cmp_eq_u32 s9, 1
	s_cbranch_scc0 .LBB171_170
; %bb.166:
	v_lshrrev_b16 v17, 8, v2
	s_and_b32 s11, s10, 0xff
	s_delay_alu instid0(VALU_DEP_1) | instid1(SALU_CYCLE_1)
	v_min_u16 v17, v17, s11
	s_mov_b32 s11, 0
	s_branch .LBB171_171
.LBB171_167:
	s_and_b32 s8, s10, 0xff
	s_delay_alu instid0(VALU_DEP_1) | instid1(SALU_CYCLE_1)
	v_max_u16 v5, v17, s8
	s_and_b32 s8, s0, 0xff
	s_delay_alu instid0(VALU_DEP_1) | instid1(SALU_CYCLE_1)
	v_min_u16 v5, v5, s8
	s_cbranch_execnz .LBB171_164
.LBB171_168:
	s_and_b32 s8, s10, 0xff
	s_delay_alu instid0(SALU_CYCLE_1)
	v_max_u16 v5, v17, s8
	s_cmp_lt_i32 s9, 1
	s_mov_b32 s8, 0
	s_cbranch_scc0 .LBB171_165
.LBB171_169:
	s_mov_b32 s11, 0
                                        ; implicit-def: $vgpr17
	s_cbranch_execnz .LBB171_172
	s_branch .LBB171_173
.LBB171_170:
	s_mov_b32 s11, -1
                                        ; implicit-def: $vgpr17
.LBB171_171:
	s_branch .LBB171_173
.LBB171_172:
	s_cmp_lg_u32 s9, 0
	s_mov_b32 s8, -1
	s_cselect_b32 s11, -1, 0
.LBB171_173:
	v_lshrrev_b16 v2, 8, v2
	s_and_not1_b32 vcc_lo, exec_lo, s11
	s_cbranch_vccz .LBB171_214
; %bb.174:
	s_and_not1_b32 vcc_lo, exec_lo, s8
	s_cbranch_vccnz .LBB171_176
.LBB171_175:
	s_and_b32 s0, s10, 0xff
	s_delay_alu instid0(SALU_CYCLE_1)
	v_max_u16 v17, v2, s0
.LBB171_176:
	v_perm_b32 v1, v1, v3, 0xc0c0004
	v_perm_b32 v3, v4, v6, 0xc0c0004
	;; [unrolled: 1-line block ×4, first 2 shown]
	s_add_nc_u64 s[12:13], s[4:5], s[2:3]
	v_perm_b32 v2, v5, v17, 0xc0c0004
	v_perm_b32 v5, v8, v16, 0xc0c0004
	;; [unrolled: 1-line block ×4, first 2 shown]
	s_mov_b32 s3, 0
	s_clause 0x7
	global_store_b16 v0, v1, s[12:13] scale_offset
	global_store_b16 v0, v3, s[12:13] offset:512 scale_offset
	global_store_b16 v0, v4, s[12:13] offset:1024 scale_offset
	;; [unrolled: 1-line block ×7, first 2 shown]
.LBB171_177:
	s_and_b32 vcc_lo, exec_lo, s3
	s_cbranch_vccz .LBB171_436
; %bb.178:
	v_cmp_gt_i32_e64 s0, s1, v0
	s_wait_xcnt 0x0
	v_dual_mov_b32 v2, 0 :: v_dual_bitop2_b32 v8, s2, v0 bitop3:0x54
	v_or_b32_e32 v9, 0x100, v0
	v_dual_mov_b32 v10, 0 :: v_dual_mov_b32 v11, 0
	v_dual_mov_b32 v12, 0 :: v_dual_mov_b32 v13, 0
	;; [unrolled: 1-line block ×8, first 2 shown]
	s_and_saveexec_b32 s3, s0
	s_cbranch_execz .LBB171_210
; %bb.179:
	global_load_u8 v23, v8, s[6:7]
	v_or_b32_e32 v1, 0x100, v0
	v_dual_mov_b32 v22, 0 :: v_dual_mov_b32 v5, 0
	v_dual_mov_b32 v6, 0 :: v_dual_mov_b32 v21, 0
	;; [unrolled: 1-line block ×7, first 2 shown]
	v_mov_b32_e32 v10, 0
	s_mov_b32 s8, exec_lo
	s_wait_xcnt 0x0
	v_cmpx_gt_u32_e64 s1, v1
	s_cbranch_execz .LBB171_209
; %bb.180:
	v_dual_mov_b32 v5, 0 :: v_dual_add_nc_u32 v4, s2, v0
	v_or_b32_e32 v1, 0x200, v0
	v_dual_mov_b32 v6, 0 :: v_dual_mov_b32 v21, 0
	global_load_u8 v22, v4, s[6:7] offset:256
	v_dual_mov_b32 v20, 0 :: v_dual_mov_b32 v19, 0
	v_dual_mov_b32 v18, 0 :: v_dual_mov_b32 v17, 0
	v_dual_mov_b32 v16, 0 :: v_dual_mov_b32 v15, 0
	v_dual_mov_b32 v14, 0 :: v_dual_mov_b32 v13, 0
	v_dual_mov_b32 v12, 0 :: v_dual_mov_b32 v11, 0
	v_mov_b32_e32 v10, 0
	s_mov_b32 s11, exec_lo
	s_wait_xcnt 0x0
	v_cmpx_gt_u32_e64 s1, v1
	s_cbranch_execz .LBB171_208
; %bb.181:
	v_add_nc_u64_e32 v[6:7], s[6:7], v[4:5]
	v_or_b32_e32 v3, 0x300, v0
	v_dual_mov_b32 v21, 0 :: v_dual_mov_b32 v20, 0
	v_dual_mov_b32 v19, 0 :: v_dual_mov_b32 v18, 0
	;; [unrolled: 1-line block ×3, first 2 shown]
	global_load_u8 v1, v[6:7], off offset:512
	v_dual_mov_b32 v15, 0 :: v_dual_mov_b32 v14, 0
	v_dual_mov_b32 v13, 0 :: v_dual_mov_b32 v12, 0
	;; [unrolled: 1-line block ×3, first 2 shown]
	s_mov_b32 s6, exec_lo
	s_wait_xcnt 0x0
	v_cmpx_gt_u32_e64 s1, v3
	s_cbranch_execz .LBB171_207
; %bb.182:
	global_load_u8 v5, v[6:7], off offset:768
	v_or_b32_e32 v3, 0x400, v0
	v_dual_mov_b32 v21, 0 :: v_dual_mov_b32 v20, 0
	v_dual_mov_b32 v19, 0 :: v_dual_mov_b32 v18, 0
	;; [unrolled: 1-line block ×6, first 2 shown]
	s_mov_b32 s7, exec_lo
	s_wait_xcnt 0x0
	v_cmpx_gt_u32_e64 s1, v3
	s_cbranch_execz .LBB171_206
; %bb.183:
	global_load_u8 v21, v[6:7], off offset:1024
	v_or_b32_e32 v3, 0x500, v0
	v_dual_mov_b32 v20, 0 :: v_dual_mov_b32 v19, 0
	v_dual_mov_b32 v18, 0 :: v_dual_mov_b32 v17, 0
	;; [unrolled: 1-line block ×5, first 2 shown]
	v_mov_b32_e32 v10, 0
	s_mov_b32 s12, exec_lo
	s_wait_xcnt 0x0
	v_cmpx_gt_u32_e64 s1, v3
	s_cbranch_execz .LBB171_205
; %bb.184:
	global_load_u8 v20, v[6:7], off offset:1280
	v_or_b32_e32 v3, 0x600, v0
	v_dual_mov_b32 v19, 0 :: v_dual_mov_b32 v18, 0
	v_dual_mov_b32 v17, 0 :: v_dual_mov_b32 v16, 0
	;; [unrolled: 1-line block ×5, first 2 shown]
	s_mov_b32 s13, exec_lo
	s_wait_xcnt 0x0
	v_cmpx_gt_u32_e64 s1, v3
	s_cbranch_execz .LBB171_204
; %bb.185:
	global_load_u8 v19, v[6:7], off offset:1536
	v_or_b32_e32 v3, 0x700, v0
	v_dual_mov_b32 v18, 0 :: v_dual_mov_b32 v17, 0
	v_dual_mov_b32 v16, 0 :: v_dual_mov_b32 v15, 0
	;; [unrolled: 1-line block ×4, first 2 shown]
	v_mov_b32_e32 v10, 0
	s_mov_b32 s14, exec_lo
	s_wait_xcnt 0x0
	v_cmpx_gt_u32_e64 s1, v3
	s_cbranch_execz .LBB171_203
; %bb.186:
	global_load_u8 v18, v[6:7], off offset:1792
	v_or_b32_e32 v3, 0x800, v0
	v_dual_mov_b32 v17, 0 :: v_dual_mov_b32 v16, 0
	v_dual_mov_b32 v15, 0 :: v_dual_mov_b32 v14, 0
	;; [unrolled: 1-line block ×4, first 2 shown]
	s_mov_b32 s15, exec_lo
	s_wait_xcnt 0x0
	v_cmpx_gt_u32_e64 s1, v3
	s_cbranch_execz .LBB171_202
; %bb.187:
	global_load_u8 v17, v[6:7], off offset:2048
	v_or_b32_e32 v3, 0x900, v0
	v_dual_mov_b32 v16, 0 :: v_dual_mov_b32 v15, 0
	v_dual_mov_b32 v14, 0 :: v_dual_mov_b32 v13, 0
	;; [unrolled: 1-line block ×3, first 2 shown]
	v_mov_b32_e32 v10, 0
	s_mov_b32 s16, exec_lo
	s_wait_xcnt 0x0
	v_cmpx_gt_u32_e64 s1, v3
	s_cbranch_execz .LBB171_201
; %bb.188:
	global_load_u8 v16, v[6:7], off offset:2304
	v_or_b32_e32 v3, 0xa00, v0
	v_dual_mov_b32 v15, 0 :: v_dual_mov_b32 v14, 0
	v_dual_mov_b32 v13, 0 :: v_dual_mov_b32 v12, 0
	;; [unrolled: 1-line block ×3, first 2 shown]
	s_mov_b32 s17, exec_lo
	s_wait_xcnt 0x0
	v_cmpx_gt_u32_e64 s1, v3
	s_cbranch_execz .LBB171_200
; %bb.189:
	global_load_u8 v15, v[6:7], off offset:2560
	v_or_b32_e32 v3, 0xb00, v0
	v_dual_mov_b32 v14, 0 :: v_dual_mov_b32 v13, 0
	v_dual_mov_b32 v12, 0 :: v_dual_mov_b32 v11, 0
	v_mov_b32_e32 v10, 0
	s_mov_b32 s18, exec_lo
	s_wait_xcnt 0x0
	v_cmpx_gt_u32_e64 s1, v3
	s_cbranch_execz .LBB171_199
; %bb.190:
	global_load_u8 v14, v[6:7], off offset:2816
	v_or_b32_e32 v3, 0xc00, v0
	v_dual_mov_b32 v13, 0 :: v_dual_mov_b32 v12, 0
	v_dual_mov_b32 v11, 0 :: v_dual_mov_b32 v10, 0
	s_mov_b32 s19, exec_lo
	s_wait_xcnt 0x0
	v_cmpx_gt_u32_e64 s1, v3
	s_cbranch_execz .LBB171_198
; %bb.191:
	global_load_u8 v13, v[6:7], off offset:3072
	v_or_b32_e32 v3, 0xd00, v0
	v_dual_mov_b32 v12, 0 :: v_dual_mov_b32 v11, 0
	v_mov_b32_e32 v10, 0
	s_mov_b32 s20, exec_lo
	s_wait_xcnt 0x0
	v_cmpx_gt_u32_e64 s1, v3
	s_cbranch_execz .LBB171_197
; %bb.192:
	global_load_u8 v12, v[6:7], off offset:3328
	v_or_b32_e32 v3, 0xe00, v0
	v_dual_mov_b32 v11, 0 :: v_dual_mov_b32 v10, 0
	s_mov_b32 s21, exec_lo
	s_wait_xcnt 0x0
	s_delay_alu instid0(VALU_DEP_2)
	v_cmpx_gt_u32_e64 s1, v3
	s_cbranch_execz .LBB171_196
; %bb.193:
	global_load_u8 v11, v[6:7], off offset:3584
	v_or_b32_e32 v3, 0xf00, v0
	v_mov_b32_e32 v10, 0
	s_mov_b32 s22, exec_lo
	s_wait_xcnt 0x0
	s_delay_alu instid0(VALU_DEP_2)
	v_cmpx_gt_u32_e64 s1, v3
	s_cbranch_execz .LBB171_195
; %bb.194:
	global_load_u8 v10, v[6:7], off offset:3840
.LBB171_195:
	s_wait_xcnt 0x0
	s_or_b32 exec_lo, exec_lo, s22
.LBB171_196:
	s_delay_alu instid0(SALU_CYCLE_1)
	s_or_b32 exec_lo, exec_lo, s21
.LBB171_197:
	s_delay_alu instid0(SALU_CYCLE_1)
	s_or_b32 exec_lo, exec_lo, s20
.LBB171_198:
	s_delay_alu instid0(SALU_CYCLE_1)
	s_or_b32 exec_lo, exec_lo, s19
.LBB171_199:
	s_delay_alu instid0(SALU_CYCLE_1)
	s_or_b32 exec_lo, exec_lo, s18
.LBB171_200:
	s_delay_alu instid0(SALU_CYCLE_1)
	s_or_b32 exec_lo, exec_lo, s17
.LBB171_201:
	s_delay_alu instid0(SALU_CYCLE_1)
	s_or_b32 exec_lo, exec_lo, s16
.LBB171_202:
	s_delay_alu instid0(SALU_CYCLE_1)
	s_or_b32 exec_lo, exec_lo, s15
.LBB171_203:
	s_delay_alu instid0(SALU_CYCLE_1)
	s_or_b32 exec_lo, exec_lo, s14
.LBB171_204:
	s_delay_alu instid0(SALU_CYCLE_1)
	s_or_b32 exec_lo, exec_lo, s13
.LBB171_205:
	s_delay_alu instid0(SALU_CYCLE_1)
	s_or_b32 exec_lo, exec_lo, s12
.LBB171_206:
	s_delay_alu instid0(SALU_CYCLE_1)
	s_or_b32 exec_lo, exec_lo, s7
.LBB171_207:
	s_delay_alu instid0(SALU_CYCLE_1)
	s_or_b32 exec_lo, exec_lo, s6
	s_wait_loadcnt 0x0
	v_dual_mov_b32 v6, v5 :: v_dual_mov_b32 v5, v1
.LBB171_208:
	s_or_b32 exec_lo, exec_lo, s11
.LBB171_209:
	s_delay_alu instid0(SALU_CYCLE_1)
	s_or_b32 exec_lo, exec_lo, s8
.LBB171_210:
	s_delay_alu instid0(SALU_CYCLE_1)
	s_or_b32 exec_lo, exec_lo, s3
	v_dual_mov_b32 v1, v2 :: v_dual_mov_b32 v4, v2
	v_mov_b32_e32 v3, v2
	s_lshr_b32 s3, s10, 8
	s_and_saveexec_b32 s6, s0
	s_cbranch_execz .LBB171_223
; %bb.211:
	s_cmp_lt_i32 s9, 1
	s_mov_b32 s7, 0
	s_cbranch_scc1 .LBB171_215
; %bb.212:
	s_cmp_eq_u32 s9, 1
	s_cbranch_scc0 .LBB171_216
; %bb.213:
	s_wait_loadcnt 0x0
	v_and_b32_e32 v1, 0xff, v23
	s_and_b32 s8, s10, 0xff
	s_delay_alu instid0(VALU_DEP_1) | instid1(SALU_CYCLE_1)
	v_min_u16 v1, v1, s8
	s_mov_b32 s8, 0
	s_branch .LBB171_217
.LBB171_214:
	s_and_b32 s8, s10, 0xff
	s_and_b32 s0, s0, 0xff
	v_max_u16 v17, v2, s8
	s_delay_alu instid0(VALU_DEP_1)
	v_min_u16 v17, v17, s0
	s_cbranch_execz .LBB171_175
	s_branch .LBB171_176
.LBB171_215:
	s_mov_b32 s8, 0
                                        ; implicit-def: $vgpr1
	s_cbranch_execnz .LBB171_218
	s_branch .LBB171_219
.LBB171_216:
	s_mov_b32 s8, -1
                                        ; implicit-def: $vgpr1
.LBB171_217:
	s_branch .LBB171_219
.LBB171_218:
	s_cmp_lg_u32 s9, 0
	s_mov_b32 s7, -1
	s_cselect_b32 s8, -1, 0
.LBB171_219:
	s_wait_loadcnt 0x0
	v_and_b32_e32 v2, 0xff, v23
	s_and_not1_b32 vcc_lo, exec_lo, s8
	s_cbranch_vccz .LBB171_227
; %bb.220:
	s_and_not1_b32 vcc_lo, exec_lo, s7
	s_cbranch_vccnz .LBB171_222
.LBB171_221:
	s_and_b32 s7, s10, 0xff
	s_delay_alu instid0(SALU_CYCLE_1)
	v_max_u16 v1, v2, s7
.LBB171_222:
	s_delay_alu instid0(VALU_DEP_1) | instskip(SKIP_1) | instid1(VALU_DEP_2)
	v_and_b32_e32 v2, 0xff, v1
	v_mov_b32_e32 v1, 0
	v_and_b32_e32 v2, 0xffff, v2
	s_delay_alu instid0(VALU_DEP_2)
	v_dual_mov_b32 v4, v1 :: v_dual_mov_b32 v3, v1
.LBB171_223:
	s_or_b32 exec_lo, exec_lo, s6
	s_delay_alu instid0(SALU_CYCLE_1)
	s_mov_b32 s6, exec_lo
	v_cmpx_gt_i32_e64 s1, v9
	s_cbranch_execz .LBB171_236
; %bb.224:
	s_cmp_lt_i32 s9, 1
	s_mov_b32 s7, 0
	s_cbranch_scc1 .LBB171_228
; %bb.225:
	s_cmp_eq_u32 s9, 1
	s_cbranch_scc0 .LBB171_229
; %bb.226:
	s_wait_loadcnt 0x0
	v_and_b32_e32 v7, 0xff, v22
	s_and_b32 s8, s10, 0xff
	s_delay_alu instid0(VALU_DEP_1) | instid1(SALU_CYCLE_1)
	v_min_u16 v7, v7, s8
	s_mov_b32 s8, 0
	s_branch .LBB171_230
.LBB171_227:
	s_and_b32 s7, s10, 0xff
	s_delay_alu instid0(VALU_DEP_1) | instid1(SALU_CYCLE_1)
	v_max_u16 v1, v2, s7
	s_and_b32 s7, s3, 0xff
	s_delay_alu instid0(VALU_DEP_1) | instid1(SALU_CYCLE_1)
	v_min_u16 v1, v1, s7
	s_cbranch_execz .LBB171_221
	s_branch .LBB171_222
.LBB171_228:
	s_mov_b32 s8, 0
                                        ; implicit-def: $vgpr7
	s_cbranch_execnz .LBB171_231
	s_branch .LBB171_232
.LBB171_229:
	s_mov_b32 s8, -1
                                        ; implicit-def: $vgpr7
.LBB171_230:
	s_branch .LBB171_232
.LBB171_231:
	s_cmp_lg_u32 s9, 0
	s_mov_b32 s7, -1
	s_cselect_b32 s8, -1, 0
.LBB171_232:
	s_wait_loadcnt 0x0
	v_and_b32_e32 v22, 0xff, v22
	s_and_not1_b32 vcc_lo, exec_lo, s8
	s_cbranch_vccz .LBB171_240
; %bb.233:
	s_and_not1_b32 vcc_lo, exec_lo, s7
	s_cbranch_vccnz .LBB171_235
.LBB171_234:
	s_and_b32 s7, s10, 0xff
	s_delay_alu instid0(SALU_CYCLE_1)
	v_max_u16 v7, v22, s7
.LBB171_235:
	s_delay_alu instid0(VALU_DEP_1)
	v_perm_b32 v2, v2, v7, 0x7060004
.LBB171_236:
	s_or_b32 exec_lo, exec_lo, s6
	v_or_b32_e32 v7, 0x200, v0
	s_mov_b32 s6, exec_lo
	s_delay_alu instid0(VALU_DEP_1)
	v_cmpx_gt_i32_e64 s1, v7
	s_cbranch_execz .LBB171_249
; %bb.237:
	s_cmp_lt_i32 s9, 1
	s_mov_b32 s7, 0
	s_cbranch_scc1 .LBB171_241
; %bb.238:
	s_cmp_eq_u32 s9, 1
	s_cbranch_scc0 .LBB171_242
; %bb.239:
	v_and_b32_e32 v7, 0xff, v5
	s_and_b32 s8, s10, 0xff
	s_delay_alu instid0(VALU_DEP_1) | instid1(SALU_CYCLE_1)
	v_min_u16 v7, v7, s8
	s_mov_b32 s8, 0
	s_branch .LBB171_243
.LBB171_240:
	s_and_b32 s7, s10, 0xff
	s_delay_alu instid0(VALU_DEP_1) | instid1(SALU_CYCLE_1)
	v_max_u16 v7, v22, s7
	s_and_b32 s7, s3, 0xff
	s_delay_alu instid0(VALU_DEP_1) | instid1(SALU_CYCLE_1)
	v_min_u16 v7, v7, s7
	s_cbranch_execz .LBB171_234
	s_branch .LBB171_235
.LBB171_241:
	s_mov_b32 s8, 0
                                        ; implicit-def: $vgpr7
	s_cbranch_execnz .LBB171_244
	s_branch .LBB171_245
.LBB171_242:
	s_mov_b32 s8, -1
                                        ; implicit-def: $vgpr7
.LBB171_243:
	s_branch .LBB171_245
.LBB171_244:
	s_cmp_lg_u32 s9, 0
	s_mov_b32 s7, -1
	s_cselect_b32 s8, -1, 0
.LBB171_245:
	v_and_b32_e32 v5, 0xff, v5
	s_and_not1_b32 vcc_lo, exec_lo, s8
	s_cbranch_vccz .LBB171_253
; %bb.246:
	s_and_not1_b32 vcc_lo, exec_lo, s7
	s_cbranch_vccnz .LBB171_248
.LBB171_247:
	s_and_b32 s7, s10, 0xff
	s_delay_alu instid0(SALU_CYCLE_1)
	v_max_u16 v7, v5, s7
.LBB171_248:
	s_delay_alu instid0(VALU_DEP_1)
	v_perm_b32 v2, v2, v7, 0x7000504
.LBB171_249:
	s_or_b32 exec_lo, exec_lo, s6
	v_or_b32_e32 v5, 0x300, v0
	s_mov_b32 s6, exec_lo
	s_delay_alu instid0(VALU_DEP_1)
	v_cmpx_gt_i32_e64 s1, v5
	s_cbranch_execz .LBB171_262
; %bb.250:
	s_cmp_lt_i32 s9, 1
	s_mov_b32 s7, 0
	s_cbranch_scc1 .LBB171_254
; %bb.251:
	s_cmp_eq_u32 s9, 1
	s_cbranch_scc0 .LBB171_255
; %bb.252:
	v_and_b32_e32 v5, 0xff, v6
	s_and_b32 s8, s10, 0xff
	s_delay_alu instid0(VALU_DEP_1) | instid1(SALU_CYCLE_1)
	v_min_u16 v5, v5, s8
	s_mov_b32 s8, 0
	s_branch .LBB171_256
.LBB171_253:
	s_and_b32 s7, s10, 0xff
	s_delay_alu instid0(VALU_DEP_1) | instid1(SALU_CYCLE_1)
	v_max_u16 v7, v5, s7
	s_and_b32 s7, s3, 0xff
	s_delay_alu instid0(VALU_DEP_1) | instid1(SALU_CYCLE_1)
	v_min_u16 v7, v7, s7
	s_cbranch_execz .LBB171_247
	s_branch .LBB171_248
.LBB171_254:
	s_mov_b32 s8, 0
                                        ; implicit-def: $vgpr5
	s_cbranch_execnz .LBB171_257
	s_branch .LBB171_258
.LBB171_255:
	s_mov_b32 s8, -1
                                        ; implicit-def: $vgpr5
.LBB171_256:
	s_branch .LBB171_258
.LBB171_257:
	s_cmp_lg_u32 s9, 0
	s_mov_b32 s7, -1
	s_cselect_b32 s8, -1, 0
.LBB171_258:
	v_and_b32_e32 v6, 0xff, v6
	s_and_not1_b32 vcc_lo, exec_lo, s8
	s_cbranch_vccz .LBB171_266
; %bb.259:
	s_and_not1_b32 vcc_lo, exec_lo, s7
	s_cbranch_vccnz .LBB171_261
.LBB171_260:
	s_and_b32 s7, s10, 0xff
	s_delay_alu instid0(SALU_CYCLE_1)
	v_max_u16 v5, v6, s7
.LBB171_261:
	s_delay_alu instid0(VALU_DEP_1)
	v_perm_b32 v2, v2, v5, 0x60504
.LBB171_262:
	s_or_b32 exec_lo, exec_lo, s6
	v_or_b32_e32 v5, 0x400, v0
	s_mov_b32 s6, exec_lo
	s_delay_alu instid0(VALU_DEP_1)
	v_cmpx_gt_i32_e64 s1, v5
	s_cbranch_execz .LBB171_275
; %bb.263:
	s_cmp_lt_i32 s9, 1
	s_mov_b32 s7, 0
	s_cbranch_scc1 .LBB171_267
; %bb.264:
	s_cmp_eq_u32 s9, 1
	s_cbranch_scc0 .LBB171_268
; %bb.265:
	v_and_b32_e32 v5, 0xff, v21
	s_and_b32 s8, s10, 0xff
	s_delay_alu instid0(VALU_DEP_1) | instid1(SALU_CYCLE_1)
	v_min_u16 v5, v5, s8
	s_mov_b32 s8, 0
	s_branch .LBB171_269
.LBB171_266:
	s_and_b32 s7, s10, 0xff
	s_delay_alu instid0(VALU_DEP_1) | instid1(SALU_CYCLE_1)
	v_max_u16 v5, v6, s7
	s_and_b32 s7, s3, 0xff
	s_delay_alu instid0(VALU_DEP_1) | instid1(SALU_CYCLE_1)
	v_min_u16 v5, v5, s7
	s_cbranch_execz .LBB171_260
	s_branch .LBB171_261
.LBB171_267:
	s_mov_b32 s8, 0
                                        ; implicit-def: $vgpr5
	s_cbranch_execnz .LBB171_270
	s_branch .LBB171_271
.LBB171_268:
	s_mov_b32 s8, -1
                                        ; implicit-def: $vgpr5
.LBB171_269:
	s_branch .LBB171_271
.LBB171_270:
	s_cmp_lg_u32 s9, 0
	s_mov_b32 s7, -1
	s_cselect_b32 s8, -1, 0
.LBB171_271:
	v_and_b32_e32 v6, 0xff, v21
	s_and_not1_b32 vcc_lo, exec_lo, s8
	s_cbranch_vccz .LBB171_279
; %bb.272:
	s_and_not1_b32 vcc_lo, exec_lo, s7
	s_cbranch_vccnz .LBB171_274
.LBB171_273:
	s_and_b32 s7, s10, 0xff
	s_delay_alu instid0(SALU_CYCLE_1)
	v_max_u16 v5, v6, s7
.LBB171_274:
	s_delay_alu instid0(VALU_DEP_1)
	v_perm_b32 v1, v5, v1, 0x3020104
.LBB171_275:
	s_or_b32 exec_lo, exec_lo, s6
	v_or_b32_e32 v5, 0x500, v0
	s_mov_b32 s6, exec_lo
	s_delay_alu instid0(VALU_DEP_1)
	v_cmpx_gt_i32_e64 s1, v5
	s_cbranch_execz .LBB171_288
; %bb.276:
	s_cmp_lt_i32 s9, 1
	s_mov_b32 s7, 0
	s_cbranch_scc1 .LBB171_280
; %bb.277:
	s_cmp_eq_u32 s9, 1
	s_cbranch_scc0 .LBB171_281
; %bb.278:
	v_and_b32_e32 v5, 0xff, v20
	s_and_b32 s8, s10, 0xff
	s_delay_alu instid0(VALU_DEP_1) | instid1(SALU_CYCLE_1)
	v_min_u16 v5, v5, s8
	s_mov_b32 s8, 0
	s_branch .LBB171_282
.LBB171_279:
	s_and_b32 s7, s10, 0xff
	s_delay_alu instid0(VALU_DEP_1) | instid1(SALU_CYCLE_1)
	v_max_u16 v5, v6, s7
	s_and_b32 s7, s3, 0xff
	s_delay_alu instid0(VALU_DEP_1) | instid1(SALU_CYCLE_1)
	v_min_u16 v5, v5, s7
	s_cbranch_execz .LBB171_273
	s_branch .LBB171_274
.LBB171_280:
	s_mov_b32 s8, 0
                                        ; implicit-def: $vgpr5
	s_cbranch_execnz .LBB171_283
	s_branch .LBB171_284
.LBB171_281:
	s_mov_b32 s8, -1
                                        ; implicit-def: $vgpr5
.LBB171_282:
	s_branch .LBB171_284
.LBB171_283:
	s_cmp_lg_u32 s9, 0
	s_mov_b32 s7, -1
	s_cselect_b32 s8, -1, 0
.LBB171_284:
	v_and_b32_e32 v6, 0xff, v20
	s_and_not1_b32 vcc_lo, exec_lo, s8
	s_cbranch_vccz .LBB171_292
; %bb.285:
	s_and_not1_b32 vcc_lo, exec_lo, s7
	s_cbranch_vccnz .LBB171_287
.LBB171_286:
	s_and_b32 s7, s10, 0xff
	s_delay_alu instid0(SALU_CYCLE_1)
	v_max_u16 v5, v6, s7
.LBB171_287:
	s_delay_alu instid0(VALU_DEP_1)
	v_perm_b32 v1, v1, v5, 0x7060004
.LBB171_288:
	s_or_b32 exec_lo, exec_lo, s6
	v_or_b32_e32 v5, 0x600, v0
	s_mov_b32 s6, exec_lo
	s_delay_alu instid0(VALU_DEP_1)
	v_cmpx_gt_i32_e64 s1, v5
	s_cbranch_execz .LBB171_301
; %bb.289:
	s_cmp_lt_i32 s9, 1
	s_mov_b32 s7, 0
	s_cbranch_scc1 .LBB171_293
; %bb.290:
	s_cmp_eq_u32 s9, 1
	s_cbranch_scc0 .LBB171_294
; %bb.291:
	v_and_b32_e32 v5, 0xff, v19
	s_and_b32 s8, s10, 0xff
	s_delay_alu instid0(VALU_DEP_1) | instid1(SALU_CYCLE_1)
	v_min_u16 v5, v5, s8
	s_mov_b32 s8, 0
	s_branch .LBB171_295
.LBB171_292:
	s_and_b32 s7, s10, 0xff
	s_delay_alu instid0(VALU_DEP_1) | instid1(SALU_CYCLE_1)
	v_max_u16 v5, v6, s7
	s_and_b32 s7, s3, 0xff
	s_delay_alu instid0(VALU_DEP_1) | instid1(SALU_CYCLE_1)
	v_min_u16 v5, v5, s7
	s_cbranch_execz .LBB171_286
	s_branch .LBB171_287
.LBB171_293:
	s_mov_b32 s8, 0
                                        ; implicit-def: $vgpr5
	s_cbranch_execnz .LBB171_296
	s_branch .LBB171_297
.LBB171_294:
	s_mov_b32 s8, -1
                                        ; implicit-def: $vgpr5
.LBB171_295:
	s_branch .LBB171_297
.LBB171_296:
	s_cmp_lg_u32 s9, 0
	s_mov_b32 s7, -1
	s_cselect_b32 s8, -1, 0
.LBB171_297:
	v_and_b32_e32 v6, 0xff, v19
	s_and_not1_b32 vcc_lo, exec_lo, s8
	s_cbranch_vccz .LBB171_305
; %bb.298:
	s_and_not1_b32 vcc_lo, exec_lo, s7
	s_cbranch_vccnz .LBB171_300
.LBB171_299:
	s_and_b32 s7, s10, 0xff
	s_delay_alu instid0(SALU_CYCLE_1)
	v_max_u16 v5, v6, s7
.LBB171_300:
	s_delay_alu instid0(VALU_DEP_1)
	v_perm_b32 v1, v1, v5, 0x7000504
.LBB171_301:
	s_or_b32 exec_lo, exec_lo, s6
	v_or_b32_e32 v5, 0x700, v0
	s_mov_b32 s6, exec_lo
	s_delay_alu instid0(VALU_DEP_1)
	v_cmpx_gt_i32_e64 s1, v5
	s_cbranch_execz .LBB171_314
; %bb.302:
	s_cmp_lt_i32 s9, 1
	s_mov_b32 s7, 0
	s_cbranch_scc1 .LBB171_306
; %bb.303:
	s_cmp_eq_u32 s9, 1
	s_cbranch_scc0 .LBB171_307
; %bb.304:
	v_and_b32_e32 v5, 0xff, v18
	s_and_b32 s8, s10, 0xff
	s_delay_alu instid0(VALU_DEP_1) | instid1(SALU_CYCLE_1)
	v_min_u16 v5, v5, s8
	s_mov_b32 s8, 0
	s_branch .LBB171_308
.LBB171_305:
	s_and_b32 s7, s10, 0xff
	s_delay_alu instid0(VALU_DEP_1) | instid1(SALU_CYCLE_1)
	v_max_u16 v5, v6, s7
	s_and_b32 s7, s3, 0xff
	s_delay_alu instid0(VALU_DEP_1) | instid1(SALU_CYCLE_1)
	v_min_u16 v5, v5, s7
	s_cbranch_execz .LBB171_299
	s_branch .LBB171_300
.LBB171_306:
	s_mov_b32 s8, 0
                                        ; implicit-def: $vgpr5
	s_cbranch_execnz .LBB171_309
	s_branch .LBB171_310
.LBB171_307:
	s_mov_b32 s8, -1
                                        ; implicit-def: $vgpr5
.LBB171_308:
	s_branch .LBB171_310
.LBB171_309:
	s_cmp_lg_u32 s9, 0
	s_mov_b32 s7, -1
	s_cselect_b32 s8, -1, 0
.LBB171_310:
	v_and_b32_e32 v6, 0xff, v18
	s_and_not1_b32 vcc_lo, exec_lo, s8
	s_cbranch_vccz .LBB171_318
; %bb.311:
	s_and_not1_b32 vcc_lo, exec_lo, s7
	s_cbranch_vccnz .LBB171_313
.LBB171_312:
	s_and_b32 s7, s10, 0xff
	s_delay_alu instid0(SALU_CYCLE_1)
	v_max_u16 v5, v6, s7
.LBB171_313:
	s_delay_alu instid0(VALU_DEP_1)
	v_perm_b32 v1, v1, v5, 0x60504
.LBB171_314:
	s_or_b32 exec_lo, exec_lo, s6
	v_or_b32_e32 v5, 0x800, v0
	s_mov_b32 s6, exec_lo
	s_delay_alu instid0(VALU_DEP_1)
	v_cmpx_gt_i32_e64 s1, v5
	s_cbranch_execz .LBB171_327
; %bb.315:
	s_cmp_lt_i32 s9, 1
	s_mov_b32 s7, 0
	s_cbranch_scc1 .LBB171_319
; %bb.316:
	s_cmp_eq_u32 s9, 1
	s_cbranch_scc0 .LBB171_320
; %bb.317:
	v_and_b32_e32 v5, 0xff, v17
	s_and_b32 s8, s10, 0xff
	s_delay_alu instid0(VALU_DEP_1) | instid1(SALU_CYCLE_1)
	v_min_u16 v5, v5, s8
	s_mov_b32 s8, 0
	s_branch .LBB171_321
.LBB171_318:
	s_and_b32 s7, s10, 0xff
	s_delay_alu instid0(VALU_DEP_1) | instid1(SALU_CYCLE_1)
	v_max_u16 v5, v6, s7
	s_and_b32 s7, s3, 0xff
	s_delay_alu instid0(VALU_DEP_1) | instid1(SALU_CYCLE_1)
	v_min_u16 v5, v5, s7
	s_cbranch_execz .LBB171_312
	s_branch .LBB171_313
.LBB171_319:
	s_mov_b32 s8, 0
                                        ; implicit-def: $vgpr5
	s_cbranch_execnz .LBB171_322
	s_branch .LBB171_323
.LBB171_320:
	s_mov_b32 s8, -1
                                        ; implicit-def: $vgpr5
.LBB171_321:
	s_branch .LBB171_323
.LBB171_322:
	s_cmp_lg_u32 s9, 0
	s_mov_b32 s7, -1
	s_cselect_b32 s8, -1, 0
.LBB171_323:
	v_and_b32_e32 v6, 0xff, v17
	s_and_not1_b32 vcc_lo, exec_lo, s8
	s_cbranch_vccz .LBB171_331
; %bb.324:
	s_and_not1_b32 vcc_lo, exec_lo, s7
	s_cbranch_vccnz .LBB171_326
.LBB171_325:
	s_and_b32 s7, s10, 0xff
	s_delay_alu instid0(SALU_CYCLE_1)
	v_max_u16 v5, v6, s7
.LBB171_326:
	s_delay_alu instid0(VALU_DEP_1)
	v_perm_b32 v4, v5, v4, 0x3020104
.LBB171_327:
	s_or_b32 exec_lo, exec_lo, s6
	v_or_b32_e32 v5, 0x900, v0
	s_mov_b32 s6, exec_lo
	s_delay_alu instid0(VALU_DEP_1)
	v_cmpx_gt_i32_e64 s1, v5
	s_cbranch_execz .LBB171_340
; %bb.328:
	s_cmp_lt_i32 s9, 1
	s_mov_b32 s7, 0
	s_cbranch_scc1 .LBB171_332
; %bb.329:
	s_cmp_eq_u32 s9, 1
	s_cbranch_scc0 .LBB171_333
; %bb.330:
	v_and_b32_e32 v5, 0xff, v16
	s_and_b32 s8, s10, 0xff
	s_delay_alu instid0(VALU_DEP_1) | instid1(SALU_CYCLE_1)
	v_min_u16 v5, v5, s8
	s_mov_b32 s8, 0
	s_branch .LBB171_334
.LBB171_331:
	s_and_b32 s7, s10, 0xff
	s_delay_alu instid0(VALU_DEP_1) | instid1(SALU_CYCLE_1)
	v_max_u16 v5, v6, s7
	s_and_b32 s7, s3, 0xff
	s_delay_alu instid0(VALU_DEP_1) | instid1(SALU_CYCLE_1)
	v_min_u16 v5, v5, s7
	s_cbranch_execz .LBB171_325
	s_branch .LBB171_326
.LBB171_332:
	s_mov_b32 s8, 0
                                        ; implicit-def: $vgpr5
	s_cbranch_execnz .LBB171_335
	s_branch .LBB171_336
.LBB171_333:
	s_mov_b32 s8, -1
                                        ; implicit-def: $vgpr5
.LBB171_334:
	s_branch .LBB171_336
.LBB171_335:
	s_cmp_lg_u32 s9, 0
	s_mov_b32 s7, -1
	s_cselect_b32 s8, -1, 0
.LBB171_336:
	v_and_b32_e32 v6, 0xff, v16
	s_and_not1_b32 vcc_lo, exec_lo, s8
	s_cbranch_vccz .LBB171_344
; %bb.337:
	s_and_not1_b32 vcc_lo, exec_lo, s7
	s_cbranch_vccnz .LBB171_339
.LBB171_338:
	s_and_b32 s7, s10, 0xff
	s_delay_alu instid0(SALU_CYCLE_1)
	v_max_u16 v5, v6, s7
.LBB171_339:
	s_delay_alu instid0(VALU_DEP_1)
	v_perm_b32 v4, v4, v5, 0x7060004
.LBB171_340:
	s_or_b32 exec_lo, exec_lo, s6
	v_or_b32_e32 v5, 0xa00, v0
	s_mov_b32 s6, exec_lo
	s_delay_alu instid0(VALU_DEP_1)
	v_cmpx_gt_i32_e64 s1, v5
	s_cbranch_execz .LBB171_353
; %bb.341:
	s_cmp_lt_i32 s9, 1
	s_mov_b32 s7, 0
	s_cbranch_scc1 .LBB171_345
; %bb.342:
	s_cmp_eq_u32 s9, 1
	s_cbranch_scc0 .LBB171_346
; %bb.343:
	v_and_b32_e32 v5, 0xff, v15
	s_and_b32 s8, s10, 0xff
	s_delay_alu instid0(VALU_DEP_1) | instid1(SALU_CYCLE_1)
	v_min_u16 v5, v5, s8
	s_mov_b32 s8, 0
	s_branch .LBB171_347
.LBB171_344:
	s_and_b32 s7, s10, 0xff
	s_delay_alu instid0(VALU_DEP_1) | instid1(SALU_CYCLE_1)
	v_max_u16 v5, v6, s7
	s_and_b32 s7, s3, 0xff
	s_delay_alu instid0(VALU_DEP_1) | instid1(SALU_CYCLE_1)
	v_min_u16 v5, v5, s7
	s_cbranch_execz .LBB171_338
	s_branch .LBB171_339
.LBB171_345:
	s_mov_b32 s8, 0
                                        ; implicit-def: $vgpr5
	s_cbranch_execnz .LBB171_348
	s_branch .LBB171_349
.LBB171_346:
	s_mov_b32 s8, -1
                                        ; implicit-def: $vgpr5
.LBB171_347:
	s_branch .LBB171_349
.LBB171_348:
	s_cmp_lg_u32 s9, 0
	s_mov_b32 s7, -1
	s_cselect_b32 s8, -1, 0
.LBB171_349:
	v_and_b32_e32 v6, 0xff, v15
	s_and_not1_b32 vcc_lo, exec_lo, s8
	s_cbranch_vccz .LBB171_357
; %bb.350:
	s_and_not1_b32 vcc_lo, exec_lo, s7
	s_cbranch_vccnz .LBB171_352
.LBB171_351:
	s_and_b32 s7, s10, 0xff
	s_delay_alu instid0(SALU_CYCLE_1)
	v_max_u16 v5, v6, s7
.LBB171_352:
	s_delay_alu instid0(VALU_DEP_1)
	v_perm_b32 v4, v4, v5, 0x7000504
.LBB171_353:
	s_or_b32 exec_lo, exec_lo, s6
	v_or_b32_e32 v5, 0xb00, v0
	s_mov_b32 s6, exec_lo
	s_delay_alu instid0(VALU_DEP_1)
	v_cmpx_gt_i32_e64 s1, v5
	s_cbranch_execz .LBB171_366
; %bb.354:
	s_cmp_lt_i32 s9, 1
	s_mov_b32 s7, 0
	s_cbranch_scc1 .LBB171_358
; %bb.355:
	s_cmp_eq_u32 s9, 1
	s_cbranch_scc0 .LBB171_359
; %bb.356:
	v_and_b32_e32 v5, 0xff, v14
	s_and_b32 s8, s10, 0xff
	s_delay_alu instid0(VALU_DEP_1) | instid1(SALU_CYCLE_1)
	v_min_u16 v5, v5, s8
	s_mov_b32 s8, 0
	s_branch .LBB171_360
.LBB171_357:
	s_and_b32 s7, s10, 0xff
	s_delay_alu instid0(VALU_DEP_1) | instid1(SALU_CYCLE_1)
	v_max_u16 v5, v6, s7
	s_and_b32 s7, s3, 0xff
	s_delay_alu instid0(VALU_DEP_1) | instid1(SALU_CYCLE_1)
	v_min_u16 v5, v5, s7
	s_cbranch_execz .LBB171_351
	s_branch .LBB171_352
.LBB171_358:
	s_mov_b32 s8, 0
                                        ; implicit-def: $vgpr5
	s_cbranch_execnz .LBB171_361
	s_branch .LBB171_362
.LBB171_359:
	s_mov_b32 s8, -1
                                        ; implicit-def: $vgpr5
.LBB171_360:
	s_branch .LBB171_362
.LBB171_361:
	s_cmp_lg_u32 s9, 0
	s_mov_b32 s7, -1
	s_cselect_b32 s8, -1, 0
.LBB171_362:
	v_and_b32_e32 v6, 0xff, v14
	s_and_not1_b32 vcc_lo, exec_lo, s8
	s_cbranch_vccz .LBB171_370
; %bb.363:
	s_and_not1_b32 vcc_lo, exec_lo, s7
	s_cbranch_vccnz .LBB171_365
.LBB171_364:
	s_and_b32 s7, s10, 0xff
	s_delay_alu instid0(SALU_CYCLE_1)
	v_max_u16 v5, v6, s7
.LBB171_365:
	s_delay_alu instid0(VALU_DEP_1)
	v_perm_b32 v4, v4, v5, 0x60504
.LBB171_366:
	s_or_b32 exec_lo, exec_lo, s6
	v_or_b32_e32 v5, 0xc00, v0
	s_mov_b32 s6, exec_lo
	s_delay_alu instid0(VALU_DEP_1)
	v_cmpx_gt_i32_e64 s1, v5
	s_cbranch_execz .LBB171_379
; %bb.367:
	s_cmp_lt_i32 s9, 1
	s_mov_b32 s7, 0
	s_cbranch_scc1 .LBB171_371
; %bb.368:
	s_cmp_eq_u32 s9, 1
	s_cbranch_scc0 .LBB171_372
; %bb.369:
	v_and_b32_e32 v5, 0xff, v13
	s_and_b32 s8, s10, 0xff
	s_delay_alu instid0(VALU_DEP_1) | instid1(SALU_CYCLE_1)
	v_min_u16 v5, v5, s8
	s_mov_b32 s8, 0
	s_branch .LBB171_373
.LBB171_370:
	s_and_b32 s7, s10, 0xff
	s_delay_alu instid0(VALU_DEP_1) | instid1(SALU_CYCLE_1)
	v_max_u16 v5, v6, s7
	s_and_b32 s7, s3, 0xff
	s_delay_alu instid0(VALU_DEP_1) | instid1(SALU_CYCLE_1)
	v_min_u16 v5, v5, s7
	s_cbranch_execz .LBB171_364
	s_branch .LBB171_365
.LBB171_371:
	s_mov_b32 s8, 0
                                        ; implicit-def: $vgpr5
	s_cbranch_execnz .LBB171_374
	s_branch .LBB171_375
.LBB171_372:
	s_mov_b32 s8, -1
                                        ; implicit-def: $vgpr5
.LBB171_373:
	s_branch .LBB171_375
.LBB171_374:
	s_cmp_lg_u32 s9, 0
	s_mov_b32 s7, -1
	s_cselect_b32 s8, -1, 0
.LBB171_375:
	v_and_b32_e32 v6, 0xff, v13
	s_and_not1_b32 vcc_lo, exec_lo, s8
	s_cbranch_vccz .LBB171_383
; %bb.376:
	s_and_not1_b32 vcc_lo, exec_lo, s7
	s_cbranch_vccnz .LBB171_378
.LBB171_377:
	s_and_b32 s7, s10, 0xff
	s_delay_alu instid0(SALU_CYCLE_1)
	v_max_u16 v5, v6, s7
.LBB171_378:
	s_delay_alu instid0(VALU_DEP_1)
	v_perm_b32 v3, v5, v3, 0x3020104
.LBB171_379:
	s_or_b32 exec_lo, exec_lo, s6
	v_or_b32_e32 v5, 0xd00, v0
	s_mov_b32 s6, exec_lo
	s_delay_alu instid0(VALU_DEP_1)
	v_cmpx_gt_i32_e64 s1, v5
	s_cbranch_execz .LBB171_392
; %bb.380:
	s_cmp_lt_i32 s9, 1
	s_mov_b32 s7, 0
	s_cbranch_scc1 .LBB171_384
; %bb.381:
	s_cmp_eq_u32 s9, 1
	s_cbranch_scc0 .LBB171_385
; %bb.382:
	v_and_b32_e32 v5, 0xff, v12
	s_and_b32 s8, s10, 0xff
	s_delay_alu instid0(VALU_DEP_1) | instid1(SALU_CYCLE_1)
	v_min_u16 v5, v5, s8
	s_mov_b32 s8, 0
	s_branch .LBB171_386
.LBB171_383:
	s_and_b32 s7, s10, 0xff
	s_delay_alu instid0(VALU_DEP_1) | instid1(SALU_CYCLE_1)
	v_max_u16 v5, v6, s7
	s_and_b32 s7, s3, 0xff
	s_delay_alu instid0(VALU_DEP_1) | instid1(SALU_CYCLE_1)
	v_min_u16 v5, v5, s7
	s_cbranch_execz .LBB171_377
	s_branch .LBB171_378
.LBB171_384:
	s_mov_b32 s8, 0
                                        ; implicit-def: $vgpr5
	s_cbranch_execnz .LBB171_387
	s_branch .LBB171_388
.LBB171_385:
	s_mov_b32 s8, -1
                                        ; implicit-def: $vgpr5
.LBB171_386:
	s_branch .LBB171_388
.LBB171_387:
	s_cmp_lg_u32 s9, 0
	s_mov_b32 s7, -1
	s_cselect_b32 s8, -1, 0
.LBB171_388:
	v_and_b32_e32 v6, 0xff, v12
	s_and_not1_b32 vcc_lo, exec_lo, s8
	s_cbranch_vccz .LBB171_396
; %bb.389:
	s_and_not1_b32 vcc_lo, exec_lo, s7
	s_cbranch_vccnz .LBB171_391
.LBB171_390:
	s_and_b32 s7, s10, 0xff
	s_delay_alu instid0(SALU_CYCLE_1)
	v_max_u16 v5, v6, s7
.LBB171_391:
	s_delay_alu instid0(VALU_DEP_1)
	v_perm_b32 v3, v3, v5, 0x7060004
.LBB171_392:
	s_or_b32 exec_lo, exec_lo, s6
	v_or_b32_e32 v5, 0xe00, v0
	s_mov_b32 s6, exec_lo
	s_delay_alu instid0(VALU_DEP_1)
	v_cmpx_gt_i32_e64 s1, v5
	s_cbranch_execz .LBB171_405
; %bb.393:
	s_cmp_lt_i32 s9, 1
	s_mov_b32 s7, 0
	s_cbranch_scc1 .LBB171_397
; %bb.394:
	s_cmp_eq_u32 s9, 1
	s_cbranch_scc0 .LBB171_398
; %bb.395:
	v_and_b32_e32 v5, 0xff, v11
	s_and_b32 s8, s10, 0xff
	s_delay_alu instid0(VALU_DEP_1) | instid1(SALU_CYCLE_1)
	v_min_u16 v5, v5, s8
	s_mov_b32 s8, 0
	s_branch .LBB171_399
.LBB171_396:
	s_and_b32 s7, s10, 0xff
	s_delay_alu instid0(VALU_DEP_1) | instid1(SALU_CYCLE_1)
	v_max_u16 v5, v6, s7
	s_and_b32 s7, s3, 0xff
	s_delay_alu instid0(VALU_DEP_1) | instid1(SALU_CYCLE_1)
	v_min_u16 v5, v5, s7
	s_cbranch_execz .LBB171_390
	s_branch .LBB171_391
.LBB171_397:
	s_mov_b32 s8, 0
                                        ; implicit-def: $vgpr5
	s_cbranch_execnz .LBB171_400
	s_branch .LBB171_401
.LBB171_398:
	s_mov_b32 s8, -1
                                        ; implicit-def: $vgpr5
.LBB171_399:
	s_branch .LBB171_401
.LBB171_400:
	s_cmp_lg_u32 s9, 0
	s_mov_b32 s7, -1
	s_cselect_b32 s8, -1, 0
.LBB171_401:
	v_and_b32_e32 v6, 0xff, v11
	s_and_not1_b32 vcc_lo, exec_lo, s8
	s_cbranch_vccz .LBB171_409
; %bb.402:
	s_and_not1_b32 vcc_lo, exec_lo, s7
	s_cbranch_vccnz .LBB171_404
.LBB171_403:
	s_and_b32 s7, s10, 0xff
	s_delay_alu instid0(SALU_CYCLE_1)
	v_max_u16 v5, v6, s7
.LBB171_404:
	s_delay_alu instid0(VALU_DEP_1)
	v_perm_b32 v3, v3, v5, 0x7000504
.LBB171_405:
	s_or_b32 exec_lo, exec_lo, s6
	v_or_b32_e32 v5, 0xf00, v0
	s_mov_b32 s6, exec_lo
	s_delay_alu instid0(VALU_DEP_1)
	v_cmpx_gt_i32_e64 s1, v5
	s_cbranch_execz .LBB171_418
; %bb.406:
	s_cmp_lt_i32 s9, 1
	s_mov_b32 s7, 0
	s_cbranch_scc1 .LBB171_410
; %bb.407:
	s_cmp_eq_u32 s9, 1
	s_cbranch_scc0 .LBB171_411
; %bb.408:
	v_and_b32_e32 v5, 0xff, v10
	s_and_b32 s8, s10, 0xff
	s_delay_alu instid0(VALU_DEP_1) | instid1(SALU_CYCLE_1)
	v_min_u16 v5, v5, s8
	s_mov_b32 s8, 0
	s_branch .LBB171_412
.LBB171_409:
	s_and_b32 s7, s10, 0xff
	s_delay_alu instid0(VALU_DEP_1) | instid1(SALU_CYCLE_1)
	v_max_u16 v5, v6, s7
	s_and_b32 s7, s3, 0xff
	s_delay_alu instid0(VALU_DEP_1) | instid1(SALU_CYCLE_1)
	v_min_u16 v5, v5, s7
	s_cbranch_execz .LBB171_403
	s_branch .LBB171_404
.LBB171_410:
	s_mov_b32 s8, 0
                                        ; implicit-def: $vgpr5
	s_cbranch_execnz .LBB171_413
	s_branch .LBB171_414
.LBB171_411:
	s_mov_b32 s8, -1
                                        ; implicit-def: $vgpr5
.LBB171_412:
	s_branch .LBB171_414
.LBB171_413:
	s_cmp_lg_u32 s9, 0
	s_mov_b32 s7, -1
	s_cselect_b32 s8, -1, 0
.LBB171_414:
	v_and_b32_e32 v6, 0xff, v10
	s_and_not1_b32 vcc_lo, exec_lo, s8
	s_cbranch_vccz .LBB171_451
; %bb.415:
	s_and_not1_b32 vcc_lo, exec_lo, s7
	s_cbranch_vccnz .LBB171_417
.LBB171_416:
	s_and_b32 s3, s10, 0xff
	s_delay_alu instid0(SALU_CYCLE_1)
	v_max_u16 v5, v6, s3
.LBB171_417:
	s_delay_alu instid0(VALU_DEP_1)
	v_perm_b32 v3, v3, v5, 0x60504
.LBB171_418:
	s_or_b32 exec_lo, exec_lo, s6
	s_and_saveexec_b32 s3, s0
	s_delay_alu instid0(SALU_CYCLE_1)
	s_xor_b32 s0, exec_lo, s3
	s_cbranch_execz .LBB171_420
; %bb.419:
	v_mov_b32_e32 v0, v9
	global_store_b8 v8, v2, s[4:5]
.LBB171_420:
	s_wait_xcnt 0x0
	s_or_b32 exec_lo, exec_lo, s0
	s_delay_alu instid0(SALU_CYCLE_1)
	s_mov_b32 s0, exec_lo
	v_cmpx_gt_i32_e64 s1, v0
	s_cbranch_execnz .LBB171_437
; %bb.421:
	s_or_b32 exec_lo, exec_lo, s0
	s_delay_alu instid0(SALU_CYCLE_1)
	s_mov_b32 s0, exec_lo
	v_cmpx_gt_i32_e64 s1, v0
	s_cbranch_execnz .LBB171_438
.LBB171_422:
	s_or_b32 exec_lo, exec_lo, s0
	s_delay_alu instid0(SALU_CYCLE_1)
	s_mov_b32 s0, exec_lo
	v_cmpx_gt_i32_e64 s1, v0
	s_cbranch_execnz .LBB171_439
.LBB171_423:
	s_or_b32 exec_lo, exec_lo, s0
	s_delay_alu instid0(SALU_CYCLE_1)
	s_mov_b32 s0, exec_lo
	v_cmpx_gt_i32_e64 s1, v0
	s_cbranch_execnz .LBB171_440
.LBB171_424:
	s_or_b32 exec_lo, exec_lo, s0
	s_delay_alu instid0(SALU_CYCLE_1)
	s_mov_b32 s0, exec_lo
	v_cmpx_gt_i32_e64 s1, v0
	s_cbranch_execnz .LBB171_441
.LBB171_425:
	s_or_b32 exec_lo, exec_lo, s0
	s_delay_alu instid0(SALU_CYCLE_1)
	s_mov_b32 s0, exec_lo
	v_cmpx_gt_i32_e64 s1, v0
	s_cbranch_execnz .LBB171_442
.LBB171_426:
	s_or_b32 exec_lo, exec_lo, s0
	s_delay_alu instid0(SALU_CYCLE_1)
	s_mov_b32 s0, exec_lo
	v_cmpx_gt_i32_e64 s1, v0
	s_cbranch_execnz .LBB171_443
.LBB171_427:
	s_or_b32 exec_lo, exec_lo, s0
	s_delay_alu instid0(SALU_CYCLE_1)
	s_mov_b32 s0, exec_lo
	v_cmpx_gt_i32_e64 s1, v0
	s_cbranch_execnz .LBB171_444
.LBB171_428:
	s_or_b32 exec_lo, exec_lo, s0
	s_delay_alu instid0(SALU_CYCLE_1)
	s_mov_b32 s0, exec_lo
	v_cmpx_gt_i32_e64 s1, v0
	s_cbranch_execnz .LBB171_445
.LBB171_429:
	s_or_b32 exec_lo, exec_lo, s0
	s_delay_alu instid0(SALU_CYCLE_1)
	s_mov_b32 s0, exec_lo
	v_cmpx_gt_i32_e64 s1, v0
	s_cbranch_execnz .LBB171_446
.LBB171_430:
	s_or_b32 exec_lo, exec_lo, s0
	s_delay_alu instid0(SALU_CYCLE_1)
	s_mov_b32 s0, exec_lo
	v_cmpx_gt_i32_e64 s1, v0
	s_cbranch_execnz .LBB171_447
.LBB171_431:
	s_or_b32 exec_lo, exec_lo, s0
	s_delay_alu instid0(SALU_CYCLE_1)
	s_mov_b32 s0, exec_lo
	v_cmpx_gt_i32_e64 s1, v0
	s_cbranch_execnz .LBB171_448
.LBB171_432:
	s_or_b32 exec_lo, exec_lo, s0
	s_delay_alu instid0(SALU_CYCLE_1)
	s_mov_b32 s0, exec_lo
	v_cmpx_gt_i32_e64 s1, v0
	s_cbranch_execnz .LBB171_449
.LBB171_433:
	s_or_b32 exec_lo, exec_lo, s0
	s_delay_alu instid0(SALU_CYCLE_1)
	s_mov_b32 s0, exec_lo
	v_cmpx_gt_i32_e64 s1, v0
	s_cbranch_execnz .LBB171_450
.LBB171_434:
	s_or_b32 exec_lo, exec_lo, s0
	s_delay_alu instid0(SALU_CYCLE_1)
	s_mov_b32 s0, exec_lo
	v_cmpx_gt_i32_e64 s1, v0
	s_cbranch_execz .LBB171_436
.LBB171_435:
	v_dual_lshrrev_b32 v1, 24, v3 :: v_dual_add_nc_u32 v0, s2, v0
	global_store_b8 v0, v1, s[4:5]
.LBB171_436:
	s_endpgm
.LBB171_437:
	v_dual_lshrrev_b32 v5, 8, v2 :: v_dual_add_nc_u32 v6, s2, v0
	v_add_nc_u32_e32 v0, 0x100, v0
	global_store_b8 v6, v5, s[4:5]
	s_wait_xcnt 0x0
	s_or_b32 exec_lo, exec_lo, s0
	s_delay_alu instid0(SALU_CYCLE_1)
	s_mov_b32 s0, exec_lo
	v_cmpx_gt_i32_e64 s1, v0
	s_cbranch_execz .LBB171_422
.LBB171_438:
	v_add_nc_u32_e32 v5, s2, v0
	v_add_nc_u32_e32 v0, 0x100, v0
	global_store_d16_hi_b8 v5, v2, s[4:5]
	s_wait_xcnt 0x0
	s_or_b32 exec_lo, exec_lo, s0
	s_delay_alu instid0(SALU_CYCLE_1)
	s_mov_b32 s0, exec_lo
	v_cmpx_gt_i32_e64 s1, v0
	s_cbranch_execz .LBB171_423
.LBB171_439:
	v_dual_lshrrev_b32 v2, 24, v2 :: v_dual_add_nc_u32 v5, s2, v0
	v_add_nc_u32_e32 v0, 0x100, v0
	global_store_b8 v5, v2, s[4:5]
	s_wait_xcnt 0x0
	s_or_b32 exec_lo, exec_lo, s0
	s_delay_alu instid0(SALU_CYCLE_1)
	s_mov_b32 s0, exec_lo
	v_cmpx_gt_i32_e64 s1, v0
	s_cbranch_execz .LBB171_424
.LBB171_440:
	v_add_nc_u32_e32 v2, s2, v0
	v_add_nc_u32_e32 v0, 0x100, v0
	global_store_b8 v2, v1, s[4:5]
	s_wait_xcnt 0x0
	s_or_b32 exec_lo, exec_lo, s0
	s_delay_alu instid0(SALU_CYCLE_1)
	s_mov_b32 s0, exec_lo
	v_cmpx_gt_i32_e64 s1, v0
	s_cbranch_execz .LBB171_425
.LBB171_441:
	v_dual_lshrrev_b32 v2, 8, v1 :: v_dual_add_nc_u32 v5, s2, v0
	v_add_nc_u32_e32 v0, 0x100, v0
	global_store_b8 v5, v2, s[4:5]
	s_wait_xcnt 0x0
	s_or_b32 exec_lo, exec_lo, s0
	s_delay_alu instid0(SALU_CYCLE_1)
	s_mov_b32 s0, exec_lo
	v_cmpx_gt_i32_e64 s1, v0
	s_cbranch_execz .LBB171_426
.LBB171_442:
	v_add_nc_u32_e32 v2, s2, v0
	v_add_nc_u32_e32 v0, 0x100, v0
	global_store_d16_hi_b8 v2, v1, s[4:5]
	s_wait_xcnt 0x0
	s_or_b32 exec_lo, exec_lo, s0
	s_delay_alu instid0(SALU_CYCLE_1)
	s_mov_b32 s0, exec_lo
	v_cmpx_gt_i32_e64 s1, v0
	s_cbranch_execz .LBB171_427
.LBB171_443:
	v_dual_lshrrev_b32 v1, 24, v1 :: v_dual_add_nc_u32 v2, s2, v0
	v_add_nc_u32_e32 v0, 0x100, v0
	global_store_b8 v2, v1, s[4:5]
	s_wait_xcnt 0x0
	s_or_b32 exec_lo, exec_lo, s0
	s_delay_alu instid0(SALU_CYCLE_1)
	s_mov_b32 s0, exec_lo
	v_cmpx_gt_i32_e64 s1, v0
	s_cbranch_execz .LBB171_428
.LBB171_444:
	v_add_nc_u32_e32 v1, s2, v0
	v_add_nc_u32_e32 v0, 0x100, v0
	global_store_b8 v1, v4, s[4:5]
	s_wait_xcnt 0x0
	s_or_b32 exec_lo, exec_lo, s0
	s_delay_alu instid0(SALU_CYCLE_1)
	s_mov_b32 s0, exec_lo
	v_cmpx_gt_i32_e64 s1, v0
	s_cbranch_execz .LBB171_429
.LBB171_445:
	v_lshrrev_b32_e32 v1, 8, v4
	v_add_nc_u32_e32 v2, s2, v0
	v_add_nc_u32_e32 v0, 0x100, v0
	global_store_b8 v2, v1, s[4:5]
	s_wait_xcnt 0x0
	s_or_b32 exec_lo, exec_lo, s0
	s_delay_alu instid0(SALU_CYCLE_1)
	s_mov_b32 s0, exec_lo
	v_cmpx_gt_i32_e64 s1, v0
	s_cbranch_execz .LBB171_430
.LBB171_446:
	v_add_nc_u32_e32 v1, s2, v0
	v_add_nc_u32_e32 v0, 0x100, v0
	global_store_d16_hi_b8 v1, v4, s[4:5]
	s_wait_xcnt 0x0
	s_or_b32 exec_lo, exec_lo, s0
	s_delay_alu instid0(SALU_CYCLE_1)
	s_mov_b32 s0, exec_lo
	v_cmpx_gt_i32_e64 s1, v0
	s_cbranch_execz .LBB171_431
.LBB171_447:
	v_lshrrev_b32_e32 v1, 24, v4
	v_add_nc_u32_e32 v2, s2, v0
	v_add_nc_u32_e32 v0, 0x100, v0
	global_store_b8 v2, v1, s[4:5]
	s_wait_xcnt 0x0
	s_or_b32 exec_lo, exec_lo, s0
	s_delay_alu instid0(SALU_CYCLE_1)
	s_mov_b32 s0, exec_lo
	v_cmpx_gt_i32_e64 s1, v0
	s_cbranch_execz .LBB171_432
.LBB171_448:
	v_add_nc_u32_e32 v1, s2, v0
	v_add_nc_u32_e32 v0, 0x100, v0
	global_store_b8 v1, v3, s[4:5]
	s_wait_xcnt 0x0
	s_or_b32 exec_lo, exec_lo, s0
	s_delay_alu instid0(SALU_CYCLE_1)
	s_mov_b32 s0, exec_lo
	v_cmpx_gt_i32_e64 s1, v0
	s_cbranch_execz .LBB171_433
.LBB171_449:
	v_dual_lshrrev_b32 v1, 8, v3 :: v_dual_add_nc_u32 v2, s2, v0
	v_add_nc_u32_e32 v0, 0x100, v0
	global_store_b8 v2, v1, s[4:5]
	s_wait_xcnt 0x0
	s_or_b32 exec_lo, exec_lo, s0
	s_delay_alu instid0(SALU_CYCLE_1)
	s_mov_b32 s0, exec_lo
	v_cmpx_gt_i32_e64 s1, v0
	s_cbranch_execz .LBB171_434
.LBB171_450:
	v_add_nc_u32_e32 v1, s2, v0
	v_add_nc_u32_e32 v0, 0x100, v0
	global_store_d16_hi_b8 v1, v3, s[4:5]
	s_wait_xcnt 0x0
	s_or_b32 exec_lo, exec_lo, s0
	s_delay_alu instid0(SALU_CYCLE_1)
	s_mov_b32 s0, exec_lo
	v_cmpx_gt_i32_e64 s1, v0
	s_cbranch_execnz .LBB171_435
	s_branch .LBB171_436
.LBB171_451:
	s_and_b32 s7, s10, 0xff
	s_and_b32 s3, s3, 0xff
	v_max_u16 v5, v6, s7
	s_delay_alu instid0(VALU_DEP_1)
	v_min_u16 v5, v5, s3
	s_cbranch_execz .LBB171_416
	s_branch .LBB171_417
	.section	.rodata,"a",@progbits
	.p2align	6, 0x0
	.amdhsa_kernel _ZN2at6native29vectorized_elementwise_kernelILi2EZZZNS0_12_GLOBAL__N_119launch_clamp_scalarERNS_18TensorIteratorBaseEN3c106ScalarES6_NS0_6detail11ClampLimitsEENKUlvE_clEvENKUlvE_clEvEUlhE_St5arrayIPcLm2EEEEviT0_T1_
		.amdhsa_group_segment_fixed_size 0
		.amdhsa_private_segment_fixed_size 0
		.amdhsa_kernarg_size 32
		.amdhsa_user_sgpr_count 2
		.amdhsa_user_sgpr_dispatch_ptr 0
		.amdhsa_user_sgpr_queue_ptr 0
		.amdhsa_user_sgpr_kernarg_segment_ptr 1
		.amdhsa_user_sgpr_dispatch_id 0
		.amdhsa_user_sgpr_kernarg_preload_length 0
		.amdhsa_user_sgpr_kernarg_preload_offset 0
		.amdhsa_user_sgpr_private_segment_size 0
		.amdhsa_wavefront_size32 1
		.amdhsa_uses_dynamic_stack 0
		.amdhsa_enable_private_segment 0
		.amdhsa_system_sgpr_workgroup_id_x 1
		.amdhsa_system_sgpr_workgroup_id_y 0
		.amdhsa_system_sgpr_workgroup_id_z 0
		.amdhsa_system_sgpr_workgroup_info 0
		.amdhsa_system_vgpr_workitem_id 0
		.amdhsa_next_free_vgpr 24
		.amdhsa_next_free_sgpr 23
		.amdhsa_named_barrier_count 0
		.amdhsa_reserve_vcc 1
		.amdhsa_float_round_mode_32 0
		.amdhsa_float_round_mode_16_64 0
		.amdhsa_float_denorm_mode_32 3
		.amdhsa_float_denorm_mode_16_64 3
		.amdhsa_fp16_overflow 0
		.amdhsa_memory_ordered 1
		.amdhsa_forward_progress 1
		.amdhsa_inst_pref_size 76
		.amdhsa_round_robin_scheduling 0
		.amdhsa_exception_fp_ieee_invalid_op 0
		.amdhsa_exception_fp_denorm_src 0
		.amdhsa_exception_fp_ieee_div_zero 0
		.amdhsa_exception_fp_ieee_overflow 0
		.amdhsa_exception_fp_ieee_underflow 0
		.amdhsa_exception_fp_ieee_inexact 0
		.amdhsa_exception_int_div_zero 0
	.end_amdhsa_kernel
	.section	.text._ZN2at6native29vectorized_elementwise_kernelILi2EZZZNS0_12_GLOBAL__N_119launch_clamp_scalarERNS_18TensorIteratorBaseEN3c106ScalarES6_NS0_6detail11ClampLimitsEENKUlvE_clEvENKUlvE_clEvEUlhE_St5arrayIPcLm2EEEEviT0_T1_,"axG",@progbits,_ZN2at6native29vectorized_elementwise_kernelILi2EZZZNS0_12_GLOBAL__N_119launch_clamp_scalarERNS_18TensorIteratorBaseEN3c106ScalarES6_NS0_6detail11ClampLimitsEENKUlvE_clEvENKUlvE_clEvEUlhE_St5arrayIPcLm2EEEEviT0_T1_,comdat
.Lfunc_end171:
	.size	_ZN2at6native29vectorized_elementwise_kernelILi2EZZZNS0_12_GLOBAL__N_119launch_clamp_scalarERNS_18TensorIteratorBaseEN3c106ScalarES6_NS0_6detail11ClampLimitsEENKUlvE_clEvENKUlvE_clEvEUlhE_St5arrayIPcLm2EEEEviT0_T1_, .Lfunc_end171-_ZN2at6native29vectorized_elementwise_kernelILi2EZZZNS0_12_GLOBAL__N_119launch_clamp_scalarERNS_18TensorIteratorBaseEN3c106ScalarES6_NS0_6detail11ClampLimitsEENKUlvE_clEvENKUlvE_clEvEUlhE_St5arrayIPcLm2EEEEviT0_T1_
                                        ; -- End function
	.set _ZN2at6native29vectorized_elementwise_kernelILi2EZZZNS0_12_GLOBAL__N_119launch_clamp_scalarERNS_18TensorIteratorBaseEN3c106ScalarES6_NS0_6detail11ClampLimitsEENKUlvE_clEvENKUlvE_clEvEUlhE_St5arrayIPcLm2EEEEviT0_T1_.num_vgpr, 24
	.set _ZN2at6native29vectorized_elementwise_kernelILi2EZZZNS0_12_GLOBAL__N_119launch_clamp_scalarERNS_18TensorIteratorBaseEN3c106ScalarES6_NS0_6detail11ClampLimitsEENKUlvE_clEvENKUlvE_clEvEUlhE_St5arrayIPcLm2EEEEviT0_T1_.num_agpr, 0
	.set _ZN2at6native29vectorized_elementwise_kernelILi2EZZZNS0_12_GLOBAL__N_119launch_clamp_scalarERNS_18TensorIteratorBaseEN3c106ScalarES6_NS0_6detail11ClampLimitsEENKUlvE_clEvENKUlvE_clEvEUlhE_St5arrayIPcLm2EEEEviT0_T1_.numbered_sgpr, 23
	.set _ZN2at6native29vectorized_elementwise_kernelILi2EZZZNS0_12_GLOBAL__N_119launch_clamp_scalarERNS_18TensorIteratorBaseEN3c106ScalarES6_NS0_6detail11ClampLimitsEENKUlvE_clEvENKUlvE_clEvEUlhE_St5arrayIPcLm2EEEEviT0_T1_.num_named_barrier, 0
	.set _ZN2at6native29vectorized_elementwise_kernelILi2EZZZNS0_12_GLOBAL__N_119launch_clamp_scalarERNS_18TensorIteratorBaseEN3c106ScalarES6_NS0_6detail11ClampLimitsEENKUlvE_clEvENKUlvE_clEvEUlhE_St5arrayIPcLm2EEEEviT0_T1_.private_seg_size, 0
	.set _ZN2at6native29vectorized_elementwise_kernelILi2EZZZNS0_12_GLOBAL__N_119launch_clamp_scalarERNS_18TensorIteratorBaseEN3c106ScalarES6_NS0_6detail11ClampLimitsEENKUlvE_clEvENKUlvE_clEvEUlhE_St5arrayIPcLm2EEEEviT0_T1_.uses_vcc, 1
	.set _ZN2at6native29vectorized_elementwise_kernelILi2EZZZNS0_12_GLOBAL__N_119launch_clamp_scalarERNS_18TensorIteratorBaseEN3c106ScalarES6_NS0_6detail11ClampLimitsEENKUlvE_clEvENKUlvE_clEvEUlhE_St5arrayIPcLm2EEEEviT0_T1_.uses_flat_scratch, 0
	.set _ZN2at6native29vectorized_elementwise_kernelILi2EZZZNS0_12_GLOBAL__N_119launch_clamp_scalarERNS_18TensorIteratorBaseEN3c106ScalarES6_NS0_6detail11ClampLimitsEENKUlvE_clEvENKUlvE_clEvEUlhE_St5arrayIPcLm2EEEEviT0_T1_.has_dyn_sized_stack, 0
	.set _ZN2at6native29vectorized_elementwise_kernelILi2EZZZNS0_12_GLOBAL__N_119launch_clamp_scalarERNS_18TensorIteratorBaseEN3c106ScalarES6_NS0_6detail11ClampLimitsEENKUlvE_clEvENKUlvE_clEvEUlhE_St5arrayIPcLm2EEEEviT0_T1_.has_recursion, 0
	.set _ZN2at6native29vectorized_elementwise_kernelILi2EZZZNS0_12_GLOBAL__N_119launch_clamp_scalarERNS_18TensorIteratorBaseEN3c106ScalarES6_NS0_6detail11ClampLimitsEENKUlvE_clEvENKUlvE_clEvEUlhE_St5arrayIPcLm2EEEEviT0_T1_.has_indirect_call, 0
	.section	.AMDGPU.csdata,"",@progbits
; Kernel info:
; codeLenInByte = 9704
; TotalNumSgprs: 25
; NumVgprs: 24
; ScratchSize: 0
; MemoryBound: 0
; FloatMode: 240
; IeeeMode: 1
; LDSByteSize: 0 bytes/workgroup (compile time only)
; SGPRBlocks: 0
; VGPRBlocks: 1
; NumSGPRsForWavesPerEU: 25
; NumVGPRsForWavesPerEU: 24
; NamedBarCnt: 0
; Occupancy: 16
; WaveLimiterHint : 1
; COMPUTE_PGM_RSRC2:SCRATCH_EN: 0
; COMPUTE_PGM_RSRC2:USER_SGPR: 2
; COMPUTE_PGM_RSRC2:TRAP_HANDLER: 0
; COMPUTE_PGM_RSRC2:TGID_X_EN: 1
; COMPUTE_PGM_RSRC2:TGID_Y_EN: 0
; COMPUTE_PGM_RSRC2:TGID_Z_EN: 0
; COMPUTE_PGM_RSRC2:TIDIG_COMP_CNT: 0
	.section	.text._ZN2at6native27unrolled_elementwise_kernelIZZZNS0_12_GLOBAL__N_119launch_clamp_scalarERNS_18TensorIteratorBaseEN3c106ScalarES6_NS0_6detail11ClampLimitsEENKUlvE_clEvENKUlvE_clEvEUlhE_St5arrayIPcLm2EELi4E23TrivialOffsetCalculatorILi1EjESG_NS0_6memory15LoadWithoutCastENSH_16StoreWithoutCastEEEviT_T0_T2_T3_T4_T5_,"axG",@progbits,_ZN2at6native27unrolled_elementwise_kernelIZZZNS0_12_GLOBAL__N_119launch_clamp_scalarERNS_18TensorIteratorBaseEN3c106ScalarES6_NS0_6detail11ClampLimitsEENKUlvE_clEvENKUlvE_clEvEUlhE_St5arrayIPcLm2EELi4E23TrivialOffsetCalculatorILi1EjESG_NS0_6memory15LoadWithoutCastENSH_16StoreWithoutCastEEEviT_T0_T2_T3_T4_T5_,comdat
	.globl	_ZN2at6native27unrolled_elementwise_kernelIZZZNS0_12_GLOBAL__N_119launch_clamp_scalarERNS_18TensorIteratorBaseEN3c106ScalarES6_NS0_6detail11ClampLimitsEENKUlvE_clEvENKUlvE_clEvEUlhE_St5arrayIPcLm2EELi4E23TrivialOffsetCalculatorILi1EjESG_NS0_6memory15LoadWithoutCastENSH_16StoreWithoutCastEEEviT_T0_T2_T3_T4_T5_ ; -- Begin function _ZN2at6native27unrolled_elementwise_kernelIZZZNS0_12_GLOBAL__N_119launch_clamp_scalarERNS_18TensorIteratorBaseEN3c106ScalarES6_NS0_6detail11ClampLimitsEENKUlvE_clEvENKUlvE_clEvEUlhE_St5arrayIPcLm2EELi4E23TrivialOffsetCalculatorILi1EjESG_NS0_6memory15LoadWithoutCastENSH_16StoreWithoutCastEEEviT_T0_T2_T3_T4_T5_
	.p2align	8
	.type	_ZN2at6native27unrolled_elementwise_kernelIZZZNS0_12_GLOBAL__N_119launch_clamp_scalarERNS_18TensorIteratorBaseEN3c106ScalarES6_NS0_6detail11ClampLimitsEENKUlvE_clEvENKUlvE_clEvEUlhE_St5arrayIPcLm2EELi4E23TrivialOffsetCalculatorILi1EjESG_NS0_6memory15LoadWithoutCastENSH_16StoreWithoutCastEEEviT_T0_T2_T3_T4_T5_,@function
_ZN2at6native27unrolled_elementwise_kernelIZZZNS0_12_GLOBAL__N_119launch_clamp_scalarERNS_18TensorIteratorBaseEN3c106ScalarES6_NS0_6detail11ClampLimitsEENKUlvE_clEvENKUlvE_clEvEUlhE_St5arrayIPcLm2EELi4E23TrivialOffsetCalculatorILi1EjESG_NS0_6memory15LoadWithoutCastENSH_16StoreWithoutCastEEEviT_T0_T2_T3_T4_T5_: ; @_ZN2at6native27unrolled_elementwise_kernelIZZZNS0_12_GLOBAL__N_119launch_clamp_scalarERNS_18TensorIteratorBaseEN3c106ScalarES6_NS0_6detail11ClampLimitsEENKUlvE_clEvENKUlvE_clEvEUlhE_St5arrayIPcLm2EELi4E23TrivialOffsetCalculatorILi1EjESG_NS0_6memory15LoadWithoutCastENSH_16StoreWithoutCastEEEviT_T0_T2_T3_T4_T5_
; %bb.0:
	s_clause 0x1
	s_load_b96 s[8:10], s[0:1], 0x0
	s_load_b128 s[4:7], s[0:1], 0x10
	s_bfe_u32 s3, ttmp6, 0x4000c
	s_and_b32 s2, ttmp6, 15
	s_add_co_i32 s3, s3, 1
	s_getreg_b32 s11, hwreg(HW_REG_IB_STS2, 6, 4)
	s_wait_xcnt 0x0
	s_mul_i32 s0, ttmp9, s3
	v_dual_mov_b32 v3, 0 :: v_dual_mov_b32 v4, 0
	s_add_co_i32 s2, s2, s0
	s_cmp_eq_u32 s11, 0
	v_dual_mov_b32 v5, 0 :: v_dual_mov_b32 v6, 0
	s_cselect_b32 s0, ttmp9, s2
	v_or_b32_e32 v1, 0x100, v0
	s_lshl_b32 s1, s0, 10
	s_delay_alu instid0(SALU_CYCLE_1) | instskip(SKIP_2) | instid1(SALU_CYCLE_1)
	v_dual_mov_b32 v7, 0 :: v_dual_bitop2_b32 v2, s1, v0 bitop3:0x54
	s_wait_kmcnt 0x0
	s_sub_co_i32 s2, s8, s1
	v_cmp_gt_i32_e64 s0, s2, v0
	s_and_saveexec_b32 s3, s0
	s_cbranch_execnz .LBB172_3
; %bb.1:
	s_or_b32 exec_lo, exec_lo, s3
	s_lshr_b32 s3, s10, 8
	s_and_saveexec_b32 s6, s0
	s_cbranch_execnz .LBB172_10
.LBB172_2:
	s_or_b32 exec_lo, exec_lo, s6
	s_delay_alu instid0(SALU_CYCLE_1)
	s_mov_b32 s6, exec_lo
	v_cmpx_gt_i32_e64 s2, v1
	s_cbranch_execnz .LBB172_21
	s_branch .LBB172_33
.LBB172_3:
	global_load_u8 v7, v2, s[6:7]
	v_or_b32_e32 v8, 0x100, v0
	v_dual_mov_b32 v6, 0 :: v_dual_mov_b32 v5, 0
	v_mov_b32_e32 v4, 0
	s_mov_b32 s8, exec_lo
	s_wait_xcnt 0x0
	v_cmpx_gt_u32_e64 s2, v8
	s_cbranch_execz .LBB172_9
; %bb.4:
	v_dual_mov_b32 v5, 0 :: v_dual_add_nc_u32 v4, s1, v8
	v_or_b32_e32 v8, 0x200, v0
	s_mov_b32 s11, exec_lo
	global_load_u8 v6, v4, s[6:7]
	s_wait_xcnt 0x0
	v_mov_b32_e32 v4, 0
	v_cmpx_gt_u32_e64 s2, v8
	s_cbranch_execz .LBB172_8
; %bb.5:
	v_add_nc_u32_e32 v4, s1, v8
	v_or_b32_e32 v8, 0x300, v0
	s_mov_b32 s12, exec_lo
	global_load_u8 v5, v4, s[6:7]
	s_wait_xcnt 0x0
	v_mov_b32_e32 v4, 0
	v_cmpx_gt_u32_e64 s2, v8
	s_cbranch_execz .LBB172_7
; %bb.6:
	v_add_nc_u32_e32 v4, s1, v8
	global_load_u8 v4, v4, s[6:7]
.LBB172_7:
	s_wait_xcnt 0x0
	s_or_b32 exec_lo, exec_lo, s12
.LBB172_8:
	s_delay_alu instid0(SALU_CYCLE_1)
	s_or_b32 exec_lo, exec_lo, s11
.LBB172_9:
	s_delay_alu instid0(SALU_CYCLE_1) | instskip(NEXT) | instid1(SALU_CYCLE_1)
	s_or_b32 exec_lo, exec_lo, s8
	s_or_b32 exec_lo, exec_lo, s3
	s_lshr_b32 s3, s10, 8
	s_and_saveexec_b32 s6, s0
	s_cbranch_execz .LBB172_2
.LBB172_10:
	s_cmp_lt_i32 s9, 1
	s_mov_b32 s7, 0
	s_cbranch_scc1 .LBB172_13
; %bb.11:
	s_cmp_eq_u32 s9, 1
	s_cbranch_scc0 .LBB172_14
; %bb.12:
	s_wait_loadcnt 0x0
	v_and_b32_e32 v3, 0xff, v7
	s_and_b32 s8, s10, 0xff
	s_delay_alu instid0(VALU_DEP_1) | instid1(SALU_CYCLE_1)
	v_min_u16 v3, v3, s8
	s_mov_b32 s8, 0
	s_branch .LBB172_15
.LBB172_13:
	s_mov_b32 s8, 0
                                        ; implicit-def: $vgpr3
	s_cbranch_execnz .LBB172_16
	s_branch .LBB172_17
.LBB172_14:
	s_mov_b32 s8, -1
                                        ; implicit-def: $vgpr3
.LBB172_15:
	s_branch .LBB172_17
.LBB172_16:
	s_cmp_lg_u32 s9, 0
	s_mov_b32 s7, -1
	s_cselect_b32 s8, -1, 0
.LBB172_17:
	s_wait_loadcnt 0x0
	v_and_b32_e32 v7, 0xff, v7
	s_and_not1_b32 vcc_lo, exec_lo, s8
	s_cbranch_vccz .LBB172_24
; %bb.18:
	s_and_not1_b32 vcc_lo, exec_lo, s7
	s_cbranch_vccnz .LBB172_20
.LBB172_19:
	s_and_b32 s7, s10, 0xff
	s_delay_alu instid0(SALU_CYCLE_1)
	v_max_u16 v3, v7, s7
.LBB172_20:
	s_delay_alu instid0(VALU_DEP_1) | instskip(NEXT) | instid1(VALU_DEP_1)
	v_and_b32_e32 v3, 0xff, v3
	v_and_b32_e32 v3, 0xffff, v3
	s_or_b32 exec_lo, exec_lo, s6
	s_delay_alu instid0(SALU_CYCLE_1)
	s_mov_b32 s6, exec_lo
	v_cmpx_gt_i32_e64 s2, v1
	s_cbranch_execz .LBB172_33
.LBB172_21:
	s_cmp_lt_i32 s9, 1
	s_mov_b32 s7, 0
	s_cbranch_scc1 .LBB172_25
; %bb.22:
	s_cmp_eq_u32 s9, 1
	s_cbranch_scc0 .LBB172_26
; %bb.23:
	s_wait_loadcnt 0x0
	v_and_b32_e32 v7, 0xff, v6
	s_and_b32 s8, s10, 0xff
	s_delay_alu instid0(VALU_DEP_1) | instid1(SALU_CYCLE_1)
	v_min_u16 v7, v7, s8
	s_mov_b32 s8, 0
	s_branch .LBB172_27
.LBB172_24:
	s_and_b32 s7, s10, 0xff
	s_delay_alu instid0(VALU_DEP_1) | instid1(SALU_CYCLE_1)
	v_max_u16 v3, v7, s7
	s_and_b32 s7, s3, 0xff
	s_delay_alu instid0(VALU_DEP_1) | instid1(SALU_CYCLE_1)
	v_min_u16 v3, v3, s7
	s_cbranch_execz .LBB172_19
	s_branch .LBB172_20
.LBB172_25:
	s_mov_b32 s8, 0
                                        ; implicit-def: $vgpr7
	s_cbranch_execnz .LBB172_28
	s_branch .LBB172_29
.LBB172_26:
	s_mov_b32 s8, -1
                                        ; implicit-def: $vgpr7
.LBB172_27:
	s_branch .LBB172_29
.LBB172_28:
	s_cmp_lg_u32 s9, 0
	s_mov_b32 s7, -1
	s_cselect_b32 s8, -1, 0
.LBB172_29:
	s_wait_loadcnt 0x0
	v_and_b32_e32 v6, 0xff, v6
	s_and_not1_b32 vcc_lo, exec_lo, s8
	s_cbranch_vccz .LBB172_37
; %bb.30:
	s_and_not1_b32 vcc_lo, exec_lo, s7
	s_cbranch_vccnz .LBB172_32
.LBB172_31:
	s_and_b32 s7, s10, 0xff
	s_delay_alu instid0(SALU_CYCLE_1)
	v_max_u16 v7, v6, s7
.LBB172_32:
	s_delay_alu instid0(VALU_DEP_1) | instskip(NEXT) | instid1(VALU_DEP_1)
	v_lshlrev_b16 v6, 8, v7
	v_or_b32_e32 v3, v3, v6
	s_delay_alu instid0(VALU_DEP_1)
	v_and_b32_e32 v3, 0xffff, v3
.LBB172_33:
	s_or_b32 exec_lo, exec_lo, s6
	s_wait_loadcnt 0x0
	v_or_b32_e32 v6, 0x200, v0
	s_mov_b32 s6, exec_lo
	s_delay_alu instid0(VALU_DEP_1)
	v_cmpx_gt_i32_e64 s2, v6
	s_cbranch_execz .LBB172_46
; %bb.34:
	s_cmp_lt_i32 s9, 1
	s_mov_b32 s7, 0
	s_cbranch_scc1 .LBB172_38
; %bb.35:
	s_cmp_eq_u32 s9, 1
	s_cbranch_scc0 .LBB172_39
; %bb.36:
	v_and_b32_e32 v6, 0xff, v5
	s_and_b32 s8, s10, 0xff
	s_delay_alu instid0(VALU_DEP_1) | instid1(SALU_CYCLE_1)
	v_min_u16 v6, v6, s8
	s_mov_b32 s8, 0
	s_branch .LBB172_40
.LBB172_37:
	s_and_b32 s7, s10, 0xff
	s_delay_alu instid0(VALU_DEP_1) | instid1(SALU_CYCLE_1)
	v_max_u16 v7, v6, s7
	s_and_b32 s7, s3, 0xff
	s_delay_alu instid0(VALU_DEP_1) | instid1(SALU_CYCLE_1)
	v_min_u16 v7, v7, s7
	s_cbranch_execz .LBB172_31
	s_branch .LBB172_32
.LBB172_38:
	s_mov_b32 s8, 0
                                        ; implicit-def: $vgpr6
	s_cbranch_execnz .LBB172_41
	s_branch .LBB172_42
.LBB172_39:
	s_mov_b32 s8, -1
                                        ; implicit-def: $vgpr6
.LBB172_40:
	s_branch .LBB172_42
.LBB172_41:
	s_cmp_lg_u32 s9, 0
	s_mov_b32 s7, -1
	s_cselect_b32 s8, -1, 0
.LBB172_42:
	v_and_b32_e32 v5, 0xff, v5
	s_and_not1_b32 vcc_lo, exec_lo, s8
	s_cbranch_vccz .LBB172_50
; %bb.43:
	s_and_not1_b32 vcc_lo, exec_lo, s7
	s_cbranch_vccnz .LBB172_45
.LBB172_44:
	s_and_b32 s7, s10, 0xff
	s_delay_alu instid0(SALU_CYCLE_1)
	v_max_u16 v6, v5, s7
.LBB172_45:
	s_delay_alu instid0(VALU_DEP_1) | instskip(NEXT) | instid1(VALU_DEP_1)
	v_and_b32_e32 v5, 0xff, v6
	v_lshlrev_b32_e32 v5, 16, v5
	s_delay_alu instid0(VALU_DEP_1)
	v_or_b32_e32 v3, v3, v5
.LBB172_46:
	s_or_b32 exec_lo, exec_lo, s6
	v_or_b32_e32 v5, 0x300, v0
	s_mov_b32 s6, exec_lo
	s_delay_alu instid0(VALU_DEP_1)
	v_cmpx_gt_i32_e64 s2, v5
	s_cbranch_execz .LBB172_59
; %bb.47:
	s_cmp_lt_i32 s9, 1
	s_mov_b32 s7, 0
	s_cbranch_scc1 .LBB172_51
; %bb.48:
	s_cmp_eq_u32 s9, 1
	s_cbranch_scc0 .LBB172_52
; %bb.49:
	v_and_b32_e32 v5, 0xff, v4
	s_and_b32 s8, s10, 0xff
	s_delay_alu instid0(VALU_DEP_1) | instid1(SALU_CYCLE_1)
	v_min_u16 v5, v5, s8
	s_mov_b32 s8, 0
	s_branch .LBB172_53
.LBB172_50:
	s_and_b32 s7, s10, 0xff
	s_delay_alu instid0(VALU_DEP_1) | instid1(SALU_CYCLE_1)
	v_max_u16 v6, v5, s7
	s_and_b32 s7, s3, 0xff
	s_delay_alu instid0(VALU_DEP_1) | instid1(SALU_CYCLE_1)
	v_min_u16 v6, v6, s7
	s_cbranch_execz .LBB172_44
	s_branch .LBB172_45
.LBB172_51:
	s_mov_b32 s8, 0
                                        ; implicit-def: $vgpr5
	s_cbranch_execnz .LBB172_54
	s_branch .LBB172_55
.LBB172_52:
	s_mov_b32 s8, -1
                                        ; implicit-def: $vgpr5
.LBB172_53:
	s_branch .LBB172_55
.LBB172_54:
	s_cmp_lg_u32 s9, 0
	s_mov_b32 s7, -1
	s_cselect_b32 s8, -1, 0
.LBB172_55:
	v_and_b32_e32 v4, 0xff, v4
	s_and_not1_b32 vcc_lo, exec_lo, s8
	s_cbranch_vccz .LBB172_68
; %bb.56:
	s_and_not1_b32 vcc_lo, exec_lo, s7
	s_cbranch_vccnz .LBB172_58
.LBB172_57:
	s_and_b32 s3, s10, 0xff
	s_delay_alu instid0(SALU_CYCLE_1)
	v_max_u16 v5, v4, s3
.LBB172_58:
	v_lshrrev_b32_e32 v4, 16, v3
	s_delay_alu instid0(VALU_DEP_2) | instskip(NEXT) | instid1(VALU_DEP_1)
	v_lshlrev_b16 v5, 8, v5
	v_or_b32_e32 v4, v4, v5
	s_delay_alu instid0(VALU_DEP_1) | instskip(NEXT) | instid1(VALU_DEP_1)
	v_lshlrev_b32_e32 v4, 16, v4
	v_and_or_b32 v3, 0xffff, v3, v4
.LBB172_59:
	s_or_b32 exec_lo, exec_lo, s6
	s_and_saveexec_b32 s3, s0
	s_delay_alu instid0(SALU_CYCLE_1)
	s_xor_b32 s0, exec_lo, s3
	s_cbranch_execz .LBB172_61
; %bb.60:
	v_mov_b32_e32 v0, v1
	global_store_b8 v2, v3, s[4:5]
.LBB172_61:
	s_wait_xcnt 0x0
	s_or_b32 exec_lo, exec_lo, s0
	s_delay_alu instid0(SALU_CYCLE_1)
	s_mov_b32 s0, exec_lo
	v_cmpx_gt_i32_e64 s2, v0
	s_cbranch_execnz .LBB172_65
; %bb.62:
	s_or_b32 exec_lo, exec_lo, s0
	s_delay_alu instid0(SALU_CYCLE_1)
	s_mov_b32 s0, exec_lo
	v_cmpx_gt_i32_e64 s2, v0
	s_cbranch_execnz .LBB172_66
.LBB172_63:
	s_or_b32 exec_lo, exec_lo, s0
	s_delay_alu instid0(SALU_CYCLE_1)
	s_mov_b32 s0, exec_lo
	v_cmpx_gt_i32_e64 s2, v0
	s_cbranch_execnz .LBB172_67
.LBB172_64:
	s_endpgm
.LBB172_65:
	v_add_nc_u32_e32 v1, 0x100, v0
	v_dual_add_nc_u32 v2, s1, v0 :: v_dual_lshrrev_b32 v4, 8, v3
	s_delay_alu instid0(VALU_DEP_2) | instskip(SKIP_3) | instid1(SALU_CYCLE_1)
	v_mov_b32_e32 v0, v1
	global_store_b8 v2, v4, s[4:5]
	s_wait_xcnt 0x0
	s_or_b32 exec_lo, exec_lo, s0
	s_mov_b32 s0, exec_lo
	v_cmpx_gt_i32_e64 s2, v0
	s_cbranch_execz .LBB172_63
.LBB172_66:
	v_add_nc_u32_e32 v1, 0x100, v0
	s_delay_alu instid0(VALU_DEP_1) | instskip(SKIP_3) | instid1(SALU_CYCLE_1)
	v_dual_add_nc_u32 v2, s1, v0 :: v_dual_mov_b32 v0, v1
	global_store_d16_hi_b8 v2, v3, s[4:5]
	s_wait_xcnt 0x0
	s_or_b32 exec_lo, exec_lo, s0
	s_mov_b32 s0, exec_lo
	v_cmpx_gt_i32_e64 s2, v0
	s_cbranch_execz .LBB172_64
.LBB172_67:
	v_dual_add_nc_u32 v0, s1, v0 :: v_dual_lshrrev_b32 v1, 24, v3
	global_store_b8 v0, v1, s[4:5]
	s_endpgm
.LBB172_68:
	s_and_b32 s7, s10, 0xff
	s_and_b32 s3, s3, 0xff
	v_max_u16 v5, v4, s7
	s_delay_alu instid0(VALU_DEP_1)
	v_min_u16 v5, v5, s3
	s_cbranch_execz .LBB172_57
	s_branch .LBB172_58
	.section	.rodata,"a",@progbits
	.p2align	6, 0x0
	.amdhsa_kernel _ZN2at6native27unrolled_elementwise_kernelIZZZNS0_12_GLOBAL__N_119launch_clamp_scalarERNS_18TensorIteratorBaseEN3c106ScalarES6_NS0_6detail11ClampLimitsEENKUlvE_clEvENKUlvE_clEvEUlhE_St5arrayIPcLm2EELi4E23TrivialOffsetCalculatorILi1EjESG_NS0_6memory15LoadWithoutCastENSH_16StoreWithoutCastEEEviT_T0_T2_T3_T4_T5_
		.amdhsa_group_segment_fixed_size 0
		.amdhsa_private_segment_fixed_size 0
		.amdhsa_kernarg_size 36
		.amdhsa_user_sgpr_count 2
		.amdhsa_user_sgpr_dispatch_ptr 0
		.amdhsa_user_sgpr_queue_ptr 0
		.amdhsa_user_sgpr_kernarg_segment_ptr 1
		.amdhsa_user_sgpr_dispatch_id 0
		.amdhsa_user_sgpr_kernarg_preload_length 0
		.amdhsa_user_sgpr_kernarg_preload_offset 0
		.amdhsa_user_sgpr_private_segment_size 0
		.amdhsa_wavefront_size32 1
		.amdhsa_uses_dynamic_stack 0
		.amdhsa_enable_private_segment 0
		.amdhsa_system_sgpr_workgroup_id_x 1
		.amdhsa_system_sgpr_workgroup_id_y 0
		.amdhsa_system_sgpr_workgroup_id_z 0
		.amdhsa_system_sgpr_workgroup_info 0
		.amdhsa_system_vgpr_workitem_id 0
		.amdhsa_next_free_vgpr 9
		.amdhsa_next_free_sgpr 13
		.amdhsa_named_barrier_count 0
		.amdhsa_reserve_vcc 1
		.amdhsa_float_round_mode_32 0
		.amdhsa_float_round_mode_16_64 0
		.amdhsa_float_denorm_mode_32 3
		.amdhsa_float_denorm_mode_16_64 3
		.amdhsa_fp16_overflow 0
		.amdhsa_memory_ordered 1
		.amdhsa_forward_progress 1
		.amdhsa_inst_pref_size 13
		.amdhsa_round_robin_scheduling 0
		.amdhsa_exception_fp_ieee_invalid_op 0
		.amdhsa_exception_fp_denorm_src 0
		.amdhsa_exception_fp_ieee_div_zero 0
		.amdhsa_exception_fp_ieee_overflow 0
		.amdhsa_exception_fp_ieee_underflow 0
		.amdhsa_exception_fp_ieee_inexact 0
		.amdhsa_exception_int_div_zero 0
	.end_amdhsa_kernel
	.section	.text._ZN2at6native27unrolled_elementwise_kernelIZZZNS0_12_GLOBAL__N_119launch_clamp_scalarERNS_18TensorIteratorBaseEN3c106ScalarES6_NS0_6detail11ClampLimitsEENKUlvE_clEvENKUlvE_clEvEUlhE_St5arrayIPcLm2EELi4E23TrivialOffsetCalculatorILi1EjESG_NS0_6memory15LoadWithoutCastENSH_16StoreWithoutCastEEEviT_T0_T2_T3_T4_T5_,"axG",@progbits,_ZN2at6native27unrolled_elementwise_kernelIZZZNS0_12_GLOBAL__N_119launch_clamp_scalarERNS_18TensorIteratorBaseEN3c106ScalarES6_NS0_6detail11ClampLimitsEENKUlvE_clEvENKUlvE_clEvEUlhE_St5arrayIPcLm2EELi4E23TrivialOffsetCalculatorILi1EjESG_NS0_6memory15LoadWithoutCastENSH_16StoreWithoutCastEEEviT_T0_T2_T3_T4_T5_,comdat
.Lfunc_end172:
	.size	_ZN2at6native27unrolled_elementwise_kernelIZZZNS0_12_GLOBAL__N_119launch_clamp_scalarERNS_18TensorIteratorBaseEN3c106ScalarES6_NS0_6detail11ClampLimitsEENKUlvE_clEvENKUlvE_clEvEUlhE_St5arrayIPcLm2EELi4E23TrivialOffsetCalculatorILi1EjESG_NS0_6memory15LoadWithoutCastENSH_16StoreWithoutCastEEEviT_T0_T2_T3_T4_T5_, .Lfunc_end172-_ZN2at6native27unrolled_elementwise_kernelIZZZNS0_12_GLOBAL__N_119launch_clamp_scalarERNS_18TensorIteratorBaseEN3c106ScalarES6_NS0_6detail11ClampLimitsEENKUlvE_clEvENKUlvE_clEvEUlhE_St5arrayIPcLm2EELi4E23TrivialOffsetCalculatorILi1EjESG_NS0_6memory15LoadWithoutCastENSH_16StoreWithoutCastEEEviT_T0_T2_T3_T4_T5_
                                        ; -- End function
	.set _ZN2at6native27unrolled_elementwise_kernelIZZZNS0_12_GLOBAL__N_119launch_clamp_scalarERNS_18TensorIteratorBaseEN3c106ScalarES6_NS0_6detail11ClampLimitsEENKUlvE_clEvENKUlvE_clEvEUlhE_St5arrayIPcLm2EELi4E23TrivialOffsetCalculatorILi1EjESG_NS0_6memory15LoadWithoutCastENSH_16StoreWithoutCastEEEviT_T0_T2_T3_T4_T5_.num_vgpr, 9
	.set _ZN2at6native27unrolled_elementwise_kernelIZZZNS0_12_GLOBAL__N_119launch_clamp_scalarERNS_18TensorIteratorBaseEN3c106ScalarES6_NS0_6detail11ClampLimitsEENKUlvE_clEvENKUlvE_clEvEUlhE_St5arrayIPcLm2EELi4E23TrivialOffsetCalculatorILi1EjESG_NS0_6memory15LoadWithoutCastENSH_16StoreWithoutCastEEEviT_T0_T2_T3_T4_T5_.num_agpr, 0
	.set _ZN2at6native27unrolled_elementwise_kernelIZZZNS0_12_GLOBAL__N_119launch_clamp_scalarERNS_18TensorIteratorBaseEN3c106ScalarES6_NS0_6detail11ClampLimitsEENKUlvE_clEvENKUlvE_clEvEUlhE_St5arrayIPcLm2EELi4E23TrivialOffsetCalculatorILi1EjESG_NS0_6memory15LoadWithoutCastENSH_16StoreWithoutCastEEEviT_T0_T2_T3_T4_T5_.numbered_sgpr, 13
	.set _ZN2at6native27unrolled_elementwise_kernelIZZZNS0_12_GLOBAL__N_119launch_clamp_scalarERNS_18TensorIteratorBaseEN3c106ScalarES6_NS0_6detail11ClampLimitsEENKUlvE_clEvENKUlvE_clEvEUlhE_St5arrayIPcLm2EELi4E23TrivialOffsetCalculatorILi1EjESG_NS0_6memory15LoadWithoutCastENSH_16StoreWithoutCastEEEviT_T0_T2_T3_T4_T5_.num_named_barrier, 0
	.set _ZN2at6native27unrolled_elementwise_kernelIZZZNS0_12_GLOBAL__N_119launch_clamp_scalarERNS_18TensorIteratorBaseEN3c106ScalarES6_NS0_6detail11ClampLimitsEENKUlvE_clEvENKUlvE_clEvEUlhE_St5arrayIPcLm2EELi4E23TrivialOffsetCalculatorILi1EjESG_NS0_6memory15LoadWithoutCastENSH_16StoreWithoutCastEEEviT_T0_T2_T3_T4_T5_.private_seg_size, 0
	.set _ZN2at6native27unrolled_elementwise_kernelIZZZNS0_12_GLOBAL__N_119launch_clamp_scalarERNS_18TensorIteratorBaseEN3c106ScalarES6_NS0_6detail11ClampLimitsEENKUlvE_clEvENKUlvE_clEvEUlhE_St5arrayIPcLm2EELi4E23TrivialOffsetCalculatorILi1EjESG_NS0_6memory15LoadWithoutCastENSH_16StoreWithoutCastEEEviT_T0_T2_T3_T4_T5_.uses_vcc, 1
	.set _ZN2at6native27unrolled_elementwise_kernelIZZZNS0_12_GLOBAL__N_119launch_clamp_scalarERNS_18TensorIteratorBaseEN3c106ScalarES6_NS0_6detail11ClampLimitsEENKUlvE_clEvENKUlvE_clEvEUlhE_St5arrayIPcLm2EELi4E23TrivialOffsetCalculatorILi1EjESG_NS0_6memory15LoadWithoutCastENSH_16StoreWithoutCastEEEviT_T0_T2_T3_T4_T5_.uses_flat_scratch, 0
	.set _ZN2at6native27unrolled_elementwise_kernelIZZZNS0_12_GLOBAL__N_119launch_clamp_scalarERNS_18TensorIteratorBaseEN3c106ScalarES6_NS0_6detail11ClampLimitsEENKUlvE_clEvENKUlvE_clEvEUlhE_St5arrayIPcLm2EELi4E23TrivialOffsetCalculatorILi1EjESG_NS0_6memory15LoadWithoutCastENSH_16StoreWithoutCastEEEviT_T0_T2_T3_T4_T5_.has_dyn_sized_stack, 0
	.set _ZN2at6native27unrolled_elementwise_kernelIZZZNS0_12_GLOBAL__N_119launch_clamp_scalarERNS_18TensorIteratorBaseEN3c106ScalarES6_NS0_6detail11ClampLimitsEENKUlvE_clEvENKUlvE_clEvEUlhE_St5arrayIPcLm2EELi4E23TrivialOffsetCalculatorILi1EjESG_NS0_6memory15LoadWithoutCastENSH_16StoreWithoutCastEEEviT_T0_T2_T3_T4_T5_.has_recursion, 0
	.set _ZN2at6native27unrolled_elementwise_kernelIZZZNS0_12_GLOBAL__N_119launch_clamp_scalarERNS_18TensorIteratorBaseEN3c106ScalarES6_NS0_6detail11ClampLimitsEENKUlvE_clEvENKUlvE_clEvEUlhE_St5arrayIPcLm2EELi4E23TrivialOffsetCalculatorILi1EjESG_NS0_6memory15LoadWithoutCastENSH_16StoreWithoutCastEEEviT_T0_T2_T3_T4_T5_.has_indirect_call, 0
	.section	.AMDGPU.csdata,"",@progbits
; Kernel info:
; codeLenInByte = 1584
; TotalNumSgprs: 15
; NumVgprs: 9
; ScratchSize: 0
; MemoryBound: 0
; FloatMode: 240
; IeeeMode: 1
; LDSByteSize: 0 bytes/workgroup (compile time only)
; SGPRBlocks: 0
; VGPRBlocks: 0
; NumSGPRsForWavesPerEU: 15
; NumVGPRsForWavesPerEU: 9
; NamedBarCnt: 0
; Occupancy: 16
; WaveLimiterHint : 0
; COMPUTE_PGM_RSRC2:SCRATCH_EN: 0
; COMPUTE_PGM_RSRC2:USER_SGPR: 2
; COMPUTE_PGM_RSRC2:TRAP_HANDLER: 0
; COMPUTE_PGM_RSRC2:TGID_X_EN: 1
; COMPUTE_PGM_RSRC2:TGID_Y_EN: 0
; COMPUTE_PGM_RSRC2:TGID_Z_EN: 0
; COMPUTE_PGM_RSRC2:TIDIG_COMP_CNT: 0
	.section	.text._ZN2at6native32elementwise_kernel_manual_unrollILi128ELi8EZNS0_22gpu_kernel_impl_nocastIZZZNS0_12_GLOBAL__N_119launch_clamp_scalarERNS_18TensorIteratorBaseEN3c106ScalarES7_NS0_6detail11ClampLimitsEENKUlvE_clEvENKUlvE_clEvEUlhE_EEvS5_RKT_EUlibE_EEviT1_,"axG",@progbits,_ZN2at6native32elementwise_kernel_manual_unrollILi128ELi8EZNS0_22gpu_kernel_impl_nocastIZZZNS0_12_GLOBAL__N_119launch_clamp_scalarERNS_18TensorIteratorBaseEN3c106ScalarES7_NS0_6detail11ClampLimitsEENKUlvE_clEvENKUlvE_clEvEUlhE_EEvS5_RKT_EUlibE_EEviT1_,comdat
	.globl	_ZN2at6native32elementwise_kernel_manual_unrollILi128ELi8EZNS0_22gpu_kernel_impl_nocastIZZZNS0_12_GLOBAL__N_119launch_clamp_scalarERNS_18TensorIteratorBaseEN3c106ScalarES7_NS0_6detail11ClampLimitsEENKUlvE_clEvENKUlvE_clEvEUlhE_EEvS5_RKT_EUlibE_EEviT1_ ; -- Begin function _ZN2at6native32elementwise_kernel_manual_unrollILi128ELi8EZNS0_22gpu_kernel_impl_nocastIZZZNS0_12_GLOBAL__N_119launch_clamp_scalarERNS_18TensorIteratorBaseEN3c106ScalarES7_NS0_6detail11ClampLimitsEENKUlvE_clEvENKUlvE_clEvEUlhE_EEvS5_RKT_EUlibE_EEviT1_
	.p2align	8
	.type	_ZN2at6native32elementwise_kernel_manual_unrollILi128ELi8EZNS0_22gpu_kernel_impl_nocastIZZZNS0_12_GLOBAL__N_119launch_clamp_scalarERNS_18TensorIteratorBaseEN3c106ScalarES7_NS0_6detail11ClampLimitsEENKUlvE_clEvENKUlvE_clEvEUlhE_EEvS5_RKT_EUlibE_EEviT1_,@function
_ZN2at6native32elementwise_kernel_manual_unrollILi128ELi8EZNS0_22gpu_kernel_impl_nocastIZZZNS0_12_GLOBAL__N_119launch_clamp_scalarERNS_18TensorIteratorBaseEN3c106ScalarES7_NS0_6detail11ClampLimitsEENKUlvE_clEvENKUlvE_clEvEUlhE_EEvS5_RKT_EUlibE_EEviT1_: ; @_ZN2at6native32elementwise_kernel_manual_unrollILi128ELi8EZNS0_22gpu_kernel_impl_nocastIZZZNS0_12_GLOBAL__N_119launch_clamp_scalarERNS_18TensorIteratorBaseEN3c106ScalarES7_NS0_6detail11ClampLimitsEENKUlvE_clEvENKUlvE_clEvEUlhE_EEvS5_RKT_EUlibE_EEviT1_
; %bb.0:
	s_clause 0x1
	s_load_b32 s30, s[0:1], 0x8
	s_load_b32 s36, s[0:1], 0x0
	s_bfe_u32 s2, ttmp6, 0x4000c
	s_and_b32 s3, ttmp6, 15
	s_add_co_i32 s2, s2, 1
	s_getreg_b32 s4, hwreg(HW_REG_IB_STS2, 6, 4)
	s_mul_i32 s2, ttmp9, s2
	s_add_nc_u64 s[12:13], s[0:1], 8
	s_add_co_i32 s3, s3, s2
	s_cmp_eq_u32 s4, 0
	s_mov_b32 s19, 0
	s_cselect_b32 s2, ttmp9, s3
	s_wait_xcnt 0x0
	s_mov_b32 s0, exec_lo
	v_lshl_or_b32 v0, s2, 10, v0
	s_delay_alu instid0(VALU_DEP_1) | instskip(SKIP_2) | instid1(SALU_CYCLE_1)
	v_or_b32_e32 v16, 0x380, v0
	s_wait_kmcnt 0x0
	s_add_co_i32 s31, s30, -1
	s_cmp_gt_u32 s31, 1
	s_cselect_b32 s33, -1, 0
	v_cmpx_le_i32_e64 s36, v16
	s_xor_b32 s34, exec_lo, s0
	s_cbranch_execz .LBB173_217
; %bb.1:
	s_clause 0x4
	s_load_b128 s[4:7], s[12:13], 0x4
	s_load_b64 s[16:17], s[12:13], 0x14
	s_load_b64 s[14:15], s[12:13], 0x158
	s_load_b128 s[8:11], s[12:13], 0xc4
	s_load_b128 s[0:3], s[12:13], 0x148
	s_cmp_lg_u32 s30, 0
	s_add_nc_u64 s[22:23], s[12:13], 0xc4
	s_cselect_b32 s38, -1, 0
	s_min_u32 s37, s31, 15
	s_cmp_gt_u32 s30, 1
	s_mov_b32 s21, s19
	s_cselect_b32 s35, -1, 0
	s_wait_kmcnt 0x0
	s_mov_b32 s18, s5
	s_mov_b32 s20, s16
	s_bfe_u32 s5, s15, 0x80008
	s_mov_b32 s16, exec_lo
	v_cmpx_gt_i32_e64 s36, v0
	s_cbranch_execnz .LBB173_9
; %bb.2:
	s_or_b32 exec_lo, exec_lo, s16
	s_delay_alu instid0(SALU_CYCLE_1)
	s_mov_b32 s16, exec_lo
	v_cmpx_gt_i32_e64 s36, v0
	s_cbranch_execnz .LBB173_34
.LBB173_3:
	s_or_b32 exec_lo, exec_lo, s16
	s_delay_alu instid0(SALU_CYCLE_1)
	s_mov_b32 s16, exec_lo
	v_cmpx_gt_i32_e64 s36, v0
	s_cbranch_execnz .LBB173_60
.LBB173_4:
	s_or_b32 exec_lo, exec_lo, s16
	s_delay_alu instid0(SALU_CYCLE_1)
	s_mov_b32 s16, exec_lo
	v_cmpx_gt_i32_e64 s36, v0
	s_cbranch_execnz .LBB173_86
.LBB173_5:
	s_or_b32 exec_lo, exec_lo, s16
	s_delay_alu instid0(SALU_CYCLE_1)
	s_mov_b32 s16, exec_lo
	v_cmpx_gt_i32_e64 s36, v0
	s_cbranch_execnz .LBB173_112
.LBB173_6:
	s_or_b32 exec_lo, exec_lo, s16
	s_delay_alu instid0(SALU_CYCLE_1)
	s_mov_b32 s16, exec_lo
	v_cmpx_gt_i32_e64 s36, v0
	s_cbranch_execnz .LBB173_138
.LBB173_7:
	s_or_b32 exec_lo, exec_lo, s16
	s_delay_alu instid0(SALU_CYCLE_1)
	s_mov_b32 s16, exec_lo
	v_cmpx_gt_i32_e64 s36, v0
	s_cbranch_execnz .LBB173_164
.LBB173_8:
	s_or_b32 exec_lo, exec_lo, s16
	s_delay_alu instid0(SALU_CYCLE_1)
	s_mov_b32 s16, exec_lo
	v_cmpx_gt_i32_e64 s36, v0
	s_cbranch_execnz .LBB173_190
	s_branch .LBB173_216
.LBB173_9:
	s_and_not1_b32 vcc_lo, exec_lo, s33
	s_cbranch_vccnz .LBB173_14
; %bb.10:
	s_and_not1_b32 vcc_lo, exec_lo, s38
	s_cbranch_vccnz .LBB173_15
; %bb.11:
	s_add_co_i32 s25, s37, 1
	s_cmp_eq_u32 s31, 2
	s_cbranch_scc1 .LBB173_16
; %bb.12:
	v_dual_mov_b32 v2, 0 :: v_dual_mov_b32 v3, 0
	v_mov_b32_e32 v1, v0
	s_and_b32 s24, s25, 28
	s_mov_b32 s39, 0
	s_mov_b64 s[26:27], s[12:13]
	s_mov_b64 s[28:29], s[22:23]
.LBB173_13:                             ; =>This Inner Loop Header: Depth=1
	s_clause 0x1
	s_load_b256 s[40:47], s[26:27], 0x4
	s_load_b128 s[56:59], s[26:27], 0x24
	s_load_b256 s[48:55], s[28:29], 0x0
	s_add_co_i32 s39, s39, 4
	s_wait_xcnt 0x0
	s_add_nc_u64 s[26:27], s[26:27], 48
	s_cmp_lg_u32 s24, s39
	s_add_nc_u64 s[28:29], s[28:29], 32
	s_wait_kmcnt 0x0
	v_mul_hi_u32 v4, s41, v1
	s_delay_alu instid0(VALU_DEP_1) | instskip(NEXT) | instid1(VALU_DEP_1)
	v_add_nc_u32_e32 v4, v1, v4
	v_lshrrev_b32_e32 v4, s42, v4
	s_delay_alu instid0(VALU_DEP_1) | instskip(NEXT) | instid1(VALU_DEP_1)
	v_mul_hi_u32 v5, s44, v4
	v_add_nc_u32_e32 v5, v4, v5
	s_delay_alu instid0(VALU_DEP_1) | instskip(NEXT) | instid1(VALU_DEP_1)
	v_lshrrev_b32_e32 v5, s45, v5
	v_mul_hi_u32 v6, s47, v5
	s_delay_alu instid0(VALU_DEP_1) | instskip(SKIP_1) | instid1(VALU_DEP_1)
	v_add_nc_u32_e32 v6, v5, v6
	v_mul_lo_u32 v7, v4, s40
	v_sub_nc_u32_e32 v1, v1, v7
	v_mul_lo_u32 v7, v5, s43
	s_delay_alu instid0(VALU_DEP_4) | instskip(NEXT) | instid1(VALU_DEP_3)
	v_lshrrev_b32_e32 v6, s56, v6
	v_mad_u32 v3, v1, s49, v3
	v_mad_u32 v1, v1, s48, v2
	s_delay_alu instid0(VALU_DEP_4) | instskip(NEXT) | instid1(VALU_DEP_4)
	v_sub_nc_u32_e32 v2, v4, v7
	v_mul_hi_u32 v8, s58, v6
	v_mul_lo_u32 v4, v6, s46
	s_delay_alu instid0(VALU_DEP_3) | instskip(SKIP_1) | instid1(VALU_DEP_4)
	v_mad_u32 v3, v2, s51, v3
	v_mad_u32 v2, v2, s50, v1
	v_add_nc_u32_e32 v7, v6, v8
	s_delay_alu instid0(VALU_DEP_1) | instskip(NEXT) | instid1(VALU_DEP_1)
	v_dual_sub_nc_u32 v4, v5, v4 :: v_dual_lshrrev_b32 v1, s59, v7
	v_mad_u32 v3, v4, s53, v3
	s_delay_alu instid0(VALU_DEP_4) | instskip(NEXT) | instid1(VALU_DEP_3)
	v_mad_u32 v2, v4, s52, v2
	v_mul_lo_u32 v5, v1, s57
	s_delay_alu instid0(VALU_DEP_1) | instskip(NEXT) | instid1(VALU_DEP_1)
	v_sub_nc_u32_e32 v4, v6, v5
	v_mad_u32 v3, v4, s55, v3
	s_delay_alu instid0(VALU_DEP_4)
	v_mad_u32 v2, v4, s54, v2
	s_cbranch_scc1 .LBB173_13
	s_branch .LBB173_17
.LBB173_14:
                                        ; implicit-def: $vgpr3
	s_branch .LBB173_21
.LBB173_15:
	v_dual_mov_b32 v3, 0 :: v_dual_mov_b32 v2, 0
	s_branch .LBB173_20
.LBB173_16:
	v_mov_b64_e32 v[2:3], 0
	v_mov_b32_e32 v1, v0
	s_mov_b32 s24, 0
.LBB173_17:
	s_and_b32 s28, s25, 3
	s_mov_b32 s25, 0
	s_cmp_eq_u32 s28, 0
	s_cbranch_scc1 .LBB173_20
; %bb.18:
	s_lshl_b32 s26, s24, 3
	s_mov_b32 s27, s25
	s_mul_u64 s[40:41], s[24:25], 12
	s_add_nc_u64 s[26:27], s[12:13], s[26:27]
	s_delay_alu instid0(SALU_CYCLE_1)
	s_add_nc_u64 s[24:25], s[26:27], 0xc4
	s_add_nc_u64 s[26:27], s[12:13], s[40:41]
.LBB173_19:                             ; =>This Inner Loop Header: Depth=1
	s_load_b96 s[40:42], s[26:27], 0x4
	s_add_co_i32 s28, s28, -1
	s_wait_xcnt 0x0
	s_add_nc_u64 s[26:27], s[26:27], 12
	s_cmp_lg_u32 s28, 0
	s_wait_kmcnt 0x0
	v_mul_hi_u32 v4, s41, v1
	s_delay_alu instid0(VALU_DEP_1) | instskip(NEXT) | instid1(VALU_DEP_1)
	v_add_nc_u32_e32 v4, v1, v4
	v_lshrrev_b32_e32 v4, s42, v4
	s_load_b64 s[42:43], s[24:25], 0x0
	s_wait_xcnt 0x0
	s_add_nc_u64 s[24:25], s[24:25], 8
	s_delay_alu instid0(VALU_DEP_1) | instskip(NEXT) | instid1(VALU_DEP_1)
	v_mul_lo_u32 v5, v4, s40
	v_sub_nc_u32_e32 v1, v1, v5
	s_wait_kmcnt 0x0
	s_delay_alu instid0(VALU_DEP_1)
	v_mad_u32 v3, v1, s43, v3
	v_mad_u32 v2, v1, s42, v2
	v_mov_b32_e32 v1, v4
	s_cbranch_scc1 .LBB173_19
.LBB173_20:
	s_cbranch_execnz .LBB173_23
.LBB173_21:
	v_mov_b32_e32 v1, 0
	s_and_not1_b32 vcc_lo, exec_lo, s35
	s_delay_alu instid0(VALU_DEP_1) | instskip(NEXT) | instid1(VALU_DEP_1)
	v_mul_u64_e32 v[2:3], s[18:19], v[0:1]
	v_add_nc_u32_e32 v2, v0, v3
	s_delay_alu instid0(VALU_DEP_1) | instskip(NEXT) | instid1(VALU_DEP_1)
	v_lshrrev_b32_e32 v4, s6, v2
	v_mul_lo_u32 v2, v4, s4
	s_delay_alu instid0(VALU_DEP_1) | instskip(NEXT) | instid1(VALU_DEP_1)
	v_sub_nc_u32_e32 v2, v0, v2
	v_mul_lo_u32 v3, v2, s9
	v_mul_lo_u32 v2, v2, s8
	s_cbranch_vccnz .LBB173_23
; %bb.22:
	v_mov_b32_e32 v5, v1
	s_delay_alu instid0(VALU_DEP_1) | instskip(NEXT) | instid1(VALU_DEP_1)
	v_mul_u64_e32 v[6:7], s[20:21], v[4:5]
	v_add_nc_u32_e32 v1, v4, v7
	s_delay_alu instid0(VALU_DEP_1) | instskip(NEXT) | instid1(VALU_DEP_1)
	v_lshrrev_b32_e32 v1, s17, v1
	v_mul_lo_u32 v1, v1, s7
	s_delay_alu instid0(VALU_DEP_1) | instskip(NEXT) | instid1(VALU_DEP_1)
	v_sub_nc_u32_e32 v1, v4, v1
	v_mad_u32 v2, v1, s10, v2
	v_mad_u32 v3, v1, s11, v3
.LBB173_23:
	global_load_u8 v3, v3, s[2:3]
	s_cmp_lt_i32 s14, 1
	s_mov_b32 s24, 0
	s_cbranch_scc1 .LBB173_26
; %bb.24:
	s_cmp_eq_u32 s14, 1
	s_cbranch_scc0 .LBB173_27
; %bb.25:
	s_wait_loadcnt 0x0
	v_and_b32_e32 v1, 0xff, v3
	s_and_b32 s25, s15, 0xff
	s_delay_alu instid0(VALU_DEP_1) | instid1(SALU_CYCLE_1)
	v_min_u16 v1, v1, s25
	s_mov_b32 s25, 0
	s_branch .LBB173_28
.LBB173_26:
	s_mov_b32 s25, 0
                                        ; implicit-def: $vgpr1
	s_cbranch_execnz .LBB173_29
	s_branch .LBB173_30
.LBB173_27:
	s_mov_b32 s25, -1
                                        ; implicit-def: $vgpr1
.LBB173_28:
	s_branch .LBB173_30
.LBB173_29:
	s_cmp_lg_u32 s14, 0
	s_mov_b32 s24, -1
	s_cselect_b32 s25, -1, 0
.LBB173_30:
	s_wait_loadcnt 0x0
	v_and_b32_e32 v3, 0xff, v3
	s_and_not1_b32 vcc_lo, exec_lo, s25
	s_cbranch_vccz .LBB173_39
; %bb.31:
	s_and_not1_b32 vcc_lo, exec_lo, s24
	s_cbranch_vccnz .LBB173_33
.LBB173_32:
	s_and_b32 s24, s15, 0xff
	s_delay_alu instid0(SALU_CYCLE_1)
	v_max_u16 v1, v3, s24
.LBB173_33:
	v_add_nc_u32_e32 v0, 0x80, v0
	global_store_b8 v2, v1, s[0:1]
	s_wait_xcnt 0x0
	s_or_b32 exec_lo, exec_lo, s16
	s_delay_alu instid0(SALU_CYCLE_1)
	s_mov_b32 s16, exec_lo
	v_cmpx_gt_i32_e64 s36, v0
	s_cbranch_execz .LBB173_3
.LBB173_34:
	s_and_not1_b32 vcc_lo, exec_lo, s33
	s_cbranch_vccnz .LBB173_40
; %bb.35:
	s_and_not1_b32 vcc_lo, exec_lo, s38
	s_cbranch_vccnz .LBB173_41
; %bb.36:
	s_add_co_i32 s25, s37, 1
	s_cmp_eq_u32 s31, 2
	s_cbranch_scc1 .LBB173_42
; %bb.37:
	v_dual_mov_b32 v2, 0 :: v_dual_mov_b32 v3, 0
	v_mov_b32_e32 v1, v0
	s_and_b32 s24, s25, 28
	s_mov_b32 s39, 0
	s_mov_b64 s[26:27], s[12:13]
	s_mov_b64 s[28:29], s[22:23]
.LBB173_38:                             ; =>This Inner Loop Header: Depth=1
	s_clause 0x1
	s_load_b256 s[40:47], s[26:27], 0x4
	s_load_b128 s[56:59], s[26:27], 0x24
	s_load_b256 s[48:55], s[28:29], 0x0
	s_add_co_i32 s39, s39, 4
	s_wait_xcnt 0x0
	s_add_nc_u64 s[26:27], s[26:27], 48
	s_cmp_eq_u32 s24, s39
	s_add_nc_u64 s[28:29], s[28:29], 32
	s_wait_kmcnt 0x0
	v_mul_hi_u32 v4, s41, v1
	s_delay_alu instid0(VALU_DEP_1) | instskip(NEXT) | instid1(VALU_DEP_1)
	v_add_nc_u32_e32 v4, v1, v4
	v_lshrrev_b32_e32 v4, s42, v4
	s_delay_alu instid0(VALU_DEP_1) | instskip(NEXT) | instid1(VALU_DEP_1)
	v_mul_hi_u32 v5, s44, v4
	v_add_nc_u32_e32 v5, v4, v5
	s_delay_alu instid0(VALU_DEP_1) | instskip(NEXT) | instid1(VALU_DEP_1)
	v_lshrrev_b32_e32 v5, s45, v5
	v_mul_hi_u32 v6, s47, v5
	s_delay_alu instid0(VALU_DEP_1) | instskip(SKIP_1) | instid1(VALU_DEP_1)
	v_add_nc_u32_e32 v6, v5, v6
	v_mul_lo_u32 v7, v4, s40
	v_sub_nc_u32_e32 v1, v1, v7
	v_mul_lo_u32 v7, v5, s43
	s_delay_alu instid0(VALU_DEP_4) | instskip(NEXT) | instid1(VALU_DEP_3)
	v_lshrrev_b32_e32 v6, s56, v6
	v_mad_u32 v3, v1, s49, v3
	v_mad_u32 v1, v1, s48, v2
	s_delay_alu instid0(VALU_DEP_4) | instskip(NEXT) | instid1(VALU_DEP_4)
	v_sub_nc_u32_e32 v2, v4, v7
	v_mul_hi_u32 v8, s58, v6
	v_mul_lo_u32 v4, v6, s46
	s_delay_alu instid0(VALU_DEP_3) | instskip(SKIP_1) | instid1(VALU_DEP_4)
	v_mad_u32 v3, v2, s51, v3
	v_mad_u32 v2, v2, s50, v1
	v_add_nc_u32_e32 v7, v6, v8
	s_delay_alu instid0(VALU_DEP_1) | instskip(NEXT) | instid1(VALU_DEP_1)
	v_dual_sub_nc_u32 v4, v5, v4 :: v_dual_lshrrev_b32 v1, s59, v7
	v_mad_u32 v3, v4, s53, v3
	s_delay_alu instid0(VALU_DEP_4) | instskip(NEXT) | instid1(VALU_DEP_3)
	v_mad_u32 v2, v4, s52, v2
	v_mul_lo_u32 v5, v1, s57
	s_delay_alu instid0(VALU_DEP_1) | instskip(NEXT) | instid1(VALU_DEP_1)
	v_sub_nc_u32_e32 v4, v6, v5
	v_mad_u32 v3, v4, s55, v3
	s_delay_alu instid0(VALU_DEP_4)
	v_mad_u32 v2, v4, s54, v2
	s_cbranch_scc0 .LBB173_38
	s_branch .LBB173_43
.LBB173_39:
	s_and_b32 s24, s15, 0xff
	s_delay_alu instid0(VALU_DEP_1) | instid1(SALU_CYCLE_1)
	v_max_u16 v1, v3, s24
	s_delay_alu instid0(VALU_DEP_1)
	v_min_u16 v1, v1, s5
	s_cbranch_execz .LBB173_32
	s_branch .LBB173_33
.LBB173_40:
                                        ; implicit-def: $vgpr3
	s_branch .LBB173_47
.LBB173_41:
	v_dual_mov_b32 v3, 0 :: v_dual_mov_b32 v2, 0
	s_branch .LBB173_46
.LBB173_42:
	v_mov_b64_e32 v[2:3], 0
	v_mov_b32_e32 v1, v0
	s_mov_b32 s24, 0
.LBB173_43:
	s_and_b32 s28, s25, 3
	s_mov_b32 s25, 0
	s_cmp_eq_u32 s28, 0
	s_cbranch_scc1 .LBB173_46
; %bb.44:
	s_lshl_b32 s26, s24, 3
	s_mov_b32 s27, s25
	s_mul_u64 s[40:41], s[24:25], 12
	s_add_nc_u64 s[26:27], s[12:13], s[26:27]
	s_delay_alu instid0(SALU_CYCLE_1)
	s_add_nc_u64 s[24:25], s[26:27], 0xc4
	s_add_nc_u64 s[26:27], s[12:13], s[40:41]
.LBB173_45:                             ; =>This Inner Loop Header: Depth=1
	s_load_b96 s[40:42], s[26:27], 0x4
	s_add_co_i32 s28, s28, -1
	s_wait_xcnt 0x0
	s_add_nc_u64 s[26:27], s[26:27], 12
	s_cmp_lg_u32 s28, 0
	s_wait_kmcnt 0x0
	v_mul_hi_u32 v4, s41, v1
	s_delay_alu instid0(VALU_DEP_1) | instskip(NEXT) | instid1(VALU_DEP_1)
	v_add_nc_u32_e32 v4, v1, v4
	v_lshrrev_b32_e32 v4, s42, v4
	s_load_b64 s[42:43], s[24:25], 0x0
	s_wait_xcnt 0x0
	s_add_nc_u64 s[24:25], s[24:25], 8
	s_delay_alu instid0(VALU_DEP_1) | instskip(NEXT) | instid1(VALU_DEP_1)
	v_mul_lo_u32 v5, v4, s40
	v_sub_nc_u32_e32 v1, v1, v5
	s_wait_kmcnt 0x0
	s_delay_alu instid0(VALU_DEP_1)
	v_mad_u32 v3, v1, s43, v3
	v_mad_u32 v2, v1, s42, v2
	v_mov_b32_e32 v1, v4
	s_cbranch_scc1 .LBB173_45
.LBB173_46:
	s_cbranch_execnz .LBB173_49
.LBB173_47:
	v_mov_b32_e32 v1, 0
	s_and_not1_b32 vcc_lo, exec_lo, s35
	s_delay_alu instid0(VALU_DEP_1) | instskip(NEXT) | instid1(VALU_DEP_1)
	v_mul_u64_e32 v[2:3], s[18:19], v[0:1]
	v_add_nc_u32_e32 v2, v0, v3
	s_delay_alu instid0(VALU_DEP_1) | instskip(NEXT) | instid1(VALU_DEP_1)
	v_lshrrev_b32_e32 v4, s6, v2
	v_mul_lo_u32 v2, v4, s4
	s_delay_alu instid0(VALU_DEP_1) | instskip(NEXT) | instid1(VALU_DEP_1)
	v_sub_nc_u32_e32 v2, v0, v2
	v_mul_lo_u32 v3, v2, s9
	v_mul_lo_u32 v2, v2, s8
	s_cbranch_vccnz .LBB173_49
; %bb.48:
	v_mov_b32_e32 v5, v1
	s_delay_alu instid0(VALU_DEP_1) | instskip(NEXT) | instid1(VALU_DEP_1)
	v_mul_u64_e32 v[6:7], s[20:21], v[4:5]
	v_add_nc_u32_e32 v1, v4, v7
	s_delay_alu instid0(VALU_DEP_1) | instskip(NEXT) | instid1(VALU_DEP_1)
	v_lshrrev_b32_e32 v1, s17, v1
	v_mul_lo_u32 v1, v1, s7
	s_delay_alu instid0(VALU_DEP_1) | instskip(NEXT) | instid1(VALU_DEP_1)
	v_sub_nc_u32_e32 v1, v4, v1
	v_mad_u32 v2, v1, s10, v2
	v_mad_u32 v3, v1, s11, v3
.LBB173_49:
	global_load_u8 v3, v3, s[2:3]
	s_cmp_lt_i32 s14, 1
	s_mov_b32 s24, 0
	s_cbranch_scc1 .LBB173_52
; %bb.50:
	s_cmp_eq_u32 s14, 1
	s_cbranch_scc0 .LBB173_53
; %bb.51:
	s_wait_loadcnt 0x0
	v_and_b32_e32 v1, 0xff, v3
	s_and_b32 s25, s15, 0xff
	s_delay_alu instid0(VALU_DEP_1) | instid1(SALU_CYCLE_1)
	v_min_u16 v1, v1, s25
	s_mov_b32 s25, 0
	s_branch .LBB173_54
.LBB173_52:
	s_mov_b32 s25, 0
                                        ; implicit-def: $vgpr1
	s_cbranch_execnz .LBB173_55
	s_branch .LBB173_56
.LBB173_53:
	s_mov_b32 s25, -1
                                        ; implicit-def: $vgpr1
.LBB173_54:
	s_branch .LBB173_56
.LBB173_55:
	s_cmp_lg_u32 s14, 0
	s_mov_b32 s24, -1
	s_cselect_b32 s25, -1, 0
.LBB173_56:
	s_wait_loadcnt 0x0
	v_and_b32_e32 v3, 0xff, v3
	s_and_not1_b32 vcc_lo, exec_lo, s25
	s_cbranch_vccz .LBB173_65
; %bb.57:
	s_and_not1_b32 vcc_lo, exec_lo, s24
	s_cbranch_vccnz .LBB173_59
.LBB173_58:
	s_and_b32 s24, s15, 0xff
	s_delay_alu instid0(SALU_CYCLE_1)
	v_max_u16 v1, v3, s24
.LBB173_59:
	v_add_nc_u32_e32 v0, 0x80, v0
	global_store_b8 v2, v1, s[0:1]
	s_wait_xcnt 0x0
	s_or_b32 exec_lo, exec_lo, s16
	s_delay_alu instid0(SALU_CYCLE_1)
	s_mov_b32 s16, exec_lo
	v_cmpx_gt_i32_e64 s36, v0
	s_cbranch_execz .LBB173_4
.LBB173_60:
	s_and_not1_b32 vcc_lo, exec_lo, s33
	s_cbranch_vccnz .LBB173_66
; %bb.61:
	s_and_not1_b32 vcc_lo, exec_lo, s38
	s_cbranch_vccnz .LBB173_67
; %bb.62:
	s_add_co_i32 s25, s37, 1
	s_cmp_eq_u32 s31, 2
	s_cbranch_scc1 .LBB173_68
; %bb.63:
	v_dual_mov_b32 v2, 0 :: v_dual_mov_b32 v3, 0
	v_mov_b32_e32 v1, v0
	s_and_b32 s24, s25, 28
	s_mov_b32 s39, 0
	s_mov_b64 s[26:27], s[12:13]
	s_mov_b64 s[28:29], s[22:23]
.LBB173_64:                             ; =>This Inner Loop Header: Depth=1
	s_clause 0x1
	s_load_b256 s[40:47], s[26:27], 0x4
	s_load_b128 s[56:59], s[26:27], 0x24
	s_load_b256 s[48:55], s[28:29], 0x0
	s_add_co_i32 s39, s39, 4
	s_wait_xcnt 0x0
	s_add_nc_u64 s[26:27], s[26:27], 48
	s_cmp_eq_u32 s24, s39
	s_add_nc_u64 s[28:29], s[28:29], 32
	s_wait_kmcnt 0x0
	v_mul_hi_u32 v4, s41, v1
	s_delay_alu instid0(VALU_DEP_1) | instskip(NEXT) | instid1(VALU_DEP_1)
	v_add_nc_u32_e32 v4, v1, v4
	v_lshrrev_b32_e32 v4, s42, v4
	s_delay_alu instid0(VALU_DEP_1) | instskip(NEXT) | instid1(VALU_DEP_1)
	v_mul_hi_u32 v5, s44, v4
	v_add_nc_u32_e32 v5, v4, v5
	s_delay_alu instid0(VALU_DEP_1) | instskip(NEXT) | instid1(VALU_DEP_1)
	v_lshrrev_b32_e32 v5, s45, v5
	v_mul_hi_u32 v6, s47, v5
	s_delay_alu instid0(VALU_DEP_1) | instskip(SKIP_1) | instid1(VALU_DEP_1)
	v_add_nc_u32_e32 v6, v5, v6
	v_mul_lo_u32 v7, v4, s40
	v_sub_nc_u32_e32 v1, v1, v7
	v_mul_lo_u32 v7, v5, s43
	s_delay_alu instid0(VALU_DEP_4) | instskip(NEXT) | instid1(VALU_DEP_3)
	v_lshrrev_b32_e32 v6, s56, v6
	v_mad_u32 v3, v1, s49, v3
	v_mad_u32 v1, v1, s48, v2
	s_delay_alu instid0(VALU_DEP_4) | instskip(NEXT) | instid1(VALU_DEP_4)
	v_sub_nc_u32_e32 v2, v4, v7
	v_mul_hi_u32 v8, s58, v6
	v_mul_lo_u32 v4, v6, s46
	s_delay_alu instid0(VALU_DEP_3) | instskip(SKIP_1) | instid1(VALU_DEP_4)
	v_mad_u32 v3, v2, s51, v3
	v_mad_u32 v2, v2, s50, v1
	v_add_nc_u32_e32 v7, v6, v8
	s_delay_alu instid0(VALU_DEP_1) | instskip(NEXT) | instid1(VALU_DEP_1)
	v_dual_sub_nc_u32 v4, v5, v4 :: v_dual_lshrrev_b32 v1, s59, v7
	v_mad_u32 v3, v4, s53, v3
	s_delay_alu instid0(VALU_DEP_4) | instskip(NEXT) | instid1(VALU_DEP_3)
	v_mad_u32 v2, v4, s52, v2
	v_mul_lo_u32 v5, v1, s57
	s_delay_alu instid0(VALU_DEP_1) | instskip(NEXT) | instid1(VALU_DEP_1)
	v_sub_nc_u32_e32 v4, v6, v5
	v_mad_u32 v3, v4, s55, v3
	s_delay_alu instid0(VALU_DEP_4)
	v_mad_u32 v2, v4, s54, v2
	s_cbranch_scc0 .LBB173_64
	s_branch .LBB173_69
.LBB173_65:
	s_and_b32 s24, s15, 0xff
	s_delay_alu instid0(VALU_DEP_1) | instid1(SALU_CYCLE_1)
	v_max_u16 v1, v3, s24
	s_delay_alu instid0(VALU_DEP_1)
	v_min_u16 v1, v1, s5
	s_cbranch_execz .LBB173_58
	s_branch .LBB173_59
.LBB173_66:
                                        ; implicit-def: $vgpr3
	s_branch .LBB173_73
.LBB173_67:
	v_dual_mov_b32 v3, 0 :: v_dual_mov_b32 v2, 0
	s_branch .LBB173_72
.LBB173_68:
	v_mov_b64_e32 v[2:3], 0
	v_mov_b32_e32 v1, v0
	s_mov_b32 s24, 0
.LBB173_69:
	s_and_b32 s28, s25, 3
	s_mov_b32 s25, 0
	s_cmp_eq_u32 s28, 0
	s_cbranch_scc1 .LBB173_72
; %bb.70:
	s_lshl_b32 s26, s24, 3
	s_mov_b32 s27, s25
	s_mul_u64 s[40:41], s[24:25], 12
	s_add_nc_u64 s[26:27], s[12:13], s[26:27]
	s_delay_alu instid0(SALU_CYCLE_1)
	s_add_nc_u64 s[24:25], s[26:27], 0xc4
	s_add_nc_u64 s[26:27], s[12:13], s[40:41]
.LBB173_71:                             ; =>This Inner Loop Header: Depth=1
	s_load_b96 s[40:42], s[26:27], 0x4
	s_add_co_i32 s28, s28, -1
	s_wait_xcnt 0x0
	s_add_nc_u64 s[26:27], s[26:27], 12
	s_cmp_lg_u32 s28, 0
	s_wait_kmcnt 0x0
	v_mul_hi_u32 v4, s41, v1
	s_delay_alu instid0(VALU_DEP_1) | instskip(NEXT) | instid1(VALU_DEP_1)
	v_add_nc_u32_e32 v4, v1, v4
	v_lshrrev_b32_e32 v4, s42, v4
	s_load_b64 s[42:43], s[24:25], 0x0
	s_wait_xcnt 0x0
	s_add_nc_u64 s[24:25], s[24:25], 8
	s_delay_alu instid0(VALU_DEP_1) | instskip(NEXT) | instid1(VALU_DEP_1)
	v_mul_lo_u32 v5, v4, s40
	v_sub_nc_u32_e32 v1, v1, v5
	s_wait_kmcnt 0x0
	s_delay_alu instid0(VALU_DEP_1)
	v_mad_u32 v3, v1, s43, v3
	v_mad_u32 v2, v1, s42, v2
	v_mov_b32_e32 v1, v4
	s_cbranch_scc1 .LBB173_71
.LBB173_72:
	s_cbranch_execnz .LBB173_75
.LBB173_73:
	v_mov_b32_e32 v1, 0
	s_and_not1_b32 vcc_lo, exec_lo, s35
	s_delay_alu instid0(VALU_DEP_1) | instskip(NEXT) | instid1(VALU_DEP_1)
	v_mul_u64_e32 v[2:3], s[18:19], v[0:1]
	v_add_nc_u32_e32 v2, v0, v3
	s_delay_alu instid0(VALU_DEP_1) | instskip(NEXT) | instid1(VALU_DEP_1)
	v_lshrrev_b32_e32 v4, s6, v2
	v_mul_lo_u32 v2, v4, s4
	s_delay_alu instid0(VALU_DEP_1) | instskip(NEXT) | instid1(VALU_DEP_1)
	v_sub_nc_u32_e32 v2, v0, v2
	v_mul_lo_u32 v3, v2, s9
	v_mul_lo_u32 v2, v2, s8
	s_cbranch_vccnz .LBB173_75
; %bb.74:
	v_mov_b32_e32 v5, v1
	s_delay_alu instid0(VALU_DEP_1) | instskip(NEXT) | instid1(VALU_DEP_1)
	v_mul_u64_e32 v[6:7], s[20:21], v[4:5]
	v_add_nc_u32_e32 v1, v4, v7
	s_delay_alu instid0(VALU_DEP_1) | instskip(NEXT) | instid1(VALU_DEP_1)
	v_lshrrev_b32_e32 v1, s17, v1
	v_mul_lo_u32 v1, v1, s7
	s_delay_alu instid0(VALU_DEP_1) | instskip(NEXT) | instid1(VALU_DEP_1)
	v_sub_nc_u32_e32 v1, v4, v1
	v_mad_u32 v2, v1, s10, v2
	v_mad_u32 v3, v1, s11, v3
.LBB173_75:
	global_load_u8 v3, v3, s[2:3]
	s_cmp_lt_i32 s14, 1
	s_mov_b32 s24, 0
	s_cbranch_scc1 .LBB173_78
; %bb.76:
	s_cmp_eq_u32 s14, 1
	s_cbranch_scc0 .LBB173_79
; %bb.77:
	s_wait_loadcnt 0x0
	v_and_b32_e32 v1, 0xff, v3
	s_and_b32 s25, s15, 0xff
	s_delay_alu instid0(VALU_DEP_1) | instid1(SALU_CYCLE_1)
	v_min_u16 v1, v1, s25
	s_mov_b32 s25, 0
	s_branch .LBB173_80
.LBB173_78:
	s_mov_b32 s25, 0
                                        ; implicit-def: $vgpr1
	s_cbranch_execnz .LBB173_81
	s_branch .LBB173_82
.LBB173_79:
	s_mov_b32 s25, -1
                                        ; implicit-def: $vgpr1
.LBB173_80:
	s_branch .LBB173_82
.LBB173_81:
	s_cmp_lg_u32 s14, 0
	s_mov_b32 s24, -1
	s_cselect_b32 s25, -1, 0
.LBB173_82:
	s_wait_loadcnt 0x0
	v_and_b32_e32 v3, 0xff, v3
	s_and_not1_b32 vcc_lo, exec_lo, s25
	s_cbranch_vccz .LBB173_91
; %bb.83:
	s_and_not1_b32 vcc_lo, exec_lo, s24
	s_cbranch_vccnz .LBB173_85
.LBB173_84:
	s_and_b32 s24, s15, 0xff
	s_delay_alu instid0(SALU_CYCLE_1)
	v_max_u16 v1, v3, s24
.LBB173_85:
	v_add_nc_u32_e32 v0, 0x80, v0
	global_store_b8 v2, v1, s[0:1]
	s_wait_xcnt 0x0
	s_or_b32 exec_lo, exec_lo, s16
	s_delay_alu instid0(SALU_CYCLE_1)
	s_mov_b32 s16, exec_lo
	v_cmpx_gt_i32_e64 s36, v0
	s_cbranch_execz .LBB173_5
.LBB173_86:
	s_and_not1_b32 vcc_lo, exec_lo, s33
	s_cbranch_vccnz .LBB173_92
; %bb.87:
	s_and_not1_b32 vcc_lo, exec_lo, s38
	s_cbranch_vccnz .LBB173_93
; %bb.88:
	s_add_co_i32 s25, s37, 1
	s_cmp_eq_u32 s31, 2
	s_cbranch_scc1 .LBB173_94
; %bb.89:
	v_dual_mov_b32 v2, 0 :: v_dual_mov_b32 v3, 0
	v_mov_b32_e32 v1, v0
	s_and_b32 s24, s25, 28
	s_mov_b32 s39, 0
	s_mov_b64 s[26:27], s[12:13]
	s_mov_b64 s[28:29], s[22:23]
.LBB173_90:                             ; =>This Inner Loop Header: Depth=1
	s_clause 0x1
	s_load_b256 s[40:47], s[26:27], 0x4
	s_load_b128 s[56:59], s[26:27], 0x24
	s_load_b256 s[48:55], s[28:29], 0x0
	s_add_co_i32 s39, s39, 4
	s_wait_xcnt 0x0
	s_add_nc_u64 s[26:27], s[26:27], 48
	s_cmp_eq_u32 s24, s39
	s_add_nc_u64 s[28:29], s[28:29], 32
	s_wait_kmcnt 0x0
	v_mul_hi_u32 v4, s41, v1
	s_delay_alu instid0(VALU_DEP_1) | instskip(NEXT) | instid1(VALU_DEP_1)
	v_add_nc_u32_e32 v4, v1, v4
	v_lshrrev_b32_e32 v4, s42, v4
	s_delay_alu instid0(VALU_DEP_1) | instskip(NEXT) | instid1(VALU_DEP_1)
	v_mul_hi_u32 v5, s44, v4
	v_add_nc_u32_e32 v5, v4, v5
	s_delay_alu instid0(VALU_DEP_1) | instskip(NEXT) | instid1(VALU_DEP_1)
	v_lshrrev_b32_e32 v5, s45, v5
	v_mul_hi_u32 v6, s47, v5
	s_delay_alu instid0(VALU_DEP_1) | instskip(SKIP_1) | instid1(VALU_DEP_1)
	v_add_nc_u32_e32 v6, v5, v6
	v_mul_lo_u32 v7, v4, s40
	v_sub_nc_u32_e32 v1, v1, v7
	v_mul_lo_u32 v7, v5, s43
	s_delay_alu instid0(VALU_DEP_4) | instskip(NEXT) | instid1(VALU_DEP_3)
	v_lshrrev_b32_e32 v6, s56, v6
	v_mad_u32 v3, v1, s49, v3
	v_mad_u32 v1, v1, s48, v2
	s_delay_alu instid0(VALU_DEP_4) | instskip(NEXT) | instid1(VALU_DEP_4)
	v_sub_nc_u32_e32 v2, v4, v7
	v_mul_hi_u32 v8, s58, v6
	v_mul_lo_u32 v4, v6, s46
	s_delay_alu instid0(VALU_DEP_3) | instskip(SKIP_1) | instid1(VALU_DEP_4)
	v_mad_u32 v3, v2, s51, v3
	v_mad_u32 v2, v2, s50, v1
	v_add_nc_u32_e32 v7, v6, v8
	s_delay_alu instid0(VALU_DEP_1) | instskip(NEXT) | instid1(VALU_DEP_1)
	v_dual_sub_nc_u32 v4, v5, v4 :: v_dual_lshrrev_b32 v1, s59, v7
	v_mad_u32 v3, v4, s53, v3
	s_delay_alu instid0(VALU_DEP_4) | instskip(NEXT) | instid1(VALU_DEP_3)
	v_mad_u32 v2, v4, s52, v2
	v_mul_lo_u32 v5, v1, s57
	s_delay_alu instid0(VALU_DEP_1) | instskip(NEXT) | instid1(VALU_DEP_1)
	v_sub_nc_u32_e32 v4, v6, v5
	v_mad_u32 v3, v4, s55, v3
	s_delay_alu instid0(VALU_DEP_4)
	v_mad_u32 v2, v4, s54, v2
	s_cbranch_scc0 .LBB173_90
	s_branch .LBB173_95
.LBB173_91:
	s_and_b32 s24, s15, 0xff
	s_delay_alu instid0(VALU_DEP_1) | instid1(SALU_CYCLE_1)
	v_max_u16 v1, v3, s24
	s_delay_alu instid0(VALU_DEP_1)
	v_min_u16 v1, v1, s5
	s_cbranch_execz .LBB173_84
	s_branch .LBB173_85
.LBB173_92:
                                        ; implicit-def: $vgpr3
	s_branch .LBB173_99
.LBB173_93:
	v_dual_mov_b32 v3, 0 :: v_dual_mov_b32 v2, 0
	s_branch .LBB173_98
.LBB173_94:
	v_mov_b64_e32 v[2:3], 0
	v_mov_b32_e32 v1, v0
	s_mov_b32 s24, 0
.LBB173_95:
	s_and_b32 s28, s25, 3
	s_mov_b32 s25, 0
	s_cmp_eq_u32 s28, 0
	s_cbranch_scc1 .LBB173_98
; %bb.96:
	s_lshl_b32 s26, s24, 3
	s_mov_b32 s27, s25
	s_mul_u64 s[40:41], s[24:25], 12
	s_add_nc_u64 s[26:27], s[12:13], s[26:27]
	s_delay_alu instid0(SALU_CYCLE_1)
	s_add_nc_u64 s[24:25], s[26:27], 0xc4
	s_add_nc_u64 s[26:27], s[12:13], s[40:41]
.LBB173_97:                             ; =>This Inner Loop Header: Depth=1
	s_load_b96 s[40:42], s[26:27], 0x4
	s_add_co_i32 s28, s28, -1
	s_wait_xcnt 0x0
	s_add_nc_u64 s[26:27], s[26:27], 12
	s_cmp_lg_u32 s28, 0
	s_wait_kmcnt 0x0
	v_mul_hi_u32 v4, s41, v1
	s_delay_alu instid0(VALU_DEP_1) | instskip(NEXT) | instid1(VALU_DEP_1)
	v_add_nc_u32_e32 v4, v1, v4
	v_lshrrev_b32_e32 v4, s42, v4
	s_load_b64 s[42:43], s[24:25], 0x0
	s_wait_xcnt 0x0
	s_add_nc_u64 s[24:25], s[24:25], 8
	s_delay_alu instid0(VALU_DEP_1) | instskip(NEXT) | instid1(VALU_DEP_1)
	v_mul_lo_u32 v5, v4, s40
	v_sub_nc_u32_e32 v1, v1, v5
	s_wait_kmcnt 0x0
	s_delay_alu instid0(VALU_DEP_1)
	v_mad_u32 v3, v1, s43, v3
	v_mad_u32 v2, v1, s42, v2
	v_mov_b32_e32 v1, v4
	s_cbranch_scc1 .LBB173_97
.LBB173_98:
	s_cbranch_execnz .LBB173_101
.LBB173_99:
	v_mov_b32_e32 v1, 0
	s_and_not1_b32 vcc_lo, exec_lo, s35
	s_delay_alu instid0(VALU_DEP_1) | instskip(NEXT) | instid1(VALU_DEP_1)
	v_mul_u64_e32 v[2:3], s[18:19], v[0:1]
	v_add_nc_u32_e32 v2, v0, v3
	s_delay_alu instid0(VALU_DEP_1) | instskip(NEXT) | instid1(VALU_DEP_1)
	v_lshrrev_b32_e32 v4, s6, v2
	v_mul_lo_u32 v2, v4, s4
	s_delay_alu instid0(VALU_DEP_1) | instskip(NEXT) | instid1(VALU_DEP_1)
	v_sub_nc_u32_e32 v2, v0, v2
	v_mul_lo_u32 v3, v2, s9
	v_mul_lo_u32 v2, v2, s8
	s_cbranch_vccnz .LBB173_101
; %bb.100:
	v_mov_b32_e32 v5, v1
	s_delay_alu instid0(VALU_DEP_1) | instskip(NEXT) | instid1(VALU_DEP_1)
	v_mul_u64_e32 v[6:7], s[20:21], v[4:5]
	v_add_nc_u32_e32 v1, v4, v7
	s_delay_alu instid0(VALU_DEP_1) | instskip(NEXT) | instid1(VALU_DEP_1)
	v_lshrrev_b32_e32 v1, s17, v1
	v_mul_lo_u32 v1, v1, s7
	s_delay_alu instid0(VALU_DEP_1) | instskip(NEXT) | instid1(VALU_DEP_1)
	v_sub_nc_u32_e32 v1, v4, v1
	v_mad_u32 v2, v1, s10, v2
	v_mad_u32 v3, v1, s11, v3
.LBB173_101:
	global_load_u8 v3, v3, s[2:3]
	s_cmp_lt_i32 s14, 1
	s_mov_b32 s24, 0
	s_cbranch_scc1 .LBB173_104
; %bb.102:
	s_cmp_eq_u32 s14, 1
	s_cbranch_scc0 .LBB173_105
; %bb.103:
	s_wait_loadcnt 0x0
	v_and_b32_e32 v1, 0xff, v3
	s_and_b32 s25, s15, 0xff
	s_delay_alu instid0(VALU_DEP_1) | instid1(SALU_CYCLE_1)
	v_min_u16 v1, v1, s25
	s_mov_b32 s25, 0
	s_branch .LBB173_106
.LBB173_104:
	s_mov_b32 s25, 0
                                        ; implicit-def: $vgpr1
	s_cbranch_execnz .LBB173_107
	s_branch .LBB173_108
.LBB173_105:
	s_mov_b32 s25, -1
                                        ; implicit-def: $vgpr1
.LBB173_106:
	s_branch .LBB173_108
.LBB173_107:
	s_cmp_lg_u32 s14, 0
	s_mov_b32 s24, -1
	s_cselect_b32 s25, -1, 0
.LBB173_108:
	s_wait_loadcnt 0x0
	v_and_b32_e32 v3, 0xff, v3
	s_and_not1_b32 vcc_lo, exec_lo, s25
	s_cbranch_vccz .LBB173_117
; %bb.109:
	s_and_not1_b32 vcc_lo, exec_lo, s24
	s_cbranch_vccnz .LBB173_111
.LBB173_110:
	s_and_b32 s24, s15, 0xff
	s_delay_alu instid0(SALU_CYCLE_1)
	v_max_u16 v1, v3, s24
.LBB173_111:
	v_add_nc_u32_e32 v0, 0x80, v0
	global_store_b8 v2, v1, s[0:1]
	s_wait_xcnt 0x0
	s_or_b32 exec_lo, exec_lo, s16
	s_delay_alu instid0(SALU_CYCLE_1)
	s_mov_b32 s16, exec_lo
	v_cmpx_gt_i32_e64 s36, v0
	s_cbranch_execz .LBB173_6
.LBB173_112:
	s_and_not1_b32 vcc_lo, exec_lo, s33
	s_cbranch_vccnz .LBB173_118
; %bb.113:
	s_and_not1_b32 vcc_lo, exec_lo, s38
	s_cbranch_vccnz .LBB173_119
; %bb.114:
	s_add_co_i32 s25, s37, 1
	s_cmp_eq_u32 s31, 2
	s_cbranch_scc1 .LBB173_120
; %bb.115:
	v_dual_mov_b32 v2, 0 :: v_dual_mov_b32 v3, 0
	v_mov_b32_e32 v1, v0
	s_and_b32 s24, s25, 28
	s_mov_b32 s39, 0
	s_mov_b64 s[26:27], s[12:13]
	s_mov_b64 s[28:29], s[22:23]
.LBB173_116:                            ; =>This Inner Loop Header: Depth=1
	s_clause 0x1
	s_load_b256 s[40:47], s[26:27], 0x4
	s_load_b128 s[56:59], s[26:27], 0x24
	s_load_b256 s[48:55], s[28:29], 0x0
	s_add_co_i32 s39, s39, 4
	s_wait_xcnt 0x0
	s_add_nc_u64 s[26:27], s[26:27], 48
	s_cmp_eq_u32 s24, s39
	s_add_nc_u64 s[28:29], s[28:29], 32
	s_wait_kmcnt 0x0
	v_mul_hi_u32 v4, s41, v1
	s_delay_alu instid0(VALU_DEP_1) | instskip(NEXT) | instid1(VALU_DEP_1)
	v_add_nc_u32_e32 v4, v1, v4
	v_lshrrev_b32_e32 v4, s42, v4
	s_delay_alu instid0(VALU_DEP_1) | instskip(NEXT) | instid1(VALU_DEP_1)
	v_mul_hi_u32 v5, s44, v4
	v_add_nc_u32_e32 v5, v4, v5
	s_delay_alu instid0(VALU_DEP_1) | instskip(NEXT) | instid1(VALU_DEP_1)
	v_lshrrev_b32_e32 v5, s45, v5
	v_mul_hi_u32 v6, s47, v5
	s_delay_alu instid0(VALU_DEP_1) | instskip(SKIP_1) | instid1(VALU_DEP_1)
	v_add_nc_u32_e32 v6, v5, v6
	v_mul_lo_u32 v7, v4, s40
	v_sub_nc_u32_e32 v1, v1, v7
	v_mul_lo_u32 v7, v5, s43
	s_delay_alu instid0(VALU_DEP_4) | instskip(NEXT) | instid1(VALU_DEP_3)
	v_lshrrev_b32_e32 v6, s56, v6
	v_mad_u32 v3, v1, s49, v3
	v_mad_u32 v1, v1, s48, v2
	s_delay_alu instid0(VALU_DEP_4) | instskip(NEXT) | instid1(VALU_DEP_4)
	v_sub_nc_u32_e32 v2, v4, v7
	v_mul_hi_u32 v8, s58, v6
	v_mul_lo_u32 v4, v6, s46
	s_delay_alu instid0(VALU_DEP_3) | instskip(SKIP_1) | instid1(VALU_DEP_4)
	v_mad_u32 v3, v2, s51, v3
	v_mad_u32 v2, v2, s50, v1
	v_add_nc_u32_e32 v7, v6, v8
	s_delay_alu instid0(VALU_DEP_1) | instskip(NEXT) | instid1(VALU_DEP_1)
	v_dual_sub_nc_u32 v4, v5, v4 :: v_dual_lshrrev_b32 v1, s59, v7
	v_mad_u32 v3, v4, s53, v3
	s_delay_alu instid0(VALU_DEP_4) | instskip(NEXT) | instid1(VALU_DEP_3)
	v_mad_u32 v2, v4, s52, v2
	v_mul_lo_u32 v5, v1, s57
	s_delay_alu instid0(VALU_DEP_1) | instskip(NEXT) | instid1(VALU_DEP_1)
	v_sub_nc_u32_e32 v4, v6, v5
	v_mad_u32 v3, v4, s55, v3
	s_delay_alu instid0(VALU_DEP_4)
	v_mad_u32 v2, v4, s54, v2
	s_cbranch_scc0 .LBB173_116
	s_branch .LBB173_121
.LBB173_117:
	s_and_b32 s24, s15, 0xff
	s_delay_alu instid0(VALU_DEP_1) | instid1(SALU_CYCLE_1)
	v_max_u16 v1, v3, s24
	s_delay_alu instid0(VALU_DEP_1)
	v_min_u16 v1, v1, s5
	s_cbranch_execz .LBB173_110
	s_branch .LBB173_111
.LBB173_118:
                                        ; implicit-def: $vgpr3
	s_branch .LBB173_125
.LBB173_119:
	v_dual_mov_b32 v3, 0 :: v_dual_mov_b32 v2, 0
	s_branch .LBB173_124
.LBB173_120:
	v_mov_b64_e32 v[2:3], 0
	v_mov_b32_e32 v1, v0
	s_mov_b32 s24, 0
.LBB173_121:
	s_and_b32 s28, s25, 3
	s_mov_b32 s25, 0
	s_cmp_eq_u32 s28, 0
	s_cbranch_scc1 .LBB173_124
; %bb.122:
	s_lshl_b32 s26, s24, 3
	s_mov_b32 s27, s25
	s_mul_u64 s[40:41], s[24:25], 12
	s_add_nc_u64 s[26:27], s[12:13], s[26:27]
	s_delay_alu instid0(SALU_CYCLE_1)
	s_add_nc_u64 s[24:25], s[26:27], 0xc4
	s_add_nc_u64 s[26:27], s[12:13], s[40:41]
.LBB173_123:                            ; =>This Inner Loop Header: Depth=1
	s_load_b96 s[40:42], s[26:27], 0x4
	s_add_co_i32 s28, s28, -1
	s_wait_xcnt 0x0
	s_add_nc_u64 s[26:27], s[26:27], 12
	s_cmp_lg_u32 s28, 0
	s_wait_kmcnt 0x0
	v_mul_hi_u32 v4, s41, v1
	s_delay_alu instid0(VALU_DEP_1) | instskip(NEXT) | instid1(VALU_DEP_1)
	v_add_nc_u32_e32 v4, v1, v4
	v_lshrrev_b32_e32 v4, s42, v4
	s_load_b64 s[42:43], s[24:25], 0x0
	s_wait_xcnt 0x0
	s_add_nc_u64 s[24:25], s[24:25], 8
	s_delay_alu instid0(VALU_DEP_1) | instskip(NEXT) | instid1(VALU_DEP_1)
	v_mul_lo_u32 v5, v4, s40
	v_sub_nc_u32_e32 v1, v1, v5
	s_wait_kmcnt 0x0
	s_delay_alu instid0(VALU_DEP_1)
	v_mad_u32 v3, v1, s43, v3
	v_mad_u32 v2, v1, s42, v2
	v_mov_b32_e32 v1, v4
	s_cbranch_scc1 .LBB173_123
.LBB173_124:
	s_cbranch_execnz .LBB173_127
.LBB173_125:
	v_mov_b32_e32 v1, 0
	s_and_not1_b32 vcc_lo, exec_lo, s35
	s_delay_alu instid0(VALU_DEP_1) | instskip(NEXT) | instid1(VALU_DEP_1)
	v_mul_u64_e32 v[2:3], s[18:19], v[0:1]
	v_add_nc_u32_e32 v2, v0, v3
	s_delay_alu instid0(VALU_DEP_1) | instskip(NEXT) | instid1(VALU_DEP_1)
	v_lshrrev_b32_e32 v4, s6, v2
	v_mul_lo_u32 v2, v4, s4
	s_delay_alu instid0(VALU_DEP_1) | instskip(NEXT) | instid1(VALU_DEP_1)
	v_sub_nc_u32_e32 v2, v0, v2
	v_mul_lo_u32 v3, v2, s9
	v_mul_lo_u32 v2, v2, s8
	s_cbranch_vccnz .LBB173_127
; %bb.126:
	v_mov_b32_e32 v5, v1
	s_delay_alu instid0(VALU_DEP_1) | instskip(NEXT) | instid1(VALU_DEP_1)
	v_mul_u64_e32 v[6:7], s[20:21], v[4:5]
	v_add_nc_u32_e32 v1, v4, v7
	s_delay_alu instid0(VALU_DEP_1) | instskip(NEXT) | instid1(VALU_DEP_1)
	v_lshrrev_b32_e32 v1, s17, v1
	v_mul_lo_u32 v1, v1, s7
	s_delay_alu instid0(VALU_DEP_1) | instskip(NEXT) | instid1(VALU_DEP_1)
	v_sub_nc_u32_e32 v1, v4, v1
	v_mad_u32 v2, v1, s10, v2
	v_mad_u32 v3, v1, s11, v3
.LBB173_127:
	global_load_u8 v3, v3, s[2:3]
	s_cmp_lt_i32 s14, 1
	s_mov_b32 s24, 0
	s_cbranch_scc1 .LBB173_130
; %bb.128:
	s_cmp_eq_u32 s14, 1
	s_cbranch_scc0 .LBB173_131
; %bb.129:
	s_wait_loadcnt 0x0
	v_and_b32_e32 v1, 0xff, v3
	s_and_b32 s25, s15, 0xff
	s_delay_alu instid0(VALU_DEP_1) | instid1(SALU_CYCLE_1)
	v_min_u16 v1, v1, s25
	s_mov_b32 s25, 0
	s_branch .LBB173_132
.LBB173_130:
	s_mov_b32 s25, 0
                                        ; implicit-def: $vgpr1
	s_cbranch_execnz .LBB173_133
	s_branch .LBB173_134
.LBB173_131:
	s_mov_b32 s25, -1
                                        ; implicit-def: $vgpr1
.LBB173_132:
	s_branch .LBB173_134
.LBB173_133:
	s_cmp_lg_u32 s14, 0
	s_mov_b32 s24, -1
	s_cselect_b32 s25, -1, 0
.LBB173_134:
	s_wait_loadcnt 0x0
	v_and_b32_e32 v3, 0xff, v3
	s_and_not1_b32 vcc_lo, exec_lo, s25
	s_cbranch_vccz .LBB173_143
; %bb.135:
	s_and_not1_b32 vcc_lo, exec_lo, s24
	s_cbranch_vccnz .LBB173_137
.LBB173_136:
	s_and_b32 s24, s15, 0xff
	s_delay_alu instid0(SALU_CYCLE_1)
	v_max_u16 v1, v3, s24
.LBB173_137:
	v_add_nc_u32_e32 v0, 0x80, v0
	global_store_b8 v2, v1, s[0:1]
	s_wait_xcnt 0x0
	s_or_b32 exec_lo, exec_lo, s16
	s_delay_alu instid0(SALU_CYCLE_1)
	s_mov_b32 s16, exec_lo
	v_cmpx_gt_i32_e64 s36, v0
	s_cbranch_execz .LBB173_7
.LBB173_138:
	s_and_not1_b32 vcc_lo, exec_lo, s33
	s_cbranch_vccnz .LBB173_144
; %bb.139:
	s_and_not1_b32 vcc_lo, exec_lo, s38
	s_cbranch_vccnz .LBB173_145
; %bb.140:
	s_add_co_i32 s25, s37, 1
	s_cmp_eq_u32 s31, 2
	s_cbranch_scc1 .LBB173_146
; %bb.141:
	v_dual_mov_b32 v2, 0 :: v_dual_mov_b32 v3, 0
	v_mov_b32_e32 v1, v0
	s_and_b32 s24, s25, 28
	s_mov_b32 s39, 0
	s_mov_b64 s[26:27], s[12:13]
	s_mov_b64 s[28:29], s[22:23]
.LBB173_142:                            ; =>This Inner Loop Header: Depth=1
	s_clause 0x1
	s_load_b256 s[40:47], s[26:27], 0x4
	s_load_b128 s[56:59], s[26:27], 0x24
	s_load_b256 s[48:55], s[28:29], 0x0
	s_add_co_i32 s39, s39, 4
	s_wait_xcnt 0x0
	s_add_nc_u64 s[26:27], s[26:27], 48
	s_cmp_eq_u32 s24, s39
	s_add_nc_u64 s[28:29], s[28:29], 32
	s_wait_kmcnt 0x0
	v_mul_hi_u32 v4, s41, v1
	s_delay_alu instid0(VALU_DEP_1) | instskip(NEXT) | instid1(VALU_DEP_1)
	v_add_nc_u32_e32 v4, v1, v4
	v_lshrrev_b32_e32 v4, s42, v4
	s_delay_alu instid0(VALU_DEP_1) | instskip(NEXT) | instid1(VALU_DEP_1)
	v_mul_hi_u32 v5, s44, v4
	v_add_nc_u32_e32 v5, v4, v5
	s_delay_alu instid0(VALU_DEP_1) | instskip(NEXT) | instid1(VALU_DEP_1)
	v_lshrrev_b32_e32 v5, s45, v5
	v_mul_hi_u32 v6, s47, v5
	s_delay_alu instid0(VALU_DEP_1) | instskip(SKIP_1) | instid1(VALU_DEP_1)
	v_add_nc_u32_e32 v6, v5, v6
	v_mul_lo_u32 v7, v4, s40
	v_sub_nc_u32_e32 v1, v1, v7
	v_mul_lo_u32 v7, v5, s43
	s_delay_alu instid0(VALU_DEP_4) | instskip(NEXT) | instid1(VALU_DEP_3)
	v_lshrrev_b32_e32 v6, s56, v6
	v_mad_u32 v3, v1, s49, v3
	v_mad_u32 v1, v1, s48, v2
	s_delay_alu instid0(VALU_DEP_4) | instskip(NEXT) | instid1(VALU_DEP_4)
	v_sub_nc_u32_e32 v2, v4, v7
	v_mul_hi_u32 v8, s58, v6
	v_mul_lo_u32 v4, v6, s46
	s_delay_alu instid0(VALU_DEP_3) | instskip(SKIP_1) | instid1(VALU_DEP_4)
	v_mad_u32 v3, v2, s51, v3
	v_mad_u32 v2, v2, s50, v1
	v_add_nc_u32_e32 v7, v6, v8
	s_delay_alu instid0(VALU_DEP_1) | instskip(NEXT) | instid1(VALU_DEP_1)
	v_dual_sub_nc_u32 v4, v5, v4 :: v_dual_lshrrev_b32 v1, s59, v7
	v_mad_u32 v3, v4, s53, v3
	s_delay_alu instid0(VALU_DEP_4) | instskip(NEXT) | instid1(VALU_DEP_3)
	v_mad_u32 v2, v4, s52, v2
	v_mul_lo_u32 v5, v1, s57
	s_delay_alu instid0(VALU_DEP_1) | instskip(NEXT) | instid1(VALU_DEP_1)
	v_sub_nc_u32_e32 v4, v6, v5
	v_mad_u32 v3, v4, s55, v3
	s_delay_alu instid0(VALU_DEP_4)
	v_mad_u32 v2, v4, s54, v2
	s_cbranch_scc0 .LBB173_142
	s_branch .LBB173_147
.LBB173_143:
	s_and_b32 s24, s15, 0xff
	s_delay_alu instid0(VALU_DEP_1) | instid1(SALU_CYCLE_1)
	v_max_u16 v1, v3, s24
	s_delay_alu instid0(VALU_DEP_1)
	v_min_u16 v1, v1, s5
	s_cbranch_execz .LBB173_136
	s_branch .LBB173_137
.LBB173_144:
                                        ; implicit-def: $vgpr3
	s_branch .LBB173_151
.LBB173_145:
	v_dual_mov_b32 v3, 0 :: v_dual_mov_b32 v2, 0
	s_branch .LBB173_150
.LBB173_146:
	v_mov_b64_e32 v[2:3], 0
	v_mov_b32_e32 v1, v0
	s_mov_b32 s24, 0
.LBB173_147:
	s_and_b32 s28, s25, 3
	s_mov_b32 s25, 0
	s_cmp_eq_u32 s28, 0
	s_cbranch_scc1 .LBB173_150
; %bb.148:
	s_lshl_b32 s26, s24, 3
	s_mov_b32 s27, s25
	s_mul_u64 s[40:41], s[24:25], 12
	s_add_nc_u64 s[26:27], s[12:13], s[26:27]
	s_delay_alu instid0(SALU_CYCLE_1)
	s_add_nc_u64 s[24:25], s[26:27], 0xc4
	s_add_nc_u64 s[26:27], s[12:13], s[40:41]
.LBB173_149:                            ; =>This Inner Loop Header: Depth=1
	s_load_b96 s[40:42], s[26:27], 0x4
	s_add_co_i32 s28, s28, -1
	s_wait_xcnt 0x0
	s_add_nc_u64 s[26:27], s[26:27], 12
	s_cmp_lg_u32 s28, 0
	s_wait_kmcnt 0x0
	v_mul_hi_u32 v4, s41, v1
	s_delay_alu instid0(VALU_DEP_1) | instskip(NEXT) | instid1(VALU_DEP_1)
	v_add_nc_u32_e32 v4, v1, v4
	v_lshrrev_b32_e32 v4, s42, v4
	s_load_b64 s[42:43], s[24:25], 0x0
	s_wait_xcnt 0x0
	s_add_nc_u64 s[24:25], s[24:25], 8
	s_delay_alu instid0(VALU_DEP_1) | instskip(NEXT) | instid1(VALU_DEP_1)
	v_mul_lo_u32 v5, v4, s40
	v_sub_nc_u32_e32 v1, v1, v5
	s_wait_kmcnt 0x0
	s_delay_alu instid0(VALU_DEP_1)
	v_mad_u32 v3, v1, s43, v3
	v_mad_u32 v2, v1, s42, v2
	v_mov_b32_e32 v1, v4
	s_cbranch_scc1 .LBB173_149
.LBB173_150:
	s_cbranch_execnz .LBB173_153
.LBB173_151:
	v_mov_b32_e32 v1, 0
	s_and_not1_b32 vcc_lo, exec_lo, s35
	s_delay_alu instid0(VALU_DEP_1) | instskip(NEXT) | instid1(VALU_DEP_1)
	v_mul_u64_e32 v[2:3], s[18:19], v[0:1]
	v_add_nc_u32_e32 v2, v0, v3
	s_delay_alu instid0(VALU_DEP_1) | instskip(NEXT) | instid1(VALU_DEP_1)
	v_lshrrev_b32_e32 v4, s6, v2
	v_mul_lo_u32 v2, v4, s4
	s_delay_alu instid0(VALU_DEP_1) | instskip(NEXT) | instid1(VALU_DEP_1)
	v_sub_nc_u32_e32 v2, v0, v2
	v_mul_lo_u32 v3, v2, s9
	v_mul_lo_u32 v2, v2, s8
	s_cbranch_vccnz .LBB173_153
; %bb.152:
	v_mov_b32_e32 v5, v1
	s_delay_alu instid0(VALU_DEP_1) | instskip(NEXT) | instid1(VALU_DEP_1)
	v_mul_u64_e32 v[6:7], s[20:21], v[4:5]
	v_add_nc_u32_e32 v1, v4, v7
	s_delay_alu instid0(VALU_DEP_1) | instskip(NEXT) | instid1(VALU_DEP_1)
	v_lshrrev_b32_e32 v1, s17, v1
	v_mul_lo_u32 v1, v1, s7
	s_delay_alu instid0(VALU_DEP_1) | instskip(NEXT) | instid1(VALU_DEP_1)
	v_sub_nc_u32_e32 v1, v4, v1
	v_mad_u32 v2, v1, s10, v2
	v_mad_u32 v3, v1, s11, v3
.LBB173_153:
	global_load_u8 v3, v3, s[2:3]
	s_cmp_lt_i32 s14, 1
	s_mov_b32 s24, 0
	s_cbranch_scc1 .LBB173_156
; %bb.154:
	s_cmp_eq_u32 s14, 1
	s_cbranch_scc0 .LBB173_157
; %bb.155:
	s_wait_loadcnt 0x0
	v_and_b32_e32 v1, 0xff, v3
	s_and_b32 s25, s15, 0xff
	s_delay_alu instid0(VALU_DEP_1) | instid1(SALU_CYCLE_1)
	v_min_u16 v1, v1, s25
	s_mov_b32 s25, 0
	s_branch .LBB173_158
.LBB173_156:
	s_mov_b32 s25, 0
                                        ; implicit-def: $vgpr1
	s_cbranch_execnz .LBB173_159
	s_branch .LBB173_160
.LBB173_157:
	s_mov_b32 s25, -1
                                        ; implicit-def: $vgpr1
.LBB173_158:
	s_branch .LBB173_160
.LBB173_159:
	s_cmp_lg_u32 s14, 0
	s_mov_b32 s24, -1
	s_cselect_b32 s25, -1, 0
.LBB173_160:
	s_wait_loadcnt 0x0
	v_and_b32_e32 v3, 0xff, v3
	s_and_not1_b32 vcc_lo, exec_lo, s25
	s_cbranch_vccz .LBB173_169
; %bb.161:
	s_and_not1_b32 vcc_lo, exec_lo, s24
	s_cbranch_vccnz .LBB173_163
.LBB173_162:
	s_and_b32 s24, s15, 0xff
	s_delay_alu instid0(SALU_CYCLE_1)
	v_max_u16 v1, v3, s24
.LBB173_163:
	v_add_nc_u32_e32 v0, 0x80, v0
	global_store_b8 v2, v1, s[0:1]
	s_wait_xcnt 0x0
	s_or_b32 exec_lo, exec_lo, s16
	s_delay_alu instid0(SALU_CYCLE_1)
	s_mov_b32 s16, exec_lo
	v_cmpx_gt_i32_e64 s36, v0
	s_cbranch_execz .LBB173_8
.LBB173_164:
	s_and_not1_b32 vcc_lo, exec_lo, s33
	s_cbranch_vccnz .LBB173_170
; %bb.165:
	s_and_not1_b32 vcc_lo, exec_lo, s38
	s_cbranch_vccnz .LBB173_171
; %bb.166:
	s_add_co_i32 s25, s37, 1
	s_cmp_eq_u32 s31, 2
	s_cbranch_scc1 .LBB173_172
; %bb.167:
	v_dual_mov_b32 v2, 0 :: v_dual_mov_b32 v3, 0
	v_mov_b32_e32 v1, v0
	s_and_b32 s24, s25, 28
	s_mov_b32 s39, 0
	s_mov_b64 s[26:27], s[12:13]
	s_mov_b64 s[28:29], s[22:23]
.LBB173_168:                            ; =>This Inner Loop Header: Depth=1
	s_clause 0x1
	s_load_b256 s[40:47], s[26:27], 0x4
	s_load_b128 s[56:59], s[26:27], 0x24
	s_load_b256 s[48:55], s[28:29], 0x0
	s_add_co_i32 s39, s39, 4
	s_wait_xcnt 0x0
	s_add_nc_u64 s[26:27], s[26:27], 48
	s_cmp_eq_u32 s24, s39
	s_add_nc_u64 s[28:29], s[28:29], 32
	s_wait_kmcnt 0x0
	v_mul_hi_u32 v4, s41, v1
	s_delay_alu instid0(VALU_DEP_1) | instskip(NEXT) | instid1(VALU_DEP_1)
	v_add_nc_u32_e32 v4, v1, v4
	v_lshrrev_b32_e32 v4, s42, v4
	s_delay_alu instid0(VALU_DEP_1) | instskip(NEXT) | instid1(VALU_DEP_1)
	v_mul_hi_u32 v5, s44, v4
	v_add_nc_u32_e32 v5, v4, v5
	s_delay_alu instid0(VALU_DEP_1) | instskip(NEXT) | instid1(VALU_DEP_1)
	v_lshrrev_b32_e32 v5, s45, v5
	v_mul_hi_u32 v6, s47, v5
	s_delay_alu instid0(VALU_DEP_1) | instskip(SKIP_1) | instid1(VALU_DEP_1)
	v_add_nc_u32_e32 v6, v5, v6
	v_mul_lo_u32 v7, v4, s40
	v_sub_nc_u32_e32 v1, v1, v7
	v_mul_lo_u32 v7, v5, s43
	s_delay_alu instid0(VALU_DEP_4) | instskip(NEXT) | instid1(VALU_DEP_3)
	v_lshrrev_b32_e32 v6, s56, v6
	v_mad_u32 v3, v1, s49, v3
	v_mad_u32 v1, v1, s48, v2
	s_delay_alu instid0(VALU_DEP_4) | instskip(NEXT) | instid1(VALU_DEP_4)
	v_sub_nc_u32_e32 v2, v4, v7
	v_mul_hi_u32 v8, s58, v6
	v_mul_lo_u32 v4, v6, s46
	s_delay_alu instid0(VALU_DEP_3) | instskip(SKIP_1) | instid1(VALU_DEP_4)
	v_mad_u32 v3, v2, s51, v3
	v_mad_u32 v2, v2, s50, v1
	v_add_nc_u32_e32 v7, v6, v8
	s_delay_alu instid0(VALU_DEP_1) | instskip(NEXT) | instid1(VALU_DEP_1)
	v_dual_sub_nc_u32 v4, v5, v4 :: v_dual_lshrrev_b32 v1, s59, v7
	v_mad_u32 v3, v4, s53, v3
	s_delay_alu instid0(VALU_DEP_4) | instskip(NEXT) | instid1(VALU_DEP_3)
	v_mad_u32 v2, v4, s52, v2
	v_mul_lo_u32 v5, v1, s57
	s_delay_alu instid0(VALU_DEP_1) | instskip(NEXT) | instid1(VALU_DEP_1)
	v_sub_nc_u32_e32 v4, v6, v5
	v_mad_u32 v3, v4, s55, v3
	s_delay_alu instid0(VALU_DEP_4)
	v_mad_u32 v2, v4, s54, v2
	s_cbranch_scc0 .LBB173_168
	s_branch .LBB173_173
.LBB173_169:
	s_and_b32 s24, s15, 0xff
	s_delay_alu instid0(VALU_DEP_1) | instid1(SALU_CYCLE_1)
	v_max_u16 v1, v3, s24
	s_delay_alu instid0(VALU_DEP_1)
	v_min_u16 v1, v1, s5
	s_cbranch_execz .LBB173_162
	s_branch .LBB173_163
.LBB173_170:
                                        ; implicit-def: $vgpr3
	s_branch .LBB173_177
.LBB173_171:
	v_dual_mov_b32 v3, 0 :: v_dual_mov_b32 v2, 0
	s_branch .LBB173_176
.LBB173_172:
	v_mov_b64_e32 v[2:3], 0
	v_mov_b32_e32 v1, v0
	s_mov_b32 s24, 0
.LBB173_173:
	s_and_b32 s28, s25, 3
	s_mov_b32 s25, 0
	s_cmp_eq_u32 s28, 0
	s_cbranch_scc1 .LBB173_176
; %bb.174:
	s_lshl_b32 s26, s24, 3
	s_mov_b32 s27, s25
	s_mul_u64 s[40:41], s[24:25], 12
	s_add_nc_u64 s[26:27], s[12:13], s[26:27]
	s_delay_alu instid0(SALU_CYCLE_1)
	s_add_nc_u64 s[24:25], s[26:27], 0xc4
	s_add_nc_u64 s[26:27], s[12:13], s[40:41]
.LBB173_175:                            ; =>This Inner Loop Header: Depth=1
	s_load_b96 s[40:42], s[26:27], 0x4
	s_add_co_i32 s28, s28, -1
	s_wait_xcnt 0x0
	s_add_nc_u64 s[26:27], s[26:27], 12
	s_cmp_lg_u32 s28, 0
	s_wait_kmcnt 0x0
	v_mul_hi_u32 v4, s41, v1
	s_delay_alu instid0(VALU_DEP_1) | instskip(NEXT) | instid1(VALU_DEP_1)
	v_add_nc_u32_e32 v4, v1, v4
	v_lshrrev_b32_e32 v4, s42, v4
	s_load_b64 s[42:43], s[24:25], 0x0
	s_wait_xcnt 0x0
	s_add_nc_u64 s[24:25], s[24:25], 8
	s_delay_alu instid0(VALU_DEP_1) | instskip(NEXT) | instid1(VALU_DEP_1)
	v_mul_lo_u32 v5, v4, s40
	v_sub_nc_u32_e32 v1, v1, v5
	s_wait_kmcnt 0x0
	s_delay_alu instid0(VALU_DEP_1)
	v_mad_u32 v3, v1, s43, v3
	v_mad_u32 v2, v1, s42, v2
	v_mov_b32_e32 v1, v4
	s_cbranch_scc1 .LBB173_175
.LBB173_176:
	s_cbranch_execnz .LBB173_179
.LBB173_177:
	v_mov_b32_e32 v1, 0
	s_and_not1_b32 vcc_lo, exec_lo, s35
	s_delay_alu instid0(VALU_DEP_1) | instskip(NEXT) | instid1(VALU_DEP_1)
	v_mul_u64_e32 v[2:3], s[18:19], v[0:1]
	v_add_nc_u32_e32 v2, v0, v3
	s_delay_alu instid0(VALU_DEP_1) | instskip(NEXT) | instid1(VALU_DEP_1)
	v_lshrrev_b32_e32 v4, s6, v2
	v_mul_lo_u32 v2, v4, s4
	s_delay_alu instid0(VALU_DEP_1) | instskip(NEXT) | instid1(VALU_DEP_1)
	v_sub_nc_u32_e32 v2, v0, v2
	v_mul_lo_u32 v3, v2, s9
	v_mul_lo_u32 v2, v2, s8
	s_cbranch_vccnz .LBB173_179
; %bb.178:
	v_mov_b32_e32 v5, v1
	s_delay_alu instid0(VALU_DEP_1) | instskip(NEXT) | instid1(VALU_DEP_1)
	v_mul_u64_e32 v[6:7], s[20:21], v[4:5]
	v_add_nc_u32_e32 v1, v4, v7
	s_delay_alu instid0(VALU_DEP_1) | instskip(NEXT) | instid1(VALU_DEP_1)
	v_lshrrev_b32_e32 v1, s17, v1
	v_mul_lo_u32 v1, v1, s7
	s_delay_alu instid0(VALU_DEP_1) | instskip(NEXT) | instid1(VALU_DEP_1)
	v_sub_nc_u32_e32 v1, v4, v1
	v_mad_u32 v2, v1, s10, v2
	v_mad_u32 v3, v1, s11, v3
.LBB173_179:
	global_load_u8 v3, v3, s[2:3]
	s_cmp_lt_i32 s14, 1
	s_mov_b32 s24, 0
	s_cbranch_scc1 .LBB173_182
; %bb.180:
	s_cmp_eq_u32 s14, 1
	s_cbranch_scc0 .LBB173_183
; %bb.181:
	s_wait_loadcnt 0x0
	v_and_b32_e32 v1, 0xff, v3
	s_and_b32 s25, s15, 0xff
	s_delay_alu instid0(VALU_DEP_1) | instid1(SALU_CYCLE_1)
	v_min_u16 v1, v1, s25
	s_mov_b32 s25, 0
	s_branch .LBB173_184
.LBB173_182:
	s_mov_b32 s25, 0
                                        ; implicit-def: $vgpr1
	s_cbranch_execnz .LBB173_185
	s_branch .LBB173_186
.LBB173_183:
	s_mov_b32 s25, -1
                                        ; implicit-def: $vgpr1
.LBB173_184:
	s_branch .LBB173_186
.LBB173_185:
	s_cmp_lg_u32 s14, 0
	s_mov_b32 s24, -1
	s_cselect_b32 s25, -1, 0
.LBB173_186:
	s_wait_loadcnt 0x0
	v_and_b32_e32 v3, 0xff, v3
	s_and_not1_b32 vcc_lo, exec_lo, s25
	s_cbranch_vccz .LBB173_195
; %bb.187:
	s_and_not1_b32 vcc_lo, exec_lo, s24
	s_cbranch_vccnz .LBB173_189
.LBB173_188:
	s_and_b32 s24, s15, 0xff
	s_delay_alu instid0(SALU_CYCLE_1)
	v_max_u16 v1, v3, s24
.LBB173_189:
	v_add_nc_u32_e32 v0, 0x80, v0
	global_store_b8 v2, v1, s[0:1]
	s_wait_xcnt 0x0
	s_or_b32 exec_lo, exec_lo, s16
	s_delay_alu instid0(SALU_CYCLE_1)
	s_mov_b32 s16, exec_lo
	v_cmpx_gt_i32_e64 s36, v0
	s_cbranch_execz .LBB173_216
.LBB173_190:
	s_and_not1_b32 vcc_lo, exec_lo, s33
	s_cbranch_vccnz .LBB173_196
; %bb.191:
	s_and_not1_b32 vcc_lo, exec_lo, s38
	s_cbranch_vccnz .LBB173_197
; %bb.192:
	s_add_co_i32 s37, s37, 1
	s_cmp_eq_u32 s31, 2
	s_cbranch_scc1 .LBB173_198
; %bb.193:
	v_dual_mov_b32 v2, 0 :: v_dual_mov_b32 v3, 0
	v_mov_b32_e32 v1, v0
	s_and_b32 s24, s37, 28
	s_mov_b32 s25, 0
	s_mov_b64 s[26:27], s[12:13]
.LBB173_194:                            ; =>This Inner Loop Header: Depth=1
	s_clause 0x1
	s_load_b256 s[40:47], s[26:27], 0x4
	s_load_b128 s[56:59], s[26:27], 0x24
	s_load_b256 s[48:55], s[22:23], 0x0
	s_add_co_i32 s25, s25, 4
	s_wait_xcnt 0x0
	s_add_nc_u64 s[26:27], s[26:27], 48
	s_cmp_eq_u32 s24, s25
	s_add_nc_u64 s[22:23], s[22:23], 32
	s_wait_kmcnt 0x0
	v_mul_hi_u32 v4, s41, v1
	s_delay_alu instid0(VALU_DEP_1) | instskip(NEXT) | instid1(VALU_DEP_1)
	v_add_nc_u32_e32 v4, v1, v4
	v_lshrrev_b32_e32 v4, s42, v4
	s_delay_alu instid0(VALU_DEP_1) | instskip(NEXT) | instid1(VALU_DEP_1)
	v_mul_hi_u32 v5, s44, v4
	v_add_nc_u32_e32 v5, v4, v5
	s_delay_alu instid0(VALU_DEP_1) | instskip(NEXT) | instid1(VALU_DEP_1)
	v_lshrrev_b32_e32 v5, s45, v5
	v_mul_hi_u32 v6, s47, v5
	s_delay_alu instid0(VALU_DEP_1) | instskip(SKIP_1) | instid1(VALU_DEP_1)
	v_add_nc_u32_e32 v6, v5, v6
	v_mul_lo_u32 v7, v4, s40
	v_sub_nc_u32_e32 v1, v1, v7
	v_mul_lo_u32 v7, v5, s43
	s_delay_alu instid0(VALU_DEP_4) | instskip(NEXT) | instid1(VALU_DEP_3)
	v_lshrrev_b32_e32 v6, s56, v6
	v_mad_u32 v3, v1, s49, v3
	v_mad_u32 v1, v1, s48, v2
	s_delay_alu instid0(VALU_DEP_4) | instskip(NEXT) | instid1(VALU_DEP_4)
	v_sub_nc_u32_e32 v2, v4, v7
	v_mul_hi_u32 v8, s58, v6
	v_mul_lo_u32 v4, v6, s46
	s_delay_alu instid0(VALU_DEP_3) | instskip(SKIP_1) | instid1(VALU_DEP_4)
	v_mad_u32 v3, v2, s51, v3
	v_mad_u32 v2, v2, s50, v1
	v_add_nc_u32_e32 v7, v6, v8
	s_delay_alu instid0(VALU_DEP_1) | instskip(NEXT) | instid1(VALU_DEP_1)
	v_dual_sub_nc_u32 v4, v5, v4 :: v_dual_lshrrev_b32 v1, s59, v7
	v_mad_u32 v3, v4, s53, v3
	s_delay_alu instid0(VALU_DEP_4) | instskip(NEXT) | instid1(VALU_DEP_3)
	v_mad_u32 v2, v4, s52, v2
	v_mul_lo_u32 v5, v1, s57
	s_delay_alu instid0(VALU_DEP_1) | instskip(NEXT) | instid1(VALU_DEP_1)
	v_sub_nc_u32_e32 v4, v6, v5
	v_mad_u32 v3, v4, s55, v3
	s_delay_alu instid0(VALU_DEP_4)
	v_mad_u32 v2, v4, s54, v2
	s_cbranch_scc0 .LBB173_194
	s_branch .LBB173_199
.LBB173_195:
	s_and_b32 s24, s15, 0xff
	s_delay_alu instid0(VALU_DEP_1) | instid1(SALU_CYCLE_1)
	v_max_u16 v1, v3, s24
	s_delay_alu instid0(VALU_DEP_1)
	v_min_u16 v1, v1, s5
	s_cbranch_execz .LBB173_188
	s_branch .LBB173_189
.LBB173_196:
                                        ; implicit-def: $vgpr3
	s_branch .LBB173_203
.LBB173_197:
	v_dual_mov_b32 v3, 0 :: v_dual_mov_b32 v2, 0
	s_branch .LBB173_202
.LBB173_198:
	v_mov_b64_e32 v[2:3], 0
	v_mov_b32_e32 v1, v0
	s_mov_b32 s24, 0
.LBB173_199:
	s_and_b32 s26, s37, 3
	s_mov_b32 s25, 0
	s_cmp_eq_u32 s26, 0
	s_cbranch_scc1 .LBB173_202
; %bb.200:
	s_lshl_b32 s22, s24, 3
	s_mov_b32 s23, s25
	s_mul_u64 s[24:25], s[24:25], 12
	s_add_nc_u64 s[22:23], s[12:13], s[22:23]
	s_add_nc_u64 s[24:25], s[12:13], s[24:25]
	;; [unrolled: 1-line block ×3, first 2 shown]
.LBB173_201:                            ; =>This Inner Loop Header: Depth=1
	s_load_b96 s[36:38], s[24:25], 0x4
	s_load_b64 s[28:29], s[22:23], 0x0
	s_add_co_i32 s26, s26, -1
	s_wait_xcnt 0x0
	s_add_nc_u64 s[24:25], s[24:25], 12
	s_cmp_lg_u32 s26, 0
	s_add_nc_u64 s[22:23], s[22:23], 8
	s_wait_kmcnt 0x0
	v_mul_hi_u32 v4, s37, v1
	s_delay_alu instid0(VALU_DEP_1) | instskip(NEXT) | instid1(VALU_DEP_1)
	v_add_nc_u32_e32 v4, v1, v4
	v_lshrrev_b32_e32 v4, s38, v4
	s_delay_alu instid0(VALU_DEP_1) | instskip(NEXT) | instid1(VALU_DEP_1)
	v_mul_lo_u32 v5, v4, s36
	v_sub_nc_u32_e32 v1, v1, v5
	s_delay_alu instid0(VALU_DEP_1)
	v_mad_u32 v3, v1, s29, v3
	v_mad_u32 v2, v1, s28, v2
	v_mov_b32_e32 v1, v4
	s_cbranch_scc1 .LBB173_201
.LBB173_202:
	s_cbranch_execnz .LBB173_205
.LBB173_203:
	v_mov_b32_e32 v1, 0
	s_and_not1_b32 vcc_lo, exec_lo, s35
	s_delay_alu instid0(VALU_DEP_1) | instskip(NEXT) | instid1(VALU_DEP_1)
	v_mul_u64_e32 v[2:3], s[18:19], v[0:1]
	v_add_nc_u32_e32 v2, v0, v3
	s_delay_alu instid0(VALU_DEP_1) | instskip(NEXT) | instid1(VALU_DEP_1)
	v_lshrrev_b32_e32 v4, s6, v2
	v_mul_lo_u32 v2, v4, s4
	s_delay_alu instid0(VALU_DEP_1) | instskip(NEXT) | instid1(VALU_DEP_1)
	v_sub_nc_u32_e32 v0, v0, v2
	v_mul_lo_u32 v3, v0, s9
	v_mul_lo_u32 v2, v0, s8
	s_cbranch_vccnz .LBB173_205
; %bb.204:
	v_mov_b32_e32 v5, v1
	s_delay_alu instid0(VALU_DEP_1) | instskip(NEXT) | instid1(VALU_DEP_1)
	v_mul_u64_e32 v[0:1], s[20:21], v[4:5]
	v_add_nc_u32_e32 v0, v4, v1
	s_delay_alu instid0(VALU_DEP_1) | instskip(NEXT) | instid1(VALU_DEP_1)
	v_lshrrev_b32_e32 v0, s17, v0
	v_mul_lo_u32 v0, v0, s7
	s_delay_alu instid0(VALU_DEP_1) | instskip(NEXT) | instid1(VALU_DEP_1)
	v_sub_nc_u32_e32 v0, v4, v0
	v_mad_u32 v2, v0, s10, v2
	v_mad_u32 v3, v0, s11, v3
.LBB173_205:
	global_load_u8 v1, v3, s[2:3]
	s_cmp_lt_i32 s14, 1
	s_wait_xcnt 0x0
	s_mov_b32 s2, 0
	s_cbranch_scc1 .LBB173_208
; %bb.206:
	s_cmp_eq_u32 s14, 1
	s_cbranch_scc0 .LBB173_209
; %bb.207:
	s_wait_loadcnt 0x0
	v_and_b32_e32 v0, 0xff, v1
	s_and_b32 s3, s15, 0xff
	s_delay_alu instid0(VALU_DEP_1) | instid1(SALU_CYCLE_1)
	v_min_u16 v0, v0, s3
	s_mov_b32 s3, 0
	s_branch .LBB173_210
.LBB173_208:
	s_mov_b32 s3, 0
                                        ; implicit-def: $vgpr0
	s_cbranch_execnz .LBB173_211
	s_branch .LBB173_212
.LBB173_209:
	s_mov_b32 s3, -1
                                        ; implicit-def: $vgpr0
.LBB173_210:
	s_branch .LBB173_212
.LBB173_211:
	s_cmp_lg_u32 s14, 0
	s_mov_b32 s2, -1
	s_cselect_b32 s3, -1, 0
.LBB173_212:
	s_wait_loadcnt 0x0
	v_and_b32_e32 v1, 0xff, v1
	s_and_not1_b32 vcc_lo, exec_lo, s3
	s_cbranch_vccz .LBB173_226
; %bb.213:
	s_and_not1_b32 vcc_lo, exec_lo, s2
	s_cbranch_vccnz .LBB173_215
.LBB173_214:
	s_and_b32 s2, s15, 0xff
	s_delay_alu instid0(SALU_CYCLE_1)
	v_max_u16 v0, v1, s2
.LBB173_215:
	global_store_b8 v2, v0, s[0:1]
.LBB173_216:
	s_wait_xcnt 0x0
	s_or_b32 exec_lo, exec_lo, s16
                                        ; implicit-def: $vgpr16
                                        ; implicit-def: $vgpr0
.LBB173_217:
	s_and_not1_saveexec_b32 s0, s34
	s_cbranch_execz .LBB173_224
; %bb.218:
	v_cndmask_b32_e64 v14, 0, 1, s33
	s_and_not1_b32 vcc_lo, exec_lo, s33
	s_cbranch_vccnz .LBB173_225
; %bb.219:
	s_cmp_lg_u32 s30, 0
	s_mov_b32 s6, 0
	s_cbranch_scc0 .LBB173_227
; %bb.220:
	s_min_u32 s1, s31, 15
	s_delay_alu instid0(SALU_CYCLE_1)
	s_add_co_i32 s1, s1, 1
	s_cmp_eq_u32 s31, 2
	s_cbranch_scc1 .LBB173_228
; %bb.221:
	v_dual_mov_b32 v2, 0 :: v_dual_mov_b32 v3, 0
	v_mov_b32_e32 v1, v0
	s_and_b32 s0, s1, 28
	s_add_nc_u64 s[2:3], s[12:13], 0xc4
	s_mov_b32 s7, 0
	s_mov_b64 s[4:5], s[12:13]
.LBB173_222:                            ; =>This Inner Loop Header: Depth=1
	s_clause 0x1
	s_load_b256 s[16:23], s[4:5], 0x4
	s_load_b128 s[8:11], s[4:5], 0x24
	s_load_b256 s[36:43], s[2:3], 0x0
	s_add_co_i32 s7, s7, 4
	s_wait_xcnt 0x0
	s_add_nc_u64 s[4:5], s[4:5], 48
	s_cmp_lg_u32 s0, s7
	s_add_nc_u64 s[2:3], s[2:3], 32
	s_wait_kmcnt 0x0
	v_mul_hi_u32 v4, s17, v1
	s_delay_alu instid0(VALU_DEP_1) | instskip(NEXT) | instid1(VALU_DEP_1)
	v_add_nc_u32_e32 v4, v1, v4
	v_lshrrev_b32_e32 v4, s18, v4
	s_delay_alu instid0(VALU_DEP_1) | instskip(NEXT) | instid1(VALU_DEP_1)
	v_mul_hi_u32 v5, s20, v4
	v_add_nc_u32_e32 v5, v4, v5
	s_delay_alu instid0(VALU_DEP_1) | instskip(NEXT) | instid1(VALU_DEP_1)
	v_lshrrev_b32_e32 v5, s21, v5
	v_mul_hi_u32 v6, s23, v5
	s_delay_alu instid0(VALU_DEP_1) | instskip(SKIP_1) | instid1(VALU_DEP_1)
	v_add_nc_u32_e32 v6, v5, v6
	v_mul_lo_u32 v7, v4, s16
	v_sub_nc_u32_e32 v1, v1, v7
	v_mul_lo_u32 v7, v5, s19
	s_delay_alu instid0(VALU_DEP_4) | instskip(NEXT) | instid1(VALU_DEP_3)
	v_lshrrev_b32_e32 v6, s8, v6
	v_mad_u32 v3, v1, s37, v3
	v_mad_u32 v1, v1, s36, v2
	s_delay_alu instid0(VALU_DEP_4) | instskip(NEXT) | instid1(VALU_DEP_4)
	v_sub_nc_u32_e32 v2, v4, v7
	v_mul_hi_u32 v8, s10, v6
	v_mul_lo_u32 v4, v6, s22
	s_delay_alu instid0(VALU_DEP_3) | instskip(SKIP_1) | instid1(VALU_DEP_4)
	v_mad_u32 v3, v2, s39, v3
	v_mad_u32 v2, v2, s38, v1
	v_add_nc_u32_e32 v7, v6, v8
	s_delay_alu instid0(VALU_DEP_1) | instskip(NEXT) | instid1(VALU_DEP_1)
	v_dual_sub_nc_u32 v4, v5, v4 :: v_dual_lshrrev_b32 v1, s11, v7
	v_mad_u32 v3, v4, s41, v3
	s_delay_alu instid0(VALU_DEP_4) | instskip(NEXT) | instid1(VALU_DEP_3)
	v_mad_u32 v2, v4, s40, v2
	v_mul_lo_u32 v5, v1, s9
	s_delay_alu instid0(VALU_DEP_1) | instskip(NEXT) | instid1(VALU_DEP_1)
	v_sub_nc_u32_e32 v4, v6, v5
	v_mad_u32 v3, v4, s43, v3
	s_delay_alu instid0(VALU_DEP_4)
	v_mad_u32 v2, v4, s42, v2
	s_cbranch_scc1 .LBB173_222
; %bb.223:
	s_and_b32 s4, s1, 3
	s_mov_b32 s1, 0
	s_cmp_eq_u32 s4, 0
	s_cbranch_scc0 .LBB173_229
	s_branch .LBB173_231
.LBB173_224:
	s_endpgm
.LBB173_225:
	s_mov_b32 s6, -1
                                        ; implicit-def: $vgpr3
	s_branch .LBB173_231
.LBB173_226:
	s_and_b32 s2, s15, 0xff
	s_delay_alu instid0(VALU_DEP_1) | instid1(SALU_CYCLE_1)
	v_max_u16 v0, v1, s2
	s_delay_alu instid0(VALU_DEP_1)
	v_min_u16 v0, v0, s5
	s_cbranch_execz .LBB173_214
	s_branch .LBB173_215
.LBB173_227:
	v_dual_mov_b32 v3, 0 :: v_dual_mov_b32 v2, 0
	s_branch .LBB173_231
.LBB173_228:
	v_mov_b64_e32 v[2:3], 0
	v_mov_b32_e32 v1, v0
	s_mov_b32 s0, 0
	s_and_b32 s4, s1, 3
	s_mov_b32 s1, 0
	s_cmp_eq_u32 s4, 0
	s_cbranch_scc1 .LBB173_231
.LBB173_229:
	s_lshl_b32 s2, s0, 3
	s_mov_b32 s3, s1
	s_mul_u64 s[8:9], s[0:1], 12
	s_add_nc_u64 s[2:3], s[12:13], s[2:3]
	s_delay_alu instid0(SALU_CYCLE_1)
	s_add_nc_u64 s[0:1], s[2:3], 0xc4
	s_add_nc_u64 s[2:3], s[12:13], s[8:9]
.LBB173_230:                            ; =>This Inner Loop Header: Depth=1
	s_load_b96 s[8:10], s[2:3], 0x4
	s_add_co_i32 s4, s4, -1
	s_wait_xcnt 0x0
	s_add_nc_u64 s[2:3], s[2:3], 12
	s_cmp_lg_u32 s4, 0
	s_wait_kmcnt 0x0
	v_mul_hi_u32 v4, s9, v1
	s_delay_alu instid0(VALU_DEP_1) | instskip(NEXT) | instid1(VALU_DEP_1)
	v_add_nc_u32_e32 v4, v1, v4
	v_lshrrev_b32_e32 v4, s10, v4
	s_load_b64 s[10:11], s[0:1], 0x0
	s_wait_xcnt 0x0
	s_add_nc_u64 s[0:1], s[0:1], 8
	s_delay_alu instid0(VALU_DEP_1) | instskip(NEXT) | instid1(VALU_DEP_1)
	v_mul_lo_u32 v5, v4, s8
	v_sub_nc_u32_e32 v1, v1, v5
	s_wait_kmcnt 0x0
	s_delay_alu instid0(VALU_DEP_1)
	v_mad_u32 v3, v1, s11, v3
	v_mad_u32 v2, v1, s10, v2
	v_mov_b32_e32 v1, v4
	s_cbranch_scc1 .LBB173_230
.LBB173_231:
	s_and_not1_b32 vcc_lo, exec_lo, s6
	s_cbranch_vccnz .LBB173_234
; %bb.232:
	s_clause 0x1
	s_load_b96 s[0:2], s[12:13], 0x4
	s_load_b64 s[4:5], s[12:13], 0xc4
	s_cmp_lt_u32 s30, 2
	s_wait_kmcnt 0x0
	v_mul_hi_u32 v1, s1, v0
	s_delay_alu instid0(VALU_DEP_1) | instskip(NEXT) | instid1(VALU_DEP_1)
	v_add_nc_u32_e32 v1, v0, v1
	v_lshrrev_b32_e32 v1, s2, v1
	s_delay_alu instid0(VALU_DEP_1) | instskip(NEXT) | instid1(VALU_DEP_1)
	v_mul_lo_u32 v2, v1, s0
	v_sub_nc_u32_e32 v2, v0, v2
	s_delay_alu instid0(VALU_DEP_1)
	v_mul_lo_u32 v3, v2, s5
	v_mul_lo_u32 v2, v2, s4
	s_cbranch_scc1 .LBB173_234
; %bb.233:
	s_clause 0x1
	s_load_b96 s[0:2], s[12:13], 0x10
	s_load_b64 s[4:5], s[12:13], 0xcc
	s_wait_kmcnt 0x0
	v_mul_hi_u32 v4, s1, v1
	s_delay_alu instid0(VALU_DEP_1) | instskip(NEXT) | instid1(VALU_DEP_1)
	v_add_nc_u32_e32 v4, v1, v4
	v_lshrrev_b32_e32 v4, s2, v4
	s_delay_alu instid0(VALU_DEP_1) | instskip(NEXT) | instid1(VALU_DEP_1)
	v_mul_lo_u32 v4, v4, s0
	v_sub_nc_u32_e32 v1, v1, v4
	s_delay_alu instid0(VALU_DEP_1)
	v_mad_u32 v2, v1, s4, v2
	v_mad_u32 v3, v1, s5, v3
.LBB173_234:
	v_cmp_ne_u32_e32 vcc_lo, 1, v14
	v_add_nc_u32_e32 v1, 0x80, v0
	s_cbranch_vccnz .LBB173_240
; %bb.235:
	s_cmp_lg_u32 s30, 0
	s_mov_b32 s6, 0
	s_cbranch_scc0 .LBB173_241
; %bb.236:
	s_min_u32 s1, s31, 15
	s_delay_alu instid0(SALU_CYCLE_1)
	s_add_co_i32 s1, s1, 1
	s_cmp_eq_u32 s31, 2
	s_cbranch_scc1 .LBB173_242
; %bb.237:
	v_dual_mov_b32 v4, 0 :: v_dual_mov_b32 v5, 0
	v_mov_b32_e32 v6, v1
	s_and_b32 s0, s1, 28
	s_add_nc_u64 s[2:3], s[12:13], 0xc4
	s_mov_b32 s7, 0
	s_mov_b64 s[4:5], s[12:13]
.LBB173_238:                            ; =>This Inner Loop Header: Depth=1
	s_clause 0x1
	s_load_b256 s[16:23], s[4:5], 0x4
	s_load_b128 s[8:11], s[4:5], 0x24
	s_load_b256 s[36:43], s[2:3], 0x0
	s_add_co_i32 s7, s7, 4
	s_wait_xcnt 0x0
	s_add_nc_u64 s[4:5], s[4:5], 48
	s_cmp_lg_u32 s0, s7
	s_add_nc_u64 s[2:3], s[2:3], 32
	s_wait_kmcnt 0x0
	v_mul_hi_u32 v7, s17, v6
	s_delay_alu instid0(VALU_DEP_1) | instskip(NEXT) | instid1(VALU_DEP_1)
	v_add_nc_u32_e32 v7, v6, v7
	v_lshrrev_b32_e32 v7, s18, v7
	s_delay_alu instid0(VALU_DEP_1) | instskip(NEXT) | instid1(VALU_DEP_1)
	v_mul_hi_u32 v8, s20, v7
	v_add_nc_u32_e32 v8, v7, v8
	s_delay_alu instid0(VALU_DEP_1) | instskip(NEXT) | instid1(VALU_DEP_1)
	v_lshrrev_b32_e32 v8, s21, v8
	v_mul_hi_u32 v9, s23, v8
	s_delay_alu instid0(VALU_DEP_1) | instskip(SKIP_1) | instid1(VALU_DEP_1)
	v_add_nc_u32_e32 v9, v8, v9
	v_mul_lo_u32 v10, v7, s16
	v_sub_nc_u32_e32 v6, v6, v10
	v_mul_lo_u32 v10, v8, s19
	s_delay_alu instid0(VALU_DEP_4) | instskip(NEXT) | instid1(VALU_DEP_3)
	v_lshrrev_b32_e32 v9, s8, v9
	v_mad_u32 v5, v6, s37, v5
	v_mad_u32 v4, v6, s36, v4
	s_delay_alu instid0(VALU_DEP_4) | instskip(NEXT) | instid1(VALU_DEP_4)
	v_sub_nc_u32_e32 v6, v7, v10
	v_mul_hi_u32 v11, s10, v9
	v_mul_lo_u32 v7, v9, s22
	s_delay_alu instid0(VALU_DEP_3) | instskip(SKIP_1) | instid1(VALU_DEP_4)
	v_mad_u32 v5, v6, s39, v5
	v_mad_u32 v4, v6, s38, v4
	v_add_nc_u32_e32 v10, v9, v11
	s_delay_alu instid0(VALU_DEP_1) | instskip(NEXT) | instid1(VALU_DEP_1)
	v_dual_sub_nc_u32 v7, v8, v7 :: v_dual_lshrrev_b32 v6, s11, v10
	v_mad_u32 v5, v7, s41, v5
	s_delay_alu instid0(VALU_DEP_4) | instskip(NEXT) | instid1(VALU_DEP_3)
	v_mad_u32 v4, v7, s40, v4
	v_mul_lo_u32 v8, v6, s9
	s_delay_alu instid0(VALU_DEP_1) | instskip(NEXT) | instid1(VALU_DEP_1)
	v_sub_nc_u32_e32 v7, v9, v8
	v_mad_u32 v5, v7, s43, v5
	s_delay_alu instid0(VALU_DEP_4)
	v_mad_u32 v4, v7, s42, v4
	s_cbranch_scc1 .LBB173_238
; %bb.239:
	s_and_b32 s4, s1, 3
	s_mov_b32 s1, 0
	s_cmp_eq_u32 s4, 0
	s_cbranch_scc0 .LBB173_243
	s_branch .LBB173_245
.LBB173_240:
	s_mov_b32 s6, -1
                                        ; implicit-def: $vgpr5
	s_branch .LBB173_245
.LBB173_241:
	v_dual_mov_b32 v5, 0 :: v_dual_mov_b32 v4, 0
	s_branch .LBB173_245
.LBB173_242:
	v_mov_b64_e32 v[4:5], 0
	v_mov_b32_e32 v6, v1
	s_mov_b32 s0, 0
	s_and_b32 s4, s1, 3
	s_mov_b32 s1, 0
	s_cmp_eq_u32 s4, 0
	s_cbranch_scc1 .LBB173_245
.LBB173_243:
	s_lshl_b32 s2, s0, 3
	s_mov_b32 s3, s1
	s_mul_u64 s[8:9], s[0:1], 12
	s_add_nc_u64 s[2:3], s[12:13], s[2:3]
	s_delay_alu instid0(SALU_CYCLE_1)
	s_add_nc_u64 s[0:1], s[2:3], 0xc4
	s_add_nc_u64 s[2:3], s[12:13], s[8:9]
.LBB173_244:                            ; =>This Inner Loop Header: Depth=1
	s_load_b96 s[8:10], s[2:3], 0x4
	s_add_co_i32 s4, s4, -1
	s_wait_xcnt 0x0
	s_add_nc_u64 s[2:3], s[2:3], 12
	s_cmp_lg_u32 s4, 0
	s_wait_kmcnt 0x0
	v_mul_hi_u32 v7, s9, v6
	s_delay_alu instid0(VALU_DEP_1) | instskip(NEXT) | instid1(VALU_DEP_1)
	v_add_nc_u32_e32 v7, v6, v7
	v_lshrrev_b32_e32 v7, s10, v7
	s_load_b64 s[10:11], s[0:1], 0x0
	s_wait_xcnt 0x0
	s_add_nc_u64 s[0:1], s[0:1], 8
	s_delay_alu instid0(VALU_DEP_1) | instskip(NEXT) | instid1(VALU_DEP_1)
	v_mul_lo_u32 v8, v7, s8
	v_sub_nc_u32_e32 v6, v6, v8
	s_wait_kmcnt 0x0
	s_delay_alu instid0(VALU_DEP_1)
	v_mad_u32 v5, v6, s11, v5
	v_mad_u32 v4, v6, s10, v4
	v_mov_b32_e32 v6, v7
	s_cbranch_scc1 .LBB173_244
.LBB173_245:
	s_and_not1_b32 vcc_lo, exec_lo, s6
	s_cbranch_vccnz .LBB173_248
; %bb.246:
	s_clause 0x1
	s_load_b96 s[0:2], s[12:13], 0x4
	s_load_b64 s[4:5], s[12:13], 0xc4
	s_cmp_lt_u32 s30, 2
	s_wait_kmcnt 0x0
	v_mul_hi_u32 v4, s1, v1
	s_delay_alu instid0(VALU_DEP_1) | instskip(NEXT) | instid1(VALU_DEP_1)
	v_add_nc_u32_e32 v4, v1, v4
	v_lshrrev_b32_e32 v6, s2, v4
	s_delay_alu instid0(VALU_DEP_1) | instskip(NEXT) | instid1(VALU_DEP_1)
	v_mul_lo_u32 v4, v6, s0
	v_sub_nc_u32_e32 v1, v1, v4
	s_delay_alu instid0(VALU_DEP_1)
	v_mul_lo_u32 v5, v1, s5
	v_mul_lo_u32 v4, v1, s4
	s_cbranch_scc1 .LBB173_248
; %bb.247:
	s_clause 0x1
	s_load_b96 s[0:2], s[12:13], 0x10
	s_load_b64 s[4:5], s[12:13], 0xcc
	s_wait_kmcnt 0x0
	v_mul_hi_u32 v1, s1, v6
	s_delay_alu instid0(VALU_DEP_1) | instskip(NEXT) | instid1(VALU_DEP_1)
	v_add_nc_u32_e32 v1, v6, v1
	v_lshrrev_b32_e32 v1, s2, v1
	s_delay_alu instid0(VALU_DEP_1) | instskip(NEXT) | instid1(VALU_DEP_1)
	v_mul_lo_u32 v1, v1, s0
	v_sub_nc_u32_e32 v1, v6, v1
	s_delay_alu instid0(VALU_DEP_1)
	v_mad_u32 v4, v1, s4, v4
	v_mad_u32 v5, v1, s5, v5
.LBB173_248:
	v_cmp_ne_u32_e32 vcc_lo, 1, v14
	v_add_nc_u32_e32 v1, 0x100, v0
	s_cbranch_vccnz .LBB173_254
; %bb.249:
	s_cmp_lg_u32 s30, 0
	s_mov_b32 s6, 0
	s_cbranch_scc0 .LBB173_255
; %bb.250:
	s_min_u32 s1, s31, 15
	s_delay_alu instid0(SALU_CYCLE_1)
	s_add_co_i32 s1, s1, 1
	s_cmp_eq_u32 s31, 2
	s_cbranch_scc1 .LBB173_256
; %bb.251:
	v_dual_mov_b32 v6, 0 :: v_dual_mov_b32 v7, 0
	v_mov_b32_e32 v8, v1
	s_and_b32 s0, s1, 28
	s_add_nc_u64 s[2:3], s[12:13], 0xc4
	s_mov_b32 s7, 0
	s_mov_b64 s[4:5], s[12:13]
.LBB173_252:                            ; =>This Inner Loop Header: Depth=1
	s_clause 0x1
	s_load_b256 s[16:23], s[4:5], 0x4
	s_load_b128 s[8:11], s[4:5], 0x24
	s_load_b256 s[36:43], s[2:3], 0x0
	s_add_co_i32 s7, s7, 4
	s_wait_xcnt 0x0
	s_add_nc_u64 s[4:5], s[4:5], 48
	s_cmp_lg_u32 s0, s7
	s_add_nc_u64 s[2:3], s[2:3], 32
	s_wait_kmcnt 0x0
	v_mul_hi_u32 v9, s17, v8
	s_delay_alu instid0(VALU_DEP_1) | instskip(NEXT) | instid1(VALU_DEP_1)
	v_add_nc_u32_e32 v9, v8, v9
	v_lshrrev_b32_e32 v9, s18, v9
	s_delay_alu instid0(VALU_DEP_1) | instskip(NEXT) | instid1(VALU_DEP_1)
	v_mul_hi_u32 v10, s20, v9
	v_add_nc_u32_e32 v10, v9, v10
	s_delay_alu instid0(VALU_DEP_1) | instskip(NEXT) | instid1(VALU_DEP_1)
	v_lshrrev_b32_e32 v10, s21, v10
	v_mul_hi_u32 v11, s23, v10
	s_delay_alu instid0(VALU_DEP_1) | instskip(SKIP_1) | instid1(VALU_DEP_1)
	v_add_nc_u32_e32 v11, v10, v11
	v_mul_lo_u32 v12, v9, s16
	v_sub_nc_u32_e32 v8, v8, v12
	v_mul_lo_u32 v12, v10, s19
	s_delay_alu instid0(VALU_DEP_4) | instskip(NEXT) | instid1(VALU_DEP_3)
	v_lshrrev_b32_e32 v11, s8, v11
	v_mad_u32 v7, v8, s37, v7
	v_mad_u32 v6, v8, s36, v6
	s_delay_alu instid0(VALU_DEP_4) | instskip(NEXT) | instid1(VALU_DEP_4)
	v_sub_nc_u32_e32 v8, v9, v12
	v_mul_hi_u32 v13, s10, v11
	v_mul_lo_u32 v9, v11, s22
	s_delay_alu instid0(VALU_DEP_3) | instskip(SKIP_1) | instid1(VALU_DEP_4)
	v_mad_u32 v7, v8, s39, v7
	v_mad_u32 v6, v8, s38, v6
	v_add_nc_u32_e32 v12, v11, v13
	s_delay_alu instid0(VALU_DEP_1) | instskip(NEXT) | instid1(VALU_DEP_1)
	v_dual_sub_nc_u32 v9, v10, v9 :: v_dual_lshrrev_b32 v8, s11, v12
	v_mad_u32 v7, v9, s41, v7
	s_delay_alu instid0(VALU_DEP_4) | instskip(NEXT) | instid1(VALU_DEP_3)
	v_mad_u32 v6, v9, s40, v6
	v_mul_lo_u32 v10, v8, s9
	s_delay_alu instid0(VALU_DEP_1) | instskip(NEXT) | instid1(VALU_DEP_1)
	v_sub_nc_u32_e32 v9, v11, v10
	v_mad_u32 v7, v9, s43, v7
	s_delay_alu instid0(VALU_DEP_4)
	v_mad_u32 v6, v9, s42, v6
	s_cbranch_scc1 .LBB173_252
; %bb.253:
	s_and_b32 s4, s1, 3
	s_mov_b32 s1, 0
	s_cmp_eq_u32 s4, 0
	s_cbranch_scc0 .LBB173_257
	s_branch .LBB173_259
.LBB173_254:
	s_mov_b32 s6, -1
                                        ; implicit-def: $vgpr7
	s_branch .LBB173_259
.LBB173_255:
	v_dual_mov_b32 v7, 0 :: v_dual_mov_b32 v6, 0
	s_branch .LBB173_259
.LBB173_256:
	v_mov_b64_e32 v[6:7], 0
	v_mov_b32_e32 v8, v1
	s_mov_b32 s0, 0
	s_and_b32 s4, s1, 3
	s_mov_b32 s1, 0
	s_cmp_eq_u32 s4, 0
	s_cbranch_scc1 .LBB173_259
.LBB173_257:
	s_lshl_b32 s2, s0, 3
	s_mov_b32 s3, s1
	s_mul_u64 s[8:9], s[0:1], 12
	s_add_nc_u64 s[2:3], s[12:13], s[2:3]
	s_delay_alu instid0(SALU_CYCLE_1)
	s_add_nc_u64 s[0:1], s[2:3], 0xc4
	s_add_nc_u64 s[2:3], s[12:13], s[8:9]
.LBB173_258:                            ; =>This Inner Loop Header: Depth=1
	s_load_b96 s[8:10], s[2:3], 0x4
	s_add_co_i32 s4, s4, -1
	s_wait_xcnt 0x0
	s_add_nc_u64 s[2:3], s[2:3], 12
	s_cmp_lg_u32 s4, 0
	s_wait_kmcnt 0x0
	v_mul_hi_u32 v9, s9, v8
	s_delay_alu instid0(VALU_DEP_1) | instskip(NEXT) | instid1(VALU_DEP_1)
	v_add_nc_u32_e32 v9, v8, v9
	v_lshrrev_b32_e32 v9, s10, v9
	s_load_b64 s[10:11], s[0:1], 0x0
	s_wait_xcnt 0x0
	s_add_nc_u64 s[0:1], s[0:1], 8
	s_delay_alu instid0(VALU_DEP_1) | instskip(NEXT) | instid1(VALU_DEP_1)
	v_mul_lo_u32 v10, v9, s8
	v_sub_nc_u32_e32 v8, v8, v10
	s_wait_kmcnt 0x0
	s_delay_alu instid0(VALU_DEP_1)
	v_mad_u32 v7, v8, s11, v7
	v_mad_u32 v6, v8, s10, v6
	v_mov_b32_e32 v8, v9
	s_cbranch_scc1 .LBB173_258
.LBB173_259:
	s_and_not1_b32 vcc_lo, exec_lo, s6
	s_cbranch_vccnz .LBB173_262
; %bb.260:
	s_clause 0x1
	s_load_b96 s[0:2], s[12:13], 0x4
	s_load_b64 s[4:5], s[12:13], 0xc4
	s_cmp_lt_u32 s30, 2
	s_wait_kmcnt 0x0
	v_mul_hi_u32 v6, s1, v1
	s_delay_alu instid0(VALU_DEP_1) | instskip(NEXT) | instid1(VALU_DEP_1)
	v_add_nc_u32_e32 v6, v1, v6
	v_lshrrev_b32_e32 v8, s2, v6
	s_delay_alu instid0(VALU_DEP_1) | instskip(NEXT) | instid1(VALU_DEP_1)
	v_mul_lo_u32 v6, v8, s0
	v_sub_nc_u32_e32 v1, v1, v6
	s_delay_alu instid0(VALU_DEP_1)
	v_mul_lo_u32 v7, v1, s5
	v_mul_lo_u32 v6, v1, s4
	s_cbranch_scc1 .LBB173_262
; %bb.261:
	s_clause 0x1
	s_load_b96 s[0:2], s[12:13], 0x10
	s_load_b64 s[4:5], s[12:13], 0xcc
	s_wait_kmcnt 0x0
	v_mul_hi_u32 v1, s1, v8
	s_delay_alu instid0(VALU_DEP_1) | instskip(NEXT) | instid1(VALU_DEP_1)
	v_add_nc_u32_e32 v1, v8, v1
	v_lshrrev_b32_e32 v1, s2, v1
	s_delay_alu instid0(VALU_DEP_1) | instskip(NEXT) | instid1(VALU_DEP_1)
	v_mul_lo_u32 v1, v1, s0
	v_sub_nc_u32_e32 v1, v8, v1
	s_delay_alu instid0(VALU_DEP_1)
	v_mad_u32 v6, v1, s4, v6
	v_mad_u32 v7, v1, s5, v7
.LBB173_262:
	v_cmp_ne_u32_e32 vcc_lo, 1, v14
	v_add_nc_u32_e32 v1, 0x180, v0
	s_cbranch_vccnz .LBB173_268
; %bb.263:
	s_cmp_lg_u32 s30, 0
	s_mov_b32 s6, 0
	s_cbranch_scc0 .LBB173_269
; %bb.264:
	s_min_u32 s1, s31, 15
	s_delay_alu instid0(SALU_CYCLE_1)
	s_add_co_i32 s1, s1, 1
	s_cmp_eq_u32 s31, 2
	s_cbranch_scc1 .LBB173_270
; %bb.265:
	v_dual_mov_b32 v8, 0 :: v_dual_mov_b32 v9, 0
	v_mov_b32_e32 v10, v1
	s_and_b32 s0, s1, 28
	s_add_nc_u64 s[2:3], s[12:13], 0xc4
	s_mov_b32 s7, 0
	s_mov_b64 s[4:5], s[12:13]
.LBB173_266:                            ; =>This Inner Loop Header: Depth=1
	s_clause 0x1
	s_load_b256 s[16:23], s[4:5], 0x4
	s_load_b128 s[8:11], s[4:5], 0x24
	s_load_b256 s[36:43], s[2:3], 0x0
	s_add_co_i32 s7, s7, 4
	s_wait_xcnt 0x0
	s_add_nc_u64 s[4:5], s[4:5], 48
	s_cmp_lg_u32 s0, s7
	s_add_nc_u64 s[2:3], s[2:3], 32
	s_wait_kmcnt 0x0
	v_mul_hi_u32 v11, s17, v10
	s_delay_alu instid0(VALU_DEP_1) | instskip(NEXT) | instid1(VALU_DEP_1)
	v_add_nc_u32_e32 v11, v10, v11
	v_lshrrev_b32_e32 v11, s18, v11
	s_delay_alu instid0(VALU_DEP_1) | instskip(NEXT) | instid1(VALU_DEP_1)
	v_mul_hi_u32 v12, s20, v11
	v_add_nc_u32_e32 v12, v11, v12
	s_delay_alu instid0(VALU_DEP_1) | instskip(NEXT) | instid1(VALU_DEP_1)
	v_lshrrev_b32_e32 v12, s21, v12
	v_mul_hi_u32 v13, s23, v12
	s_delay_alu instid0(VALU_DEP_1) | instskip(SKIP_1) | instid1(VALU_DEP_1)
	v_add_nc_u32_e32 v13, v12, v13
	v_mul_lo_u32 v15, v11, s16
	v_sub_nc_u32_e32 v10, v10, v15
	v_mul_lo_u32 v15, v12, s19
	s_delay_alu instid0(VALU_DEP_4) | instskip(NEXT) | instid1(VALU_DEP_3)
	v_lshrrev_b32_e32 v13, s8, v13
	v_mad_u32 v9, v10, s37, v9
	v_mad_u32 v8, v10, s36, v8
	s_delay_alu instid0(VALU_DEP_4) | instskip(NEXT) | instid1(VALU_DEP_4)
	v_sub_nc_u32_e32 v10, v11, v15
	v_mul_hi_u32 v17, s10, v13
	v_mul_lo_u32 v11, v13, s22
	s_delay_alu instid0(VALU_DEP_3) | instskip(SKIP_1) | instid1(VALU_DEP_3)
	v_mad_u32 v9, v10, s39, v9
	v_mad_u32 v8, v10, s38, v8
	v_dual_add_nc_u32 v15, v13, v17 :: v_dual_sub_nc_u32 v11, v12, v11
	s_delay_alu instid0(VALU_DEP_1) | instskip(NEXT) | instid1(VALU_DEP_2)
	v_lshrrev_b32_e32 v10, s11, v15
	v_mad_u32 v9, v11, s41, v9
	s_delay_alu instid0(VALU_DEP_4) | instskip(NEXT) | instid1(VALU_DEP_3)
	v_mad_u32 v8, v11, s40, v8
	v_mul_lo_u32 v12, v10, s9
	s_delay_alu instid0(VALU_DEP_1) | instskip(NEXT) | instid1(VALU_DEP_1)
	v_sub_nc_u32_e32 v11, v13, v12
	v_mad_u32 v9, v11, s43, v9
	s_delay_alu instid0(VALU_DEP_4)
	v_mad_u32 v8, v11, s42, v8
	s_cbranch_scc1 .LBB173_266
; %bb.267:
	s_and_b32 s4, s1, 3
	s_mov_b32 s1, 0
	s_cmp_eq_u32 s4, 0
	s_cbranch_scc0 .LBB173_271
	s_branch .LBB173_273
.LBB173_268:
	s_mov_b32 s6, -1
                                        ; implicit-def: $vgpr9
	s_branch .LBB173_273
.LBB173_269:
	v_dual_mov_b32 v9, 0 :: v_dual_mov_b32 v8, 0
	s_branch .LBB173_273
.LBB173_270:
	v_mov_b64_e32 v[8:9], 0
	v_mov_b32_e32 v10, v1
	s_mov_b32 s0, 0
	s_and_b32 s4, s1, 3
	s_mov_b32 s1, 0
	s_cmp_eq_u32 s4, 0
	s_cbranch_scc1 .LBB173_273
.LBB173_271:
	s_lshl_b32 s2, s0, 3
	s_mov_b32 s3, s1
	s_mul_u64 s[8:9], s[0:1], 12
	s_add_nc_u64 s[2:3], s[12:13], s[2:3]
	s_delay_alu instid0(SALU_CYCLE_1)
	s_add_nc_u64 s[0:1], s[2:3], 0xc4
	s_add_nc_u64 s[2:3], s[12:13], s[8:9]
.LBB173_272:                            ; =>This Inner Loop Header: Depth=1
	s_load_b96 s[8:10], s[2:3], 0x4
	s_add_co_i32 s4, s4, -1
	s_wait_xcnt 0x0
	s_add_nc_u64 s[2:3], s[2:3], 12
	s_cmp_lg_u32 s4, 0
	s_wait_kmcnt 0x0
	v_mul_hi_u32 v11, s9, v10
	s_delay_alu instid0(VALU_DEP_1) | instskip(NEXT) | instid1(VALU_DEP_1)
	v_add_nc_u32_e32 v11, v10, v11
	v_lshrrev_b32_e32 v11, s10, v11
	s_load_b64 s[10:11], s[0:1], 0x0
	s_wait_xcnt 0x0
	s_add_nc_u64 s[0:1], s[0:1], 8
	s_delay_alu instid0(VALU_DEP_1) | instskip(NEXT) | instid1(VALU_DEP_1)
	v_mul_lo_u32 v12, v11, s8
	v_sub_nc_u32_e32 v10, v10, v12
	s_wait_kmcnt 0x0
	s_delay_alu instid0(VALU_DEP_1)
	v_mad_u32 v9, v10, s11, v9
	v_mad_u32 v8, v10, s10, v8
	v_mov_b32_e32 v10, v11
	s_cbranch_scc1 .LBB173_272
.LBB173_273:
	s_and_not1_b32 vcc_lo, exec_lo, s6
	s_cbranch_vccnz .LBB173_276
; %bb.274:
	s_clause 0x1
	s_load_b96 s[0:2], s[12:13], 0x4
	s_load_b64 s[4:5], s[12:13], 0xc4
	s_cmp_lt_u32 s30, 2
	s_wait_kmcnt 0x0
	v_mul_hi_u32 v8, s1, v1
	s_delay_alu instid0(VALU_DEP_1) | instskip(NEXT) | instid1(VALU_DEP_1)
	v_add_nc_u32_e32 v8, v1, v8
	v_lshrrev_b32_e32 v10, s2, v8
	s_delay_alu instid0(VALU_DEP_1) | instskip(NEXT) | instid1(VALU_DEP_1)
	v_mul_lo_u32 v8, v10, s0
	v_sub_nc_u32_e32 v1, v1, v8
	s_delay_alu instid0(VALU_DEP_1)
	v_mul_lo_u32 v9, v1, s5
	v_mul_lo_u32 v8, v1, s4
	s_cbranch_scc1 .LBB173_276
; %bb.275:
	s_clause 0x1
	s_load_b96 s[0:2], s[12:13], 0x10
	s_load_b64 s[4:5], s[12:13], 0xcc
	s_wait_kmcnt 0x0
	v_mul_hi_u32 v1, s1, v10
	s_delay_alu instid0(VALU_DEP_1) | instskip(NEXT) | instid1(VALU_DEP_1)
	v_add_nc_u32_e32 v1, v10, v1
	v_lshrrev_b32_e32 v1, s2, v1
	s_delay_alu instid0(VALU_DEP_1) | instskip(NEXT) | instid1(VALU_DEP_1)
	v_mul_lo_u32 v1, v1, s0
	v_sub_nc_u32_e32 v1, v10, v1
	s_delay_alu instid0(VALU_DEP_1)
	v_mad_u32 v8, v1, s4, v8
	v_mad_u32 v9, v1, s5, v9
.LBB173_276:
	v_cmp_ne_u32_e32 vcc_lo, 1, v14
	v_add_nc_u32_e32 v1, 0x200, v0
	s_cbranch_vccnz .LBB173_282
; %bb.277:
	s_cmp_lg_u32 s30, 0
	s_mov_b32 s6, 0
	s_cbranch_scc0 .LBB173_283
; %bb.278:
	s_min_u32 s1, s31, 15
	s_delay_alu instid0(SALU_CYCLE_1)
	s_add_co_i32 s1, s1, 1
	s_cmp_eq_u32 s31, 2
	s_cbranch_scc1 .LBB173_284
; %bb.279:
	v_dual_mov_b32 v10, 0 :: v_dual_mov_b32 v11, 0
	v_mov_b32_e32 v12, v1
	s_and_b32 s0, s1, 28
	s_add_nc_u64 s[2:3], s[12:13], 0xc4
	s_mov_b32 s7, 0
	s_mov_b64 s[4:5], s[12:13]
.LBB173_280:                            ; =>This Inner Loop Header: Depth=1
	s_clause 0x1
	s_load_b256 s[16:23], s[4:5], 0x4
	s_load_b128 s[8:11], s[4:5], 0x24
	s_load_b256 s[36:43], s[2:3], 0x0
	s_add_co_i32 s7, s7, 4
	s_wait_xcnt 0x0
	s_add_nc_u64 s[4:5], s[4:5], 48
	s_cmp_lg_u32 s0, s7
	s_add_nc_u64 s[2:3], s[2:3], 32
	s_wait_kmcnt 0x0
	v_mul_hi_u32 v13, s17, v12
	s_delay_alu instid0(VALU_DEP_1) | instskip(NEXT) | instid1(VALU_DEP_1)
	v_add_nc_u32_e32 v13, v12, v13
	v_lshrrev_b32_e32 v13, s18, v13
	s_delay_alu instid0(VALU_DEP_1) | instskip(NEXT) | instid1(VALU_DEP_1)
	v_mul_lo_u32 v18, v13, s16
	v_sub_nc_u32_e32 v12, v12, v18
	v_mul_hi_u32 v15, s20, v13
	s_delay_alu instid0(VALU_DEP_2) | instskip(SKIP_1) | instid1(VALU_DEP_3)
	v_mad_u32 v11, v12, s37, v11
	v_mad_u32 v10, v12, s36, v10
	v_add_nc_u32_e32 v15, v13, v15
	s_delay_alu instid0(VALU_DEP_1) | instskip(NEXT) | instid1(VALU_DEP_1)
	v_lshrrev_b32_e32 v15, s21, v15
	v_mul_hi_u32 v17, s23, v15
	v_mul_lo_u32 v18, v15, s19
	s_delay_alu instid0(VALU_DEP_1) | instskip(NEXT) | instid1(VALU_DEP_1)
	v_dual_add_nc_u32 v17, v15, v17 :: v_dual_sub_nc_u32 v12, v13, v18
	v_lshrrev_b32_e32 v17, s8, v17
	s_delay_alu instid0(VALU_DEP_2) | instskip(SKIP_1) | instid1(VALU_DEP_3)
	v_mad_u32 v11, v12, s39, v11
	v_mad_u32 v10, v12, s38, v10
	v_mul_hi_u32 v19, s10, v17
	v_mul_lo_u32 v13, v17, s22
	s_delay_alu instid0(VALU_DEP_1) | instskip(NEXT) | instid1(VALU_DEP_1)
	v_dual_add_nc_u32 v18, v17, v19 :: v_dual_sub_nc_u32 v13, v15, v13
	v_lshrrev_b32_e32 v12, s11, v18
	s_delay_alu instid0(VALU_DEP_2) | instskip(SKIP_1) | instid1(VALU_DEP_3)
	v_mad_u32 v11, v13, s41, v11
	v_mad_u32 v10, v13, s40, v10
	v_mul_lo_u32 v15, v12, s9
	s_delay_alu instid0(VALU_DEP_1) | instskip(NEXT) | instid1(VALU_DEP_1)
	v_sub_nc_u32_e32 v13, v17, v15
	v_mad_u32 v11, v13, s43, v11
	s_delay_alu instid0(VALU_DEP_4)
	v_mad_u32 v10, v13, s42, v10
	s_cbranch_scc1 .LBB173_280
; %bb.281:
	s_and_b32 s4, s1, 3
	s_mov_b32 s1, 0
	s_cmp_eq_u32 s4, 0
	s_cbranch_scc0 .LBB173_285
	s_branch .LBB173_287
.LBB173_282:
	s_mov_b32 s6, -1
                                        ; implicit-def: $vgpr11
	s_branch .LBB173_287
.LBB173_283:
	v_dual_mov_b32 v11, 0 :: v_dual_mov_b32 v10, 0
	s_branch .LBB173_287
.LBB173_284:
	v_mov_b64_e32 v[10:11], 0
	v_mov_b32_e32 v12, v1
	s_mov_b32 s0, 0
	s_and_b32 s4, s1, 3
	s_mov_b32 s1, 0
	s_cmp_eq_u32 s4, 0
	s_cbranch_scc1 .LBB173_287
.LBB173_285:
	s_lshl_b32 s2, s0, 3
	s_mov_b32 s3, s1
	s_mul_u64 s[8:9], s[0:1], 12
	s_add_nc_u64 s[2:3], s[12:13], s[2:3]
	s_delay_alu instid0(SALU_CYCLE_1)
	s_add_nc_u64 s[0:1], s[2:3], 0xc4
	s_add_nc_u64 s[2:3], s[12:13], s[8:9]
.LBB173_286:                            ; =>This Inner Loop Header: Depth=1
	s_load_b96 s[8:10], s[2:3], 0x4
	s_add_co_i32 s4, s4, -1
	s_wait_xcnt 0x0
	s_add_nc_u64 s[2:3], s[2:3], 12
	s_cmp_lg_u32 s4, 0
	s_wait_kmcnt 0x0
	v_mul_hi_u32 v13, s9, v12
	s_delay_alu instid0(VALU_DEP_1) | instskip(NEXT) | instid1(VALU_DEP_1)
	v_add_nc_u32_e32 v13, v12, v13
	v_lshrrev_b32_e32 v13, s10, v13
	s_load_b64 s[10:11], s[0:1], 0x0
	s_wait_xcnt 0x0
	s_add_nc_u64 s[0:1], s[0:1], 8
	s_delay_alu instid0(VALU_DEP_1) | instskip(NEXT) | instid1(VALU_DEP_1)
	v_mul_lo_u32 v15, v13, s8
	v_sub_nc_u32_e32 v12, v12, v15
	s_wait_kmcnt 0x0
	s_delay_alu instid0(VALU_DEP_1)
	v_mad_u32 v11, v12, s11, v11
	v_mad_u32 v10, v12, s10, v10
	v_mov_b32_e32 v12, v13
	s_cbranch_scc1 .LBB173_286
.LBB173_287:
	s_and_not1_b32 vcc_lo, exec_lo, s6
	s_cbranch_vccnz .LBB173_290
; %bb.288:
	s_clause 0x1
	s_load_b96 s[0:2], s[12:13], 0x4
	s_load_b64 s[4:5], s[12:13], 0xc4
	s_cmp_lt_u32 s30, 2
	s_wait_kmcnt 0x0
	v_mul_hi_u32 v10, s1, v1
	s_delay_alu instid0(VALU_DEP_1) | instskip(NEXT) | instid1(VALU_DEP_1)
	v_add_nc_u32_e32 v10, v1, v10
	v_lshrrev_b32_e32 v12, s2, v10
	s_delay_alu instid0(VALU_DEP_1) | instskip(NEXT) | instid1(VALU_DEP_1)
	v_mul_lo_u32 v10, v12, s0
	v_sub_nc_u32_e32 v1, v1, v10
	s_delay_alu instid0(VALU_DEP_1)
	v_mul_lo_u32 v11, v1, s5
	v_mul_lo_u32 v10, v1, s4
	s_cbranch_scc1 .LBB173_290
; %bb.289:
	s_clause 0x1
	s_load_b96 s[0:2], s[12:13], 0x10
	s_load_b64 s[4:5], s[12:13], 0xcc
	s_wait_kmcnt 0x0
	v_mul_hi_u32 v1, s1, v12
	s_delay_alu instid0(VALU_DEP_1) | instskip(NEXT) | instid1(VALU_DEP_1)
	v_add_nc_u32_e32 v1, v12, v1
	v_lshrrev_b32_e32 v1, s2, v1
	s_delay_alu instid0(VALU_DEP_1) | instskip(NEXT) | instid1(VALU_DEP_1)
	v_mul_lo_u32 v1, v1, s0
	v_sub_nc_u32_e32 v1, v12, v1
	s_delay_alu instid0(VALU_DEP_1)
	v_mad_u32 v10, v1, s4, v10
	v_mad_u32 v11, v1, s5, v11
.LBB173_290:
	v_cmp_ne_u32_e32 vcc_lo, 1, v14
	v_add_nc_u32_e32 v1, 0x280, v0
	s_cbranch_vccnz .LBB173_296
; %bb.291:
	s_cmp_lg_u32 s30, 0
	s_mov_b32 s6, 0
	s_cbranch_scc0 .LBB173_297
; %bb.292:
	s_min_u32 s1, s31, 15
	s_delay_alu instid0(SALU_CYCLE_1)
	s_add_co_i32 s1, s1, 1
	s_cmp_eq_u32 s31, 2
	s_cbranch_scc1 .LBB173_298
; %bb.293:
	v_dual_mov_b32 v12, 0 :: v_dual_mov_b32 v13, 0
	v_mov_b32_e32 v15, v1
	s_and_b32 s0, s1, 28
	s_add_nc_u64 s[2:3], s[12:13], 0xc4
	s_mov_b32 s7, 0
	s_mov_b64 s[4:5], s[12:13]
.LBB173_294:                            ; =>This Inner Loop Header: Depth=1
	s_clause 0x1
	s_load_b256 s[16:23], s[4:5], 0x4
	s_load_b128 s[8:11], s[4:5], 0x24
	s_load_b256 s[36:43], s[2:3], 0x0
	s_add_co_i32 s7, s7, 4
	s_wait_xcnt 0x0
	s_add_nc_u64 s[4:5], s[4:5], 48
	s_cmp_lg_u32 s0, s7
	s_add_nc_u64 s[2:3], s[2:3], 32
	s_wait_kmcnt 0x0
	v_mul_hi_u32 v17, s17, v15
	s_delay_alu instid0(VALU_DEP_1) | instskip(NEXT) | instid1(VALU_DEP_1)
	v_add_nc_u32_e32 v17, v15, v17
	v_lshrrev_b32_e32 v17, s18, v17
	s_delay_alu instid0(VALU_DEP_1) | instskip(NEXT) | instid1(VALU_DEP_1)
	v_mul_hi_u32 v18, s20, v17
	v_add_nc_u32_e32 v18, v17, v18
	s_delay_alu instid0(VALU_DEP_1) | instskip(NEXT) | instid1(VALU_DEP_1)
	v_lshrrev_b32_e32 v18, s21, v18
	v_mul_hi_u32 v19, s23, v18
	s_delay_alu instid0(VALU_DEP_1) | instskip(SKIP_1) | instid1(VALU_DEP_1)
	v_add_nc_u32_e32 v19, v18, v19
	v_mul_lo_u32 v20, v17, s16
	v_sub_nc_u32_e32 v15, v15, v20
	v_mul_lo_u32 v20, v18, s19
	s_delay_alu instid0(VALU_DEP_4) | instskip(NEXT) | instid1(VALU_DEP_3)
	v_lshrrev_b32_e32 v19, s8, v19
	v_mad_u32 v13, v15, s37, v13
	v_mad_u32 v12, v15, s36, v12
	s_delay_alu instid0(VALU_DEP_4) | instskip(NEXT) | instid1(VALU_DEP_4)
	v_sub_nc_u32_e32 v15, v17, v20
	v_mul_hi_u32 v21, s10, v19
	v_mul_lo_u32 v17, v19, s22
	s_delay_alu instid0(VALU_DEP_3) | instskip(SKIP_1) | instid1(VALU_DEP_4)
	v_mad_u32 v13, v15, s39, v13
	v_mad_u32 v12, v15, s38, v12
	v_add_nc_u32_e32 v20, v19, v21
	s_delay_alu instid0(VALU_DEP_1) | instskip(NEXT) | instid1(VALU_DEP_1)
	v_dual_sub_nc_u32 v17, v18, v17 :: v_dual_lshrrev_b32 v15, s11, v20
	v_mad_u32 v13, v17, s41, v13
	s_delay_alu instid0(VALU_DEP_4) | instskip(NEXT) | instid1(VALU_DEP_3)
	v_mad_u32 v12, v17, s40, v12
	v_mul_lo_u32 v18, v15, s9
	s_delay_alu instid0(VALU_DEP_1) | instskip(NEXT) | instid1(VALU_DEP_1)
	v_sub_nc_u32_e32 v17, v19, v18
	v_mad_u32 v13, v17, s43, v13
	s_delay_alu instid0(VALU_DEP_4)
	v_mad_u32 v12, v17, s42, v12
	s_cbranch_scc1 .LBB173_294
; %bb.295:
	s_and_b32 s4, s1, 3
	s_mov_b32 s1, 0
	s_cmp_eq_u32 s4, 0
	s_cbranch_scc0 .LBB173_299
	s_branch .LBB173_301
.LBB173_296:
	s_mov_b32 s6, -1
                                        ; implicit-def: $vgpr13
	s_branch .LBB173_301
.LBB173_297:
	v_dual_mov_b32 v13, 0 :: v_dual_mov_b32 v12, 0
	s_branch .LBB173_301
.LBB173_298:
	v_mov_b64_e32 v[12:13], 0
	v_mov_b32_e32 v15, v1
	s_mov_b32 s0, 0
	s_and_b32 s4, s1, 3
	s_mov_b32 s1, 0
	s_cmp_eq_u32 s4, 0
	s_cbranch_scc1 .LBB173_301
.LBB173_299:
	s_lshl_b32 s2, s0, 3
	s_mov_b32 s3, s1
	s_mul_u64 s[8:9], s[0:1], 12
	s_add_nc_u64 s[2:3], s[12:13], s[2:3]
	s_delay_alu instid0(SALU_CYCLE_1)
	s_add_nc_u64 s[0:1], s[2:3], 0xc4
	s_add_nc_u64 s[2:3], s[12:13], s[8:9]
.LBB173_300:                            ; =>This Inner Loop Header: Depth=1
	s_load_b96 s[8:10], s[2:3], 0x4
	s_add_co_i32 s4, s4, -1
	s_wait_xcnt 0x0
	s_add_nc_u64 s[2:3], s[2:3], 12
	s_cmp_lg_u32 s4, 0
	s_wait_kmcnt 0x0
	v_mul_hi_u32 v17, s9, v15
	s_delay_alu instid0(VALU_DEP_1) | instskip(NEXT) | instid1(VALU_DEP_1)
	v_add_nc_u32_e32 v17, v15, v17
	v_lshrrev_b32_e32 v17, s10, v17
	s_load_b64 s[10:11], s[0:1], 0x0
	s_wait_xcnt 0x0
	s_add_nc_u64 s[0:1], s[0:1], 8
	s_delay_alu instid0(VALU_DEP_1) | instskip(NEXT) | instid1(VALU_DEP_1)
	v_mul_lo_u32 v18, v17, s8
	v_sub_nc_u32_e32 v15, v15, v18
	s_wait_kmcnt 0x0
	s_delay_alu instid0(VALU_DEP_1)
	v_mad_u32 v13, v15, s11, v13
	v_mad_u32 v12, v15, s10, v12
	v_mov_b32_e32 v15, v17
	s_cbranch_scc1 .LBB173_300
.LBB173_301:
	s_and_not1_b32 vcc_lo, exec_lo, s6
	s_cbranch_vccnz .LBB173_304
; %bb.302:
	s_clause 0x1
	s_load_b96 s[0:2], s[12:13], 0x4
	s_load_b64 s[4:5], s[12:13], 0xc4
	s_cmp_lt_u32 s30, 2
	s_wait_kmcnt 0x0
	v_mul_hi_u32 v12, s1, v1
	s_delay_alu instid0(VALU_DEP_1) | instskip(NEXT) | instid1(VALU_DEP_1)
	v_add_nc_u32_e32 v12, v1, v12
	v_lshrrev_b32_e32 v15, s2, v12
	s_delay_alu instid0(VALU_DEP_1) | instskip(NEXT) | instid1(VALU_DEP_1)
	v_mul_lo_u32 v12, v15, s0
	v_sub_nc_u32_e32 v1, v1, v12
	s_delay_alu instid0(VALU_DEP_1)
	v_mul_lo_u32 v13, v1, s5
	v_mul_lo_u32 v12, v1, s4
	s_cbranch_scc1 .LBB173_304
; %bb.303:
	s_clause 0x1
	s_load_b96 s[0:2], s[12:13], 0x10
	s_load_b64 s[4:5], s[12:13], 0xcc
	s_wait_kmcnt 0x0
	v_mul_hi_u32 v1, s1, v15
	s_delay_alu instid0(VALU_DEP_1) | instskip(NEXT) | instid1(VALU_DEP_1)
	v_add_nc_u32_e32 v1, v15, v1
	v_lshrrev_b32_e32 v1, s2, v1
	s_delay_alu instid0(VALU_DEP_1) | instskip(NEXT) | instid1(VALU_DEP_1)
	v_mul_lo_u32 v1, v1, s0
	v_sub_nc_u32_e32 v1, v15, v1
	s_delay_alu instid0(VALU_DEP_1)
	v_mad_u32 v12, v1, s4, v12
	v_mad_u32 v13, v1, s5, v13
.LBB173_304:
	v_cmp_ne_u32_e32 vcc_lo, 1, v14
	v_add_nc_u32_e32 v15, 0x300, v0
	s_cbranch_vccnz .LBB173_310
; %bb.305:
	s_cmp_lg_u32 s30, 0
	s_mov_b32 s6, 0
	s_cbranch_scc0 .LBB173_311
; %bb.306:
	s_min_u32 s1, s31, 15
	s_delay_alu instid0(SALU_CYCLE_1)
	s_add_co_i32 s1, s1, 1
	s_cmp_eq_u32 s31, 2
	s_cbranch_scc1 .LBB173_312
; %bb.307:
	v_dual_mov_b32 v0, 0 :: v_dual_mov_b32 v1, 0
	v_mov_b32_e32 v17, v15
	s_and_b32 s0, s1, 28
	s_add_nc_u64 s[2:3], s[12:13], 0xc4
	s_mov_b32 s7, 0
	s_mov_b64 s[4:5], s[12:13]
.LBB173_308:                            ; =>This Inner Loop Header: Depth=1
	s_clause 0x1
	s_load_b256 s[16:23], s[4:5], 0x4
	s_load_b128 s[8:11], s[4:5], 0x24
	s_load_b256 s[36:43], s[2:3], 0x0
	s_add_co_i32 s7, s7, 4
	s_wait_xcnt 0x0
	s_add_nc_u64 s[4:5], s[4:5], 48
	s_cmp_lg_u32 s0, s7
	s_add_nc_u64 s[2:3], s[2:3], 32
	s_wait_kmcnt 0x0
	v_mul_hi_u32 v18, s17, v17
	s_delay_alu instid0(VALU_DEP_1) | instskip(NEXT) | instid1(VALU_DEP_1)
	v_add_nc_u32_e32 v18, v17, v18
	v_lshrrev_b32_e32 v18, s18, v18
	s_delay_alu instid0(VALU_DEP_1) | instskip(NEXT) | instid1(VALU_DEP_1)
	v_mul_hi_u32 v19, s20, v18
	v_add_nc_u32_e32 v19, v18, v19
	s_delay_alu instid0(VALU_DEP_1) | instskip(NEXT) | instid1(VALU_DEP_1)
	v_lshrrev_b32_e32 v19, s21, v19
	v_mul_hi_u32 v20, s23, v19
	s_delay_alu instid0(VALU_DEP_1) | instskip(SKIP_1) | instid1(VALU_DEP_1)
	v_add_nc_u32_e32 v20, v19, v20
	v_mul_lo_u32 v21, v18, s16
	v_sub_nc_u32_e32 v17, v17, v21
	v_mul_lo_u32 v21, v19, s19
	s_delay_alu instid0(VALU_DEP_4) | instskip(NEXT) | instid1(VALU_DEP_3)
	v_lshrrev_b32_e32 v20, s8, v20
	v_mad_u32 v1, v17, s37, v1
	v_mad_u32 v0, v17, s36, v0
	s_delay_alu instid0(VALU_DEP_4) | instskip(NEXT) | instid1(VALU_DEP_4)
	v_sub_nc_u32_e32 v17, v18, v21
	v_mul_hi_u32 v22, s10, v20
	v_mul_lo_u32 v18, v20, s22
	s_delay_alu instid0(VALU_DEP_3) | instskip(SKIP_1) | instid1(VALU_DEP_4)
	v_mad_u32 v1, v17, s39, v1
	v_mad_u32 v0, v17, s38, v0
	v_add_nc_u32_e32 v21, v20, v22
	s_delay_alu instid0(VALU_DEP_1) | instskip(NEXT) | instid1(VALU_DEP_1)
	v_dual_sub_nc_u32 v18, v19, v18 :: v_dual_lshrrev_b32 v17, s11, v21
	v_mad_u32 v1, v18, s41, v1
	s_delay_alu instid0(VALU_DEP_4) | instskip(NEXT) | instid1(VALU_DEP_3)
	v_mad_u32 v0, v18, s40, v0
	v_mul_lo_u32 v19, v17, s9
	s_delay_alu instid0(VALU_DEP_1) | instskip(NEXT) | instid1(VALU_DEP_1)
	v_sub_nc_u32_e32 v18, v20, v19
	v_mad_u32 v1, v18, s43, v1
	s_delay_alu instid0(VALU_DEP_4)
	v_mad_u32 v0, v18, s42, v0
	s_cbranch_scc1 .LBB173_308
; %bb.309:
	s_and_b32 s4, s1, 3
	s_mov_b32 s1, 0
	s_cmp_eq_u32 s4, 0
	s_cbranch_scc0 .LBB173_313
	s_branch .LBB173_315
.LBB173_310:
	s_mov_b32 s6, -1
                                        ; implicit-def: $vgpr1
	s_branch .LBB173_315
.LBB173_311:
	v_dual_mov_b32 v1, 0 :: v_dual_mov_b32 v0, 0
	s_branch .LBB173_315
.LBB173_312:
	v_mov_b64_e32 v[0:1], 0
	v_mov_b32_e32 v17, v15
	s_mov_b32 s0, 0
	s_and_b32 s4, s1, 3
	s_mov_b32 s1, 0
	s_cmp_eq_u32 s4, 0
	s_cbranch_scc1 .LBB173_315
.LBB173_313:
	s_lshl_b32 s2, s0, 3
	s_mov_b32 s3, s1
	s_mul_u64 s[8:9], s[0:1], 12
	s_add_nc_u64 s[2:3], s[12:13], s[2:3]
	s_delay_alu instid0(SALU_CYCLE_1)
	s_add_nc_u64 s[0:1], s[2:3], 0xc4
	s_add_nc_u64 s[2:3], s[12:13], s[8:9]
.LBB173_314:                            ; =>This Inner Loop Header: Depth=1
	s_load_b96 s[8:10], s[2:3], 0x4
	s_add_co_i32 s4, s4, -1
	s_wait_xcnt 0x0
	s_add_nc_u64 s[2:3], s[2:3], 12
	s_cmp_lg_u32 s4, 0
	s_wait_kmcnt 0x0
	v_mul_hi_u32 v18, s9, v17
	s_delay_alu instid0(VALU_DEP_1) | instskip(NEXT) | instid1(VALU_DEP_1)
	v_add_nc_u32_e32 v18, v17, v18
	v_lshrrev_b32_e32 v18, s10, v18
	s_load_b64 s[10:11], s[0:1], 0x0
	s_wait_xcnt 0x0
	s_add_nc_u64 s[0:1], s[0:1], 8
	s_delay_alu instid0(VALU_DEP_1) | instskip(NEXT) | instid1(VALU_DEP_1)
	v_mul_lo_u32 v19, v18, s8
	v_sub_nc_u32_e32 v17, v17, v19
	s_wait_kmcnt 0x0
	s_delay_alu instid0(VALU_DEP_1)
	v_mad_u32 v1, v17, s11, v1
	v_mad_u32 v0, v17, s10, v0
	v_mov_b32_e32 v17, v18
	s_cbranch_scc1 .LBB173_314
.LBB173_315:
	s_and_not1_b32 vcc_lo, exec_lo, s6
	s_cbranch_vccnz .LBB173_318
; %bb.316:
	s_clause 0x1
	s_load_b96 s[0:2], s[12:13], 0x4
	s_load_b64 s[4:5], s[12:13], 0xc4
	s_cmp_lt_u32 s30, 2
	s_wait_kmcnt 0x0
	v_mul_hi_u32 v0, s1, v15
	s_delay_alu instid0(VALU_DEP_1) | instskip(NEXT) | instid1(VALU_DEP_1)
	v_add_nc_u32_e32 v0, v15, v0
	v_lshrrev_b32_e32 v17, s2, v0
	s_delay_alu instid0(VALU_DEP_1) | instskip(NEXT) | instid1(VALU_DEP_1)
	v_mul_lo_u32 v0, v17, s0
	v_sub_nc_u32_e32 v0, v15, v0
	s_delay_alu instid0(VALU_DEP_1)
	v_mul_lo_u32 v1, v0, s5
	v_mul_lo_u32 v0, v0, s4
	s_cbranch_scc1 .LBB173_318
; %bb.317:
	s_clause 0x1
	s_load_b96 s[0:2], s[12:13], 0x10
	s_load_b64 s[4:5], s[12:13], 0xcc
	s_wait_kmcnt 0x0
	v_mul_hi_u32 v15, s1, v17
	s_delay_alu instid0(VALU_DEP_1) | instskip(NEXT) | instid1(VALU_DEP_1)
	v_add_nc_u32_e32 v15, v17, v15
	v_lshrrev_b32_e32 v15, s2, v15
	s_delay_alu instid0(VALU_DEP_1) | instskip(NEXT) | instid1(VALU_DEP_1)
	v_mul_lo_u32 v15, v15, s0
	v_sub_nc_u32_e32 v15, v17, v15
	s_delay_alu instid0(VALU_DEP_1)
	v_mad_u32 v0, v15, s4, v0
	v_mad_u32 v1, v15, s5, v1
.LBB173_318:
	v_cmp_ne_u32_e32 vcc_lo, 1, v14
	s_cbranch_vccnz .LBB173_324
; %bb.319:
	s_cmp_lg_u32 s30, 0
	s_mov_b32 s6, 0
	s_cbranch_scc0 .LBB173_325
; %bb.320:
	s_min_u32 s1, s31, 15
	s_delay_alu instid0(SALU_CYCLE_1)
	s_add_co_i32 s1, s1, 1
	s_cmp_eq_u32 s31, 2
	s_cbranch_scc1 .LBB173_326
; %bb.321:
	v_dual_mov_b32 v14, 0 :: v_dual_mov_b32 v15, 0
	v_mov_b32_e32 v17, v16
	s_and_b32 s0, s1, 28
	s_add_nc_u64 s[2:3], s[12:13], 0xc4
	s_mov_b32 s7, 0
	s_mov_b64 s[4:5], s[12:13]
.LBB173_322:                            ; =>This Inner Loop Header: Depth=1
	s_clause 0x1
	s_load_b256 s[16:23], s[4:5], 0x4
	s_load_b128 s[8:11], s[4:5], 0x24
	s_load_b256 s[36:43], s[2:3], 0x0
	s_add_co_i32 s7, s7, 4
	s_wait_xcnt 0x0
	s_add_nc_u64 s[4:5], s[4:5], 48
	s_cmp_lg_u32 s0, s7
	s_add_nc_u64 s[2:3], s[2:3], 32
	s_wait_kmcnt 0x0
	v_mul_hi_u32 v18, s17, v17
	s_delay_alu instid0(VALU_DEP_1) | instskip(NEXT) | instid1(VALU_DEP_1)
	v_add_nc_u32_e32 v18, v17, v18
	v_lshrrev_b32_e32 v18, s18, v18
	s_delay_alu instid0(VALU_DEP_1) | instskip(NEXT) | instid1(VALU_DEP_1)
	v_mul_hi_u32 v19, s20, v18
	v_add_nc_u32_e32 v19, v18, v19
	s_delay_alu instid0(VALU_DEP_1) | instskip(NEXT) | instid1(VALU_DEP_1)
	v_lshrrev_b32_e32 v19, s21, v19
	v_mul_hi_u32 v20, s23, v19
	s_delay_alu instid0(VALU_DEP_1) | instskip(SKIP_1) | instid1(VALU_DEP_1)
	v_add_nc_u32_e32 v20, v19, v20
	v_mul_lo_u32 v21, v18, s16
	v_sub_nc_u32_e32 v17, v17, v21
	v_mul_lo_u32 v21, v19, s19
	s_delay_alu instid0(VALU_DEP_4) | instskip(NEXT) | instid1(VALU_DEP_3)
	v_lshrrev_b32_e32 v20, s8, v20
	v_mad_u32 v15, v17, s37, v15
	v_mad_u32 v14, v17, s36, v14
	s_delay_alu instid0(VALU_DEP_4) | instskip(NEXT) | instid1(VALU_DEP_4)
	v_sub_nc_u32_e32 v17, v18, v21
	v_mul_hi_u32 v22, s10, v20
	v_mul_lo_u32 v18, v20, s22
	s_delay_alu instid0(VALU_DEP_3) | instskip(SKIP_1) | instid1(VALU_DEP_4)
	v_mad_u32 v15, v17, s39, v15
	v_mad_u32 v14, v17, s38, v14
	v_add_nc_u32_e32 v21, v20, v22
	s_delay_alu instid0(VALU_DEP_1) | instskip(NEXT) | instid1(VALU_DEP_1)
	v_dual_sub_nc_u32 v18, v19, v18 :: v_dual_lshrrev_b32 v17, s11, v21
	v_mad_u32 v15, v18, s41, v15
	s_delay_alu instid0(VALU_DEP_4) | instskip(NEXT) | instid1(VALU_DEP_3)
	v_mad_u32 v14, v18, s40, v14
	v_mul_lo_u32 v19, v17, s9
	s_delay_alu instid0(VALU_DEP_1) | instskip(NEXT) | instid1(VALU_DEP_1)
	v_sub_nc_u32_e32 v18, v20, v19
	v_mad_u32 v15, v18, s43, v15
	s_delay_alu instid0(VALU_DEP_4)
	v_mad_u32 v14, v18, s42, v14
	s_cbranch_scc1 .LBB173_322
; %bb.323:
	s_and_b32 s4, s1, 3
	s_mov_b32 s1, 0
	s_cmp_eq_u32 s4, 0
	s_cbranch_scc0 .LBB173_327
	s_branch .LBB173_329
.LBB173_324:
	s_mov_b32 s6, -1
                                        ; implicit-def: $vgpr15
	s_branch .LBB173_329
.LBB173_325:
	v_dual_mov_b32 v15, 0 :: v_dual_mov_b32 v14, 0
	s_branch .LBB173_329
.LBB173_326:
	v_mov_b64_e32 v[14:15], 0
	v_mov_b32_e32 v17, v16
	s_mov_b32 s0, 0
	s_and_b32 s4, s1, 3
	s_mov_b32 s1, 0
	s_cmp_eq_u32 s4, 0
	s_cbranch_scc1 .LBB173_329
.LBB173_327:
	s_lshl_b32 s2, s0, 3
	s_mov_b32 s3, s1
	s_mul_u64 s[8:9], s[0:1], 12
	s_add_nc_u64 s[2:3], s[12:13], s[2:3]
	s_delay_alu instid0(SALU_CYCLE_1)
	s_add_nc_u64 s[0:1], s[2:3], 0xc4
	s_add_nc_u64 s[2:3], s[12:13], s[8:9]
.LBB173_328:                            ; =>This Inner Loop Header: Depth=1
	s_load_b96 s[8:10], s[2:3], 0x4
	s_add_co_i32 s4, s4, -1
	s_wait_xcnt 0x0
	s_add_nc_u64 s[2:3], s[2:3], 12
	s_cmp_lg_u32 s4, 0
	s_wait_kmcnt 0x0
	v_mul_hi_u32 v18, s9, v17
	s_delay_alu instid0(VALU_DEP_1) | instskip(NEXT) | instid1(VALU_DEP_1)
	v_add_nc_u32_e32 v18, v17, v18
	v_lshrrev_b32_e32 v18, s10, v18
	s_load_b64 s[10:11], s[0:1], 0x0
	s_wait_xcnt 0x0
	s_add_nc_u64 s[0:1], s[0:1], 8
	s_delay_alu instid0(VALU_DEP_1) | instskip(NEXT) | instid1(VALU_DEP_1)
	v_mul_lo_u32 v19, v18, s8
	v_sub_nc_u32_e32 v17, v17, v19
	s_wait_kmcnt 0x0
	s_delay_alu instid0(VALU_DEP_1)
	v_mad_u32 v15, v17, s11, v15
	v_mad_u32 v14, v17, s10, v14
	v_mov_b32_e32 v17, v18
	s_cbranch_scc1 .LBB173_328
.LBB173_329:
	s_and_not1_b32 vcc_lo, exec_lo, s6
	s_cbranch_vccnz .LBB173_332
; %bb.330:
	s_clause 0x1
	s_load_b96 s[0:2], s[12:13], 0x4
	s_load_b64 s[4:5], s[12:13], 0xc4
	s_cmp_lt_u32 s30, 2
	s_wait_kmcnt 0x0
	v_mul_hi_u32 v14, s1, v16
	s_delay_alu instid0(VALU_DEP_1) | instskip(NEXT) | instid1(VALU_DEP_1)
	v_add_nc_u32_e32 v14, v16, v14
	v_lshrrev_b32_e32 v17, s2, v14
	s_delay_alu instid0(VALU_DEP_1) | instskip(NEXT) | instid1(VALU_DEP_1)
	v_mul_lo_u32 v14, v17, s0
	v_sub_nc_u32_e32 v14, v16, v14
	s_delay_alu instid0(VALU_DEP_1)
	v_mul_lo_u32 v15, v14, s5
	v_mul_lo_u32 v14, v14, s4
	s_cbranch_scc1 .LBB173_332
; %bb.331:
	s_clause 0x1
	s_load_b96 s[0:2], s[12:13], 0x10
	s_load_b64 s[4:5], s[12:13], 0xcc
	s_wait_kmcnt 0x0
	v_mul_hi_u32 v16, s1, v17
	s_delay_alu instid0(VALU_DEP_1) | instskip(NEXT) | instid1(VALU_DEP_1)
	v_add_nc_u32_e32 v16, v17, v16
	v_lshrrev_b32_e32 v16, s2, v16
	s_delay_alu instid0(VALU_DEP_1) | instskip(NEXT) | instid1(VALU_DEP_1)
	v_mul_lo_u32 v16, v16, s0
	v_sub_nc_u32_e32 v16, v17, v16
	s_delay_alu instid0(VALU_DEP_1)
	v_mad_u32 v14, v16, s4, v14
	v_mad_u32 v15, v16, s5, v15
.LBB173_332:
	s_clause 0x1
	s_load_b128 s[0:3], s[12:13], 0x148
	s_load_b64 s[4:5], s[12:13], 0x158
	s_mov_b32 s6, 0
	s_wait_kmcnt 0x0
	global_load_u8 v16, v3, s[2:3]
	s_cmp_lt_i32 s4, 1
	s_cbranch_scc1 .LBB173_335
; %bb.333:
	s_cmp_eq_u32 s4, 1
	s_cbranch_scc0 .LBB173_336
; %bb.334:
	s_wait_loadcnt 0x0
	v_and_b32_e32 v3, 0xff, v16
	s_and_b32 s7, s5, 0xff
	s_delay_alu instid0(VALU_DEP_1) | instid1(SALU_CYCLE_1)
	v_min_u16 v3, v3, s7
	s_mov_b32 s7, 0
	s_branch .LBB173_337
.LBB173_335:
	s_mov_b32 s7, 0
                                        ; implicit-def: $vgpr3
	s_cbranch_execnz .LBB173_338
	s_branch .LBB173_339
.LBB173_336:
	s_mov_b32 s7, -1
                                        ; implicit-def: $vgpr3
.LBB173_337:
	s_branch .LBB173_339
.LBB173_338:
	s_cmp_lg_u32 s4, 0
	s_mov_b32 s6, -1
	s_cselect_b32 s7, -1, 0
.LBB173_339:
	s_delay_alu instid0(SALU_CYCLE_1)
	s_and_not1_b32 vcc_lo, exec_lo, s7
	s_cbranch_vccz .LBB173_344
; %bb.340:
	s_and_not1_b32 vcc_lo, exec_lo, s6
	s_cbranch_vccz .LBB173_345
.LBB173_341:
	s_wait_loadcnt 0x0
	global_load_u8 v16, v5, s[2:3]
	s_cmp_lt_i32 s4, 1
	s_mov_b32 s6, 0
	s_cbranch_scc1 .LBB173_346
.LBB173_342:
	s_cmp_eq_u32 s4, 1
	s_cbranch_scc0 .LBB173_347
; %bb.343:
	s_wait_loadcnt 0x0
	v_and_b32_e32 v5, 0xff, v16
	s_and_b32 s7, s5, 0xff
	s_delay_alu instid0(VALU_DEP_1) | instid1(SALU_CYCLE_1)
	v_min_u16 v5, v5, s7
	s_mov_b32 s7, 0
	s_branch .LBB173_348
.LBB173_344:
	s_wait_xcnt 0x0
	v_mov_b32_e32 v3, 0
	s_wait_loadcnt 0x0
	v_and_b32_e32 v17, 0xff, v16
	s_and_b32 s6, s5, 0xff
	global_load_u8 v3, v3, s[12:13] offset:349
	v_max_u16 v17, v17, s6
	s_wait_loadcnt 0x0
	s_delay_alu instid0(VALU_DEP_1)
	v_min_u16 v3, v17, v3
	s_cbranch_execnz .LBB173_341
.LBB173_345:
	s_wait_loadcnt 0x0
	v_and_b32_e32 v3, 0xff, v16
	s_and_b32 s6, s5, 0xff
	s_delay_alu instid0(VALU_DEP_1) | instid1(SALU_CYCLE_1)
	v_max_u16 v3, v3, s6
	global_load_u8 v16, v5, s[2:3]
	s_cmp_lt_i32 s4, 1
	s_mov_b32 s6, 0
	s_cbranch_scc0 .LBB173_342
.LBB173_346:
	s_mov_b32 s7, 0
                                        ; implicit-def: $vgpr5
	s_cbranch_execnz .LBB173_349
	s_branch .LBB173_350
.LBB173_347:
	s_mov_b32 s7, -1
                                        ; implicit-def: $vgpr5
.LBB173_348:
	s_branch .LBB173_350
.LBB173_349:
	s_cmp_lg_u32 s4, 0
	s_mov_b32 s6, -1
	s_cselect_b32 s7, -1, 0
.LBB173_350:
	s_delay_alu instid0(SALU_CYCLE_1)
	s_and_not1_b32 vcc_lo, exec_lo, s7
	s_cbranch_vccz .LBB173_355
; %bb.351:
	s_and_not1_b32 vcc_lo, exec_lo, s6
	s_cbranch_vccz .LBB173_356
.LBB173_352:
	s_wait_loadcnt 0x0
	global_load_u8 v16, v7, s[2:3]
	s_cmp_lt_i32 s4, 1
	s_mov_b32 s6, 0
	s_cbranch_scc1 .LBB173_357
.LBB173_353:
	s_cmp_eq_u32 s4, 1
	s_cbranch_scc0 .LBB173_358
; %bb.354:
	s_wait_loadcnt 0x0
	v_and_b32_e32 v7, 0xff, v16
	s_and_b32 s7, s5, 0xff
	s_delay_alu instid0(VALU_DEP_1) | instid1(SALU_CYCLE_1)
	v_min_u16 v7, v7, s7
	s_mov_b32 s7, 0
	s_branch .LBB173_359
.LBB173_355:
	s_wait_xcnt 0x0
	v_mov_b32_e32 v5, 0
	s_wait_loadcnt 0x0
	v_and_b32_e32 v17, 0xff, v16
	s_and_b32 s6, s5, 0xff
	global_load_u8 v5, v5, s[12:13] offset:349
	v_max_u16 v17, v17, s6
	s_wait_loadcnt 0x0
	s_delay_alu instid0(VALU_DEP_1)
	v_min_u16 v5, v17, v5
	s_cbranch_execnz .LBB173_352
.LBB173_356:
	s_wait_loadcnt 0x0
	v_and_b32_e32 v5, 0xff, v16
	s_and_b32 s6, s5, 0xff
	s_delay_alu instid0(VALU_DEP_1) | instid1(SALU_CYCLE_1)
	v_max_u16 v5, v5, s6
	global_load_u8 v16, v7, s[2:3]
	s_cmp_lt_i32 s4, 1
	s_mov_b32 s6, 0
	s_cbranch_scc0 .LBB173_353
.LBB173_357:
	s_mov_b32 s7, 0
                                        ; implicit-def: $vgpr7
	s_cbranch_execnz .LBB173_360
	s_branch .LBB173_361
.LBB173_358:
	s_mov_b32 s7, -1
                                        ; implicit-def: $vgpr7
.LBB173_359:
	s_branch .LBB173_361
.LBB173_360:
	s_cmp_lg_u32 s4, 0
	s_mov_b32 s6, -1
	s_cselect_b32 s7, -1, 0
.LBB173_361:
	s_delay_alu instid0(SALU_CYCLE_1)
	s_and_not1_b32 vcc_lo, exec_lo, s7
	s_cbranch_vccz .LBB173_366
; %bb.362:
	s_and_not1_b32 vcc_lo, exec_lo, s6
	s_cbranch_vccz .LBB173_367
.LBB173_363:
	s_wait_loadcnt 0x0
	global_load_u8 v16, v9, s[2:3]
	s_cmp_lt_i32 s4, 1
	s_mov_b32 s6, 0
	s_cbranch_scc1 .LBB173_368
.LBB173_364:
	s_cmp_eq_u32 s4, 1
	s_cbranch_scc0 .LBB173_369
; %bb.365:
	s_wait_loadcnt 0x0
	v_and_b32_e32 v9, 0xff, v16
	s_and_b32 s7, s5, 0xff
	s_delay_alu instid0(VALU_DEP_1) | instid1(SALU_CYCLE_1)
	v_min_u16 v9, v9, s7
	s_mov_b32 s7, 0
	s_branch .LBB173_370
.LBB173_366:
	s_wait_xcnt 0x0
	v_mov_b32_e32 v7, 0
	s_wait_loadcnt 0x0
	v_and_b32_e32 v17, 0xff, v16
	s_and_b32 s6, s5, 0xff
	global_load_u8 v7, v7, s[12:13] offset:349
	v_max_u16 v17, v17, s6
	s_wait_loadcnt 0x0
	s_delay_alu instid0(VALU_DEP_1)
	v_min_u16 v7, v17, v7
	s_cbranch_execnz .LBB173_363
.LBB173_367:
	s_wait_loadcnt 0x0
	v_and_b32_e32 v7, 0xff, v16
	s_and_b32 s6, s5, 0xff
	s_delay_alu instid0(VALU_DEP_1) | instid1(SALU_CYCLE_1)
	v_max_u16 v7, v7, s6
	global_load_u8 v16, v9, s[2:3]
	s_cmp_lt_i32 s4, 1
	s_mov_b32 s6, 0
	s_cbranch_scc0 .LBB173_364
.LBB173_368:
	s_mov_b32 s7, 0
                                        ; implicit-def: $vgpr9
	s_cbranch_execnz .LBB173_371
	s_branch .LBB173_372
.LBB173_369:
	s_mov_b32 s7, -1
                                        ; implicit-def: $vgpr9
.LBB173_370:
	s_branch .LBB173_372
.LBB173_371:
	s_cmp_lg_u32 s4, 0
	s_mov_b32 s6, -1
	s_cselect_b32 s7, -1, 0
.LBB173_372:
	s_delay_alu instid0(SALU_CYCLE_1)
	s_and_not1_b32 vcc_lo, exec_lo, s7
	s_cbranch_vccz .LBB173_377
; %bb.373:
	s_and_not1_b32 vcc_lo, exec_lo, s6
	s_cbranch_vccz .LBB173_378
.LBB173_374:
	s_wait_loadcnt 0x0
	global_load_u8 v16, v11, s[2:3]
	s_cmp_lt_i32 s4, 1
	s_mov_b32 s6, 0
	s_cbranch_scc1 .LBB173_379
.LBB173_375:
	s_cmp_eq_u32 s4, 1
	s_cbranch_scc0 .LBB173_380
; %bb.376:
	s_wait_loadcnt 0x0
	v_and_b32_e32 v11, 0xff, v16
	s_and_b32 s7, s5, 0xff
	s_delay_alu instid0(VALU_DEP_1) | instid1(SALU_CYCLE_1)
	v_min_u16 v11, v11, s7
	s_mov_b32 s7, 0
	s_branch .LBB173_381
.LBB173_377:
	s_wait_xcnt 0x0
	v_mov_b32_e32 v9, 0
	s_wait_loadcnt 0x0
	v_and_b32_e32 v17, 0xff, v16
	s_and_b32 s6, s5, 0xff
	global_load_u8 v9, v9, s[12:13] offset:349
	v_max_u16 v17, v17, s6
	s_wait_loadcnt 0x0
	s_delay_alu instid0(VALU_DEP_1)
	v_min_u16 v9, v17, v9
	s_cbranch_execnz .LBB173_374
.LBB173_378:
	s_wait_loadcnt 0x0
	v_and_b32_e32 v9, 0xff, v16
	s_and_b32 s6, s5, 0xff
	s_delay_alu instid0(VALU_DEP_1) | instid1(SALU_CYCLE_1)
	v_max_u16 v9, v9, s6
	global_load_u8 v16, v11, s[2:3]
	s_cmp_lt_i32 s4, 1
	s_mov_b32 s6, 0
	s_cbranch_scc0 .LBB173_375
.LBB173_379:
	s_mov_b32 s7, 0
                                        ; implicit-def: $vgpr11
	s_cbranch_execnz .LBB173_382
	s_branch .LBB173_383
.LBB173_380:
	s_mov_b32 s7, -1
                                        ; implicit-def: $vgpr11
.LBB173_381:
	s_branch .LBB173_383
.LBB173_382:
	s_cmp_lg_u32 s4, 0
	s_mov_b32 s6, -1
	s_cselect_b32 s7, -1, 0
.LBB173_383:
	s_delay_alu instid0(SALU_CYCLE_1)
	s_and_not1_b32 vcc_lo, exec_lo, s7
	s_cbranch_vccz .LBB173_388
; %bb.384:
	s_and_not1_b32 vcc_lo, exec_lo, s6
	s_cbranch_vccz .LBB173_389
.LBB173_385:
	s_wait_loadcnt 0x0
	global_load_u8 v16, v13, s[2:3]
	s_cmp_lt_i32 s4, 1
	s_mov_b32 s6, 0
	s_cbranch_scc1 .LBB173_390
.LBB173_386:
	s_cmp_eq_u32 s4, 1
	s_cbranch_scc0 .LBB173_391
; %bb.387:
	s_wait_loadcnt 0x0
	v_and_b32_e32 v13, 0xff, v16
	s_and_b32 s7, s5, 0xff
	s_delay_alu instid0(VALU_DEP_1) | instid1(SALU_CYCLE_1)
	v_min_u16 v13, v13, s7
	s_mov_b32 s7, 0
	s_branch .LBB173_392
.LBB173_388:
	s_wait_xcnt 0x0
	v_mov_b32_e32 v11, 0
	s_wait_loadcnt 0x0
	v_and_b32_e32 v17, 0xff, v16
	s_and_b32 s6, s5, 0xff
	global_load_u8 v11, v11, s[12:13] offset:349
	v_max_u16 v17, v17, s6
	s_wait_loadcnt 0x0
	s_delay_alu instid0(VALU_DEP_1)
	v_min_u16 v11, v17, v11
	s_cbranch_execnz .LBB173_385
.LBB173_389:
	s_wait_loadcnt 0x0
	v_and_b32_e32 v11, 0xff, v16
	s_and_b32 s6, s5, 0xff
	s_delay_alu instid0(VALU_DEP_1) | instid1(SALU_CYCLE_1)
	v_max_u16 v11, v11, s6
	global_load_u8 v16, v13, s[2:3]
	s_cmp_lt_i32 s4, 1
	s_mov_b32 s6, 0
	s_cbranch_scc0 .LBB173_386
.LBB173_390:
	s_mov_b32 s7, 0
                                        ; implicit-def: $vgpr13
	s_cbranch_execnz .LBB173_393
	s_branch .LBB173_394
.LBB173_391:
	s_mov_b32 s7, -1
                                        ; implicit-def: $vgpr13
.LBB173_392:
	s_branch .LBB173_394
.LBB173_393:
	s_cmp_lg_u32 s4, 0
	s_mov_b32 s6, -1
	s_cselect_b32 s7, -1, 0
.LBB173_394:
	s_delay_alu instid0(SALU_CYCLE_1)
	s_and_not1_b32 vcc_lo, exec_lo, s7
	s_cbranch_vccz .LBB173_399
; %bb.395:
	s_and_not1_b32 vcc_lo, exec_lo, s6
	s_cbranch_vccz .LBB173_400
.LBB173_396:
	s_wait_loadcnt 0x0
	global_load_u8 v16, v1, s[2:3]
	s_cmp_lt_i32 s4, 1
	s_mov_b32 s6, 0
	s_cbranch_scc1 .LBB173_401
.LBB173_397:
	s_cmp_eq_u32 s4, 1
	s_cbranch_scc0 .LBB173_402
; %bb.398:
	s_wait_loadcnt 0x0
	v_and_b32_e32 v1, 0xff, v16
	s_and_b32 s7, s5, 0xff
	s_delay_alu instid0(VALU_DEP_1) | instid1(SALU_CYCLE_1)
	v_min_u16 v1, v1, s7
	s_mov_b32 s7, 0
	s_branch .LBB173_403
.LBB173_399:
	s_wait_xcnt 0x0
	v_mov_b32_e32 v13, 0
	s_wait_loadcnt 0x0
	v_and_b32_e32 v17, 0xff, v16
	s_and_b32 s6, s5, 0xff
	global_load_u8 v13, v13, s[12:13] offset:349
	v_max_u16 v17, v17, s6
	s_wait_loadcnt 0x0
	s_delay_alu instid0(VALU_DEP_1)
	v_min_u16 v13, v17, v13
	s_cbranch_execnz .LBB173_396
.LBB173_400:
	s_wait_loadcnt 0x0
	v_and_b32_e32 v13, 0xff, v16
	s_and_b32 s6, s5, 0xff
	s_delay_alu instid0(VALU_DEP_1) | instid1(SALU_CYCLE_1)
	v_max_u16 v13, v13, s6
	global_load_u8 v16, v1, s[2:3]
	s_cmp_lt_i32 s4, 1
	s_mov_b32 s6, 0
	s_cbranch_scc0 .LBB173_397
.LBB173_401:
	s_mov_b32 s7, 0
                                        ; implicit-def: $vgpr1
	s_cbranch_execnz .LBB173_404
	s_branch .LBB173_405
.LBB173_402:
	s_mov_b32 s7, -1
                                        ; implicit-def: $vgpr1
.LBB173_403:
	s_branch .LBB173_405
.LBB173_404:
	s_cmp_lg_u32 s4, 0
	s_mov_b32 s6, -1
	s_cselect_b32 s7, -1, 0
.LBB173_405:
	s_delay_alu instid0(SALU_CYCLE_1)
	s_and_not1_b32 vcc_lo, exec_lo, s7
	s_cbranch_vccz .LBB173_410
; %bb.406:
	s_and_not1_b32 vcc_lo, exec_lo, s6
	s_cbranch_vccz .LBB173_411
.LBB173_407:
	global_load_u8 v15, v15, s[2:3]
	s_cmp_lt_i32 s4, 1
	s_wait_xcnt 0x0
	s_mov_b32 s2, 0
	s_cbranch_scc1 .LBB173_412
.LBB173_408:
	s_cmp_eq_u32 s4, 1
	s_cbranch_scc0 .LBB173_413
; %bb.409:
	s_wait_loadcnt 0x0
	v_and_b32_e32 v16, 0xff, v15
	s_and_b32 s3, s5, 0xff
	s_delay_alu instid0(VALU_DEP_1) | instid1(SALU_CYCLE_1)
	v_min_u16 v16, v16, s3
	s_mov_b32 s3, 0
	s_branch .LBB173_414
.LBB173_410:
	s_wait_xcnt 0x0
	v_mov_b32_e32 v1, 0
	s_wait_loadcnt 0x0
	v_and_b32_e32 v17, 0xff, v16
	s_and_b32 s6, s5, 0xff
	global_load_u8 v1, v1, s[12:13] offset:349
	v_max_u16 v17, v17, s6
	s_wait_loadcnt 0x0
	s_delay_alu instid0(VALU_DEP_1)
	v_min_u16 v1, v17, v1
	s_cbranch_execnz .LBB173_407
.LBB173_411:
	s_wait_loadcnt 0x0
	v_and_b32_e32 v1, 0xff, v16
	s_and_b32 s6, s5, 0xff
	s_delay_alu instid0(VALU_DEP_1) | instid1(SALU_CYCLE_1)
	v_max_u16 v1, v1, s6
	global_load_u8 v15, v15, s[2:3]
	s_cmp_lt_i32 s4, 1
	s_wait_xcnt 0x0
	s_mov_b32 s2, 0
	s_cbranch_scc0 .LBB173_408
.LBB173_412:
	s_mov_b32 s3, 0
                                        ; implicit-def: $vgpr16
	s_cbranch_execnz .LBB173_415
	s_branch .LBB173_416
.LBB173_413:
	s_mov_b32 s3, -1
                                        ; implicit-def: $vgpr16
.LBB173_414:
	s_branch .LBB173_416
.LBB173_415:
	s_cmp_lg_u32 s4, 0
	s_mov_b32 s2, -1
	s_cselect_b32 s3, -1, 0
.LBB173_416:
	s_delay_alu instid0(SALU_CYCLE_1)
	s_and_not1_b32 vcc_lo, exec_lo, s3
	s_cbranch_vccz .LBB173_420
; %bb.417:
	s_and_not1_b32 vcc_lo, exec_lo, s2
	s_cbranch_vccnz .LBB173_419
.LBB173_418:
	s_wait_loadcnt 0x0
	v_and_b32_e32 v15, 0xff, v15
	s_and_b32 s2, s5, 0xff
	s_delay_alu instid0(VALU_DEP_1) | instid1(SALU_CYCLE_1)
	v_max_u16 v16, v15, s2
.LBB173_419:
	s_clause 0x6
	global_store_b8 v2, v3, s[0:1]
	global_store_b8 v4, v5, s[0:1]
	;; [unrolled: 1-line block ×7, first 2 shown]
	s_wait_loadcnt 0x1
	global_store_b8 v14, v16, s[0:1]
	s_endpgm
.LBB173_420:
	s_wait_loadcnt 0x1
	v_mov_b32_e32 v16, 0
	s_wait_loadcnt 0x0
	v_and_b32_e32 v17, 0xff, v15
	s_and_b32 s2, s5, 0xff
	global_load_u8 v16, v16, s[12:13] offset:349
	v_max_u16 v17, v17, s2
	s_wait_loadcnt 0x0
	s_delay_alu instid0(VALU_DEP_1)
	v_min_u16 v16, v17, v16
	s_cbranch_execz .LBB173_418
	s_branch .LBB173_419
	.section	.rodata,"a",@progbits
	.p2align	6, 0x0
	.amdhsa_kernel _ZN2at6native32elementwise_kernel_manual_unrollILi128ELi8EZNS0_22gpu_kernel_impl_nocastIZZZNS0_12_GLOBAL__N_119launch_clamp_scalarERNS_18TensorIteratorBaseEN3c106ScalarES7_NS0_6detail11ClampLimitsEENKUlvE_clEvENKUlvE_clEvEUlhE_EEvS5_RKT_EUlibE_EEviT1_
		.amdhsa_group_segment_fixed_size 0
		.amdhsa_private_segment_fixed_size 0
		.amdhsa_kernarg_size 360
		.amdhsa_user_sgpr_count 2
		.amdhsa_user_sgpr_dispatch_ptr 0
		.amdhsa_user_sgpr_queue_ptr 0
		.amdhsa_user_sgpr_kernarg_segment_ptr 1
		.amdhsa_user_sgpr_dispatch_id 0
		.amdhsa_user_sgpr_kernarg_preload_length 0
		.amdhsa_user_sgpr_kernarg_preload_offset 0
		.amdhsa_user_sgpr_private_segment_size 0
		.amdhsa_wavefront_size32 1
		.amdhsa_uses_dynamic_stack 0
		.amdhsa_enable_private_segment 0
		.amdhsa_system_sgpr_workgroup_id_x 1
		.amdhsa_system_sgpr_workgroup_id_y 0
		.amdhsa_system_sgpr_workgroup_id_z 0
		.amdhsa_system_sgpr_workgroup_info 0
		.amdhsa_system_vgpr_workitem_id 0
		.amdhsa_next_free_vgpr 23
		.amdhsa_next_free_sgpr 60
		.amdhsa_named_barrier_count 0
		.amdhsa_reserve_vcc 1
		.amdhsa_float_round_mode_32 0
		.amdhsa_float_round_mode_16_64 0
		.amdhsa_float_denorm_mode_32 3
		.amdhsa_float_denorm_mode_16_64 3
		.amdhsa_fp16_overflow 0
		.amdhsa_memory_ordered 1
		.amdhsa_forward_progress 1
		.amdhsa_inst_pref_size 123
		.amdhsa_round_robin_scheduling 0
		.amdhsa_exception_fp_ieee_invalid_op 0
		.amdhsa_exception_fp_denorm_src 0
		.amdhsa_exception_fp_ieee_div_zero 0
		.amdhsa_exception_fp_ieee_overflow 0
		.amdhsa_exception_fp_ieee_underflow 0
		.amdhsa_exception_fp_ieee_inexact 0
		.amdhsa_exception_int_div_zero 0
	.end_amdhsa_kernel
	.section	.text._ZN2at6native32elementwise_kernel_manual_unrollILi128ELi8EZNS0_22gpu_kernel_impl_nocastIZZZNS0_12_GLOBAL__N_119launch_clamp_scalarERNS_18TensorIteratorBaseEN3c106ScalarES7_NS0_6detail11ClampLimitsEENKUlvE_clEvENKUlvE_clEvEUlhE_EEvS5_RKT_EUlibE_EEviT1_,"axG",@progbits,_ZN2at6native32elementwise_kernel_manual_unrollILi128ELi8EZNS0_22gpu_kernel_impl_nocastIZZZNS0_12_GLOBAL__N_119launch_clamp_scalarERNS_18TensorIteratorBaseEN3c106ScalarES7_NS0_6detail11ClampLimitsEENKUlvE_clEvENKUlvE_clEvEUlhE_EEvS5_RKT_EUlibE_EEviT1_,comdat
.Lfunc_end173:
	.size	_ZN2at6native32elementwise_kernel_manual_unrollILi128ELi8EZNS0_22gpu_kernel_impl_nocastIZZZNS0_12_GLOBAL__N_119launch_clamp_scalarERNS_18TensorIteratorBaseEN3c106ScalarES7_NS0_6detail11ClampLimitsEENKUlvE_clEvENKUlvE_clEvEUlhE_EEvS5_RKT_EUlibE_EEviT1_, .Lfunc_end173-_ZN2at6native32elementwise_kernel_manual_unrollILi128ELi8EZNS0_22gpu_kernel_impl_nocastIZZZNS0_12_GLOBAL__N_119launch_clamp_scalarERNS_18TensorIteratorBaseEN3c106ScalarES7_NS0_6detail11ClampLimitsEENKUlvE_clEvENKUlvE_clEvEUlhE_EEvS5_RKT_EUlibE_EEviT1_
                                        ; -- End function
	.set _ZN2at6native32elementwise_kernel_manual_unrollILi128ELi8EZNS0_22gpu_kernel_impl_nocastIZZZNS0_12_GLOBAL__N_119launch_clamp_scalarERNS_18TensorIteratorBaseEN3c106ScalarES7_NS0_6detail11ClampLimitsEENKUlvE_clEvENKUlvE_clEvEUlhE_EEvS5_RKT_EUlibE_EEviT1_.num_vgpr, 23
	.set _ZN2at6native32elementwise_kernel_manual_unrollILi128ELi8EZNS0_22gpu_kernel_impl_nocastIZZZNS0_12_GLOBAL__N_119launch_clamp_scalarERNS_18TensorIteratorBaseEN3c106ScalarES7_NS0_6detail11ClampLimitsEENKUlvE_clEvENKUlvE_clEvEUlhE_EEvS5_RKT_EUlibE_EEviT1_.num_agpr, 0
	.set _ZN2at6native32elementwise_kernel_manual_unrollILi128ELi8EZNS0_22gpu_kernel_impl_nocastIZZZNS0_12_GLOBAL__N_119launch_clamp_scalarERNS_18TensorIteratorBaseEN3c106ScalarES7_NS0_6detail11ClampLimitsEENKUlvE_clEvENKUlvE_clEvEUlhE_EEvS5_RKT_EUlibE_EEviT1_.numbered_sgpr, 60
	.set _ZN2at6native32elementwise_kernel_manual_unrollILi128ELi8EZNS0_22gpu_kernel_impl_nocastIZZZNS0_12_GLOBAL__N_119launch_clamp_scalarERNS_18TensorIteratorBaseEN3c106ScalarES7_NS0_6detail11ClampLimitsEENKUlvE_clEvENKUlvE_clEvEUlhE_EEvS5_RKT_EUlibE_EEviT1_.num_named_barrier, 0
	.set _ZN2at6native32elementwise_kernel_manual_unrollILi128ELi8EZNS0_22gpu_kernel_impl_nocastIZZZNS0_12_GLOBAL__N_119launch_clamp_scalarERNS_18TensorIteratorBaseEN3c106ScalarES7_NS0_6detail11ClampLimitsEENKUlvE_clEvENKUlvE_clEvEUlhE_EEvS5_RKT_EUlibE_EEviT1_.private_seg_size, 0
	.set _ZN2at6native32elementwise_kernel_manual_unrollILi128ELi8EZNS0_22gpu_kernel_impl_nocastIZZZNS0_12_GLOBAL__N_119launch_clamp_scalarERNS_18TensorIteratorBaseEN3c106ScalarES7_NS0_6detail11ClampLimitsEENKUlvE_clEvENKUlvE_clEvEUlhE_EEvS5_RKT_EUlibE_EEviT1_.uses_vcc, 1
	.set _ZN2at6native32elementwise_kernel_manual_unrollILi128ELi8EZNS0_22gpu_kernel_impl_nocastIZZZNS0_12_GLOBAL__N_119launch_clamp_scalarERNS_18TensorIteratorBaseEN3c106ScalarES7_NS0_6detail11ClampLimitsEENKUlvE_clEvENKUlvE_clEvEUlhE_EEvS5_RKT_EUlibE_EEviT1_.uses_flat_scratch, 0
	.set _ZN2at6native32elementwise_kernel_manual_unrollILi128ELi8EZNS0_22gpu_kernel_impl_nocastIZZZNS0_12_GLOBAL__N_119launch_clamp_scalarERNS_18TensorIteratorBaseEN3c106ScalarES7_NS0_6detail11ClampLimitsEENKUlvE_clEvENKUlvE_clEvEUlhE_EEvS5_RKT_EUlibE_EEviT1_.has_dyn_sized_stack, 0
	.set _ZN2at6native32elementwise_kernel_manual_unrollILi128ELi8EZNS0_22gpu_kernel_impl_nocastIZZZNS0_12_GLOBAL__N_119launch_clamp_scalarERNS_18TensorIteratorBaseEN3c106ScalarES7_NS0_6detail11ClampLimitsEENKUlvE_clEvENKUlvE_clEvEUlhE_EEvS5_RKT_EUlibE_EEviT1_.has_recursion, 0
	.set _ZN2at6native32elementwise_kernel_manual_unrollILi128ELi8EZNS0_22gpu_kernel_impl_nocastIZZZNS0_12_GLOBAL__N_119launch_clamp_scalarERNS_18TensorIteratorBaseEN3c106ScalarES7_NS0_6detail11ClampLimitsEENKUlvE_clEvENKUlvE_clEvEUlhE_EEvS5_RKT_EUlibE_EEviT1_.has_indirect_call, 0
	.section	.AMDGPU.csdata,"",@progbits
; Kernel info:
; codeLenInByte = 15620
; TotalNumSgprs: 62
; NumVgprs: 23
; ScratchSize: 0
; MemoryBound: 0
; FloatMode: 240
; IeeeMode: 1
; LDSByteSize: 0 bytes/workgroup (compile time only)
; SGPRBlocks: 0
; VGPRBlocks: 1
; NumSGPRsForWavesPerEU: 62
; NumVGPRsForWavesPerEU: 23
; NamedBarCnt: 0
; Occupancy: 16
; WaveLimiterHint : 1
; COMPUTE_PGM_RSRC2:SCRATCH_EN: 0
; COMPUTE_PGM_RSRC2:USER_SGPR: 2
; COMPUTE_PGM_RSRC2:TRAP_HANDLER: 0
; COMPUTE_PGM_RSRC2:TGID_X_EN: 1
; COMPUTE_PGM_RSRC2:TGID_Y_EN: 0
; COMPUTE_PGM_RSRC2:TGID_Z_EN: 0
; COMPUTE_PGM_RSRC2:TIDIG_COMP_CNT: 0
	.section	.text._ZN2at6native32elementwise_kernel_manual_unrollILi128ELi4EZNS0_15gpu_kernel_implIZZZNS0_12_GLOBAL__N_119launch_clamp_scalarERNS_18TensorIteratorBaseEN3c106ScalarES7_NS0_6detail11ClampLimitsEENKUlvE_clEvENKUlvE_clEvEUlhE_EEvS5_RKT_EUlibE_EEviT1_,"axG",@progbits,_ZN2at6native32elementwise_kernel_manual_unrollILi128ELi4EZNS0_15gpu_kernel_implIZZZNS0_12_GLOBAL__N_119launch_clamp_scalarERNS_18TensorIteratorBaseEN3c106ScalarES7_NS0_6detail11ClampLimitsEENKUlvE_clEvENKUlvE_clEvEUlhE_EEvS5_RKT_EUlibE_EEviT1_,comdat
	.globl	_ZN2at6native32elementwise_kernel_manual_unrollILi128ELi4EZNS0_15gpu_kernel_implIZZZNS0_12_GLOBAL__N_119launch_clamp_scalarERNS_18TensorIteratorBaseEN3c106ScalarES7_NS0_6detail11ClampLimitsEENKUlvE_clEvENKUlvE_clEvEUlhE_EEvS5_RKT_EUlibE_EEviT1_ ; -- Begin function _ZN2at6native32elementwise_kernel_manual_unrollILi128ELi4EZNS0_15gpu_kernel_implIZZZNS0_12_GLOBAL__N_119launch_clamp_scalarERNS_18TensorIteratorBaseEN3c106ScalarES7_NS0_6detail11ClampLimitsEENKUlvE_clEvENKUlvE_clEvEUlhE_EEvS5_RKT_EUlibE_EEviT1_
	.p2align	8
	.type	_ZN2at6native32elementwise_kernel_manual_unrollILi128ELi4EZNS0_15gpu_kernel_implIZZZNS0_12_GLOBAL__N_119launch_clamp_scalarERNS_18TensorIteratorBaseEN3c106ScalarES7_NS0_6detail11ClampLimitsEENKUlvE_clEvENKUlvE_clEvEUlhE_EEvS5_RKT_EUlibE_EEviT1_,@function
_ZN2at6native32elementwise_kernel_manual_unrollILi128ELi4EZNS0_15gpu_kernel_implIZZZNS0_12_GLOBAL__N_119launch_clamp_scalarERNS_18TensorIteratorBaseEN3c106ScalarES7_NS0_6detail11ClampLimitsEENKUlvE_clEvENKUlvE_clEvEUlhE_EEvS5_RKT_EUlibE_EEviT1_: ; @_ZN2at6native32elementwise_kernel_manual_unrollILi128ELi4EZNS0_15gpu_kernel_implIZZZNS0_12_GLOBAL__N_119launch_clamp_scalarERNS_18TensorIteratorBaseEN3c106ScalarES7_NS0_6detail11ClampLimitsEENKUlvE_clEvENKUlvE_clEvEUlhE_EEvS5_RKT_EUlibE_EEviT1_
; %bb.0:
	s_clause 0x1
	s_load_b256 s[4:11], s[0:1], 0x8
	s_load_b32 s2, s[0:1], 0x28
	s_bfe_u32 s12, ttmp6, 0x4000c
	s_load_b32 s15, s[0:1], 0x0
	s_add_co_i32 s12, s12, 1
	s_and_b32 s3, ttmp6, 15
	s_mul_i32 s13, ttmp9, s12
	s_wait_xcnt 0x0
	s_getreg_b32 s0, hwreg(HW_REG_IB_STS2, 6, 4)
	s_add_co_i32 s3, s3, s13
	s_mov_b32 s14, 0
	s_wait_kmcnt 0x0
	s_bfe_u32 s1, s11, 0x80008
	s_bfe_u32 s12, s2, 0x80008
	s_cmp_eq_u32 s0, 0
	s_cselect_b32 s0, ttmp9, s3
	s_mov_b32 s3, 0
	v_lshl_or_b32 v6, s0, 9, v0
	s_mov_b32 s0, exec_lo
	s_delay_alu instid0(VALU_DEP_1) | instskip(NEXT) | instid1(VALU_DEP_1)
	v_or_b32_e32 v0, 0x180, v6
	v_cmpx_le_i32_e64 s15, v0
	s_xor_b32 s13, exec_lo, s0
	s_cbranch_execz .LBB174_1059
; %bb.1:
	s_mov_b32 s20, -1
	s_mov_b32 s18, 0
	s_mov_b32 s16, 0
	s_mov_b32 s17, exec_lo
	v_cmpx_gt_i32_e64 s15, v6
	s_cbranch_execz .LBB174_259
; %bb.2:
	v_mul_lo_u32 v0, v6, s9
	s_and_b32 s0, 0xffff, s12
	s_delay_alu instid0(SALU_CYCLE_1) | instskip(NEXT) | instid1(VALU_DEP_1)
	s_cmp_lt_i32 s0, 11
	v_ashrrev_i32_e32 v1, 31, v0
	s_delay_alu instid0(VALU_DEP_1)
	v_add_nc_u64_e32 v[0:1], s[6:7], v[0:1]
	s_cbranch_scc1 .LBB174_9
; %bb.3:
	s_cmp_gt_i32 s0, 25
	s_cbranch_scc0 .LBB174_14
; %bb.4:
	s_cmp_gt_i32 s0, 28
	s_cbranch_scc0 .LBB174_16
	;; [unrolled: 3-line block ×4, first 2 shown]
; %bb.7:
	s_cmp_eq_u32 s0, 46
	s_mov_b32 s19, 0
	s_cbranch_scc0 .LBB174_38
; %bb.8:
	global_load_b32 v2, v[0:1], off
	s_mov_b32 s14, -1
	s_wait_loadcnt 0x0
	v_lshlrev_b32_e32 v2, 16, v2
	s_delay_alu instid0(VALU_DEP_1) | instskip(NEXT) | instid1(VALU_DEP_1)
	v_trunc_f32_e32 v2, v2
	v_mul_f32_e64 v3, 0x2f800000, |v2|
	s_delay_alu instid0(VALU_DEP_1) | instskip(NEXT) | instid1(VALU_DEP_1)
	v_floor_f32_e32 v3, v3
	v_fma_f32 v3, 0xcf800000, v3, |v2|
	v_ashrrev_i32_e32 v2, 31, v2
	s_delay_alu instid0(VALU_DEP_2) | instskip(NEXT) | instid1(VALU_DEP_1)
	v_cvt_u32_f32_e32 v3, v3
	v_xor_b32_e32 v3, v3, v2
	s_delay_alu instid0(VALU_DEP_1)
	v_sub_nc_u32_e32 v2, v3, v2
	s_branch .LBB174_40
.LBB174_9:
                                        ; implicit-def: $vgpr2
	s_cbranch_execnz .LBB174_209
.LBB174_10:
	s_and_not1_b32 vcc_lo, exec_lo, s14
	s_cbranch_vccnz .LBB174_256
.LBB174_11:
	s_cmp_lt_i32 s10, 1
	s_mov_b32 s0, 0
	s_cbranch_scc1 .LBB174_15
; %bb.12:
	s_cmp_eq_u32 s10, 1
	s_cbranch_scc0 .LBB174_17
; %bb.13:
	s_wait_loadcnt 0x0
	s_delay_alu instid0(VALU_DEP_1)
	v_and_b32_e32 v0, 0xff, v2
	s_and_b32 s14, s11, 0xff
	s_delay_alu instid0(VALU_DEP_1) | instid1(SALU_CYCLE_1)
	v_min_u16 v3, v0, s14
	s_mov_b32 s14, 0
	s_branch .LBB174_18
.LBB174_14:
                                        ; implicit-def: $vgpr2
	s_cbranch_execnz .LBB174_176
	s_branch .LBB174_208
.LBB174_15:
	s_mov_b32 s14, 0
                                        ; implicit-def: $vgpr3
	s_cbranch_execnz .LBB174_19
	s_branch .LBB174_20
.LBB174_16:
	s_mov_b32 s19, -1
                                        ; implicit-def: $vgpr2
	s_branch .LBB174_159
.LBB174_17:
	s_mov_b32 s14, -1
                                        ; implicit-def: $vgpr3
.LBB174_18:
	s_branch .LBB174_20
.LBB174_19:
	s_cmp_lg_u32 s10, 0
	s_mov_b32 s0, -1
	s_cselect_b32 s14, -1, 0
.LBB174_20:
	s_wait_loadcnt 0x0
	s_delay_alu instid0(VALU_DEP_1)
	v_and_b32_e32 v0, 0xff, v2
	s_and_not1_b32 vcc_lo, exec_lo, s14
	s_cbranch_vccnz .LBB174_22
; %bb.21:
	s_and_b32 s0, s11, 0xff
	s_delay_alu instid0(VALU_DEP_1) | instid1(SALU_CYCLE_1)
	v_max_u16 v1, v0, s0
	s_delay_alu instid0(VALU_DEP_1)
	v_min_u16 v3, v1, s1
	s_cbranch_execz .LBB174_23
	s_branch .LBB174_24
.LBB174_22:
	s_and_not1_b32 vcc_lo, exec_lo, s0
	s_cbranch_vccnz .LBB174_24
.LBB174_23:
	s_and_b32 s0, s11, 0xff
	s_delay_alu instid0(SALU_CYCLE_1)
	v_max_u16 v3, v0, s0
.LBB174_24:
	v_mul_lo_u32 v0, v6, s8
	s_and_b32 s14, s2, 0xff
	s_delay_alu instid0(SALU_CYCLE_1) | instskip(NEXT) | instid1(VALU_DEP_1)
	s_cmp_lt_i32 s14, 11
	v_ashrrev_i32_e32 v1, 31, v0
	s_delay_alu instid0(VALU_DEP_1)
	v_add_nc_u64_e32 v[0:1], s[4:5], v[0:1]
	s_cbranch_scc1 .LBB174_31
; %bb.25:
	s_and_b32 s19, 0xffff, s14
	s_delay_alu instid0(SALU_CYCLE_1)
	s_cmp_gt_i32 s19, 25
	s_cbranch_scc0 .LBB174_33
; %bb.26:
	s_cmp_gt_i32 s19, 28
	s_cbranch_scc0 .LBB174_35
; %bb.27:
	;; [unrolled: 3-line block ×4, first 2 shown]
	s_mov_b32 s21, 0
	s_mov_b32 s0, -1
	s_cmp_eq_u32 s19, 46
	s_mov_b32 s20, 0
	s_cbranch_scc0 .LBB174_44
; %bb.30:
	v_cvt_f32_ubyte0_e32 v2, v3
	s_mov_b32 s20, -1
	s_mov_b32 s0, 0
	s_delay_alu instid0(VALU_DEP_1) | instskip(NEXT) | instid1(VALU_DEP_1)
	v_bfe_u32 v4, v2, 16, 1
	v_add3_u32 v2, v2, v4, 0x7fff
	s_delay_alu instid0(VALU_DEP_1)
	v_lshrrev_b32_e32 v2, 16, v2
	global_store_b32 v[0:1], v2, off
	s_branch .LBB174_44
.LBB174_31:
	s_mov_b32 s0, 0
	s_mov_b32 s20, 0
	s_cbranch_execnz .LBB174_113
.LBB174_32:
	s_and_not1_b32 vcc_lo, exec_lo, s20
	s_cbranch_vccnz .LBB174_257
	s_branch .LBB174_151
.LBB174_33:
	s_mov_b32 s21, -1
	s_mov_b32 s0, 0
	s_mov_b32 s20, 0
	s_branch .LBB174_71
.LBB174_34:
	s_mov_b32 s19, -1
                                        ; implicit-def: $vgpr2
	s_branch .LBB174_154
.LBB174_35:
	s_mov_b32 s21, -1
	s_mov_b32 s0, 0
	s_mov_b32 s20, 0
	s_branch .LBB174_54
.LBB174_36:
	s_mov_b32 s19, -1
	s_branch .LBB174_39
.LBB174_37:
	s_mov_b32 s21, -1
	s_mov_b32 s0, 0
	s_mov_b32 s20, 0
	s_branch .LBB174_50
.LBB174_38:
	s_mov_b32 s16, -1
.LBB174_39:
                                        ; implicit-def: $vgpr2
.LBB174_40:
	s_and_b32 vcc_lo, exec_lo, s19
	s_cbranch_vccz .LBB174_153
; %bb.41:
	s_cmp_eq_u32 s0, 44
	s_cbranch_scc0 .LBB174_152
; %bb.42:
	global_load_u8 v2, v[0:1], off
	s_mov_b32 s16, 0
	s_mov_b32 s14, -1
	s_wait_loadcnt 0x0
	v_lshlrev_b32_e32 v3, 23, v2
	v_cmp_ne_u32_e32 vcc_lo, 0, v2
	s_delay_alu instid0(VALU_DEP_2) | instskip(NEXT) | instid1(VALU_DEP_1)
	v_trunc_f32_e32 v3, v3
	v_mul_f32_e64 v4, 0x2f800000, |v3|
	s_delay_alu instid0(VALU_DEP_1) | instskip(NEXT) | instid1(VALU_DEP_1)
	v_floor_f32_e32 v4, v4
	v_fma_f32 v4, 0xcf800000, v4, |v3|
	v_ashrrev_i32_e32 v3, 31, v3
	s_delay_alu instid0(VALU_DEP_2) | instskip(NEXT) | instid1(VALU_DEP_1)
	v_cvt_u32_f32_e32 v4, v4
	v_xor_b32_e32 v4, v4, v3
	s_delay_alu instid0(VALU_DEP_1) | instskip(NEXT) | instid1(VALU_DEP_1)
	v_sub_nc_u32_e32 v3, v4, v3
	v_cndmask_b32_e32 v2, 0, v3, vcc_lo
	s_branch .LBB174_153
.LBB174_43:
	s_mov_b32 s21, -1
	s_mov_b32 s0, 0
	s_mov_b32 s20, 0
.LBB174_44:
	s_and_b32 vcc_lo, exec_lo, s21
	s_cbranch_vccz .LBB174_49
; %bb.45:
	s_cmp_eq_u32 s19, 44
	s_mov_b32 s0, -1
	s_cbranch_scc0 .LBB174_49
; %bb.46:
	v_cvt_f32_ubyte0_e32 v5, v3
	v_mov_b32_e32 v4, 0xff
	s_mov_b32 s20, exec_lo
	s_wait_xcnt 0x0
	s_delay_alu instid0(VALU_DEP_2) | instskip(NEXT) | instid1(VALU_DEP_1)
	v_lshrrev_b32_e32 v2, 23, v5
	v_cmpx_ne_u32_e32 0xff, v2
; %bb.47:
	v_and_b32_e32 v4, 0x400000, v5
	v_and_or_b32 v5, 0x3fffff, v5, v2
	s_delay_alu instid0(VALU_DEP_2) | instskip(NEXT) | instid1(VALU_DEP_2)
	v_cmp_ne_u32_e32 vcc_lo, 0, v4
	v_cmp_ne_u32_e64 s0, 0, v5
	s_and_b32 s0, vcc_lo, s0
	s_delay_alu instid0(SALU_CYCLE_1) | instskip(NEXT) | instid1(VALU_DEP_1)
	v_cndmask_b32_e64 v4, 0, 1, s0
	v_add_nc_u32_e32 v4, v2, v4
; %bb.48:
	s_or_b32 exec_lo, exec_lo, s20
	s_mov_b32 s20, -1
	s_mov_b32 s0, 0
	global_store_b8 v[0:1], v4, off
.LBB174_49:
	s_mov_b32 s21, 0
.LBB174_50:
	s_delay_alu instid0(SALU_CYCLE_1)
	s_and_b32 vcc_lo, exec_lo, s21
	s_cbranch_vccz .LBB174_53
; %bb.51:
	s_cmp_eq_u32 s19, 29
	s_mov_b32 s0, -1
	s_cbranch_scc0 .LBB174_53
; %bb.52:
	s_wait_xcnt 0x0
	v_and_b32_e32 v4, 0xff, v3
	v_mov_b32_e32 v5, 0
	s_mov_b32 s20, -1
	s_mov_b32 s0, 0
	s_mov_b32 s21, 0
	global_store_b64 v[0:1], v[4:5], off
	s_branch .LBB174_54
.LBB174_53:
	s_mov_b32 s21, 0
.LBB174_54:
	s_delay_alu instid0(SALU_CYCLE_1)
	s_and_b32 vcc_lo, exec_lo, s21
	s_cbranch_vccz .LBB174_70
; %bb.55:
	s_cmp_lt_i32 s19, 27
	s_mov_b32 s20, -1
	s_cbranch_scc1 .LBB174_61
; %bb.56:
	s_cmp_gt_i32 s19, 27
	s_cbranch_scc0 .LBB174_58
; %bb.57:
	s_wait_xcnt 0x0
	v_and_b32_e32 v2, 0xff, v3
	s_mov_b32 s20, 0
	global_store_b32 v[0:1], v2, off
.LBB174_58:
	s_and_not1_b32 vcc_lo, exec_lo, s20
	s_cbranch_vccnz .LBB174_60
; %bb.59:
	s_wait_xcnt 0x0
	v_and_b32_e32 v2, 0xff, v3
	global_store_b16 v[0:1], v2, off
.LBB174_60:
	s_mov_b32 s20, 0
.LBB174_61:
	s_delay_alu instid0(SALU_CYCLE_1)
	s_and_not1_b32 vcc_lo, exec_lo, s20
	s_cbranch_vccnz .LBB174_69
; %bb.62:
	s_wait_xcnt 0x0
	v_cvt_f32_ubyte0_e32 v4, v3
	v_mov_b32_e32 v5, 0x80
	s_mov_b32 s20, exec_lo
	s_delay_alu instid0(VALU_DEP_2)
	v_cmpx_gt_u32_e32 0x43800000, v4
	s_cbranch_execz .LBB174_68
; %bb.63:
	s_mov_b32 s21, 0
	s_mov_b32 s22, exec_lo
                                        ; implicit-def: $vgpr2
	v_cmpx_lt_u32_e32 0x3bffffff, v4
	s_xor_b32 s22, exec_lo, s22
	s_cbranch_execz .LBB174_297
; %bb.64:
	v_bfe_u32 v2, v4, 20, 1
	s_mov_b32 s21, exec_lo
	s_delay_alu instid0(VALU_DEP_1) | instskip(NEXT) | instid1(VALU_DEP_1)
	v_add3_u32 v2, v4, v2, 0x487ffff
                                        ; implicit-def: $vgpr4
	v_lshrrev_b32_e32 v2, 20, v2
	s_and_not1_saveexec_b32 s22, s22
	s_cbranch_execnz .LBB174_298
.LBB174_65:
	s_or_b32 exec_lo, exec_lo, s22
	v_mov_b32_e32 v5, 0
	s_and_saveexec_b32 s22, s21
.LBB174_66:
	v_mov_b32_e32 v5, v2
.LBB174_67:
	s_or_b32 exec_lo, exec_lo, s22
.LBB174_68:
	s_delay_alu instid0(SALU_CYCLE_1)
	s_or_b32 exec_lo, exec_lo, s20
	global_store_b8 v[0:1], v5, off
.LBB174_69:
	s_mov_b32 s20, -1
.LBB174_70:
	s_mov_b32 s21, 0
.LBB174_71:
	s_delay_alu instid0(SALU_CYCLE_1)
	s_and_b32 vcc_lo, exec_lo, s21
	s_cbranch_vccz .LBB174_112
; %bb.72:
	s_cmp_gt_i32 s19, 22
	s_mov_b32 s21, -1
	s_cbranch_scc0 .LBB174_104
; %bb.73:
	s_cmp_lt_i32 s19, 24
	s_mov_b32 s20, -1
	s_cbranch_scc1 .LBB174_93
; %bb.74:
	s_cmp_gt_i32 s19, 24
	s_cbranch_scc0 .LBB174_82
; %bb.75:
	s_wait_xcnt 0x0
	v_cvt_f32_ubyte0_e32 v4, v3
	v_mov_b32_e32 v5, 0x80
	s_mov_b32 s20, exec_lo
	s_delay_alu instid0(VALU_DEP_2)
	v_cmpx_gt_u32_e32 0x47800000, v4
	s_cbranch_execz .LBB174_81
; %bb.76:
	s_mov_b32 s21, 0
	s_mov_b32 s22, exec_lo
                                        ; implicit-def: $vgpr2
	v_cmpx_lt_u32_e32 0x37ffffff, v4
	s_xor_b32 s22, exec_lo, s22
	s_cbranch_execz .LBB174_301
; %bb.77:
	v_bfe_u32 v2, v4, 21, 1
	s_mov_b32 s21, exec_lo
	s_delay_alu instid0(VALU_DEP_1) | instskip(NEXT) | instid1(VALU_DEP_1)
	v_add3_u32 v2, v4, v2, 0x88fffff
                                        ; implicit-def: $vgpr4
	v_lshrrev_b32_e32 v2, 21, v2
	s_and_not1_saveexec_b32 s22, s22
	s_cbranch_execnz .LBB174_302
.LBB174_78:
	s_or_b32 exec_lo, exec_lo, s22
	v_mov_b32_e32 v5, 0
	s_and_saveexec_b32 s22, s21
.LBB174_79:
	v_mov_b32_e32 v5, v2
.LBB174_80:
	s_or_b32 exec_lo, exec_lo, s22
.LBB174_81:
	s_delay_alu instid0(SALU_CYCLE_1)
	s_or_b32 exec_lo, exec_lo, s20
	s_mov_b32 s20, 0
	global_store_b8 v[0:1], v5, off
.LBB174_82:
	s_and_b32 vcc_lo, exec_lo, s20
	s_cbranch_vccz .LBB174_92
; %bb.83:
	s_wait_xcnt 0x0
	v_cvt_f32_ubyte0_e32 v4, v3
	s_mov_b32 s20, exec_lo
                                        ; implicit-def: $vgpr2
	s_delay_alu instid0(VALU_DEP_1)
	v_cmpx_gt_u32_e32 0x43f00000, v4
	s_xor_b32 s20, exec_lo, s20
	s_cbranch_execz .LBB174_89
; %bb.84:
	s_mov_b32 s21, exec_lo
                                        ; implicit-def: $vgpr2
	v_cmpx_lt_u32_e32 0x3c7fffff, v4
	s_xor_b32 s21, exec_lo, s21
; %bb.85:
	v_bfe_u32 v2, v4, 20, 1
	s_delay_alu instid0(VALU_DEP_1) | instskip(NEXT) | instid1(VALU_DEP_1)
	v_add3_u32 v2, v4, v2, 0x407ffff
	v_and_b32_e32 v4, 0xff00000, v2
	v_lshrrev_b32_e32 v2, 20, v2
	s_delay_alu instid0(VALU_DEP_2) | instskip(NEXT) | instid1(VALU_DEP_2)
	v_cmp_ne_u32_e32 vcc_lo, 0x7f00000, v4
                                        ; implicit-def: $vgpr4
	v_cndmask_b32_e32 v2, 0x7e, v2, vcc_lo
; %bb.86:
	s_and_not1_saveexec_b32 s21, s21
; %bb.87:
	v_add_f32_e32 v2, 0x46800000, v4
; %bb.88:
	s_or_b32 exec_lo, exec_lo, s21
                                        ; implicit-def: $vgpr4
.LBB174_89:
	s_and_not1_saveexec_b32 s20, s20
; %bb.90:
	v_mov_b32_e32 v2, 0x7f
	v_cmp_lt_u32_e32 vcc_lo, 0x7f800000, v4
	s_delay_alu instid0(VALU_DEP_2)
	v_cndmask_b32_e32 v2, 0x7e, v2, vcc_lo
; %bb.91:
	s_or_b32 exec_lo, exec_lo, s20
	global_store_b8 v[0:1], v2, off
.LBB174_92:
	s_mov_b32 s20, 0
.LBB174_93:
	s_delay_alu instid0(SALU_CYCLE_1)
	s_and_not1_b32 vcc_lo, exec_lo, s20
	s_cbranch_vccnz .LBB174_103
; %bb.94:
	s_wait_xcnt 0x0
	v_cvt_f32_ubyte0_e32 v4, v3
	s_mov_b32 s20, exec_lo
                                        ; implicit-def: $vgpr2
	s_delay_alu instid0(VALU_DEP_1)
	v_cmpx_gt_u32_e32 0x47800000, v4
	s_xor_b32 s20, exec_lo, s20
	s_cbranch_execz .LBB174_100
; %bb.95:
	s_mov_b32 s21, exec_lo
                                        ; implicit-def: $vgpr2
	v_cmpx_lt_u32_e32 0x387fffff, v4
	s_xor_b32 s21, exec_lo, s21
; %bb.96:
	v_bfe_u32 v2, v4, 21, 1
	s_delay_alu instid0(VALU_DEP_1) | instskip(NEXT) | instid1(VALU_DEP_1)
	v_add3_u32 v2, v4, v2, 0x80fffff
                                        ; implicit-def: $vgpr4
	v_lshrrev_b32_e32 v2, 21, v2
; %bb.97:
	s_and_not1_saveexec_b32 s21, s21
; %bb.98:
	v_add_f32_e32 v2, 0x43000000, v4
; %bb.99:
	s_or_b32 exec_lo, exec_lo, s21
                                        ; implicit-def: $vgpr4
.LBB174_100:
	s_and_not1_saveexec_b32 s20, s20
; %bb.101:
	v_mov_b32_e32 v2, 0x7f
	v_cmp_lt_u32_e32 vcc_lo, 0x7f800000, v4
	s_delay_alu instid0(VALU_DEP_2)
	v_cndmask_b32_e32 v2, 0x7c, v2, vcc_lo
; %bb.102:
	s_or_b32 exec_lo, exec_lo, s20
	global_store_b8 v[0:1], v2, off
.LBB174_103:
	s_mov_b32 s21, 0
	s_mov_b32 s20, -1
.LBB174_104:
	s_and_not1_b32 vcc_lo, exec_lo, s21
	s_cbranch_vccnz .LBB174_112
; %bb.105:
	s_cmp_gt_i32 s19, 14
	s_mov_b32 s21, -1
	s_cbranch_scc0 .LBB174_109
; %bb.106:
	s_cmp_eq_u32 s19, 15
	s_mov_b32 s0, -1
	s_cbranch_scc0 .LBB174_108
; %bb.107:
	s_wait_xcnt 0x0
	v_cvt_f32_ubyte0_e32 v2, v3
	s_mov_b32 s20, -1
	s_mov_b32 s0, 0
	s_delay_alu instid0(VALU_DEP_1) | instskip(NEXT) | instid1(VALU_DEP_1)
	v_bfe_u32 v4, v2, 16, 1
	v_add3_u32 v2, v2, v4, 0x7fff
	global_store_d16_hi_b16 v[0:1], v2, off
.LBB174_108:
	s_mov_b32 s21, 0
.LBB174_109:
	s_delay_alu instid0(SALU_CYCLE_1)
	s_and_b32 vcc_lo, exec_lo, s21
	s_cbranch_vccz .LBB174_112
; %bb.110:
	s_cmp_eq_u32 s19, 11
	s_mov_b32 s0, -1
	s_cbranch_scc0 .LBB174_112
; %bb.111:
	s_wait_xcnt 0x0
	v_and_b32_e32 v2, 0xff, v3
	s_mov_b32 s0, 0
	s_mov_b32 s20, -1
	s_delay_alu instid0(VALU_DEP_1)
	v_cmp_ne_u16_e32 vcc_lo, 0, v2
	v_cndmask_b32_e64 v2, 0, 1, vcc_lo
	global_store_b8 v[0:1], v2, off
.LBB174_112:
	s_branch .LBB174_32
.LBB174_113:
	s_and_b32 s14, 0xffff, s14
	s_mov_b32 s19, -1
	s_cmp_lt_i32 s14, 5
	s_cbranch_scc1 .LBB174_134
; %bb.114:
	s_cmp_lt_i32 s14, 8
	s_cbranch_scc1 .LBB174_124
; %bb.115:
	;; [unrolled: 3-line block ×3, first 2 shown]
	s_cmp_gt_i32 s14, 9
	s_cbranch_scc0 .LBB174_118
; %bb.117:
	s_wait_xcnt 0x0
	v_and_b32_e32 v2, 0xff, v3
	v_mov_b32_e32 v10, 0
	s_mov_b32 s19, 0
	s_delay_alu instid0(VALU_DEP_2) | instskip(NEXT) | instid1(VALU_DEP_2)
	v_and_b32_e32 v2, 0xffff, v2
	v_mov_b32_e32 v11, v10
	s_delay_alu instid0(VALU_DEP_2)
	v_cvt_f64_u32_e32 v[8:9], v2
	global_store_b128 v[0:1], v[8:11], off
.LBB174_118:
	s_and_not1_b32 vcc_lo, exec_lo, s19
	s_cbranch_vccnz .LBB174_120
; %bb.119:
	s_wait_xcnt 0x0
	v_cvt_f32_ubyte0_e32 v4, v3
	v_mov_b32_e32 v5, 0
	global_store_b64 v[0:1], v[4:5], off
.LBB174_120:
	s_mov_b32 s19, 0
.LBB174_121:
	s_delay_alu instid0(SALU_CYCLE_1)
	s_and_not1_b32 vcc_lo, exec_lo, s19
	s_cbranch_vccnz .LBB174_123
; %bb.122:
	s_wait_xcnt 0x0
	v_and_b32_e32 v2, 0xff, v3
	s_delay_alu instid0(VALU_DEP_1) | instskip(NEXT) | instid1(VALU_DEP_1)
	v_cvt_f16_u16_e32 v2, v2
	v_and_b32_e32 v2, 0xffff, v2
	global_store_b32 v[0:1], v2, off
.LBB174_123:
	s_mov_b32 s19, 0
.LBB174_124:
	s_delay_alu instid0(SALU_CYCLE_1)
	s_and_not1_b32 vcc_lo, exec_lo, s19
	s_cbranch_vccnz .LBB174_133
; %bb.125:
	s_cmp_lt_i32 s14, 6
	s_mov_b32 s19, -1
	s_cbranch_scc1 .LBB174_131
; %bb.126:
	s_cmp_gt_i32 s14, 6
	s_cbranch_scc0 .LBB174_128
; %bb.127:
	s_wait_xcnt 0x0
	v_and_b32_e32 v2, 0xff, v3
	s_mov_b32 s19, 0
	s_delay_alu instid0(VALU_DEP_1) | instskip(NEXT) | instid1(VALU_DEP_1)
	v_and_b32_e32 v2, 0xffff, v2
	v_cvt_f64_u32_e32 v[4:5], v2
	global_store_b64 v[0:1], v[4:5], off
.LBB174_128:
	s_and_not1_b32 vcc_lo, exec_lo, s19
	s_cbranch_vccnz .LBB174_130
; %bb.129:
	s_wait_xcnt 0x0
	v_cvt_f32_ubyte0_e32 v2, v3
	global_store_b32 v[0:1], v2, off
.LBB174_130:
	s_mov_b32 s19, 0
.LBB174_131:
	s_delay_alu instid0(SALU_CYCLE_1)
	s_and_not1_b32 vcc_lo, exec_lo, s19
	s_cbranch_vccnz .LBB174_133
; %bb.132:
	s_wait_xcnt 0x0
	v_and_b32_e32 v2, 0xff, v3
	s_delay_alu instid0(VALU_DEP_1)
	v_cvt_f16_u16_e32 v2, v2
	global_store_b16 v[0:1], v2, off
.LBB174_133:
	s_mov_b32 s19, 0
.LBB174_134:
	s_delay_alu instid0(SALU_CYCLE_1)
	s_and_not1_b32 vcc_lo, exec_lo, s19
	s_cbranch_vccnz .LBB174_150
; %bb.135:
	s_cmp_lt_i32 s14, 2
	s_mov_b32 s19, -1
	s_cbranch_scc1 .LBB174_145
; %bb.136:
	s_cmp_lt_i32 s14, 3
	s_cbranch_scc1 .LBB174_142
; %bb.137:
	s_cmp_gt_i32 s14, 3
	s_cbranch_scc0 .LBB174_139
; %bb.138:
	s_wait_xcnt 0x0
	v_and_b32_e32 v4, 0xff, v3
	v_mov_b32_e32 v5, 0
	s_mov_b32 s19, 0
	global_store_b64 v[0:1], v[4:5], off
.LBB174_139:
	s_and_not1_b32 vcc_lo, exec_lo, s19
	s_cbranch_vccnz .LBB174_141
; %bb.140:
	s_wait_xcnt 0x0
	v_and_b32_e32 v2, 0xff, v3
	global_store_b32 v[0:1], v2, off
.LBB174_141:
	s_mov_b32 s19, 0
.LBB174_142:
	s_delay_alu instid0(SALU_CYCLE_1)
	s_and_not1_b32 vcc_lo, exec_lo, s19
	s_cbranch_vccnz .LBB174_144
; %bb.143:
	s_wait_xcnt 0x0
	v_and_b32_e32 v2, 0xff, v3
	global_store_b16 v[0:1], v2, off
.LBB174_144:
	s_mov_b32 s19, 0
.LBB174_145:
	s_delay_alu instid0(SALU_CYCLE_1)
	s_and_not1_b32 vcc_lo, exec_lo, s19
	s_cbranch_vccnz .LBB174_150
; %bb.146:
	s_cmp_gt_i32 s14, 0
	s_mov_b32 s14, -1
	s_cbranch_scc0 .LBB174_148
; %bb.147:
	s_mov_b32 s14, 0
	global_store_b8 v[0:1], v3, off
.LBB174_148:
	s_and_not1_b32 vcc_lo, exec_lo, s14
	s_cbranch_vccnz .LBB174_150
; %bb.149:
	global_store_b8 v[0:1], v3, off
.LBB174_150:
.LBB174_151:
	v_add_nc_u32_e32 v6, 0x80, v6
	s_mov_b32 s19, -1
	s_branch .LBB174_258
.LBB174_152:
	s_mov_b32 s16, -1
                                        ; implicit-def: $vgpr2
.LBB174_153:
	s_mov_b32 s19, 0
.LBB174_154:
	s_delay_alu instid0(SALU_CYCLE_1)
	s_and_b32 vcc_lo, exec_lo, s19
	s_cbranch_vccz .LBB174_158
; %bb.155:
	s_cmp_eq_u32 s0, 29
	s_cbranch_scc0 .LBB174_157
; %bb.156:
	global_load_b64 v[2:3], v[0:1], off
	s_mov_b32 s14, -1
	s_mov_b32 s16, 0
	s_branch .LBB174_158
.LBB174_157:
	s_mov_b32 s16, -1
                                        ; implicit-def: $vgpr2
.LBB174_158:
	s_mov_b32 s19, 0
.LBB174_159:
	s_delay_alu instid0(SALU_CYCLE_1)
	s_and_b32 vcc_lo, exec_lo, s19
	s_cbranch_vccz .LBB174_175
; %bb.160:
	s_cmp_lt_i32 s0, 27
	s_cbranch_scc1 .LBB174_163
; %bb.161:
	s_cmp_gt_i32 s0, 27
	s_cbranch_scc0 .LBB174_164
; %bb.162:
	s_wait_loadcnt 0x0
	global_load_b32 v2, v[0:1], off
	s_mov_b32 s14, 0
	s_branch .LBB174_165
.LBB174_163:
	s_mov_b32 s14, -1
                                        ; implicit-def: $vgpr2
	s_branch .LBB174_168
.LBB174_164:
	s_mov_b32 s14, -1
                                        ; implicit-def: $vgpr2
.LBB174_165:
	s_delay_alu instid0(SALU_CYCLE_1)
	s_and_not1_b32 vcc_lo, exec_lo, s14
	s_cbranch_vccnz .LBB174_167
; %bb.166:
	s_wait_loadcnt 0x0
	global_load_u16 v2, v[0:1], off
.LBB174_167:
	s_mov_b32 s14, 0
.LBB174_168:
	s_delay_alu instid0(SALU_CYCLE_1)
	s_and_not1_b32 vcc_lo, exec_lo, s14
	s_cbranch_vccnz .LBB174_174
; %bb.169:
	s_wait_loadcnt 0x0
	global_load_u8 v3, v[0:1], off
	s_mov_b32 s19, 0
	s_mov_b32 s14, exec_lo
	s_wait_loadcnt 0x0
	v_cmpx_lt_i16_e32 0x7f, v3
	s_xor_b32 s14, exec_lo, s14
	s_cbranch_execz .LBB174_185
; %bb.170:
	v_cmp_ne_u16_e32 vcc_lo, 0x80, v3
	s_and_b32 s19, vcc_lo, exec_lo
	s_and_not1_saveexec_b32 s14, s14
	s_cbranch_execnz .LBB174_186
.LBB174_171:
	s_or_b32 exec_lo, exec_lo, s14
	v_mov_b32_e32 v2, 0
	s_and_saveexec_b32 s14, s19
	s_cbranch_execz .LBB174_173
.LBB174_172:
	v_and_b32_e32 v2, 0xffff, v3
	s_delay_alu instid0(VALU_DEP_1) | instskip(SKIP_1) | instid1(VALU_DEP_2)
	v_and_b32_e32 v4, 7, v2
	v_bfe_u32 v8, v2, 3, 4
	v_clz_i32_u32_e32 v5, v4
	s_delay_alu instid0(VALU_DEP_2) | instskip(NEXT) | instid1(VALU_DEP_2)
	v_cmp_eq_u32_e32 vcc_lo, 0, v8
	v_min_u32_e32 v5, 32, v5
	s_delay_alu instid0(VALU_DEP_1) | instskip(NEXT) | instid1(VALU_DEP_1)
	v_subrev_nc_u32_e32 v7, 28, v5
	v_dual_lshlrev_b32 v2, v7, v2 :: v_dual_sub_nc_u32 v5, 29, v5
	s_delay_alu instid0(VALU_DEP_1) | instskip(NEXT) | instid1(VALU_DEP_2)
	v_dual_lshlrev_b32 v3, 24, v3 :: v_dual_bitop2_b32 v2, 7, v2 bitop3:0x40
	v_cndmask_b32_e32 v5, v8, v5, vcc_lo
	s_delay_alu instid0(VALU_DEP_2) | instskip(NEXT) | instid1(VALU_DEP_3)
	v_cndmask_b32_e32 v2, v4, v2, vcc_lo
	v_and_b32_e32 v3, 0x80000000, v3
	s_delay_alu instid0(VALU_DEP_3) | instskip(NEXT) | instid1(VALU_DEP_3)
	v_lshl_add_u32 v4, v5, 23, 0x3b800000
	v_lshlrev_b32_e32 v2, 20, v2
	s_delay_alu instid0(VALU_DEP_1) | instskip(NEXT) | instid1(VALU_DEP_1)
	v_or3_b32 v2, v3, v4, v2
	v_trunc_f32_e32 v2, v2
	s_delay_alu instid0(VALU_DEP_1) | instskip(NEXT) | instid1(VALU_DEP_1)
	v_mul_f32_e64 v3, 0x2f800000, |v2|
	v_floor_f32_e32 v3, v3
	s_delay_alu instid0(VALU_DEP_1) | instskip(SKIP_1) | instid1(VALU_DEP_2)
	v_fma_f32 v3, 0xcf800000, v3, |v2|
	v_ashrrev_i32_e32 v2, 31, v2
	v_cvt_u32_f32_e32 v3, v3
	s_delay_alu instid0(VALU_DEP_1) | instskip(NEXT) | instid1(VALU_DEP_1)
	v_xor_b32_e32 v3, v3, v2
	v_sub_nc_u32_e32 v2, v3, v2
.LBB174_173:
	s_or_b32 exec_lo, exec_lo, s14
.LBB174_174:
	s_mov_b32 s14, -1
.LBB174_175:
	s_branch .LBB174_208
.LBB174_176:
	s_cmp_gt_i32 s0, 22
	s_cbranch_scc0 .LBB174_184
; %bb.177:
	s_cmp_lt_i32 s0, 24
	s_cbranch_scc1 .LBB174_187
; %bb.178:
	s_cmp_gt_i32 s0, 24
	s_cbranch_scc0 .LBB174_188
; %bb.179:
	s_wait_loadcnt 0x0
	global_load_u8 v3, v[0:1], off
	s_mov_b32 s19, 0
	s_mov_b32 s14, exec_lo
	s_wait_loadcnt 0x0
	v_cmpx_lt_i16_e32 0x7f, v3
	s_xor_b32 s14, exec_lo, s14
	s_cbranch_execz .LBB174_200
; %bb.180:
	v_cmp_ne_u16_e32 vcc_lo, 0x80, v3
	s_and_b32 s19, vcc_lo, exec_lo
	s_and_not1_saveexec_b32 s14, s14
	s_cbranch_execnz .LBB174_201
.LBB174_181:
	s_or_b32 exec_lo, exec_lo, s14
	v_mov_b32_e32 v2, 0
	s_and_saveexec_b32 s14, s19
	s_cbranch_execz .LBB174_183
.LBB174_182:
	v_and_b32_e32 v2, 0xffff, v3
	s_delay_alu instid0(VALU_DEP_1) | instskip(SKIP_1) | instid1(VALU_DEP_2)
	v_and_b32_e32 v4, 3, v2
	v_bfe_u32 v8, v2, 2, 5
	v_clz_i32_u32_e32 v5, v4
	s_delay_alu instid0(VALU_DEP_2) | instskip(NEXT) | instid1(VALU_DEP_2)
	v_cmp_eq_u32_e32 vcc_lo, 0, v8
	v_min_u32_e32 v5, 32, v5
	s_delay_alu instid0(VALU_DEP_1) | instskip(NEXT) | instid1(VALU_DEP_1)
	v_subrev_nc_u32_e32 v7, 29, v5
	v_dual_lshlrev_b32 v2, v7, v2 :: v_dual_sub_nc_u32 v5, 30, v5
	s_delay_alu instid0(VALU_DEP_1) | instskip(NEXT) | instid1(VALU_DEP_2)
	v_dual_lshlrev_b32 v3, 24, v3 :: v_dual_bitop2_b32 v2, 3, v2 bitop3:0x40
	v_cndmask_b32_e32 v5, v8, v5, vcc_lo
	s_delay_alu instid0(VALU_DEP_2) | instskip(NEXT) | instid1(VALU_DEP_3)
	v_cndmask_b32_e32 v2, v4, v2, vcc_lo
	v_and_b32_e32 v3, 0x80000000, v3
	s_delay_alu instid0(VALU_DEP_3) | instskip(NEXT) | instid1(VALU_DEP_3)
	v_lshl_add_u32 v4, v5, 23, 0x37800000
	v_lshlrev_b32_e32 v2, 21, v2
	s_delay_alu instid0(VALU_DEP_1) | instskip(NEXT) | instid1(VALU_DEP_1)
	v_or3_b32 v2, v3, v4, v2
	v_trunc_f32_e32 v2, v2
	s_delay_alu instid0(VALU_DEP_1) | instskip(NEXT) | instid1(VALU_DEP_1)
	v_mul_f32_e64 v3, 0x2f800000, |v2|
	v_floor_f32_e32 v3, v3
	s_delay_alu instid0(VALU_DEP_1) | instskip(SKIP_1) | instid1(VALU_DEP_2)
	v_fma_f32 v3, 0xcf800000, v3, |v2|
	v_ashrrev_i32_e32 v2, 31, v2
	v_cvt_u32_f32_e32 v3, v3
	s_delay_alu instid0(VALU_DEP_1) | instskip(NEXT) | instid1(VALU_DEP_1)
	v_xor_b32_e32 v3, v3, v2
	v_sub_nc_u32_e32 v2, v3, v2
.LBB174_183:
	s_or_b32 exec_lo, exec_lo, s14
	s_mov_b32 s14, 0
	s_branch .LBB174_189
.LBB174_184:
	s_mov_b32 s19, -1
                                        ; implicit-def: $vgpr2
	s_branch .LBB174_195
.LBB174_185:
	s_and_not1_saveexec_b32 s14, s14
	s_cbranch_execz .LBB174_171
.LBB174_186:
	v_cmp_ne_u16_e32 vcc_lo, 0, v3
	s_and_not1_b32 s19, s19, exec_lo
	s_and_b32 s20, vcc_lo, exec_lo
	s_delay_alu instid0(SALU_CYCLE_1)
	s_or_b32 s19, s19, s20
	s_or_b32 exec_lo, exec_lo, s14
	v_mov_b32_e32 v2, 0
	s_and_saveexec_b32 s14, s19
	s_cbranch_execnz .LBB174_172
	s_branch .LBB174_173
.LBB174_187:
	s_mov_b32 s14, -1
                                        ; implicit-def: $vgpr2
	s_branch .LBB174_192
.LBB174_188:
	s_mov_b32 s14, -1
                                        ; implicit-def: $vgpr2
.LBB174_189:
	s_delay_alu instid0(SALU_CYCLE_1)
	s_and_b32 vcc_lo, exec_lo, s14
	s_cbranch_vccz .LBB174_191
; %bb.190:
	s_wait_loadcnt 0x0
	global_load_u8 v2, v[0:1], off
	s_wait_loadcnt 0x0
	v_lshlrev_b32_e32 v2, 24, v2
	s_delay_alu instid0(VALU_DEP_1) | instskip(NEXT) | instid1(VALU_DEP_1)
	v_and_b32_e32 v3, 0x7f000000, v2
	v_clz_i32_u32_e32 v4, v3
	v_add_nc_u32_e32 v7, 0x1000000, v3
	v_cmp_ne_u32_e32 vcc_lo, 0, v3
	s_delay_alu instid0(VALU_DEP_3) | instskip(NEXT) | instid1(VALU_DEP_1)
	v_min_u32_e32 v4, 32, v4
	v_sub_nc_u32_e64 v4, v4, 4 clamp
	s_delay_alu instid0(VALU_DEP_1) | instskip(NEXT) | instid1(VALU_DEP_1)
	v_dual_lshlrev_b32 v5, v4, v3 :: v_dual_lshlrev_b32 v4, 23, v4
	v_lshrrev_b32_e32 v5, 4, v5
	s_delay_alu instid0(VALU_DEP_1) | instskip(NEXT) | instid1(VALU_DEP_1)
	v_dual_sub_nc_u32 v4, v5, v4 :: v_dual_ashrrev_i32 v5, 8, v7
	v_add_nc_u32_e32 v4, 0x3c000000, v4
	s_delay_alu instid0(VALU_DEP_1) | instskip(NEXT) | instid1(VALU_DEP_1)
	v_and_or_b32 v4, 0x7f800000, v5, v4
	v_cndmask_b32_e32 v3, 0, v4, vcc_lo
	s_delay_alu instid0(VALU_DEP_1) | instskip(NEXT) | instid1(VALU_DEP_1)
	v_and_or_b32 v2, 0x80000000, v2, v3
	v_trunc_f32_e32 v2, v2
	s_delay_alu instid0(VALU_DEP_1) | instskip(NEXT) | instid1(VALU_DEP_1)
	v_mul_f32_e64 v3, 0x2f800000, |v2|
	v_floor_f32_e32 v3, v3
	s_delay_alu instid0(VALU_DEP_1) | instskip(SKIP_1) | instid1(VALU_DEP_2)
	v_fma_f32 v3, 0xcf800000, v3, |v2|
	v_ashrrev_i32_e32 v2, 31, v2
	v_cvt_u32_f32_e32 v3, v3
	s_delay_alu instid0(VALU_DEP_1) | instskip(NEXT) | instid1(VALU_DEP_1)
	v_xor_b32_e32 v3, v3, v2
	v_sub_nc_u32_e32 v2, v3, v2
.LBB174_191:
	s_mov_b32 s14, 0
.LBB174_192:
	s_delay_alu instid0(SALU_CYCLE_1)
	s_and_not1_b32 vcc_lo, exec_lo, s14
	s_cbranch_vccnz .LBB174_194
; %bb.193:
	s_wait_loadcnt 0x0
	global_load_u8 v2, v[0:1], off
	s_wait_loadcnt 0x0
	v_lshlrev_b32_e32 v3, 25, v2
	v_lshlrev_b16 v2, 8, v2
	s_delay_alu instid0(VALU_DEP_1) | instskip(SKIP_1) | instid1(VALU_DEP_2)
	v_and_or_b32 v5, 0x7f00, v2, 0.5
	v_bfe_i32 v2, v2, 0, 16
	v_dual_add_f32 v5, -0.5, v5 :: v_dual_lshrrev_b32 v4, 4, v3
	v_cmp_gt_u32_e32 vcc_lo, 0x8000000, v3
	s_delay_alu instid0(VALU_DEP_2) | instskip(NEXT) | instid1(VALU_DEP_1)
	v_or_b32_e32 v4, 0x70000000, v4
	v_mul_f32_e32 v4, 0x7800000, v4
	s_delay_alu instid0(VALU_DEP_1) | instskip(NEXT) | instid1(VALU_DEP_1)
	v_cndmask_b32_e32 v3, v4, v5, vcc_lo
	v_and_or_b32 v2, 0x80000000, v2, v3
	s_delay_alu instid0(VALU_DEP_1) | instskip(NEXT) | instid1(VALU_DEP_1)
	v_trunc_f32_e32 v2, v2
	v_mul_f32_e64 v3, 0x2f800000, |v2|
	s_delay_alu instid0(VALU_DEP_1) | instskip(NEXT) | instid1(VALU_DEP_1)
	v_floor_f32_e32 v3, v3
	v_fma_f32 v3, 0xcf800000, v3, |v2|
	v_ashrrev_i32_e32 v2, 31, v2
	s_delay_alu instid0(VALU_DEP_2) | instskip(NEXT) | instid1(VALU_DEP_1)
	v_cvt_u32_f32_e32 v3, v3
	v_xor_b32_e32 v3, v3, v2
	s_delay_alu instid0(VALU_DEP_1)
	v_sub_nc_u32_e32 v2, v3, v2
.LBB174_194:
	s_mov_b32 s19, 0
	s_mov_b32 s14, -1
.LBB174_195:
	s_and_not1_b32 vcc_lo, exec_lo, s19
	s_cbranch_vccnz .LBB174_208
; %bb.196:
	s_cmp_gt_i32 s0, 14
	s_cbranch_scc0 .LBB174_199
; %bb.197:
	s_cmp_eq_u32 s0, 15
	s_cbranch_scc0 .LBB174_202
; %bb.198:
	s_wait_loadcnt 0x0
	global_load_u16 v2, v[0:1], off
	s_mov_b32 s14, -1
	s_mov_b32 s16, 0
	s_wait_loadcnt 0x0
	v_lshlrev_b32_e32 v2, 16, v2
	s_delay_alu instid0(VALU_DEP_1) | instskip(NEXT) | instid1(VALU_DEP_1)
	v_trunc_f32_e32 v2, v2
	v_mul_f32_e64 v3, 0x2f800000, |v2|
	s_delay_alu instid0(VALU_DEP_1) | instskip(NEXT) | instid1(VALU_DEP_1)
	v_floor_f32_e32 v3, v3
	v_fma_f32 v3, 0xcf800000, v3, |v2|
	v_ashrrev_i32_e32 v2, 31, v2
	s_delay_alu instid0(VALU_DEP_2) | instskip(NEXT) | instid1(VALU_DEP_1)
	v_cvt_u32_f32_e32 v3, v3
	v_xor_b32_e32 v3, v3, v2
	s_delay_alu instid0(VALU_DEP_1)
	v_sub_nc_u32_e32 v2, v3, v2
	s_branch .LBB174_203
.LBB174_199:
	s_mov_b32 s19, -1
                                        ; implicit-def: $vgpr2
	s_branch .LBB174_204
.LBB174_200:
	s_and_not1_saveexec_b32 s14, s14
	s_cbranch_execz .LBB174_181
.LBB174_201:
	v_cmp_ne_u16_e32 vcc_lo, 0, v3
	s_and_not1_b32 s19, s19, exec_lo
	s_and_b32 s20, vcc_lo, exec_lo
	s_delay_alu instid0(SALU_CYCLE_1)
	s_or_b32 s19, s19, s20
	s_or_b32 exec_lo, exec_lo, s14
	v_mov_b32_e32 v2, 0
	s_and_saveexec_b32 s14, s19
	s_cbranch_execnz .LBB174_182
	s_branch .LBB174_183
.LBB174_202:
	s_mov_b32 s16, -1
                                        ; implicit-def: $vgpr2
.LBB174_203:
	s_mov_b32 s19, 0
.LBB174_204:
	s_delay_alu instid0(SALU_CYCLE_1)
	s_and_b32 vcc_lo, exec_lo, s19
	s_cbranch_vccz .LBB174_208
; %bb.205:
	s_cmp_eq_u32 s0, 11
	s_cbranch_scc0 .LBB174_207
; %bb.206:
	s_wait_loadcnt 0x0
	global_load_u8 v2, v[0:1], off
	s_mov_b32 s16, 0
	s_mov_b32 s14, -1
	s_wait_loadcnt 0x0
	v_cmp_ne_u16_e32 vcc_lo, 0, v2
	v_cndmask_b32_e64 v2, 0, 1, vcc_lo
	s_branch .LBB174_208
.LBB174_207:
	s_mov_b32 s16, -1
                                        ; implicit-def: $vgpr2
.LBB174_208:
	s_branch .LBB174_10
.LBB174_209:
	s_cmp_lt_i32 s0, 5
	s_cbranch_scc1 .LBB174_214
; %bb.210:
	s_cmp_lt_i32 s0, 8
	s_cbranch_scc1 .LBB174_215
; %bb.211:
	s_cmp_lt_i32 s0, 9
	s_cbranch_scc1 .LBB174_216
; %bb.212:
	s_cmp_gt_i32 s0, 9
	s_cbranch_scc0 .LBB174_217
; %bb.213:
	s_wait_loadcnt 0x0
	global_load_b64 v[2:3], v[0:1], off
	s_mov_b32 s14, 0
	s_wait_loadcnt 0x0
	v_trunc_f64_e32 v[2:3], v[2:3]
	s_delay_alu instid0(VALU_DEP_1) | instskip(NEXT) | instid1(VALU_DEP_1)
	v_ldexp_f64 v[4:5], v[2:3], 0xffffffe0
	v_floor_f64_e32 v[4:5], v[4:5]
	s_delay_alu instid0(VALU_DEP_1) | instskip(NEXT) | instid1(VALU_DEP_1)
	v_fmamk_f64 v[2:3], v[4:5], 0xc1f00000, v[2:3]
	v_cvt_u32_f64_e32 v2, v[2:3]
	s_branch .LBB174_218
.LBB174_214:
                                        ; implicit-def: $vgpr2
	s_branch .LBB174_236
.LBB174_215:
	s_mov_b32 s14, -1
                                        ; implicit-def: $vgpr2
	s_branch .LBB174_224
.LBB174_216:
	s_mov_b32 s14, -1
                                        ; implicit-def: $vgpr2
	s_branch .LBB174_221
.LBB174_217:
	s_mov_b32 s14, -1
                                        ; implicit-def: $vgpr2
.LBB174_218:
	s_delay_alu instid0(SALU_CYCLE_1)
	s_and_not1_b32 vcc_lo, exec_lo, s14
	s_cbranch_vccnz .LBB174_220
; %bb.219:
	s_wait_loadcnt 0x0
	global_load_b32 v2, v[0:1], off
	s_wait_loadcnt 0x0
	v_trunc_f32_e32 v2, v2
	s_delay_alu instid0(VALU_DEP_1) | instskip(NEXT) | instid1(VALU_DEP_1)
	v_mul_f32_e64 v3, 0x2f800000, |v2|
	v_floor_f32_e32 v3, v3
	s_delay_alu instid0(VALU_DEP_1) | instskip(SKIP_1) | instid1(VALU_DEP_2)
	v_fma_f32 v3, 0xcf800000, v3, |v2|
	v_ashrrev_i32_e32 v2, 31, v2
	v_cvt_u32_f32_e32 v3, v3
	s_delay_alu instid0(VALU_DEP_1) | instskip(NEXT) | instid1(VALU_DEP_1)
	v_xor_b32_e32 v3, v3, v2
	v_sub_nc_u32_e32 v2, v3, v2
.LBB174_220:
	s_mov_b32 s14, 0
.LBB174_221:
	s_delay_alu instid0(SALU_CYCLE_1)
	s_and_not1_b32 vcc_lo, exec_lo, s14
	s_cbranch_vccnz .LBB174_223
; %bb.222:
	s_wait_loadcnt 0x0
	global_load_b32 v2, v[0:1], off
	s_wait_loadcnt 0x0
	v_cvt_f32_f16_e32 v2, v2
	s_delay_alu instid0(VALU_DEP_1)
	v_cvt_i32_f32_e32 v2, v2
.LBB174_223:
	s_mov_b32 s14, 0
.LBB174_224:
	s_delay_alu instid0(SALU_CYCLE_1)
	s_and_not1_b32 vcc_lo, exec_lo, s14
	s_cbranch_vccnz .LBB174_235
; %bb.225:
	s_cmp_lt_i32 s0, 6
	s_cbranch_scc1 .LBB174_228
; %bb.226:
	s_cmp_gt_i32 s0, 6
	s_cbranch_scc0 .LBB174_229
; %bb.227:
	s_wait_loadcnt 0x0
	global_load_b64 v[2:3], v[0:1], off
	s_mov_b32 s14, 0
	s_wait_loadcnt 0x0
	v_trunc_f64_e32 v[2:3], v[2:3]
	s_delay_alu instid0(VALU_DEP_1) | instskip(NEXT) | instid1(VALU_DEP_1)
	v_ldexp_f64 v[4:5], v[2:3], 0xffffffe0
	v_floor_f64_e32 v[4:5], v[4:5]
	s_delay_alu instid0(VALU_DEP_1) | instskip(NEXT) | instid1(VALU_DEP_1)
	v_fmamk_f64 v[2:3], v[4:5], 0xc1f00000, v[2:3]
	v_cvt_u32_f64_e32 v2, v[2:3]
	s_branch .LBB174_230
.LBB174_228:
	s_mov_b32 s14, -1
                                        ; implicit-def: $vgpr2
	s_branch .LBB174_233
.LBB174_229:
	s_mov_b32 s14, -1
                                        ; implicit-def: $vgpr2
.LBB174_230:
	s_delay_alu instid0(SALU_CYCLE_1)
	s_and_not1_b32 vcc_lo, exec_lo, s14
	s_cbranch_vccnz .LBB174_232
; %bb.231:
	s_wait_loadcnt 0x0
	global_load_b32 v2, v[0:1], off
	s_wait_loadcnt 0x0
	v_trunc_f32_e32 v2, v2
	s_delay_alu instid0(VALU_DEP_1) | instskip(NEXT) | instid1(VALU_DEP_1)
	v_mul_f32_e64 v3, 0x2f800000, |v2|
	v_floor_f32_e32 v3, v3
	s_delay_alu instid0(VALU_DEP_1) | instskip(SKIP_1) | instid1(VALU_DEP_2)
	v_fma_f32 v3, 0xcf800000, v3, |v2|
	v_ashrrev_i32_e32 v2, 31, v2
	v_cvt_u32_f32_e32 v3, v3
	s_delay_alu instid0(VALU_DEP_1) | instskip(NEXT) | instid1(VALU_DEP_1)
	v_xor_b32_e32 v3, v3, v2
	v_sub_nc_u32_e32 v2, v3, v2
.LBB174_232:
	s_mov_b32 s14, 0
.LBB174_233:
	s_delay_alu instid0(SALU_CYCLE_1)
	s_and_not1_b32 vcc_lo, exec_lo, s14
	s_cbranch_vccnz .LBB174_235
; %bb.234:
	s_wait_loadcnt 0x0
	global_load_u16 v2, v[0:1], off
	s_wait_loadcnt 0x0
	v_cvt_f32_f16_e32 v2, v2
	s_delay_alu instid0(VALU_DEP_1)
	v_cvt_i32_f32_e32 v2, v2
.LBB174_235:
	s_cbranch_execnz .LBB174_255
.LBB174_236:
	s_cmp_lt_i32 s0, 2
	s_cbranch_scc1 .LBB174_240
; %bb.237:
	s_cmp_lt_i32 s0, 3
	s_cbranch_scc1 .LBB174_241
; %bb.238:
	s_cmp_gt_i32 s0, 3
	s_cbranch_scc0 .LBB174_242
; %bb.239:
	s_wait_loadcnt 0x0
	global_load_b64 v[2:3], v[0:1], off
	s_mov_b32 s14, 0
	s_branch .LBB174_243
.LBB174_240:
	s_mov_b32 s14, -1
                                        ; implicit-def: $vgpr2
	s_branch .LBB174_249
.LBB174_241:
	s_mov_b32 s14, -1
                                        ; implicit-def: $vgpr2
	s_branch .LBB174_246
.LBB174_242:
	s_mov_b32 s14, -1
                                        ; implicit-def: $vgpr2
.LBB174_243:
	s_delay_alu instid0(SALU_CYCLE_1)
	s_and_not1_b32 vcc_lo, exec_lo, s14
	s_cbranch_vccnz .LBB174_245
; %bb.244:
	s_wait_loadcnt 0x0
	global_load_b32 v2, v[0:1], off
.LBB174_245:
	s_mov_b32 s14, 0
.LBB174_246:
	s_delay_alu instid0(SALU_CYCLE_1)
	s_and_not1_b32 vcc_lo, exec_lo, s14
	s_cbranch_vccnz .LBB174_248
; %bb.247:
	s_wait_loadcnt 0x0
	global_load_u16 v2, v[0:1], off
.LBB174_248:
	s_mov_b32 s14, 0
.LBB174_249:
	s_delay_alu instid0(SALU_CYCLE_1)
	s_and_not1_b32 vcc_lo, exec_lo, s14
	s_cbranch_vccnz .LBB174_255
; %bb.250:
	s_cmp_gt_i32 s0, 0
	s_mov_b32 s0, 0
	s_cbranch_scc0 .LBB174_252
; %bb.251:
	s_wait_loadcnt 0x0
	global_load_u8 v2, v[0:1], off
	s_branch .LBB174_253
.LBB174_252:
	s_mov_b32 s0, -1
                                        ; implicit-def: $vgpr2
.LBB174_253:
	s_delay_alu instid0(SALU_CYCLE_1)
	s_and_not1_b32 vcc_lo, exec_lo, s0
	s_cbranch_vccnz .LBB174_255
; %bb.254:
	s_wait_loadcnt 0x0
	global_load_u8 v2, v[0:1], off
.LBB174_255:
	s_branch .LBB174_11
.LBB174_256:
	s_mov_b32 s0, 0
.LBB174_257:
	s_mov_b32 s19, 0
                                        ; implicit-def: $vgpr6
.LBB174_258:
	s_and_b32 s14, s0, exec_lo
	s_and_b32 s16, s16, exec_lo
	s_or_not1_b32 s20, s19, exec_lo
.LBB174_259:
	s_wait_xcnt 0x0
	s_or_b32 exec_lo, exec_lo, s17
	s_mov_b32 s19, 0
	s_mov_b32 s0, 0
                                        ; implicit-def: $vgpr0_vgpr1
                                        ; implicit-def: $vgpr2
	s_and_saveexec_b32 s17, s20
	s_cbranch_execz .LBB174_268
; %bb.260:
	s_mov_b32 s0, -1
	s_mov_b32 s18, s16
	s_mov_b32 s19, s14
	s_mov_b32 s20, exec_lo
	v_cmpx_gt_i32_e64 s15, v6
	s_cbranch_execz .LBB174_529
; %bb.261:
	v_mul_lo_u32 v0, v6, s9
	s_and_b32 s0, 0xffff, s12
	s_delay_alu instid0(SALU_CYCLE_1) | instskip(NEXT) | instid1(VALU_DEP_1)
	s_cmp_lt_i32 s0, 11
	v_ashrrev_i32_e32 v1, 31, v0
	s_delay_alu instid0(VALU_DEP_1)
	v_add_nc_u64_e32 v[0:1], s[6:7], v[0:1]
	s_cbranch_scc1 .LBB174_271
; %bb.262:
	s_cmp_gt_i32 s0, 25
	s_cbranch_scc0 .LBB174_276
; %bb.263:
	s_cmp_gt_i32 s0, 28
	s_cbranch_scc0 .LBB174_280
	;; [unrolled: 3-line block ×4, first 2 shown]
; %bb.266:
	s_cmp_eq_u32 s0, 46
	s_mov_b32 s21, 0
	s_cbranch_scc0 .LBB174_303
; %bb.267:
	s_wait_loadcnt 0x0
	global_load_b32 v2, v[0:1], off
	s_mov_b32 s19, -1
	s_mov_b32 s18, 0
	s_wait_loadcnt 0x0
	v_lshlrev_b32_e32 v2, 16, v2
	s_delay_alu instid0(VALU_DEP_1) | instskip(NEXT) | instid1(VALU_DEP_1)
	v_trunc_f32_e32 v2, v2
	v_mul_f32_e64 v3, 0x2f800000, |v2|
	s_delay_alu instid0(VALU_DEP_1) | instskip(NEXT) | instid1(VALU_DEP_1)
	v_floor_f32_e32 v3, v3
	v_fma_f32 v3, 0xcf800000, v3, |v2|
	v_ashrrev_i32_e32 v2, 31, v2
	s_delay_alu instid0(VALU_DEP_2) | instskip(NEXT) | instid1(VALU_DEP_1)
	v_cvt_u32_f32_e32 v3, v3
	v_xor_b32_e32 v3, v3, v2
	s_delay_alu instid0(VALU_DEP_1)
	v_sub_nc_u32_e32 v2, v3, v2
	s_branch .LBB174_305
.LBB174_268:
	s_or_b32 exec_lo, exec_lo, s17
	s_mov_b32 s15, 0
	s_and_saveexec_b32 s17, s16
	s_cbranch_execnz .LBB174_881
.LBB174_269:
	s_or_b32 exec_lo, exec_lo, s17
	s_and_saveexec_b32 s16, s18
	s_delay_alu instid0(SALU_CYCLE_1)
	s_xor_b32 s16, exec_lo, s16
	s_cbranch_execz .LBB174_882
.LBB174_270:
	s_wait_loadcnt 0x0
	global_load_u8 v2, v[0:1], off
	s_or_b32 s0, s0, exec_lo
	s_wait_loadcnt 0x0
	v_cmp_ne_u16_e32 vcc_lo, 0, v2
	v_cndmask_b32_e64 v2, 0, 1, vcc_lo
	s_wait_xcnt 0x0
	s_or_b32 exec_lo, exec_lo, s16
	s_and_saveexec_b32 s16, s19
	s_cbranch_execz .LBB174_928
	s_branch .LBB174_883
.LBB174_271:
	s_mov_b32 s19, 0
	s_mov_b32 s18, s16
                                        ; implicit-def: $vgpr2
	s_cbranch_execnz .LBB174_478
.LBB174_272:
	s_and_not1_b32 vcc_lo, exec_lo, s19
	s_cbranch_vccnz .LBB174_526
.LBB174_273:
	s_cmp_lt_i32 s10, 1
	s_mov_b32 s0, 0
	s_cbranch_scc1 .LBB174_277
; %bb.274:
	s_cmp_eq_u32 s10, 1
	s_cbranch_scc0 .LBB174_281
; %bb.275:
	s_wait_loadcnt 0x0
	s_delay_alu instid0(VALU_DEP_1)
	v_and_b32_e32 v0, 0xff, v2
	s_and_b32 s19, s11, 0xff
	s_delay_alu instid0(VALU_DEP_1) | instid1(SALU_CYCLE_1)
	v_min_u16 v3, v0, s19
	s_mov_b32 s19, 0
	s_branch .LBB174_282
.LBB174_276:
	s_mov_b32 s21, -1
	s_mov_b32 s19, 0
	s_mov_b32 s18, s16
                                        ; implicit-def: $vgpr2
	s_branch .LBB174_444
.LBB174_277:
	s_mov_b32 s19, 0
                                        ; implicit-def: $vgpr3
	s_cbranch_execnz .LBB174_283
.LBB174_278:
	s_wait_loadcnt 0x0
	s_delay_alu instid0(VALU_DEP_1)
	v_and_b32_e32 v0, 0xff, v2
	s_and_not1_b32 vcc_lo, exec_lo, s19
	s_cbranch_vccnz .LBB174_284
.LBB174_279:
	s_and_b32 s0, s11, 0xff
	s_delay_alu instid0(VALU_DEP_1) | instid1(SALU_CYCLE_1)
	v_max_u16 v1, v0, s0
	s_delay_alu instid0(VALU_DEP_1)
	v_min_u16 v3, v1, s1
	s_cbranch_execz .LBB174_285
	s_branch .LBB174_286
.LBB174_280:
	s_mov_b32 s21, -1
	s_mov_b32 s19, 0
	s_mov_b32 s18, s16
                                        ; implicit-def: $vgpr2
	s_branch .LBB174_427
.LBB174_281:
	s_mov_b32 s19, -1
                                        ; implicit-def: $vgpr3
.LBB174_282:
	s_branch .LBB174_278
.LBB174_283:
	s_cmp_lg_u32 s10, 0
	s_mov_b32 s0, -1
	s_cselect_b32 s19, -1, 0
	s_wait_loadcnt 0x0
	s_delay_alu instid0(VALU_DEP_1)
	v_and_b32_e32 v0, 0xff, v2
	s_and_not1_b32 vcc_lo, exec_lo, s19
	s_cbranch_vccz .LBB174_279
.LBB174_284:
	s_and_not1_b32 vcc_lo, exec_lo, s0
	s_cbranch_vccnz .LBB174_286
.LBB174_285:
	s_and_b32 s0, s11, 0xff
	s_delay_alu instid0(SALU_CYCLE_1)
	v_max_u16 v3, v0, s0
.LBB174_286:
	v_mul_lo_u32 v0, v6, s8
	s_and_b32 s19, s2, 0xff
	s_delay_alu instid0(SALU_CYCLE_1) | instskip(NEXT) | instid1(VALU_DEP_1)
	s_cmp_lt_i32 s19, 11
	v_ashrrev_i32_e32 v1, 31, v0
	s_delay_alu instid0(VALU_DEP_1)
	v_add_nc_u64_e32 v[0:1], s[4:5], v[0:1]
	s_cbranch_scc1 .LBB174_293
; %bb.287:
	s_and_b32 s21, 0xffff, s19
	s_delay_alu instid0(SALU_CYCLE_1)
	s_cmp_gt_i32 s21, 25
	s_cbranch_scc0 .LBB174_294
; %bb.288:
	s_cmp_gt_i32 s21, 28
	s_cbranch_scc0 .LBB174_296
; %bb.289:
	;; [unrolled: 3-line block ×4, first 2 shown]
	s_mov_b32 s23, 0
	s_mov_b32 s0, -1
	s_cmp_eq_u32 s21, 46
	s_mov_b32 s22, 0
	s_cbranch_scc0 .LBB174_309
; %bb.292:
	v_cvt_f32_ubyte0_e32 v2, v3
	s_mov_b32 s22, -1
	s_mov_b32 s0, 0
	s_delay_alu instid0(VALU_DEP_1) | instskip(NEXT) | instid1(VALU_DEP_1)
	v_bfe_u32 v4, v2, 16, 1
	v_add3_u32 v2, v2, v4, 0x7fff
	s_delay_alu instid0(VALU_DEP_1)
	v_lshrrev_b32_e32 v2, 16, v2
	global_store_b32 v[0:1], v2, off
	s_branch .LBB174_309
.LBB174_293:
	s_mov_b32 s21, -1
	s_mov_b32 s22, 0
	s_mov_b32 s0, s14
	s_branch .LBB174_378
.LBB174_294:
	s_mov_b32 s23, -1
	s_mov_b32 s22, 0
	s_mov_b32 s0, s14
	s_branch .LBB174_336
.LBB174_295:
	s_mov_b32 s21, -1
	s_mov_b32 s19, 0
	s_mov_b32 s18, s16
                                        ; implicit-def: $vgpr2
	s_branch .LBB174_422
.LBB174_296:
	s_mov_b32 s23, -1
	s_mov_b32 s22, 0
	s_mov_b32 s0, s14
	s_branch .LBB174_319
.LBB174_297:
	s_and_not1_saveexec_b32 s22, s22
	s_cbranch_execz .LBB174_65
.LBB174_298:
	v_add_f32_e32 v2, 0x46000000, v4
	s_and_not1_b32 s21, s21, exec_lo
	s_delay_alu instid0(VALU_DEP_1) | instskip(NEXT) | instid1(VALU_DEP_1)
	v_and_b32_e32 v2, 0xff, v2
	v_cmp_ne_u32_e32 vcc_lo, 0, v2
	s_and_b32 s23, vcc_lo, exec_lo
	s_delay_alu instid0(SALU_CYCLE_1)
	s_or_b32 s21, s21, s23
	s_or_b32 exec_lo, exec_lo, s22
	v_mov_b32_e32 v5, 0
	s_and_saveexec_b32 s22, s21
	s_cbranch_execnz .LBB174_66
	s_branch .LBB174_67
.LBB174_299:
	s_mov_b32 s21, -1
	s_mov_b32 s19, 0
	s_mov_b32 s18, s16
	s_branch .LBB174_304
.LBB174_300:
	s_mov_b32 s23, -1
	s_mov_b32 s22, 0
	s_mov_b32 s0, s14
	s_branch .LBB174_315
.LBB174_301:
	s_and_not1_saveexec_b32 s22, s22
	s_cbranch_execz .LBB174_78
.LBB174_302:
	v_add_f32_e32 v2, 0x42800000, v4
	s_and_not1_b32 s21, s21, exec_lo
	s_delay_alu instid0(VALU_DEP_1) | instskip(NEXT) | instid1(VALU_DEP_1)
	v_and_b32_e32 v2, 0xff, v2
	v_cmp_ne_u32_e32 vcc_lo, 0, v2
	s_and_b32 s23, vcc_lo, exec_lo
	s_delay_alu instid0(SALU_CYCLE_1)
	s_or_b32 s21, s21, s23
	s_or_b32 exec_lo, exec_lo, s22
	v_mov_b32_e32 v5, 0
	s_and_saveexec_b32 s22, s21
	s_cbranch_execnz .LBB174_79
	s_branch .LBB174_80
.LBB174_303:
	s_mov_b32 s18, -1
	s_mov_b32 s19, 0
.LBB174_304:
                                        ; implicit-def: $vgpr2
.LBB174_305:
	s_and_b32 vcc_lo, exec_lo, s21
	s_cbranch_vccz .LBB174_421
; %bb.306:
	s_cmp_eq_u32 s0, 44
	s_cbranch_scc0 .LBB174_420
; %bb.307:
	s_wait_loadcnt 0x0
	global_load_u8 v2, v[0:1], off
	s_mov_b32 s18, 0
	s_mov_b32 s19, -1
	s_wait_loadcnt 0x0
	v_lshlrev_b32_e32 v3, 23, v2
	v_cmp_ne_u32_e32 vcc_lo, 0, v2
	s_delay_alu instid0(VALU_DEP_2) | instskip(NEXT) | instid1(VALU_DEP_1)
	v_trunc_f32_e32 v3, v3
	v_mul_f32_e64 v4, 0x2f800000, |v3|
	s_delay_alu instid0(VALU_DEP_1) | instskip(NEXT) | instid1(VALU_DEP_1)
	v_floor_f32_e32 v4, v4
	v_fma_f32 v4, 0xcf800000, v4, |v3|
	v_ashrrev_i32_e32 v3, 31, v3
	s_delay_alu instid0(VALU_DEP_2) | instskip(NEXT) | instid1(VALU_DEP_1)
	v_cvt_u32_f32_e32 v4, v4
	v_xor_b32_e32 v4, v4, v3
	s_delay_alu instid0(VALU_DEP_1) | instskip(NEXT) | instid1(VALU_DEP_1)
	v_sub_nc_u32_e32 v3, v4, v3
	v_cndmask_b32_e32 v2, 0, v3, vcc_lo
	s_branch .LBB174_421
.LBB174_308:
	s_mov_b32 s23, -1
	s_mov_b32 s22, 0
	s_mov_b32 s0, s14
.LBB174_309:
	s_and_b32 vcc_lo, exec_lo, s23
	s_cbranch_vccz .LBB174_314
; %bb.310:
	s_cmp_eq_u32 s21, 44
	s_mov_b32 s0, -1
	s_cbranch_scc0 .LBB174_314
; %bb.311:
	v_cvt_f32_ubyte0_e32 v5, v3
	v_mov_b32_e32 v4, 0xff
	s_mov_b32 s22, exec_lo
	s_wait_xcnt 0x0
	s_delay_alu instid0(VALU_DEP_2) | instskip(NEXT) | instid1(VALU_DEP_1)
	v_lshrrev_b32_e32 v2, 23, v5
	v_cmpx_ne_u32_e32 0xff, v2
; %bb.312:
	v_and_b32_e32 v4, 0x400000, v5
	v_and_or_b32 v5, 0x3fffff, v5, v2
	s_delay_alu instid0(VALU_DEP_2) | instskip(NEXT) | instid1(VALU_DEP_2)
	v_cmp_ne_u32_e32 vcc_lo, 0, v4
	v_cmp_ne_u32_e64 s0, 0, v5
	s_and_b32 s0, vcc_lo, s0
	s_delay_alu instid0(SALU_CYCLE_1) | instskip(NEXT) | instid1(VALU_DEP_1)
	v_cndmask_b32_e64 v4, 0, 1, s0
	v_add_nc_u32_e32 v4, v2, v4
; %bb.313:
	s_or_b32 exec_lo, exec_lo, s22
	s_mov_b32 s22, -1
	s_mov_b32 s0, 0
	global_store_b8 v[0:1], v4, off
.LBB174_314:
	s_mov_b32 s23, 0
.LBB174_315:
	s_delay_alu instid0(SALU_CYCLE_1)
	s_and_b32 vcc_lo, exec_lo, s23
	s_cbranch_vccz .LBB174_318
; %bb.316:
	s_cmp_eq_u32 s21, 29
	s_mov_b32 s0, -1
	s_cbranch_scc0 .LBB174_318
; %bb.317:
	s_wait_xcnt 0x0
	v_and_b32_e32 v4, 0xff, v3
	v_mov_b32_e32 v5, 0
	s_mov_b32 s22, -1
	s_mov_b32 s0, 0
	s_mov_b32 s23, 0
	global_store_b64 v[0:1], v[4:5], off
	s_branch .LBB174_319
.LBB174_318:
	s_mov_b32 s23, 0
.LBB174_319:
	s_delay_alu instid0(SALU_CYCLE_1)
	s_and_b32 vcc_lo, exec_lo, s23
	s_cbranch_vccz .LBB174_335
; %bb.320:
	s_cmp_lt_i32 s21, 27
	s_mov_b32 s22, -1
	s_cbranch_scc1 .LBB174_326
; %bb.321:
	s_cmp_gt_i32 s21, 27
	s_cbranch_scc0 .LBB174_323
; %bb.322:
	s_wait_xcnt 0x0
	v_and_b32_e32 v2, 0xff, v3
	s_mov_b32 s22, 0
	global_store_b32 v[0:1], v2, off
.LBB174_323:
	s_and_not1_b32 vcc_lo, exec_lo, s22
	s_cbranch_vccnz .LBB174_325
; %bb.324:
	s_wait_xcnt 0x0
	v_and_b32_e32 v2, 0xff, v3
	global_store_b16 v[0:1], v2, off
.LBB174_325:
	s_mov_b32 s22, 0
.LBB174_326:
	s_delay_alu instid0(SALU_CYCLE_1)
	s_and_not1_b32 vcc_lo, exec_lo, s22
	s_cbranch_vccnz .LBB174_334
; %bb.327:
	s_wait_xcnt 0x0
	v_cvt_f32_ubyte0_e32 v4, v3
	v_mov_b32_e32 v5, 0x80
	s_mov_b32 s22, exec_lo
	s_delay_alu instid0(VALU_DEP_2)
	v_cmpx_gt_u32_e32 0x43800000, v4
	s_cbranch_execz .LBB174_333
; %bb.328:
	s_mov_b32 s23, 0
	s_mov_b32 s24, exec_lo
                                        ; implicit-def: $vgpr2
	v_cmpx_lt_u32_e32 0x3bffffff, v4
	s_xor_b32 s24, exec_lo, s24
	s_cbranch_execz .LBB174_542
; %bb.329:
	v_bfe_u32 v2, v4, 20, 1
	s_mov_b32 s23, exec_lo
	s_delay_alu instid0(VALU_DEP_1) | instskip(NEXT) | instid1(VALU_DEP_1)
	v_add3_u32 v2, v4, v2, 0x487ffff
                                        ; implicit-def: $vgpr4
	v_lshrrev_b32_e32 v2, 20, v2
	s_and_not1_saveexec_b32 s24, s24
	s_cbranch_execnz .LBB174_543
.LBB174_330:
	s_or_b32 exec_lo, exec_lo, s24
	v_mov_b32_e32 v5, 0
	s_and_saveexec_b32 s24, s23
.LBB174_331:
	v_mov_b32_e32 v5, v2
.LBB174_332:
	s_or_b32 exec_lo, exec_lo, s24
.LBB174_333:
	s_delay_alu instid0(SALU_CYCLE_1)
	s_or_b32 exec_lo, exec_lo, s22
	global_store_b8 v[0:1], v5, off
.LBB174_334:
	s_mov_b32 s22, -1
.LBB174_335:
	s_mov_b32 s23, 0
.LBB174_336:
	s_delay_alu instid0(SALU_CYCLE_1)
	s_and_b32 vcc_lo, exec_lo, s23
	s_cbranch_vccz .LBB174_377
; %bb.337:
	s_cmp_gt_i32 s21, 22
	s_mov_b32 s23, -1
	s_cbranch_scc0 .LBB174_369
; %bb.338:
	s_cmp_lt_i32 s21, 24
	s_mov_b32 s22, -1
	s_cbranch_scc1 .LBB174_358
; %bb.339:
	s_cmp_gt_i32 s21, 24
	s_cbranch_scc0 .LBB174_347
; %bb.340:
	s_wait_xcnt 0x0
	v_cvt_f32_ubyte0_e32 v4, v3
	v_mov_b32_e32 v5, 0x80
	s_mov_b32 s22, exec_lo
	s_delay_alu instid0(VALU_DEP_2)
	v_cmpx_gt_u32_e32 0x47800000, v4
	s_cbranch_execz .LBB174_346
; %bb.341:
	s_mov_b32 s23, 0
	s_mov_b32 s24, exec_lo
                                        ; implicit-def: $vgpr2
	v_cmpx_lt_u32_e32 0x37ffffff, v4
	s_xor_b32 s24, exec_lo, s24
	s_cbranch_execz .LBB174_545
; %bb.342:
	v_bfe_u32 v2, v4, 21, 1
	s_mov_b32 s23, exec_lo
	s_delay_alu instid0(VALU_DEP_1) | instskip(NEXT) | instid1(VALU_DEP_1)
	v_add3_u32 v2, v4, v2, 0x88fffff
                                        ; implicit-def: $vgpr4
	v_lshrrev_b32_e32 v2, 21, v2
	s_and_not1_saveexec_b32 s24, s24
	s_cbranch_execnz .LBB174_546
.LBB174_343:
	s_or_b32 exec_lo, exec_lo, s24
	v_mov_b32_e32 v5, 0
	s_and_saveexec_b32 s24, s23
.LBB174_344:
	v_mov_b32_e32 v5, v2
.LBB174_345:
	s_or_b32 exec_lo, exec_lo, s24
.LBB174_346:
	s_delay_alu instid0(SALU_CYCLE_1)
	s_or_b32 exec_lo, exec_lo, s22
	s_mov_b32 s22, 0
	global_store_b8 v[0:1], v5, off
.LBB174_347:
	s_and_b32 vcc_lo, exec_lo, s22
	s_cbranch_vccz .LBB174_357
; %bb.348:
	s_wait_xcnt 0x0
	v_cvt_f32_ubyte0_e32 v4, v3
	s_mov_b32 s22, exec_lo
                                        ; implicit-def: $vgpr2
	s_delay_alu instid0(VALU_DEP_1)
	v_cmpx_gt_u32_e32 0x43f00000, v4
	s_xor_b32 s22, exec_lo, s22
	s_cbranch_execz .LBB174_354
; %bb.349:
	s_mov_b32 s23, exec_lo
                                        ; implicit-def: $vgpr2
	v_cmpx_lt_u32_e32 0x3c7fffff, v4
	s_xor_b32 s23, exec_lo, s23
; %bb.350:
	v_bfe_u32 v2, v4, 20, 1
	s_delay_alu instid0(VALU_DEP_1) | instskip(NEXT) | instid1(VALU_DEP_1)
	v_add3_u32 v2, v4, v2, 0x407ffff
	v_and_b32_e32 v4, 0xff00000, v2
	v_lshrrev_b32_e32 v2, 20, v2
	s_delay_alu instid0(VALU_DEP_2) | instskip(NEXT) | instid1(VALU_DEP_2)
	v_cmp_ne_u32_e32 vcc_lo, 0x7f00000, v4
                                        ; implicit-def: $vgpr4
	v_cndmask_b32_e32 v2, 0x7e, v2, vcc_lo
; %bb.351:
	s_and_not1_saveexec_b32 s23, s23
; %bb.352:
	v_add_f32_e32 v2, 0x46800000, v4
; %bb.353:
	s_or_b32 exec_lo, exec_lo, s23
                                        ; implicit-def: $vgpr4
.LBB174_354:
	s_and_not1_saveexec_b32 s22, s22
; %bb.355:
	v_mov_b32_e32 v2, 0x7f
	v_cmp_lt_u32_e32 vcc_lo, 0x7f800000, v4
	s_delay_alu instid0(VALU_DEP_2)
	v_cndmask_b32_e32 v2, 0x7e, v2, vcc_lo
; %bb.356:
	s_or_b32 exec_lo, exec_lo, s22
	global_store_b8 v[0:1], v2, off
.LBB174_357:
	s_mov_b32 s22, 0
.LBB174_358:
	s_delay_alu instid0(SALU_CYCLE_1)
	s_and_not1_b32 vcc_lo, exec_lo, s22
	s_cbranch_vccnz .LBB174_368
; %bb.359:
	s_wait_xcnt 0x0
	v_cvt_f32_ubyte0_e32 v4, v3
	s_mov_b32 s22, exec_lo
                                        ; implicit-def: $vgpr2
	s_delay_alu instid0(VALU_DEP_1)
	v_cmpx_gt_u32_e32 0x47800000, v4
	s_xor_b32 s22, exec_lo, s22
	s_cbranch_execz .LBB174_365
; %bb.360:
	s_mov_b32 s23, exec_lo
                                        ; implicit-def: $vgpr2
	v_cmpx_lt_u32_e32 0x387fffff, v4
	s_xor_b32 s23, exec_lo, s23
; %bb.361:
	v_bfe_u32 v2, v4, 21, 1
	s_delay_alu instid0(VALU_DEP_1) | instskip(NEXT) | instid1(VALU_DEP_1)
	v_add3_u32 v2, v4, v2, 0x80fffff
                                        ; implicit-def: $vgpr4
	v_lshrrev_b32_e32 v2, 21, v2
; %bb.362:
	s_and_not1_saveexec_b32 s23, s23
; %bb.363:
	v_add_f32_e32 v2, 0x43000000, v4
; %bb.364:
	s_or_b32 exec_lo, exec_lo, s23
                                        ; implicit-def: $vgpr4
.LBB174_365:
	s_and_not1_saveexec_b32 s22, s22
; %bb.366:
	v_mov_b32_e32 v2, 0x7f
	v_cmp_lt_u32_e32 vcc_lo, 0x7f800000, v4
	s_delay_alu instid0(VALU_DEP_2)
	v_cndmask_b32_e32 v2, 0x7c, v2, vcc_lo
; %bb.367:
	s_or_b32 exec_lo, exec_lo, s22
	global_store_b8 v[0:1], v2, off
.LBB174_368:
	s_mov_b32 s23, 0
	s_mov_b32 s22, -1
.LBB174_369:
	s_and_not1_b32 vcc_lo, exec_lo, s23
	s_cbranch_vccnz .LBB174_377
; %bb.370:
	s_cmp_gt_i32 s21, 14
	s_mov_b32 s23, -1
	s_cbranch_scc0 .LBB174_374
; %bb.371:
	s_cmp_eq_u32 s21, 15
	s_mov_b32 s0, -1
	s_cbranch_scc0 .LBB174_373
; %bb.372:
	s_wait_xcnt 0x0
	v_cvt_f32_ubyte0_e32 v2, v3
	s_mov_b32 s22, -1
	s_mov_b32 s0, 0
	s_delay_alu instid0(VALU_DEP_1) | instskip(NEXT) | instid1(VALU_DEP_1)
	v_bfe_u32 v4, v2, 16, 1
	v_add3_u32 v2, v2, v4, 0x7fff
	global_store_d16_hi_b16 v[0:1], v2, off
.LBB174_373:
	s_mov_b32 s23, 0
.LBB174_374:
	s_delay_alu instid0(SALU_CYCLE_1)
	s_and_b32 vcc_lo, exec_lo, s23
	s_cbranch_vccz .LBB174_377
; %bb.375:
	s_cmp_eq_u32 s21, 11
	s_mov_b32 s0, -1
	s_cbranch_scc0 .LBB174_377
; %bb.376:
	s_wait_xcnt 0x0
	v_and_b32_e32 v2, 0xff, v3
	s_mov_b32 s0, 0
	s_mov_b32 s22, -1
	s_delay_alu instid0(VALU_DEP_1)
	v_cmp_ne_u16_e32 vcc_lo, 0, v2
	v_cndmask_b32_e64 v2, 0, 1, vcc_lo
	global_store_b8 v[0:1], v2, off
.LBB174_377:
	s_mov_b32 s21, 0
.LBB174_378:
	s_delay_alu instid0(SALU_CYCLE_1)
	s_and_b32 vcc_lo, exec_lo, s21
	s_cbranch_vccz .LBB174_417
; %bb.379:
	s_and_b32 s19, 0xffff, s19
	s_mov_b32 s21, -1
	s_cmp_lt_i32 s19, 5
	s_cbranch_scc1 .LBB174_400
; %bb.380:
	s_cmp_lt_i32 s19, 8
	s_cbranch_scc1 .LBB174_390
; %bb.381:
	;; [unrolled: 3-line block ×3, first 2 shown]
	s_cmp_gt_i32 s19, 9
	s_cbranch_scc0 .LBB174_384
; %bb.383:
	s_wait_xcnt 0x0
	v_and_b32_e32 v2, 0xff, v3
	v_mov_b32_e32 v10, 0
	s_mov_b32 s21, 0
	s_delay_alu instid0(VALU_DEP_2) | instskip(NEXT) | instid1(VALU_DEP_2)
	v_and_b32_e32 v2, 0xffff, v2
	v_mov_b32_e32 v11, v10
	s_delay_alu instid0(VALU_DEP_2)
	v_cvt_f64_u32_e32 v[8:9], v2
	global_store_b128 v[0:1], v[8:11], off
.LBB174_384:
	s_and_not1_b32 vcc_lo, exec_lo, s21
	s_cbranch_vccnz .LBB174_386
; %bb.385:
	s_wait_xcnt 0x0
	v_cvt_f32_ubyte0_e32 v4, v3
	v_mov_b32_e32 v5, 0
	global_store_b64 v[0:1], v[4:5], off
.LBB174_386:
	s_mov_b32 s21, 0
.LBB174_387:
	s_delay_alu instid0(SALU_CYCLE_1)
	s_and_not1_b32 vcc_lo, exec_lo, s21
	s_cbranch_vccnz .LBB174_389
; %bb.388:
	s_wait_xcnt 0x0
	v_and_b32_e32 v2, 0xff, v3
	s_delay_alu instid0(VALU_DEP_1) | instskip(NEXT) | instid1(VALU_DEP_1)
	v_cvt_f16_u16_e32 v2, v2
	v_and_b32_e32 v2, 0xffff, v2
	global_store_b32 v[0:1], v2, off
.LBB174_389:
	s_mov_b32 s21, 0
.LBB174_390:
	s_delay_alu instid0(SALU_CYCLE_1)
	s_and_not1_b32 vcc_lo, exec_lo, s21
	s_cbranch_vccnz .LBB174_399
; %bb.391:
	s_cmp_lt_i32 s19, 6
	s_mov_b32 s21, -1
	s_cbranch_scc1 .LBB174_397
; %bb.392:
	s_cmp_gt_i32 s19, 6
	s_cbranch_scc0 .LBB174_394
; %bb.393:
	s_wait_xcnt 0x0
	v_and_b32_e32 v2, 0xff, v3
	s_mov_b32 s21, 0
	s_delay_alu instid0(VALU_DEP_1) | instskip(NEXT) | instid1(VALU_DEP_1)
	v_and_b32_e32 v2, 0xffff, v2
	v_cvt_f64_u32_e32 v[4:5], v2
	global_store_b64 v[0:1], v[4:5], off
.LBB174_394:
	s_and_not1_b32 vcc_lo, exec_lo, s21
	s_cbranch_vccnz .LBB174_396
; %bb.395:
	s_wait_xcnt 0x0
	v_cvt_f32_ubyte0_e32 v2, v3
	global_store_b32 v[0:1], v2, off
.LBB174_396:
	s_mov_b32 s21, 0
.LBB174_397:
	s_delay_alu instid0(SALU_CYCLE_1)
	s_and_not1_b32 vcc_lo, exec_lo, s21
	s_cbranch_vccnz .LBB174_399
; %bb.398:
	s_wait_xcnt 0x0
	v_and_b32_e32 v2, 0xff, v3
	s_delay_alu instid0(VALU_DEP_1)
	v_cvt_f16_u16_e32 v2, v2
	global_store_b16 v[0:1], v2, off
.LBB174_399:
	s_mov_b32 s21, 0
.LBB174_400:
	s_delay_alu instid0(SALU_CYCLE_1)
	s_and_not1_b32 vcc_lo, exec_lo, s21
	s_cbranch_vccnz .LBB174_416
; %bb.401:
	s_cmp_lt_i32 s19, 2
	s_mov_b32 s21, -1
	s_cbranch_scc1 .LBB174_411
; %bb.402:
	s_cmp_lt_i32 s19, 3
	s_cbranch_scc1 .LBB174_408
; %bb.403:
	s_cmp_gt_i32 s19, 3
	s_cbranch_scc0 .LBB174_405
; %bb.404:
	s_wait_xcnt 0x0
	v_and_b32_e32 v4, 0xff, v3
	v_mov_b32_e32 v5, 0
	s_mov_b32 s21, 0
	global_store_b64 v[0:1], v[4:5], off
.LBB174_405:
	s_and_not1_b32 vcc_lo, exec_lo, s21
	s_cbranch_vccnz .LBB174_407
; %bb.406:
	s_wait_xcnt 0x0
	v_and_b32_e32 v2, 0xff, v3
	global_store_b32 v[0:1], v2, off
.LBB174_407:
	s_mov_b32 s21, 0
.LBB174_408:
	s_delay_alu instid0(SALU_CYCLE_1)
	s_and_not1_b32 vcc_lo, exec_lo, s21
	s_cbranch_vccnz .LBB174_410
; %bb.409:
	s_wait_xcnt 0x0
	v_and_b32_e32 v2, 0xff, v3
	global_store_b16 v[0:1], v2, off
.LBB174_410:
	s_mov_b32 s21, 0
.LBB174_411:
	s_delay_alu instid0(SALU_CYCLE_1)
	s_and_not1_b32 vcc_lo, exec_lo, s21
	s_cbranch_vccnz .LBB174_416
; %bb.412:
	s_cmp_gt_i32 s19, 0
	s_mov_b32 s19, -1
	s_cbranch_scc0 .LBB174_414
; %bb.413:
	s_mov_b32 s19, 0
	global_store_b8 v[0:1], v3, off
.LBB174_414:
	s_and_not1_b32 vcc_lo, exec_lo, s19
	s_cbranch_vccnz .LBB174_416
; %bb.415:
	global_store_b8 v[0:1], v3, off
.LBB174_416:
	s_mov_b32 s22, -1
.LBB174_417:
	s_delay_alu instid0(SALU_CYCLE_1)
	s_and_not1_b32 vcc_lo, exec_lo, s22
	s_cbranch_vccnz .LBB174_419
; %bb.418:
	v_add_nc_u32_e32 v6, 0x80, v6
	s_mov_b32 s21, -1
	s_branch .LBB174_528
.LBB174_419:
	s_mov_b32 s21, 0
	s_branch .LBB174_527
.LBB174_420:
	s_mov_b32 s18, -1
                                        ; implicit-def: $vgpr2
.LBB174_421:
	s_mov_b32 s21, 0
.LBB174_422:
	s_delay_alu instid0(SALU_CYCLE_1)
	s_and_b32 vcc_lo, exec_lo, s21
	s_cbranch_vccz .LBB174_426
; %bb.423:
	s_cmp_eq_u32 s0, 29
	s_cbranch_scc0 .LBB174_425
; %bb.424:
	s_wait_loadcnt 0x0
	global_load_b64 v[2:3], v[0:1], off
	s_mov_b32 s19, -1
	s_mov_b32 s18, 0
	s_branch .LBB174_426
.LBB174_425:
	s_mov_b32 s18, -1
                                        ; implicit-def: $vgpr2
.LBB174_426:
	s_mov_b32 s21, 0
.LBB174_427:
	s_delay_alu instid0(SALU_CYCLE_1)
	s_and_b32 vcc_lo, exec_lo, s21
	s_cbranch_vccz .LBB174_443
; %bb.428:
	s_cmp_lt_i32 s0, 27
	s_cbranch_scc1 .LBB174_431
; %bb.429:
	s_cmp_gt_i32 s0, 27
	s_cbranch_scc0 .LBB174_432
; %bb.430:
	s_wait_loadcnt 0x0
	global_load_b32 v2, v[0:1], off
	s_mov_b32 s19, 0
	s_branch .LBB174_433
.LBB174_431:
	s_mov_b32 s19, -1
                                        ; implicit-def: $vgpr2
	s_branch .LBB174_436
.LBB174_432:
	s_mov_b32 s19, -1
                                        ; implicit-def: $vgpr2
.LBB174_433:
	s_delay_alu instid0(SALU_CYCLE_1)
	s_and_not1_b32 vcc_lo, exec_lo, s19
	s_cbranch_vccnz .LBB174_435
; %bb.434:
	s_wait_loadcnt 0x0
	global_load_u16 v2, v[0:1], off
.LBB174_435:
	s_mov_b32 s19, 0
.LBB174_436:
	s_delay_alu instid0(SALU_CYCLE_1)
	s_and_not1_b32 vcc_lo, exec_lo, s19
	s_cbranch_vccnz .LBB174_442
; %bb.437:
	s_wait_loadcnt 0x0
	global_load_u8 v3, v[0:1], off
	s_mov_b32 s21, 0
	s_mov_b32 s19, exec_lo
	s_wait_loadcnt 0x0
	v_cmpx_lt_i16_e32 0x7f, v3
	s_xor_b32 s19, exec_lo, s19
	s_cbranch_execz .LBB174_454
; %bb.438:
	v_cmp_ne_u16_e32 vcc_lo, 0x80, v3
	s_and_b32 s21, vcc_lo, exec_lo
	s_and_not1_saveexec_b32 s19, s19
	s_cbranch_execnz .LBB174_455
.LBB174_439:
	s_or_b32 exec_lo, exec_lo, s19
	v_mov_b32_e32 v2, 0
	s_and_saveexec_b32 s19, s21
	s_cbranch_execz .LBB174_441
.LBB174_440:
	v_and_b32_e32 v2, 0xffff, v3
	s_delay_alu instid0(VALU_DEP_1) | instskip(SKIP_1) | instid1(VALU_DEP_2)
	v_and_b32_e32 v4, 7, v2
	v_bfe_u32 v8, v2, 3, 4
	v_clz_i32_u32_e32 v5, v4
	s_delay_alu instid0(VALU_DEP_2) | instskip(NEXT) | instid1(VALU_DEP_2)
	v_cmp_eq_u32_e32 vcc_lo, 0, v8
	v_min_u32_e32 v5, 32, v5
	s_delay_alu instid0(VALU_DEP_1) | instskip(NEXT) | instid1(VALU_DEP_1)
	v_subrev_nc_u32_e32 v7, 28, v5
	v_dual_lshlrev_b32 v2, v7, v2 :: v_dual_sub_nc_u32 v5, 29, v5
	s_delay_alu instid0(VALU_DEP_1) | instskip(NEXT) | instid1(VALU_DEP_2)
	v_dual_lshlrev_b32 v3, 24, v3 :: v_dual_bitop2_b32 v2, 7, v2 bitop3:0x40
	v_cndmask_b32_e32 v5, v8, v5, vcc_lo
	s_delay_alu instid0(VALU_DEP_2) | instskip(NEXT) | instid1(VALU_DEP_3)
	v_cndmask_b32_e32 v2, v4, v2, vcc_lo
	v_and_b32_e32 v3, 0x80000000, v3
	s_delay_alu instid0(VALU_DEP_3) | instskip(NEXT) | instid1(VALU_DEP_3)
	v_lshl_add_u32 v4, v5, 23, 0x3b800000
	v_lshlrev_b32_e32 v2, 20, v2
	s_delay_alu instid0(VALU_DEP_1) | instskip(NEXT) | instid1(VALU_DEP_1)
	v_or3_b32 v2, v3, v4, v2
	v_trunc_f32_e32 v2, v2
	s_delay_alu instid0(VALU_DEP_1) | instskip(NEXT) | instid1(VALU_DEP_1)
	v_mul_f32_e64 v3, 0x2f800000, |v2|
	v_floor_f32_e32 v3, v3
	s_delay_alu instid0(VALU_DEP_1) | instskip(SKIP_1) | instid1(VALU_DEP_2)
	v_fma_f32 v3, 0xcf800000, v3, |v2|
	v_ashrrev_i32_e32 v2, 31, v2
	v_cvt_u32_f32_e32 v3, v3
	s_delay_alu instid0(VALU_DEP_1) | instskip(NEXT) | instid1(VALU_DEP_1)
	v_xor_b32_e32 v3, v3, v2
	v_sub_nc_u32_e32 v2, v3, v2
.LBB174_441:
	s_or_b32 exec_lo, exec_lo, s19
.LBB174_442:
	s_mov_b32 s19, -1
.LBB174_443:
	s_mov_b32 s21, 0
.LBB174_444:
	s_delay_alu instid0(SALU_CYCLE_1)
	s_and_b32 vcc_lo, exec_lo, s21
	s_cbranch_vccz .LBB174_477
; %bb.445:
	s_cmp_gt_i32 s0, 22
	s_cbranch_scc0 .LBB174_453
; %bb.446:
	s_cmp_lt_i32 s0, 24
	s_cbranch_scc1 .LBB174_456
; %bb.447:
	s_cmp_gt_i32 s0, 24
	s_cbranch_scc0 .LBB174_457
; %bb.448:
	s_wait_loadcnt 0x0
	global_load_u8 v3, v[0:1], off
	s_mov_b32 s21, 0
	s_mov_b32 s19, exec_lo
	s_wait_loadcnt 0x0
	v_cmpx_lt_i16_e32 0x7f, v3
	s_xor_b32 s19, exec_lo, s19
	s_cbranch_execz .LBB174_469
; %bb.449:
	v_cmp_ne_u16_e32 vcc_lo, 0x80, v3
	s_and_b32 s21, vcc_lo, exec_lo
	s_and_not1_saveexec_b32 s19, s19
	s_cbranch_execnz .LBB174_470
.LBB174_450:
	s_or_b32 exec_lo, exec_lo, s19
	v_mov_b32_e32 v2, 0
	s_and_saveexec_b32 s19, s21
	s_cbranch_execz .LBB174_452
.LBB174_451:
	v_and_b32_e32 v2, 0xffff, v3
	s_delay_alu instid0(VALU_DEP_1) | instskip(SKIP_1) | instid1(VALU_DEP_2)
	v_and_b32_e32 v4, 3, v2
	v_bfe_u32 v8, v2, 2, 5
	v_clz_i32_u32_e32 v5, v4
	s_delay_alu instid0(VALU_DEP_2) | instskip(NEXT) | instid1(VALU_DEP_2)
	v_cmp_eq_u32_e32 vcc_lo, 0, v8
	v_min_u32_e32 v5, 32, v5
	s_delay_alu instid0(VALU_DEP_1) | instskip(NEXT) | instid1(VALU_DEP_1)
	v_subrev_nc_u32_e32 v7, 29, v5
	v_dual_lshlrev_b32 v2, v7, v2 :: v_dual_sub_nc_u32 v5, 30, v5
	s_delay_alu instid0(VALU_DEP_1) | instskip(NEXT) | instid1(VALU_DEP_2)
	v_dual_lshlrev_b32 v3, 24, v3 :: v_dual_bitop2_b32 v2, 3, v2 bitop3:0x40
	v_cndmask_b32_e32 v5, v8, v5, vcc_lo
	s_delay_alu instid0(VALU_DEP_2) | instskip(NEXT) | instid1(VALU_DEP_3)
	v_cndmask_b32_e32 v2, v4, v2, vcc_lo
	v_and_b32_e32 v3, 0x80000000, v3
	s_delay_alu instid0(VALU_DEP_3) | instskip(NEXT) | instid1(VALU_DEP_3)
	v_lshl_add_u32 v4, v5, 23, 0x37800000
	v_lshlrev_b32_e32 v2, 21, v2
	s_delay_alu instid0(VALU_DEP_1) | instskip(NEXT) | instid1(VALU_DEP_1)
	v_or3_b32 v2, v3, v4, v2
	v_trunc_f32_e32 v2, v2
	s_delay_alu instid0(VALU_DEP_1) | instskip(NEXT) | instid1(VALU_DEP_1)
	v_mul_f32_e64 v3, 0x2f800000, |v2|
	v_floor_f32_e32 v3, v3
	s_delay_alu instid0(VALU_DEP_1) | instskip(SKIP_1) | instid1(VALU_DEP_2)
	v_fma_f32 v3, 0xcf800000, v3, |v2|
	v_ashrrev_i32_e32 v2, 31, v2
	v_cvt_u32_f32_e32 v3, v3
	s_delay_alu instid0(VALU_DEP_1) | instskip(NEXT) | instid1(VALU_DEP_1)
	v_xor_b32_e32 v3, v3, v2
	v_sub_nc_u32_e32 v2, v3, v2
.LBB174_452:
	s_or_b32 exec_lo, exec_lo, s19
	s_mov_b32 s19, 0
	s_branch .LBB174_458
.LBB174_453:
	s_mov_b32 s21, -1
                                        ; implicit-def: $vgpr2
	s_branch .LBB174_464
.LBB174_454:
	s_and_not1_saveexec_b32 s19, s19
	s_cbranch_execz .LBB174_439
.LBB174_455:
	v_cmp_ne_u16_e32 vcc_lo, 0, v3
	s_and_not1_b32 s21, s21, exec_lo
	s_and_b32 s22, vcc_lo, exec_lo
	s_delay_alu instid0(SALU_CYCLE_1)
	s_or_b32 s21, s21, s22
	s_or_b32 exec_lo, exec_lo, s19
	v_mov_b32_e32 v2, 0
	s_and_saveexec_b32 s19, s21
	s_cbranch_execnz .LBB174_440
	s_branch .LBB174_441
.LBB174_456:
	s_mov_b32 s19, -1
                                        ; implicit-def: $vgpr2
	s_branch .LBB174_461
.LBB174_457:
	s_mov_b32 s19, -1
                                        ; implicit-def: $vgpr2
.LBB174_458:
	s_delay_alu instid0(SALU_CYCLE_1)
	s_and_b32 vcc_lo, exec_lo, s19
	s_cbranch_vccz .LBB174_460
; %bb.459:
	s_wait_loadcnt 0x0
	global_load_u8 v2, v[0:1], off
	s_wait_loadcnt 0x0
	v_lshlrev_b32_e32 v2, 24, v2
	s_delay_alu instid0(VALU_DEP_1) | instskip(NEXT) | instid1(VALU_DEP_1)
	v_and_b32_e32 v3, 0x7f000000, v2
	v_clz_i32_u32_e32 v4, v3
	v_add_nc_u32_e32 v7, 0x1000000, v3
	v_cmp_ne_u32_e32 vcc_lo, 0, v3
	s_delay_alu instid0(VALU_DEP_3) | instskip(NEXT) | instid1(VALU_DEP_1)
	v_min_u32_e32 v4, 32, v4
	v_sub_nc_u32_e64 v4, v4, 4 clamp
	s_delay_alu instid0(VALU_DEP_1) | instskip(NEXT) | instid1(VALU_DEP_1)
	v_dual_lshlrev_b32 v5, v4, v3 :: v_dual_lshlrev_b32 v4, 23, v4
	v_lshrrev_b32_e32 v5, 4, v5
	s_delay_alu instid0(VALU_DEP_1) | instskip(NEXT) | instid1(VALU_DEP_1)
	v_dual_sub_nc_u32 v4, v5, v4 :: v_dual_ashrrev_i32 v5, 8, v7
	v_add_nc_u32_e32 v4, 0x3c000000, v4
	s_delay_alu instid0(VALU_DEP_1) | instskip(NEXT) | instid1(VALU_DEP_1)
	v_and_or_b32 v4, 0x7f800000, v5, v4
	v_cndmask_b32_e32 v3, 0, v4, vcc_lo
	s_delay_alu instid0(VALU_DEP_1) | instskip(NEXT) | instid1(VALU_DEP_1)
	v_and_or_b32 v2, 0x80000000, v2, v3
	v_trunc_f32_e32 v2, v2
	s_delay_alu instid0(VALU_DEP_1) | instskip(NEXT) | instid1(VALU_DEP_1)
	v_mul_f32_e64 v3, 0x2f800000, |v2|
	v_floor_f32_e32 v3, v3
	s_delay_alu instid0(VALU_DEP_1) | instskip(SKIP_1) | instid1(VALU_DEP_2)
	v_fma_f32 v3, 0xcf800000, v3, |v2|
	v_ashrrev_i32_e32 v2, 31, v2
	v_cvt_u32_f32_e32 v3, v3
	s_delay_alu instid0(VALU_DEP_1) | instskip(NEXT) | instid1(VALU_DEP_1)
	v_xor_b32_e32 v3, v3, v2
	v_sub_nc_u32_e32 v2, v3, v2
.LBB174_460:
	s_mov_b32 s19, 0
.LBB174_461:
	s_delay_alu instid0(SALU_CYCLE_1)
	s_and_not1_b32 vcc_lo, exec_lo, s19
	s_cbranch_vccnz .LBB174_463
; %bb.462:
	s_wait_loadcnt 0x0
	global_load_u8 v2, v[0:1], off
	s_wait_loadcnt 0x0
	v_lshlrev_b32_e32 v3, 25, v2
	v_lshlrev_b16 v2, 8, v2
	s_delay_alu instid0(VALU_DEP_1) | instskip(SKIP_1) | instid1(VALU_DEP_2)
	v_and_or_b32 v5, 0x7f00, v2, 0.5
	v_bfe_i32 v2, v2, 0, 16
	v_dual_add_f32 v5, -0.5, v5 :: v_dual_lshrrev_b32 v4, 4, v3
	v_cmp_gt_u32_e32 vcc_lo, 0x8000000, v3
	s_delay_alu instid0(VALU_DEP_2) | instskip(NEXT) | instid1(VALU_DEP_1)
	v_or_b32_e32 v4, 0x70000000, v4
	v_mul_f32_e32 v4, 0x7800000, v4
	s_delay_alu instid0(VALU_DEP_1) | instskip(NEXT) | instid1(VALU_DEP_1)
	v_cndmask_b32_e32 v3, v4, v5, vcc_lo
	v_and_or_b32 v2, 0x80000000, v2, v3
	s_delay_alu instid0(VALU_DEP_1) | instskip(NEXT) | instid1(VALU_DEP_1)
	v_trunc_f32_e32 v2, v2
	v_mul_f32_e64 v3, 0x2f800000, |v2|
	s_delay_alu instid0(VALU_DEP_1) | instskip(NEXT) | instid1(VALU_DEP_1)
	v_floor_f32_e32 v3, v3
	v_fma_f32 v3, 0xcf800000, v3, |v2|
	v_ashrrev_i32_e32 v2, 31, v2
	s_delay_alu instid0(VALU_DEP_2) | instskip(NEXT) | instid1(VALU_DEP_1)
	v_cvt_u32_f32_e32 v3, v3
	v_xor_b32_e32 v3, v3, v2
	s_delay_alu instid0(VALU_DEP_1)
	v_sub_nc_u32_e32 v2, v3, v2
.LBB174_463:
	s_mov_b32 s21, 0
	s_mov_b32 s19, -1
.LBB174_464:
	s_and_not1_b32 vcc_lo, exec_lo, s21
	s_cbranch_vccnz .LBB174_477
; %bb.465:
	s_cmp_gt_i32 s0, 14
	s_cbranch_scc0 .LBB174_468
; %bb.466:
	s_cmp_eq_u32 s0, 15
	s_cbranch_scc0 .LBB174_471
; %bb.467:
	s_wait_loadcnt 0x0
	global_load_u16 v2, v[0:1], off
	s_mov_b32 s19, -1
	s_mov_b32 s18, 0
	s_wait_loadcnt 0x0
	v_lshlrev_b32_e32 v2, 16, v2
	s_delay_alu instid0(VALU_DEP_1) | instskip(NEXT) | instid1(VALU_DEP_1)
	v_trunc_f32_e32 v2, v2
	v_mul_f32_e64 v3, 0x2f800000, |v2|
	s_delay_alu instid0(VALU_DEP_1) | instskip(NEXT) | instid1(VALU_DEP_1)
	v_floor_f32_e32 v3, v3
	v_fma_f32 v3, 0xcf800000, v3, |v2|
	v_ashrrev_i32_e32 v2, 31, v2
	s_delay_alu instid0(VALU_DEP_2) | instskip(NEXT) | instid1(VALU_DEP_1)
	v_cvt_u32_f32_e32 v3, v3
	v_xor_b32_e32 v3, v3, v2
	s_delay_alu instid0(VALU_DEP_1)
	v_sub_nc_u32_e32 v2, v3, v2
	s_branch .LBB174_472
.LBB174_468:
	s_mov_b32 s21, -1
                                        ; implicit-def: $vgpr2
	s_branch .LBB174_473
.LBB174_469:
	s_and_not1_saveexec_b32 s19, s19
	s_cbranch_execz .LBB174_450
.LBB174_470:
	v_cmp_ne_u16_e32 vcc_lo, 0, v3
	s_and_not1_b32 s21, s21, exec_lo
	s_and_b32 s22, vcc_lo, exec_lo
	s_delay_alu instid0(SALU_CYCLE_1)
	s_or_b32 s21, s21, s22
	s_or_b32 exec_lo, exec_lo, s19
	v_mov_b32_e32 v2, 0
	s_and_saveexec_b32 s19, s21
	s_cbranch_execnz .LBB174_451
	s_branch .LBB174_452
.LBB174_471:
	s_mov_b32 s18, -1
                                        ; implicit-def: $vgpr2
.LBB174_472:
	s_mov_b32 s21, 0
.LBB174_473:
	s_delay_alu instid0(SALU_CYCLE_1)
	s_and_b32 vcc_lo, exec_lo, s21
	s_cbranch_vccz .LBB174_477
; %bb.474:
	s_cmp_eq_u32 s0, 11
	s_cbranch_scc0 .LBB174_476
; %bb.475:
	s_wait_loadcnt 0x0
	global_load_u8 v2, v[0:1], off
	s_mov_b32 s18, 0
	s_mov_b32 s19, -1
	s_wait_loadcnt 0x0
	v_cmp_ne_u16_e32 vcc_lo, 0, v2
	v_cndmask_b32_e64 v2, 0, 1, vcc_lo
	s_branch .LBB174_477
.LBB174_476:
	s_mov_b32 s18, -1
                                        ; implicit-def: $vgpr2
.LBB174_477:
	s_branch .LBB174_272
.LBB174_478:
	s_cmp_lt_i32 s0, 5
	s_cbranch_scc1 .LBB174_483
; %bb.479:
	s_cmp_lt_i32 s0, 8
	s_cbranch_scc1 .LBB174_484
; %bb.480:
	;; [unrolled: 3-line block ×3, first 2 shown]
	s_cmp_gt_i32 s0, 9
	s_cbranch_scc0 .LBB174_486
; %bb.482:
	s_wait_loadcnt 0x0
	global_load_b64 v[2:3], v[0:1], off
	s_mov_b32 s19, 0
	s_wait_loadcnt 0x0
	v_trunc_f64_e32 v[2:3], v[2:3]
	s_delay_alu instid0(VALU_DEP_1) | instskip(NEXT) | instid1(VALU_DEP_1)
	v_ldexp_f64 v[4:5], v[2:3], 0xffffffe0
	v_floor_f64_e32 v[4:5], v[4:5]
	s_delay_alu instid0(VALU_DEP_1) | instskip(NEXT) | instid1(VALU_DEP_1)
	v_fmamk_f64 v[2:3], v[4:5], 0xc1f00000, v[2:3]
	v_cvt_u32_f64_e32 v2, v[2:3]
	s_branch .LBB174_487
.LBB174_483:
	s_mov_b32 s19, -1
                                        ; implicit-def: $vgpr2
	s_branch .LBB174_505
.LBB174_484:
	s_mov_b32 s19, -1
                                        ; implicit-def: $vgpr2
	s_branch .LBB174_493
.LBB174_485:
	s_mov_b32 s19, -1
                                        ; implicit-def: $vgpr2
	s_branch .LBB174_490
.LBB174_486:
	s_mov_b32 s19, -1
                                        ; implicit-def: $vgpr2
.LBB174_487:
	s_delay_alu instid0(SALU_CYCLE_1)
	s_and_not1_b32 vcc_lo, exec_lo, s19
	s_cbranch_vccnz .LBB174_489
; %bb.488:
	s_wait_loadcnt 0x0
	global_load_b32 v2, v[0:1], off
	s_wait_loadcnt 0x0
	v_trunc_f32_e32 v2, v2
	s_delay_alu instid0(VALU_DEP_1) | instskip(NEXT) | instid1(VALU_DEP_1)
	v_mul_f32_e64 v3, 0x2f800000, |v2|
	v_floor_f32_e32 v3, v3
	s_delay_alu instid0(VALU_DEP_1) | instskip(SKIP_1) | instid1(VALU_DEP_2)
	v_fma_f32 v3, 0xcf800000, v3, |v2|
	v_ashrrev_i32_e32 v2, 31, v2
	v_cvt_u32_f32_e32 v3, v3
	s_delay_alu instid0(VALU_DEP_1) | instskip(NEXT) | instid1(VALU_DEP_1)
	v_xor_b32_e32 v3, v3, v2
	v_sub_nc_u32_e32 v2, v3, v2
.LBB174_489:
	s_mov_b32 s19, 0
.LBB174_490:
	s_delay_alu instid0(SALU_CYCLE_1)
	s_and_not1_b32 vcc_lo, exec_lo, s19
	s_cbranch_vccnz .LBB174_492
; %bb.491:
	s_wait_loadcnt 0x0
	global_load_b32 v2, v[0:1], off
	s_wait_loadcnt 0x0
	v_cvt_f32_f16_e32 v2, v2
	s_delay_alu instid0(VALU_DEP_1)
	v_cvt_i32_f32_e32 v2, v2
.LBB174_492:
	s_mov_b32 s19, 0
.LBB174_493:
	s_delay_alu instid0(SALU_CYCLE_1)
	s_and_not1_b32 vcc_lo, exec_lo, s19
	s_cbranch_vccnz .LBB174_504
; %bb.494:
	s_cmp_lt_i32 s0, 6
	s_cbranch_scc1 .LBB174_497
; %bb.495:
	s_cmp_gt_i32 s0, 6
	s_cbranch_scc0 .LBB174_498
; %bb.496:
	s_wait_loadcnt 0x0
	global_load_b64 v[2:3], v[0:1], off
	s_mov_b32 s19, 0
	s_wait_loadcnt 0x0
	v_trunc_f64_e32 v[2:3], v[2:3]
	s_delay_alu instid0(VALU_DEP_1) | instskip(NEXT) | instid1(VALU_DEP_1)
	v_ldexp_f64 v[4:5], v[2:3], 0xffffffe0
	v_floor_f64_e32 v[4:5], v[4:5]
	s_delay_alu instid0(VALU_DEP_1) | instskip(NEXT) | instid1(VALU_DEP_1)
	v_fmamk_f64 v[2:3], v[4:5], 0xc1f00000, v[2:3]
	v_cvt_u32_f64_e32 v2, v[2:3]
	s_branch .LBB174_499
.LBB174_497:
	s_mov_b32 s19, -1
                                        ; implicit-def: $vgpr2
	s_branch .LBB174_502
.LBB174_498:
	s_mov_b32 s19, -1
                                        ; implicit-def: $vgpr2
.LBB174_499:
	s_delay_alu instid0(SALU_CYCLE_1)
	s_and_not1_b32 vcc_lo, exec_lo, s19
	s_cbranch_vccnz .LBB174_501
; %bb.500:
	s_wait_loadcnt 0x0
	global_load_b32 v2, v[0:1], off
	s_wait_loadcnt 0x0
	v_trunc_f32_e32 v2, v2
	s_delay_alu instid0(VALU_DEP_1) | instskip(NEXT) | instid1(VALU_DEP_1)
	v_mul_f32_e64 v3, 0x2f800000, |v2|
	v_floor_f32_e32 v3, v3
	s_delay_alu instid0(VALU_DEP_1) | instskip(SKIP_1) | instid1(VALU_DEP_2)
	v_fma_f32 v3, 0xcf800000, v3, |v2|
	v_ashrrev_i32_e32 v2, 31, v2
	v_cvt_u32_f32_e32 v3, v3
	s_delay_alu instid0(VALU_DEP_1) | instskip(NEXT) | instid1(VALU_DEP_1)
	v_xor_b32_e32 v3, v3, v2
	v_sub_nc_u32_e32 v2, v3, v2
.LBB174_501:
	s_mov_b32 s19, 0
.LBB174_502:
	s_delay_alu instid0(SALU_CYCLE_1)
	s_and_not1_b32 vcc_lo, exec_lo, s19
	s_cbranch_vccnz .LBB174_504
; %bb.503:
	s_wait_loadcnt 0x0
	global_load_u16 v2, v[0:1], off
	s_wait_loadcnt 0x0
	v_cvt_f32_f16_e32 v2, v2
	s_delay_alu instid0(VALU_DEP_1)
	v_cvt_i32_f32_e32 v2, v2
.LBB174_504:
	s_mov_b32 s19, 0
.LBB174_505:
	s_delay_alu instid0(SALU_CYCLE_1)
	s_and_not1_b32 vcc_lo, exec_lo, s19
	s_cbranch_vccnz .LBB174_525
; %bb.506:
	s_cmp_lt_i32 s0, 2
	s_cbranch_scc1 .LBB174_510
; %bb.507:
	s_cmp_lt_i32 s0, 3
	s_cbranch_scc1 .LBB174_511
; %bb.508:
	s_cmp_gt_i32 s0, 3
	s_cbranch_scc0 .LBB174_512
; %bb.509:
	s_wait_loadcnt 0x0
	global_load_b64 v[2:3], v[0:1], off
	s_mov_b32 s19, 0
	s_branch .LBB174_513
.LBB174_510:
	s_mov_b32 s19, -1
                                        ; implicit-def: $vgpr2
	s_branch .LBB174_519
.LBB174_511:
	s_mov_b32 s19, -1
                                        ; implicit-def: $vgpr2
	s_branch .LBB174_516
.LBB174_512:
	s_mov_b32 s19, -1
                                        ; implicit-def: $vgpr2
.LBB174_513:
	s_delay_alu instid0(SALU_CYCLE_1)
	s_and_not1_b32 vcc_lo, exec_lo, s19
	s_cbranch_vccnz .LBB174_515
; %bb.514:
	s_wait_loadcnt 0x0
	global_load_b32 v2, v[0:1], off
.LBB174_515:
	s_mov_b32 s19, 0
.LBB174_516:
	s_delay_alu instid0(SALU_CYCLE_1)
	s_and_not1_b32 vcc_lo, exec_lo, s19
	s_cbranch_vccnz .LBB174_518
; %bb.517:
	s_wait_loadcnt 0x0
	global_load_u16 v2, v[0:1], off
.LBB174_518:
	s_mov_b32 s19, 0
.LBB174_519:
	s_delay_alu instid0(SALU_CYCLE_1)
	s_and_not1_b32 vcc_lo, exec_lo, s19
	s_cbranch_vccnz .LBB174_525
; %bb.520:
	s_cmp_gt_i32 s0, 0
	s_mov_b32 s0, 0
	s_cbranch_scc0 .LBB174_522
; %bb.521:
	s_wait_loadcnt 0x0
	global_load_u8 v2, v[0:1], off
	s_branch .LBB174_523
.LBB174_522:
	s_mov_b32 s0, -1
                                        ; implicit-def: $vgpr2
.LBB174_523:
	s_delay_alu instid0(SALU_CYCLE_1)
	s_and_not1_b32 vcc_lo, exec_lo, s0
	s_cbranch_vccnz .LBB174_525
; %bb.524:
	s_wait_loadcnt 0x0
	global_load_u8 v2, v[0:1], off
.LBB174_525:
	s_branch .LBB174_273
.LBB174_526:
	s_mov_b32 s21, 0
	s_mov_b32 s0, s14
.LBB174_527:
                                        ; implicit-def: $vgpr6
.LBB174_528:
	s_and_not1_b32 s19, s14, exec_lo
	s_and_b32 s0, s0, exec_lo
	s_and_not1_b32 s22, s16, exec_lo
	s_and_b32 s18, s18, exec_lo
	s_or_b32 s19, s19, s0
	s_or_b32 s18, s22, s18
	s_or_not1_b32 s0, s21, exec_lo
.LBB174_529:
	s_wait_xcnt 0x0
	s_or_b32 exec_lo, exec_lo, s20
	s_mov_b32 s21, 0
	s_mov_b32 s22, 0
	;; [unrolled: 1-line block ×3, first 2 shown]
                                        ; implicit-def: $vgpr0_vgpr1
                                        ; implicit-def: $vgpr2
	s_and_saveexec_b32 s20, s0
	s_cbranch_execz .LBB174_880
; %bb.530:
	s_mov_b32 s23, -1
	s_mov_b32 s0, s18
	s_mov_b32 s22, s19
	s_mov_b32 s21, exec_lo
	v_cmpx_gt_i32_e64 s15, v6
	s_cbranch_execz .LBB174_798
; %bb.531:
	v_mul_lo_u32 v0, v6, s9
	s_and_b32 s0, 0xffff, s12
	s_delay_alu instid0(SALU_CYCLE_1) | instskip(NEXT) | instid1(VALU_DEP_1)
	s_cmp_lt_i32 s0, 11
	v_ashrrev_i32_e32 v1, 31, v0
	s_delay_alu instid0(VALU_DEP_1)
	v_add_nc_u64_e32 v[0:1], s[6:7], v[0:1]
	s_cbranch_scc1 .LBB174_538
; %bb.532:
	s_cmp_gt_i32 s0, 25
	s_cbranch_scc0 .LBB174_539
; %bb.533:
	s_cmp_gt_i32 s0, 28
	s_cbranch_scc0 .LBB174_540
	;; [unrolled: 3-line block ×4, first 2 shown]
; %bb.536:
	s_cmp_eq_u32 s0, 46
	s_mov_b32 s24, 0
	s_cbranch_scc0 .LBB174_547
; %bb.537:
	s_wait_loadcnt 0x0
	global_load_b32 v2, v[0:1], off
	s_mov_b32 s22, 0
	s_wait_loadcnt 0x0
	v_lshlrev_b32_e32 v2, 16, v2
	s_delay_alu instid0(VALU_DEP_1) | instskip(NEXT) | instid1(VALU_DEP_1)
	v_trunc_f32_e32 v2, v2
	v_mul_f32_e64 v3, 0x2f800000, |v2|
	s_delay_alu instid0(VALU_DEP_1) | instskip(NEXT) | instid1(VALU_DEP_1)
	v_floor_f32_e32 v3, v3
	v_fma_f32 v3, 0xcf800000, v3, |v2|
	v_ashrrev_i32_e32 v2, 31, v2
	s_delay_alu instid0(VALU_DEP_2) | instskip(NEXT) | instid1(VALU_DEP_1)
	v_cvt_u32_f32_e32 v3, v3
	v_xor_b32_e32 v3, v3, v2
	s_delay_alu instid0(VALU_DEP_1)
	v_sub_nc_u32_e32 v2, v3, v2
	s_branch .LBB174_549
.LBB174_538:
	s_mov_b32 s24, -1
	s_mov_b32 s23, 0
	s_mov_b32 s22, s18
                                        ; implicit-def: $vgpr2
	s_branch .LBB174_610
.LBB174_539:
	s_mov_b32 s24, -1
	s_mov_b32 s23, 0
	s_mov_b32 s22, s18
                                        ; implicit-def: $vgpr2
	s_branch .LBB174_576
.LBB174_540:
	s_mov_b32 s24, -1
	s_mov_b32 s23, 0
	s_mov_b32 s22, s18
                                        ; implicit-def: $vgpr2
	s_branch .LBB174_559
.LBB174_541:
	s_mov_b32 s24, -1
	s_mov_b32 s23, 0
	s_mov_b32 s22, s18
                                        ; implicit-def: $vgpr2
	s_branch .LBB174_554
.LBB174_542:
	s_and_not1_saveexec_b32 s24, s24
	s_cbranch_execz .LBB174_330
.LBB174_543:
	v_add_f32_e32 v2, 0x46000000, v4
	s_and_not1_b32 s23, s23, exec_lo
	s_delay_alu instid0(VALU_DEP_1) | instskip(NEXT) | instid1(VALU_DEP_1)
	v_and_b32_e32 v2, 0xff, v2
	v_cmp_ne_u32_e32 vcc_lo, 0, v2
	s_and_b32 s25, vcc_lo, exec_lo
	s_delay_alu instid0(SALU_CYCLE_1)
	s_or_b32 s23, s23, s25
	s_or_b32 exec_lo, exec_lo, s24
	v_mov_b32_e32 v5, 0
	s_and_saveexec_b32 s24, s23
	s_cbranch_execnz .LBB174_331
	s_branch .LBB174_332
.LBB174_544:
	s_mov_b32 s24, -1
	s_mov_b32 s23, 0
	s_mov_b32 s22, s18
	s_branch .LBB174_548
.LBB174_545:
	s_and_not1_saveexec_b32 s24, s24
	s_cbranch_execz .LBB174_343
.LBB174_546:
	v_add_f32_e32 v2, 0x42800000, v4
	s_and_not1_b32 s23, s23, exec_lo
	s_delay_alu instid0(VALU_DEP_1) | instskip(NEXT) | instid1(VALU_DEP_1)
	v_and_b32_e32 v2, 0xff, v2
	v_cmp_ne_u32_e32 vcc_lo, 0, v2
	s_and_b32 s25, vcc_lo, exec_lo
	s_delay_alu instid0(SALU_CYCLE_1)
	s_or_b32 s23, s23, s25
	s_or_b32 exec_lo, exec_lo, s24
	v_mov_b32_e32 v5, 0
	s_and_saveexec_b32 s24, s23
	s_cbranch_execnz .LBB174_344
	s_branch .LBB174_345
.LBB174_547:
	s_mov_b32 s22, -1
	s_mov_b32 s23, 0
.LBB174_548:
                                        ; implicit-def: $vgpr2
.LBB174_549:
	s_and_b32 vcc_lo, exec_lo, s24
	s_cbranch_vccz .LBB174_553
; %bb.550:
	s_cmp_eq_u32 s0, 44
	s_cbranch_scc0 .LBB174_552
; %bb.551:
	s_wait_loadcnt 0x0
	global_load_u8 v2, v[0:1], off
	s_mov_b32 s22, 0
	s_mov_b32 s23, -1
	s_wait_loadcnt 0x0
	v_lshlrev_b32_e32 v3, 23, v2
	v_cmp_ne_u32_e32 vcc_lo, 0, v2
	s_delay_alu instid0(VALU_DEP_2) | instskip(NEXT) | instid1(VALU_DEP_1)
	v_trunc_f32_e32 v3, v3
	v_mul_f32_e64 v4, 0x2f800000, |v3|
	s_delay_alu instid0(VALU_DEP_1) | instskip(NEXT) | instid1(VALU_DEP_1)
	v_floor_f32_e32 v4, v4
	v_fma_f32 v4, 0xcf800000, v4, |v3|
	v_ashrrev_i32_e32 v3, 31, v3
	s_delay_alu instid0(VALU_DEP_2) | instskip(NEXT) | instid1(VALU_DEP_1)
	v_cvt_u32_f32_e32 v4, v4
	v_xor_b32_e32 v4, v4, v3
	s_delay_alu instid0(VALU_DEP_1) | instskip(NEXT) | instid1(VALU_DEP_1)
	v_sub_nc_u32_e32 v3, v4, v3
	v_cndmask_b32_e32 v2, 0, v3, vcc_lo
	s_branch .LBB174_553
.LBB174_552:
	s_mov_b32 s22, -1
                                        ; implicit-def: $vgpr2
.LBB174_553:
	s_mov_b32 s24, 0
.LBB174_554:
	s_delay_alu instid0(SALU_CYCLE_1)
	s_and_b32 vcc_lo, exec_lo, s24
	s_cbranch_vccz .LBB174_558
; %bb.555:
	s_cmp_eq_u32 s0, 29
	s_cbranch_scc0 .LBB174_557
; %bb.556:
	s_wait_loadcnt 0x0
	global_load_b64 v[2:3], v[0:1], off
	s_mov_b32 s23, -1
	s_mov_b32 s22, 0
	s_branch .LBB174_558
.LBB174_557:
	s_mov_b32 s22, -1
                                        ; implicit-def: $vgpr2
.LBB174_558:
	s_mov_b32 s24, 0
.LBB174_559:
	s_delay_alu instid0(SALU_CYCLE_1)
	s_and_b32 vcc_lo, exec_lo, s24
	s_cbranch_vccz .LBB174_575
; %bb.560:
	s_cmp_lt_i32 s0, 27
	s_cbranch_scc1 .LBB174_563
; %bb.561:
	s_cmp_gt_i32 s0, 27
	s_cbranch_scc0 .LBB174_564
; %bb.562:
	s_wait_loadcnt 0x0
	global_load_b32 v2, v[0:1], off
	s_mov_b32 s23, 0
	s_branch .LBB174_565
.LBB174_563:
	s_mov_b32 s23, -1
                                        ; implicit-def: $vgpr2
	s_branch .LBB174_568
.LBB174_564:
	s_mov_b32 s23, -1
                                        ; implicit-def: $vgpr2
.LBB174_565:
	s_delay_alu instid0(SALU_CYCLE_1)
	s_and_not1_b32 vcc_lo, exec_lo, s23
	s_cbranch_vccnz .LBB174_567
; %bb.566:
	s_wait_loadcnt 0x0
	global_load_u16 v2, v[0:1], off
.LBB174_567:
	s_mov_b32 s23, 0
.LBB174_568:
	s_delay_alu instid0(SALU_CYCLE_1)
	s_and_not1_b32 vcc_lo, exec_lo, s23
	s_cbranch_vccnz .LBB174_574
; %bb.569:
	s_wait_loadcnt 0x0
	global_load_u8 v3, v[0:1], off
	s_mov_b32 s24, 0
	s_mov_b32 s23, exec_lo
	s_wait_loadcnt 0x0
	v_cmpx_lt_i16_e32 0x7f, v3
	s_xor_b32 s23, exec_lo, s23
	s_cbranch_execz .LBB174_586
; %bb.570:
	v_cmp_ne_u16_e32 vcc_lo, 0x80, v3
	s_and_b32 s24, vcc_lo, exec_lo
	s_and_not1_saveexec_b32 s23, s23
	s_cbranch_execnz .LBB174_587
.LBB174_571:
	s_or_b32 exec_lo, exec_lo, s23
	v_mov_b32_e32 v2, 0
	s_and_saveexec_b32 s23, s24
	s_cbranch_execz .LBB174_573
.LBB174_572:
	v_and_b32_e32 v2, 0xffff, v3
	s_delay_alu instid0(VALU_DEP_1) | instskip(SKIP_1) | instid1(VALU_DEP_2)
	v_and_b32_e32 v4, 7, v2
	v_bfe_u32 v8, v2, 3, 4
	v_clz_i32_u32_e32 v5, v4
	s_delay_alu instid0(VALU_DEP_2) | instskip(NEXT) | instid1(VALU_DEP_2)
	v_cmp_eq_u32_e32 vcc_lo, 0, v8
	v_min_u32_e32 v5, 32, v5
	s_delay_alu instid0(VALU_DEP_1) | instskip(NEXT) | instid1(VALU_DEP_1)
	v_subrev_nc_u32_e32 v7, 28, v5
	v_dual_lshlrev_b32 v2, v7, v2 :: v_dual_sub_nc_u32 v5, 29, v5
	s_delay_alu instid0(VALU_DEP_1) | instskip(NEXT) | instid1(VALU_DEP_2)
	v_dual_lshlrev_b32 v3, 24, v3 :: v_dual_bitop2_b32 v2, 7, v2 bitop3:0x40
	v_cndmask_b32_e32 v5, v8, v5, vcc_lo
	s_delay_alu instid0(VALU_DEP_2) | instskip(NEXT) | instid1(VALU_DEP_3)
	v_cndmask_b32_e32 v2, v4, v2, vcc_lo
	v_and_b32_e32 v3, 0x80000000, v3
	s_delay_alu instid0(VALU_DEP_3) | instskip(NEXT) | instid1(VALU_DEP_3)
	v_lshl_add_u32 v4, v5, 23, 0x3b800000
	v_lshlrev_b32_e32 v2, 20, v2
	s_delay_alu instid0(VALU_DEP_1) | instskip(NEXT) | instid1(VALU_DEP_1)
	v_or3_b32 v2, v3, v4, v2
	v_trunc_f32_e32 v2, v2
	s_delay_alu instid0(VALU_DEP_1) | instskip(NEXT) | instid1(VALU_DEP_1)
	v_mul_f32_e64 v3, 0x2f800000, |v2|
	v_floor_f32_e32 v3, v3
	s_delay_alu instid0(VALU_DEP_1) | instskip(SKIP_1) | instid1(VALU_DEP_2)
	v_fma_f32 v3, 0xcf800000, v3, |v2|
	v_ashrrev_i32_e32 v2, 31, v2
	v_cvt_u32_f32_e32 v3, v3
	s_delay_alu instid0(VALU_DEP_1) | instskip(NEXT) | instid1(VALU_DEP_1)
	v_xor_b32_e32 v3, v3, v2
	v_sub_nc_u32_e32 v2, v3, v2
.LBB174_573:
	s_or_b32 exec_lo, exec_lo, s23
.LBB174_574:
	s_mov_b32 s23, -1
.LBB174_575:
	s_mov_b32 s24, 0
.LBB174_576:
	s_delay_alu instid0(SALU_CYCLE_1)
	s_and_b32 vcc_lo, exec_lo, s24
	s_cbranch_vccz .LBB174_609
; %bb.577:
	s_cmp_gt_i32 s0, 22
	s_cbranch_scc0 .LBB174_585
; %bb.578:
	s_cmp_lt_i32 s0, 24
	s_cbranch_scc1 .LBB174_588
; %bb.579:
	s_cmp_gt_i32 s0, 24
	s_cbranch_scc0 .LBB174_589
; %bb.580:
	s_wait_loadcnt 0x0
	global_load_u8 v3, v[0:1], off
	s_mov_b32 s24, 0
	s_mov_b32 s23, exec_lo
	s_wait_loadcnt 0x0
	v_cmpx_lt_i16_e32 0x7f, v3
	s_xor_b32 s23, exec_lo, s23
	s_cbranch_execz .LBB174_601
; %bb.581:
	v_cmp_ne_u16_e32 vcc_lo, 0x80, v3
	s_and_b32 s24, vcc_lo, exec_lo
	s_and_not1_saveexec_b32 s23, s23
	s_cbranch_execnz .LBB174_602
.LBB174_582:
	s_or_b32 exec_lo, exec_lo, s23
	v_mov_b32_e32 v2, 0
	s_and_saveexec_b32 s23, s24
	s_cbranch_execz .LBB174_584
.LBB174_583:
	v_and_b32_e32 v2, 0xffff, v3
	s_delay_alu instid0(VALU_DEP_1) | instskip(SKIP_1) | instid1(VALU_DEP_2)
	v_and_b32_e32 v4, 3, v2
	v_bfe_u32 v8, v2, 2, 5
	v_clz_i32_u32_e32 v5, v4
	s_delay_alu instid0(VALU_DEP_2) | instskip(NEXT) | instid1(VALU_DEP_2)
	v_cmp_eq_u32_e32 vcc_lo, 0, v8
	v_min_u32_e32 v5, 32, v5
	s_delay_alu instid0(VALU_DEP_1) | instskip(NEXT) | instid1(VALU_DEP_1)
	v_subrev_nc_u32_e32 v7, 29, v5
	v_dual_lshlrev_b32 v2, v7, v2 :: v_dual_sub_nc_u32 v5, 30, v5
	s_delay_alu instid0(VALU_DEP_1) | instskip(NEXT) | instid1(VALU_DEP_2)
	v_dual_lshlrev_b32 v3, 24, v3 :: v_dual_bitop2_b32 v2, 3, v2 bitop3:0x40
	v_cndmask_b32_e32 v5, v8, v5, vcc_lo
	s_delay_alu instid0(VALU_DEP_2) | instskip(NEXT) | instid1(VALU_DEP_3)
	v_cndmask_b32_e32 v2, v4, v2, vcc_lo
	v_and_b32_e32 v3, 0x80000000, v3
	s_delay_alu instid0(VALU_DEP_3) | instskip(NEXT) | instid1(VALU_DEP_3)
	v_lshl_add_u32 v4, v5, 23, 0x37800000
	v_lshlrev_b32_e32 v2, 21, v2
	s_delay_alu instid0(VALU_DEP_1) | instskip(NEXT) | instid1(VALU_DEP_1)
	v_or3_b32 v2, v3, v4, v2
	v_trunc_f32_e32 v2, v2
	s_delay_alu instid0(VALU_DEP_1) | instskip(NEXT) | instid1(VALU_DEP_1)
	v_mul_f32_e64 v3, 0x2f800000, |v2|
	v_floor_f32_e32 v3, v3
	s_delay_alu instid0(VALU_DEP_1) | instskip(SKIP_1) | instid1(VALU_DEP_2)
	v_fma_f32 v3, 0xcf800000, v3, |v2|
	v_ashrrev_i32_e32 v2, 31, v2
	v_cvt_u32_f32_e32 v3, v3
	s_delay_alu instid0(VALU_DEP_1) | instskip(NEXT) | instid1(VALU_DEP_1)
	v_xor_b32_e32 v3, v3, v2
	v_sub_nc_u32_e32 v2, v3, v2
.LBB174_584:
	s_or_b32 exec_lo, exec_lo, s23
	s_mov_b32 s23, 0
	s_branch .LBB174_590
.LBB174_585:
	s_mov_b32 s24, -1
                                        ; implicit-def: $vgpr2
	s_branch .LBB174_596
.LBB174_586:
	s_and_not1_saveexec_b32 s23, s23
	s_cbranch_execz .LBB174_571
.LBB174_587:
	v_cmp_ne_u16_e32 vcc_lo, 0, v3
	s_and_not1_b32 s24, s24, exec_lo
	s_and_b32 s25, vcc_lo, exec_lo
	s_delay_alu instid0(SALU_CYCLE_1)
	s_or_b32 s24, s24, s25
	s_or_b32 exec_lo, exec_lo, s23
	v_mov_b32_e32 v2, 0
	s_and_saveexec_b32 s23, s24
	s_cbranch_execnz .LBB174_572
	s_branch .LBB174_573
.LBB174_588:
	s_mov_b32 s23, -1
                                        ; implicit-def: $vgpr2
	s_branch .LBB174_593
.LBB174_589:
	s_mov_b32 s23, -1
                                        ; implicit-def: $vgpr2
.LBB174_590:
	s_delay_alu instid0(SALU_CYCLE_1)
	s_and_b32 vcc_lo, exec_lo, s23
	s_cbranch_vccz .LBB174_592
; %bb.591:
	s_wait_loadcnt 0x0
	global_load_u8 v2, v[0:1], off
	s_wait_loadcnt 0x0
	v_lshlrev_b32_e32 v2, 24, v2
	s_delay_alu instid0(VALU_DEP_1) | instskip(NEXT) | instid1(VALU_DEP_1)
	v_and_b32_e32 v3, 0x7f000000, v2
	v_clz_i32_u32_e32 v4, v3
	v_add_nc_u32_e32 v7, 0x1000000, v3
	v_cmp_ne_u32_e32 vcc_lo, 0, v3
	s_delay_alu instid0(VALU_DEP_3) | instskip(NEXT) | instid1(VALU_DEP_1)
	v_min_u32_e32 v4, 32, v4
	v_sub_nc_u32_e64 v4, v4, 4 clamp
	s_delay_alu instid0(VALU_DEP_1) | instskip(NEXT) | instid1(VALU_DEP_1)
	v_dual_lshlrev_b32 v5, v4, v3 :: v_dual_lshlrev_b32 v4, 23, v4
	v_lshrrev_b32_e32 v5, 4, v5
	s_delay_alu instid0(VALU_DEP_1) | instskip(NEXT) | instid1(VALU_DEP_1)
	v_dual_sub_nc_u32 v4, v5, v4 :: v_dual_ashrrev_i32 v5, 8, v7
	v_add_nc_u32_e32 v4, 0x3c000000, v4
	s_delay_alu instid0(VALU_DEP_1) | instskip(NEXT) | instid1(VALU_DEP_1)
	v_and_or_b32 v4, 0x7f800000, v5, v4
	v_cndmask_b32_e32 v3, 0, v4, vcc_lo
	s_delay_alu instid0(VALU_DEP_1) | instskip(NEXT) | instid1(VALU_DEP_1)
	v_and_or_b32 v2, 0x80000000, v2, v3
	v_trunc_f32_e32 v2, v2
	s_delay_alu instid0(VALU_DEP_1) | instskip(NEXT) | instid1(VALU_DEP_1)
	v_mul_f32_e64 v3, 0x2f800000, |v2|
	v_floor_f32_e32 v3, v3
	s_delay_alu instid0(VALU_DEP_1) | instskip(SKIP_1) | instid1(VALU_DEP_2)
	v_fma_f32 v3, 0xcf800000, v3, |v2|
	v_ashrrev_i32_e32 v2, 31, v2
	v_cvt_u32_f32_e32 v3, v3
	s_delay_alu instid0(VALU_DEP_1) | instskip(NEXT) | instid1(VALU_DEP_1)
	v_xor_b32_e32 v3, v3, v2
	v_sub_nc_u32_e32 v2, v3, v2
.LBB174_592:
	s_mov_b32 s23, 0
.LBB174_593:
	s_delay_alu instid0(SALU_CYCLE_1)
	s_and_not1_b32 vcc_lo, exec_lo, s23
	s_cbranch_vccnz .LBB174_595
; %bb.594:
	s_wait_loadcnt 0x0
	global_load_u8 v2, v[0:1], off
	s_wait_loadcnt 0x0
	v_lshlrev_b32_e32 v3, 25, v2
	v_lshlrev_b16 v2, 8, v2
	s_delay_alu instid0(VALU_DEP_1) | instskip(SKIP_1) | instid1(VALU_DEP_2)
	v_and_or_b32 v5, 0x7f00, v2, 0.5
	v_bfe_i32 v2, v2, 0, 16
	v_dual_add_f32 v5, -0.5, v5 :: v_dual_lshrrev_b32 v4, 4, v3
	v_cmp_gt_u32_e32 vcc_lo, 0x8000000, v3
	s_delay_alu instid0(VALU_DEP_2) | instskip(NEXT) | instid1(VALU_DEP_1)
	v_or_b32_e32 v4, 0x70000000, v4
	v_mul_f32_e32 v4, 0x7800000, v4
	s_delay_alu instid0(VALU_DEP_1) | instskip(NEXT) | instid1(VALU_DEP_1)
	v_cndmask_b32_e32 v3, v4, v5, vcc_lo
	v_and_or_b32 v2, 0x80000000, v2, v3
	s_delay_alu instid0(VALU_DEP_1) | instskip(NEXT) | instid1(VALU_DEP_1)
	v_trunc_f32_e32 v2, v2
	v_mul_f32_e64 v3, 0x2f800000, |v2|
	s_delay_alu instid0(VALU_DEP_1) | instskip(NEXT) | instid1(VALU_DEP_1)
	v_floor_f32_e32 v3, v3
	v_fma_f32 v3, 0xcf800000, v3, |v2|
	v_ashrrev_i32_e32 v2, 31, v2
	s_delay_alu instid0(VALU_DEP_2) | instskip(NEXT) | instid1(VALU_DEP_1)
	v_cvt_u32_f32_e32 v3, v3
	v_xor_b32_e32 v3, v3, v2
	s_delay_alu instid0(VALU_DEP_1)
	v_sub_nc_u32_e32 v2, v3, v2
.LBB174_595:
	s_mov_b32 s24, 0
	s_mov_b32 s23, -1
.LBB174_596:
	s_and_not1_b32 vcc_lo, exec_lo, s24
	s_cbranch_vccnz .LBB174_609
; %bb.597:
	s_cmp_gt_i32 s0, 14
	s_cbranch_scc0 .LBB174_600
; %bb.598:
	s_cmp_eq_u32 s0, 15
	s_cbranch_scc0 .LBB174_603
; %bb.599:
	s_wait_loadcnt 0x0
	global_load_u16 v2, v[0:1], off
	s_mov_b32 s23, -1
	s_mov_b32 s22, 0
	s_wait_loadcnt 0x0
	v_lshlrev_b32_e32 v2, 16, v2
	s_delay_alu instid0(VALU_DEP_1) | instskip(NEXT) | instid1(VALU_DEP_1)
	v_trunc_f32_e32 v2, v2
	v_mul_f32_e64 v3, 0x2f800000, |v2|
	s_delay_alu instid0(VALU_DEP_1) | instskip(NEXT) | instid1(VALU_DEP_1)
	v_floor_f32_e32 v3, v3
	v_fma_f32 v3, 0xcf800000, v3, |v2|
	v_ashrrev_i32_e32 v2, 31, v2
	s_delay_alu instid0(VALU_DEP_2) | instskip(NEXT) | instid1(VALU_DEP_1)
	v_cvt_u32_f32_e32 v3, v3
	v_xor_b32_e32 v3, v3, v2
	s_delay_alu instid0(VALU_DEP_1)
	v_sub_nc_u32_e32 v2, v3, v2
	s_branch .LBB174_604
.LBB174_600:
	s_mov_b32 s24, -1
                                        ; implicit-def: $vgpr2
	s_branch .LBB174_605
.LBB174_601:
	s_and_not1_saveexec_b32 s23, s23
	s_cbranch_execz .LBB174_582
.LBB174_602:
	v_cmp_ne_u16_e32 vcc_lo, 0, v3
	s_and_not1_b32 s24, s24, exec_lo
	s_and_b32 s25, vcc_lo, exec_lo
	s_delay_alu instid0(SALU_CYCLE_1)
	s_or_b32 s24, s24, s25
	s_or_b32 exec_lo, exec_lo, s23
	v_mov_b32_e32 v2, 0
	s_and_saveexec_b32 s23, s24
	s_cbranch_execnz .LBB174_583
	s_branch .LBB174_584
.LBB174_603:
	s_mov_b32 s22, -1
                                        ; implicit-def: $vgpr2
.LBB174_604:
	s_mov_b32 s24, 0
.LBB174_605:
	s_delay_alu instid0(SALU_CYCLE_1)
	s_and_b32 vcc_lo, exec_lo, s24
	s_cbranch_vccz .LBB174_609
; %bb.606:
	s_cmp_eq_u32 s0, 11
	s_cbranch_scc0 .LBB174_608
; %bb.607:
	s_wait_loadcnt 0x0
	global_load_u8 v2, v[0:1], off
	s_mov_b32 s22, 0
	s_mov_b32 s23, -1
	s_wait_loadcnt 0x0
	v_cmp_ne_u16_e32 vcc_lo, 0, v2
	v_cndmask_b32_e64 v2, 0, 1, vcc_lo
	s_branch .LBB174_609
.LBB174_608:
	s_mov_b32 s22, -1
                                        ; implicit-def: $vgpr2
.LBB174_609:
	s_mov_b32 s24, 0
.LBB174_610:
	s_delay_alu instid0(SALU_CYCLE_1)
	s_and_b32 vcc_lo, exec_lo, s24
	s_cbranch_vccz .LBB174_659
; %bb.611:
	s_cmp_lt_i32 s0, 5
	s_cbranch_scc1 .LBB174_616
; %bb.612:
	s_cmp_lt_i32 s0, 8
	s_cbranch_scc1 .LBB174_617
	;; [unrolled: 3-line block ×3, first 2 shown]
; %bb.614:
	s_cmp_gt_i32 s0, 9
	s_cbranch_scc0 .LBB174_619
; %bb.615:
	s_wait_loadcnt 0x0
	global_load_b64 v[2:3], v[0:1], off
	s_mov_b32 s23, 0
	s_wait_loadcnt 0x0
	v_trunc_f64_e32 v[2:3], v[2:3]
	s_delay_alu instid0(VALU_DEP_1) | instskip(NEXT) | instid1(VALU_DEP_1)
	v_ldexp_f64 v[4:5], v[2:3], 0xffffffe0
	v_floor_f64_e32 v[4:5], v[4:5]
	s_delay_alu instid0(VALU_DEP_1) | instskip(NEXT) | instid1(VALU_DEP_1)
	v_fmamk_f64 v[2:3], v[4:5], 0xc1f00000, v[2:3]
	v_cvt_u32_f64_e32 v2, v[2:3]
	s_branch .LBB174_620
.LBB174_616:
	s_mov_b32 s23, -1
                                        ; implicit-def: $vgpr2
	s_branch .LBB174_638
.LBB174_617:
	s_mov_b32 s23, -1
                                        ; implicit-def: $vgpr2
	s_branch .LBB174_626
.LBB174_618:
	s_mov_b32 s23, -1
                                        ; implicit-def: $vgpr2
	s_branch .LBB174_623
.LBB174_619:
	s_mov_b32 s23, -1
                                        ; implicit-def: $vgpr2
.LBB174_620:
	s_delay_alu instid0(SALU_CYCLE_1)
	s_and_not1_b32 vcc_lo, exec_lo, s23
	s_cbranch_vccnz .LBB174_622
; %bb.621:
	s_wait_loadcnt 0x0
	global_load_b32 v2, v[0:1], off
	s_wait_loadcnt 0x0
	v_trunc_f32_e32 v2, v2
	s_delay_alu instid0(VALU_DEP_1) | instskip(NEXT) | instid1(VALU_DEP_1)
	v_mul_f32_e64 v3, 0x2f800000, |v2|
	v_floor_f32_e32 v3, v3
	s_delay_alu instid0(VALU_DEP_1) | instskip(SKIP_1) | instid1(VALU_DEP_2)
	v_fma_f32 v3, 0xcf800000, v3, |v2|
	v_ashrrev_i32_e32 v2, 31, v2
	v_cvt_u32_f32_e32 v3, v3
	s_delay_alu instid0(VALU_DEP_1) | instskip(NEXT) | instid1(VALU_DEP_1)
	v_xor_b32_e32 v3, v3, v2
	v_sub_nc_u32_e32 v2, v3, v2
.LBB174_622:
	s_mov_b32 s23, 0
.LBB174_623:
	s_delay_alu instid0(SALU_CYCLE_1)
	s_and_not1_b32 vcc_lo, exec_lo, s23
	s_cbranch_vccnz .LBB174_625
; %bb.624:
	s_wait_loadcnt 0x0
	global_load_b32 v2, v[0:1], off
	s_wait_loadcnt 0x0
	v_cvt_f32_f16_e32 v2, v2
	s_delay_alu instid0(VALU_DEP_1)
	v_cvt_i32_f32_e32 v2, v2
.LBB174_625:
	s_mov_b32 s23, 0
.LBB174_626:
	s_delay_alu instid0(SALU_CYCLE_1)
	s_and_not1_b32 vcc_lo, exec_lo, s23
	s_cbranch_vccnz .LBB174_637
; %bb.627:
	s_cmp_lt_i32 s0, 6
	s_cbranch_scc1 .LBB174_630
; %bb.628:
	s_cmp_gt_i32 s0, 6
	s_cbranch_scc0 .LBB174_631
; %bb.629:
	s_wait_loadcnt 0x0
	global_load_b64 v[2:3], v[0:1], off
	s_mov_b32 s23, 0
	s_wait_loadcnt 0x0
	v_trunc_f64_e32 v[2:3], v[2:3]
	s_delay_alu instid0(VALU_DEP_1) | instskip(NEXT) | instid1(VALU_DEP_1)
	v_ldexp_f64 v[4:5], v[2:3], 0xffffffe0
	v_floor_f64_e32 v[4:5], v[4:5]
	s_delay_alu instid0(VALU_DEP_1) | instskip(NEXT) | instid1(VALU_DEP_1)
	v_fmamk_f64 v[2:3], v[4:5], 0xc1f00000, v[2:3]
	v_cvt_u32_f64_e32 v2, v[2:3]
	s_branch .LBB174_632
.LBB174_630:
	s_mov_b32 s23, -1
                                        ; implicit-def: $vgpr2
	s_branch .LBB174_635
.LBB174_631:
	s_mov_b32 s23, -1
                                        ; implicit-def: $vgpr2
.LBB174_632:
	s_delay_alu instid0(SALU_CYCLE_1)
	s_and_not1_b32 vcc_lo, exec_lo, s23
	s_cbranch_vccnz .LBB174_634
; %bb.633:
	s_wait_loadcnt 0x0
	global_load_b32 v2, v[0:1], off
	s_wait_loadcnt 0x0
	v_trunc_f32_e32 v2, v2
	s_delay_alu instid0(VALU_DEP_1) | instskip(NEXT) | instid1(VALU_DEP_1)
	v_mul_f32_e64 v3, 0x2f800000, |v2|
	v_floor_f32_e32 v3, v3
	s_delay_alu instid0(VALU_DEP_1) | instskip(SKIP_1) | instid1(VALU_DEP_2)
	v_fma_f32 v3, 0xcf800000, v3, |v2|
	v_ashrrev_i32_e32 v2, 31, v2
	v_cvt_u32_f32_e32 v3, v3
	s_delay_alu instid0(VALU_DEP_1) | instskip(NEXT) | instid1(VALU_DEP_1)
	v_xor_b32_e32 v3, v3, v2
	v_sub_nc_u32_e32 v2, v3, v2
.LBB174_634:
	s_mov_b32 s23, 0
.LBB174_635:
	s_delay_alu instid0(SALU_CYCLE_1)
	s_and_not1_b32 vcc_lo, exec_lo, s23
	s_cbranch_vccnz .LBB174_637
; %bb.636:
	s_wait_loadcnt 0x0
	global_load_u16 v2, v[0:1], off
	s_wait_loadcnt 0x0
	v_cvt_f32_f16_e32 v2, v2
	s_delay_alu instid0(VALU_DEP_1)
	v_cvt_i32_f32_e32 v2, v2
.LBB174_637:
	s_mov_b32 s23, 0
.LBB174_638:
	s_delay_alu instid0(SALU_CYCLE_1)
	s_and_not1_b32 vcc_lo, exec_lo, s23
	s_cbranch_vccnz .LBB174_658
; %bb.639:
	s_cmp_lt_i32 s0, 2
	s_cbranch_scc1 .LBB174_643
; %bb.640:
	s_cmp_lt_i32 s0, 3
	s_cbranch_scc1 .LBB174_644
; %bb.641:
	s_cmp_gt_i32 s0, 3
	s_cbranch_scc0 .LBB174_645
; %bb.642:
	s_wait_loadcnt 0x0
	global_load_b64 v[2:3], v[0:1], off
	s_mov_b32 s23, 0
	s_branch .LBB174_646
.LBB174_643:
	s_mov_b32 s23, -1
                                        ; implicit-def: $vgpr2
	s_branch .LBB174_652
.LBB174_644:
	s_mov_b32 s23, -1
                                        ; implicit-def: $vgpr2
	s_branch .LBB174_649
.LBB174_645:
	s_mov_b32 s23, -1
                                        ; implicit-def: $vgpr2
.LBB174_646:
	s_delay_alu instid0(SALU_CYCLE_1)
	s_and_not1_b32 vcc_lo, exec_lo, s23
	s_cbranch_vccnz .LBB174_648
; %bb.647:
	s_wait_loadcnt 0x0
	global_load_b32 v2, v[0:1], off
.LBB174_648:
	s_mov_b32 s23, 0
.LBB174_649:
	s_delay_alu instid0(SALU_CYCLE_1)
	s_and_not1_b32 vcc_lo, exec_lo, s23
	s_cbranch_vccnz .LBB174_651
; %bb.650:
	s_wait_loadcnt 0x0
	global_load_u16 v2, v[0:1], off
.LBB174_651:
	s_mov_b32 s23, 0
.LBB174_652:
	s_delay_alu instid0(SALU_CYCLE_1)
	s_and_not1_b32 vcc_lo, exec_lo, s23
	s_cbranch_vccnz .LBB174_658
; %bb.653:
	s_cmp_gt_i32 s0, 0
	s_mov_b32 s0, 0
	s_cbranch_scc0 .LBB174_655
; %bb.654:
	s_wait_loadcnt 0x0
	global_load_u8 v2, v[0:1], off
	s_branch .LBB174_656
.LBB174_655:
	s_mov_b32 s0, -1
                                        ; implicit-def: $vgpr2
.LBB174_656:
	s_delay_alu instid0(SALU_CYCLE_1)
	s_and_not1_b32 vcc_lo, exec_lo, s0
	s_cbranch_vccnz .LBB174_658
; %bb.657:
	s_wait_loadcnt 0x0
	global_load_u8 v2, v[0:1], off
.LBB174_658:
	s_mov_b32 s23, -1
.LBB174_659:
	s_delay_alu instid0(SALU_CYCLE_1)
	s_and_not1_b32 vcc_lo, exec_lo, s23
	s_cbranch_vccnz .LBB174_663
; %bb.660:
	s_cmp_lt_i32 s10, 1
	s_mov_b32 s0, 0
	s_cbranch_scc1 .LBB174_664
; %bb.661:
	s_cmp_eq_u32 s10, 1
	s_cbranch_scc0 .LBB174_665
; %bb.662:
	s_wait_loadcnt 0x0
	s_delay_alu instid0(VALU_DEP_1)
	v_and_b32_e32 v0, 0xff, v2
	s_and_b32 s23, s11, 0xff
	s_delay_alu instid0(VALU_DEP_1) | instid1(SALU_CYCLE_1)
	v_min_u16 v3, v0, s23
	s_mov_b32 s23, 0
	s_branch .LBB174_666
.LBB174_663:
	s_mov_b32 s23, 0
	s_mov_b32 s0, s19
	s_branch .LBB174_796
.LBB174_664:
	s_mov_b32 s24, -1
	s_mov_b32 s23, 0
                                        ; implicit-def: $vgpr3
	s_branch .LBB174_667
.LBB174_665:
	s_mov_b32 s23, -1
                                        ; implicit-def: $vgpr3
.LBB174_666:
	s_mov_b32 s24, 0
.LBB174_667:
	s_delay_alu instid0(SALU_CYCLE_1)
	s_and_b32 vcc_lo, exec_lo, s24
	s_cbranch_vccz .LBB174_678
; %bb.668:
	s_cmp_lg_u32 s10, 0
	s_mov_b32 s0, -1
	s_cselect_b32 s23, -1, 0
	s_wait_loadcnt 0x0
	s_delay_alu instid0(VALU_DEP_1)
	v_and_b32_e32 v0, 0xff, v2
	s_and_not1_b32 vcc_lo, exec_lo, s23
	s_cbranch_vccz .LBB174_679
.LBB174_669:
	s_and_not1_b32 vcc_lo, exec_lo, s0
	s_cbranch_vccnz .LBB174_671
.LBB174_670:
	s_and_b32 s0, s11, 0xff
	s_delay_alu instid0(SALU_CYCLE_1)
	v_max_u16 v3, v0, s0
.LBB174_671:
	v_mul_lo_u32 v0, v6, s8
	s_and_b32 s23, s2, 0xff
	s_delay_alu instid0(SALU_CYCLE_1) | instskip(NEXT) | instid1(VALU_DEP_1)
	s_cmp_lt_i32 s23, 11
	v_ashrrev_i32_e32 v1, 31, v0
	s_delay_alu instid0(VALU_DEP_1)
	v_add_nc_u64_e32 v[0:1], s[4:5], v[0:1]
	s_cbranch_scc1 .LBB174_680
; %bb.672:
	s_and_b32 s24, 0xffff, s23
	s_delay_alu instid0(SALU_CYCLE_1)
	s_cmp_gt_i32 s24, 25
	s_cbranch_scc0 .LBB174_681
; %bb.673:
	s_cmp_gt_i32 s24, 28
	s_cbranch_scc0 .LBB174_682
; %bb.674:
	s_cmp_gt_i32 s24, 43
	s_cbranch_scc0 .LBB174_683
; %bb.675:
	s_cmp_gt_i32 s24, 45
	s_cbranch_scc0 .LBB174_684
; %bb.676:
	s_mov_b32 s26, 0
	s_mov_b32 s0, -1
	s_cmp_eq_u32 s24, 46
	s_mov_b32 s25, 0
	s_cbranch_scc0 .LBB174_685
; %bb.677:
	v_cvt_f32_ubyte0_e32 v2, v3
	s_mov_b32 s25, -1
	s_mov_b32 s0, 0
	s_delay_alu instid0(VALU_DEP_1) | instskip(NEXT) | instid1(VALU_DEP_1)
	v_bfe_u32 v4, v2, 16, 1
	v_add3_u32 v2, v2, v4, 0x7fff
	s_delay_alu instid0(VALU_DEP_1)
	v_lshrrev_b32_e32 v2, 16, v2
	global_store_b32 v[0:1], v2, off
	s_branch .LBB174_685
.LBB174_678:
	s_wait_loadcnt 0x0
	s_delay_alu instid0(VALU_DEP_1)
	v_and_b32_e32 v0, 0xff, v2
	s_and_not1_b32 vcc_lo, exec_lo, s23
	s_cbranch_vccnz .LBB174_669
.LBB174_679:
	s_and_b32 s0, s11, 0xff
	s_delay_alu instid0(VALU_DEP_1) | instid1(SALU_CYCLE_1)
	v_max_u16 v1, v0, s0
	s_delay_alu instid0(VALU_DEP_1)
	v_min_u16 v3, v1, s1
	s_cbranch_execz .LBB174_670
	s_branch .LBB174_671
.LBB174_680:
	s_mov_b32 s24, -1
	s_mov_b32 s25, 0
	s_mov_b32 s0, s19
	s_branch .LBB174_754
.LBB174_681:
	s_mov_b32 s26, -1
	s_mov_b32 s25, 0
	s_mov_b32 s0, s19
	s_branch .LBB174_712
.LBB174_682:
	s_mov_b32 s26, -1
	s_mov_b32 s25, 0
	s_mov_b32 s0, s19
	s_branch .LBB174_695
.LBB174_683:
	s_mov_b32 s26, -1
	s_mov_b32 s25, 0
	s_mov_b32 s0, s19
	s_branch .LBB174_691
.LBB174_684:
	s_mov_b32 s26, -1
	s_mov_b32 s25, 0
	s_mov_b32 s0, s19
.LBB174_685:
	s_and_b32 vcc_lo, exec_lo, s26
	s_cbranch_vccz .LBB174_690
; %bb.686:
	s_cmp_eq_u32 s24, 44
	s_mov_b32 s0, -1
	s_cbranch_scc0 .LBB174_690
; %bb.687:
	v_cvt_f32_ubyte0_e32 v5, v3
	v_mov_b32_e32 v4, 0xff
	s_mov_b32 s25, exec_lo
	s_wait_xcnt 0x0
	s_delay_alu instid0(VALU_DEP_2) | instskip(NEXT) | instid1(VALU_DEP_1)
	v_lshrrev_b32_e32 v2, 23, v5
	v_cmpx_ne_u32_e32 0xff, v2
; %bb.688:
	v_and_b32_e32 v4, 0x400000, v5
	v_and_or_b32 v5, 0x3fffff, v5, v2
	s_delay_alu instid0(VALU_DEP_2) | instskip(NEXT) | instid1(VALU_DEP_2)
	v_cmp_ne_u32_e32 vcc_lo, 0, v4
	v_cmp_ne_u32_e64 s0, 0, v5
	s_and_b32 s0, vcc_lo, s0
	s_delay_alu instid0(SALU_CYCLE_1) | instskip(NEXT) | instid1(VALU_DEP_1)
	v_cndmask_b32_e64 v4, 0, 1, s0
	v_add_nc_u32_e32 v4, v2, v4
; %bb.689:
	s_or_b32 exec_lo, exec_lo, s25
	s_mov_b32 s25, -1
	s_mov_b32 s0, 0
	global_store_b8 v[0:1], v4, off
.LBB174_690:
	s_mov_b32 s26, 0
.LBB174_691:
	s_delay_alu instid0(SALU_CYCLE_1)
	s_and_b32 vcc_lo, exec_lo, s26
	s_cbranch_vccz .LBB174_694
; %bb.692:
	s_cmp_eq_u32 s24, 29
	s_mov_b32 s0, -1
	s_cbranch_scc0 .LBB174_694
; %bb.693:
	s_wait_xcnt 0x0
	v_and_b32_e32 v4, 0xff, v3
	v_mov_b32_e32 v5, 0
	s_mov_b32 s25, -1
	s_mov_b32 s0, 0
	s_mov_b32 s26, 0
	global_store_b64 v[0:1], v[4:5], off
	s_branch .LBB174_695
.LBB174_694:
	s_mov_b32 s26, 0
.LBB174_695:
	s_delay_alu instid0(SALU_CYCLE_1)
	s_and_b32 vcc_lo, exec_lo, s26
	s_cbranch_vccz .LBB174_711
; %bb.696:
	s_cmp_lt_i32 s24, 27
	s_mov_b32 s25, -1
	s_cbranch_scc1 .LBB174_702
; %bb.697:
	s_cmp_gt_i32 s24, 27
	s_cbranch_scc0 .LBB174_699
; %bb.698:
	s_wait_xcnt 0x0
	v_and_b32_e32 v2, 0xff, v3
	s_mov_b32 s25, 0
	global_store_b32 v[0:1], v2, off
.LBB174_699:
	s_and_not1_b32 vcc_lo, exec_lo, s25
	s_cbranch_vccnz .LBB174_701
; %bb.700:
	s_wait_xcnt 0x0
	v_and_b32_e32 v2, 0xff, v3
	global_store_b16 v[0:1], v2, off
.LBB174_701:
	s_mov_b32 s25, 0
.LBB174_702:
	s_delay_alu instid0(SALU_CYCLE_1)
	s_and_not1_b32 vcc_lo, exec_lo, s25
	s_cbranch_vccnz .LBB174_710
; %bb.703:
	s_wait_xcnt 0x0
	v_cvt_f32_ubyte0_e32 v4, v3
	v_mov_b32_e32 v5, 0x80
	s_mov_b32 s25, exec_lo
	s_delay_alu instid0(VALU_DEP_2)
	v_cmpx_gt_u32_e32 0x43800000, v4
	s_cbranch_execz .LBB174_709
; %bb.704:
	s_mov_b32 s26, 0
	s_mov_b32 s27, exec_lo
                                        ; implicit-def: $vgpr2
	v_cmpx_lt_u32_e32 0x3bffffff, v4
	s_xor_b32 s27, exec_lo, s27
	s_cbranch_execz .LBB174_811
; %bb.705:
	v_bfe_u32 v2, v4, 20, 1
	s_mov_b32 s26, exec_lo
	s_delay_alu instid0(VALU_DEP_1) | instskip(NEXT) | instid1(VALU_DEP_1)
	v_add3_u32 v2, v4, v2, 0x487ffff
                                        ; implicit-def: $vgpr4
	v_lshrrev_b32_e32 v2, 20, v2
	s_and_not1_saveexec_b32 s27, s27
	s_cbranch_execnz .LBB174_812
.LBB174_706:
	s_or_b32 exec_lo, exec_lo, s27
	v_mov_b32_e32 v5, 0
	s_and_saveexec_b32 s27, s26
.LBB174_707:
	v_mov_b32_e32 v5, v2
.LBB174_708:
	s_or_b32 exec_lo, exec_lo, s27
.LBB174_709:
	s_delay_alu instid0(SALU_CYCLE_1)
	s_or_b32 exec_lo, exec_lo, s25
	global_store_b8 v[0:1], v5, off
.LBB174_710:
	s_mov_b32 s25, -1
.LBB174_711:
	s_mov_b32 s26, 0
.LBB174_712:
	s_delay_alu instid0(SALU_CYCLE_1)
	s_and_b32 vcc_lo, exec_lo, s26
	s_cbranch_vccz .LBB174_753
; %bb.713:
	s_cmp_gt_i32 s24, 22
	s_mov_b32 s26, -1
	s_cbranch_scc0 .LBB174_745
; %bb.714:
	s_cmp_lt_i32 s24, 24
	s_mov_b32 s25, -1
	s_cbranch_scc1 .LBB174_734
; %bb.715:
	s_cmp_gt_i32 s24, 24
	s_cbranch_scc0 .LBB174_723
; %bb.716:
	s_wait_xcnt 0x0
	v_cvt_f32_ubyte0_e32 v4, v3
	v_mov_b32_e32 v5, 0x80
	s_mov_b32 s25, exec_lo
	s_delay_alu instid0(VALU_DEP_2)
	v_cmpx_gt_u32_e32 0x47800000, v4
	s_cbranch_execz .LBB174_722
; %bb.717:
	s_mov_b32 s26, 0
	s_mov_b32 s27, exec_lo
                                        ; implicit-def: $vgpr2
	v_cmpx_lt_u32_e32 0x37ffffff, v4
	s_xor_b32 s27, exec_lo, s27
	s_cbranch_execz .LBB174_814
; %bb.718:
	v_bfe_u32 v2, v4, 21, 1
	s_mov_b32 s26, exec_lo
	s_delay_alu instid0(VALU_DEP_1) | instskip(NEXT) | instid1(VALU_DEP_1)
	v_add3_u32 v2, v4, v2, 0x88fffff
                                        ; implicit-def: $vgpr4
	v_lshrrev_b32_e32 v2, 21, v2
	s_and_not1_saveexec_b32 s27, s27
	s_cbranch_execnz .LBB174_815
.LBB174_719:
	s_or_b32 exec_lo, exec_lo, s27
	v_mov_b32_e32 v5, 0
	s_and_saveexec_b32 s27, s26
.LBB174_720:
	v_mov_b32_e32 v5, v2
.LBB174_721:
	s_or_b32 exec_lo, exec_lo, s27
.LBB174_722:
	s_delay_alu instid0(SALU_CYCLE_1)
	s_or_b32 exec_lo, exec_lo, s25
	s_mov_b32 s25, 0
	global_store_b8 v[0:1], v5, off
.LBB174_723:
	s_and_b32 vcc_lo, exec_lo, s25
	s_cbranch_vccz .LBB174_733
; %bb.724:
	s_wait_xcnt 0x0
	v_cvt_f32_ubyte0_e32 v4, v3
	s_mov_b32 s25, exec_lo
                                        ; implicit-def: $vgpr2
	s_delay_alu instid0(VALU_DEP_1)
	v_cmpx_gt_u32_e32 0x43f00000, v4
	s_xor_b32 s25, exec_lo, s25
	s_cbranch_execz .LBB174_730
; %bb.725:
	s_mov_b32 s26, exec_lo
                                        ; implicit-def: $vgpr2
	v_cmpx_lt_u32_e32 0x3c7fffff, v4
	s_xor_b32 s26, exec_lo, s26
; %bb.726:
	v_bfe_u32 v2, v4, 20, 1
	s_delay_alu instid0(VALU_DEP_1) | instskip(NEXT) | instid1(VALU_DEP_1)
	v_add3_u32 v2, v4, v2, 0x407ffff
	v_and_b32_e32 v4, 0xff00000, v2
	v_lshrrev_b32_e32 v2, 20, v2
	s_delay_alu instid0(VALU_DEP_2) | instskip(NEXT) | instid1(VALU_DEP_2)
	v_cmp_ne_u32_e32 vcc_lo, 0x7f00000, v4
                                        ; implicit-def: $vgpr4
	v_cndmask_b32_e32 v2, 0x7e, v2, vcc_lo
; %bb.727:
	s_and_not1_saveexec_b32 s26, s26
; %bb.728:
	v_add_f32_e32 v2, 0x46800000, v4
; %bb.729:
	s_or_b32 exec_lo, exec_lo, s26
                                        ; implicit-def: $vgpr4
.LBB174_730:
	s_and_not1_saveexec_b32 s25, s25
; %bb.731:
	v_mov_b32_e32 v2, 0x7f
	v_cmp_lt_u32_e32 vcc_lo, 0x7f800000, v4
	s_delay_alu instid0(VALU_DEP_2)
	v_cndmask_b32_e32 v2, 0x7e, v2, vcc_lo
; %bb.732:
	s_or_b32 exec_lo, exec_lo, s25
	global_store_b8 v[0:1], v2, off
.LBB174_733:
	s_mov_b32 s25, 0
.LBB174_734:
	s_delay_alu instid0(SALU_CYCLE_1)
	s_and_not1_b32 vcc_lo, exec_lo, s25
	s_cbranch_vccnz .LBB174_744
; %bb.735:
	s_wait_xcnt 0x0
	v_cvt_f32_ubyte0_e32 v4, v3
	s_mov_b32 s25, exec_lo
                                        ; implicit-def: $vgpr2
	s_delay_alu instid0(VALU_DEP_1)
	v_cmpx_gt_u32_e32 0x47800000, v4
	s_xor_b32 s25, exec_lo, s25
	s_cbranch_execz .LBB174_741
; %bb.736:
	s_mov_b32 s26, exec_lo
                                        ; implicit-def: $vgpr2
	v_cmpx_lt_u32_e32 0x387fffff, v4
	s_xor_b32 s26, exec_lo, s26
; %bb.737:
	v_bfe_u32 v2, v4, 21, 1
	s_delay_alu instid0(VALU_DEP_1) | instskip(NEXT) | instid1(VALU_DEP_1)
	v_add3_u32 v2, v4, v2, 0x80fffff
                                        ; implicit-def: $vgpr4
	v_lshrrev_b32_e32 v2, 21, v2
; %bb.738:
	s_and_not1_saveexec_b32 s26, s26
; %bb.739:
	v_add_f32_e32 v2, 0x43000000, v4
; %bb.740:
	s_or_b32 exec_lo, exec_lo, s26
                                        ; implicit-def: $vgpr4
.LBB174_741:
	s_and_not1_saveexec_b32 s25, s25
; %bb.742:
	v_mov_b32_e32 v2, 0x7f
	v_cmp_lt_u32_e32 vcc_lo, 0x7f800000, v4
	s_delay_alu instid0(VALU_DEP_2)
	v_cndmask_b32_e32 v2, 0x7c, v2, vcc_lo
; %bb.743:
	s_or_b32 exec_lo, exec_lo, s25
	global_store_b8 v[0:1], v2, off
.LBB174_744:
	s_mov_b32 s26, 0
	s_mov_b32 s25, -1
.LBB174_745:
	s_and_not1_b32 vcc_lo, exec_lo, s26
	s_cbranch_vccnz .LBB174_753
; %bb.746:
	s_cmp_gt_i32 s24, 14
	s_mov_b32 s26, -1
	s_cbranch_scc0 .LBB174_750
; %bb.747:
	s_cmp_eq_u32 s24, 15
	s_mov_b32 s0, -1
	s_cbranch_scc0 .LBB174_749
; %bb.748:
	s_wait_xcnt 0x0
	v_cvt_f32_ubyte0_e32 v2, v3
	s_mov_b32 s25, -1
	s_mov_b32 s0, 0
	s_delay_alu instid0(VALU_DEP_1) | instskip(NEXT) | instid1(VALU_DEP_1)
	v_bfe_u32 v4, v2, 16, 1
	v_add3_u32 v2, v2, v4, 0x7fff
	global_store_d16_hi_b16 v[0:1], v2, off
.LBB174_749:
	s_mov_b32 s26, 0
.LBB174_750:
	s_delay_alu instid0(SALU_CYCLE_1)
	s_and_b32 vcc_lo, exec_lo, s26
	s_cbranch_vccz .LBB174_753
; %bb.751:
	s_cmp_eq_u32 s24, 11
	s_mov_b32 s0, -1
	s_cbranch_scc0 .LBB174_753
; %bb.752:
	s_wait_xcnt 0x0
	v_and_b32_e32 v2, 0xff, v3
	s_mov_b32 s0, 0
	s_mov_b32 s25, -1
	s_delay_alu instid0(VALU_DEP_1)
	v_cmp_ne_u16_e32 vcc_lo, 0, v2
	v_cndmask_b32_e64 v2, 0, 1, vcc_lo
	global_store_b8 v[0:1], v2, off
.LBB174_753:
	s_mov_b32 s24, 0
.LBB174_754:
	s_delay_alu instid0(SALU_CYCLE_1)
	s_and_b32 vcc_lo, exec_lo, s24
	s_cbranch_vccz .LBB174_793
; %bb.755:
	s_and_b32 s23, 0xffff, s23
	s_mov_b32 s24, -1
	s_cmp_lt_i32 s23, 5
	s_cbranch_scc1 .LBB174_776
; %bb.756:
	s_cmp_lt_i32 s23, 8
	s_cbranch_scc1 .LBB174_766
; %bb.757:
	;; [unrolled: 3-line block ×3, first 2 shown]
	s_cmp_gt_i32 s23, 9
	s_cbranch_scc0 .LBB174_760
; %bb.759:
	s_wait_xcnt 0x0
	v_and_b32_e32 v2, 0xff, v3
	v_mov_b32_e32 v10, 0
	s_mov_b32 s24, 0
	s_delay_alu instid0(VALU_DEP_2) | instskip(NEXT) | instid1(VALU_DEP_2)
	v_and_b32_e32 v2, 0xffff, v2
	v_mov_b32_e32 v11, v10
	s_delay_alu instid0(VALU_DEP_2)
	v_cvt_f64_u32_e32 v[8:9], v2
	global_store_b128 v[0:1], v[8:11], off
.LBB174_760:
	s_and_not1_b32 vcc_lo, exec_lo, s24
	s_cbranch_vccnz .LBB174_762
; %bb.761:
	s_wait_xcnt 0x0
	v_cvt_f32_ubyte0_e32 v4, v3
	v_mov_b32_e32 v5, 0
	global_store_b64 v[0:1], v[4:5], off
.LBB174_762:
	s_mov_b32 s24, 0
.LBB174_763:
	s_delay_alu instid0(SALU_CYCLE_1)
	s_and_not1_b32 vcc_lo, exec_lo, s24
	s_cbranch_vccnz .LBB174_765
; %bb.764:
	s_wait_xcnt 0x0
	v_and_b32_e32 v2, 0xff, v3
	s_delay_alu instid0(VALU_DEP_1) | instskip(NEXT) | instid1(VALU_DEP_1)
	v_cvt_f16_u16_e32 v2, v2
	v_and_b32_e32 v2, 0xffff, v2
	global_store_b32 v[0:1], v2, off
.LBB174_765:
	s_mov_b32 s24, 0
.LBB174_766:
	s_delay_alu instid0(SALU_CYCLE_1)
	s_and_not1_b32 vcc_lo, exec_lo, s24
	s_cbranch_vccnz .LBB174_775
; %bb.767:
	s_cmp_lt_i32 s23, 6
	s_mov_b32 s24, -1
	s_cbranch_scc1 .LBB174_773
; %bb.768:
	s_cmp_gt_i32 s23, 6
	s_cbranch_scc0 .LBB174_770
; %bb.769:
	s_wait_xcnt 0x0
	v_and_b32_e32 v2, 0xff, v3
	s_mov_b32 s24, 0
	s_delay_alu instid0(VALU_DEP_1) | instskip(NEXT) | instid1(VALU_DEP_1)
	v_and_b32_e32 v2, 0xffff, v2
	v_cvt_f64_u32_e32 v[4:5], v2
	global_store_b64 v[0:1], v[4:5], off
.LBB174_770:
	s_and_not1_b32 vcc_lo, exec_lo, s24
	s_cbranch_vccnz .LBB174_772
; %bb.771:
	s_wait_xcnt 0x0
	v_cvt_f32_ubyte0_e32 v2, v3
	global_store_b32 v[0:1], v2, off
.LBB174_772:
	s_mov_b32 s24, 0
.LBB174_773:
	s_delay_alu instid0(SALU_CYCLE_1)
	s_and_not1_b32 vcc_lo, exec_lo, s24
	s_cbranch_vccnz .LBB174_775
; %bb.774:
	s_wait_xcnt 0x0
	v_and_b32_e32 v2, 0xff, v3
	s_delay_alu instid0(VALU_DEP_1)
	v_cvt_f16_u16_e32 v2, v2
	global_store_b16 v[0:1], v2, off
.LBB174_775:
	s_mov_b32 s24, 0
.LBB174_776:
	s_delay_alu instid0(SALU_CYCLE_1)
	s_and_not1_b32 vcc_lo, exec_lo, s24
	s_cbranch_vccnz .LBB174_792
; %bb.777:
	s_cmp_lt_i32 s23, 2
	s_mov_b32 s24, -1
	s_cbranch_scc1 .LBB174_787
; %bb.778:
	s_cmp_lt_i32 s23, 3
	s_cbranch_scc1 .LBB174_784
; %bb.779:
	s_cmp_gt_i32 s23, 3
	s_cbranch_scc0 .LBB174_781
; %bb.780:
	s_wait_xcnt 0x0
	v_and_b32_e32 v4, 0xff, v3
	v_mov_b32_e32 v5, 0
	s_mov_b32 s24, 0
	global_store_b64 v[0:1], v[4:5], off
.LBB174_781:
	s_and_not1_b32 vcc_lo, exec_lo, s24
	s_cbranch_vccnz .LBB174_783
; %bb.782:
	s_wait_xcnt 0x0
	v_and_b32_e32 v2, 0xff, v3
	global_store_b32 v[0:1], v2, off
.LBB174_783:
	s_mov_b32 s24, 0
.LBB174_784:
	s_delay_alu instid0(SALU_CYCLE_1)
	s_and_not1_b32 vcc_lo, exec_lo, s24
	s_cbranch_vccnz .LBB174_786
; %bb.785:
	s_wait_xcnt 0x0
	v_and_b32_e32 v2, 0xff, v3
	global_store_b16 v[0:1], v2, off
.LBB174_786:
	s_mov_b32 s24, 0
.LBB174_787:
	s_delay_alu instid0(SALU_CYCLE_1)
	s_and_not1_b32 vcc_lo, exec_lo, s24
	s_cbranch_vccnz .LBB174_792
; %bb.788:
	s_cmp_gt_i32 s23, 0
	s_mov_b32 s23, -1
	s_cbranch_scc0 .LBB174_790
; %bb.789:
	s_mov_b32 s23, 0
	global_store_b8 v[0:1], v3, off
.LBB174_790:
	s_and_not1_b32 vcc_lo, exec_lo, s23
	s_cbranch_vccnz .LBB174_792
; %bb.791:
	global_store_b8 v[0:1], v3, off
.LBB174_792:
	s_mov_b32 s25, -1
.LBB174_793:
	s_delay_alu instid0(SALU_CYCLE_1)
	s_and_not1_b32 vcc_lo, exec_lo, s25
	s_cbranch_vccnz .LBB174_795
; %bb.794:
	v_add_nc_u32_e32 v6, 0x80, v6
	s_mov_b32 s23, -1
	s_branch .LBB174_797
.LBB174_795:
	s_mov_b32 s23, 0
.LBB174_796:
                                        ; implicit-def: $vgpr6
.LBB174_797:
	s_and_not1_b32 s24, s19, exec_lo
	s_and_b32 s0, s0, exec_lo
	s_and_not1_b32 s25, s18, exec_lo
	s_and_b32 s26, s22, exec_lo
	s_or_b32 s22, s24, s0
	s_or_b32 s0, s25, s26
	s_or_not1_b32 s23, s23, exec_lo
.LBB174_798:
	s_wait_xcnt 0x0
	s_or_b32 exec_lo, exec_lo, s21
	s_mov_b32 s24, 0
	s_mov_b32 s25, 0
	;; [unrolled: 1-line block ×3, first 2 shown]
                                        ; implicit-def: $vgpr0_vgpr1
                                        ; implicit-def: $vgpr2
	s_and_saveexec_b32 s21, s23
	s_cbranch_execz .LBB174_879
; %bb.799:
	v_cmp_gt_i32_e32 vcc_lo, s15, v6
	s_mov_b32 s23, 0
	s_mov_b32 s24, s0
	;; [unrolled: 1-line block ×3, first 2 shown]
                                        ; implicit-def: $vgpr0_vgpr1
                                        ; implicit-def: $vgpr2
	s_and_saveexec_b32 s15, vcc_lo
	s_cbranch_execz .LBB174_878
; %bb.800:
	v_mul_lo_u32 v0, v6, s9
	s_and_b32 s23, 0xffff, s12
	s_delay_alu instid0(SALU_CYCLE_1) | instskip(NEXT) | instid1(VALU_DEP_1)
	s_cmp_lt_i32 s23, 11
	v_ashrrev_i32_e32 v1, 31, v0
	s_delay_alu instid0(VALU_DEP_1)
	v_add_nc_u64_e32 v[0:1], s[6:7], v[0:1]
	s_cbranch_scc1 .LBB174_807
; %bb.801:
	s_cmp_gt_i32 s23, 25
	s_cbranch_scc0 .LBB174_808
; %bb.802:
	s_cmp_gt_i32 s23, 28
	s_cbranch_scc0 .LBB174_809
; %bb.803:
	s_cmp_gt_i32 s23, 43
	s_cbranch_scc0 .LBB174_810
; %bb.804:
	s_cmp_gt_i32 s23, 45
	s_cbranch_scc0 .LBB174_813
; %bb.805:
	s_cmp_eq_u32 s23, 46
	s_cbranch_scc0 .LBB174_816
; %bb.806:
	s_wait_loadcnt 0x0
	global_load_b32 v2, v[0:1], off
	s_mov_b32 s24, 0
	s_mov_b32 s26, -1
	s_wait_loadcnt 0x0
	v_lshlrev_b32_e32 v2, 16, v2
	s_delay_alu instid0(VALU_DEP_1) | instskip(NEXT) | instid1(VALU_DEP_1)
	v_trunc_f32_e32 v2, v2
	v_mul_f32_e64 v3, 0x2f800000, |v2|
	s_delay_alu instid0(VALU_DEP_1) | instskip(NEXT) | instid1(VALU_DEP_1)
	v_floor_f32_e32 v3, v3
	v_fma_f32 v3, 0xcf800000, v3, |v2|
	v_ashrrev_i32_e32 v2, 31, v2
	s_delay_alu instid0(VALU_DEP_2) | instskip(NEXT) | instid1(VALU_DEP_1)
	v_cvt_u32_f32_e32 v3, v3
	v_xor_b32_e32 v3, v3, v2
	s_delay_alu instid0(VALU_DEP_1)
	v_sub_nc_u32_e32 v2, v3, v2
	s_branch .LBB174_818
.LBB174_807:
	s_mov_b32 s23, -1
	s_mov_b32 s24, s0
                                        ; implicit-def: $vgpr2
	s_branch .LBB174_877
.LBB174_808:
	s_mov_b32 s27, -1
	s_mov_b32 s24, s0
                                        ; implicit-def: $vgpr2
	s_branch .LBB174_845
.LBB174_809:
	s_mov_b32 s27, -1
	s_mov_b32 s24, s0
                                        ; implicit-def: $vgpr2
	s_branch .LBB174_828
.LBB174_810:
	s_mov_b32 s27, -1
	s_mov_b32 s24, s0
                                        ; implicit-def: $vgpr2
	s_branch .LBB174_823
.LBB174_811:
	s_and_not1_saveexec_b32 s27, s27
	s_cbranch_execz .LBB174_706
.LBB174_812:
	v_add_f32_e32 v2, 0x46000000, v4
	s_and_not1_b32 s26, s26, exec_lo
	s_delay_alu instid0(VALU_DEP_1) | instskip(NEXT) | instid1(VALU_DEP_1)
	v_and_b32_e32 v2, 0xff, v2
	v_cmp_ne_u32_e32 vcc_lo, 0, v2
	s_and_b32 s28, vcc_lo, exec_lo
	s_delay_alu instid0(SALU_CYCLE_1)
	s_or_b32 s26, s26, s28
	s_or_b32 exec_lo, exec_lo, s27
	v_mov_b32_e32 v5, 0
	s_and_saveexec_b32 s27, s26
	s_cbranch_execnz .LBB174_707
	s_branch .LBB174_708
.LBB174_813:
	s_mov_b32 s27, -1
	s_mov_b32 s24, s0
	s_branch .LBB174_817
.LBB174_814:
	s_and_not1_saveexec_b32 s27, s27
	s_cbranch_execz .LBB174_719
.LBB174_815:
	v_add_f32_e32 v2, 0x42800000, v4
	s_and_not1_b32 s26, s26, exec_lo
	s_delay_alu instid0(VALU_DEP_1) | instskip(NEXT) | instid1(VALU_DEP_1)
	v_and_b32_e32 v2, 0xff, v2
	v_cmp_ne_u32_e32 vcc_lo, 0, v2
	s_and_b32 s28, vcc_lo, exec_lo
	s_delay_alu instid0(SALU_CYCLE_1)
	s_or_b32 s26, s26, s28
	s_or_b32 exec_lo, exec_lo, s27
	v_mov_b32_e32 v5, 0
	s_and_saveexec_b32 s27, s26
	s_cbranch_execnz .LBB174_720
	s_branch .LBB174_721
.LBB174_816:
	s_mov_b32 s24, -1
.LBB174_817:
                                        ; implicit-def: $vgpr2
.LBB174_818:
	s_and_b32 vcc_lo, exec_lo, s27
	s_cbranch_vccz .LBB174_822
; %bb.819:
	s_cmp_eq_u32 s23, 44
	s_cbranch_scc0 .LBB174_821
; %bb.820:
	s_wait_loadcnt 0x0
	global_load_u8 v2, v[0:1], off
	s_mov_b32 s24, 0
	s_mov_b32 s26, -1
	s_wait_loadcnt 0x0
	v_lshlrev_b32_e32 v3, 23, v2
	v_cmp_ne_u32_e32 vcc_lo, 0, v2
	s_delay_alu instid0(VALU_DEP_2) | instskip(NEXT) | instid1(VALU_DEP_1)
	v_trunc_f32_e32 v3, v3
	v_mul_f32_e64 v4, 0x2f800000, |v3|
	s_delay_alu instid0(VALU_DEP_1) | instskip(NEXT) | instid1(VALU_DEP_1)
	v_floor_f32_e32 v4, v4
	v_fma_f32 v4, 0xcf800000, v4, |v3|
	v_ashrrev_i32_e32 v3, 31, v3
	s_delay_alu instid0(VALU_DEP_2) | instskip(NEXT) | instid1(VALU_DEP_1)
	v_cvt_u32_f32_e32 v4, v4
	v_xor_b32_e32 v4, v4, v3
	s_delay_alu instid0(VALU_DEP_1) | instskip(NEXT) | instid1(VALU_DEP_1)
	v_sub_nc_u32_e32 v3, v4, v3
	v_cndmask_b32_e32 v2, 0, v3, vcc_lo
	s_branch .LBB174_822
.LBB174_821:
	s_mov_b32 s24, -1
                                        ; implicit-def: $vgpr2
.LBB174_822:
	s_mov_b32 s27, 0
.LBB174_823:
	s_delay_alu instid0(SALU_CYCLE_1)
	s_and_b32 vcc_lo, exec_lo, s27
	s_cbranch_vccz .LBB174_827
; %bb.824:
	s_cmp_eq_u32 s23, 29
	s_cbranch_scc0 .LBB174_826
; %bb.825:
	s_wait_loadcnt 0x0
	global_load_b64 v[2:3], v[0:1], off
	s_mov_b32 s24, 0
	s_mov_b32 s26, -1
	s_branch .LBB174_827
.LBB174_826:
	s_mov_b32 s24, -1
                                        ; implicit-def: $vgpr2
.LBB174_827:
	s_mov_b32 s27, 0
.LBB174_828:
	s_delay_alu instid0(SALU_CYCLE_1)
	s_and_b32 vcc_lo, exec_lo, s27
	s_cbranch_vccz .LBB174_844
; %bb.829:
	s_cmp_lt_i32 s23, 27
	s_cbranch_scc1 .LBB174_832
; %bb.830:
	s_cmp_gt_i32 s23, 27
	s_cbranch_scc0 .LBB174_833
; %bb.831:
	s_wait_loadcnt 0x0
	global_load_b32 v2, v[0:1], off
	s_mov_b32 s26, 0
	s_branch .LBB174_834
.LBB174_832:
	s_mov_b32 s26, -1
                                        ; implicit-def: $vgpr2
	s_branch .LBB174_837
.LBB174_833:
	s_mov_b32 s26, -1
                                        ; implicit-def: $vgpr2
.LBB174_834:
	s_delay_alu instid0(SALU_CYCLE_1)
	s_and_not1_b32 vcc_lo, exec_lo, s26
	s_cbranch_vccnz .LBB174_836
; %bb.835:
	s_wait_loadcnt 0x0
	global_load_u16 v2, v[0:1], off
.LBB174_836:
	s_mov_b32 s26, 0
.LBB174_837:
	s_delay_alu instid0(SALU_CYCLE_1)
	s_and_not1_b32 vcc_lo, exec_lo, s26
	s_cbranch_vccnz .LBB174_843
; %bb.838:
	s_wait_loadcnt 0x0
	global_load_u8 v3, v[0:1], off
	s_mov_b32 s27, 0
	s_mov_b32 s26, exec_lo
	s_wait_loadcnt 0x0
	v_cmpx_lt_i16_e32 0x7f, v3
	s_xor_b32 s26, exec_lo, s26
	s_cbranch_execz .LBB174_855
; %bb.839:
	v_cmp_ne_u16_e32 vcc_lo, 0x80, v3
	s_and_b32 s27, vcc_lo, exec_lo
	s_and_not1_saveexec_b32 s26, s26
	s_cbranch_execnz .LBB174_856
.LBB174_840:
	s_or_b32 exec_lo, exec_lo, s26
	v_mov_b32_e32 v2, 0
	s_and_saveexec_b32 s26, s27
	s_cbranch_execz .LBB174_842
.LBB174_841:
	v_and_b32_e32 v2, 0xffff, v3
	s_delay_alu instid0(VALU_DEP_1) | instskip(SKIP_1) | instid1(VALU_DEP_2)
	v_and_b32_e32 v4, 7, v2
	v_bfe_u32 v8, v2, 3, 4
	v_clz_i32_u32_e32 v5, v4
	s_delay_alu instid0(VALU_DEP_2) | instskip(NEXT) | instid1(VALU_DEP_2)
	v_cmp_eq_u32_e32 vcc_lo, 0, v8
	v_min_u32_e32 v5, 32, v5
	s_delay_alu instid0(VALU_DEP_1) | instskip(NEXT) | instid1(VALU_DEP_1)
	v_subrev_nc_u32_e32 v7, 28, v5
	v_dual_lshlrev_b32 v2, v7, v2 :: v_dual_sub_nc_u32 v5, 29, v5
	s_delay_alu instid0(VALU_DEP_1) | instskip(NEXT) | instid1(VALU_DEP_2)
	v_dual_lshlrev_b32 v3, 24, v3 :: v_dual_bitop2_b32 v2, 7, v2 bitop3:0x40
	v_cndmask_b32_e32 v5, v8, v5, vcc_lo
	s_delay_alu instid0(VALU_DEP_2) | instskip(NEXT) | instid1(VALU_DEP_3)
	v_cndmask_b32_e32 v2, v4, v2, vcc_lo
	v_and_b32_e32 v3, 0x80000000, v3
	s_delay_alu instid0(VALU_DEP_3) | instskip(NEXT) | instid1(VALU_DEP_3)
	v_lshl_add_u32 v4, v5, 23, 0x3b800000
	v_lshlrev_b32_e32 v2, 20, v2
	s_delay_alu instid0(VALU_DEP_1) | instskip(NEXT) | instid1(VALU_DEP_1)
	v_or3_b32 v2, v3, v4, v2
	v_trunc_f32_e32 v2, v2
	s_delay_alu instid0(VALU_DEP_1) | instskip(NEXT) | instid1(VALU_DEP_1)
	v_mul_f32_e64 v3, 0x2f800000, |v2|
	v_floor_f32_e32 v3, v3
	s_delay_alu instid0(VALU_DEP_1) | instskip(SKIP_1) | instid1(VALU_DEP_2)
	v_fma_f32 v3, 0xcf800000, v3, |v2|
	v_ashrrev_i32_e32 v2, 31, v2
	v_cvt_u32_f32_e32 v3, v3
	s_delay_alu instid0(VALU_DEP_1) | instskip(NEXT) | instid1(VALU_DEP_1)
	v_xor_b32_e32 v3, v3, v2
	v_sub_nc_u32_e32 v2, v3, v2
.LBB174_842:
	s_or_b32 exec_lo, exec_lo, s26
.LBB174_843:
	s_mov_b32 s26, -1
.LBB174_844:
	s_mov_b32 s27, 0
.LBB174_845:
	s_delay_alu instid0(SALU_CYCLE_1)
	s_and_b32 vcc_lo, exec_lo, s27
	s_cbranch_vccz .LBB174_876
; %bb.846:
	s_cmp_gt_i32 s23, 22
	s_cbranch_scc0 .LBB174_854
; %bb.847:
	s_cmp_lt_i32 s23, 24
	s_cbranch_scc1 .LBB174_857
; %bb.848:
	s_cmp_gt_i32 s23, 24
	s_cbranch_scc0 .LBB174_858
; %bb.849:
	s_wait_loadcnt 0x0
	global_load_u8 v3, v[0:1], off
	s_mov_b32 s26, 0
	s_mov_b32 s25, exec_lo
	s_wait_loadcnt 0x0
	v_cmpx_lt_i16_e32 0x7f, v3
	s_xor_b32 s25, exec_lo, s25
	s_cbranch_execz .LBB174_870
; %bb.850:
	v_cmp_ne_u16_e32 vcc_lo, 0x80, v3
	s_and_b32 s26, vcc_lo, exec_lo
	s_and_not1_saveexec_b32 s25, s25
	s_cbranch_execnz .LBB174_871
.LBB174_851:
	s_or_b32 exec_lo, exec_lo, s25
	v_mov_b32_e32 v2, 0
	s_and_saveexec_b32 s25, s26
	s_cbranch_execz .LBB174_853
.LBB174_852:
	v_and_b32_e32 v2, 0xffff, v3
	s_delay_alu instid0(VALU_DEP_1) | instskip(SKIP_1) | instid1(VALU_DEP_2)
	v_and_b32_e32 v4, 3, v2
	v_bfe_u32 v8, v2, 2, 5
	v_clz_i32_u32_e32 v5, v4
	s_delay_alu instid0(VALU_DEP_2) | instskip(NEXT) | instid1(VALU_DEP_2)
	v_cmp_eq_u32_e32 vcc_lo, 0, v8
	v_min_u32_e32 v5, 32, v5
	s_delay_alu instid0(VALU_DEP_1) | instskip(NEXT) | instid1(VALU_DEP_1)
	v_subrev_nc_u32_e32 v7, 29, v5
	v_dual_lshlrev_b32 v2, v7, v2 :: v_dual_sub_nc_u32 v5, 30, v5
	s_delay_alu instid0(VALU_DEP_1) | instskip(NEXT) | instid1(VALU_DEP_2)
	v_dual_lshlrev_b32 v3, 24, v3 :: v_dual_bitop2_b32 v2, 3, v2 bitop3:0x40
	v_cndmask_b32_e32 v5, v8, v5, vcc_lo
	s_delay_alu instid0(VALU_DEP_2) | instskip(NEXT) | instid1(VALU_DEP_3)
	v_cndmask_b32_e32 v2, v4, v2, vcc_lo
	v_and_b32_e32 v3, 0x80000000, v3
	s_delay_alu instid0(VALU_DEP_3) | instskip(NEXT) | instid1(VALU_DEP_3)
	v_lshl_add_u32 v4, v5, 23, 0x37800000
	v_lshlrev_b32_e32 v2, 21, v2
	s_delay_alu instid0(VALU_DEP_1) | instskip(NEXT) | instid1(VALU_DEP_1)
	v_or3_b32 v2, v3, v4, v2
	v_trunc_f32_e32 v2, v2
	s_delay_alu instid0(VALU_DEP_1) | instskip(NEXT) | instid1(VALU_DEP_1)
	v_mul_f32_e64 v3, 0x2f800000, |v2|
	v_floor_f32_e32 v3, v3
	s_delay_alu instid0(VALU_DEP_1) | instskip(SKIP_1) | instid1(VALU_DEP_2)
	v_fma_f32 v3, 0xcf800000, v3, |v2|
	v_ashrrev_i32_e32 v2, 31, v2
	v_cvt_u32_f32_e32 v3, v3
	s_delay_alu instid0(VALU_DEP_1) | instskip(NEXT) | instid1(VALU_DEP_1)
	v_xor_b32_e32 v3, v3, v2
	v_sub_nc_u32_e32 v2, v3, v2
.LBB174_853:
	s_or_b32 exec_lo, exec_lo, s25
	s_mov_b32 s25, 0
	s_branch .LBB174_859
.LBB174_854:
	s_mov_b32 s25, -1
                                        ; implicit-def: $vgpr2
	s_branch .LBB174_865
.LBB174_855:
	s_and_not1_saveexec_b32 s26, s26
	s_cbranch_execz .LBB174_840
.LBB174_856:
	v_cmp_ne_u16_e32 vcc_lo, 0, v3
	s_and_not1_b32 s27, s27, exec_lo
	s_and_b32 s28, vcc_lo, exec_lo
	s_delay_alu instid0(SALU_CYCLE_1)
	s_or_b32 s27, s27, s28
	s_or_b32 exec_lo, exec_lo, s26
	v_mov_b32_e32 v2, 0
	s_and_saveexec_b32 s26, s27
	s_cbranch_execnz .LBB174_841
	s_branch .LBB174_842
.LBB174_857:
	s_mov_b32 s25, -1
                                        ; implicit-def: $vgpr2
	s_branch .LBB174_862
.LBB174_858:
	s_mov_b32 s25, -1
                                        ; implicit-def: $vgpr2
.LBB174_859:
	s_delay_alu instid0(SALU_CYCLE_1)
	s_and_b32 vcc_lo, exec_lo, s25
	s_cbranch_vccz .LBB174_861
; %bb.860:
	s_wait_loadcnt 0x0
	global_load_u8 v2, v[0:1], off
	s_wait_loadcnt 0x0
	v_lshlrev_b32_e32 v2, 24, v2
	s_delay_alu instid0(VALU_DEP_1) | instskip(NEXT) | instid1(VALU_DEP_1)
	v_and_b32_e32 v3, 0x7f000000, v2
	v_clz_i32_u32_e32 v4, v3
	v_add_nc_u32_e32 v7, 0x1000000, v3
	v_cmp_ne_u32_e32 vcc_lo, 0, v3
	s_delay_alu instid0(VALU_DEP_3) | instskip(NEXT) | instid1(VALU_DEP_1)
	v_min_u32_e32 v4, 32, v4
	v_sub_nc_u32_e64 v4, v4, 4 clamp
	s_delay_alu instid0(VALU_DEP_1) | instskip(NEXT) | instid1(VALU_DEP_1)
	v_dual_lshlrev_b32 v5, v4, v3 :: v_dual_lshlrev_b32 v4, 23, v4
	v_lshrrev_b32_e32 v5, 4, v5
	s_delay_alu instid0(VALU_DEP_1) | instskip(NEXT) | instid1(VALU_DEP_1)
	v_dual_sub_nc_u32 v4, v5, v4 :: v_dual_ashrrev_i32 v5, 8, v7
	v_add_nc_u32_e32 v4, 0x3c000000, v4
	s_delay_alu instid0(VALU_DEP_1) | instskip(NEXT) | instid1(VALU_DEP_1)
	v_and_or_b32 v4, 0x7f800000, v5, v4
	v_cndmask_b32_e32 v3, 0, v4, vcc_lo
	s_delay_alu instid0(VALU_DEP_1) | instskip(NEXT) | instid1(VALU_DEP_1)
	v_and_or_b32 v2, 0x80000000, v2, v3
	v_trunc_f32_e32 v2, v2
	s_delay_alu instid0(VALU_DEP_1) | instskip(NEXT) | instid1(VALU_DEP_1)
	v_mul_f32_e64 v3, 0x2f800000, |v2|
	v_floor_f32_e32 v3, v3
	s_delay_alu instid0(VALU_DEP_1) | instskip(SKIP_1) | instid1(VALU_DEP_2)
	v_fma_f32 v3, 0xcf800000, v3, |v2|
	v_ashrrev_i32_e32 v2, 31, v2
	v_cvt_u32_f32_e32 v3, v3
	s_delay_alu instid0(VALU_DEP_1) | instskip(NEXT) | instid1(VALU_DEP_1)
	v_xor_b32_e32 v3, v3, v2
	v_sub_nc_u32_e32 v2, v3, v2
.LBB174_861:
	s_mov_b32 s25, 0
.LBB174_862:
	s_delay_alu instid0(SALU_CYCLE_1)
	s_and_not1_b32 vcc_lo, exec_lo, s25
	s_cbranch_vccnz .LBB174_864
; %bb.863:
	s_wait_loadcnt 0x0
	global_load_u8 v2, v[0:1], off
	s_wait_loadcnt 0x0
	v_lshlrev_b32_e32 v3, 25, v2
	v_lshlrev_b16 v2, 8, v2
	s_delay_alu instid0(VALU_DEP_1) | instskip(SKIP_1) | instid1(VALU_DEP_2)
	v_and_or_b32 v5, 0x7f00, v2, 0.5
	v_bfe_i32 v2, v2, 0, 16
	v_dual_add_f32 v5, -0.5, v5 :: v_dual_lshrrev_b32 v4, 4, v3
	v_cmp_gt_u32_e32 vcc_lo, 0x8000000, v3
	s_delay_alu instid0(VALU_DEP_2) | instskip(NEXT) | instid1(VALU_DEP_1)
	v_or_b32_e32 v4, 0x70000000, v4
	v_mul_f32_e32 v4, 0x7800000, v4
	s_delay_alu instid0(VALU_DEP_1) | instskip(NEXT) | instid1(VALU_DEP_1)
	v_cndmask_b32_e32 v3, v4, v5, vcc_lo
	v_and_or_b32 v2, 0x80000000, v2, v3
	s_delay_alu instid0(VALU_DEP_1) | instskip(NEXT) | instid1(VALU_DEP_1)
	v_trunc_f32_e32 v2, v2
	v_mul_f32_e64 v3, 0x2f800000, |v2|
	s_delay_alu instid0(VALU_DEP_1) | instskip(NEXT) | instid1(VALU_DEP_1)
	v_floor_f32_e32 v3, v3
	v_fma_f32 v3, 0xcf800000, v3, |v2|
	v_ashrrev_i32_e32 v2, 31, v2
	s_delay_alu instid0(VALU_DEP_2) | instskip(NEXT) | instid1(VALU_DEP_1)
	v_cvt_u32_f32_e32 v3, v3
	v_xor_b32_e32 v3, v3, v2
	s_delay_alu instid0(VALU_DEP_1)
	v_sub_nc_u32_e32 v2, v3, v2
.LBB174_864:
	s_mov_b32 s25, 0
	s_mov_b32 s26, -1
.LBB174_865:
	s_and_not1_b32 vcc_lo, exec_lo, s25
	s_mov_b32 s25, 0
	s_cbranch_vccnz .LBB174_876
; %bb.866:
	s_cmp_gt_i32 s23, 14
	s_cbranch_scc0 .LBB174_869
; %bb.867:
	s_cmp_eq_u32 s23, 15
	s_cbranch_scc0 .LBB174_872
; %bb.868:
	s_wait_loadcnt 0x0
	global_load_u16 v2, v[0:1], off
	s_mov_b32 s24, 0
	s_mov_b32 s26, -1
	s_wait_loadcnt 0x0
	v_lshlrev_b32_e32 v2, 16, v2
	s_delay_alu instid0(VALU_DEP_1) | instskip(NEXT) | instid1(VALU_DEP_1)
	v_trunc_f32_e32 v2, v2
	v_mul_f32_e64 v3, 0x2f800000, |v2|
	s_delay_alu instid0(VALU_DEP_1) | instskip(NEXT) | instid1(VALU_DEP_1)
	v_floor_f32_e32 v3, v3
	v_fma_f32 v3, 0xcf800000, v3, |v2|
	v_ashrrev_i32_e32 v2, 31, v2
	s_delay_alu instid0(VALU_DEP_2) | instskip(NEXT) | instid1(VALU_DEP_1)
	v_cvt_u32_f32_e32 v3, v3
	v_xor_b32_e32 v3, v3, v2
	s_delay_alu instid0(VALU_DEP_1)
	v_sub_nc_u32_e32 v2, v3, v2
	s_branch .LBB174_874
.LBB174_869:
	s_mov_b32 s25, -1
	s_branch .LBB174_873
.LBB174_870:
	s_and_not1_saveexec_b32 s25, s25
	s_cbranch_execz .LBB174_851
.LBB174_871:
	v_cmp_ne_u16_e32 vcc_lo, 0, v3
	s_and_not1_b32 s26, s26, exec_lo
	s_and_b32 s27, vcc_lo, exec_lo
	s_delay_alu instid0(SALU_CYCLE_1)
	s_or_b32 s26, s26, s27
	s_or_b32 exec_lo, exec_lo, s25
	v_mov_b32_e32 v2, 0
	s_and_saveexec_b32 s25, s26
	s_cbranch_execnz .LBB174_852
	s_branch .LBB174_853
.LBB174_872:
	s_mov_b32 s24, -1
.LBB174_873:
                                        ; implicit-def: $vgpr2
.LBB174_874:
	s_and_b32 vcc_lo, exec_lo, s25
	s_mov_b32 s25, 0
	s_cbranch_vccz .LBB174_876
; %bb.875:
	s_cmp_lg_u32 s23, 11
	s_mov_b32 s25, -1
	s_cselect_b32 s23, -1, 0
	s_and_not1_b32 s24, s24, exec_lo
	s_and_b32 s23, s23, exec_lo
	s_delay_alu instid0(SALU_CYCLE_1)
	s_or_b32 s24, s24, s23
.LBB174_876:
	s_mov_b32 s23, 0
.LBB174_877:
	s_and_not1_b32 s28, s0, exec_lo
	s_and_b32 s24, s24, exec_lo
	s_and_b32 s26, s26, exec_lo
	;; [unrolled: 1-line block ×4, first 2 shown]
	s_or_b32 s24, s28, s24
.LBB174_878:
	s_wait_xcnt 0x0
	s_or_b32 exec_lo, exec_lo, s15
	s_delay_alu instid0(SALU_CYCLE_1)
	s_and_not1_b32 s0, s0, exec_lo
	s_and_b32 s15, s24, exec_lo
	s_and_b32 s26, s26, exec_lo
	;; [unrolled: 1-line block ×4, first 2 shown]
	s_or_b32 s0, s0, s15
.LBB174_879:
	s_or_b32 exec_lo, exec_lo, s21
	s_delay_alu instid0(SALU_CYCLE_1)
	s_and_not1_b32 s15, s19, exec_lo
	s_and_b32 s19, s22, exec_lo
	s_and_b32 s0, s0, exec_lo
	s_or_b32 s19, s15, s19
	s_and_not1_b32 s15, s18, exec_lo
	s_and_b32 s23, s26, exec_lo
	s_and_b32 s22, s25, exec_lo
	;; [unrolled: 1-line block ×3, first 2 shown]
	s_or_b32 s18, s15, s0
.LBB174_880:
	s_or_b32 exec_lo, exec_lo, s20
	s_delay_alu instid0(SALU_CYCLE_1)
	s_and_not1_b32 s0, s14, exec_lo
	s_and_b32 s14, s19, exec_lo
	s_and_not1_b32 s15, s16, exec_lo
	s_and_b32 s16, s18, exec_lo
	s_or_b32 s14, s0, s14
	s_and_b32 s0, s23, exec_lo
	s_and_b32 s19, s22, exec_lo
	;; [unrolled: 1-line block ×3, first 2 shown]
	s_or_b32 s16, s15, s16
	s_or_b32 exec_lo, exec_lo, s17
	s_mov_b32 s15, 0
	s_and_saveexec_b32 s17, s16
	s_cbranch_execz .LBB174_269
.LBB174_881:
	s_mov_b32 s15, exec_lo
	s_and_not1_b32 s18, s18, exec_lo
	s_trap 2
	s_or_b32 exec_lo, exec_lo, s17
	s_and_saveexec_b32 s16, s18
	s_delay_alu instid0(SALU_CYCLE_1)
	s_xor_b32 s16, exec_lo, s16
	s_cbranch_execnz .LBB174_270
.LBB174_882:
	s_or_b32 exec_lo, exec_lo, s16
	s_and_saveexec_b32 s16, s19
	s_cbranch_execz .LBB174_928
.LBB174_883:
	s_sext_i32_i16 s17, s12
	s_delay_alu instid0(SALU_CYCLE_1)
	s_cmp_lt_i32 s17, 5
	s_cbranch_scc1 .LBB174_888
; %bb.884:
	s_cmp_lt_i32 s17, 8
	s_cbranch_scc1 .LBB174_889
; %bb.885:
	;; [unrolled: 3-line block ×3, first 2 shown]
	s_cmp_gt_i32 s17, 9
	s_cbranch_scc0 .LBB174_891
; %bb.887:
	s_wait_loadcnt 0x0
	global_load_b64 v[2:3], v[0:1], off
	s_mov_b32 s17, 0
	s_wait_loadcnt 0x0
	v_trunc_f64_e32 v[2:3], v[2:3]
	s_delay_alu instid0(VALU_DEP_1) | instskip(NEXT) | instid1(VALU_DEP_1)
	v_ldexp_f64 v[4:5], v[2:3], 0xffffffe0
	v_floor_f64_e32 v[4:5], v[4:5]
	s_delay_alu instid0(VALU_DEP_1) | instskip(NEXT) | instid1(VALU_DEP_1)
	v_fmamk_f64 v[2:3], v[4:5], 0xc1f00000, v[2:3]
	v_cvt_u32_f64_e32 v2, v[2:3]
	s_branch .LBB174_892
.LBB174_888:
                                        ; implicit-def: $vgpr2
	s_branch .LBB174_909
.LBB174_889:
                                        ; implicit-def: $vgpr2
	s_branch .LBB174_898
.LBB174_890:
	s_mov_b32 s17, -1
                                        ; implicit-def: $vgpr2
	s_branch .LBB174_895
.LBB174_891:
	s_mov_b32 s17, -1
                                        ; implicit-def: $vgpr2
.LBB174_892:
	s_delay_alu instid0(SALU_CYCLE_1)
	s_and_not1_b32 vcc_lo, exec_lo, s17
	s_cbranch_vccnz .LBB174_894
; %bb.893:
	s_wait_loadcnt 0x0
	global_load_b32 v2, v[0:1], off
	s_wait_loadcnt 0x0
	v_trunc_f32_e32 v2, v2
	s_delay_alu instid0(VALU_DEP_1) | instskip(NEXT) | instid1(VALU_DEP_1)
	v_mul_f32_e64 v3, 0x2f800000, |v2|
	v_floor_f32_e32 v3, v3
	s_delay_alu instid0(VALU_DEP_1) | instskip(SKIP_1) | instid1(VALU_DEP_2)
	v_fma_f32 v3, 0xcf800000, v3, |v2|
	v_ashrrev_i32_e32 v2, 31, v2
	v_cvt_u32_f32_e32 v3, v3
	s_delay_alu instid0(VALU_DEP_1) | instskip(NEXT) | instid1(VALU_DEP_1)
	v_xor_b32_e32 v3, v3, v2
	v_sub_nc_u32_e32 v2, v3, v2
.LBB174_894:
	s_mov_b32 s17, 0
.LBB174_895:
	s_delay_alu instid0(SALU_CYCLE_1)
	s_and_not1_b32 vcc_lo, exec_lo, s17
	s_cbranch_vccnz .LBB174_897
; %bb.896:
	s_wait_loadcnt 0x0
	global_load_b32 v2, v[0:1], off
	s_wait_loadcnt 0x0
	v_cvt_f32_f16_e32 v2, v2
	s_delay_alu instid0(VALU_DEP_1)
	v_cvt_i32_f32_e32 v2, v2
.LBB174_897:
	s_cbranch_execnz .LBB174_908
.LBB174_898:
	s_sext_i32_i16 s17, s12
	s_delay_alu instid0(SALU_CYCLE_1)
	s_cmp_lt_i32 s17, 6
	s_cbranch_scc1 .LBB174_901
; %bb.899:
	s_cmp_gt_i32 s17, 6
	s_cbranch_scc0 .LBB174_902
; %bb.900:
	s_wait_loadcnt 0x0
	global_load_b64 v[2:3], v[0:1], off
	s_mov_b32 s17, 0
	s_wait_loadcnt 0x0
	v_trunc_f64_e32 v[2:3], v[2:3]
	s_delay_alu instid0(VALU_DEP_1) | instskip(NEXT) | instid1(VALU_DEP_1)
	v_ldexp_f64 v[4:5], v[2:3], 0xffffffe0
	v_floor_f64_e32 v[4:5], v[4:5]
	s_delay_alu instid0(VALU_DEP_1) | instskip(NEXT) | instid1(VALU_DEP_1)
	v_fmamk_f64 v[2:3], v[4:5], 0xc1f00000, v[2:3]
	v_cvt_u32_f64_e32 v2, v[2:3]
	s_branch .LBB174_903
.LBB174_901:
	s_mov_b32 s17, -1
                                        ; implicit-def: $vgpr2
	s_branch .LBB174_906
.LBB174_902:
	s_mov_b32 s17, -1
                                        ; implicit-def: $vgpr2
.LBB174_903:
	s_delay_alu instid0(SALU_CYCLE_1)
	s_and_not1_b32 vcc_lo, exec_lo, s17
	s_cbranch_vccnz .LBB174_905
; %bb.904:
	s_wait_loadcnt 0x0
	global_load_b32 v2, v[0:1], off
	s_wait_loadcnt 0x0
	v_trunc_f32_e32 v2, v2
	s_delay_alu instid0(VALU_DEP_1) | instskip(NEXT) | instid1(VALU_DEP_1)
	v_mul_f32_e64 v3, 0x2f800000, |v2|
	v_floor_f32_e32 v3, v3
	s_delay_alu instid0(VALU_DEP_1) | instskip(SKIP_1) | instid1(VALU_DEP_2)
	v_fma_f32 v3, 0xcf800000, v3, |v2|
	v_ashrrev_i32_e32 v2, 31, v2
	v_cvt_u32_f32_e32 v3, v3
	s_delay_alu instid0(VALU_DEP_1) | instskip(NEXT) | instid1(VALU_DEP_1)
	v_xor_b32_e32 v3, v3, v2
	v_sub_nc_u32_e32 v2, v3, v2
.LBB174_905:
	s_mov_b32 s17, 0
.LBB174_906:
	s_delay_alu instid0(SALU_CYCLE_1)
	s_and_not1_b32 vcc_lo, exec_lo, s17
	s_cbranch_vccnz .LBB174_908
; %bb.907:
	s_wait_loadcnt 0x0
	global_load_u16 v2, v[0:1], off
	s_wait_loadcnt 0x0
	v_cvt_f32_f16_e32 v2, v2
	s_delay_alu instid0(VALU_DEP_1)
	v_cvt_i32_f32_e32 v2, v2
.LBB174_908:
	s_cbranch_execnz .LBB174_927
.LBB174_909:
	s_sext_i32_i16 s17, s12
	s_delay_alu instid0(SALU_CYCLE_1)
	s_cmp_lt_i32 s17, 2
	s_cbranch_scc1 .LBB174_913
; %bb.910:
	s_cmp_lt_i32 s17, 3
	s_cbranch_scc1 .LBB174_914
; %bb.911:
	s_cmp_gt_i32 s17, 3
	s_cbranch_scc0 .LBB174_915
; %bb.912:
	s_wait_loadcnt 0x0
	global_load_b64 v[2:3], v[0:1], off
	s_mov_b32 s17, 0
	s_branch .LBB174_916
.LBB174_913:
                                        ; implicit-def: $vgpr2
	s_branch .LBB174_922
.LBB174_914:
	s_mov_b32 s17, -1
                                        ; implicit-def: $vgpr2
	s_branch .LBB174_919
.LBB174_915:
	s_mov_b32 s17, -1
                                        ; implicit-def: $vgpr2
.LBB174_916:
	s_delay_alu instid0(SALU_CYCLE_1)
	s_and_not1_b32 vcc_lo, exec_lo, s17
	s_cbranch_vccnz .LBB174_918
; %bb.917:
	s_wait_loadcnt 0x0
	global_load_b32 v2, v[0:1], off
.LBB174_918:
	s_mov_b32 s17, 0
.LBB174_919:
	s_delay_alu instid0(SALU_CYCLE_1)
	s_and_not1_b32 vcc_lo, exec_lo, s17
	s_cbranch_vccnz .LBB174_921
; %bb.920:
	s_wait_loadcnt 0x0
	global_load_u16 v2, v[0:1], off
.LBB174_921:
	s_cbranch_execnz .LBB174_927
.LBB174_922:
	s_sext_i32_i16 s17, s12
	s_delay_alu instid0(SALU_CYCLE_1)
	s_cmp_gt_i32 s17, 0
	s_mov_b32 s17, 0
	s_cbranch_scc0 .LBB174_924
; %bb.923:
	s_wait_loadcnt 0x0
	global_load_u8 v2, v[0:1], off
	s_branch .LBB174_925
.LBB174_924:
	s_mov_b32 s17, -1
                                        ; implicit-def: $vgpr2
.LBB174_925:
	s_delay_alu instid0(SALU_CYCLE_1)
	s_and_not1_b32 vcc_lo, exec_lo, s17
	s_cbranch_vccnz .LBB174_927
; %bb.926:
	s_wait_loadcnt 0x0
	global_load_u8 v2, v[0:1], off
.LBB174_927:
	s_or_b32 s0, s0, exec_lo
.LBB174_928:
	s_wait_xcnt 0x0
	s_or_b32 exec_lo, exec_lo, s16
	s_mov_b32 s19, 0
	s_mov_b32 s18, 0
                                        ; implicit-def: $sgpr16
                                        ; implicit-def: $vgpr0_vgpr1
                                        ; implicit-def: $vgpr3
	s_and_saveexec_b32 s17, s0
	s_cbranch_execz .LBB174_932
; %bb.929:
	s_cmp_lt_i32 s10, 1
	s_mov_b32 s0, 0
	s_cbranch_scc1 .LBB174_935
; %bb.930:
	s_cmp_eq_u32 s10, 1
	s_cbranch_scc0 .LBB174_949
; %bb.931:
	s_wait_loadcnt 0x0
	s_delay_alu instid0(VALU_DEP_1)
	v_and_b32_e32 v0, 0xff, v2
	s_and_b32 s16, s11, 0xff
	s_delay_alu instid0(VALU_DEP_1) | instid1(SALU_CYCLE_1)
	v_min_u16 v3, v0, s16
	s_mov_b32 s16, 0
	s_and_b32 vcc_lo, exec_lo, s18
	s_cbranch_vccnz .LBB174_936
	s_branch .LBB174_937
.LBB174_932:
	s_or_b32 exec_lo, exec_lo, s17
	s_and_saveexec_b32 s0, s14
	s_cbranch_execnz .LBB174_1019
.LBB174_933:
	s_or_b32 exec_lo, exec_lo, s0
	s_and_saveexec_b32 s0, s19
	s_delay_alu instid0(SALU_CYCLE_1)
	s_xor_b32 s0, exec_lo, s0
	s_cbranch_execz .LBB174_1020
.LBB174_934:
	s_wait_loadcnt 0x0
	v_and_b32_e32 v2, 0xff, v3
	s_delay_alu instid0(VALU_DEP_1)
	v_cmp_ne_u16_e32 vcc_lo, 0, v2
	v_cndmask_b32_e64 v2, 0, 1, vcc_lo
	global_store_b8 v[0:1], v2, off
	s_wait_xcnt 0x0
	s_or_b32 exec_lo, exec_lo, s0
	s_and_saveexec_b32 s0, s18
	s_delay_alu instid0(SALU_CYCLE_1)
	s_xor_b32 s0, exec_lo, s0
	s_cbranch_execz .LBB174_1058
	s_branch .LBB174_1021
.LBB174_935:
	s_mov_b32 s16, 0
                                        ; implicit-def: $vgpr3
	s_cbranch_execz .LBB174_937
.LBB174_936:
	s_cmp_lg_u32 s10, 0
	s_mov_b32 s0, -1
	s_cselect_b32 s16, -1, 0
.LBB174_937:
	s_wait_loadcnt 0x0
	s_delay_alu instid0(VALU_DEP_1)
	v_and_b32_e32 v0, 0xff, v2
	s_and_not1_b32 vcc_lo, exec_lo, s16
	s_cbranch_vccnz .LBB174_939
; %bb.938:
	s_and_b32 s0, s11, 0xff
	s_delay_alu instid0(VALU_DEP_1) | instid1(SALU_CYCLE_1)
	v_max_u16 v1, v0, s0
	s_delay_alu instid0(VALU_DEP_1)
	v_min_u16 v3, v1, s1
	s_cbranch_execz .LBB174_940
	s_branch .LBB174_941
.LBB174_939:
	s_and_not1_b32 vcc_lo, exec_lo, s0
	s_cbranch_vccnz .LBB174_941
.LBB174_940:
	s_and_b32 s0, s11, 0xff
	s_delay_alu instid0(SALU_CYCLE_1)
	v_max_u16 v3, v0, s0
.LBB174_941:
	v_mul_lo_u32 v0, v6, s8
	s_and_b32 s16, s2, 0xff
	s_delay_alu instid0(SALU_CYCLE_1) | instskip(NEXT) | instid1(VALU_DEP_1)
	s_cmp_lt_i32 s16, 11
	v_ashrrev_i32_e32 v1, 31, v0
	s_delay_alu instid0(VALU_DEP_1)
	v_add_nc_u64_e32 v[0:1], s[4:5], v[0:1]
	s_cbranch_scc1 .LBB174_948
; %bb.942:
	s_and_b32 s18, 0xffff, s16
	s_mov_b32 s19, -1
	s_cmp_gt_i32 s18, 25
	s_mov_b32 s0, s14
	s_cbranch_scc0 .LBB174_977
; %bb.943:
	s_cmp_gt_i32 s18, 28
	s_mov_b32 s0, s14
	s_cbranch_scc0 .LBB174_961
; %bb.944:
	;; [unrolled: 4-line block ×4, first 2 shown]
	s_cmp_eq_u32 s18, 46
	s_mov_b32 s0, -1
	s_cbranch_scc0 .LBB174_950
; %bb.947:
	v_cvt_f32_ubyte0_e32 v2, v3
	s_mov_b32 s0, 0
	s_mov_b32 s19, 0
	s_delay_alu instid0(VALU_DEP_1) | instskip(NEXT) | instid1(VALU_DEP_1)
	v_bfe_u32 v4, v2, 16, 1
	v_add3_u32 v2, v2, v4, 0x7fff
	s_delay_alu instid0(VALU_DEP_1)
	v_lshrrev_b32_e32 v2, 16, v2
	global_store_b32 v[0:1], v2, off
	s_branch .LBB174_951
.LBB174_948:
	s_mov_b32 s20, 0
	s_mov_b32 s19, -1
	s_mov_b32 s0, s14
	s_branch .LBB174_1018
.LBB174_949:
	s_mov_b32 s16, -1
                                        ; implicit-def: $vgpr3
	s_and_b32 vcc_lo, exec_lo, s18
	s_cbranch_vccnz .LBB174_936
	s_branch .LBB174_937
.LBB174_950:
	s_mov_b32 s19, 0
.LBB174_951:
	s_delay_alu instid0(SALU_CYCLE_1)
	s_and_b32 vcc_lo, exec_lo, s19
	s_cbranch_vccz .LBB174_956
; %bb.952:
	s_cmp_eq_u32 s18, 44
	s_mov_b32 s0, -1
	s_cbranch_scc0 .LBB174_956
; %bb.953:
	v_cvt_f32_ubyte0_e32 v5, v3
	v_mov_b32_e32 v4, 0xff
	s_mov_b32 s19, exec_lo
	s_wait_xcnt 0x0
	s_delay_alu instid0(VALU_DEP_2) | instskip(NEXT) | instid1(VALU_DEP_1)
	v_lshrrev_b32_e32 v2, 23, v5
	v_cmpx_ne_u32_e32 0xff, v2
; %bb.954:
	v_and_b32_e32 v4, 0x400000, v5
	v_and_or_b32 v5, 0x3fffff, v5, v2
	s_delay_alu instid0(VALU_DEP_2) | instskip(NEXT) | instid1(VALU_DEP_2)
	v_cmp_ne_u32_e32 vcc_lo, 0, v4
	v_cmp_ne_u32_e64 s0, 0, v5
	s_and_b32 s0, vcc_lo, s0
	s_delay_alu instid0(SALU_CYCLE_1) | instskip(NEXT) | instid1(VALU_DEP_1)
	v_cndmask_b32_e64 v4, 0, 1, s0
	v_add_nc_u32_e32 v4, v2, v4
; %bb.955:
	s_or_b32 exec_lo, exec_lo, s19
	s_mov_b32 s0, 0
	global_store_b8 v[0:1], v4, off
.LBB174_956:
	s_mov_b32 s19, 0
.LBB174_957:
	s_delay_alu instid0(SALU_CYCLE_1)
	s_and_b32 vcc_lo, exec_lo, s19
	s_cbranch_vccz .LBB174_960
; %bb.958:
	s_cmp_eq_u32 s18, 29
	s_mov_b32 s0, -1
	s_cbranch_scc0 .LBB174_960
; %bb.959:
	s_wait_xcnt 0x0
	v_and_b32_e32 v4, 0xff, v3
	v_mov_b32_e32 v5, 0
	s_mov_b32 s0, 0
	s_mov_b32 s19, 0
	global_store_b64 v[0:1], v[4:5], off
	s_branch .LBB174_961
.LBB174_960:
	s_mov_b32 s19, 0
.LBB174_961:
	s_delay_alu instid0(SALU_CYCLE_1)
	s_and_b32 vcc_lo, exec_lo, s19
	s_cbranch_vccz .LBB174_976
; %bb.962:
	s_cmp_lt_i32 s18, 27
	s_mov_b32 s19, -1
	s_cbranch_scc1 .LBB174_968
; %bb.963:
	s_wait_xcnt 0x0
	v_and_b32_e32 v2, 0xff, v3
	s_cmp_gt_i32 s18, 27
	s_cbranch_scc0 .LBB174_965
; %bb.964:
	s_mov_b32 s19, 0
	global_store_b32 v[0:1], v2, off
.LBB174_965:
	s_and_not1_b32 vcc_lo, exec_lo, s19
	s_cbranch_vccnz .LBB174_967
; %bb.966:
	global_store_b16 v[0:1], v2, off
.LBB174_967:
	s_mov_b32 s19, 0
.LBB174_968:
	s_delay_alu instid0(SALU_CYCLE_1)
	s_and_not1_b32 vcc_lo, exec_lo, s19
	s_cbranch_vccnz .LBB174_976
; %bb.969:
	s_wait_xcnt 0x0
	v_cvt_f32_ubyte0_e32 v4, v3
	v_mov_b32_e32 v5, 0x80
	s_mov_b32 s19, exec_lo
	s_delay_alu instid0(VALU_DEP_2)
	v_cmpx_gt_u32_e32 0x43800000, v4
	s_cbranch_execz .LBB174_975
; %bb.970:
	s_mov_b32 s20, 0
	s_mov_b32 s21, exec_lo
                                        ; implicit-def: $vgpr2
	v_cmpx_lt_u32_e32 0x3bffffff, v4
	s_xor_b32 s21, exec_lo, s21
	s_cbranch_execz .LBB174_1073
; %bb.971:
	v_bfe_u32 v2, v4, 20, 1
	s_mov_b32 s20, exec_lo
	s_delay_alu instid0(VALU_DEP_1) | instskip(NEXT) | instid1(VALU_DEP_1)
	v_add3_u32 v2, v4, v2, 0x487ffff
                                        ; implicit-def: $vgpr4
	v_lshrrev_b32_e32 v2, 20, v2
	s_and_not1_saveexec_b32 s21, s21
	s_cbranch_execnz .LBB174_1074
.LBB174_972:
	s_or_b32 exec_lo, exec_lo, s21
	v_mov_b32_e32 v5, 0
	s_and_saveexec_b32 s21, s20
.LBB174_973:
	v_mov_b32_e32 v5, v2
.LBB174_974:
	s_or_b32 exec_lo, exec_lo, s21
.LBB174_975:
	s_delay_alu instid0(SALU_CYCLE_1)
	s_or_b32 exec_lo, exec_lo, s19
	global_store_b8 v[0:1], v5, off
.LBB174_976:
	s_mov_b32 s19, 0
.LBB174_977:
	s_delay_alu instid0(SALU_CYCLE_1)
	s_and_b32 vcc_lo, exec_lo, s19
	s_mov_b32 s19, 0
	s_cbranch_vccz .LBB174_1017
; %bb.978:
	s_cmp_gt_i32 s18, 22
	s_mov_b32 s20, -1
	s_cbranch_scc0 .LBB174_1010
; %bb.979:
	s_cmp_lt_i32 s18, 24
	s_cbranch_scc1 .LBB174_999
; %bb.980:
	s_cmp_gt_i32 s18, 24
	s_cbranch_scc0 .LBB174_988
; %bb.981:
	s_wait_xcnt 0x0
	v_cvt_f32_ubyte0_e32 v4, v3
	v_mov_b32_e32 v5, 0x80
	s_mov_b32 s20, exec_lo
	s_delay_alu instid0(VALU_DEP_2)
	v_cmpx_gt_u32_e32 0x47800000, v4
	s_cbranch_execz .LBB174_987
; %bb.982:
	s_mov_b32 s21, 0
	s_mov_b32 s22, exec_lo
                                        ; implicit-def: $vgpr2
	v_cmpx_lt_u32_e32 0x37ffffff, v4
	s_xor_b32 s22, exec_lo, s22
	s_cbranch_execz .LBB174_1204
; %bb.983:
	v_bfe_u32 v2, v4, 21, 1
	s_mov_b32 s21, exec_lo
	s_delay_alu instid0(VALU_DEP_1) | instskip(NEXT) | instid1(VALU_DEP_1)
	v_add3_u32 v2, v4, v2, 0x88fffff
                                        ; implicit-def: $vgpr4
	v_lshrrev_b32_e32 v2, 21, v2
	s_and_not1_saveexec_b32 s22, s22
	s_cbranch_execnz .LBB174_1205
.LBB174_984:
	s_or_b32 exec_lo, exec_lo, s22
	v_mov_b32_e32 v5, 0
	s_and_saveexec_b32 s22, s21
.LBB174_985:
	v_mov_b32_e32 v5, v2
.LBB174_986:
	s_or_b32 exec_lo, exec_lo, s22
.LBB174_987:
	s_delay_alu instid0(SALU_CYCLE_1)
	s_or_b32 exec_lo, exec_lo, s20
	s_mov_b32 s20, 0
	global_store_b8 v[0:1], v5, off
.LBB174_988:
	s_and_b32 vcc_lo, exec_lo, s20
	s_cbranch_vccz .LBB174_998
; %bb.989:
	s_wait_xcnt 0x0
	v_cvt_f32_ubyte0_e32 v4, v3
	s_mov_b32 s20, exec_lo
                                        ; implicit-def: $vgpr2
	s_delay_alu instid0(VALU_DEP_1)
	v_cmpx_gt_u32_e32 0x43f00000, v4
	s_xor_b32 s20, exec_lo, s20
	s_cbranch_execz .LBB174_995
; %bb.990:
	s_mov_b32 s21, exec_lo
                                        ; implicit-def: $vgpr2
	v_cmpx_lt_u32_e32 0x3c7fffff, v4
	s_xor_b32 s21, exec_lo, s21
; %bb.991:
	v_bfe_u32 v2, v4, 20, 1
	s_delay_alu instid0(VALU_DEP_1) | instskip(NEXT) | instid1(VALU_DEP_1)
	v_add3_u32 v2, v4, v2, 0x407ffff
	v_and_b32_e32 v4, 0xff00000, v2
	v_lshrrev_b32_e32 v2, 20, v2
	s_delay_alu instid0(VALU_DEP_2) | instskip(NEXT) | instid1(VALU_DEP_2)
	v_cmp_ne_u32_e32 vcc_lo, 0x7f00000, v4
                                        ; implicit-def: $vgpr4
	v_cndmask_b32_e32 v2, 0x7e, v2, vcc_lo
; %bb.992:
	s_and_not1_saveexec_b32 s21, s21
; %bb.993:
	v_add_f32_e32 v2, 0x46800000, v4
; %bb.994:
	s_or_b32 exec_lo, exec_lo, s21
                                        ; implicit-def: $vgpr4
.LBB174_995:
	s_and_not1_saveexec_b32 s20, s20
; %bb.996:
	v_mov_b32_e32 v2, 0x7f
	v_cmp_lt_u32_e32 vcc_lo, 0x7f800000, v4
	s_delay_alu instid0(VALU_DEP_2)
	v_cndmask_b32_e32 v2, 0x7e, v2, vcc_lo
; %bb.997:
	s_or_b32 exec_lo, exec_lo, s20
	global_store_b8 v[0:1], v2, off
.LBB174_998:
	s_mov_b32 s20, 0
.LBB174_999:
	s_delay_alu instid0(SALU_CYCLE_1)
	s_and_not1_b32 vcc_lo, exec_lo, s20
	s_cbranch_vccnz .LBB174_1009
; %bb.1000:
	s_wait_xcnt 0x0
	v_cvt_f32_ubyte0_e32 v4, v3
	s_mov_b32 s20, exec_lo
                                        ; implicit-def: $vgpr2
	s_delay_alu instid0(VALU_DEP_1)
	v_cmpx_gt_u32_e32 0x47800000, v4
	s_xor_b32 s20, exec_lo, s20
	s_cbranch_execz .LBB174_1006
; %bb.1001:
	s_mov_b32 s21, exec_lo
                                        ; implicit-def: $vgpr2
	v_cmpx_lt_u32_e32 0x387fffff, v4
	s_xor_b32 s21, exec_lo, s21
; %bb.1002:
	v_bfe_u32 v2, v4, 21, 1
	s_delay_alu instid0(VALU_DEP_1) | instskip(NEXT) | instid1(VALU_DEP_1)
	v_add3_u32 v2, v4, v2, 0x80fffff
                                        ; implicit-def: $vgpr4
	v_lshrrev_b32_e32 v2, 21, v2
; %bb.1003:
	s_and_not1_saveexec_b32 s21, s21
; %bb.1004:
	v_add_f32_e32 v2, 0x43000000, v4
; %bb.1005:
	s_or_b32 exec_lo, exec_lo, s21
                                        ; implicit-def: $vgpr4
.LBB174_1006:
	s_and_not1_saveexec_b32 s20, s20
; %bb.1007:
	v_mov_b32_e32 v2, 0x7f
	v_cmp_lt_u32_e32 vcc_lo, 0x7f800000, v4
	s_delay_alu instid0(VALU_DEP_2)
	v_cndmask_b32_e32 v2, 0x7c, v2, vcc_lo
; %bb.1008:
	s_or_b32 exec_lo, exec_lo, s20
	global_store_b8 v[0:1], v2, off
.LBB174_1009:
	s_mov_b32 s20, 0
.LBB174_1010:
	s_delay_alu instid0(SALU_CYCLE_1)
	s_and_not1_b32 vcc_lo, exec_lo, s20
	s_mov_b32 s20, 0
	s_cbranch_vccnz .LBB174_1018
; %bb.1011:
	s_cmp_gt_i32 s18, 14
	s_mov_b32 s20, -1
	s_cbranch_scc0 .LBB174_1015
; %bb.1012:
	s_cmp_eq_u32 s18, 15
	s_mov_b32 s0, -1
	s_cbranch_scc0 .LBB174_1014
; %bb.1013:
	s_wait_xcnt 0x0
	v_cvt_f32_ubyte0_e32 v2, v3
	s_mov_b32 s0, 0
	s_delay_alu instid0(VALU_DEP_1) | instskip(NEXT) | instid1(VALU_DEP_1)
	v_bfe_u32 v4, v2, 16, 1
	v_add3_u32 v2, v2, v4, 0x7fff
	global_store_d16_hi_b16 v[0:1], v2, off
.LBB174_1014:
	s_mov_b32 s20, 0
.LBB174_1015:
	s_delay_alu instid0(SALU_CYCLE_1)
	s_and_b32 vcc_lo, exec_lo, s20
	s_mov_b32 s20, 0
	s_cbranch_vccz .LBB174_1018
; %bb.1016:
	s_cmp_lg_u32 s18, 11
	s_mov_b32 s20, -1
	s_cselect_b32 s18, -1, 0
	s_and_not1_b32 s0, s0, exec_lo
	s_and_b32 s18, s18, exec_lo
	s_delay_alu instid0(SALU_CYCLE_1)
	s_or_b32 s0, s0, s18
	s_branch .LBB174_1018
.LBB174_1017:
	s_mov_b32 s20, 0
.LBB174_1018:
	s_and_not1_b32 s14, s14, exec_lo
	s_and_b32 s0, s0, exec_lo
	s_and_b32 s18, s19, exec_lo
	s_and_b32 s19, s20, exec_lo
	s_or_b32 s14, s14, s0
	s_wait_xcnt 0x0
	s_or_b32 exec_lo, exec_lo, s17
	s_and_saveexec_b32 s0, s14
	s_cbranch_execz .LBB174_933
.LBB174_1019:
	s_or_b32 s15, s15, exec_lo
	s_and_not1_b32 s19, s19, exec_lo
	s_trap 2
	s_or_b32 exec_lo, exec_lo, s0
	s_and_saveexec_b32 s0, s19
	s_delay_alu instid0(SALU_CYCLE_1)
	s_xor_b32 s0, exec_lo, s0
	s_cbranch_execnz .LBB174_934
.LBB174_1020:
	s_or_b32 exec_lo, exec_lo, s0
	s_and_saveexec_b32 s0, s18
	s_delay_alu instid0(SALU_CYCLE_1)
	s_xor_b32 s0, exec_lo, s0
	s_cbranch_execz .LBB174_1058
.LBB174_1021:
	s_sext_i32_i16 s17, s16
	s_mov_b32 s14, -1
	s_cmp_lt_i32 s17, 5
	s_cbranch_scc1 .LBB174_1042
; %bb.1022:
	s_cmp_lt_i32 s17, 8
	s_cbranch_scc1 .LBB174_1032
; %bb.1023:
	s_cmp_lt_i32 s17, 9
	s_cbranch_scc1 .LBB174_1029
; %bb.1024:
	s_cmp_gt_i32 s17, 9
	s_cbranch_scc0 .LBB174_1026
; %bb.1025:
	s_wait_loadcnt 0x0
	v_and_b32_e32 v2, 0xff, v3
	v_mov_b32_e32 v6, 0
	s_mov_b32 s14, 0
	s_delay_alu instid0(VALU_DEP_2) | instskip(NEXT) | instid1(VALU_DEP_2)
	v_and_b32_e32 v2, 0xffff, v2
	v_mov_b32_e32 v7, v6
	s_delay_alu instid0(VALU_DEP_2)
	v_cvt_f64_u32_e32 v[4:5], v2
	global_store_b128 v[0:1], v[4:7], off
.LBB174_1026:
	s_and_not1_b32 vcc_lo, exec_lo, s14
	s_cbranch_vccnz .LBB174_1028
; %bb.1027:
	s_wait_loadcnt 0x0
	v_cvt_f32_ubyte0_e32 v4, v3
	v_mov_b32_e32 v5, 0
	global_store_b64 v[0:1], v[4:5], off
.LBB174_1028:
	s_mov_b32 s14, 0
.LBB174_1029:
	s_delay_alu instid0(SALU_CYCLE_1)
	s_and_not1_b32 vcc_lo, exec_lo, s14
	s_cbranch_vccnz .LBB174_1031
; %bb.1030:
	s_wait_loadcnt 0x0
	v_and_b32_e32 v2, 0xff, v3
	s_delay_alu instid0(VALU_DEP_1) | instskip(NEXT) | instid1(VALU_DEP_1)
	v_cvt_f16_u16_e32 v2, v2
	v_and_b32_e32 v2, 0xffff, v2
	global_store_b32 v[0:1], v2, off
.LBB174_1031:
	s_mov_b32 s14, 0
.LBB174_1032:
	s_delay_alu instid0(SALU_CYCLE_1)
	s_and_not1_b32 vcc_lo, exec_lo, s14
	s_cbranch_vccnz .LBB174_1041
; %bb.1033:
	s_sext_i32_i16 s17, s16
	s_mov_b32 s14, -1
	s_cmp_lt_i32 s17, 6
	s_cbranch_scc1 .LBB174_1039
; %bb.1034:
	s_cmp_gt_i32 s17, 6
	s_cbranch_scc0 .LBB174_1036
; %bb.1035:
	s_wait_loadcnt 0x0
	v_and_b32_e32 v2, 0xff, v3
	s_mov_b32 s14, 0
	s_delay_alu instid0(VALU_DEP_1) | instskip(NEXT) | instid1(VALU_DEP_1)
	v_and_b32_e32 v2, 0xffff, v2
	v_cvt_f64_u32_e32 v[4:5], v2
	global_store_b64 v[0:1], v[4:5], off
.LBB174_1036:
	s_and_not1_b32 vcc_lo, exec_lo, s14
	s_cbranch_vccnz .LBB174_1038
; %bb.1037:
	s_wait_loadcnt 0x0
	v_cvt_f32_ubyte0_e32 v2, v3
	global_store_b32 v[0:1], v2, off
.LBB174_1038:
	s_mov_b32 s14, 0
.LBB174_1039:
	s_delay_alu instid0(SALU_CYCLE_1)
	s_and_not1_b32 vcc_lo, exec_lo, s14
	s_cbranch_vccnz .LBB174_1041
; %bb.1040:
	s_wait_loadcnt 0x0
	v_and_b32_e32 v2, 0xff, v3
	s_delay_alu instid0(VALU_DEP_1)
	v_cvt_f16_u16_e32 v2, v2
	global_store_b16 v[0:1], v2, off
.LBB174_1041:
	s_mov_b32 s14, 0
.LBB174_1042:
	s_delay_alu instid0(SALU_CYCLE_1)
	s_and_not1_b32 vcc_lo, exec_lo, s14
	s_cbranch_vccnz .LBB174_1058
; %bb.1043:
	s_sext_i32_i16 s17, s16
	s_mov_b32 s14, -1
	s_cmp_lt_i32 s17, 2
	s_cbranch_scc1 .LBB174_1053
; %bb.1044:
	s_cmp_lt_i32 s17, 3
	s_cbranch_scc1 .LBB174_1050
; %bb.1045:
	s_cmp_gt_i32 s17, 3
	s_cbranch_scc0 .LBB174_1047
; %bb.1046:
	s_wait_loadcnt 0x0
	v_and_b32_e32 v4, 0xff, v3
	v_mov_b32_e32 v5, 0
	s_mov_b32 s14, 0
	global_store_b64 v[0:1], v[4:5], off
.LBB174_1047:
	s_and_not1_b32 vcc_lo, exec_lo, s14
	s_cbranch_vccnz .LBB174_1049
; %bb.1048:
	s_wait_loadcnt 0x0
	v_and_b32_e32 v2, 0xff, v3
	global_store_b32 v[0:1], v2, off
.LBB174_1049:
	s_mov_b32 s14, 0
.LBB174_1050:
	s_delay_alu instid0(SALU_CYCLE_1)
	s_and_not1_b32 vcc_lo, exec_lo, s14
	s_cbranch_vccnz .LBB174_1052
; %bb.1051:
	s_wait_loadcnt 0x0
	v_and_b32_e32 v2, 0xff, v3
	global_store_b16 v[0:1], v2, off
.LBB174_1052:
	s_mov_b32 s14, 0
.LBB174_1053:
	s_delay_alu instid0(SALU_CYCLE_1)
	s_and_not1_b32 vcc_lo, exec_lo, s14
	s_cbranch_vccnz .LBB174_1058
; %bb.1054:
	s_sext_i32_i16 s14, s16
	s_delay_alu instid0(SALU_CYCLE_1)
	s_cmp_gt_i32 s14, 0
	s_mov_b32 s14, -1
	s_cbranch_scc0 .LBB174_1056
; %bb.1055:
	s_mov_b32 s14, 0
	s_wait_loadcnt 0x0
	global_store_b8 v[0:1], v3, off
.LBB174_1056:
	s_and_not1_b32 vcc_lo, exec_lo, s14
	s_cbranch_vccnz .LBB174_1058
; %bb.1057:
	s_wait_loadcnt 0x0
	global_store_b8 v[0:1], v3, off
.LBB174_1058:
	s_wait_xcnt 0x0
	s_or_b32 exec_lo, exec_lo, s0
	s_delay_alu instid0(SALU_CYCLE_1)
	s_and_b32 s14, s15, exec_lo
                                        ; implicit-def: $vgpr6
.LBB174_1059:
	s_or_saveexec_b32 s13, s13
	s_mov_b32 s0, 0
                                        ; implicit-def: $sgpr15
                                        ; implicit-def: $vgpr0_vgpr1
                                        ; implicit-def: $vgpr4
	s_xor_b32 exec_lo, exec_lo, s13
	s_cbranch_execz .LBB174_1596
; %bb.1060:
	v_mul_lo_u32 v0, s9, v6
	s_and_b32 s0, 0xffff, s12
	s_delay_alu instid0(SALU_CYCLE_1) | instskip(NEXT) | instid1(VALU_DEP_1)
	s_cmp_lt_i32 s0, 11
	v_ashrrev_i32_e32 v1, 31, v0
	s_wait_loadcnt 0x0
	s_delay_alu instid0(VALU_DEP_1)
	v_add_nc_u64_e32 v[2:3], s[6:7], v[0:1]
	s_cbranch_scc1 .LBB174_1067
; %bb.1061:
	s_cmp_gt_i32 s0, 25
	s_mov_b32 s12, 0
	s_cbranch_scc0 .LBB174_1069
; %bb.1062:
	s_cmp_gt_i32 s0, 28
	s_cbranch_scc0 .LBB174_1070
; %bb.1063:
	s_cmp_gt_i32 s0, 43
	s_cbranch_scc0 .LBB174_1071
; %bb.1064:
	s_cmp_gt_i32 s0, 45
	s_cbranch_scc0 .LBB174_1072
; %bb.1065:
	s_cmp_eq_u32 s0, 46
	s_mov_b32 s16, 0
	s_cbranch_scc0 .LBB174_1075
; %bb.1066:
	global_load_b32 v1, v[2:3], off
	s_mov_b32 s15, -1
	s_wait_loadcnt 0x0
	v_lshlrev_b32_e32 v1, 16, v1
	s_delay_alu instid0(VALU_DEP_1) | instskip(NEXT) | instid1(VALU_DEP_1)
	v_trunc_f32_e32 v1, v1
	v_mul_f32_e64 v4, 0x2f800000, |v1|
	s_delay_alu instid0(VALU_DEP_1) | instskip(NEXT) | instid1(VALU_DEP_1)
	v_floor_f32_e32 v4, v4
	v_fma_f32 v4, 0xcf800000, v4, |v1|
	v_ashrrev_i32_e32 v1, 31, v1
	s_delay_alu instid0(VALU_DEP_2) | instskip(NEXT) | instid1(VALU_DEP_1)
	v_cvt_u32_f32_e32 v4, v4
	v_xor_b32_e32 v4, v4, v1
	s_delay_alu instid0(VALU_DEP_1)
	v_sub_nc_u32_e32 v4, v4, v1
	s_branch .LBB174_1077
.LBB174_1067:
	s_mov_b32 s15, 0
	s_mov_b32 s3, s14
                                        ; implicit-def: $vgpr4
	s_cbranch_execnz .LBB174_1135
.LBB174_1068:
	s_and_not1_b32 vcc_lo, exec_lo, s15
	s_cbranch_vccz .LBB174_1180
	s_branch .LBB174_1594
.LBB174_1069:
	s_mov_b32 s15, 0
                                        ; implicit-def: $vgpr4
	s_cbranch_execnz .LBB174_1102
	s_branch .LBB174_1131
.LBB174_1070:
	s_mov_b32 s15, 0
                                        ; implicit-def: $vgpr4
	s_cbranch_execz .LBB174_1101
	s_branch .LBB174_1086
.LBB174_1071:
	s_mov_b32 s15, 0
                                        ; implicit-def: $vgpr4
	s_cbranch_execnz .LBB174_1082
	s_branch .LBB174_1085
.LBB174_1072:
	s_mov_b32 s16, -1
	s_branch .LBB174_1076
.LBB174_1073:
	s_and_not1_saveexec_b32 s21, s21
	s_cbranch_execz .LBB174_972
.LBB174_1074:
	v_add_f32_e32 v2, 0x46000000, v4
	s_and_not1_b32 s20, s20, exec_lo
	s_delay_alu instid0(VALU_DEP_1) | instskip(NEXT) | instid1(VALU_DEP_1)
	v_and_b32_e32 v2, 0xff, v2
	v_cmp_ne_u32_e32 vcc_lo, 0, v2
	s_and_b32 s22, vcc_lo, exec_lo
	s_delay_alu instid0(SALU_CYCLE_1)
	s_or_b32 s20, s20, s22
	s_or_b32 exec_lo, exec_lo, s21
	v_mov_b32_e32 v5, 0
	s_and_saveexec_b32 s21, s20
	s_cbranch_execnz .LBB174_973
	s_branch .LBB174_974
.LBB174_1075:
	s_mov_b32 s3, -1
.LBB174_1076:
	s_mov_b32 s15, 0
                                        ; implicit-def: $vgpr4
.LBB174_1077:
	s_and_b32 vcc_lo, exec_lo, s16
	s_cbranch_vccz .LBB174_1080
; %bb.1078:
	s_cmp_eq_u32 s0, 44
	s_cbranch_scc0 .LBB174_1081
; %bb.1079:
	global_load_u8 v1, v[2:3], off
	s_mov_b32 s3, 0
	s_mov_b32 s15, -1
	s_wait_loadcnt 0x0
	v_lshlrev_b32_e32 v4, 23, v1
	v_cmp_ne_u32_e32 vcc_lo, 0, v1
	s_delay_alu instid0(VALU_DEP_2) | instskip(NEXT) | instid1(VALU_DEP_1)
	v_trunc_f32_e32 v4, v4
	v_mul_f32_e64 v5, 0x2f800000, |v4|
	s_delay_alu instid0(VALU_DEP_1) | instskip(NEXT) | instid1(VALU_DEP_1)
	v_floor_f32_e32 v5, v5
	v_fma_f32 v5, 0xcf800000, v5, |v4|
	v_ashrrev_i32_e32 v4, 31, v4
	s_delay_alu instid0(VALU_DEP_2) | instskip(NEXT) | instid1(VALU_DEP_1)
	v_cvt_u32_f32_e32 v5, v5
	v_xor_b32_e32 v5, v5, v4
	s_delay_alu instid0(VALU_DEP_1) | instskip(NEXT) | instid1(VALU_DEP_1)
	v_sub_nc_u32_e32 v4, v5, v4
	v_cndmask_b32_e32 v4, 0, v4, vcc_lo
.LBB174_1080:
	s_branch .LBB174_1085
.LBB174_1081:
	s_mov_b32 s3, -1
                                        ; implicit-def: $vgpr4
	s_branch .LBB174_1085
.LBB174_1082:
	s_cmp_eq_u32 s0, 29
	s_cbranch_scc0 .LBB174_1084
; %bb.1083:
	global_load_b64 v[4:5], v[2:3], off
	s_mov_b32 s3, 0
	s_mov_b32 s15, -1
	s_branch .LBB174_1085
.LBB174_1084:
	s_mov_b32 s3, -1
                                        ; implicit-def: $vgpr4
.LBB174_1085:
	s_branch .LBB174_1101
.LBB174_1086:
	s_cmp_lt_i32 s0, 27
	s_cbranch_scc1 .LBB174_1089
; %bb.1087:
	s_cmp_gt_i32 s0, 27
	s_cbranch_scc0 .LBB174_1090
; %bb.1088:
	s_wait_loadcnt 0x0
	global_load_b32 v4, v[2:3], off
	s_mov_b32 s15, 0
	s_branch .LBB174_1091
.LBB174_1089:
	s_mov_b32 s15, -1
                                        ; implicit-def: $vgpr4
	s_branch .LBB174_1094
.LBB174_1090:
	s_mov_b32 s15, -1
                                        ; implicit-def: $vgpr4
.LBB174_1091:
	s_delay_alu instid0(SALU_CYCLE_1)
	s_and_not1_b32 vcc_lo, exec_lo, s15
	s_cbranch_vccnz .LBB174_1093
; %bb.1092:
	s_wait_loadcnt 0x0
	global_load_u16 v4, v[2:3], off
.LBB174_1093:
	s_mov_b32 s15, 0
.LBB174_1094:
	s_delay_alu instid0(SALU_CYCLE_1)
	s_and_not1_b32 vcc_lo, exec_lo, s15
	s_cbranch_vccnz .LBB174_1100
; %bb.1095:
	global_load_u8 v1, v[2:3], off
	s_mov_b32 s16, 0
	s_mov_b32 s15, exec_lo
	s_wait_loadcnt 0x0
	v_cmpx_lt_i16_e32 0x7f, v1
	s_xor_b32 s15, exec_lo, s15
	s_cbranch_execz .LBB174_1111
; %bb.1096:
	v_cmp_ne_u16_e32 vcc_lo, 0x80, v1
	s_and_b32 s16, vcc_lo, exec_lo
	s_and_not1_saveexec_b32 s15, s15
	s_cbranch_execnz .LBB174_1112
.LBB174_1097:
	s_or_b32 exec_lo, exec_lo, s15
	v_mov_b32_e32 v4, 0
	s_and_saveexec_b32 s15, s16
	s_cbranch_execz .LBB174_1099
.LBB174_1098:
	v_and_b32_e32 v4, 0xffff, v1
	s_delay_alu instid0(VALU_DEP_1) | instskip(SKIP_1) | instid1(VALU_DEP_2)
	v_and_b32_e32 v5, 7, v4
	v_bfe_u32 v9, v4, 3, 4
	v_clz_i32_u32_e32 v7, v5
	s_delay_alu instid0(VALU_DEP_2) | instskip(NEXT) | instid1(VALU_DEP_2)
	v_cmp_eq_u32_e32 vcc_lo, 0, v9
	v_min_u32_e32 v7, 32, v7
	s_delay_alu instid0(VALU_DEP_1) | instskip(NEXT) | instid1(VALU_DEP_1)
	v_subrev_nc_u32_e32 v8, 28, v7
	v_dual_lshlrev_b32 v4, v8, v4 :: v_dual_sub_nc_u32 v7, 29, v7
	s_delay_alu instid0(VALU_DEP_1) | instskip(NEXT) | instid1(VALU_DEP_2)
	v_dual_lshlrev_b32 v1, 24, v1 :: v_dual_bitop2_b32 v4, 7, v4 bitop3:0x40
	v_cndmask_b32_e32 v7, v9, v7, vcc_lo
	s_delay_alu instid0(VALU_DEP_2) | instskip(NEXT) | instid1(VALU_DEP_3)
	v_cndmask_b32_e32 v4, v5, v4, vcc_lo
	v_and_b32_e32 v1, 0x80000000, v1
	s_delay_alu instid0(VALU_DEP_3) | instskip(NEXT) | instid1(VALU_DEP_3)
	v_lshl_add_u32 v5, v7, 23, 0x3b800000
	v_lshlrev_b32_e32 v4, 20, v4
	s_delay_alu instid0(VALU_DEP_1) | instskip(NEXT) | instid1(VALU_DEP_1)
	v_or3_b32 v1, v1, v5, v4
	v_trunc_f32_e32 v1, v1
	s_delay_alu instid0(VALU_DEP_1) | instskip(NEXT) | instid1(VALU_DEP_1)
	v_mul_f32_e64 v4, 0x2f800000, |v1|
	v_floor_f32_e32 v4, v4
	s_delay_alu instid0(VALU_DEP_1) | instskip(SKIP_1) | instid1(VALU_DEP_2)
	v_fma_f32 v4, 0xcf800000, v4, |v1|
	v_ashrrev_i32_e32 v1, 31, v1
	v_cvt_u32_f32_e32 v4, v4
	s_delay_alu instid0(VALU_DEP_1) | instskip(NEXT) | instid1(VALU_DEP_1)
	v_xor_b32_e32 v4, v4, v1
	v_sub_nc_u32_e32 v4, v4, v1
.LBB174_1099:
	s_or_b32 exec_lo, exec_lo, s15
.LBB174_1100:
	s_mov_b32 s15, -1
.LBB174_1101:
	s_branch .LBB174_1131
.LBB174_1102:
	s_cmp_gt_i32 s0, 22
	s_cbranch_scc0 .LBB174_1110
; %bb.1103:
	s_cmp_lt_i32 s0, 24
	s_cbranch_scc1 .LBB174_1113
; %bb.1104:
	s_cmp_gt_i32 s0, 24
	s_cbranch_scc0 .LBB174_1114
; %bb.1105:
	global_load_u8 v1, v[2:3], off
	s_mov_b32 s15, 0
	s_mov_b32 s12, exec_lo
	s_wait_loadcnt 0x0
	v_cmpx_lt_i16_e32 0x7f, v1
	s_xor_b32 s12, exec_lo, s12
	s_cbranch_execz .LBB174_1125
; %bb.1106:
	v_cmp_ne_u16_e32 vcc_lo, 0x80, v1
	s_and_b32 s15, vcc_lo, exec_lo
	s_and_not1_saveexec_b32 s12, s12
	s_cbranch_execnz .LBB174_1126
.LBB174_1107:
	s_or_b32 exec_lo, exec_lo, s12
	v_mov_b32_e32 v4, 0
	s_and_saveexec_b32 s12, s15
	s_cbranch_execz .LBB174_1109
.LBB174_1108:
	v_and_b32_e32 v4, 0xffff, v1
	s_delay_alu instid0(VALU_DEP_1) | instskip(SKIP_1) | instid1(VALU_DEP_2)
	v_and_b32_e32 v5, 3, v4
	v_bfe_u32 v9, v4, 2, 5
	v_clz_i32_u32_e32 v7, v5
	s_delay_alu instid0(VALU_DEP_2) | instskip(NEXT) | instid1(VALU_DEP_2)
	v_cmp_eq_u32_e32 vcc_lo, 0, v9
	v_min_u32_e32 v7, 32, v7
	s_delay_alu instid0(VALU_DEP_1) | instskip(NEXT) | instid1(VALU_DEP_1)
	v_subrev_nc_u32_e32 v8, 29, v7
	v_dual_lshlrev_b32 v4, v8, v4 :: v_dual_sub_nc_u32 v7, 30, v7
	s_delay_alu instid0(VALU_DEP_1) | instskip(NEXT) | instid1(VALU_DEP_2)
	v_dual_lshlrev_b32 v1, 24, v1 :: v_dual_bitop2_b32 v4, 3, v4 bitop3:0x40
	v_cndmask_b32_e32 v7, v9, v7, vcc_lo
	s_delay_alu instid0(VALU_DEP_2) | instskip(NEXT) | instid1(VALU_DEP_3)
	v_cndmask_b32_e32 v4, v5, v4, vcc_lo
	v_and_b32_e32 v1, 0x80000000, v1
	s_delay_alu instid0(VALU_DEP_3) | instskip(NEXT) | instid1(VALU_DEP_3)
	v_lshl_add_u32 v5, v7, 23, 0x37800000
	v_lshlrev_b32_e32 v4, 21, v4
	s_delay_alu instid0(VALU_DEP_1) | instskip(NEXT) | instid1(VALU_DEP_1)
	v_or3_b32 v1, v1, v5, v4
	v_trunc_f32_e32 v1, v1
	s_delay_alu instid0(VALU_DEP_1) | instskip(NEXT) | instid1(VALU_DEP_1)
	v_mul_f32_e64 v4, 0x2f800000, |v1|
	v_floor_f32_e32 v4, v4
	s_delay_alu instid0(VALU_DEP_1) | instskip(SKIP_1) | instid1(VALU_DEP_2)
	v_fma_f32 v4, 0xcf800000, v4, |v1|
	v_ashrrev_i32_e32 v1, 31, v1
	v_cvt_u32_f32_e32 v4, v4
	s_delay_alu instid0(VALU_DEP_1) | instskip(NEXT) | instid1(VALU_DEP_1)
	v_xor_b32_e32 v4, v4, v1
	v_sub_nc_u32_e32 v4, v4, v1
.LBB174_1109:
	s_or_b32 exec_lo, exec_lo, s12
	s_mov_b32 s12, 0
	s_branch .LBB174_1115
.LBB174_1110:
                                        ; implicit-def: $vgpr4
	s_mov_b32 s12, 0
	s_branch .LBB174_1121
.LBB174_1111:
	s_and_not1_saveexec_b32 s15, s15
	s_cbranch_execz .LBB174_1097
.LBB174_1112:
	v_cmp_ne_u16_e32 vcc_lo, 0, v1
	s_and_not1_b32 s16, s16, exec_lo
	s_and_b32 s17, vcc_lo, exec_lo
	s_delay_alu instid0(SALU_CYCLE_1)
	s_or_b32 s16, s16, s17
	s_or_b32 exec_lo, exec_lo, s15
	v_mov_b32_e32 v4, 0
	s_and_saveexec_b32 s15, s16
	s_cbranch_execnz .LBB174_1098
	s_branch .LBB174_1099
.LBB174_1113:
	s_mov_b32 s12, -1
                                        ; implicit-def: $vgpr4
	s_branch .LBB174_1118
.LBB174_1114:
	s_mov_b32 s12, -1
                                        ; implicit-def: $vgpr4
.LBB174_1115:
	s_delay_alu instid0(SALU_CYCLE_1)
	s_and_b32 vcc_lo, exec_lo, s12
	s_cbranch_vccz .LBB174_1117
; %bb.1116:
	global_load_u8 v1, v[2:3], off
	s_wait_loadcnt 0x0
	v_lshlrev_b32_e32 v1, 24, v1
	s_delay_alu instid0(VALU_DEP_1) | instskip(NEXT) | instid1(VALU_DEP_1)
	v_and_b32_e32 v4, 0x7f000000, v1
	v_clz_i32_u32_e32 v5, v4
	v_add_nc_u32_e32 v8, 0x1000000, v4
	v_cmp_ne_u32_e32 vcc_lo, 0, v4
	s_delay_alu instid0(VALU_DEP_3) | instskip(NEXT) | instid1(VALU_DEP_1)
	v_min_u32_e32 v5, 32, v5
	v_sub_nc_u32_e64 v5, v5, 4 clamp
	s_delay_alu instid0(VALU_DEP_1) | instskip(NEXT) | instid1(VALU_DEP_1)
	v_dual_lshlrev_b32 v7, v5, v4 :: v_dual_lshlrev_b32 v5, 23, v5
	v_lshrrev_b32_e32 v7, 4, v7
	s_delay_alu instid0(VALU_DEP_1) | instskip(NEXT) | instid1(VALU_DEP_1)
	v_dual_sub_nc_u32 v5, v7, v5 :: v_dual_ashrrev_i32 v7, 8, v8
	v_add_nc_u32_e32 v5, 0x3c000000, v5
	s_delay_alu instid0(VALU_DEP_1) | instskip(NEXT) | instid1(VALU_DEP_1)
	v_and_or_b32 v5, 0x7f800000, v7, v5
	v_cndmask_b32_e32 v4, 0, v5, vcc_lo
	s_delay_alu instid0(VALU_DEP_1) | instskip(NEXT) | instid1(VALU_DEP_1)
	v_and_or_b32 v1, 0x80000000, v1, v4
	v_trunc_f32_e32 v1, v1
	s_delay_alu instid0(VALU_DEP_1) | instskip(NEXT) | instid1(VALU_DEP_1)
	v_mul_f32_e64 v4, 0x2f800000, |v1|
	v_floor_f32_e32 v4, v4
	s_delay_alu instid0(VALU_DEP_1) | instskip(SKIP_1) | instid1(VALU_DEP_2)
	v_fma_f32 v4, 0xcf800000, v4, |v1|
	v_ashrrev_i32_e32 v1, 31, v1
	v_cvt_u32_f32_e32 v4, v4
	s_delay_alu instid0(VALU_DEP_1) | instskip(NEXT) | instid1(VALU_DEP_1)
	v_xor_b32_e32 v4, v4, v1
	v_sub_nc_u32_e32 v4, v4, v1
.LBB174_1117:
	s_mov_b32 s12, 0
.LBB174_1118:
	s_delay_alu instid0(SALU_CYCLE_1)
	s_and_not1_b32 vcc_lo, exec_lo, s12
	s_cbranch_vccnz .LBB174_1120
; %bb.1119:
	global_load_u8 v1, v[2:3], off
	s_wait_loadcnt 0x0
	v_lshlrev_b32_e32 v4, 25, v1
	v_lshlrev_b16 v1, 8, v1
	s_delay_alu instid0(VALU_DEP_1) | instskip(SKIP_1) | instid1(VALU_DEP_2)
	v_and_or_b32 v7, 0x7f00, v1, 0.5
	v_bfe_i32 v1, v1, 0, 16
	v_dual_add_f32 v7, -0.5, v7 :: v_dual_lshrrev_b32 v5, 4, v4
	v_cmp_gt_u32_e32 vcc_lo, 0x8000000, v4
	s_delay_alu instid0(VALU_DEP_2) | instskip(NEXT) | instid1(VALU_DEP_1)
	v_or_b32_e32 v5, 0x70000000, v5
	v_mul_f32_e32 v5, 0x7800000, v5
	s_delay_alu instid0(VALU_DEP_1) | instskip(NEXT) | instid1(VALU_DEP_1)
	v_cndmask_b32_e32 v4, v5, v7, vcc_lo
	v_and_or_b32 v1, 0x80000000, v1, v4
	s_delay_alu instid0(VALU_DEP_1) | instskip(NEXT) | instid1(VALU_DEP_1)
	v_trunc_f32_e32 v1, v1
	v_mul_f32_e64 v4, 0x2f800000, |v1|
	s_delay_alu instid0(VALU_DEP_1) | instskip(NEXT) | instid1(VALU_DEP_1)
	v_floor_f32_e32 v4, v4
	v_fma_f32 v4, 0xcf800000, v4, |v1|
	v_ashrrev_i32_e32 v1, 31, v1
	s_delay_alu instid0(VALU_DEP_2) | instskip(NEXT) | instid1(VALU_DEP_1)
	v_cvt_u32_f32_e32 v4, v4
	v_xor_b32_e32 v4, v4, v1
	s_delay_alu instid0(VALU_DEP_1)
	v_sub_nc_u32_e32 v4, v4, v1
.LBB174_1120:
	s_mov_b32 s15, -1
	s_mov_b32 s12, 0
	s_cbranch_execnz .LBB174_1131
.LBB174_1121:
	s_cmp_gt_i32 s0, 14
	s_cbranch_scc0 .LBB174_1124
; %bb.1122:
	s_cmp_eq_u32 s0, 15
	s_cbranch_scc0 .LBB174_1127
; %bb.1123:
	global_load_u16 v1, v[2:3], off
	s_mov_b32 s3, 0
	s_mov_b32 s15, -1
	s_wait_loadcnt 0x0
	v_lshlrev_b32_e32 v1, 16, v1
	s_delay_alu instid0(VALU_DEP_1) | instskip(NEXT) | instid1(VALU_DEP_1)
	v_trunc_f32_e32 v1, v1
	v_mul_f32_e64 v4, 0x2f800000, |v1|
	s_delay_alu instid0(VALU_DEP_1) | instskip(NEXT) | instid1(VALU_DEP_1)
	v_floor_f32_e32 v4, v4
	v_fma_f32 v4, 0xcf800000, v4, |v1|
	v_ashrrev_i32_e32 v1, 31, v1
	s_delay_alu instid0(VALU_DEP_2) | instskip(NEXT) | instid1(VALU_DEP_1)
	v_cvt_u32_f32_e32 v4, v4
	v_xor_b32_e32 v4, v4, v1
	s_delay_alu instid0(VALU_DEP_1)
	v_sub_nc_u32_e32 v4, v4, v1
	s_branch .LBB174_1129
.LBB174_1124:
	s_mov_b32 s12, -1
	s_branch .LBB174_1128
.LBB174_1125:
	s_and_not1_saveexec_b32 s12, s12
	s_cbranch_execz .LBB174_1107
.LBB174_1126:
	v_cmp_ne_u16_e32 vcc_lo, 0, v1
	s_and_not1_b32 s15, s15, exec_lo
	s_and_b32 s16, vcc_lo, exec_lo
	s_delay_alu instid0(SALU_CYCLE_1)
	s_or_b32 s15, s15, s16
	s_or_b32 exec_lo, exec_lo, s12
	v_mov_b32_e32 v4, 0
	s_and_saveexec_b32 s12, s15
	s_cbranch_execnz .LBB174_1108
	s_branch .LBB174_1109
.LBB174_1127:
	s_mov_b32 s3, -1
.LBB174_1128:
                                        ; implicit-def: $vgpr4
.LBB174_1129:
	s_and_b32 vcc_lo, exec_lo, s12
	s_mov_b32 s12, 0
	s_cbranch_vccz .LBB174_1131
; %bb.1130:
	s_cmp_lg_u32 s0, 11
	s_mov_b32 s12, -1
	s_cselect_b32 s3, -1, 0
.LBB174_1131:
	s_delay_alu instid0(SALU_CYCLE_1)
	s_and_b32 vcc_lo, exec_lo, s3
	s_mov_b32 s3, s14
	s_cbranch_vccnz .LBB174_1202
; %bb.1132:
	s_and_not1_b32 vcc_lo, exec_lo, s12
	s_cbranch_vccnz .LBB174_1134
.LBB174_1133:
	global_load_u8 v1, v[2:3], off
	s_mov_b32 s15, -1
	s_wait_loadcnt 0x0
	v_cmp_ne_u16_e32 vcc_lo, 0, v1
	v_cndmask_b32_e64 v4, 0, 1, vcc_lo
.LBB174_1134:
	s_branch .LBB174_1068
.LBB174_1135:
	s_cmp_lt_i32 s0, 5
	s_cbranch_scc1 .LBB174_1140
; %bb.1136:
	s_cmp_lt_i32 s0, 8
	s_cbranch_scc1 .LBB174_1141
; %bb.1137:
	;; [unrolled: 3-line block ×3, first 2 shown]
	s_cmp_gt_i32 s0, 9
	s_cbranch_scc0 .LBB174_1143
; %bb.1139:
	s_wait_loadcnt 0x0
	global_load_b64 v[4:5], v[2:3], off
	s_mov_b32 s12, 0
	s_wait_loadcnt 0x0
	v_trunc_f64_e32 v[4:5], v[4:5]
	s_delay_alu instid0(VALU_DEP_1) | instskip(NEXT) | instid1(VALU_DEP_1)
	v_ldexp_f64 v[8:9], v[4:5], 0xffffffe0
	v_floor_f64_e32 v[8:9], v[8:9]
	s_delay_alu instid0(VALU_DEP_1) | instskip(NEXT) | instid1(VALU_DEP_1)
	v_fmamk_f64 v[4:5], v[8:9], 0xc1f00000, v[4:5]
	v_cvt_u32_f64_e32 v4, v[4:5]
	s_branch .LBB174_1144
.LBB174_1140:
                                        ; implicit-def: $vgpr4
	s_branch .LBB174_1161
.LBB174_1141:
                                        ; implicit-def: $vgpr4
	s_branch .LBB174_1150
.LBB174_1142:
	s_mov_b32 s12, -1
                                        ; implicit-def: $vgpr4
	s_branch .LBB174_1147
.LBB174_1143:
	s_mov_b32 s12, -1
                                        ; implicit-def: $vgpr4
.LBB174_1144:
	s_delay_alu instid0(SALU_CYCLE_1)
	s_and_not1_b32 vcc_lo, exec_lo, s12
	s_cbranch_vccnz .LBB174_1146
; %bb.1145:
	global_load_b32 v1, v[2:3], off
	s_wait_loadcnt 0x0
	v_trunc_f32_e32 v1, v1
	s_delay_alu instid0(VALU_DEP_1) | instskip(NEXT) | instid1(VALU_DEP_1)
	v_mul_f32_e64 v4, 0x2f800000, |v1|
	v_floor_f32_e32 v4, v4
	s_delay_alu instid0(VALU_DEP_1) | instskip(SKIP_1) | instid1(VALU_DEP_2)
	v_fma_f32 v4, 0xcf800000, v4, |v1|
	v_ashrrev_i32_e32 v1, 31, v1
	v_cvt_u32_f32_e32 v4, v4
	s_delay_alu instid0(VALU_DEP_1) | instskip(NEXT) | instid1(VALU_DEP_1)
	v_xor_b32_e32 v4, v4, v1
	v_sub_nc_u32_e32 v4, v4, v1
.LBB174_1146:
	s_mov_b32 s12, 0
.LBB174_1147:
	s_delay_alu instid0(SALU_CYCLE_1)
	s_and_not1_b32 vcc_lo, exec_lo, s12
	s_cbranch_vccnz .LBB174_1149
; %bb.1148:
	global_load_b32 v1, v[2:3], off
	s_wait_loadcnt 0x0
	v_cvt_f32_f16_e32 v1, v1
	s_delay_alu instid0(VALU_DEP_1)
	v_cvt_i32_f32_e32 v4, v1
.LBB174_1149:
	s_cbranch_execnz .LBB174_1160
.LBB174_1150:
	s_cmp_lt_i32 s0, 6
	s_cbranch_scc1 .LBB174_1153
; %bb.1151:
	s_cmp_gt_i32 s0, 6
	s_cbranch_scc0 .LBB174_1154
; %bb.1152:
	s_wait_loadcnt 0x0
	global_load_b64 v[4:5], v[2:3], off
	s_mov_b32 s12, 0
	s_wait_loadcnt 0x0
	v_trunc_f64_e32 v[4:5], v[4:5]
	s_delay_alu instid0(VALU_DEP_1) | instskip(NEXT) | instid1(VALU_DEP_1)
	v_ldexp_f64 v[8:9], v[4:5], 0xffffffe0
	v_floor_f64_e32 v[8:9], v[8:9]
	s_delay_alu instid0(VALU_DEP_1) | instskip(NEXT) | instid1(VALU_DEP_1)
	v_fmamk_f64 v[4:5], v[8:9], 0xc1f00000, v[4:5]
	v_cvt_u32_f64_e32 v4, v[4:5]
	s_branch .LBB174_1155
.LBB174_1153:
	s_mov_b32 s12, -1
                                        ; implicit-def: $vgpr4
	s_branch .LBB174_1158
.LBB174_1154:
	s_mov_b32 s12, -1
                                        ; implicit-def: $vgpr4
.LBB174_1155:
	s_delay_alu instid0(SALU_CYCLE_1)
	s_and_not1_b32 vcc_lo, exec_lo, s12
	s_cbranch_vccnz .LBB174_1157
; %bb.1156:
	global_load_b32 v1, v[2:3], off
	s_wait_loadcnt 0x0
	v_trunc_f32_e32 v1, v1
	s_delay_alu instid0(VALU_DEP_1) | instskip(NEXT) | instid1(VALU_DEP_1)
	v_mul_f32_e64 v4, 0x2f800000, |v1|
	v_floor_f32_e32 v4, v4
	s_delay_alu instid0(VALU_DEP_1) | instskip(SKIP_1) | instid1(VALU_DEP_2)
	v_fma_f32 v4, 0xcf800000, v4, |v1|
	v_ashrrev_i32_e32 v1, 31, v1
	v_cvt_u32_f32_e32 v4, v4
	s_delay_alu instid0(VALU_DEP_1) | instskip(NEXT) | instid1(VALU_DEP_1)
	v_xor_b32_e32 v4, v4, v1
	v_sub_nc_u32_e32 v4, v4, v1
.LBB174_1157:
	s_mov_b32 s12, 0
.LBB174_1158:
	s_delay_alu instid0(SALU_CYCLE_1)
	s_and_not1_b32 vcc_lo, exec_lo, s12
	s_cbranch_vccnz .LBB174_1160
; %bb.1159:
	global_load_u16 v1, v[2:3], off
	s_wait_loadcnt 0x0
	v_cvt_f32_f16_e32 v1, v1
	s_delay_alu instid0(VALU_DEP_1)
	v_cvt_i32_f32_e32 v4, v1
.LBB174_1160:
	s_cbranch_execnz .LBB174_1179
.LBB174_1161:
	s_cmp_lt_i32 s0, 2
	s_cbranch_scc1 .LBB174_1165
; %bb.1162:
	s_cmp_lt_i32 s0, 3
	s_cbranch_scc1 .LBB174_1166
; %bb.1163:
	s_cmp_gt_i32 s0, 3
	s_cbranch_scc0 .LBB174_1167
; %bb.1164:
	s_wait_loadcnt 0x0
	global_load_b64 v[4:5], v[2:3], off
	s_mov_b32 s12, 0
	s_branch .LBB174_1168
.LBB174_1165:
                                        ; implicit-def: $vgpr4
	s_branch .LBB174_1174
.LBB174_1166:
	s_mov_b32 s12, -1
                                        ; implicit-def: $vgpr4
	s_branch .LBB174_1171
.LBB174_1167:
	s_mov_b32 s12, -1
                                        ; implicit-def: $vgpr4
.LBB174_1168:
	s_delay_alu instid0(SALU_CYCLE_1)
	s_and_not1_b32 vcc_lo, exec_lo, s12
	s_cbranch_vccnz .LBB174_1170
; %bb.1169:
	s_wait_loadcnt 0x0
	global_load_b32 v4, v[2:3], off
.LBB174_1170:
	s_mov_b32 s12, 0
.LBB174_1171:
	s_delay_alu instid0(SALU_CYCLE_1)
	s_and_not1_b32 vcc_lo, exec_lo, s12
	s_cbranch_vccnz .LBB174_1173
; %bb.1172:
	s_wait_loadcnt 0x0
	global_load_u16 v4, v[2:3], off
.LBB174_1173:
	s_cbranch_execnz .LBB174_1179
.LBB174_1174:
	s_cmp_gt_i32 s0, 0
	s_mov_b32 s12, 0
	s_cbranch_scc0 .LBB174_1176
; %bb.1175:
	s_wait_loadcnt 0x0
	global_load_u8 v4, v[2:3], off
	s_branch .LBB174_1177
.LBB174_1176:
	s_mov_b32 s12, -1
                                        ; implicit-def: $vgpr4
.LBB174_1177:
	s_delay_alu instid0(SALU_CYCLE_1)
	s_and_not1_b32 vcc_lo, exec_lo, s12
	s_cbranch_vccnz .LBB174_1179
; %bb.1178:
	s_wait_loadcnt 0x0
	global_load_u8 v4, v[2:3], off
.LBB174_1179:
.LBB174_1180:
	s_cmp_lt_i32 s10, 1
	s_mov_b32 s12, 0
	s_cbranch_scc1 .LBB174_1183
; %bb.1181:
	s_cmp_eq_u32 s10, 1
	s_cbranch_scc0 .LBB174_1198
; %bb.1182:
	s_wait_loadcnt 0x0
	s_delay_alu instid0(VALU_DEP_1)
	v_and_b32_e32 v1, 0xff, v4
	s_and_b32 s15, s11, 0xff
	s_delay_alu instid0(VALU_DEP_1) | instid1(SALU_CYCLE_1)
	v_min_u16 v7, v1, s15
	s_mov_b32 s15, 0
	s_branch .LBB174_1185
.LBB174_1183:
	s_mov_b32 s15, 0
                                        ; implicit-def: $vgpr7
	s_cbranch_execz .LBB174_1185
; %bb.1184:
	s_cmp_lg_u32 s10, 0
	s_mov_b32 s12, -1
	s_cselect_b32 s15, -1, 0
.LBB174_1185:
	s_wait_loadcnt 0x0
	s_delay_alu instid0(VALU_DEP_1)
	v_and_b32_e32 v1, 0xff, v4
	s_and_not1_b32 vcc_lo, exec_lo, s15
	s_cbranch_vccnz .LBB174_1187
; %bb.1186:
	s_and_b32 s12, s11, 0xff
	s_wait_xcnt 0x0
	v_max_u16 v2, v1, s12
	s_delay_alu instid0(VALU_DEP_1)
	v_min_u16 v7, v2, s1
	s_cbranch_execz .LBB174_1188
	s_branch .LBB174_1189
.LBB174_1187:
	s_and_not1_b32 vcc_lo, exec_lo, s12
	s_cbranch_vccnz .LBB174_1189
.LBB174_1188:
	s_and_b32 s12, s11, 0xff
	s_delay_alu instid0(SALU_CYCLE_1)
	v_max_u16 v7, v1, s12
.LBB174_1189:
	s_lshl_b32 s9, s9, 7
	s_cmp_lt_i32 s0, 11
	v_add_nc_u32_e32 v0, s9, v0
	s_delay_alu instid0(VALU_DEP_1) | instskip(SKIP_1) | instid1(VALU_DEP_1)
	v_ashrrev_i32_e32 v1, 31, v0
	s_wait_xcnt 0x0
	v_add_nc_u64_e32 v[2:3], s[6:7], v[0:1]
	s_cbranch_scc1 .LBB174_1196
; %bb.1190:
	s_cmp_gt_i32 s0, 25
	s_mov_b32 s15, 0
	s_cbranch_scc0 .LBB174_1199
; %bb.1191:
	s_cmp_gt_i32 s0, 28
	s_cbranch_scc0 .LBB174_1200
; %bb.1192:
	s_cmp_gt_i32 s0, 43
	;; [unrolled: 3-line block ×3, first 2 shown]
	s_cbranch_scc0 .LBB174_1203
; %bb.1194:
	s_cmp_eq_u32 s0, 46
	s_mov_b32 s17, 0
	s_cbranch_scc0 .LBB174_1206
; %bb.1195:
	global_load_b32 v1, v[2:3], off
	s_mov_b32 s12, 0
	s_mov_b32 s16, -1
	s_wait_loadcnt 0x0
	v_lshlrev_b32_e32 v1, 16, v1
	s_delay_alu instid0(VALU_DEP_1) | instskip(NEXT) | instid1(VALU_DEP_1)
	v_trunc_f32_e32 v1, v1
	v_mul_f32_e64 v4, 0x2f800000, |v1|
	s_delay_alu instid0(VALU_DEP_1) | instskip(NEXT) | instid1(VALU_DEP_1)
	v_floor_f32_e32 v4, v4
	v_fma_f32 v4, 0xcf800000, v4, |v1|
	v_ashrrev_i32_e32 v1, 31, v1
	s_delay_alu instid0(VALU_DEP_2) | instskip(NEXT) | instid1(VALU_DEP_1)
	v_cvt_u32_f32_e32 v4, v4
	v_xor_b32_e32 v4, v4, v1
	s_delay_alu instid0(VALU_DEP_1)
	v_sub_nc_u32_e32 v4, v4, v1
	s_branch .LBB174_1208
.LBB174_1196:
	s_mov_b32 s16, 0
                                        ; implicit-def: $vgpr4
	s_cbranch_execnz .LBB174_1269
.LBB174_1197:
	s_and_not1_b32 vcc_lo, exec_lo, s16
	s_cbranch_vccnz .LBB174_1594
	s_branch .LBB174_1316
.LBB174_1198:
	s_mov_b32 s15, -1
                                        ; implicit-def: $vgpr7
	s_branch .LBB174_1185
.LBB174_1199:
	s_mov_b32 s16, 0
	s_mov_b32 s12, 0
                                        ; implicit-def: $vgpr4
	s_cbranch_execnz .LBB174_1235
	s_branch .LBB174_1265
.LBB174_1200:
	s_mov_b32 s17, -1
	s_mov_b32 s16, 0
	s_mov_b32 s12, 0
                                        ; implicit-def: $vgpr4
	s_branch .LBB174_1218
.LBB174_1201:
	s_mov_b32 s17, -1
	s_mov_b32 s16, 0
	s_mov_b32 s12, 0
                                        ; implicit-def: $vgpr4
	s_branch .LBB174_1213
.LBB174_1202:
	s_or_b32 s3, s14, exec_lo
	s_trap 2
	s_cbranch_execz .LBB174_1133
	s_branch .LBB174_1134
.LBB174_1203:
	s_mov_b32 s17, -1
	s_mov_b32 s16, 0
	s_mov_b32 s12, 0
	s_branch .LBB174_1207
.LBB174_1204:
	s_and_not1_saveexec_b32 s22, s22
	s_cbranch_execz .LBB174_984
.LBB174_1205:
	v_add_f32_e32 v2, 0x42800000, v4
	s_and_not1_b32 s21, s21, exec_lo
	s_delay_alu instid0(VALU_DEP_1) | instskip(NEXT) | instid1(VALU_DEP_1)
	v_and_b32_e32 v2, 0xff, v2
	v_cmp_ne_u32_e32 vcc_lo, 0, v2
	s_and_b32 s23, vcc_lo, exec_lo
	s_delay_alu instid0(SALU_CYCLE_1)
	s_or_b32 s21, s21, s23
	s_or_b32 exec_lo, exec_lo, s22
	v_mov_b32_e32 v5, 0
	s_and_saveexec_b32 s22, s21
	s_cbranch_execnz .LBB174_985
	s_branch .LBB174_986
.LBB174_1206:
	s_mov_b32 s12, -1
	s_mov_b32 s16, 0
.LBB174_1207:
                                        ; implicit-def: $vgpr4
.LBB174_1208:
	s_and_b32 vcc_lo, exec_lo, s17
	s_cbranch_vccz .LBB174_1212
; %bb.1209:
	s_cmp_eq_u32 s0, 44
	s_cbranch_scc0 .LBB174_1211
; %bb.1210:
	global_load_u8 v1, v[2:3], off
	s_mov_b32 s12, 0
	s_mov_b32 s16, -1
	s_wait_loadcnt 0x0
	v_lshlrev_b32_e32 v4, 23, v1
	v_cmp_ne_u32_e32 vcc_lo, 0, v1
	s_delay_alu instid0(VALU_DEP_2) | instskip(NEXT) | instid1(VALU_DEP_1)
	v_trunc_f32_e32 v4, v4
	v_mul_f32_e64 v5, 0x2f800000, |v4|
	s_delay_alu instid0(VALU_DEP_1) | instskip(NEXT) | instid1(VALU_DEP_1)
	v_floor_f32_e32 v5, v5
	v_fma_f32 v5, 0xcf800000, v5, |v4|
	v_ashrrev_i32_e32 v4, 31, v4
	s_delay_alu instid0(VALU_DEP_2) | instskip(NEXT) | instid1(VALU_DEP_1)
	v_cvt_u32_f32_e32 v5, v5
	v_xor_b32_e32 v5, v5, v4
	s_delay_alu instid0(VALU_DEP_1) | instskip(NEXT) | instid1(VALU_DEP_1)
	v_sub_nc_u32_e32 v4, v5, v4
	v_cndmask_b32_e32 v4, 0, v4, vcc_lo
	s_branch .LBB174_1212
.LBB174_1211:
	s_mov_b32 s12, -1
                                        ; implicit-def: $vgpr4
.LBB174_1212:
	s_mov_b32 s17, 0
.LBB174_1213:
	s_delay_alu instid0(SALU_CYCLE_1)
	s_and_b32 vcc_lo, exec_lo, s17
	s_cbranch_vccz .LBB174_1217
; %bb.1214:
	s_cmp_eq_u32 s0, 29
	s_cbranch_scc0 .LBB174_1216
; %bb.1215:
	global_load_b64 v[4:5], v[2:3], off
	s_mov_b32 s12, 0
	s_mov_b32 s16, -1
	s_branch .LBB174_1217
.LBB174_1216:
	s_mov_b32 s12, -1
                                        ; implicit-def: $vgpr4
.LBB174_1217:
	s_mov_b32 s17, 0
.LBB174_1218:
	s_delay_alu instid0(SALU_CYCLE_1)
	s_and_b32 vcc_lo, exec_lo, s17
	s_cbranch_vccz .LBB174_1234
; %bb.1219:
	s_cmp_lt_i32 s0, 27
	s_cbranch_scc1 .LBB174_1222
; %bb.1220:
	s_cmp_gt_i32 s0, 27
	s_cbranch_scc0 .LBB174_1223
; %bb.1221:
	s_wait_loadcnt 0x0
	global_load_b32 v4, v[2:3], off
	s_mov_b32 s16, 0
	s_branch .LBB174_1224
.LBB174_1222:
	s_mov_b32 s16, -1
                                        ; implicit-def: $vgpr4
	s_branch .LBB174_1227
.LBB174_1223:
	s_mov_b32 s16, -1
                                        ; implicit-def: $vgpr4
.LBB174_1224:
	s_delay_alu instid0(SALU_CYCLE_1)
	s_and_not1_b32 vcc_lo, exec_lo, s16
	s_cbranch_vccnz .LBB174_1226
; %bb.1225:
	s_wait_loadcnt 0x0
	global_load_u16 v4, v[2:3], off
.LBB174_1226:
	s_mov_b32 s16, 0
.LBB174_1227:
	s_delay_alu instid0(SALU_CYCLE_1)
	s_and_not1_b32 vcc_lo, exec_lo, s16
	s_cbranch_vccnz .LBB174_1233
; %bb.1228:
	global_load_u8 v1, v[2:3], off
	s_mov_b32 s17, 0
	s_mov_b32 s16, exec_lo
	s_wait_loadcnt 0x0
	v_cmpx_lt_i16_e32 0x7f, v1
	s_xor_b32 s16, exec_lo, s16
	s_cbranch_execz .LBB174_1244
; %bb.1229:
	v_cmp_ne_u16_e32 vcc_lo, 0x80, v1
	s_and_b32 s17, vcc_lo, exec_lo
	s_and_not1_saveexec_b32 s16, s16
	s_cbranch_execnz .LBB174_1245
.LBB174_1230:
	s_or_b32 exec_lo, exec_lo, s16
	v_mov_b32_e32 v4, 0
	s_and_saveexec_b32 s16, s17
	s_cbranch_execz .LBB174_1232
.LBB174_1231:
	v_and_b32_e32 v4, 0xffff, v1
	s_delay_alu instid0(VALU_DEP_1) | instskip(SKIP_1) | instid1(VALU_DEP_2)
	v_dual_lshlrev_b32 v1, 24, v1 :: v_dual_bitop2_b32 v5, 7, v4 bitop3:0x40
	v_bfe_u32 v10, v4, 3, 4
	v_and_b32_e32 v1, 0x80000000, v1
	s_delay_alu instid0(VALU_DEP_3) | instskip(NEXT) | instid1(VALU_DEP_3)
	v_clz_i32_u32_e32 v8, v5
	v_cmp_eq_u32_e32 vcc_lo, 0, v10
	s_delay_alu instid0(VALU_DEP_2) | instskip(NEXT) | instid1(VALU_DEP_1)
	v_min_u32_e32 v8, 32, v8
	v_subrev_nc_u32_e32 v9, 28, v8
	v_sub_nc_u32_e32 v8, 29, v8
	s_delay_alu instid0(VALU_DEP_2) | instskip(NEXT) | instid1(VALU_DEP_2)
	v_lshlrev_b32_e32 v4, v9, v4
	v_cndmask_b32_e32 v8, v10, v8, vcc_lo
	s_delay_alu instid0(VALU_DEP_2) | instskip(NEXT) | instid1(VALU_DEP_1)
	v_and_b32_e32 v4, 7, v4
	v_cndmask_b32_e32 v4, v5, v4, vcc_lo
	s_delay_alu instid0(VALU_DEP_3) | instskip(NEXT) | instid1(VALU_DEP_2)
	v_lshl_add_u32 v5, v8, 23, 0x3b800000
	v_lshlrev_b32_e32 v4, 20, v4
	s_delay_alu instid0(VALU_DEP_1) | instskip(NEXT) | instid1(VALU_DEP_1)
	v_or3_b32 v1, v1, v5, v4
	v_trunc_f32_e32 v1, v1
	s_delay_alu instid0(VALU_DEP_1) | instskip(NEXT) | instid1(VALU_DEP_1)
	v_mul_f32_e64 v4, 0x2f800000, |v1|
	v_floor_f32_e32 v4, v4
	s_delay_alu instid0(VALU_DEP_1) | instskip(SKIP_1) | instid1(VALU_DEP_2)
	v_fma_f32 v4, 0xcf800000, v4, |v1|
	v_ashrrev_i32_e32 v1, 31, v1
	v_cvt_u32_f32_e32 v4, v4
	s_delay_alu instid0(VALU_DEP_1) | instskip(NEXT) | instid1(VALU_DEP_1)
	v_xor_b32_e32 v4, v4, v1
	v_sub_nc_u32_e32 v4, v4, v1
.LBB174_1232:
	s_or_b32 exec_lo, exec_lo, s16
.LBB174_1233:
	s_mov_b32 s16, -1
.LBB174_1234:
	s_branch .LBB174_1265
.LBB174_1235:
	s_cmp_gt_i32 s0, 22
	s_cbranch_scc0 .LBB174_1243
; %bb.1236:
	s_cmp_lt_i32 s0, 24
	s_cbranch_scc1 .LBB174_1246
; %bb.1237:
	s_cmp_gt_i32 s0, 24
	s_cbranch_scc0 .LBB174_1247
; %bb.1238:
	global_load_u8 v1, v[2:3], off
	s_mov_b32 s16, 0
	s_mov_b32 s15, exec_lo
	s_wait_loadcnt 0x0
	v_cmpx_lt_i16_e32 0x7f, v1
	s_xor_b32 s15, exec_lo, s15
	s_cbranch_execz .LBB174_1259
; %bb.1239:
	v_cmp_ne_u16_e32 vcc_lo, 0x80, v1
	s_and_b32 s16, vcc_lo, exec_lo
	s_and_not1_saveexec_b32 s15, s15
	s_cbranch_execnz .LBB174_1260
.LBB174_1240:
	s_or_b32 exec_lo, exec_lo, s15
	v_mov_b32_e32 v4, 0
	s_and_saveexec_b32 s15, s16
	s_cbranch_execz .LBB174_1242
.LBB174_1241:
	v_and_b32_e32 v4, 0xffff, v1
	s_delay_alu instid0(VALU_DEP_1) | instskip(SKIP_1) | instid1(VALU_DEP_2)
	v_dual_lshlrev_b32 v1, 24, v1 :: v_dual_bitop2_b32 v5, 3, v4 bitop3:0x40
	v_bfe_u32 v10, v4, 2, 5
	v_and_b32_e32 v1, 0x80000000, v1
	s_delay_alu instid0(VALU_DEP_3) | instskip(NEXT) | instid1(VALU_DEP_3)
	v_clz_i32_u32_e32 v8, v5
	v_cmp_eq_u32_e32 vcc_lo, 0, v10
	s_delay_alu instid0(VALU_DEP_2) | instskip(NEXT) | instid1(VALU_DEP_1)
	v_min_u32_e32 v8, 32, v8
	v_subrev_nc_u32_e32 v9, 29, v8
	v_sub_nc_u32_e32 v8, 30, v8
	s_delay_alu instid0(VALU_DEP_2) | instskip(NEXT) | instid1(VALU_DEP_2)
	v_lshlrev_b32_e32 v4, v9, v4
	v_cndmask_b32_e32 v8, v10, v8, vcc_lo
	s_delay_alu instid0(VALU_DEP_2) | instskip(NEXT) | instid1(VALU_DEP_1)
	v_and_b32_e32 v4, 3, v4
	v_cndmask_b32_e32 v4, v5, v4, vcc_lo
	s_delay_alu instid0(VALU_DEP_3) | instskip(NEXT) | instid1(VALU_DEP_2)
	v_lshl_add_u32 v5, v8, 23, 0x37800000
	v_lshlrev_b32_e32 v4, 21, v4
	s_delay_alu instid0(VALU_DEP_1) | instskip(NEXT) | instid1(VALU_DEP_1)
	v_or3_b32 v1, v1, v5, v4
	v_trunc_f32_e32 v1, v1
	s_delay_alu instid0(VALU_DEP_1) | instskip(NEXT) | instid1(VALU_DEP_1)
	v_mul_f32_e64 v4, 0x2f800000, |v1|
	v_floor_f32_e32 v4, v4
	s_delay_alu instid0(VALU_DEP_1) | instskip(SKIP_1) | instid1(VALU_DEP_2)
	v_fma_f32 v4, 0xcf800000, v4, |v1|
	v_ashrrev_i32_e32 v1, 31, v1
	v_cvt_u32_f32_e32 v4, v4
	s_delay_alu instid0(VALU_DEP_1) | instskip(NEXT) | instid1(VALU_DEP_1)
	v_xor_b32_e32 v4, v4, v1
	v_sub_nc_u32_e32 v4, v4, v1
.LBB174_1242:
	s_or_b32 exec_lo, exec_lo, s15
	s_mov_b32 s15, 0
	s_branch .LBB174_1248
.LBB174_1243:
	s_mov_b32 s15, -1
                                        ; implicit-def: $vgpr4
	s_branch .LBB174_1254
.LBB174_1244:
	s_and_not1_saveexec_b32 s16, s16
	s_cbranch_execz .LBB174_1230
.LBB174_1245:
	v_cmp_ne_u16_e32 vcc_lo, 0, v1
	s_and_not1_b32 s17, s17, exec_lo
	s_and_b32 s18, vcc_lo, exec_lo
	s_delay_alu instid0(SALU_CYCLE_1)
	s_or_b32 s17, s17, s18
	s_or_b32 exec_lo, exec_lo, s16
	v_mov_b32_e32 v4, 0
	s_and_saveexec_b32 s16, s17
	s_cbranch_execnz .LBB174_1231
	s_branch .LBB174_1232
.LBB174_1246:
	s_mov_b32 s15, -1
                                        ; implicit-def: $vgpr4
	s_branch .LBB174_1251
.LBB174_1247:
	s_mov_b32 s15, -1
                                        ; implicit-def: $vgpr4
.LBB174_1248:
	s_delay_alu instid0(SALU_CYCLE_1)
	s_and_b32 vcc_lo, exec_lo, s15
	s_cbranch_vccz .LBB174_1250
; %bb.1249:
	global_load_u8 v1, v[2:3], off
	s_wait_loadcnt 0x0
	v_lshlrev_b32_e32 v1, 24, v1
	s_delay_alu instid0(VALU_DEP_1) | instskip(NEXT) | instid1(VALU_DEP_1)
	v_and_b32_e32 v4, 0x7f000000, v1
	v_clz_i32_u32_e32 v5, v4
	v_cmp_ne_u32_e32 vcc_lo, 0, v4
	v_add_nc_u32_e32 v9, 0x1000000, v4
	s_delay_alu instid0(VALU_DEP_3) | instskip(NEXT) | instid1(VALU_DEP_1)
	v_min_u32_e32 v5, 32, v5
	v_sub_nc_u32_e64 v5, v5, 4 clamp
	s_delay_alu instid0(VALU_DEP_1) | instskip(NEXT) | instid1(VALU_DEP_1)
	v_dual_lshlrev_b32 v8, v5, v4 :: v_dual_lshlrev_b32 v5, 23, v5
	v_lshrrev_b32_e32 v8, 4, v8
	s_delay_alu instid0(VALU_DEP_1) | instskip(SKIP_1) | instid1(VALU_DEP_2)
	v_sub_nc_u32_e32 v5, v8, v5
	v_ashrrev_i32_e32 v8, 8, v9
	v_add_nc_u32_e32 v5, 0x3c000000, v5
	s_delay_alu instid0(VALU_DEP_1) | instskip(NEXT) | instid1(VALU_DEP_1)
	v_and_or_b32 v5, 0x7f800000, v8, v5
	v_cndmask_b32_e32 v4, 0, v5, vcc_lo
	s_delay_alu instid0(VALU_DEP_1) | instskip(NEXT) | instid1(VALU_DEP_1)
	v_and_or_b32 v1, 0x80000000, v1, v4
	v_trunc_f32_e32 v1, v1
	s_delay_alu instid0(VALU_DEP_1) | instskip(NEXT) | instid1(VALU_DEP_1)
	v_mul_f32_e64 v4, 0x2f800000, |v1|
	v_floor_f32_e32 v4, v4
	s_delay_alu instid0(VALU_DEP_1) | instskip(SKIP_1) | instid1(VALU_DEP_2)
	v_fma_f32 v4, 0xcf800000, v4, |v1|
	v_ashrrev_i32_e32 v1, 31, v1
	v_cvt_u32_f32_e32 v4, v4
	s_delay_alu instid0(VALU_DEP_1) | instskip(NEXT) | instid1(VALU_DEP_1)
	v_xor_b32_e32 v4, v4, v1
	v_sub_nc_u32_e32 v4, v4, v1
.LBB174_1250:
	s_mov_b32 s15, 0
.LBB174_1251:
	s_delay_alu instid0(SALU_CYCLE_1)
	s_and_not1_b32 vcc_lo, exec_lo, s15
	s_cbranch_vccnz .LBB174_1253
; %bb.1252:
	global_load_u8 v1, v[2:3], off
	s_wait_loadcnt 0x0
	v_lshlrev_b32_e32 v4, 25, v1
	v_lshlrev_b16 v1, 8, v1
	s_delay_alu instid0(VALU_DEP_1) | instskip(SKIP_1) | instid1(VALU_DEP_2)
	v_and_or_b32 v8, 0x7f00, v1, 0.5
	v_bfe_i32 v1, v1, 0, 16
	v_add_f32_e32 v8, -0.5, v8
	v_lshrrev_b32_e32 v5, 4, v4
	v_cmp_gt_u32_e32 vcc_lo, 0x8000000, v4
	s_delay_alu instid0(VALU_DEP_2) | instskip(NEXT) | instid1(VALU_DEP_1)
	v_or_b32_e32 v5, 0x70000000, v5
	v_mul_f32_e32 v5, 0x7800000, v5
	s_delay_alu instid0(VALU_DEP_1) | instskip(NEXT) | instid1(VALU_DEP_1)
	v_cndmask_b32_e32 v4, v5, v8, vcc_lo
	v_and_or_b32 v1, 0x80000000, v1, v4
	s_delay_alu instid0(VALU_DEP_1) | instskip(NEXT) | instid1(VALU_DEP_1)
	v_trunc_f32_e32 v1, v1
	v_mul_f32_e64 v4, 0x2f800000, |v1|
	s_delay_alu instid0(VALU_DEP_1) | instskip(NEXT) | instid1(VALU_DEP_1)
	v_floor_f32_e32 v4, v4
	v_fma_f32 v4, 0xcf800000, v4, |v1|
	v_ashrrev_i32_e32 v1, 31, v1
	s_delay_alu instid0(VALU_DEP_2) | instskip(NEXT) | instid1(VALU_DEP_1)
	v_cvt_u32_f32_e32 v4, v4
	v_xor_b32_e32 v4, v4, v1
	s_delay_alu instid0(VALU_DEP_1)
	v_sub_nc_u32_e32 v4, v4, v1
.LBB174_1253:
	s_mov_b32 s15, 0
	s_mov_b32 s16, -1
.LBB174_1254:
	s_and_not1_b32 vcc_lo, exec_lo, s15
	s_mov_b32 s15, 0
	s_cbranch_vccnz .LBB174_1265
; %bb.1255:
	s_cmp_gt_i32 s0, 14
	s_cbranch_scc0 .LBB174_1258
; %bb.1256:
	s_cmp_eq_u32 s0, 15
	s_cbranch_scc0 .LBB174_1261
; %bb.1257:
	global_load_u16 v1, v[2:3], off
	s_mov_b32 s12, 0
	s_mov_b32 s16, -1
	s_wait_loadcnt 0x0
	v_lshlrev_b32_e32 v1, 16, v1
	s_delay_alu instid0(VALU_DEP_1) | instskip(NEXT) | instid1(VALU_DEP_1)
	v_trunc_f32_e32 v1, v1
	v_mul_f32_e64 v4, 0x2f800000, |v1|
	s_delay_alu instid0(VALU_DEP_1) | instskip(NEXT) | instid1(VALU_DEP_1)
	v_floor_f32_e32 v4, v4
	v_fma_f32 v4, 0xcf800000, v4, |v1|
	v_ashrrev_i32_e32 v1, 31, v1
	s_delay_alu instid0(VALU_DEP_2) | instskip(NEXT) | instid1(VALU_DEP_1)
	v_cvt_u32_f32_e32 v4, v4
	v_xor_b32_e32 v4, v4, v1
	s_delay_alu instid0(VALU_DEP_1)
	v_sub_nc_u32_e32 v4, v4, v1
	s_branch .LBB174_1263
.LBB174_1258:
	s_mov_b32 s15, -1
	s_branch .LBB174_1262
.LBB174_1259:
	s_and_not1_saveexec_b32 s15, s15
	s_cbranch_execz .LBB174_1240
.LBB174_1260:
	v_cmp_ne_u16_e32 vcc_lo, 0, v1
	s_and_not1_b32 s16, s16, exec_lo
	s_and_b32 s17, vcc_lo, exec_lo
	s_delay_alu instid0(SALU_CYCLE_1)
	s_or_b32 s16, s16, s17
	s_or_b32 exec_lo, exec_lo, s15
	v_mov_b32_e32 v4, 0
	s_and_saveexec_b32 s15, s16
	s_cbranch_execnz .LBB174_1241
	s_branch .LBB174_1242
.LBB174_1261:
	s_mov_b32 s12, -1
.LBB174_1262:
                                        ; implicit-def: $vgpr4
.LBB174_1263:
	s_and_b32 vcc_lo, exec_lo, s15
	s_mov_b32 s15, 0
	s_cbranch_vccz .LBB174_1265
; %bb.1264:
	s_cmp_lg_u32 s0, 11
	s_mov_b32 s15, -1
	s_cselect_b32 s12, -1, 0
.LBB174_1265:
	s_delay_alu instid0(SALU_CYCLE_1)
	s_and_b32 vcc_lo, exec_lo, s12
	s_cbranch_vccnz .LBB174_1339
; %bb.1266:
	s_and_not1_b32 vcc_lo, exec_lo, s15
	s_cbranch_vccnz .LBB174_1268
.LBB174_1267:
	global_load_u8 v1, v[2:3], off
	s_mov_b32 s16, -1
	s_wait_loadcnt 0x0
	v_cmp_ne_u16_e32 vcc_lo, 0, v1
	v_cndmask_b32_e64 v4, 0, 1, vcc_lo
.LBB174_1268:
	s_branch .LBB174_1197
.LBB174_1269:
	s_cmp_lt_i32 s0, 5
	s_cbranch_scc1 .LBB174_1274
; %bb.1270:
	s_cmp_lt_i32 s0, 8
	s_cbranch_scc1 .LBB174_1275
; %bb.1271:
	;; [unrolled: 3-line block ×3, first 2 shown]
	s_cmp_gt_i32 s0, 9
	s_cbranch_scc0 .LBB174_1277
; %bb.1273:
	s_wait_loadcnt 0x0
	global_load_b64 v[4:5], v[2:3], off
	s_mov_b32 s12, 0
	s_wait_loadcnt 0x0
	v_trunc_f64_e32 v[4:5], v[4:5]
	s_delay_alu instid0(VALU_DEP_1) | instskip(NEXT) | instid1(VALU_DEP_1)
	v_ldexp_f64 v[8:9], v[4:5], 0xffffffe0
	v_floor_f64_e32 v[8:9], v[8:9]
	s_delay_alu instid0(VALU_DEP_1) | instskip(NEXT) | instid1(VALU_DEP_1)
	v_fmamk_f64 v[4:5], v[8:9], 0xc1f00000, v[4:5]
	v_cvt_u32_f64_e32 v4, v[4:5]
	s_branch .LBB174_1278
.LBB174_1274:
                                        ; implicit-def: $vgpr4
	s_branch .LBB174_1296
.LBB174_1275:
	s_mov_b32 s12, -1
                                        ; implicit-def: $vgpr4
	s_branch .LBB174_1284
.LBB174_1276:
	s_mov_b32 s12, -1
                                        ; implicit-def: $vgpr4
	s_branch .LBB174_1281
.LBB174_1277:
	s_mov_b32 s12, -1
                                        ; implicit-def: $vgpr4
.LBB174_1278:
	s_delay_alu instid0(SALU_CYCLE_1)
	s_and_not1_b32 vcc_lo, exec_lo, s12
	s_cbranch_vccnz .LBB174_1280
; %bb.1279:
	global_load_b32 v1, v[2:3], off
	s_wait_loadcnt 0x0
	v_trunc_f32_e32 v1, v1
	s_delay_alu instid0(VALU_DEP_1) | instskip(NEXT) | instid1(VALU_DEP_1)
	v_mul_f32_e64 v4, 0x2f800000, |v1|
	v_floor_f32_e32 v4, v4
	s_delay_alu instid0(VALU_DEP_1) | instskip(SKIP_1) | instid1(VALU_DEP_2)
	v_fma_f32 v4, 0xcf800000, v4, |v1|
	v_ashrrev_i32_e32 v1, 31, v1
	v_cvt_u32_f32_e32 v4, v4
	s_delay_alu instid0(VALU_DEP_1) | instskip(NEXT) | instid1(VALU_DEP_1)
	v_xor_b32_e32 v4, v4, v1
	v_sub_nc_u32_e32 v4, v4, v1
.LBB174_1280:
	s_mov_b32 s12, 0
.LBB174_1281:
	s_delay_alu instid0(SALU_CYCLE_1)
	s_and_not1_b32 vcc_lo, exec_lo, s12
	s_cbranch_vccnz .LBB174_1283
; %bb.1282:
	global_load_b32 v1, v[2:3], off
	s_wait_loadcnt 0x0
	v_cvt_f32_f16_e32 v1, v1
	s_delay_alu instid0(VALU_DEP_1)
	v_cvt_i32_f32_e32 v4, v1
.LBB174_1283:
	s_mov_b32 s12, 0
.LBB174_1284:
	s_delay_alu instid0(SALU_CYCLE_1)
	s_and_not1_b32 vcc_lo, exec_lo, s12
	s_cbranch_vccnz .LBB174_1295
; %bb.1285:
	s_cmp_lt_i32 s0, 6
	s_cbranch_scc1 .LBB174_1288
; %bb.1286:
	s_cmp_gt_i32 s0, 6
	s_cbranch_scc0 .LBB174_1289
; %bb.1287:
	s_wait_loadcnt 0x0
	global_load_b64 v[4:5], v[2:3], off
	s_mov_b32 s12, 0
	s_wait_loadcnt 0x0
	v_trunc_f64_e32 v[4:5], v[4:5]
	s_delay_alu instid0(VALU_DEP_1) | instskip(NEXT) | instid1(VALU_DEP_1)
	v_ldexp_f64 v[8:9], v[4:5], 0xffffffe0
	v_floor_f64_e32 v[8:9], v[8:9]
	s_delay_alu instid0(VALU_DEP_1) | instskip(NEXT) | instid1(VALU_DEP_1)
	v_fmamk_f64 v[4:5], v[8:9], 0xc1f00000, v[4:5]
	v_cvt_u32_f64_e32 v4, v[4:5]
	s_branch .LBB174_1290
.LBB174_1288:
	s_mov_b32 s12, -1
                                        ; implicit-def: $vgpr4
	s_branch .LBB174_1293
.LBB174_1289:
	s_mov_b32 s12, -1
                                        ; implicit-def: $vgpr4
.LBB174_1290:
	s_delay_alu instid0(SALU_CYCLE_1)
	s_and_not1_b32 vcc_lo, exec_lo, s12
	s_cbranch_vccnz .LBB174_1292
; %bb.1291:
	global_load_b32 v1, v[2:3], off
	s_wait_loadcnt 0x0
	v_trunc_f32_e32 v1, v1
	s_delay_alu instid0(VALU_DEP_1) | instskip(NEXT) | instid1(VALU_DEP_1)
	v_mul_f32_e64 v4, 0x2f800000, |v1|
	v_floor_f32_e32 v4, v4
	s_delay_alu instid0(VALU_DEP_1) | instskip(SKIP_1) | instid1(VALU_DEP_2)
	v_fma_f32 v4, 0xcf800000, v4, |v1|
	v_ashrrev_i32_e32 v1, 31, v1
	v_cvt_u32_f32_e32 v4, v4
	s_delay_alu instid0(VALU_DEP_1) | instskip(NEXT) | instid1(VALU_DEP_1)
	v_xor_b32_e32 v4, v4, v1
	v_sub_nc_u32_e32 v4, v4, v1
.LBB174_1292:
	s_mov_b32 s12, 0
.LBB174_1293:
	s_delay_alu instid0(SALU_CYCLE_1)
	s_and_not1_b32 vcc_lo, exec_lo, s12
	s_cbranch_vccnz .LBB174_1295
; %bb.1294:
	global_load_u16 v1, v[2:3], off
	s_wait_loadcnt 0x0
	v_cvt_f32_f16_e32 v1, v1
	s_delay_alu instid0(VALU_DEP_1)
	v_cvt_i32_f32_e32 v4, v1
.LBB174_1295:
	s_cbranch_execnz .LBB174_1315
.LBB174_1296:
	s_cmp_lt_i32 s0, 2
	s_cbranch_scc1 .LBB174_1300
; %bb.1297:
	s_cmp_lt_i32 s0, 3
	s_cbranch_scc1 .LBB174_1301
; %bb.1298:
	s_cmp_gt_i32 s0, 3
	s_cbranch_scc0 .LBB174_1302
; %bb.1299:
	s_wait_loadcnt 0x0
	global_load_b64 v[4:5], v[2:3], off
	s_mov_b32 s12, 0
	s_branch .LBB174_1303
.LBB174_1300:
	s_mov_b32 s12, -1
                                        ; implicit-def: $vgpr4
	s_branch .LBB174_1309
.LBB174_1301:
	s_mov_b32 s12, -1
                                        ; implicit-def: $vgpr4
	s_branch .LBB174_1306
.LBB174_1302:
	s_mov_b32 s12, -1
                                        ; implicit-def: $vgpr4
.LBB174_1303:
	s_delay_alu instid0(SALU_CYCLE_1)
	s_and_not1_b32 vcc_lo, exec_lo, s12
	s_cbranch_vccnz .LBB174_1305
; %bb.1304:
	s_wait_loadcnt 0x0
	global_load_b32 v4, v[2:3], off
.LBB174_1305:
	s_mov_b32 s12, 0
.LBB174_1306:
	s_delay_alu instid0(SALU_CYCLE_1)
	s_and_not1_b32 vcc_lo, exec_lo, s12
	s_cbranch_vccnz .LBB174_1308
; %bb.1307:
	s_wait_loadcnt 0x0
	global_load_u16 v4, v[2:3], off
.LBB174_1308:
	s_mov_b32 s12, 0
.LBB174_1309:
	s_delay_alu instid0(SALU_CYCLE_1)
	s_and_not1_b32 vcc_lo, exec_lo, s12
	s_cbranch_vccnz .LBB174_1315
; %bb.1310:
	s_cmp_gt_i32 s0, 0
	s_mov_b32 s12, 0
	s_cbranch_scc0 .LBB174_1312
; %bb.1311:
	s_wait_loadcnt 0x0
	global_load_u8 v4, v[2:3], off
	s_branch .LBB174_1313
.LBB174_1312:
	s_mov_b32 s12, -1
                                        ; implicit-def: $vgpr4
.LBB174_1313:
	s_delay_alu instid0(SALU_CYCLE_1)
	s_and_not1_b32 vcc_lo, exec_lo, s12
	s_cbranch_vccnz .LBB174_1315
; %bb.1314:
	s_wait_loadcnt 0x0
	global_load_u8 v4, v[2:3], off
.LBB174_1315:
.LBB174_1316:
	s_cmp_lt_i32 s10, 1
	s_mov_b32 s12, 0
	s_cbranch_scc1 .LBB174_1319
; %bb.1317:
	s_cmp_eq_u32 s10, 1
	s_cbranch_scc0 .LBB174_1320
; %bb.1318:
	s_wait_loadcnt 0x0
	s_delay_alu instid0(VALU_DEP_1)
	v_and_b32_e32 v1, 0xff, v4
	s_and_b32 s15, s11, 0xff
	s_delay_alu instid0(VALU_DEP_1) | instid1(SALU_CYCLE_1)
	v_min_u16 v8, v1, s15
	s_mov_b32 s15, 0
	s_branch .LBB174_1321
.LBB174_1319:
	s_mov_b32 s15, 0
                                        ; implicit-def: $vgpr8
	s_cbranch_execnz .LBB174_1322
	s_branch .LBB174_1323
.LBB174_1320:
	s_mov_b32 s15, -1
                                        ; implicit-def: $vgpr8
.LBB174_1321:
	s_branch .LBB174_1323
.LBB174_1322:
	s_cmp_lg_u32 s10, 0
	s_mov_b32 s12, -1
	s_cselect_b32 s15, -1, 0
.LBB174_1323:
	s_wait_loadcnt 0x0
	s_delay_alu instid0(VALU_DEP_1)
	v_and_b32_e32 v1, 0xff, v4
	s_and_not1_b32 vcc_lo, exec_lo, s15
	s_cbranch_vccnz .LBB174_1325
; %bb.1324:
	s_and_b32 s12, s11, 0xff
	s_wait_xcnt 0x0
	v_max_u16 v2, v1, s12
	s_delay_alu instid0(VALU_DEP_1)
	v_min_u16 v8, v2, s1
	s_cbranch_execz .LBB174_1326
	s_branch .LBB174_1327
.LBB174_1325:
	s_and_not1_b32 vcc_lo, exec_lo, s12
	s_cbranch_vccnz .LBB174_1327
.LBB174_1326:
	s_and_b32 s12, s11, 0xff
	s_delay_alu instid0(SALU_CYCLE_1)
	v_max_u16 v8, v1, s12
.LBB174_1327:
	v_add_nc_u32_e32 v0, s9, v0
	s_cmp_lt_i32 s0, 11
	s_delay_alu instid0(VALU_DEP_1) | instskip(SKIP_1) | instid1(VALU_DEP_1)
	v_ashrrev_i32_e32 v1, 31, v0
	s_wait_xcnt 0x0
	v_add_nc_u64_e32 v[2:3], s[6:7], v[0:1]
	s_cbranch_scc1 .LBB174_1334
; %bb.1328:
	s_cmp_gt_i32 s0, 25
	s_mov_b32 s15, 0
	s_cbranch_scc0 .LBB174_1336
; %bb.1329:
	s_cmp_gt_i32 s0, 28
	s_cbranch_scc0 .LBB174_1337
; %bb.1330:
	s_cmp_gt_i32 s0, 43
	;; [unrolled: 3-line block ×3, first 2 shown]
	s_cbranch_scc0 .LBB174_1340
; %bb.1332:
	s_cmp_eq_u32 s0, 46
	s_mov_b32 s17, 0
	s_cbranch_scc0 .LBB174_1341
; %bb.1333:
	global_load_b32 v1, v[2:3], off
	s_mov_b32 s12, 0
	s_mov_b32 s16, -1
	s_wait_loadcnt 0x0
	v_lshlrev_b32_e32 v1, 16, v1
	s_delay_alu instid0(VALU_DEP_1) | instskip(NEXT) | instid1(VALU_DEP_1)
	v_trunc_f32_e32 v1, v1
	v_mul_f32_e64 v4, 0x2f800000, |v1|
	s_delay_alu instid0(VALU_DEP_1) | instskip(NEXT) | instid1(VALU_DEP_1)
	v_floor_f32_e32 v4, v4
	v_fma_f32 v4, 0xcf800000, v4, |v1|
	v_ashrrev_i32_e32 v1, 31, v1
	s_delay_alu instid0(VALU_DEP_2) | instskip(NEXT) | instid1(VALU_DEP_1)
	v_cvt_u32_f32_e32 v4, v4
	v_xor_b32_e32 v4, v4, v1
	s_delay_alu instid0(VALU_DEP_1)
	v_sub_nc_u32_e32 v4, v4, v1
	s_branch .LBB174_1343
.LBB174_1334:
	s_mov_b32 s16, 0
                                        ; implicit-def: $vgpr4
	s_cbranch_execnz .LBB174_1405
.LBB174_1335:
	s_and_not1_b32 vcc_lo, exec_lo, s16
	s_cbranch_vccnz .LBB174_1594
	s_branch .LBB174_1453
.LBB174_1336:
	s_mov_b32 s17, -1
	s_mov_b32 s16, 0
	s_mov_b32 s12, 0
                                        ; implicit-def: $vgpr4
	s_branch .LBB174_1370
.LBB174_1337:
	s_mov_b32 s17, -1
	s_mov_b32 s16, 0
	s_mov_b32 s12, 0
                                        ; implicit-def: $vgpr4
	s_branch .LBB174_1353
.LBB174_1338:
	s_mov_b32 s17, -1
	s_mov_b32 s16, 0
	s_mov_b32 s12, 0
                                        ; implicit-def: $vgpr4
	s_branch .LBB174_1348
.LBB174_1339:
	s_or_b32 s3, s3, exec_lo
	s_trap 2
	s_cbranch_execz .LBB174_1267
	s_branch .LBB174_1268
.LBB174_1340:
	s_mov_b32 s17, -1
	s_mov_b32 s16, 0
	s_mov_b32 s12, 0
	s_branch .LBB174_1342
.LBB174_1341:
	s_mov_b32 s12, -1
	s_mov_b32 s16, 0
.LBB174_1342:
                                        ; implicit-def: $vgpr4
.LBB174_1343:
	s_and_b32 vcc_lo, exec_lo, s17
	s_cbranch_vccz .LBB174_1347
; %bb.1344:
	s_cmp_eq_u32 s0, 44
	s_cbranch_scc0 .LBB174_1346
; %bb.1345:
	global_load_u8 v1, v[2:3], off
	s_mov_b32 s12, 0
	s_mov_b32 s16, -1
	s_wait_loadcnt 0x0
	v_lshlrev_b32_e32 v4, 23, v1
	v_cmp_ne_u32_e32 vcc_lo, 0, v1
	s_delay_alu instid0(VALU_DEP_2) | instskip(NEXT) | instid1(VALU_DEP_1)
	v_trunc_f32_e32 v4, v4
	v_mul_f32_e64 v5, 0x2f800000, |v4|
	s_delay_alu instid0(VALU_DEP_1) | instskip(NEXT) | instid1(VALU_DEP_1)
	v_floor_f32_e32 v5, v5
	v_fma_f32 v5, 0xcf800000, v5, |v4|
	v_ashrrev_i32_e32 v4, 31, v4
	s_delay_alu instid0(VALU_DEP_2) | instskip(NEXT) | instid1(VALU_DEP_1)
	v_cvt_u32_f32_e32 v5, v5
	v_xor_b32_e32 v5, v5, v4
	s_delay_alu instid0(VALU_DEP_1) | instskip(NEXT) | instid1(VALU_DEP_1)
	v_sub_nc_u32_e32 v4, v5, v4
	v_cndmask_b32_e32 v4, 0, v4, vcc_lo
	s_branch .LBB174_1347
.LBB174_1346:
	s_mov_b32 s12, -1
                                        ; implicit-def: $vgpr4
.LBB174_1347:
	s_mov_b32 s17, 0
.LBB174_1348:
	s_delay_alu instid0(SALU_CYCLE_1)
	s_and_b32 vcc_lo, exec_lo, s17
	s_cbranch_vccz .LBB174_1352
; %bb.1349:
	s_cmp_eq_u32 s0, 29
	s_cbranch_scc0 .LBB174_1351
; %bb.1350:
	global_load_b64 v[4:5], v[2:3], off
	s_mov_b32 s12, 0
	s_mov_b32 s16, -1
	s_branch .LBB174_1352
.LBB174_1351:
	s_mov_b32 s12, -1
                                        ; implicit-def: $vgpr4
.LBB174_1352:
	s_mov_b32 s17, 0
.LBB174_1353:
	s_delay_alu instid0(SALU_CYCLE_1)
	s_and_b32 vcc_lo, exec_lo, s17
	s_cbranch_vccz .LBB174_1369
; %bb.1354:
	s_cmp_lt_i32 s0, 27
	s_cbranch_scc1 .LBB174_1357
; %bb.1355:
	s_cmp_gt_i32 s0, 27
	s_cbranch_scc0 .LBB174_1358
; %bb.1356:
	s_wait_loadcnt 0x0
	global_load_b32 v4, v[2:3], off
	s_mov_b32 s16, 0
	s_branch .LBB174_1359
.LBB174_1357:
	s_mov_b32 s16, -1
                                        ; implicit-def: $vgpr4
	s_branch .LBB174_1362
.LBB174_1358:
	s_mov_b32 s16, -1
                                        ; implicit-def: $vgpr4
.LBB174_1359:
	s_delay_alu instid0(SALU_CYCLE_1)
	s_and_not1_b32 vcc_lo, exec_lo, s16
	s_cbranch_vccnz .LBB174_1361
; %bb.1360:
	s_wait_loadcnt 0x0
	global_load_u16 v4, v[2:3], off
.LBB174_1361:
	s_mov_b32 s16, 0
.LBB174_1362:
	s_delay_alu instid0(SALU_CYCLE_1)
	s_and_not1_b32 vcc_lo, exec_lo, s16
	s_cbranch_vccnz .LBB174_1368
; %bb.1363:
	global_load_u8 v1, v[2:3], off
	s_mov_b32 s17, 0
	s_mov_b32 s16, exec_lo
	s_wait_loadcnt 0x0
	v_cmpx_lt_i16_e32 0x7f, v1
	s_xor_b32 s16, exec_lo, s16
	s_cbranch_execz .LBB174_1380
; %bb.1364:
	v_cmp_ne_u16_e32 vcc_lo, 0x80, v1
	s_and_b32 s17, vcc_lo, exec_lo
	s_and_not1_saveexec_b32 s16, s16
	s_cbranch_execnz .LBB174_1381
.LBB174_1365:
	s_or_b32 exec_lo, exec_lo, s16
	v_mov_b32_e32 v4, 0
	s_and_saveexec_b32 s16, s17
	s_cbranch_execz .LBB174_1367
.LBB174_1366:
	v_and_b32_e32 v4, 0xffff, v1
	s_delay_alu instid0(VALU_DEP_1) | instskip(SKIP_1) | instid1(VALU_DEP_2)
	v_and_b32_e32 v5, 7, v4
	v_bfe_u32 v11, v4, 3, 4
	v_clz_i32_u32_e32 v9, v5
	s_delay_alu instid0(VALU_DEP_2) | instskip(NEXT) | instid1(VALU_DEP_2)
	v_cmp_eq_u32_e32 vcc_lo, 0, v11
	v_min_u32_e32 v9, 32, v9
	s_delay_alu instid0(VALU_DEP_1) | instskip(NEXT) | instid1(VALU_DEP_1)
	v_subrev_nc_u32_e32 v10, 28, v9
	v_dual_lshlrev_b32 v4, v10, v4 :: v_dual_sub_nc_u32 v9, 29, v9
	s_delay_alu instid0(VALU_DEP_1) | instskip(NEXT) | instid1(VALU_DEP_1)
	v_dual_lshlrev_b32 v1, 24, v1 :: v_dual_bitop2_b32 v4, 7, v4 bitop3:0x40
	v_dual_cndmask_b32 v4, v5, v4 :: v_dual_cndmask_b32 v9, v11, v9
	s_delay_alu instid0(VALU_DEP_2) | instskip(NEXT) | instid1(VALU_DEP_2)
	v_and_b32_e32 v1, 0x80000000, v1
	v_lshlrev_b32_e32 v4, 20, v4
	s_delay_alu instid0(VALU_DEP_3) | instskip(NEXT) | instid1(VALU_DEP_1)
	v_lshl_add_u32 v5, v9, 23, 0x3b800000
	v_or3_b32 v1, v1, v5, v4
	s_delay_alu instid0(VALU_DEP_1) | instskip(NEXT) | instid1(VALU_DEP_1)
	v_trunc_f32_e32 v1, v1
	v_mul_f32_e64 v4, 0x2f800000, |v1|
	s_delay_alu instid0(VALU_DEP_1) | instskip(NEXT) | instid1(VALU_DEP_1)
	v_floor_f32_e32 v4, v4
	v_fma_f32 v4, 0xcf800000, v4, |v1|
	v_ashrrev_i32_e32 v1, 31, v1
	s_delay_alu instid0(VALU_DEP_2) | instskip(NEXT) | instid1(VALU_DEP_1)
	v_cvt_u32_f32_e32 v4, v4
	v_xor_b32_e32 v4, v4, v1
	s_delay_alu instid0(VALU_DEP_1)
	v_sub_nc_u32_e32 v4, v4, v1
.LBB174_1367:
	s_or_b32 exec_lo, exec_lo, s16
.LBB174_1368:
	s_mov_b32 s16, -1
.LBB174_1369:
	s_mov_b32 s17, 0
.LBB174_1370:
	s_delay_alu instid0(SALU_CYCLE_1)
	s_and_b32 vcc_lo, exec_lo, s17
	s_cbranch_vccz .LBB174_1401
; %bb.1371:
	s_cmp_gt_i32 s0, 22
	s_cbranch_scc0 .LBB174_1379
; %bb.1372:
	s_cmp_lt_i32 s0, 24
	s_cbranch_scc1 .LBB174_1382
; %bb.1373:
	s_cmp_gt_i32 s0, 24
	s_cbranch_scc0 .LBB174_1383
; %bb.1374:
	global_load_u8 v1, v[2:3], off
	s_mov_b32 s16, 0
	s_mov_b32 s15, exec_lo
	s_wait_loadcnt 0x0
	v_cmpx_lt_i16_e32 0x7f, v1
	s_xor_b32 s15, exec_lo, s15
	s_cbranch_execz .LBB174_1395
; %bb.1375:
	v_cmp_ne_u16_e32 vcc_lo, 0x80, v1
	s_and_b32 s16, vcc_lo, exec_lo
	s_and_not1_saveexec_b32 s15, s15
	s_cbranch_execnz .LBB174_1396
.LBB174_1376:
	s_or_b32 exec_lo, exec_lo, s15
	v_mov_b32_e32 v4, 0
	s_and_saveexec_b32 s15, s16
	s_cbranch_execz .LBB174_1378
.LBB174_1377:
	v_and_b32_e32 v4, 0xffff, v1
	s_delay_alu instid0(VALU_DEP_1) | instskip(SKIP_1) | instid1(VALU_DEP_2)
	v_and_b32_e32 v5, 3, v4
	v_bfe_u32 v11, v4, 2, 5
	v_clz_i32_u32_e32 v9, v5
	s_delay_alu instid0(VALU_DEP_2) | instskip(NEXT) | instid1(VALU_DEP_2)
	v_cmp_eq_u32_e32 vcc_lo, 0, v11
	v_min_u32_e32 v9, 32, v9
	s_delay_alu instid0(VALU_DEP_1) | instskip(NEXT) | instid1(VALU_DEP_1)
	v_subrev_nc_u32_e32 v10, 29, v9
	v_dual_lshlrev_b32 v4, v10, v4 :: v_dual_sub_nc_u32 v9, 30, v9
	s_delay_alu instid0(VALU_DEP_1) | instskip(NEXT) | instid1(VALU_DEP_1)
	v_dual_lshlrev_b32 v1, 24, v1 :: v_dual_bitop2_b32 v4, 3, v4 bitop3:0x40
	v_dual_cndmask_b32 v4, v5, v4 :: v_dual_cndmask_b32 v9, v11, v9
	s_delay_alu instid0(VALU_DEP_2) | instskip(NEXT) | instid1(VALU_DEP_2)
	v_and_b32_e32 v1, 0x80000000, v1
	v_lshlrev_b32_e32 v4, 21, v4
	s_delay_alu instid0(VALU_DEP_3) | instskip(NEXT) | instid1(VALU_DEP_1)
	v_lshl_add_u32 v5, v9, 23, 0x37800000
	v_or3_b32 v1, v1, v5, v4
	s_delay_alu instid0(VALU_DEP_1) | instskip(NEXT) | instid1(VALU_DEP_1)
	v_trunc_f32_e32 v1, v1
	v_mul_f32_e64 v4, 0x2f800000, |v1|
	s_delay_alu instid0(VALU_DEP_1) | instskip(NEXT) | instid1(VALU_DEP_1)
	v_floor_f32_e32 v4, v4
	v_fma_f32 v4, 0xcf800000, v4, |v1|
	v_ashrrev_i32_e32 v1, 31, v1
	s_delay_alu instid0(VALU_DEP_2) | instskip(NEXT) | instid1(VALU_DEP_1)
	v_cvt_u32_f32_e32 v4, v4
	v_xor_b32_e32 v4, v4, v1
	s_delay_alu instid0(VALU_DEP_1)
	v_sub_nc_u32_e32 v4, v4, v1
.LBB174_1378:
	s_or_b32 exec_lo, exec_lo, s15
	s_mov_b32 s15, 0
	s_branch .LBB174_1384
.LBB174_1379:
	s_mov_b32 s15, -1
                                        ; implicit-def: $vgpr4
	s_branch .LBB174_1390
.LBB174_1380:
	s_and_not1_saveexec_b32 s16, s16
	s_cbranch_execz .LBB174_1365
.LBB174_1381:
	v_cmp_ne_u16_e32 vcc_lo, 0, v1
	s_and_not1_b32 s17, s17, exec_lo
	s_and_b32 s18, vcc_lo, exec_lo
	s_delay_alu instid0(SALU_CYCLE_1)
	s_or_b32 s17, s17, s18
	s_or_b32 exec_lo, exec_lo, s16
	v_mov_b32_e32 v4, 0
	s_and_saveexec_b32 s16, s17
	s_cbranch_execnz .LBB174_1366
	s_branch .LBB174_1367
.LBB174_1382:
	s_mov_b32 s15, -1
                                        ; implicit-def: $vgpr4
	s_branch .LBB174_1387
.LBB174_1383:
	s_mov_b32 s15, -1
                                        ; implicit-def: $vgpr4
.LBB174_1384:
	s_delay_alu instid0(SALU_CYCLE_1)
	s_and_b32 vcc_lo, exec_lo, s15
	s_cbranch_vccz .LBB174_1386
; %bb.1385:
	global_load_u8 v1, v[2:3], off
	s_wait_loadcnt 0x0
	v_lshlrev_b32_e32 v1, 24, v1
	s_delay_alu instid0(VALU_DEP_1) | instskip(NEXT) | instid1(VALU_DEP_1)
	v_and_b32_e32 v4, 0x7f000000, v1
	v_clz_i32_u32_e32 v5, v4
	v_add_nc_u32_e32 v10, 0x1000000, v4
	v_cmp_ne_u32_e32 vcc_lo, 0, v4
	s_delay_alu instid0(VALU_DEP_3) | instskip(NEXT) | instid1(VALU_DEP_1)
	v_min_u32_e32 v5, 32, v5
	v_sub_nc_u32_e64 v5, v5, 4 clamp
	s_delay_alu instid0(VALU_DEP_1) | instskip(NEXT) | instid1(VALU_DEP_1)
	v_dual_lshlrev_b32 v9, v5, v4 :: v_dual_lshlrev_b32 v5, 23, v5
	v_lshrrev_b32_e32 v9, 4, v9
	s_delay_alu instid0(VALU_DEP_1) | instskip(NEXT) | instid1(VALU_DEP_1)
	v_dual_sub_nc_u32 v5, v9, v5 :: v_dual_ashrrev_i32 v9, 8, v10
	v_add_nc_u32_e32 v5, 0x3c000000, v5
	s_delay_alu instid0(VALU_DEP_1) | instskip(NEXT) | instid1(VALU_DEP_1)
	v_and_or_b32 v5, 0x7f800000, v9, v5
	v_cndmask_b32_e32 v4, 0, v5, vcc_lo
	s_delay_alu instid0(VALU_DEP_1) | instskip(NEXT) | instid1(VALU_DEP_1)
	v_and_or_b32 v1, 0x80000000, v1, v4
	v_trunc_f32_e32 v1, v1
	s_delay_alu instid0(VALU_DEP_1) | instskip(NEXT) | instid1(VALU_DEP_1)
	v_mul_f32_e64 v4, 0x2f800000, |v1|
	v_floor_f32_e32 v4, v4
	s_delay_alu instid0(VALU_DEP_1) | instskip(SKIP_1) | instid1(VALU_DEP_2)
	v_fma_f32 v4, 0xcf800000, v4, |v1|
	v_ashrrev_i32_e32 v1, 31, v1
	v_cvt_u32_f32_e32 v4, v4
	s_delay_alu instid0(VALU_DEP_1) | instskip(NEXT) | instid1(VALU_DEP_1)
	v_xor_b32_e32 v4, v4, v1
	v_sub_nc_u32_e32 v4, v4, v1
.LBB174_1386:
	s_mov_b32 s15, 0
.LBB174_1387:
	s_delay_alu instid0(SALU_CYCLE_1)
	s_and_not1_b32 vcc_lo, exec_lo, s15
	s_cbranch_vccnz .LBB174_1389
; %bb.1388:
	global_load_u8 v1, v[2:3], off
	s_wait_loadcnt 0x0
	v_lshlrev_b32_e32 v4, 25, v1
	v_lshlrev_b16 v1, 8, v1
	s_delay_alu instid0(VALU_DEP_2) | instskip(NEXT) | instid1(VALU_DEP_2)
	v_cmp_gt_u32_e32 vcc_lo, 0x8000000, v4
	v_and_or_b32 v9, 0x7f00, v1, 0.5
	v_lshrrev_b32_e32 v5, 4, v4
	v_bfe_i32 v1, v1, 0, 16
	s_delay_alu instid0(VALU_DEP_3) | instskip(NEXT) | instid1(VALU_DEP_3)
	v_add_f32_e32 v9, -0.5, v9
	v_or_b32_e32 v5, 0x70000000, v5
	s_delay_alu instid0(VALU_DEP_1) | instskip(NEXT) | instid1(VALU_DEP_1)
	v_mul_f32_e32 v5, 0x7800000, v5
	v_cndmask_b32_e32 v4, v5, v9, vcc_lo
	s_delay_alu instid0(VALU_DEP_1) | instskip(NEXT) | instid1(VALU_DEP_1)
	v_and_or_b32 v1, 0x80000000, v1, v4
	v_trunc_f32_e32 v1, v1
	s_delay_alu instid0(VALU_DEP_1) | instskip(NEXT) | instid1(VALU_DEP_1)
	v_mul_f32_e64 v4, 0x2f800000, |v1|
	v_floor_f32_e32 v4, v4
	s_delay_alu instid0(VALU_DEP_1) | instskip(SKIP_1) | instid1(VALU_DEP_2)
	v_fma_f32 v4, 0xcf800000, v4, |v1|
	v_ashrrev_i32_e32 v1, 31, v1
	v_cvt_u32_f32_e32 v4, v4
	s_delay_alu instid0(VALU_DEP_1) | instskip(NEXT) | instid1(VALU_DEP_1)
	v_xor_b32_e32 v4, v4, v1
	v_sub_nc_u32_e32 v4, v4, v1
.LBB174_1389:
	s_mov_b32 s15, 0
	s_mov_b32 s16, -1
.LBB174_1390:
	s_and_not1_b32 vcc_lo, exec_lo, s15
	s_mov_b32 s15, 0
	s_cbranch_vccnz .LBB174_1401
; %bb.1391:
	s_cmp_gt_i32 s0, 14
	s_cbranch_scc0 .LBB174_1394
; %bb.1392:
	s_cmp_eq_u32 s0, 15
	s_cbranch_scc0 .LBB174_1397
; %bb.1393:
	global_load_u16 v1, v[2:3], off
	s_mov_b32 s12, 0
	s_mov_b32 s16, -1
	s_wait_loadcnt 0x0
	v_lshlrev_b32_e32 v1, 16, v1
	s_delay_alu instid0(VALU_DEP_1) | instskip(NEXT) | instid1(VALU_DEP_1)
	v_trunc_f32_e32 v1, v1
	v_mul_f32_e64 v4, 0x2f800000, |v1|
	s_delay_alu instid0(VALU_DEP_1) | instskip(NEXT) | instid1(VALU_DEP_1)
	v_floor_f32_e32 v4, v4
	v_fma_f32 v4, 0xcf800000, v4, |v1|
	v_ashrrev_i32_e32 v1, 31, v1
	s_delay_alu instid0(VALU_DEP_2) | instskip(NEXT) | instid1(VALU_DEP_1)
	v_cvt_u32_f32_e32 v4, v4
	v_xor_b32_e32 v4, v4, v1
	s_delay_alu instid0(VALU_DEP_1)
	v_sub_nc_u32_e32 v4, v4, v1
	s_branch .LBB174_1399
.LBB174_1394:
	s_mov_b32 s15, -1
	s_branch .LBB174_1398
.LBB174_1395:
	s_and_not1_saveexec_b32 s15, s15
	s_cbranch_execz .LBB174_1376
.LBB174_1396:
	v_cmp_ne_u16_e32 vcc_lo, 0, v1
	s_and_not1_b32 s16, s16, exec_lo
	s_and_b32 s17, vcc_lo, exec_lo
	s_delay_alu instid0(SALU_CYCLE_1)
	s_or_b32 s16, s16, s17
	s_or_b32 exec_lo, exec_lo, s15
	v_mov_b32_e32 v4, 0
	s_and_saveexec_b32 s15, s16
	s_cbranch_execnz .LBB174_1377
	s_branch .LBB174_1378
.LBB174_1397:
	s_mov_b32 s12, -1
.LBB174_1398:
                                        ; implicit-def: $vgpr4
.LBB174_1399:
	s_and_b32 vcc_lo, exec_lo, s15
	s_mov_b32 s15, 0
	s_cbranch_vccz .LBB174_1401
; %bb.1400:
	s_cmp_lg_u32 s0, 11
	s_mov_b32 s15, -1
	s_cselect_b32 s12, -1, 0
.LBB174_1401:
	s_delay_alu instid0(SALU_CYCLE_1)
	s_and_b32 vcc_lo, exec_lo, s12
	s_cbranch_vccnz .LBB174_1475
; %bb.1402:
	s_and_not1_b32 vcc_lo, exec_lo, s15
	s_cbranch_vccnz .LBB174_1404
.LBB174_1403:
	global_load_u8 v1, v[2:3], off
	s_mov_b32 s16, -1
	s_wait_loadcnt 0x0
	v_cmp_ne_u16_e32 vcc_lo, 0, v1
	v_cndmask_b32_e64 v4, 0, 1, vcc_lo
.LBB174_1404:
	s_branch .LBB174_1335
.LBB174_1405:
	s_cmp_lt_i32 s0, 5
	s_cbranch_scc1 .LBB174_1410
; %bb.1406:
	s_cmp_lt_i32 s0, 8
	s_cbranch_scc1 .LBB174_1411
; %bb.1407:
	;; [unrolled: 3-line block ×3, first 2 shown]
	s_cmp_gt_i32 s0, 9
	s_cbranch_scc0 .LBB174_1413
; %bb.1409:
	s_wait_loadcnt 0x0
	global_load_b64 v[4:5], v[2:3], off
	s_mov_b32 s12, 0
	s_wait_loadcnt 0x0
	v_trunc_f64_e32 v[4:5], v[4:5]
	s_delay_alu instid0(VALU_DEP_1) | instskip(NEXT) | instid1(VALU_DEP_1)
	v_ldexp_f64 v[10:11], v[4:5], 0xffffffe0
	v_floor_f64_e32 v[10:11], v[10:11]
	s_delay_alu instid0(VALU_DEP_1) | instskip(NEXT) | instid1(VALU_DEP_1)
	v_fmamk_f64 v[4:5], v[10:11], 0xc1f00000, v[4:5]
	v_cvt_u32_f64_e32 v4, v[4:5]
	s_branch .LBB174_1414
.LBB174_1410:
	s_mov_b32 s12, -1
                                        ; implicit-def: $vgpr4
	s_branch .LBB174_1432
.LBB174_1411:
	s_mov_b32 s12, -1
                                        ; implicit-def: $vgpr4
	s_branch .LBB174_1420
.LBB174_1412:
	s_mov_b32 s12, -1
                                        ; implicit-def: $vgpr4
	s_branch .LBB174_1417
.LBB174_1413:
	s_mov_b32 s12, -1
                                        ; implicit-def: $vgpr4
.LBB174_1414:
	s_delay_alu instid0(SALU_CYCLE_1)
	s_and_not1_b32 vcc_lo, exec_lo, s12
	s_cbranch_vccnz .LBB174_1416
; %bb.1415:
	global_load_b32 v1, v[2:3], off
	s_wait_loadcnt 0x0
	v_trunc_f32_e32 v1, v1
	s_delay_alu instid0(VALU_DEP_1) | instskip(NEXT) | instid1(VALU_DEP_1)
	v_mul_f32_e64 v4, 0x2f800000, |v1|
	v_floor_f32_e32 v4, v4
	s_delay_alu instid0(VALU_DEP_1) | instskip(SKIP_1) | instid1(VALU_DEP_2)
	v_fma_f32 v4, 0xcf800000, v4, |v1|
	v_ashrrev_i32_e32 v1, 31, v1
	v_cvt_u32_f32_e32 v4, v4
	s_delay_alu instid0(VALU_DEP_1) | instskip(NEXT) | instid1(VALU_DEP_1)
	v_xor_b32_e32 v4, v4, v1
	v_sub_nc_u32_e32 v4, v4, v1
.LBB174_1416:
	s_mov_b32 s12, 0
.LBB174_1417:
	s_delay_alu instid0(SALU_CYCLE_1)
	s_and_not1_b32 vcc_lo, exec_lo, s12
	s_cbranch_vccnz .LBB174_1419
; %bb.1418:
	global_load_b32 v1, v[2:3], off
	s_wait_loadcnt 0x0
	v_cvt_f32_f16_e32 v1, v1
	s_delay_alu instid0(VALU_DEP_1)
	v_cvt_i32_f32_e32 v4, v1
.LBB174_1419:
	s_mov_b32 s12, 0
.LBB174_1420:
	s_delay_alu instid0(SALU_CYCLE_1)
	s_and_not1_b32 vcc_lo, exec_lo, s12
	s_cbranch_vccnz .LBB174_1431
; %bb.1421:
	s_cmp_lt_i32 s0, 6
	s_cbranch_scc1 .LBB174_1424
; %bb.1422:
	s_cmp_gt_i32 s0, 6
	s_cbranch_scc0 .LBB174_1425
; %bb.1423:
	s_wait_loadcnt 0x0
	global_load_b64 v[4:5], v[2:3], off
	s_mov_b32 s12, 0
	s_wait_loadcnt 0x0
	v_trunc_f64_e32 v[4:5], v[4:5]
	s_delay_alu instid0(VALU_DEP_1) | instskip(NEXT) | instid1(VALU_DEP_1)
	v_ldexp_f64 v[10:11], v[4:5], 0xffffffe0
	v_floor_f64_e32 v[10:11], v[10:11]
	s_delay_alu instid0(VALU_DEP_1) | instskip(NEXT) | instid1(VALU_DEP_1)
	v_fmamk_f64 v[4:5], v[10:11], 0xc1f00000, v[4:5]
	v_cvt_u32_f64_e32 v4, v[4:5]
	s_branch .LBB174_1426
.LBB174_1424:
	s_mov_b32 s12, -1
                                        ; implicit-def: $vgpr4
	s_branch .LBB174_1429
.LBB174_1425:
	s_mov_b32 s12, -1
                                        ; implicit-def: $vgpr4
.LBB174_1426:
	s_delay_alu instid0(SALU_CYCLE_1)
	s_and_not1_b32 vcc_lo, exec_lo, s12
	s_cbranch_vccnz .LBB174_1428
; %bb.1427:
	global_load_b32 v1, v[2:3], off
	s_wait_loadcnt 0x0
	v_trunc_f32_e32 v1, v1
	s_delay_alu instid0(VALU_DEP_1) | instskip(NEXT) | instid1(VALU_DEP_1)
	v_mul_f32_e64 v4, 0x2f800000, |v1|
	v_floor_f32_e32 v4, v4
	s_delay_alu instid0(VALU_DEP_1) | instskip(SKIP_1) | instid1(VALU_DEP_2)
	v_fma_f32 v4, 0xcf800000, v4, |v1|
	v_ashrrev_i32_e32 v1, 31, v1
	v_cvt_u32_f32_e32 v4, v4
	s_delay_alu instid0(VALU_DEP_1) | instskip(NEXT) | instid1(VALU_DEP_1)
	v_xor_b32_e32 v4, v4, v1
	v_sub_nc_u32_e32 v4, v4, v1
.LBB174_1428:
	s_mov_b32 s12, 0
.LBB174_1429:
	s_delay_alu instid0(SALU_CYCLE_1)
	s_and_not1_b32 vcc_lo, exec_lo, s12
	s_cbranch_vccnz .LBB174_1431
; %bb.1430:
	global_load_u16 v1, v[2:3], off
	s_wait_loadcnt 0x0
	v_cvt_f32_f16_e32 v1, v1
	s_delay_alu instid0(VALU_DEP_1)
	v_cvt_i32_f32_e32 v4, v1
.LBB174_1431:
	s_mov_b32 s12, 0
.LBB174_1432:
	s_delay_alu instid0(SALU_CYCLE_1)
	s_and_not1_b32 vcc_lo, exec_lo, s12
	s_cbranch_vccnz .LBB174_1452
; %bb.1433:
	s_cmp_lt_i32 s0, 2
	s_cbranch_scc1 .LBB174_1437
; %bb.1434:
	s_cmp_lt_i32 s0, 3
	s_cbranch_scc1 .LBB174_1438
; %bb.1435:
	s_cmp_gt_i32 s0, 3
	s_cbranch_scc0 .LBB174_1439
; %bb.1436:
	s_wait_loadcnt 0x0
	global_load_b64 v[4:5], v[2:3], off
	s_mov_b32 s12, 0
	s_branch .LBB174_1440
.LBB174_1437:
	s_mov_b32 s12, -1
                                        ; implicit-def: $vgpr4
	s_branch .LBB174_1446
.LBB174_1438:
	s_mov_b32 s12, -1
                                        ; implicit-def: $vgpr4
	s_branch .LBB174_1443
.LBB174_1439:
	s_mov_b32 s12, -1
                                        ; implicit-def: $vgpr4
.LBB174_1440:
	s_delay_alu instid0(SALU_CYCLE_1)
	s_and_not1_b32 vcc_lo, exec_lo, s12
	s_cbranch_vccnz .LBB174_1442
; %bb.1441:
	s_wait_loadcnt 0x0
	global_load_b32 v4, v[2:3], off
.LBB174_1442:
	s_mov_b32 s12, 0
.LBB174_1443:
	s_delay_alu instid0(SALU_CYCLE_1)
	s_and_not1_b32 vcc_lo, exec_lo, s12
	s_cbranch_vccnz .LBB174_1445
; %bb.1444:
	s_wait_loadcnt 0x0
	global_load_u16 v4, v[2:3], off
.LBB174_1445:
	s_mov_b32 s12, 0
.LBB174_1446:
	s_delay_alu instid0(SALU_CYCLE_1)
	s_and_not1_b32 vcc_lo, exec_lo, s12
	s_cbranch_vccnz .LBB174_1452
; %bb.1447:
	s_cmp_gt_i32 s0, 0
	s_mov_b32 s12, 0
	s_cbranch_scc0 .LBB174_1449
; %bb.1448:
	s_wait_loadcnt 0x0
	global_load_u8 v4, v[2:3], off
	s_branch .LBB174_1450
.LBB174_1449:
	s_mov_b32 s12, -1
                                        ; implicit-def: $vgpr4
.LBB174_1450:
	s_delay_alu instid0(SALU_CYCLE_1)
	s_and_not1_b32 vcc_lo, exec_lo, s12
	s_cbranch_vccnz .LBB174_1452
; %bb.1451:
	s_wait_loadcnt 0x0
	global_load_u8 v4, v[2:3], off
.LBB174_1452:
.LBB174_1453:
	s_cmp_lt_i32 s10, 1
	s_mov_b32 s12, 0
	s_cbranch_scc1 .LBB174_1456
; %bb.1454:
	s_cmp_eq_u32 s10, 1
	s_cbranch_scc0 .LBB174_1459
; %bb.1455:
	s_wait_loadcnt 0x0
	s_delay_alu instid0(VALU_DEP_1)
	v_and_b32_e32 v1, 0xff, v4
	s_and_b32 s15, s11, 0xff
	s_delay_alu instid0(VALU_DEP_1) | instid1(SALU_CYCLE_1)
	v_min_u16 v5, v1, s15
	s_mov_b32 s15, 0
	s_branch .LBB174_1460
.LBB174_1456:
	s_mov_b32 s15, 0
                                        ; implicit-def: $vgpr5
	s_cbranch_execnz .LBB174_1461
.LBB174_1457:
	s_wait_loadcnt 0x0
	s_delay_alu instid0(VALU_DEP_1)
	v_and_b32_e32 v1, 0xff, v4
	s_and_not1_b32 vcc_lo, exec_lo, s15
	s_cbranch_vccnz .LBB174_1462
.LBB174_1458:
	s_and_b32 s12, s11, 0xff
	s_wait_xcnt 0x0
	v_max_u16 v2, v1, s12
	s_delay_alu instid0(VALU_DEP_1)
	v_min_u16 v5, v2, s1
	s_cbranch_execz .LBB174_1463
	s_branch .LBB174_1464
.LBB174_1459:
	s_mov_b32 s15, -1
                                        ; implicit-def: $vgpr5
.LBB174_1460:
	s_branch .LBB174_1457
.LBB174_1461:
	s_cmp_lg_u32 s10, 0
	s_mov_b32 s12, -1
	s_cselect_b32 s15, -1, 0
	s_wait_loadcnt 0x0
	s_delay_alu instid0(VALU_DEP_1)
	v_and_b32_e32 v1, 0xff, v4
	s_and_not1_b32 vcc_lo, exec_lo, s15
	s_cbranch_vccz .LBB174_1458
.LBB174_1462:
	s_and_not1_b32 vcc_lo, exec_lo, s12
	s_cbranch_vccnz .LBB174_1464
.LBB174_1463:
	s_and_b32 s12, s11, 0xff
	s_delay_alu instid0(SALU_CYCLE_1)
	v_max_u16 v5, v1, s12
.LBB174_1464:
	v_add_nc_u32_e32 v0, s9, v0
	s_cmp_lt_i32 s0, 11
	s_delay_alu instid0(VALU_DEP_1) | instskip(NEXT) | instid1(VALU_DEP_1)
	v_ashrrev_i32_e32 v1, 31, v0
	v_add_nc_u64_e32 v[0:1], s[6:7], v[0:1]
	s_cbranch_scc1 .LBB174_1471
; %bb.1465:
	s_cmp_gt_i32 s0, 25
	s_mov_b32 s7, 0
	s_cbranch_scc0 .LBB174_1472
; %bb.1466:
	s_cmp_gt_i32 s0, 28
	s_cbranch_scc0 .LBB174_1473
; %bb.1467:
	s_cmp_gt_i32 s0, 43
	;; [unrolled: 3-line block ×3, first 2 shown]
	s_cbranch_scc0 .LBB174_1476
; %bb.1469:
	s_cmp_eq_u32 s0, 46
	s_mov_b32 s12, 0
	s_cbranch_scc0 .LBB174_1477
; %bb.1470:
	global_load_b32 v2, v[0:1], off
	s_mov_b32 s6, 0
	s_mov_b32 s9, -1
	s_wait_loadcnt 0x0
	v_lshlrev_b32_e32 v2, 16, v2
	s_delay_alu instid0(VALU_DEP_1) | instskip(NEXT) | instid1(VALU_DEP_1)
	v_trunc_f32_e32 v2, v2
	v_mul_f32_e64 v3, 0x2f800000, |v2|
	s_delay_alu instid0(VALU_DEP_1) | instskip(NEXT) | instid1(VALU_DEP_1)
	v_floor_f32_e32 v3, v3
	v_fma_f32 v3, 0xcf800000, v3, |v2|
	v_ashrrev_i32_e32 v2, 31, v2
	s_delay_alu instid0(VALU_DEP_2) | instskip(NEXT) | instid1(VALU_DEP_1)
	v_cvt_u32_f32_e32 v3, v3
	v_xor_b32_e32 v3, v3, v2
	s_delay_alu instid0(VALU_DEP_1)
	v_sub_nc_u32_e32 v2, v3, v2
	s_branch .LBB174_1479
.LBB174_1471:
	s_mov_b32 s6, -1
	s_mov_b32 s9, 0
                                        ; implicit-def: $vgpr2
	s_branch .LBB174_1541
.LBB174_1472:
	s_mov_b32 s12, -1
	s_mov_b32 s9, 0
	s_mov_b32 s6, 0
                                        ; implicit-def: $vgpr2
	s_branch .LBB174_1506
.LBB174_1473:
	s_mov_b32 s12, -1
	s_mov_b32 s9, 0
	s_mov_b32 s6, 0
                                        ; implicit-def: $vgpr2
	s_branch .LBB174_1489
.LBB174_1474:
	s_mov_b32 s12, -1
	s_mov_b32 s9, 0
	s_mov_b32 s6, 0
                                        ; implicit-def: $vgpr2
	s_branch .LBB174_1484
.LBB174_1475:
	s_or_b32 s3, s3, exec_lo
	s_trap 2
	s_cbranch_execz .LBB174_1403
	s_branch .LBB174_1404
.LBB174_1476:
	s_mov_b32 s12, -1
	s_mov_b32 s9, 0
	s_mov_b32 s6, 0
	s_branch .LBB174_1478
.LBB174_1477:
	s_mov_b32 s6, -1
	s_mov_b32 s9, 0
.LBB174_1478:
                                        ; implicit-def: $vgpr2
.LBB174_1479:
	s_and_b32 vcc_lo, exec_lo, s12
	s_cbranch_vccz .LBB174_1483
; %bb.1480:
	s_cmp_eq_u32 s0, 44
	s_cbranch_scc0 .LBB174_1482
; %bb.1481:
	global_load_u8 v2, v[0:1], off
	s_mov_b32 s6, 0
	s_mov_b32 s9, -1
	s_wait_loadcnt 0x0
	v_lshlrev_b32_e32 v3, 23, v2
	v_cmp_ne_u32_e32 vcc_lo, 0, v2
	s_delay_alu instid0(VALU_DEP_2) | instskip(NEXT) | instid1(VALU_DEP_1)
	v_trunc_f32_e32 v3, v3
	v_mul_f32_e64 v4, 0x2f800000, |v3|
	s_delay_alu instid0(VALU_DEP_1) | instskip(NEXT) | instid1(VALU_DEP_1)
	v_floor_f32_e32 v4, v4
	v_fma_f32 v4, 0xcf800000, v4, |v3|
	v_ashrrev_i32_e32 v3, 31, v3
	s_delay_alu instid0(VALU_DEP_2) | instskip(NEXT) | instid1(VALU_DEP_1)
	v_cvt_u32_f32_e32 v4, v4
	v_xor_b32_e32 v4, v4, v3
	s_delay_alu instid0(VALU_DEP_1) | instskip(NEXT) | instid1(VALU_DEP_1)
	v_sub_nc_u32_e32 v3, v4, v3
	v_cndmask_b32_e32 v2, 0, v3, vcc_lo
	s_branch .LBB174_1483
.LBB174_1482:
	s_mov_b32 s6, -1
                                        ; implicit-def: $vgpr2
.LBB174_1483:
	s_mov_b32 s12, 0
.LBB174_1484:
	s_delay_alu instid0(SALU_CYCLE_1)
	s_and_b32 vcc_lo, exec_lo, s12
	s_cbranch_vccz .LBB174_1488
; %bb.1485:
	s_cmp_eq_u32 s0, 29
	s_cbranch_scc0 .LBB174_1487
; %bb.1486:
	global_load_b64 v[2:3], v[0:1], off
	s_mov_b32 s6, 0
	s_mov_b32 s9, -1
	s_branch .LBB174_1488
.LBB174_1487:
	s_mov_b32 s6, -1
                                        ; implicit-def: $vgpr2
.LBB174_1488:
	s_mov_b32 s12, 0
.LBB174_1489:
	s_delay_alu instid0(SALU_CYCLE_1)
	s_and_b32 vcc_lo, exec_lo, s12
	s_cbranch_vccz .LBB174_1505
; %bb.1490:
	s_cmp_lt_i32 s0, 27
	s_cbranch_scc1 .LBB174_1493
; %bb.1491:
	s_cmp_gt_i32 s0, 27
	s_cbranch_scc0 .LBB174_1494
; %bb.1492:
	s_wait_loadcnt 0x0
	global_load_b32 v2, v[0:1], off
	s_mov_b32 s9, 0
	s_branch .LBB174_1495
.LBB174_1493:
	s_mov_b32 s9, -1
                                        ; implicit-def: $vgpr2
	s_branch .LBB174_1498
.LBB174_1494:
	s_mov_b32 s9, -1
                                        ; implicit-def: $vgpr2
.LBB174_1495:
	s_delay_alu instid0(SALU_CYCLE_1)
	s_and_not1_b32 vcc_lo, exec_lo, s9
	s_cbranch_vccnz .LBB174_1497
; %bb.1496:
	s_wait_loadcnt 0x0
	global_load_u16 v2, v[0:1], off
.LBB174_1497:
	s_mov_b32 s9, 0
.LBB174_1498:
	s_delay_alu instid0(SALU_CYCLE_1)
	s_and_not1_b32 vcc_lo, exec_lo, s9
	s_cbranch_vccnz .LBB174_1504
; %bb.1499:
	s_wait_loadcnt 0x0
	global_load_u8 v3, v[0:1], off
	s_mov_b32 s12, 0
	s_mov_b32 s9, exec_lo
	s_wait_loadcnt 0x0
	v_cmpx_lt_i16_e32 0x7f, v3
	s_xor_b32 s9, exec_lo, s9
	s_cbranch_execz .LBB174_1516
; %bb.1500:
	v_cmp_ne_u16_e32 vcc_lo, 0x80, v3
	s_and_b32 s12, vcc_lo, exec_lo
	s_and_not1_saveexec_b32 s9, s9
	s_cbranch_execnz .LBB174_1517
.LBB174_1501:
	s_or_b32 exec_lo, exec_lo, s9
	v_mov_b32_e32 v2, 0
	s_and_saveexec_b32 s9, s12
	s_cbranch_execz .LBB174_1503
.LBB174_1502:
	v_and_b32_e32 v2, 0xffff, v3
	s_delay_alu instid0(VALU_DEP_1) | instskip(SKIP_1) | instid1(VALU_DEP_2)
	v_and_b32_e32 v4, 7, v2
	v_bfe_u32 v11, v2, 3, 4
	v_clz_i32_u32_e32 v9, v4
	s_delay_alu instid0(VALU_DEP_2) | instskip(NEXT) | instid1(VALU_DEP_2)
	v_cmp_eq_u32_e32 vcc_lo, 0, v11
	v_min_u32_e32 v9, 32, v9
	s_delay_alu instid0(VALU_DEP_1) | instskip(NEXT) | instid1(VALU_DEP_1)
	v_subrev_nc_u32_e32 v10, 28, v9
	v_dual_lshlrev_b32 v2, v10, v2 :: v_dual_sub_nc_u32 v9, 29, v9
	s_delay_alu instid0(VALU_DEP_1) | instskip(NEXT) | instid1(VALU_DEP_1)
	v_dual_lshlrev_b32 v3, 24, v3 :: v_dual_bitop2_b32 v2, 7, v2 bitop3:0x40
	v_dual_cndmask_b32 v9, v11, v9 :: v_dual_cndmask_b32 v2, v4, v2
	s_delay_alu instid0(VALU_DEP_2) | instskip(NEXT) | instid1(VALU_DEP_2)
	v_and_b32_e32 v3, 0x80000000, v3
	v_lshl_add_u32 v4, v9, 23, 0x3b800000
	s_delay_alu instid0(VALU_DEP_3) | instskip(NEXT) | instid1(VALU_DEP_1)
	v_lshlrev_b32_e32 v2, 20, v2
	v_or3_b32 v2, v3, v4, v2
	s_delay_alu instid0(VALU_DEP_1) | instskip(NEXT) | instid1(VALU_DEP_1)
	v_trunc_f32_e32 v2, v2
	v_mul_f32_e64 v3, 0x2f800000, |v2|
	s_delay_alu instid0(VALU_DEP_1) | instskip(NEXT) | instid1(VALU_DEP_1)
	v_floor_f32_e32 v3, v3
	v_fma_f32 v3, 0xcf800000, v3, |v2|
	v_ashrrev_i32_e32 v2, 31, v2
	s_delay_alu instid0(VALU_DEP_2) | instskip(NEXT) | instid1(VALU_DEP_1)
	v_cvt_u32_f32_e32 v3, v3
	v_xor_b32_e32 v3, v3, v2
	s_delay_alu instid0(VALU_DEP_1)
	v_sub_nc_u32_e32 v2, v3, v2
.LBB174_1503:
	s_or_b32 exec_lo, exec_lo, s9
.LBB174_1504:
	s_mov_b32 s9, -1
.LBB174_1505:
	s_mov_b32 s12, 0
.LBB174_1506:
	s_delay_alu instid0(SALU_CYCLE_1)
	s_and_b32 vcc_lo, exec_lo, s12
	s_cbranch_vccz .LBB174_1537
; %bb.1507:
	s_cmp_gt_i32 s0, 22
	s_cbranch_scc0 .LBB174_1515
; %bb.1508:
	s_cmp_lt_i32 s0, 24
	s_cbranch_scc1 .LBB174_1518
; %bb.1509:
	s_cmp_gt_i32 s0, 24
	s_cbranch_scc0 .LBB174_1519
; %bb.1510:
	s_wait_loadcnt 0x0
	global_load_u8 v3, v[0:1], off
	s_mov_b32 s9, 0
	s_mov_b32 s7, exec_lo
	s_wait_loadcnt 0x0
	v_cmpx_lt_i16_e32 0x7f, v3
	s_xor_b32 s7, exec_lo, s7
	s_cbranch_execz .LBB174_1531
; %bb.1511:
	v_cmp_ne_u16_e32 vcc_lo, 0x80, v3
	s_and_b32 s9, vcc_lo, exec_lo
	s_and_not1_saveexec_b32 s7, s7
	s_cbranch_execnz .LBB174_1532
.LBB174_1512:
	s_or_b32 exec_lo, exec_lo, s7
	v_mov_b32_e32 v2, 0
	s_and_saveexec_b32 s7, s9
	s_cbranch_execz .LBB174_1514
.LBB174_1513:
	v_and_b32_e32 v2, 0xffff, v3
	s_delay_alu instid0(VALU_DEP_1) | instskip(SKIP_1) | instid1(VALU_DEP_2)
	v_and_b32_e32 v4, 3, v2
	v_bfe_u32 v11, v2, 2, 5
	v_clz_i32_u32_e32 v9, v4
	s_delay_alu instid0(VALU_DEP_2) | instskip(NEXT) | instid1(VALU_DEP_2)
	v_cmp_eq_u32_e32 vcc_lo, 0, v11
	v_min_u32_e32 v9, 32, v9
	s_delay_alu instid0(VALU_DEP_1) | instskip(NEXT) | instid1(VALU_DEP_1)
	v_subrev_nc_u32_e32 v10, 29, v9
	v_dual_lshlrev_b32 v2, v10, v2 :: v_dual_sub_nc_u32 v9, 30, v9
	s_delay_alu instid0(VALU_DEP_1) | instskip(NEXT) | instid1(VALU_DEP_1)
	v_dual_lshlrev_b32 v3, 24, v3 :: v_dual_bitop2_b32 v2, 3, v2 bitop3:0x40
	v_dual_cndmask_b32 v9, v11, v9 :: v_dual_cndmask_b32 v2, v4, v2
	s_delay_alu instid0(VALU_DEP_2) | instskip(NEXT) | instid1(VALU_DEP_2)
	v_and_b32_e32 v3, 0x80000000, v3
	v_lshl_add_u32 v4, v9, 23, 0x37800000
	s_delay_alu instid0(VALU_DEP_3) | instskip(NEXT) | instid1(VALU_DEP_1)
	v_lshlrev_b32_e32 v2, 21, v2
	v_or3_b32 v2, v3, v4, v2
	s_delay_alu instid0(VALU_DEP_1) | instskip(NEXT) | instid1(VALU_DEP_1)
	v_trunc_f32_e32 v2, v2
	v_mul_f32_e64 v3, 0x2f800000, |v2|
	s_delay_alu instid0(VALU_DEP_1) | instskip(NEXT) | instid1(VALU_DEP_1)
	v_floor_f32_e32 v3, v3
	v_fma_f32 v3, 0xcf800000, v3, |v2|
	v_ashrrev_i32_e32 v2, 31, v2
	s_delay_alu instid0(VALU_DEP_2) | instskip(NEXT) | instid1(VALU_DEP_1)
	v_cvt_u32_f32_e32 v3, v3
	v_xor_b32_e32 v3, v3, v2
	s_delay_alu instid0(VALU_DEP_1)
	v_sub_nc_u32_e32 v2, v3, v2
.LBB174_1514:
	s_or_b32 exec_lo, exec_lo, s7
	s_mov_b32 s7, 0
	s_branch .LBB174_1520
.LBB174_1515:
	s_mov_b32 s7, -1
                                        ; implicit-def: $vgpr2
	s_branch .LBB174_1526
.LBB174_1516:
	s_and_not1_saveexec_b32 s9, s9
	s_cbranch_execz .LBB174_1501
.LBB174_1517:
	v_cmp_ne_u16_e32 vcc_lo, 0, v3
	s_and_not1_b32 s12, s12, exec_lo
	s_and_b32 s15, vcc_lo, exec_lo
	s_delay_alu instid0(SALU_CYCLE_1)
	s_or_b32 s12, s12, s15
	s_or_b32 exec_lo, exec_lo, s9
	v_mov_b32_e32 v2, 0
	s_and_saveexec_b32 s9, s12
	s_cbranch_execnz .LBB174_1502
	s_branch .LBB174_1503
.LBB174_1518:
	s_mov_b32 s7, -1
                                        ; implicit-def: $vgpr2
	s_branch .LBB174_1523
.LBB174_1519:
	s_mov_b32 s7, -1
                                        ; implicit-def: $vgpr2
.LBB174_1520:
	s_delay_alu instid0(SALU_CYCLE_1)
	s_and_b32 vcc_lo, exec_lo, s7
	s_cbranch_vccz .LBB174_1522
; %bb.1521:
	s_wait_loadcnt 0x0
	global_load_u8 v2, v[0:1], off
	s_wait_loadcnt 0x0
	v_lshlrev_b32_e32 v2, 24, v2
	s_delay_alu instid0(VALU_DEP_1) | instskip(NEXT) | instid1(VALU_DEP_1)
	v_and_b32_e32 v3, 0x7f000000, v2
	v_clz_i32_u32_e32 v4, v3
	v_cmp_ne_u32_e32 vcc_lo, 0, v3
	v_add_nc_u32_e32 v10, 0x1000000, v3
	s_delay_alu instid0(VALU_DEP_3) | instskip(NEXT) | instid1(VALU_DEP_1)
	v_min_u32_e32 v4, 32, v4
	v_sub_nc_u32_e64 v4, v4, 4 clamp
	s_delay_alu instid0(VALU_DEP_1) | instskip(NEXT) | instid1(VALU_DEP_1)
	v_dual_lshlrev_b32 v9, v4, v3 :: v_dual_lshlrev_b32 v4, 23, v4
	v_lshrrev_b32_e32 v9, 4, v9
	s_delay_alu instid0(VALU_DEP_1) | instskip(NEXT) | instid1(VALU_DEP_1)
	v_dual_sub_nc_u32 v4, v9, v4 :: v_dual_ashrrev_i32 v9, 8, v10
	v_add_nc_u32_e32 v4, 0x3c000000, v4
	s_delay_alu instid0(VALU_DEP_1) | instskip(NEXT) | instid1(VALU_DEP_1)
	v_and_or_b32 v4, 0x7f800000, v9, v4
	v_cndmask_b32_e32 v3, 0, v4, vcc_lo
	s_delay_alu instid0(VALU_DEP_1) | instskip(NEXT) | instid1(VALU_DEP_1)
	v_and_or_b32 v2, 0x80000000, v2, v3
	v_trunc_f32_e32 v2, v2
	s_delay_alu instid0(VALU_DEP_1) | instskip(NEXT) | instid1(VALU_DEP_1)
	v_mul_f32_e64 v3, 0x2f800000, |v2|
	v_floor_f32_e32 v3, v3
	s_delay_alu instid0(VALU_DEP_1) | instskip(SKIP_1) | instid1(VALU_DEP_2)
	v_fma_f32 v3, 0xcf800000, v3, |v2|
	v_ashrrev_i32_e32 v2, 31, v2
	v_cvt_u32_f32_e32 v3, v3
	s_delay_alu instid0(VALU_DEP_1) | instskip(NEXT) | instid1(VALU_DEP_1)
	v_xor_b32_e32 v3, v3, v2
	v_sub_nc_u32_e32 v2, v3, v2
.LBB174_1522:
	s_mov_b32 s7, 0
.LBB174_1523:
	s_delay_alu instid0(SALU_CYCLE_1)
	s_and_not1_b32 vcc_lo, exec_lo, s7
	s_cbranch_vccnz .LBB174_1525
; %bb.1524:
	s_wait_loadcnt 0x0
	global_load_u8 v2, v[0:1], off
	s_wait_loadcnt 0x0
	v_lshlrev_b32_e32 v3, 25, v2
	v_lshlrev_b16 v2, 8, v2
	s_delay_alu instid0(VALU_DEP_1) | instskip(SKIP_1) | instid1(VALU_DEP_2)
	v_and_or_b32 v9, 0x7f00, v2, 0.5
	v_bfe_i32 v2, v2, 0, 16
	v_dual_add_f32 v9, -0.5, v9 :: v_dual_lshrrev_b32 v4, 4, v3
	v_cmp_gt_u32_e32 vcc_lo, 0x8000000, v3
	s_delay_alu instid0(VALU_DEP_2) | instskip(NEXT) | instid1(VALU_DEP_1)
	v_or_b32_e32 v4, 0x70000000, v4
	v_mul_f32_e32 v4, 0x7800000, v4
	s_delay_alu instid0(VALU_DEP_1) | instskip(NEXT) | instid1(VALU_DEP_1)
	v_cndmask_b32_e32 v3, v4, v9, vcc_lo
	v_and_or_b32 v2, 0x80000000, v2, v3
	s_delay_alu instid0(VALU_DEP_1) | instskip(NEXT) | instid1(VALU_DEP_1)
	v_trunc_f32_e32 v2, v2
	v_mul_f32_e64 v3, 0x2f800000, |v2|
	s_delay_alu instid0(VALU_DEP_1) | instskip(NEXT) | instid1(VALU_DEP_1)
	v_floor_f32_e32 v3, v3
	v_fma_f32 v3, 0xcf800000, v3, |v2|
	v_ashrrev_i32_e32 v2, 31, v2
	s_delay_alu instid0(VALU_DEP_2) | instskip(NEXT) | instid1(VALU_DEP_1)
	v_cvt_u32_f32_e32 v3, v3
	v_xor_b32_e32 v3, v3, v2
	s_delay_alu instid0(VALU_DEP_1)
	v_sub_nc_u32_e32 v2, v3, v2
.LBB174_1525:
	s_mov_b32 s7, 0
	s_mov_b32 s9, -1
.LBB174_1526:
	s_and_not1_b32 vcc_lo, exec_lo, s7
	s_mov_b32 s7, 0
	s_cbranch_vccnz .LBB174_1537
; %bb.1527:
	s_cmp_gt_i32 s0, 14
	s_cbranch_scc0 .LBB174_1530
; %bb.1528:
	s_cmp_eq_u32 s0, 15
	s_cbranch_scc0 .LBB174_1533
; %bb.1529:
	s_wait_loadcnt 0x0
	global_load_u16 v2, v[0:1], off
	s_mov_b32 s6, 0
	s_mov_b32 s9, -1
	s_wait_loadcnt 0x0
	v_lshlrev_b32_e32 v2, 16, v2
	s_delay_alu instid0(VALU_DEP_1) | instskip(NEXT) | instid1(VALU_DEP_1)
	v_trunc_f32_e32 v2, v2
	v_mul_f32_e64 v3, 0x2f800000, |v2|
	s_delay_alu instid0(VALU_DEP_1) | instskip(NEXT) | instid1(VALU_DEP_1)
	v_floor_f32_e32 v3, v3
	v_fma_f32 v3, 0xcf800000, v3, |v2|
	v_ashrrev_i32_e32 v2, 31, v2
	s_delay_alu instid0(VALU_DEP_2) | instskip(NEXT) | instid1(VALU_DEP_1)
	v_cvt_u32_f32_e32 v3, v3
	v_xor_b32_e32 v3, v3, v2
	s_delay_alu instid0(VALU_DEP_1)
	v_sub_nc_u32_e32 v2, v3, v2
	s_branch .LBB174_1535
.LBB174_1530:
	s_mov_b32 s7, -1
	s_branch .LBB174_1534
.LBB174_1531:
	s_and_not1_saveexec_b32 s7, s7
	s_cbranch_execz .LBB174_1512
.LBB174_1532:
	v_cmp_ne_u16_e32 vcc_lo, 0, v3
	s_and_not1_b32 s9, s9, exec_lo
	s_and_b32 s12, vcc_lo, exec_lo
	s_delay_alu instid0(SALU_CYCLE_1)
	s_or_b32 s9, s9, s12
	s_or_b32 exec_lo, exec_lo, s7
	v_mov_b32_e32 v2, 0
	s_and_saveexec_b32 s7, s9
	s_cbranch_execnz .LBB174_1513
	s_branch .LBB174_1514
.LBB174_1533:
	s_mov_b32 s6, -1
.LBB174_1534:
                                        ; implicit-def: $vgpr2
.LBB174_1535:
	s_and_b32 vcc_lo, exec_lo, s7
	s_mov_b32 s7, 0
	s_cbranch_vccz .LBB174_1537
; %bb.1536:
	s_cmp_lg_u32 s0, 11
	s_mov_b32 s7, -1
	s_cselect_b32 s6, -1, 0
.LBB174_1537:
	s_delay_alu instid0(SALU_CYCLE_1)
	s_and_b32 vcc_lo, exec_lo, s6
	s_cbranch_vccnz .LBB174_2083
; %bb.1538:
	s_and_not1_b32 vcc_lo, exec_lo, s7
	s_cbranch_vccnz .LBB174_1540
.LBB174_1539:
	s_wait_loadcnt 0x0
	global_load_u8 v2, v[0:1], off
	s_mov_b32 s9, -1
	s_wait_loadcnt 0x0
	v_cmp_ne_u16_e32 vcc_lo, 0, v2
	v_cndmask_b32_e64 v2, 0, 1, vcc_lo
.LBB174_1540:
	s_mov_b32 s6, 0
.LBB174_1541:
	s_delay_alu instid0(SALU_CYCLE_1)
	s_and_b32 vcc_lo, exec_lo, s6
	s_cbranch_vccz .LBB174_1590
; %bb.1542:
	s_cmp_lt_i32 s0, 5
	s_cbranch_scc1 .LBB174_1547
; %bb.1543:
	s_cmp_lt_i32 s0, 8
	s_cbranch_scc1 .LBB174_1548
	;; [unrolled: 3-line block ×3, first 2 shown]
; %bb.1545:
	s_cmp_gt_i32 s0, 9
	s_cbranch_scc0 .LBB174_1550
; %bb.1546:
	s_wait_loadcnt 0x0
	global_load_b64 v[2:3], v[0:1], off
	s_mov_b32 s6, 0
	s_wait_loadcnt 0x0
	v_trunc_f64_e32 v[2:3], v[2:3]
	s_delay_alu instid0(VALU_DEP_1) | instskip(NEXT) | instid1(VALU_DEP_1)
	v_ldexp_f64 v[10:11], v[2:3], 0xffffffe0
	v_floor_f64_e32 v[10:11], v[10:11]
	s_delay_alu instid0(VALU_DEP_1) | instskip(NEXT) | instid1(VALU_DEP_1)
	v_fmamk_f64 v[2:3], v[10:11], 0xc1f00000, v[2:3]
	v_cvt_u32_f64_e32 v2, v[2:3]
	s_branch .LBB174_1551
.LBB174_1547:
	s_mov_b32 s6, -1
                                        ; implicit-def: $vgpr2
	s_branch .LBB174_1569
.LBB174_1548:
	s_mov_b32 s6, -1
                                        ; implicit-def: $vgpr2
	s_branch .LBB174_1557
.LBB174_1549:
	s_mov_b32 s6, -1
                                        ; implicit-def: $vgpr2
	s_branch .LBB174_1554
.LBB174_1550:
	s_mov_b32 s6, -1
                                        ; implicit-def: $vgpr2
.LBB174_1551:
	s_delay_alu instid0(SALU_CYCLE_1)
	s_and_not1_b32 vcc_lo, exec_lo, s6
	s_cbranch_vccnz .LBB174_1553
; %bb.1552:
	s_wait_loadcnt 0x0
	global_load_b32 v2, v[0:1], off
	s_wait_loadcnt 0x0
	v_trunc_f32_e32 v2, v2
	s_delay_alu instid0(VALU_DEP_1) | instskip(NEXT) | instid1(VALU_DEP_1)
	v_mul_f32_e64 v3, 0x2f800000, |v2|
	v_floor_f32_e32 v3, v3
	s_delay_alu instid0(VALU_DEP_1) | instskip(SKIP_1) | instid1(VALU_DEP_2)
	v_fma_f32 v3, 0xcf800000, v3, |v2|
	v_ashrrev_i32_e32 v2, 31, v2
	v_cvt_u32_f32_e32 v3, v3
	s_delay_alu instid0(VALU_DEP_1) | instskip(NEXT) | instid1(VALU_DEP_1)
	v_xor_b32_e32 v3, v3, v2
	v_sub_nc_u32_e32 v2, v3, v2
.LBB174_1553:
	s_mov_b32 s6, 0
.LBB174_1554:
	s_delay_alu instid0(SALU_CYCLE_1)
	s_and_not1_b32 vcc_lo, exec_lo, s6
	s_cbranch_vccnz .LBB174_1556
; %bb.1555:
	s_wait_loadcnt 0x0
	global_load_b32 v2, v[0:1], off
	s_wait_loadcnt 0x0
	v_cvt_f32_f16_e32 v2, v2
	s_delay_alu instid0(VALU_DEP_1)
	v_cvt_i32_f32_e32 v2, v2
.LBB174_1556:
	s_mov_b32 s6, 0
.LBB174_1557:
	s_delay_alu instid0(SALU_CYCLE_1)
	s_and_not1_b32 vcc_lo, exec_lo, s6
	s_cbranch_vccnz .LBB174_1568
; %bb.1558:
	s_cmp_lt_i32 s0, 6
	s_cbranch_scc1 .LBB174_1561
; %bb.1559:
	s_cmp_gt_i32 s0, 6
	s_cbranch_scc0 .LBB174_1562
; %bb.1560:
	s_wait_loadcnt 0x0
	global_load_b64 v[2:3], v[0:1], off
	s_mov_b32 s6, 0
	s_wait_loadcnt 0x0
	v_trunc_f64_e32 v[2:3], v[2:3]
	s_delay_alu instid0(VALU_DEP_1) | instskip(NEXT) | instid1(VALU_DEP_1)
	v_ldexp_f64 v[10:11], v[2:3], 0xffffffe0
	v_floor_f64_e32 v[10:11], v[10:11]
	s_delay_alu instid0(VALU_DEP_1) | instskip(NEXT) | instid1(VALU_DEP_1)
	v_fmamk_f64 v[2:3], v[10:11], 0xc1f00000, v[2:3]
	v_cvt_u32_f64_e32 v2, v[2:3]
	s_branch .LBB174_1563
.LBB174_1561:
	s_mov_b32 s6, -1
                                        ; implicit-def: $vgpr2
	s_branch .LBB174_1566
.LBB174_1562:
	s_mov_b32 s6, -1
                                        ; implicit-def: $vgpr2
.LBB174_1563:
	s_delay_alu instid0(SALU_CYCLE_1)
	s_and_not1_b32 vcc_lo, exec_lo, s6
	s_cbranch_vccnz .LBB174_1565
; %bb.1564:
	s_wait_loadcnt 0x0
	global_load_b32 v2, v[0:1], off
	s_wait_loadcnt 0x0
	v_trunc_f32_e32 v2, v2
	s_delay_alu instid0(VALU_DEP_1) | instskip(NEXT) | instid1(VALU_DEP_1)
	v_mul_f32_e64 v3, 0x2f800000, |v2|
	v_floor_f32_e32 v3, v3
	s_delay_alu instid0(VALU_DEP_1) | instskip(SKIP_1) | instid1(VALU_DEP_2)
	v_fma_f32 v3, 0xcf800000, v3, |v2|
	v_ashrrev_i32_e32 v2, 31, v2
	v_cvt_u32_f32_e32 v3, v3
	s_delay_alu instid0(VALU_DEP_1) | instskip(NEXT) | instid1(VALU_DEP_1)
	v_xor_b32_e32 v3, v3, v2
	v_sub_nc_u32_e32 v2, v3, v2
.LBB174_1565:
	s_mov_b32 s6, 0
.LBB174_1566:
	s_delay_alu instid0(SALU_CYCLE_1)
	s_and_not1_b32 vcc_lo, exec_lo, s6
	s_cbranch_vccnz .LBB174_1568
; %bb.1567:
	s_wait_loadcnt 0x0
	global_load_u16 v2, v[0:1], off
	s_wait_loadcnt 0x0
	v_cvt_f32_f16_e32 v2, v2
	s_delay_alu instid0(VALU_DEP_1)
	v_cvt_i32_f32_e32 v2, v2
.LBB174_1568:
	s_mov_b32 s6, 0
.LBB174_1569:
	s_delay_alu instid0(SALU_CYCLE_1)
	s_and_not1_b32 vcc_lo, exec_lo, s6
	s_cbranch_vccnz .LBB174_1589
; %bb.1570:
	s_cmp_lt_i32 s0, 2
	s_cbranch_scc1 .LBB174_1574
; %bb.1571:
	s_cmp_lt_i32 s0, 3
	s_cbranch_scc1 .LBB174_1575
; %bb.1572:
	s_cmp_gt_i32 s0, 3
	s_cbranch_scc0 .LBB174_1576
; %bb.1573:
	s_wait_loadcnt 0x0
	global_load_b64 v[2:3], v[0:1], off
	s_mov_b32 s6, 0
	s_branch .LBB174_1577
.LBB174_1574:
	s_mov_b32 s6, -1
                                        ; implicit-def: $vgpr2
	s_branch .LBB174_1583
.LBB174_1575:
	s_mov_b32 s6, -1
                                        ; implicit-def: $vgpr2
	s_branch .LBB174_1580
.LBB174_1576:
	s_mov_b32 s6, -1
                                        ; implicit-def: $vgpr2
.LBB174_1577:
	s_delay_alu instid0(SALU_CYCLE_1)
	s_and_not1_b32 vcc_lo, exec_lo, s6
	s_cbranch_vccnz .LBB174_1579
; %bb.1578:
	s_wait_loadcnt 0x0
	global_load_b32 v2, v[0:1], off
.LBB174_1579:
	s_mov_b32 s6, 0
.LBB174_1580:
	s_delay_alu instid0(SALU_CYCLE_1)
	s_and_not1_b32 vcc_lo, exec_lo, s6
	s_cbranch_vccnz .LBB174_1582
; %bb.1581:
	s_wait_loadcnt 0x0
	global_load_u16 v2, v[0:1], off
.LBB174_1582:
	s_mov_b32 s6, 0
.LBB174_1583:
	s_delay_alu instid0(SALU_CYCLE_1)
	s_and_not1_b32 vcc_lo, exec_lo, s6
	s_cbranch_vccnz .LBB174_1589
; %bb.1584:
	s_cmp_gt_i32 s0, 0
	s_mov_b32 s0, 0
	s_cbranch_scc0 .LBB174_1586
; %bb.1585:
	s_wait_loadcnt 0x0
	global_load_u8 v2, v[0:1], off
	s_branch .LBB174_1587
.LBB174_1586:
	s_mov_b32 s0, -1
                                        ; implicit-def: $vgpr2
.LBB174_1587:
	s_delay_alu instid0(SALU_CYCLE_1)
	s_and_not1_b32 vcc_lo, exec_lo, s0
	s_cbranch_vccnz .LBB174_1589
; %bb.1588:
	s_wait_loadcnt 0x0
	global_load_u8 v2, v[0:1], off
.LBB174_1589:
	s_mov_b32 s9, -1
.LBB174_1590:
	s_delay_alu instid0(SALU_CYCLE_1)
	s_and_not1_b32 vcc_lo, exec_lo, s9
	s_cbranch_vccnz .LBB174_1594
; %bb.1591:
	s_cmp_lt_i32 s10, 1
	s_mov_b32 s0, 0
	s_cbranch_scc1 .LBB174_1639
; %bb.1592:
	s_cmp_eq_u32 s10, 1
	s_cbranch_scc0 .LBB174_1640
; %bb.1593:
	s_wait_loadcnt 0x0
	s_delay_alu instid0(VALU_DEP_1)
	v_and_b32_e32 v0, 0xff, v2
	s_and_b32 s6, s11, 0xff
	s_delay_alu instid0(VALU_DEP_1) | instid1(SALU_CYCLE_1)
	v_min_u16 v4, v0, s6
	s_mov_b32 s6, 0
	s_branch .LBB174_1641
.LBB174_1594:
	s_mov_b32 s0, 0
	s_mov_b32 s2, 0
                                        ; implicit-def: $sgpr15
                                        ; implicit-def: $vgpr0_vgpr1
                                        ; implicit-def: $vgpr4
.LBB174_1595:
	s_and_not1_b32 s1, s14, exec_lo
	s_and_b32 s4, s3, exec_lo
	s_and_b32 s0, s0, exec_lo
	;; [unrolled: 1-line block ×3, first 2 shown]
	s_or_b32 s14, s1, s4
.LBB174_1596:
	s_wait_xcnt 0x0
	s_or_b32 exec_lo, exec_lo, s13
	s_and_saveexec_b32 s1, s14
	s_cbranch_execz .LBB174_1599
; %bb.1597:
	; divergent unreachable
	s_or_b32 exec_lo, exec_lo, s1
	s_and_saveexec_b32 s1, s3
	s_delay_alu instid0(SALU_CYCLE_1)
	s_xor_b32 s1, exec_lo, s1
	s_cbranch_execnz .LBB174_1600
.LBB174_1598:
	s_or_b32 exec_lo, exec_lo, s1
	s_and_saveexec_b32 s1, s0
	s_cbranch_execnz .LBB174_1601
	s_branch .LBB174_1638
.LBB174_1599:
	s_or_b32 exec_lo, exec_lo, s1
	s_and_saveexec_b32 s1, s3
	s_delay_alu instid0(SALU_CYCLE_1)
	s_xor_b32 s1, exec_lo, s1
	s_cbranch_execz .LBB174_1598
.LBB174_1600:
	s_wait_loadcnt 0x0
	v_and_b32_e32 v2, 0xff, v4
	s_delay_alu instid0(VALU_DEP_1)
	v_cmp_ne_u16_e32 vcc_lo, 0, v2
	v_cndmask_b32_e64 v2, 0, 1, vcc_lo
	global_store_b8 v[0:1], v2, off
	s_wait_xcnt 0x0
	s_or_b32 exec_lo, exec_lo, s1
	s_and_saveexec_b32 s1, s0
	s_cbranch_execz .LBB174_1638
.LBB174_1601:
	s_sext_i32_i16 s1, s15
	s_mov_b32 s0, -1
	s_cmp_lt_i32 s1, 5
	s_cbranch_scc1 .LBB174_1622
; %bb.1602:
	s_cmp_lt_i32 s1, 8
	s_cbranch_scc1 .LBB174_1612
; %bb.1603:
	;; [unrolled: 3-line block ×3, first 2 shown]
	s_cmp_gt_i32 s1, 9
	s_cbranch_scc0 .LBB174_1606
; %bb.1605:
	s_wait_loadcnt 0x0
	v_and_b32_e32 v2, 0xff, v4
	v_mov_b32_e32 v8, 0
	s_mov_b32 s0, 0
	s_delay_alu instid0(VALU_DEP_2) | instskip(NEXT) | instid1(VALU_DEP_2)
	v_and_b32_e32 v2, 0xffff, v2
	v_mov_b32_e32 v9, v8
	s_delay_alu instid0(VALU_DEP_2)
	v_cvt_f64_u32_e32 v[6:7], v2
	global_store_b128 v[0:1], v[6:9], off
.LBB174_1606:
	s_and_not1_b32 vcc_lo, exec_lo, s0
	s_cbranch_vccnz .LBB174_1608
; %bb.1607:
	s_wait_loadcnt 0x0
	v_cvt_f32_ubyte0_e32 v2, v4
	v_mov_b32_e32 v3, 0
	global_store_b64 v[0:1], v[2:3], off
.LBB174_1608:
	s_mov_b32 s0, 0
.LBB174_1609:
	s_delay_alu instid0(SALU_CYCLE_1)
	s_and_not1_b32 vcc_lo, exec_lo, s0
	s_cbranch_vccnz .LBB174_1611
; %bb.1610:
	s_wait_loadcnt 0x0
	v_and_b32_e32 v2, 0xff, v4
	s_delay_alu instid0(VALU_DEP_1) | instskip(NEXT) | instid1(VALU_DEP_1)
	v_cvt_f16_u16_e32 v2, v2
	v_and_b32_e32 v2, 0xffff, v2
	global_store_b32 v[0:1], v2, off
.LBB174_1611:
	s_mov_b32 s0, 0
.LBB174_1612:
	s_delay_alu instid0(SALU_CYCLE_1)
	s_and_not1_b32 vcc_lo, exec_lo, s0
	s_cbranch_vccnz .LBB174_1621
; %bb.1613:
	s_sext_i32_i16 s1, s15
	s_mov_b32 s0, -1
	s_cmp_lt_i32 s1, 6
	s_cbranch_scc1 .LBB174_1619
; %bb.1614:
	s_cmp_gt_i32 s1, 6
	s_cbranch_scc0 .LBB174_1616
; %bb.1615:
	s_wait_loadcnt 0x0
	v_and_b32_e32 v2, 0xff, v4
	s_mov_b32 s0, 0
	s_delay_alu instid0(VALU_DEP_1) | instskip(NEXT) | instid1(VALU_DEP_1)
	v_and_b32_e32 v2, 0xffff, v2
	v_cvt_f64_u32_e32 v[2:3], v2
	global_store_b64 v[0:1], v[2:3], off
.LBB174_1616:
	s_and_not1_b32 vcc_lo, exec_lo, s0
	s_cbranch_vccnz .LBB174_1618
; %bb.1617:
	s_wait_loadcnt 0x0
	v_cvt_f32_ubyte0_e32 v2, v4
	global_store_b32 v[0:1], v2, off
.LBB174_1618:
	s_mov_b32 s0, 0
.LBB174_1619:
	s_delay_alu instid0(SALU_CYCLE_1)
	s_and_not1_b32 vcc_lo, exec_lo, s0
	s_cbranch_vccnz .LBB174_1621
; %bb.1620:
	s_wait_loadcnt 0x0
	v_and_b32_e32 v2, 0xff, v4
	s_delay_alu instid0(VALU_DEP_1)
	v_cvt_f16_u16_e32 v2, v2
	global_store_b16 v[0:1], v2, off
.LBB174_1621:
	s_mov_b32 s0, 0
.LBB174_1622:
	s_delay_alu instid0(SALU_CYCLE_1)
	s_and_not1_b32 vcc_lo, exec_lo, s0
	s_cbranch_vccnz .LBB174_1638
; %bb.1623:
	s_sext_i32_i16 s1, s15
	s_mov_b32 s0, -1
	s_cmp_lt_i32 s1, 2
	s_cbranch_scc1 .LBB174_1633
; %bb.1624:
	s_cmp_lt_i32 s1, 3
	s_cbranch_scc1 .LBB174_1630
; %bb.1625:
	s_cmp_gt_i32 s1, 3
	s_cbranch_scc0 .LBB174_1627
; %bb.1626:
	s_wait_loadcnt 0x0
	v_and_b32_e32 v2, 0xff, v4
	v_mov_b32_e32 v3, 0
	s_mov_b32 s0, 0
	global_store_b64 v[0:1], v[2:3], off
.LBB174_1627:
	s_and_not1_b32 vcc_lo, exec_lo, s0
	s_cbranch_vccnz .LBB174_1629
; %bb.1628:
	s_wait_loadcnt 0x0
	v_and_b32_e32 v2, 0xff, v4
	global_store_b32 v[0:1], v2, off
.LBB174_1629:
	s_mov_b32 s0, 0
.LBB174_1630:
	s_delay_alu instid0(SALU_CYCLE_1)
	s_and_not1_b32 vcc_lo, exec_lo, s0
	s_cbranch_vccnz .LBB174_1632
; %bb.1631:
	s_wait_loadcnt 0x0
	v_and_b32_e32 v2, 0xff, v4
	global_store_b16 v[0:1], v2, off
.LBB174_1632:
	s_mov_b32 s0, 0
.LBB174_1633:
	s_delay_alu instid0(SALU_CYCLE_1)
	s_and_not1_b32 vcc_lo, exec_lo, s0
	s_cbranch_vccnz .LBB174_1638
; %bb.1634:
	s_sext_i32_i16 s0, s15
	s_delay_alu instid0(SALU_CYCLE_1)
	s_cmp_gt_i32 s0, 0
	s_mov_b32 s0, -1
	s_cbranch_scc0 .LBB174_1636
; %bb.1635:
	s_mov_b32 s0, 0
	s_wait_loadcnt 0x0
	global_store_b8 v[0:1], v4, off
.LBB174_1636:
	s_and_not1_b32 vcc_lo, exec_lo, s0
	s_cbranch_vccnz .LBB174_1638
; %bb.1637:
	s_wait_loadcnt 0x0
	global_store_b8 v[0:1], v4, off
	s_endpgm
.LBB174_1638:
	s_endpgm
.LBB174_1639:
	s_mov_b32 s7, -1
	s_mov_b32 s6, 0
                                        ; implicit-def: $vgpr4
	s_branch .LBB174_1642
.LBB174_1640:
	s_mov_b32 s6, -1
                                        ; implicit-def: $vgpr4
.LBB174_1641:
	s_mov_b32 s7, 0
.LBB174_1642:
	s_delay_alu instid0(SALU_CYCLE_1)
	s_and_b32 vcc_lo, exec_lo, s7
	s_cbranch_vccz .LBB174_1724
; %bb.1643:
	s_cmp_lg_u32 s10, 0
	s_mov_b32 s0, -1
	s_cselect_b32 s6, -1, 0
	s_wait_loadcnt 0x0
	s_delay_alu instid0(VALU_DEP_1)
	v_and_b32_e32 v0, 0xff, v2
	s_and_not1_b32 vcc_lo, exec_lo, s6
	s_cbranch_vccz .LBB174_1725
.LBB174_1644:
	s_and_not1_b32 vcc_lo, exec_lo, s0
	s_cbranch_vccnz .LBB174_1646
.LBB174_1645:
	s_and_b32 s0, s11, 0xff
	s_delay_alu instid0(SALU_CYCLE_1)
	v_max_u16 v4, v0, s0
.LBB174_1646:
	v_mul_lo_u32 v0, s8, v6
	s_and_b32 s15, s2, 0xff
	s_delay_alu instid0(SALU_CYCLE_1) | instskip(NEXT) | instid1(VALU_DEP_1)
	s_cmp_lt_i32 s15, 11
	v_ashrrev_i32_e32 v1, 31, v0
	s_delay_alu instid0(VALU_DEP_1)
	v_add_nc_u64_e32 v[2:3], s[4:5], v[0:1]
	s_cbranch_scc1 .LBB174_1726
; %bb.1647:
	s_and_b32 s1, 0xffff, s15
	s_mov_b32 s7, -1
	s_mov_b32 s2, 0
	s_cmp_gt_i32 s1, 25
	s_mov_b32 s6, 0
	s_mov_b32 s0, 0
	s_cbranch_scc0 .LBB174_1680
; %bb.1648:
	s_cmp_gt_i32 s1, 28
	s_cbranch_scc0 .LBB174_1663
; %bb.1649:
	s_cmp_gt_i32 s1, 43
	;; [unrolled: 3-line block ×3, first 2 shown]
	s_cbranch_scc0 .LBB174_1653
; %bb.1651:
	s_mov_b32 s0, -1
	s_mov_b32 s7, 0
	s_cmp_eq_u32 s1, 46
	s_cbranch_scc0 .LBB174_1653
; %bb.1652:
	v_cvt_f32_ubyte0_e32 v1, v7
	s_mov_b32 s0, 0
	s_mov_b32 s6, -1
	s_delay_alu instid0(VALU_DEP_1) | instskip(NEXT) | instid1(VALU_DEP_1)
	v_bfe_u32 v6, v1, 16, 1
	v_add3_u32 v1, v1, v6, 0x7fff
	s_delay_alu instid0(VALU_DEP_1)
	v_lshrrev_b32_e32 v1, 16, v1
	global_store_b32 v[2:3], v1, off
.LBB174_1653:
	s_and_b32 vcc_lo, exec_lo, s7
	s_cbranch_vccz .LBB174_1658
; %bb.1654:
	s_cmp_eq_u32 s1, 44
	s_mov_b32 s0, -1
	s_cbranch_scc0 .LBB174_1658
; %bb.1655:
	v_cvt_f32_ubyte0_e32 v9, v7
	s_mov_b32 s6, exec_lo
	s_wait_xcnt 0x0
	s_delay_alu instid0(VALU_DEP_1) | instskip(NEXT) | instid1(VALU_DEP_1)
	v_dual_mov_b32 v6, 0xff :: v_dual_lshrrev_b32 v1, 23, v9
	v_cmpx_ne_u32_e32 0xff, v1
; %bb.1656:
	v_and_b32_e32 v6, 0x400000, v9
	v_and_or_b32 v9, 0x3fffff, v9, v1
	s_delay_alu instid0(VALU_DEP_2) | instskip(NEXT) | instid1(VALU_DEP_2)
	v_cmp_ne_u32_e32 vcc_lo, 0, v6
	v_cmp_ne_u32_e64 s0, 0, v9
	s_and_b32 s0, vcc_lo, s0
	s_delay_alu instid0(SALU_CYCLE_1) | instskip(NEXT) | instid1(VALU_DEP_1)
	v_cndmask_b32_e64 v6, 0, 1, s0
	v_add_nc_u32_e32 v6, v1, v6
; %bb.1657:
	s_or_b32 exec_lo, exec_lo, s6
	s_mov_b32 s0, 0
	s_mov_b32 s6, -1
	global_store_b8 v[2:3], v6, off
.LBB174_1658:
	s_mov_b32 s7, 0
.LBB174_1659:
	s_delay_alu instid0(SALU_CYCLE_1)
	s_and_b32 vcc_lo, exec_lo, s7
	s_cbranch_vccz .LBB174_1662
; %bb.1660:
	s_cmp_eq_u32 s1, 29
	s_mov_b32 s0, -1
	s_cbranch_scc0 .LBB174_1662
; %bb.1661:
	v_and_b32_e32 v10, 0xff, v7
	v_mov_b32_e32 v11, 0
	s_mov_b32 s0, 0
	s_mov_b32 s6, -1
	global_store_b64 v[2:3], v[10:11], off
.LBB174_1662:
	s_mov_b32 s7, 0
.LBB174_1663:
	s_delay_alu instid0(SALU_CYCLE_1)
	s_and_b32 vcc_lo, exec_lo, s7
	s_cbranch_vccz .LBB174_1679
; %bb.1664:
	s_cmp_lt_i32 s1, 27
	s_mov_b32 s6, -1
	s_cbranch_scc1 .LBB174_1670
; %bb.1665:
	s_cmp_gt_i32 s1, 27
	s_cbranch_scc0 .LBB174_1667
; %bb.1666:
	s_wait_xcnt 0x0
	v_and_b32_e32 v1, 0xff, v7
	s_mov_b32 s6, 0
	global_store_b32 v[2:3], v1, off
.LBB174_1667:
	s_and_not1_b32 vcc_lo, exec_lo, s6
	s_cbranch_vccnz .LBB174_1669
; %bb.1668:
	s_wait_xcnt 0x0
	v_and_b32_e32 v1, 0xff, v7
	global_store_b16 v[2:3], v1, off
.LBB174_1669:
	s_mov_b32 s6, 0
.LBB174_1670:
	s_delay_alu instid0(SALU_CYCLE_1)
	s_and_not1_b32 vcc_lo, exec_lo, s6
	s_cbranch_vccnz .LBB174_1678
; %bb.1671:
	s_wait_xcnt 0x0
	v_cvt_f32_ubyte0_e32 v6, v7
	v_mov_b32_e32 v9, 0x80
	s_mov_b32 s6, exec_lo
	s_delay_alu instid0(VALU_DEP_2)
	v_cmpx_gt_u32_e32 0x43800000, v6
	s_cbranch_execz .LBB174_1677
; %bb.1672:
	s_mov_b32 s7, 0
	s_mov_b32 s9, exec_lo
                                        ; implicit-def: $vgpr1
	v_cmpx_lt_u32_e32 0x3bffffff, v6
	s_xor_b32 s9, exec_lo, s9
	s_cbranch_execz .LBB174_2084
; %bb.1673:
	v_bfe_u32 v1, v6, 20, 1
	s_mov_b32 s7, exec_lo
	s_delay_alu instid0(VALU_DEP_1) | instskip(NEXT) | instid1(VALU_DEP_1)
	v_add3_u32 v1, v6, v1, 0x487ffff
                                        ; implicit-def: $vgpr6
	v_lshrrev_b32_e32 v1, 20, v1
	s_and_not1_saveexec_b32 s9, s9
	s_cbranch_execnz .LBB174_2085
.LBB174_1674:
	s_or_b32 exec_lo, exec_lo, s9
	v_mov_b32_e32 v9, 0
	s_and_saveexec_b32 s9, s7
.LBB174_1675:
	v_mov_b32_e32 v9, v1
.LBB174_1676:
	s_or_b32 exec_lo, exec_lo, s9
.LBB174_1677:
	s_delay_alu instid0(SALU_CYCLE_1)
	s_or_b32 exec_lo, exec_lo, s6
	global_store_b8 v[2:3], v9, off
.LBB174_1678:
	s_mov_b32 s6, -1
.LBB174_1679:
	s_mov_b32 s7, 0
.LBB174_1680:
	s_delay_alu instid0(SALU_CYCLE_1)
	s_and_b32 vcc_lo, exec_lo, s7
	s_cbranch_vccz .LBB174_1720
; %bb.1681:
	s_cmp_gt_i32 s1, 22
	s_mov_b32 s2, -1
	s_cbranch_scc0 .LBB174_1713
; %bb.1682:
	s_cmp_lt_i32 s1, 24
	s_cbranch_scc1 .LBB174_1702
; %bb.1683:
	s_cmp_gt_i32 s1, 24
	s_cbranch_scc0 .LBB174_1691
; %bb.1684:
	s_wait_xcnt 0x0
	v_cvt_f32_ubyte0_e32 v6, v7
	v_mov_b32_e32 v9, 0x80
	s_mov_b32 s2, exec_lo
	s_delay_alu instid0(VALU_DEP_2)
	v_cmpx_gt_u32_e32 0x47800000, v6
	s_cbranch_execz .LBB174_1690
; %bb.1685:
	s_mov_b32 s6, 0
	s_mov_b32 s7, exec_lo
                                        ; implicit-def: $vgpr1
	v_cmpx_lt_u32_e32 0x37ffffff, v6
	s_xor_b32 s7, exec_lo, s7
	s_cbranch_execz .LBB174_2087
; %bb.1686:
	v_bfe_u32 v1, v6, 21, 1
	s_mov_b32 s6, exec_lo
	s_delay_alu instid0(VALU_DEP_1) | instskip(NEXT) | instid1(VALU_DEP_1)
	v_add3_u32 v1, v6, v1, 0x88fffff
                                        ; implicit-def: $vgpr6
	v_lshrrev_b32_e32 v1, 21, v1
	s_and_not1_saveexec_b32 s7, s7
	s_cbranch_execnz .LBB174_2088
.LBB174_1687:
	s_or_b32 exec_lo, exec_lo, s7
	v_mov_b32_e32 v9, 0
	s_and_saveexec_b32 s7, s6
.LBB174_1688:
	v_mov_b32_e32 v9, v1
.LBB174_1689:
	s_or_b32 exec_lo, exec_lo, s7
.LBB174_1690:
	s_delay_alu instid0(SALU_CYCLE_1)
	s_or_b32 exec_lo, exec_lo, s2
	s_mov_b32 s2, 0
	global_store_b8 v[2:3], v9, off
.LBB174_1691:
	s_and_b32 vcc_lo, exec_lo, s2
	s_cbranch_vccz .LBB174_1701
; %bb.1692:
	s_wait_xcnt 0x0
	v_cvt_f32_ubyte0_e32 v6, v7
	s_mov_b32 s2, exec_lo
                                        ; implicit-def: $vgpr1
	s_delay_alu instid0(VALU_DEP_1)
	v_cmpx_gt_u32_e32 0x43f00000, v6
	s_xor_b32 s2, exec_lo, s2
	s_cbranch_execz .LBB174_1698
; %bb.1693:
	s_mov_b32 s6, exec_lo
                                        ; implicit-def: $vgpr1
	v_cmpx_lt_u32_e32 0x3c7fffff, v6
	s_xor_b32 s6, exec_lo, s6
; %bb.1694:
	v_bfe_u32 v1, v6, 20, 1
	s_delay_alu instid0(VALU_DEP_1) | instskip(NEXT) | instid1(VALU_DEP_1)
	v_add3_u32 v1, v6, v1, 0x407ffff
	v_and_b32_e32 v6, 0xff00000, v1
	v_lshrrev_b32_e32 v1, 20, v1
	s_delay_alu instid0(VALU_DEP_2) | instskip(NEXT) | instid1(VALU_DEP_2)
	v_cmp_ne_u32_e32 vcc_lo, 0x7f00000, v6
                                        ; implicit-def: $vgpr6
	v_cndmask_b32_e32 v1, 0x7e, v1, vcc_lo
; %bb.1695:
	s_and_not1_saveexec_b32 s6, s6
; %bb.1696:
	v_add_f32_e32 v1, 0x46800000, v6
; %bb.1697:
	s_or_b32 exec_lo, exec_lo, s6
                                        ; implicit-def: $vgpr6
.LBB174_1698:
	s_and_not1_saveexec_b32 s2, s2
; %bb.1699:
	v_mov_b32_e32 v1, 0x7f
	v_cmp_lt_u32_e32 vcc_lo, 0x7f800000, v6
	s_delay_alu instid0(VALU_DEP_2)
	v_cndmask_b32_e32 v1, 0x7e, v1, vcc_lo
; %bb.1700:
	s_or_b32 exec_lo, exec_lo, s2
	global_store_b8 v[2:3], v1, off
.LBB174_1701:
	s_mov_b32 s2, 0
.LBB174_1702:
	s_delay_alu instid0(SALU_CYCLE_1)
	s_and_not1_b32 vcc_lo, exec_lo, s2
	s_cbranch_vccnz .LBB174_1712
; %bb.1703:
	s_wait_xcnt 0x0
	v_cvt_f32_ubyte0_e32 v6, v7
	s_mov_b32 s2, exec_lo
                                        ; implicit-def: $vgpr1
	s_delay_alu instid0(VALU_DEP_1)
	v_cmpx_gt_u32_e32 0x47800000, v6
	s_xor_b32 s2, exec_lo, s2
	s_cbranch_execz .LBB174_1709
; %bb.1704:
	s_mov_b32 s6, exec_lo
                                        ; implicit-def: $vgpr1
	v_cmpx_lt_u32_e32 0x387fffff, v6
	s_xor_b32 s6, exec_lo, s6
; %bb.1705:
	v_bfe_u32 v1, v6, 21, 1
	s_delay_alu instid0(VALU_DEP_1) | instskip(NEXT) | instid1(VALU_DEP_1)
	v_add3_u32 v1, v6, v1, 0x80fffff
                                        ; implicit-def: $vgpr6
	v_lshrrev_b32_e32 v1, 21, v1
; %bb.1706:
	s_and_not1_saveexec_b32 s6, s6
; %bb.1707:
	v_add_f32_e32 v1, 0x43000000, v6
; %bb.1708:
	s_or_b32 exec_lo, exec_lo, s6
                                        ; implicit-def: $vgpr6
.LBB174_1709:
	s_and_not1_saveexec_b32 s2, s2
; %bb.1710:
	v_mov_b32_e32 v1, 0x7f
	v_cmp_lt_u32_e32 vcc_lo, 0x7f800000, v6
	s_delay_alu instid0(VALU_DEP_2)
	v_cndmask_b32_e32 v1, 0x7c, v1, vcc_lo
; %bb.1711:
	s_or_b32 exec_lo, exec_lo, s2
	global_store_b8 v[2:3], v1, off
.LBB174_1712:
	s_mov_b32 s2, 0
	s_mov_b32 s6, -1
.LBB174_1713:
	s_and_not1_b32 vcc_lo, exec_lo, s2
	s_mov_b32 s2, 0
	s_cbranch_vccnz .LBB174_1720
; %bb.1714:
	s_cmp_gt_i32 s1, 14
	s_mov_b32 s2, -1
	s_cbranch_scc0 .LBB174_1718
; %bb.1715:
	s_cmp_eq_u32 s1, 15
	s_mov_b32 s0, -1
	s_cbranch_scc0 .LBB174_1717
; %bb.1716:
	s_wait_xcnt 0x0
	v_cvt_f32_ubyte0_e32 v1, v7
	s_mov_b32 s0, 0
	s_mov_b32 s6, -1
	s_delay_alu instid0(VALU_DEP_1) | instskip(NEXT) | instid1(VALU_DEP_1)
	v_bfe_u32 v6, v1, 16, 1
	v_add3_u32 v1, v1, v6, 0x7fff
	global_store_d16_hi_b16 v[2:3], v1, off
.LBB174_1717:
	s_mov_b32 s2, 0
.LBB174_1718:
	s_delay_alu instid0(SALU_CYCLE_1)
	s_and_b32 vcc_lo, exec_lo, s2
	s_mov_b32 s2, 0
	s_cbranch_vccz .LBB174_1720
; %bb.1719:
	s_cmp_lg_u32 s1, 11
	s_mov_b32 s2, -1
	s_cselect_b32 s0, -1, 0
.LBB174_1720:
	s_delay_alu instid0(SALU_CYCLE_1)
	s_and_b32 vcc_lo, exec_lo, s0
	s_cbranch_vccnz .LBB174_2086
; %bb.1721:
	s_and_not1_b32 vcc_lo, exec_lo, s2
	s_cbranch_vccnz .LBB174_1723
.LBB174_1722:
	s_wait_xcnt 0x0
	v_and_b32_e32 v1, 0xff, v7
	s_mov_b32 s6, -1
	s_delay_alu instid0(VALU_DEP_1)
	v_cmp_ne_u16_e32 vcc_lo, 0, v1
	v_cndmask_b32_e64 v1, 0, 1, vcc_lo
	global_store_b8 v[2:3], v1, off
.LBB174_1723:
	s_mov_b32 s0, 0
	s_branch .LBB174_1727
.LBB174_1724:
	s_wait_loadcnt 0x0
	s_delay_alu instid0(VALU_DEP_1)
	v_and_b32_e32 v0, 0xff, v2
	s_and_not1_b32 vcc_lo, exec_lo, s6
	s_cbranch_vccnz .LBB174_1644
.LBB174_1725:
	s_and_b32 s0, s11, 0xff
	s_delay_alu instid0(VALU_DEP_1) | instid1(SALU_CYCLE_1)
	v_max_u16 v1, v0, s0
	s_delay_alu instid0(VALU_DEP_1)
	v_min_u16 v4, v1, s1
	s_cbranch_execz .LBB174_1645
	s_branch .LBB174_1646
.LBB174_1726:
	s_mov_b32 s0, -1
	s_mov_b32 s6, 0
.LBB174_1727:
	s_and_b32 vcc_lo, exec_lo, s0
	s_cbranch_vccz .LBB174_1766
; %bb.1728:
	s_and_b32 s0, 0xffff, s15
	s_mov_b32 s1, -1
	s_cmp_lt_i32 s0, 5
	s_cbranch_scc1 .LBB174_1749
; %bb.1729:
	s_cmp_lt_i32 s0, 8
	s_cbranch_scc1 .LBB174_1739
; %bb.1730:
	;; [unrolled: 3-line block ×3, first 2 shown]
	s_cmp_gt_i32 s0, 9
	s_cbranch_scc0 .LBB174_1733
; %bb.1732:
	s_wait_xcnt 0x0
	v_and_b32_e32 v1, 0xff, v7
	v_mov_b32_e32 v12, 0
	s_mov_b32 s1, 0
	s_delay_alu instid0(VALU_DEP_2) | instskip(NEXT) | instid1(VALU_DEP_2)
	v_and_b32_e32 v1, 0xffff, v1
	v_mov_b32_e32 v13, v12
	s_delay_alu instid0(VALU_DEP_2)
	v_cvt_f64_u32_e32 v[10:11], v1
	global_store_b128 v[2:3], v[10:13], off
.LBB174_1733:
	s_and_not1_b32 vcc_lo, exec_lo, s1
	s_cbranch_vccnz .LBB174_1735
; %bb.1734:
	s_wait_xcnt 0x0
	v_cvt_f32_ubyte0_e32 v10, v7
	v_mov_b32_e32 v11, 0
	global_store_b64 v[2:3], v[10:11], off
.LBB174_1735:
	s_mov_b32 s1, 0
.LBB174_1736:
	s_delay_alu instid0(SALU_CYCLE_1)
	s_and_not1_b32 vcc_lo, exec_lo, s1
	s_cbranch_vccnz .LBB174_1738
; %bb.1737:
	s_wait_xcnt 0x0
	v_and_b32_e32 v1, 0xff, v7
	s_delay_alu instid0(VALU_DEP_1) | instskip(NEXT) | instid1(VALU_DEP_1)
	v_cvt_f16_u16_e32 v1, v1
	v_and_b32_e32 v1, 0xffff, v1
	global_store_b32 v[2:3], v1, off
.LBB174_1738:
	s_mov_b32 s1, 0
.LBB174_1739:
	s_delay_alu instid0(SALU_CYCLE_1)
	s_and_not1_b32 vcc_lo, exec_lo, s1
	s_cbranch_vccnz .LBB174_1748
; %bb.1740:
	s_cmp_lt_i32 s0, 6
	s_mov_b32 s1, -1
	s_cbranch_scc1 .LBB174_1746
; %bb.1741:
	s_cmp_gt_i32 s0, 6
	s_cbranch_scc0 .LBB174_1743
; %bb.1742:
	s_wait_xcnt 0x0
	v_and_b32_e32 v1, 0xff, v7
	s_mov_b32 s1, 0
	s_delay_alu instid0(VALU_DEP_1) | instskip(NEXT) | instid1(VALU_DEP_1)
	v_and_b32_e32 v1, 0xffff, v1
	v_cvt_f64_u32_e32 v[10:11], v1
	global_store_b64 v[2:3], v[10:11], off
.LBB174_1743:
	s_and_not1_b32 vcc_lo, exec_lo, s1
	s_cbranch_vccnz .LBB174_1745
; %bb.1744:
	s_wait_xcnt 0x0
	v_cvt_f32_ubyte0_e32 v1, v7
	global_store_b32 v[2:3], v1, off
.LBB174_1745:
	s_mov_b32 s1, 0
.LBB174_1746:
	s_delay_alu instid0(SALU_CYCLE_1)
	s_and_not1_b32 vcc_lo, exec_lo, s1
	s_cbranch_vccnz .LBB174_1748
; %bb.1747:
	s_wait_xcnt 0x0
	v_and_b32_e32 v1, 0xff, v7
	s_delay_alu instid0(VALU_DEP_1)
	v_cvt_f16_u16_e32 v1, v1
	global_store_b16 v[2:3], v1, off
.LBB174_1748:
	s_mov_b32 s1, 0
.LBB174_1749:
	s_delay_alu instid0(SALU_CYCLE_1)
	s_and_not1_b32 vcc_lo, exec_lo, s1
	s_cbranch_vccnz .LBB174_1765
; %bb.1750:
	s_cmp_lt_i32 s0, 2
	s_mov_b32 s1, -1
	s_cbranch_scc1 .LBB174_1760
; %bb.1751:
	s_cmp_lt_i32 s0, 3
	s_cbranch_scc1 .LBB174_1757
; %bb.1752:
	s_cmp_gt_i32 s0, 3
	s_cbranch_scc0 .LBB174_1754
; %bb.1753:
	s_wait_xcnt 0x0
	v_and_b32_e32 v10, 0xff, v7
	v_mov_b32_e32 v11, 0
	s_mov_b32 s1, 0
	global_store_b64 v[2:3], v[10:11], off
.LBB174_1754:
	s_and_not1_b32 vcc_lo, exec_lo, s1
	s_cbranch_vccnz .LBB174_1756
; %bb.1755:
	s_wait_xcnt 0x0
	v_and_b32_e32 v1, 0xff, v7
	global_store_b32 v[2:3], v1, off
.LBB174_1756:
	s_mov_b32 s1, 0
.LBB174_1757:
	s_delay_alu instid0(SALU_CYCLE_1)
	s_and_not1_b32 vcc_lo, exec_lo, s1
	s_cbranch_vccnz .LBB174_1759
; %bb.1758:
	s_wait_xcnt 0x0
	v_and_b32_e32 v1, 0xff, v7
	global_store_b16 v[2:3], v1, off
.LBB174_1759:
	s_mov_b32 s1, 0
.LBB174_1760:
	s_delay_alu instid0(SALU_CYCLE_1)
	s_and_not1_b32 vcc_lo, exec_lo, s1
	s_cbranch_vccnz .LBB174_1765
; %bb.1761:
	s_cmp_gt_i32 s0, 0
	s_mov_b32 s0, -1
	s_cbranch_scc0 .LBB174_1763
; %bb.1762:
	s_mov_b32 s0, 0
	global_store_b8 v[2:3], v7, off
.LBB174_1763:
	s_and_not1_b32 vcc_lo, exec_lo, s0
	s_cbranch_vccnz .LBB174_1765
; %bb.1764:
	global_store_b8 v[2:3], v7, off
.LBB174_1765:
	s_mov_b32 s6, -1
.LBB174_1766:
	s_delay_alu instid0(SALU_CYCLE_1)
	s_and_not1_b32 vcc_lo, exec_lo, s6
	s_cbranch_vccnz .LBB174_2081
; %bb.1767:
	s_lshl_b32 s1, s8, 7
	s_cmp_lt_i32 s15, 11
	v_add_nc_u32_e32 v0, s1, v0
	s_wait_xcnt 0x0
	s_delay_alu instid0(VALU_DEP_1) | instskip(NEXT) | instid1(VALU_DEP_1)
	v_ashrrev_i32_e32 v1, 31, v0
	v_add_nc_u64_e32 v[2:3], s[4:5], v[0:1]
	s_cbranch_scc1 .LBB174_1845
; %bb.1768:
	s_and_b32 s2, 0xffff, s15
	s_mov_b32 s8, -1
	s_mov_b32 s6, 0
	s_cmp_gt_i32 s2, 25
	s_mov_b32 s7, 0
	s_mov_b32 s0, 0
	s_cbranch_scc0 .LBB174_1801
; %bb.1769:
	s_cmp_gt_i32 s2, 28
	s_cbranch_scc0 .LBB174_1784
; %bb.1770:
	s_cmp_gt_i32 s2, 43
	;; [unrolled: 3-line block ×3, first 2 shown]
	s_cbranch_scc0 .LBB174_1774
; %bb.1772:
	s_mov_b32 s0, -1
	s_mov_b32 s8, 0
	s_cmp_eq_u32 s2, 46
	s_cbranch_scc0 .LBB174_1774
; %bb.1773:
	v_cvt_f32_ubyte0_e32 v1, v8
	s_mov_b32 s0, 0
	s_mov_b32 s7, -1
	s_delay_alu instid0(VALU_DEP_1) | instskip(NEXT) | instid1(VALU_DEP_1)
	v_bfe_u32 v6, v1, 16, 1
	v_add3_u32 v1, v1, v6, 0x7fff
	s_delay_alu instid0(VALU_DEP_1)
	v_lshrrev_b32_e32 v1, 16, v1
	global_store_b32 v[2:3], v1, off
.LBB174_1774:
	s_and_b32 vcc_lo, exec_lo, s8
	s_cbranch_vccz .LBB174_1779
; %bb.1775:
	s_cmp_eq_u32 s2, 44
	s_mov_b32 s0, -1
	s_cbranch_scc0 .LBB174_1779
; %bb.1776:
	v_cvt_f32_ubyte0_e32 v7, v8
	s_mov_b32 s7, exec_lo
	s_wait_xcnt 0x0
	s_delay_alu instid0(VALU_DEP_1) | instskip(NEXT) | instid1(VALU_DEP_1)
	v_dual_mov_b32 v6, 0xff :: v_dual_lshrrev_b32 v1, 23, v7
	v_cmpx_ne_u32_e32 0xff, v1
; %bb.1777:
	v_and_b32_e32 v6, 0x400000, v7
	v_and_or_b32 v7, 0x3fffff, v7, v1
	s_delay_alu instid0(VALU_DEP_2) | instskip(NEXT) | instid1(VALU_DEP_2)
	v_cmp_ne_u32_e32 vcc_lo, 0, v6
	v_cmp_ne_u32_e64 s0, 0, v7
	s_and_b32 s0, vcc_lo, s0
	s_delay_alu instid0(SALU_CYCLE_1) | instskip(NEXT) | instid1(VALU_DEP_1)
	v_cndmask_b32_e64 v6, 0, 1, s0
	v_add_nc_u32_e32 v6, v1, v6
; %bb.1778:
	s_or_b32 exec_lo, exec_lo, s7
	s_mov_b32 s0, 0
	s_mov_b32 s7, -1
	global_store_b8 v[2:3], v6, off
.LBB174_1779:
	s_mov_b32 s8, 0
.LBB174_1780:
	s_delay_alu instid0(SALU_CYCLE_1)
	s_and_b32 vcc_lo, exec_lo, s8
	s_cbranch_vccz .LBB174_1783
; %bb.1781:
	s_cmp_eq_u32 s2, 29
	s_mov_b32 s0, -1
	s_cbranch_scc0 .LBB174_1783
; %bb.1782:
	s_wait_xcnt 0x0
	v_and_b32_e32 v6, 0xff, v8
	v_mov_b32_e32 v7, 0
	s_mov_b32 s0, 0
	s_mov_b32 s7, -1
	global_store_b64 v[2:3], v[6:7], off
.LBB174_1783:
	s_mov_b32 s8, 0
.LBB174_1784:
	s_delay_alu instid0(SALU_CYCLE_1)
	s_and_b32 vcc_lo, exec_lo, s8
	s_cbranch_vccz .LBB174_1800
; %bb.1785:
	s_cmp_lt_i32 s2, 27
	s_mov_b32 s7, -1
	s_cbranch_scc1 .LBB174_1791
; %bb.1786:
	s_cmp_gt_i32 s2, 27
	s_cbranch_scc0 .LBB174_1788
; %bb.1787:
	s_wait_xcnt 0x0
	v_and_b32_e32 v1, 0xff, v8
	s_mov_b32 s7, 0
	global_store_b32 v[2:3], v1, off
.LBB174_1788:
	s_and_not1_b32 vcc_lo, exec_lo, s7
	s_cbranch_vccnz .LBB174_1790
; %bb.1789:
	s_wait_xcnt 0x0
	v_and_b32_e32 v1, 0xff, v8
	global_store_b16 v[2:3], v1, off
.LBB174_1790:
	s_mov_b32 s7, 0
.LBB174_1791:
	s_delay_alu instid0(SALU_CYCLE_1)
	s_and_not1_b32 vcc_lo, exec_lo, s7
	s_cbranch_vccnz .LBB174_1799
; %bb.1792:
	s_wait_xcnt 0x0
	v_cvt_f32_ubyte0_e32 v6, v8
	v_mov_b32_e32 v7, 0x80
	s_mov_b32 s7, exec_lo
	s_delay_alu instid0(VALU_DEP_2)
	v_cmpx_gt_u32_e32 0x43800000, v6
	s_cbranch_execz .LBB174_1798
; %bb.1793:
	s_mov_b32 s8, 0
	s_mov_b32 s9, exec_lo
                                        ; implicit-def: $vgpr1
	v_cmpx_lt_u32_e32 0x3bffffff, v6
	s_xor_b32 s9, exec_lo, s9
	s_cbranch_execz .LBB174_2089
; %bb.1794:
	v_bfe_u32 v1, v6, 20, 1
	s_mov_b32 s8, exec_lo
	s_delay_alu instid0(VALU_DEP_1) | instskip(NEXT) | instid1(VALU_DEP_1)
	v_add3_u32 v1, v6, v1, 0x487ffff
                                        ; implicit-def: $vgpr6
	v_lshrrev_b32_e32 v1, 20, v1
	s_and_not1_saveexec_b32 s9, s9
	s_cbranch_execnz .LBB174_2090
.LBB174_1795:
	s_or_b32 exec_lo, exec_lo, s9
	v_mov_b32_e32 v7, 0
	s_and_saveexec_b32 s9, s8
.LBB174_1796:
	v_mov_b32_e32 v7, v1
.LBB174_1797:
	s_or_b32 exec_lo, exec_lo, s9
.LBB174_1798:
	s_delay_alu instid0(SALU_CYCLE_1)
	s_or_b32 exec_lo, exec_lo, s7
	global_store_b8 v[2:3], v7, off
.LBB174_1799:
	s_mov_b32 s7, -1
.LBB174_1800:
	s_mov_b32 s8, 0
.LBB174_1801:
	s_delay_alu instid0(SALU_CYCLE_1)
	s_and_b32 vcc_lo, exec_lo, s8
	s_cbranch_vccz .LBB174_1841
; %bb.1802:
	s_cmp_gt_i32 s2, 22
	s_mov_b32 s6, -1
	s_cbranch_scc0 .LBB174_1834
; %bb.1803:
	s_cmp_lt_i32 s2, 24
	s_cbranch_scc1 .LBB174_1823
; %bb.1804:
	s_cmp_gt_i32 s2, 24
	s_cbranch_scc0 .LBB174_1812
; %bb.1805:
	s_wait_xcnt 0x0
	v_cvt_f32_ubyte0_e32 v6, v8
	v_mov_b32_e32 v7, 0x80
	s_mov_b32 s6, exec_lo
	s_delay_alu instid0(VALU_DEP_2)
	v_cmpx_gt_u32_e32 0x47800000, v6
	s_cbranch_execz .LBB174_1811
; %bb.1806:
	s_mov_b32 s7, 0
	s_mov_b32 s8, exec_lo
                                        ; implicit-def: $vgpr1
	v_cmpx_lt_u32_e32 0x37ffffff, v6
	s_xor_b32 s8, exec_lo, s8
	s_cbranch_execz .LBB174_2092
; %bb.1807:
	v_bfe_u32 v1, v6, 21, 1
	s_mov_b32 s7, exec_lo
	s_delay_alu instid0(VALU_DEP_1) | instskip(NEXT) | instid1(VALU_DEP_1)
	v_add3_u32 v1, v6, v1, 0x88fffff
                                        ; implicit-def: $vgpr6
	v_lshrrev_b32_e32 v1, 21, v1
	s_and_not1_saveexec_b32 s8, s8
	s_cbranch_execnz .LBB174_2093
.LBB174_1808:
	s_or_b32 exec_lo, exec_lo, s8
	v_mov_b32_e32 v7, 0
	s_and_saveexec_b32 s8, s7
.LBB174_1809:
	v_mov_b32_e32 v7, v1
.LBB174_1810:
	s_or_b32 exec_lo, exec_lo, s8
.LBB174_1811:
	s_delay_alu instid0(SALU_CYCLE_1)
	s_or_b32 exec_lo, exec_lo, s6
	s_mov_b32 s6, 0
	global_store_b8 v[2:3], v7, off
.LBB174_1812:
	s_and_b32 vcc_lo, exec_lo, s6
	s_cbranch_vccz .LBB174_1822
; %bb.1813:
	s_wait_xcnt 0x0
	v_cvt_f32_ubyte0_e32 v6, v8
	s_mov_b32 s6, exec_lo
                                        ; implicit-def: $vgpr1
	s_delay_alu instid0(VALU_DEP_1)
	v_cmpx_gt_u32_e32 0x43f00000, v6
	s_xor_b32 s6, exec_lo, s6
	s_cbranch_execz .LBB174_1819
; %bb.1814:
	s_mov_b32 s7, exec_lo
                                        ; implicit-def: $vgpr1
	v_cmpx_lt_u32_e32 0x3c7fffff, v6
	s_xor_b32 s7, exec_lo, s7
; %bb.1815:
	v_bfe_u32 v1, v6, 20, 1
	s_delay_alu instid0(VALU_DEP_1) | instskip(NEXT) | instid1(VALU_DEP_1)
	v_add3_u32 v1, v6, v1, 0x407ffff
	v_and_b32_e32 v6, 0xff00000, v1
	v_lshrrev_b32_e32 v1, 20, v1
	s_delay_alu instid0(VALU_DEP_2) | instskip(NEXT) | instid1(VALU_DEP_2)
	v_cmp_ne_u32_e32 vcc_lo, 0x7f00000, v6
                                        ; implicit-def: $vgpr6
	v_cndmask_b32_e32 v1, 0x7e, v1, vcc_lo
; %bb.1816:
	s_and_not1_saveexec_b32 s7, s7
; %bb.1817:
	v_add_f32_e32 v1, 0x46800000, v6
; %bb.1818:
	s_or_b32 exec_lo, exec_lo, s7
                                        ; implicit-def: $vgpr6
.LBB174_1819:
	s_and_not1_saveexec_b32 s6, s6
; %bb.1820:
	v_mov_b32_e32 v1, 0x7f
	v_cmp_lt_u32_e32 vcc_lo, 0x7f800000, v6
	s_delay_alu instid0(VALU_DEP_2)
	v_cndmask_b32_e32 v1, 0x7e, v1, vcc_lo
; %bb.1821:
	s_or_b32 exec_lo, exec_lo, s6
	global_store_b8 v[2:3], v1, off
.LBB174_1822:
	s_mov_b32 s6, 0
.LBB174_1823:
	s_delay_alu instid0(SALU_CYCLE_1)
	s_and_not1_b32 vcc_lo, exec_lo, s6
	s_cbranch_vccnz .LBB174_1833
; %bb.1824:
	s_wait_xcnt 0x0
	v_cvt_f32_ubyte0_e32 v6, v8
	s_mov_b32 s6, exec_lo
                                        ; implicit-def: $vgpr1
	s_delay_alu instid0(VALU_DEP_1)
	v_cmpx_gt_u32_e32 0x47800000, v6
	s_xor_b32 s6, exec_lo, s6
	s_cbranch_execz .LBB174_1830
; %bb.1825:
	s_mov_b32 s7, exec_lo
                                        ; implicit-def: $vgpr1
	v_cmpx_lt_u32_e32 0x387fffff, v6
	s_xor_b32 s7, exec_lo, s7
; %bb.1826:
	v_bfe_u32 v1, v6, 21, 1
	s_delay_alu instid0(VALU_DEP_1) | instskip(NEXT) | instid1(VALU_DEP_1)
	v_add3_u32 v1, v6, v1, 0x80fffff
                                        ; implicit-def: $vgpr6
	v_lshrrev_b32_e32 v1, 21, v1
; %bb.1827:
	s_and_not1_saveexec_b32 s7, s7
; %bb.1828:
	v_add_f32_e32 v1, 0x43000000, v6
; %bb.1829:
	s_or_b32 exec_lo, exec_lo, s7
                                        ; implicit-def: $vgpr6
.LBB174_1830:
	s_and_not1_saveexec_b32 s6, s6
; %bb.1831:
	v_mov_b32_e32 v1, 0x7f
	v_cmp_lt_u32_e32 vcc_lo, 0x7f800000, v6
	s_delay_alu instid0(VALU_DEP_2)
	v_cndmask_b32_e32 v1, 0x7c, v1, vcc_lo
; %bb.1832:
	s_or_b32 exec_lo, exec_lo, s6
	global_store_b8 v[2:3], v1, off
.LBB174_1833:
	s_mov_b32 s6, 0
	s_mov_b32 s7, -1
.LBB174_1834:
	s_and_not1_b32 vcc_lo, exec_lo, s6
	s_mov_b32 s6, 0
	s_cbranch_vccnz .LBB174_1841
; %bb.1835:
	s_cmp_gt_i32 s2, 14
	s_mov_b32 s6, -1
	s_cbranch_scc0 .LBB174_1839
; %bb.1836:
	s_cmp_eq_u32 s2, 15
	s_mov_b32 s0, -1
	s_cbranch_scc0 .LBB174_1838
; %bb.1837:
	s_wait_xcnt 0x0
	v_cvt_f32_ubyte0_e32 v1, v8
	s_mov_b32 s0, 0
	s_mov_b32 s7, -1
	s_delay_alu instid0(VALU_DEP_1) | instskip(NEXT) | instid1(VALU_DEP_1)
	v_bfe_u32 v6, v1, 16, 1
	v_add3_u32 v1, v1, v6, 0x7fff
	global_store_d16_hi_b16 v[2:3], v1, off
.LBB174_1838:
	s_mov_b32 s6, 0
.LBB174_1839:
	s_delay_alu instid0(SALU_CYCLE_1)
	s_and_b32 vcc_lo, exec_lo, s6
	s_mov_b32 s6, 0
	s_cbranch_vccz .LBB174_1841
; %bb.1840:
	s_cmp_lg_u32 s2, 11
	s_mov_b32 s6, -1
	s_cselect_b32 s0, -1, 0
.LBB174_1841:
	s_delay_alu instid0(SALU_CYCLE_1)
	s_and_b32 vcc_lo, exec_lo, s0
	s_cbranch_vccnz .LBB174_2091
; %bb.1842:
	s_and_not1_b32 vcc_lo, exec_lo, s6
	s_cbranch_vccnz .LBB174_1844
.LBB174_1843:
	s_wait_xcnt 0x0
	v_and_b32_e32 v1, 0xff, v8
	s_mov_b32 s7, -1
	s_delay_alu instid0(VALU_DEP_1)
	v_cmp_ne_u16_e32 vcc_lo, 0, v1
	v_cndmask_b32_e64 v1, 0, 1, vcc_lo
	global_store_b8 v[2:3], v1, off
.LBB174_1844:
	s_mov_b32 s0, 0
	s_branch .LBB174_1846
.LBB174_1845:
	s_mov_b32 s0, -1
	s_mov_b32 s7, 0
.LBB174_1846:
	s_and_b32 vcc_lo, exec_lo, s0
	s_cbranch_vccz .LBB174_1885
; %bb.1847:
	s_and_b32 s0, 0xffff, s15
	s_mov_b32 s2, -1
	s_cmp_lt_i32 s0, 5
	s_cbranch_scc1 .LBB174_1868
; %bb.1848:
	s_cmp_lt_i32 s0, 8
	s_cbranch_scc1 .LBB174_1858
; %bb.1849:
	;; [unrolled: 3-line block ×3, first 2 shown]
	s_cmp_gt_i32 s0, 9
	s_cbranch_scc0 .LBB174_1852
; %bb.1851:
	s_wait_xcnt 0x0
	v_and_b32_e32 v1, 0xff, v8
	v_mov_b32_e32 v12, 0
	s_mov_b32 s2, 0
	s_delay_alu instid0(VALU_DEP_2) | instskip(NEXT) | instid1(VALU_DEP_2)
	v_and_b32_e32 v1, 0xffff, v1
	v_mov_b32_e32 v13, v12
	s_delay_alu instid0(VALU_DEP_2)
	v_cvt_f64_u32_e32 v[10:11], v1
	global_store_b128 v[2:3], v[10:13], off
.LBB174_1852:
	s_and_not1_b32 vcc_lo, exec_lo, s2
	s_cbranch_vccnz .LBB174_1854
; %bb.1853:
	s_wait_xcnt 0x0
	v_cvt_f32_ubyte0_e32 v6, v8
	v_mov_b32_e32 v7, 0
	global_store_b64 v[2:3], v[6:7], off
.LBB174_1854:
	s_mov_b32 s2, 0
.LBB174_1855:
	s_delay_alu instid0(SALU_CYCLE_1)
	s_and_not1_b32 vcc_lo, exec_lo, s2
	s_cbranch_vccnz .LBB174_1857
; %bb.1856:
	s_wait_xcnt 0x0
	v_and_b32_e32 v1, 0xff, v8
	s_delay_alu instid0(VALU_DEP_1) | instskip(NEXT) | instid1(VALU_DEP_1)
	v_cvt_f16_u16_e32 v1, v1
	v_and_b32_e32 v1, 0xffff, v1
	global_store_b32 v[2:3], v1, off
.LBB174_1857:
	s_mov_b32 s2, 0
.LBB174_1858:
	s_delay_alu instid0(SALU_CYCLE_1)
	s_and_not1_b32 vcc_lo, exec_lo, s2
	s_cbranch_vccnz .LBB174_1867
; %bb.1859:
	s_cmp_lt_i32 s0, 6
	s_mov_b32 s2, -1
	s_cbranch_scc1 .LBB174_1865
; %bb.1860:
	s_cmp_gt_i32 s0, 6
	s_cbranch_scc0 .LBB174_1862
; %bb.1861:
	s_wait_xcnt 0x0
	v_and_b32_e32 v1, 0xff, v8
	s_mov_b32 s2, 0
	s_delay_alu instid0(VALU_DEP_1) | instskip(NEXT) | instid1(VALU_DEP_1)
	v_and_b32_e32 v1, 0xffff, v1
	v_cvt_f64_u32_e32 v[6:7], v1
	global_store_b64 v[2:3], v[6:7], off
.LBB174_1862:
	s_and_not1_b32 vcc_lo, exec_lo, s2
	s_cbranch_vccnz .LBB174_1864
; %bb.1863:
	s_wait_xcnt 0x0
	v_cvt_f32_ubyte0_e32 v1, v8
	global_store_b32 v[2:3], v1, off
.LBB174_1864:
	s_mov_b32 s2, 0
.LBB174_1865:
	s_delay_alu instid0(SALU_CYCLE_1)
	s_and_not1_b32 vcc_lo, exec_lo, s2
	s_cbranch_vccnz .LBB174_1867
; %bb.1866:
	s_wait_xcnt 0x0
	v_and_b32_e32 v1, 0xff, v8
	s_delay_alu instid0(VALU_DEP_1)
	v_cvt_f16_u16_e32 v1, v1
	global_store_b16 v[2:3], v1, off
.LBB174_1867:
	s_mov_b32 s2, 0
.LBB174_1868:
	s_delay_alu instid0(SALU_CYCLE_1)
	s_and_not1_b32 vcc_lo, exec_lo, s2
	s_cbranch_vccnz .LBB174_1884
; %bb.1869:
	s_cmp_lt_i32 s0, 2
	s_mov_b32 s2, -1
	s_cbranch_scc1 .LBB174_1879
; %bb.1870:
	s_cmp_lt_i32 s0, 3
	s_cbranch_scc1 .LBB174_1876
; %bb.1871:
	s_cmp_gt_i32 s0, 3
	s_cbranch_scc0 .LBB174_1873
; %bb.1872:
	s_wait_xcnt 0x0
	v_and_b32_e32 v6, 0xff, v8
	v_mov_b32_e32 v7, 0
	s_mov_b32 s2, 0
	global_store_b64 v[2:3], v[6:7], off
.LBB174_1873:
	s_and_not1_b32 vcc_lo, exec_lo, s2
	s_cbranch_vccnz .LBB174_1875
; %bb.1874:
	s_wait_xcnt 0x0
	v_and_b32_e32 v1, 0xff, v8
	global_store_b32 v[2:3], v1, off
.LBB174_1875:
	s_mov_b32 s2, 0
.LBB174_1876:
	s_delay_alu instid0(SALU_CYCLE_1)
	s_and_not1_b32 vcc_lo, exec_lo, s2
	s_cbranch_vccnz .LBB174_1878
; %bb.1877:
	s_wait_xcnt 0x0
	v_and_b32_e32 v1, 0xff, v8
	global_store_b16 v[2:3], v1, off
.LBB174_1878:
	s_mov_b32 s2, 0
.LBB174_1879:
	s_delay_alu instid0(SALU_CYCLE_1)
	s_and_not1_b32 vcc_lo, exec_lo, s2
	s_cbranch_vccnz .LBB174_1884
; %bb.1880:
	s_cmp_gt_i32 s0, 0
	s_mov_b32 s0, -1
	s_cbranch_scc0 .LBB174_1882
; %bb.1881:
	s_mov_b32 s0, 0
	global_store_b8 v[2:3], v8, off
.LBB174_1882:
	s_and_not1_b32 vcc_lo, exec_lo, s0
	s_cbranch_vccnz .LBB174_1884
; %bb.1883:
	global_store_b8 v[2:3], v8, off
.LBB174_1884:
	s_mov_b32 s7, -1
.LBB174_1885:
	s_delay_alu instid0(SALU_CYCLE_1)
	s_and_not1_b32 vcc_lo, exec_lo, s7
	s_cbranch_vccnz .LBB174_2081
; %bb.1886:
	v_add_nc_u32_e32 v0, s1, v0
	s_cmp_lt_i32 s15, 11
	s_wait_xcnt 0x0
	s_delay_alu instid0(VALU_DEP_1) | instskip(NEXT) | instid1(VALU_DEP_1)
	v_ashrrev_i32_e32 v1, 31, v0
	v_add_nc_u64_e32 v[2:3], s[4:5], v[0:1]
	s_cbranch_scc1 .LBB174_1964
; %bb.1887:
	s_and_b32 s2, 0xffff, s15
	s_mov_b32 s8, -1
	s_mov_b32 s6, 0
	s_cmp_gt_i32 s2, 25
	s_mov_b32 s7, 0
	s_mov_b32 s0, 0
	s_cbranch_scc0 .LBB174_1920
; %bb.1888:
	s_cmp_gt_i32 s2, 28
	s_cbranch_scc0 .LBB174_1903
; %bb.1889:
	s_cmp_gt_i32 s2, 43
	;; [unrolled: 3-line block ×3, first 2 shown]
	s_cbranch_scc0 .LBB174_1893
; %bb.1891:
	s_mov_b32 s0, -1
	s_mov_b32 s8, 0
	s_cmp_eq_u32 s2, 46
	s_cbranch_scc0 .LBB174_1893
; %bb.1892:
	v_cvt_f32_ubyte0_e32 v1, v5
	s_mov_b32 s0, 0
	s_mov_b32 s7, -1
	s_delay_alu instid0(VALU_DEP_1) | instskip(NEXT) | instid1(VALU_DEP_1)
	v_bfe_u32 v6, v1, 16, 1
	v_add3_u32 v1, v1, v6, 0x7fff
	s_delay_alu instid0(VALU_DEP_1)
	v_lshrrev_b32_e32 v1, 16, v1
	global_store_b32 v[2:3], v1, off
.LBB174_1893:
	s_and_b32 vcc_lo, exec_lo, s8
	s_cbranch_vccz .LBB174_1898
; %bb.1894:
	s_cmp_eq_u32 s2, 44
	s_mov_b32 s0, -1
	s_cbranch_scc0 .LBB174_1898
; %bb.1895:
	v_cvt_f32_ubyte0_e32 v7, v5
	s_mov_b32 s7, exec_lo
	s_wait_xcnt 0x0
	s_delay_alu instid0(VALU_DEP_1) | instskip(NEXT) | instid1(VALU_DEP_1)
	v_dual_mov_b32 v6, 0xff :: v_dual_lshrrev_b32 v1, 23, v7
	v_cmpx_ne_u32_e32 0xff, v1
; %bb.1896:
	v_and_b32_e32 v6, 0x400000, v7
	v_and_or_b32 v7, 0x3fffff, v7, v1
	s_delay_alu instid0(VALU_DEP_2) | instskip(NEXT) | instid1(VALU_DEP_2)
	v_cmp_ne_u32_e32 vcc_lo, 0, v6
	v_cmp_ne_u32_e64 s0, 0, v7
	s_and_b32 s0, vcc_lo, s0
	s_delay_alu instid0(SALU_CYCLE_1) | instskip(NEXT) | instid1(VALU_DEP_1)
	v_cndmask_b32_e64 v6, 0, 1, s0
	v_add_nc_u32_e32 v6, v1, v6
; %bb.1897:
	s_or_b32 exec_lo, exec_lo, s7
	s_mov_b32 s0, 0
	s_mov_b32 s7, -1
	global_store_b8 v[2:3], v6, off
.LBB174_1898:
	s_mov_b32 s8, 0
.LBB174_1899:
	s_delay_alu instid0(SALU_CYCLE_1)
	s_and_b32 vcc_lo, exec_lo, s8
	s_cbranch_vccz .LBB174_1902
; %bb.1900:
	s_cmp_eq_u32 s2, 29
	s_mov_b32 s0, -1
	s_cbranch_scc0 .LBB174_1902
; %bb.1901:
	s_wait_xcnt 0x0
	v_and_b32_e32 v6, 0xff, v5
	v_mov_b32_e32 v7, 0
	s_mov_b32 s0, 0
	s_mov_b32 s7, -1
	global_store_b64 v[2:3], v[6:7], off
.LBB174_1902:
	s_mov_b32 s8, 0
.LBB174_1903:
	s_delay_alu instid0(SALU_CYCLE_1)
	s_and_b32 vcc_lo, exec_lo, s8
	s_cbranch_vccz .LBB174_1919
; %bb.1904:
	s_cmp_lt_i32 s2, 27
	s_mov_b32 s7, -1
	s_cbranch_scc1 .LBB174_1910
; %bb.1905:
	s_cmp_gt_i32 s2, 27
	s_cbranch_scc0 .LBB174_1907
; %bb.1906:
	s_wait_xcnt 0x0
	v_and_b32_e32 v1, 0xff, v5
	s_mov_b32 s7, 0
	global_store_b32 v[2:3], v1, off
.LBB174_1907:
	s_and_not1_b32 vcc_lo, exec_lo, s7
	s_cbranch_vccnz .LBB174_1909
; %bb.1908:
	s_wait_xcnt 0x0
	v_and_b32_e32 v1, 0xff, v5
	global_store_b16 v[2:3], v1, off
.LBB174_1909:
	s_mov_b32 s7, 0
.LBB174_1910:
	s_delay_alu instid0(SALU_CYCLE_1)
	s_and_not1_b32 vcc_lo, exec_lo, s7
	s_cbranch_vccnz .LBB174_1918
; %bb.1911:
	s_wait_xcnt 0x0
	v_cvt_f32_ubyte0_e32 v6, v5
	v_mov_b32_e32 v7, 0x80
	s_mov_b32 s7, exec_lo
	s_delay_alu instid0(VALU_DEP_2)
	v_cmpx_gt_u32_e32 0x43800000, v6
	s_cbranch_execz .LBB174_1917
; %bb.1912:
	s_mov_b32 s8, 0
	s_mov_b32 s9, exec_lo
                                        ; implicit-def: $vgpr1
	v_cmpx_lt_u32_e32 0x3bffffff, v6
	s_xor_b32 s9, exec_lo, s9
	s_cbranch_execz .LBB174_2094
; %bb.1913:
	v_bfe_u32 v1, v6, 20, 1
	s_mov_b32 s8, exec_lo
	s_delay_alu instid0(VALU_DEP_1) | instskip(NEXT) | instid1(VALU_DEP_1)
	v_add3_u32 v1, v6, v1, 0x487ffff
                                        ; implicit-def: $vgpr6
	v_lshrrev_b32_e32 v1, 20, v1
	s_and_not1_saveexec_b32 s9, s9
	s_cbranch_execnz .LBB174_2095
.LBB174_1914:
	s_or_b32 exec_lo, exec_lo, s9
	v_mov_b32_e32 v7, 0
	s_and_saveexec_b32 s9, s8
.LBB174_1915:
	v_mov_b32_e32 v7, v1
.LBB174_1916:
	s_or_b32 exec_lo, exec_lo, s9
.LBB174_1917:
	s_delay_alu instid0(SALU_CYCLE_1)
	s_or_b32 exec_lo, exec_lo, s7
	global_store_b8 v[2:3], v7, off
.LBB174_1918:
	s_mov_b32 s7, -1
.LBB174_1919:
	s_mov_b32 s8, 0
.LBB174_1920:
	s_delay_alu instid0(SALU_CYCLE_1)
	s_and_b32 vcc_lo, exec_lo, s8
	s_cbranch_vccz .LBB174_1960
; %bb.1921:
	s_cmp_gt_i32 s2, 22
	s_mov_b32 s6, -1
	s_cbranch_scc0 .LBB174_1953
; %bb.1922:
	s_cmp_lt_i32 s2, 24
	s_cbranch_scc1 .LBB174_1942
; %bb.1923:
	s_cmp_gt_i32 s2, 24
	s_cbranch_scc0 .LBB174_1931
; %bb.1924:
	s_wait_xcnt 0x0
	v_cvt_f32_ubyte0_e32 v6, v5
	v_mov_b32_e32 v7, 0x80
	s_mov_b32 s6, exec_lo
	s_delay_alu instid0(VALU_DEP_2)
	v_cmpx_gt_u32_e32 0x47800000, v6
	s_cbranch_execz .LBB174_1930
; %bb.1925:
	s_mov_b32 s7, 0
	s_mov_b32 s8, exec_lo
                                        ; implicit-def: $vgpr1
	v_cmpx_lt_u32_e32 0x37ffffff, v6
	s_xor_b32 s8, exec_lo, s8
	s_cbranch_execz .LBB174_2097
; %bb.1926:
	v_bfe_u32 v1, v6, 21, 1
	s_mov_b32 s7, exec_lo
	s_delay_alu instid0(VALU_DEP_1) | instskip(NEXT) | instid1(VALU_DEP_1)
	v_add3_u32 v1, v6, v1, 0x88fffff
                                        ; implicit-def: $vgpr6
	v_lshrrev_b32_e32 v1, 21, v1
	s_and_not1_saveexec_b32 s8, s8
	s_cbranch_execnz .LBB174_2098
.LBB174_1927:
	s_or_b32 exec_lo, exec_lo, s8
	v_mov_b32_e32 v7, 0
	s_and_saveexec_b32 s8, s7
.LBB174_1928:
	v_mov_b32_e32 v7, v1
.LBB174_1929:
	s_or_b32 exec_lo, exec_lo, s8
.LBB174_1930:
	s_delay_alu instid0(SALU_CYCLE_1)
	s_or_b32 exec_lo, exec_lo, s6
	s_mov_b32 s6, 0
	global_store_b8 v[2:3], v7, off
.LBB174_1931:
	s_and_b32 vcc_lo, exec_lo, s6
	s_cbranch_vccz .LBB174_1941
; %bb.1932:
	s_wait_xcnt 0x0
	v_cvt_f32_ubyte0_e32 v6, v5
	s_mov_b32 s6, exec_lo
                                        ; implicit-def: $vgpr1
	s_delay_alu instid0(VALU_DEP_1)
	v_cmpx_gt_u32_e32 0x43f00000, v6
	s_xor_b32 s6, exec_lo, s6
	s_cbranch_execz .LBB174_1938
; %bb.1933:
	s_mov_b32 s7, exec_lo
                                        ; implicit-def: $vgpr1
	v_cmpx_lt_u32_e32 0x3c7fffff, v6
	s_xor_b32 s7, exec_lo, s7
; %bb.1934:
	v_bfe_u32 v1, v6, 20, 1
	s_delay_alu instid0(VALU_DEP_1) | instskip(NEXT) | instid1(VALU_DEP_1)
	v_add3_u32 v1, v6, v1, 0x407ffff
	v_and_b32_e32 v6, 0xff00000, v1
	v_lshrrev_b32_e32 v1, 20, v1
	s_delay_alu instid0(VALU_DEP_2) | instskip(NEXT) | instid1(VALU_DEP_2)
	v_cmp_ne_u32_e32 vcc_lo, 0x7f00000, v6
                                        ; implicit-def: $vgpr6
	v_cndmask_b32_e32 v1, 0x7e, v1, vcc_lo
; %bb.1935:
	s_and_not1_saveexec_b32 s7, s7
; %bb.1936:
	v_add_f32_e32 v1, 0x46800000, v6
; %bb.1937:
	s_or_b32 exec_lo, exec_lo, s7
                                        ; implicit-def: $vgpr6
.LBB174_1938:
	s_and_not1_saveexec_b32 s6, s6
; %bb.1939:
	v_mov_b32_e32 v1, 0x7f
	v_cmp_lt_u32_e32 vcc_lo, 0x7f800000, v6
	s_delay_alu instid0(VALU_DEP_2)
	v_cndmask_b32_e32 v1, 0x7e, v1, vcc_lo
; %bb.1940:
	s_or_b32 exec_lo, exec_lo, s6
	global_store_b8 v[2:3], v1, off
.LBB174_1941:
	s_mov_b32 s6, 0
.LBB174_1942:
	s_delay_alu instid0(SALU_CYCLE_1)
	s_and_not1_b32 vcc_lo, exec_lo, s6
	s_cbranch_vccnz .LBB174_1952
; %bb.1943:
	s_wait_xcnt 0x0
	v_cvt_f32_ubyte0_e32 v6, v5
	s_mov_b32 s6, exec_lo
                                        ; implicit-def: $vgpr1
	s_delay_alu instid0(VALU_DEP_1)
	v_cmpx_gt_u32_e32 0x47800000, v6
	s_xor_b32 s6, exec_lo, s6
	s_cbranch_execz .LBB174_1949
; %bb.1944:
	s_mov_b32 s7, exec_lo
                                        ; implicit-def: $vgpr1
	v_cmpx_lt_u32_e32 0x387fffff, v6
	s_xor_b32 s7, exec_lo, s7
; %bb.1945:
	v_bfe_u32 v1, v6, 21, 1
	s_delay_alu instid0(VALU_DEP_1) | instskip(NEXT) | instid1(VALU_DEP_1)
	v_add3_u32 v1, v6, v1, 0x80fffff
                                        ; implicit-def: $vgpr6
	v_lshrrev_b32_e32 v1, 21, v1
; %bb.1946:
	s_and_not1_saveexec_b32 s7, s7
; %bb.1947:
	v_add_f32_e32 v1, 0x43000000, v6
; %bb.1948:
	s_or_b32 exec_lo, exec_lo, s7
                                        ; implicit-def: $vgpr6
.LBB174_1949:
	s_and_not1_saveexec_b32 s6, s6
; %bb.1950:
	v_mov_b32_e32 v1, 0x7f
	v_cmp_lt_u32_e32 vcc_lo, 0x7f800000, v6
	s_delay_alu instid0(VALU_DEP_2)
	v_cndmask_b32_e32 v1, 0x7c, v1, vcc_lo
; %bb.1951:
	s_or_b32 exec_lo, exec_lo, s6
	global_store_b8 v[2:3], v1, off
.LBB174_1952:
	s_mov_b32 s6, 0
	s_mov_b32 s7, -1
.LBB174_1953:
	s_and_not1_b32 vcc_lo, exec_lo, s6
	s_mov_b32 s6, 0
	s_cbranch_vccnz .LBB174_1960
; %bb.1954:
	s_cmp_gt_i32 s2, 14
	s_mov_b32 s6, -1
	s_cbranch_scc0 .LBB174_1958
; %bb.1955:
	s_cmp_eq_u32 s2, 15
	s_mov_b32 s0, -1
	s_cbranch_scc0 .LBB174_1957
; %bb.1956:
	s_wait_xcnt 0x0
	v_cvt_f32_ubyte0_e32 v1, v5
	s_mov_b32 s0, 0
	s_mov_b32 s7, -1
	s_delay_alu instid0(VALU_DEP_1) | instskip(NEXT) | instid1(VALU_DEP_1)
	v_bfe_u32 v6, v1, 16, 1
	v_add3_u32 v1, v1, v6, 0x7fff
	global_store_d16_hi_b16 v[2:3], v1, off
.LBB174_1957:
	s_mov_b32 s6, 0
.LBB174_1958:
	s_delay_alu instid0(SALU_CYCLE_1)
	s_and_b32 vcc_lo, exec_lo, s6
	s_mov_b32 s6, 0
	s_cbranch_vccz .LBB174_1960
; %bb.1959:
	s_cmp_lg_u32 s2, 11
	s_mov_b32 s6, -1
	s_cselect_b32 s0, -1, 0
.LBB174_1960:
	s_delay_alu instid0(SALU_CYCLE_1)
	s_and_b32 vcc_lo, exec_lo, s0
	s_cbranch_vccnz .LBB174_2096
; %bb.1961:
	s_and_not1_b32 vcc_lo, exec_lo, s6
	s_cbranch_vccnz .LBB174_1963
.LBB174_1962:
	s_wait_xcnt 0x0
	v_and_b32_e32 v1, 0xff, v5
	s_mov_b32 s7, -1
	s_delay_alu instid0(VALU_DEP_1)
	v_cmp_ne_u16_e32 vcc_lo, 0, v1
	v_cndmask_b32_e64 v1, 0, 1, vcc_lo
	global_store_b8 v[2:3], v1, off
.LBB174_1963:
	s_mov_b32 s0, 0
	s_branch .LBB174_1965
.LBB174_1964:
	s_mov_b32 s0, -1
	s_mov_b32 s7, 0
.LBB174_1965:
	s_and_b32 vcc_lo, exec_lo, s0
	s_cbranch_vccz .LBB174_2004
; %bb.1966:
	s_and_b32 s0, 0xffff, s15
	s_mov_b32 s2, -1
	s_cmp_lt_i32 s0, 5
	s_cbranch_scc1 .LBB174_1987
; %bb.1967:
	s_cmp_lt_i32 s0, 8
	s_cbranch_scc1 .LBB174_1977
; %bb.1968:
	;; [unrolled: 3-line block ×3, first 2 shown]
	s_cmp_gt_i32 s0, 9
	s_cbranch_scc0 .LBB174_1971
; %bb.1970:
	s_wait_xcnt 0x0
	v_and_b32_e32 v1, 0xff, v5
	v_mov_b32_e32 v8, 0
	s_mov_b32 s2, 0
	s_delay_alu instid0(VALU_DEP_2) | instskip(NEXT) | instid1(VALU_DEP_2)
	v_and_b32_e32 v1, 0xffff, v1
	v_mov_b32_e32 v9, v8
	s_delay_alu instid0(VALU_DEP_2)
	v_cvt_f64_u32_e32 v[6:7], v1
	global_store_b128 v[2:3], v[6:9], off
.LBB174_1971:
	s_and_not1_b32 vcc_lo, exec_lo, s2
	s_cbranch_vccnz .LBB174_1973
; %bb.1972:
	s_wait_xcnt 0x0
	v_cvt_f32_ubyte0_e32 v6, v5
	v_mov_b32_e32 v7, 0
	global_store_b64 v[2:3], v[6:7], off
.LBB174_1973:
	s_mov_b32 s2, 0
.LBB174_1974:
	s_delay_alu instid0(SALU_CYCLE_1)
	s_and_not1_b32 vcc_lo, exec_lo, s2
	s_cbranch_vccnz .LBB174_1976
; %bb.1975:
	s_wait_xcnt 0x0
	v_and_b32_e32 v1, 0xff, v5
	s_delay_alu instid0(VALU_DEP_1) | instskip(NEXT) | instid1(VALU_DEP_1)
	v_cvt_f16_u16_e32 v1, v1
	v_and_b32_e32 v1, 0xffff, v1
	global_store_b32 v[2:3], v1, off
.LBB174_1976:
	s_mov_b32 s2, 0
.LBB174_1977:
	s_delay_alu instid0(SALU_CYCLE_1)
	s_and_not1_b32 vcc_lo, exec_lo, s2
	s_cbranch_vccnz .LBB174_1986
; %bb.1978:
	s_cmp_lt_i32 s0, 6
	s_mov_b32 s2, -1
	s_cbranch_scc1 .LBB174_1984
; %bb.1979:
	s_cmp_gt_i32 s0, 6
	s_cbranch_scc0 .LBB174_1981
; %bb.1980:
	s_wait_xcnt 0x0
	v_and_b32_e32 v1, 0xff, v5
	s_mov_b32 s2, 0
	s_delay_alu instid0(VALU_DEP_1) | instskip(NEXT) | instid1(VALU_DEP_1)
	v_and_b32_e32 v1, 0xffff, v1
	v_cvt_f64_u32_e32 v[6:7], v1
	global_store_b64 v[2:3], v[6:7], off
.LBB174_1981:
	s_and_not1_b32 vcc_lo, exec_lo, s2
	s_cbranch_vccnz .LBB174_1983
; %bb.1982:
	s_wait_xcnt 0x0
	v_cvt_f32_ubyte0_e32 v1, v5
	global_store_b32 v[2:3], v1, off
.LBB174_1983:
	s_mov_b32 s2, 0
.LBB174_1984:
	s_delay_alu instid0(SALU_CYCLE_1)
	s_and_not1_b32 vcc_lo, exec_lo, s2
	s_cbranch_vccnz .LBB174_1986
; %bb.1985:
	s_wait_xcnt 0x0
	v_and_b32_e32 v1, 0xff, v5
	s_delay_alu instid0(VALU_DEP_1)
	v_cvt_f16_u16_e32 v1, v1
	global_store_b16 v[2:3], v1, off
.LBB174_1986:
	s_mov_b32 s2, 0
.LBB174_1987:
	s_delay_alu instid0(SALU_CYCLE_1)
	s_and_not1_b32 vcc_lo, exec_lo, s2
	s_cbranch_vccnz .LBB174_2003
; %bb.1988:
	s_cmp_lt_i32 s0, 2
	s_mov_b32 s2, -1
	s_cbranch_scc1 .LBB174_1998
; %bb.1989:
	s_cmp_lt_i32 s0, 3
	s_cbranch_scc1 .LBB174_1995
; %bb.1990:
	s_cmp_gt_i32 s0, 3
	s_cbranch_scc0 .LBB174_1992
; %bb.1991:
	s_wait_xcnt 0x0
	v_and_b32_e32 v6, 0xff, v5
	v_mov_b32_e32 v7, 0
	s_mov_b32 s2, 0
	global_store_b64 v[2:3], v[6:7], off
.LBB174_1992:
	s_and_not1_b32 vcc_lo, exec_lo, s2
	s_cbranch_vccnz .LBB174_1994
; %bb.1993:
	s_wait_xcnt 0x0
	v_and_b32_e32 v1, 0xff, v5
	global_store_b32 v[2:3], v1, off
.LBB174_1994:
	s_mov_b32 s2, 0
.LBB174_1995:
	s_delay_alu instid0(SALU_CYCLE_1)
	s_and_not1_b32 vcc_lo, exec_lo, s2
	s_cbranch_vccnz .LBB174_1997
; %bb.1996:
	s_wait_xcnt 0x0
	v_and_b32_e32 v1, 0xff, v5
	global_store_b16 v[2:3], v1, off
.LBB174_1997:
	s_mov_b32 s2, 0
.LBB174_1998:
	s_delay_alu instid0(SALU_CYCLE_1)
	s_and_not1_b32 vcc_lo, exec_lo, s2
	s_cbranch_vccnz .LBB174_2003
; %bb.1999:
	s_cmp_gt_i32 s0, 0
	s_mov_b32 s0, -1
	s_cbranch_scc0 .LBB174_2001
; %bb.2000:
	s_mov_b32 s0, 0
	global_store_b8 v[2:3], v5, off
.LBB174_2001:
	s_and_not1_b32 vcc_lo, exec_lo, s0
	s_cbranch_vccnz .LBB174_2003
; %bb.2002:
	global_store_b8 v[2:3], v5, off
.LBB174_2003:
	s_mov_b32 s7, -1
.LBB174_2004:
	s_delay_alu instid0(SALU_CYCLE_1)
	s_and_not1_b32 vcc_lo, exec_lo, s7
	s_cbranch_vccnz .LBB174_2081
; %bb.2005:
	v_add_nc_u32_e32 v0, s1, v0
	s_cmp_lt_i32 s15, 11
	s_wait_xcnt 0x0
	s_delay_alu instid0(VALU_DEP_1) | instskip(NEXT) | instid1(VALU_DEP_1)
	v_ashrrev_i32_e32 v1, 31, v0
	v_add_nc_u64_e32 v[0:1], s[4:5], v[0:1]
	s_cbranch_scc1 .LBB174_2082
; %bb.2006:
	s_and_b32 s1, 0xffff, s15
	s_mov_b32 s4, -1
	s_mov_b32 s2, 0
	s_cmp_gt_i32 s1, 25
	s_mov_b32 s0, 0
	s_cbranch_scc0 .LBB174_2039
; %bb.2007:
	s_cmp_gt_i32 s1, 28
	s_cbranch_scc0 .LBB174_2023
; %bb.2008:
	s_cmp_gt_i32 s1, 43
	;; [unrolled: 3-line block ×3, first 2 shown]
	s_cbranch_scc0 .LBB174_2013
; %bb.2010:
	s_cmp_eq_u32 s1, 46
	s_mov_b32 s0, -1
	s_cbranch_scc0 .LBB174_2012
; %bb.2011:
	v_cvt_f32_ubyte0_e32 v2, v4
	s_mov_b32 s0, 0
	s_delay_alu instid0(VALU_DEP_1) | instskip(NEXT) | instid1(VALU_DEP_1)
	v_bfe_u32 v3, v2, 16, 1
	v_add3_u32 v2, v2, v3, 0x7fff
	s_delay_alu instid0(VALU_DEP_1)
	v_lshrrev_b32_e32 v2, 16, v2
	global_store_b32 v[0:1], v2, off
.LBB174_2012:
	s_mov_b32 s4, 0
.LBB174_2013:
	s_delay_alu instid0(SALU_CYCLE_1)
	s_and_b32 vcc_lo, exec_lo, s4
	s_cbranch_vccz .LBB174_2018
; %bb.2014:
	s_cmp_eq_u32 s1, 44
	s_mov_b32 s0, -1
	s_cbranch_scc0 .LBB174_2018
; %bb.2015:
	v_cvt_f32_ubyte0_e32 v5, v4
	s_mov_b32 s4, exec_lo
	s_wait_xcnt 0x0
	s_delay_alu instid0(VALU_DEP_1) | instskip(NEXT) | instid1(VALU_DEP_1)
	v_dual_mov_b32 v3, 0xff :: v_dual_lshrrev_b32 v2, 23, v5
	v_cmpx_ne_u32_e32 0xff, v2
; %bb.2016:
	v_and_b32_e32 v3, 0x400000, v5
	v_and_or_b32 v5, 0x3fffff, v5, v2
	s_delay_alu instid0(VALU_DEP_2) | instskip(NEXT) | instid1(VALU_DEP_2)
	v_cmp_ne_u32_e32 vcc_lo, 0, v3
	v_cmp_ne_u32_e64 s0, 0, v5
	s_and_b32 s0, vcc_lo, s0
	s_delay_alu instid0(SALU_CYCLE_1) | instskip(NEXT) | instid1(VALU_DEP_1)
	v_cndmask_b32_e64 v3, 0, 1, s0
	v_add_nc_u32_e32 v3, v2, v3
; %bb.2017:
	s_or_b32 exec_lo, exec_lo, s4
	s_mov_b32 s0, 0
	global_store_b8 v[0:1], v3, off
.LBB174_2018:
	s_mov_b32 s4, 0
.LBB174_2019:
	s_delay_alu instid0(SALU_CYCLE_1)
	s_and_b32 vcc_lo, exec_lo, s4
	s_cbranch_vccz .LBB174_2022
; %bb.2020:
	s_cmp_eq_u32 s1, 29
	s_mov_b32 s0, -1
	s_cbranch_scc0 .LBB174_2022
; %bb.2021:
	s_wait_xcnt 0x0
	v_and_b32_e32 v2, 0xff, v4
	v_mov_b32_e32 v3, 0
	s_mov_b32 s0, 0
	global_store_b64 v[0:1], v[2:3], off
.LBB174_2022:
	s_mov_b32 s4, 0
.LBB174_2023:
	s_delay_alu instid0(SALU_CYCLE_1)
	s_and_b32 vcc_lo, exec_lo, s4
	s_cbranch_vccz .LBB174_2038
; %bb.2024:
	s_cmp_lt_i32 s1, 27
	s_mov_b32 s4, -1
	s_cbranch_scc1 .LBB174_2030
; %bb.2025:
	s_wait_xcnt 0x0
	v_and_b32_e32 v2, 0xff, v4
	s_cmp_gt_i32 s1, 27
	s_cbranch_scc0 .LBB174_2027
; %bb.2026:
	s_mov_b32 s4, 0
	global_store_b32 v[0:1], v2, off
.LBB174_2027:
	s_and_not1_b32 vcc_lo, exec_lo, s4
	s_cbranch_vccnz .LBB174_2029
; %bb.2028:
	global_store_b16 v[0:1], v2, off
.LBB174_2029:
	s_mov_b32 s4, 0
.LBB174_2030:
	s_delay_alu instid0(SALU_CYCLE_1)
	s_and_not1_b32 vcc_lo, exec_lo, s4
	s_cbranch_vccnz .LBB174_2038
; %bb.2031:
	s_wait_xcnt 0x0
	v_cvt_f32_ubyte0_e32 v3, v4
	v_mov_b32_e32 v5, 0x80
	s_mov_b32 s4, exec_lo
	s_delay_alu instid0(VALU_DEP_2)
	v_cmpx_gt_u32_e32 0x43800000, v3
	s_cbranch_execz .LBB174_2037
; %bb.2032:
	s_mov_b32 s5, 0
	s_mov_b32 s6, exec_lo
                                        ; implicit-def: $vgpr2
	v_cmpx_lt_u32_e32 0x3bffffff, v3
	s_xor_b32 s6, exec_lo, s6
	s_cbranch_execz .LBB174_2099
; %bb.2033:
	v_bfe_u32 v2, v3, 20, 1
	s_mov_b32 s5, exec_lo
	s_delay_alu instid0(VALU_DEP_1) | instskip(NEXT) | instid1(VALU_DEP_1)
	v_add3_u32 v2, v3, v2, 0x487ffff
                                        ; implicit-def: $vgpr3
	v_lshrrev_b32_e32 v2, 20, v2
	s_and_not1_saveexec_b32 s6, s6
	s_cbranch_execnz .LBB174_2100
.LBB174_2034:
	s_or_b32 exec_lo, exec_lo, s6
	v_mov_b32_e32 v5, 0
	s_and_saveexec_b32 s6, s5
.LBB174_2035:
	v_mov_b32_e32 v5, v2
.LBB174_2036:
	s_or_b32 exec_lo, exec_lo, s6
.LBB174_2037:
	s_delay_alu instid0(SALU_CYCLE_1)
	s_or_b32 exec_lo, exec_lo, s4
	global_store_b8 v[0:1], v5, off
.LBB174_2038:
	s_mov_b32 s4, 0
.LBB174_2039:
	s_delay_alu instid0(SALU_CYCLE_1)
	s_and_b32 vcc_lo, exec_lo, s4
	s_cbranch_vccz .LBB174_2079
; %bb.2040:
	s_cmp_gt_i32 s1, 22
	s_mov_b32 s2, -1
	s_cbranch_scc0 .LBB174_2072
; %bb.2041:
	s_cmp_lt_i32 s1, 24
	s_cbranch_scc1 .LBB174_2061
; %bb.2042:
	s_cmp_gt_i32 s1, 24
	s_cbranch_scc0 .LBB174_2050
; %bb.2043:
	s_wait_xcnt 0x0
	v_cvt_f32_ubyte0_e32 v3, v4
	v_mov_b32_e32 v5, 0x80
	s_mov_b32 s2, exec_lo
	s_delay_alu instid0(VALU_DEP_2)
	v_cmpx_gt_u32_e32 0x47800000, v3
	s_cbranch_execz .LBB174_2049
; %bb.2044:
	s_mov_b32 s4, 0
	s_mov_b32 s5, exec_lo
                                        ; implicit-def: $vgpr2
	v_cmpx_lt_u32_e32 0x37ffffff, v3
	s_xor_b32 s5, exec_lo, s5
	s_cbranch_execz .LBB174_2102
; %bb.2045:
	v_bfe_u32 v2, v3, 21, 1
	s_mov_b32 s4, exec_lo
	s_delay_alu instid0(VALU_DEP_1) | instskip(NEXT) | instid1(VALU_DEP_1)
	v_add3_u32 v2, v3, v2, 0x88fffff
                                        ; implicit-def: $vgpr3
	v_lshrrev_b32_e32 v2, 21, v2
	s_and_not1_saveexec_b32 s5, s5
	s_cbranch_execnz .LBB174_2103
.LBB174_2046:
	s_or_b32 exec_lo, exec_lo, s5
	v_mov_b32_e32 v5, 0
	s_and_saveexec_b32 s5, s4
.LBB174_2047:
	v_mov_b32_e32 v5, v2
.LBB174_2048:
	s_or_b32 exec_lo, exec_lo, s5
.LBB174_2049:
	s_delay_alu instid0(SALU_CYCLE_1)
	s_or_b32 exec_lo, exec_lo, s2
	s_mov_b32 s2, 0
	global_store_b8 v[0:1], v5, off
.LBB174_2050:
	s_and_b32 vcc_lo, exec_lo, s2
	s_cbranch_vccz .LBB174_2060
; %bb.2051:
	s_wait_xcnt 0x0
	v_cvt_f32_ubyte0_e32 v3, v4
	s_mov_b32 s2, exec_lo
                                        ; implicit-def: $vgpr2
	s_delay_alu instid0(VALU_DEP_1)
	v_cmpx_gt_u32_e32 0x43f00000, v3
	s_xor_b32 s2, exec_lo, s2
	s_cbranch_execz .LBB174_2057
; %bb.2052:
	s_mov_b32 s4, exec_lo
                                        ; implicit-def: $vgpr2
	v_cmpx_lt_u32_e32 0x3c7fffff, v3
	s_xor_b32 s4, exec_lo, s4
; %bb.2053:
	v_bfe_u32 v2, v3, 20, 1
	s_delay_alu instid0(VALU_DEP_1) | instskip(NEXT) | instid1(VALU_DEP_1)
	v_add3_u32 v2, v3, v2, 0x407ffff
	v_and_b32_e32 v3, 0xff00000, v2
	v_lshrrev_b32_e32 v2, 20, v2
	s_delay_alu instid0(VALU_DEP_2) | instskip(NEXT) | instid1(VALU_DEP_2)
	v_cmp_ne_u32_e32 vcc_lo, 0x7f00000, v3
                                        ; implicit-def: $vgpr3
	v_cndmask_b32_e32 v2, 0x7e, v2, vcc_lo
; %bb.2054:
	s_and_not1_saveexec_b32 s4, s4
; %bb.2055:
	v_add_f32_e32 v2, 0x46800000, v3
; %bb.2056:
	s_or_b32 exec_lo, exec_lo, s4
                                        ; implicit-def: $vgpr3
.LBB174_2057:
	s_and_not1_saveexec_b32 s2, s2
; %bb.2058:
	v_mov_b32_e32 v2, 0x7f
	v_cmp_lt_u32_e32 vcc_lo, 0x7f800000, v3
	s_delay_alu instid0(VALU_DEP_2)
	v_cndmask_b32_e32 v2, 0x7e, v2, vcc_lo
; %bb.2059:
	s_or_b32 exec_lo, exec_lo, s2
	global_store_b8 v[0:1], v2, off
.LBB174_2060:
	s_mov_b32 s2, 0
.LBB174_2061:
	s_delay_alu instid0(SALU_CYCLE_1)
	s_and_not1_b32 vcc_lo, exec_lo, s2
	s_cbranch_vccnz .LBB174_2071
; %bb.2062:
	s_wait_xcnt 0x0
	v_cvt_f32_ubyte0_e32 v3, v4
	s_mov_b32 s2, exec_lo
                                        ; implicit-def: $vgpr2
	s_delay_alu instid0(VALU_DEP_1)
	v_cmpx_gt_u32_e32 0x47800000, v3
	s_xor_b32 s2, exec_lo, s2
	s_cbranch_execz .LBB174_2068
; %bb.2063:
	s_mov_b32 s4, exec_lo
                                        ; implicit-def: $vgpr2
	v_cmpx_lt_u32_e32 0x387fffff, v3
	s_xor_b32 s4, exec_lo, s4
; %bb.2064:
	v_bfe_u32 v2, v3, 21, 1
	s_delay_alu instid0(VALU_DEP_1) | instskip(NEXT) | instid1(VALU_DEP_1)
	v_add3_u32 v2, v3, v2, 0x80fffff
                                        ; implicit-def: $vgpr3
	v_lshrrev_b32_e32 v2, 21, v2
; %bb.2065:
	s_and_not1_saveexec_b32 s4, s4
; %bb.2066:
	v_add_f32_e32 v2, 0x43000000, v3
; %bb.2067:
	s_or_b32 exec_lo, exec_lo, s4
                                        ; implicit-def: $vgpr3
.LBB174_2068:
	s_and_not1_saveexec_b32 s2, s2
; %bb.2069:
	v_mov_b32_e32 v2, 0x7f
	v_cmp_lt_u32_e32 vcc_lo, 0x7f800000, v3
	s_delay_alu instid0(VALU_DEP_2)
	v_cndmask_b32_e32 v2, 0x7c, v2, vcc_lo
; %bb.2070:
	s_or_b32 exec_lo, exec_lo, s2
	global_store_b8 v[0:1], v2, off
.LBB174_2071:
	s_mov_b32 s2, 0
.LBB174_2072:
	s_delay_alu instid0(SALU_CYCLE_1)
	s_and_not1_b32 vcc_lo, exec_lo, s2
	s_mov_b32 s2, 0
	s_cbranch_vccnz .LBB174_2079
; %bb.2073:
	s_cmp_gt_i32 s1, 14
	s_mov_b32 s2, -1
	s_cbranch_scc0 .LBB174_2077
; %bb.2074:
	s_cmp_eq_u32 s1, 15
	s_mov_b32 s0, -1
	s_cbranch_scc0 .LBB174_2076
; %bb.2075:
	s_wait_xcnt 0x0
	v_cvt_f32_ubyte0_e32 v2, v4
	s_mov_b32 s0, 0
	s_delay_alu instid0(VALU_DEP_1) | instskip(NEXT) | instid1(VALU_DEP_1)
	v_bfe_u32 v3, v2, 16, 1
	v_add3_u32 v2, v2, v3, 0x7fff
	global_store_d16_hi_b16 v[0:1], v2, off
.LBB174_2076:
	s_mov_b32 s2, 0
.LBB174_2077:
	s_delay_alu instid0(SALU_CYCLE_1)
	s_and_b32 vcc_lo, exec_lo, s2
	s_mov_b32 s2, 0
	s_cbranch_vccz .LBB174_2079
; %bb.2078:
	s_cmp_lg_u32 s1, 11
	s_mov_b32 s2, -1
	s_cselect_b32 s0, -1, 0
.LBB174_2079:
	s_delay_alu instid0(SALU_CYCLE_1)
	s_and_b32 vcc_lo, exec_lo, s0
	s_cbranch_vccnz .LBB174_2101
.LBB174_2080:
	s_mov_b32 s0, 0
	s_branch .LBB174_1595
.LBB174_2081:
	s_mov_b32 s0, 0
	s_mov_b32 s2, 0
                                        ; implicit-def: $sgpr15
                                        ; implicit-def: $vgpr0_vgpr1
	s_branch .LBB174_1595
.LBB174_2082:
	s_mov_b32 s2, 0
	s_mov_b32 s0, -1
	s_branch .LBB174_1595
.LBB174_2083:
	s_or_b32 s3, s3, exec_lo
	s_trap 2
	s_cbranch_execz .LBB174_1539
	s_branch .LBB174_1540
.LBB174_2084:
	s_and_not1_saveexec_b32 s9, s9
	s_cbranch_execz .LBB174_1674
.LBB174_2085:
	v_add_f32_e32 v1, 0x46000000, v6
	s_and_not1_b32 s7, s7, exec_lo
	s_delay_alu instid0(VALU_DEP_1) | instskip(NEXT) | instid1(VALU_DEP_1)
	v_and_b32_e32 v1, 0xff, v1
	v_cmp_ne_u32_e32 vcc_lo, 0, v1
	s_and_b32 s10, vcc_lo, exec_lo
	s_delay_alu instid0(SALU_CYCLE_1)
	s_or_b32 s7, s7, s10
	s_or_b32 exec_lo, exec_lo, s9
	v_mov_b32_e32 v9, 0
	s_and_saveexec_b32 s9, s7
	s_cbranch_execnz .LBB174_1675
	s_branch .LBB174_1676
.LBB174_2086:
	s_or_b32 s3, s3, exec_lo
	s_trap 2
	s_cbranch_execz .LBB174_1722
	s_branch .LBB174_1723
.LBB174_2087:
	s_and_not1_saveexec_b32 s7, s7
	s_cbranch_execz .LBB174_1687
.LBB174_2088:
	v_add_f32_e32 v1, 0x42800000, v6
	s_and_not1_b32 s6, s6, exec_lo
	s_delay_alu instid0(VALU_DEP_1) | instskip(NEXT) | instid1(VALU_DEP_1)
	v_and_b32_e32 v1, 0xff, v1
	v_cmp_ne_u32_e32 vcc_lo, 0, v1
	s_and_b32 s9, vcc_lo, exec_lo
	s_delay_alu instid0(SALU_CYCLE_1)
	s_or_b32 s6, s6, s9
	s_or_b32 exec_lo, exec_lo, s7
	v_mov_b32_e32 v9, 0
	s_and_saveexec_b32 s7, s6
	s_cbranch_execnz .LBB174_1688
	s_branch .LBB174_1689
.LBB174_2089:
	s_and_not1_saveexec_b32 s9, s9
	s_cbranch_execz .LBB174_1795
.LBB174_2090:
	v_add_f32_e32 v1, 0x46000000, v6
	s_and_not1_b32 s8, s8, exec_lo
	s_delay_alu instid0(VALU_DEP_1) | instskip(NEXT) | instid1(VALU_DEP_1)
	v_and_b32_e32 v1, 0xff, v1
	v_cmp_ne_u32_e32 vcc_lo, 0, v1
	s_and_b32 s10, vcc_lo, exec_lo
	s_delay_alu instid0(SALU_CYCLE_1)
	s_or_b32 s8, s8, s10
	s_or_b32 exec_lo, exec_lo, s9
	v_mov_b32_e32 v7, 0
	s_and_saveexec_b32 s9, s8
	s_cbranch_execnz .LBB174_1796
	s_branch .LBB174_1797
.LBB174_2091:
	s_or_b32 s3, s3, exec_lo
	s_trap 2
	s_cbranch_execz .LBB174_1843
	s_branch .LBB174_1844
.LBB174_2092:
	s_and_not1_saveexec_b32 s8, s8
	s_cbranch_execz .LBB174_1808
.LBB174_2093:
	v_add_f32_e32 v1, 0x42800000, v6
	s_and_not1_b32 s7, s7, exec_lo
	s_delay_alu instid0(VALU_DEP_1) | instskip(NEXT) | instid1(VALU_DEP_1)
	v_and_b32_e32 v1, 0xff, v1
	v_cmp_ne_u32_e32 vcc_lo, 0, v1
	s_and_b32 s9, vcc_lo, exec_lo
	s_delay_alu instid0(SALU_CYCLE_1)
	s_or_b32 s7, s7, s9
	s_or_b32 exec_lo, exec_lo, s8
	v_mov_b32_e32 v7, 0
	s_and_saveexec_b32 s8, s7
	s_cbranch_execnz .LBB174_1809
	s_branch .LBB174_1810
.LBB174_2094:
	s_and_not1_saveexec_b32 s9, s9
	s_cbranch_execz .LBB174_1914
.LBB174_2095:
	v_add_f32_e32 v1, 0x46000000, v6
	s_and_not1_b32 s8, s8, exec_lo
	s_delay_alu instid0(VALU_DEP_1) | instskip(NEXT) | instid1(VALU_DEP_1)
	v_and_b32_e32 v1, 0xff, v1
	v_cmp_ne_u32_e32 vcc_lo, 0, v1
	s_and_b32 s10, vcc_lo, exec_lo
	s_delay_alu instid0(SALU_CYCLE_1)
	s_or_b32 s8, s8, s10
	s_or_b32 exec_lo, exec_lo, s9
	v_mov_b32_e32 v7, 0
	s_and_saveexec_b32 s9, s8
	s_cbranch_execnz .LBB174_1915
	s_branch .LBB174_1916
.LBB174_2096:
	s_or_b32 s3, s3, exec_lo
	s_trap 2
	s_cbranch_execz .LBB174_1962
	s_branch .LBB174_1963
.LBB174_2097:
	s_and_not1_saveexec_b32 s8, s8
	s_cbranch_execz .LBB174_1927
.LBB174_2098:
	v_add_f32_e32 v1, 0x42800000, v6
	s_and_not1_b32 s7, s7, exec_lo
	s_delay_alu instid0(VALU_DEP_1) | instskip(NEXT) | instid1(VALU_DEP_1)
	v_and_b32_e32 v1, 0xff, v1
	v_cmp_ne_u32_e32 vcc_lo, 0, v1
	s_and_b32 s9, vcc_lo, exec_lo
	s_delay_alu instid0(SALU_CYCLE_1)
	s_or_b32 s7, s7, s9
	s_or_b32 exec_lo, exec_lo, s8
	v_mov_b32_e32 v7, 0
	s_and_saveexec_b32 s8, s7
	s_cbranch_execnz .LBB174_1928
	s_branch .LBB174_1929
.LBB174_2099:
	s_and_not1_saveexec_b32 s6, s6
	s_cbranch_execz .LBB174_2034
.LBB174_2100:
	v_add_f32_e32 v2, 0x46000000, v3
	s_and_not1_b32 s5, s5, exec_lo
	s_delay_alu instid0(VALU_DEP_1) | instskip(NEXT) | instid1(VALU_DEP_1)
	v_and_b32_e32 v2, 0xff, v2
	v_cmp_ne_u32_e32 vcc_lo, 0, v2
	s_and_b32 s7, vcc_lo, exec_lo
	s_delay_alu instid0(SALU_CYCLE_1)
	s_or_b32 s5, s5, s7
	s_or_b32 exec_lo, exec_lo, s6
	v_mov_b32_e32 v5, 0
	s_and_saveexec_b32 s6, s5
	s_cbranch_execnz .LBB174_2035
	s_branch .LBB174_2036
.LBB174_2101:
	s_mov_b32 s2, 0
	s_or_b32 s3, s3, exec_lo
	s_trap 2
	s_branch .LBB174_2080
.LBB174_2102:
	s_and_not1_saveexec_b32 s5, s5
	s_cbranch_execz .LBB174_2046
.LBB174_2103:
	v_add_f32_e32 v2, 0x42800000, v3
	s_and_not1_b32 s4, s4, exec_lo
	s_delay_alu instid0(VALU_DEP_1) | instskip(NEXT) | instid1(VALU_DEP_1)
	v_and_b32_e32 v2, 0xff, v2
	v_cmp_ne_u32_e32 vcc_lo, 0, v2
	s_and_b32 s6, vcc_lo, exec_lo
	s_delay_alu instid0(SALU_CYCLE_1)
	s_or_b32 s4, s4, s6
	s_or_b32 exec_lo, exec_lo, s5
	v_mov_b32_e32 v5, 0
	s_and_saveexec_b32 s5, s4
	s_cbranch_execnz .LBB174_2047
	s_branch .LBB174_2048
	.section	.rodata,"a",@progbits
	.p2align	6, 0x0
	.amdhsa_kernel _ZN2at6native32elementwise_kernel_manual_unrollILi128ELi4EZNS0_15gpu_kernel_implIZZZNS0_12_GLOBAL__N_119launch_clamp_scalarERNS_18TensorIteratorBaseEN3c106ScalarES7_NS0_6detail11ClampLimitsEENKUlvE_clEvENKUlvE_clEvEUlhE_EEvS5_RKT_EUlibE_EEviT1_
		.amdhsa_group_segment_fixed_size 0
		.amdhsa_private_segment_fixed_size 0
		.amdhsa_kernarg_size 48
		.amdhsa_user_sgpr_count 2
		.amdhsa_user_sgpr_dispatch_ptr 0
		.amdhsa_user_sgpr_queue_ptr 0
		.amdhsa_user_sgpr_kernarg_segment_ptr 1
		.amdhsa_user_sgpr_dispatch_id 0
		.amdhsa_user_sgpr_kernarg_preload_length 0
		.amdhsa_user_sgpr_kernarg_preload_offset 0
		.amdhsa_user_sgpr_private_segment_size 0
		.amdhsa_wavefront_size32 1
		.amdhsa_uses_dynamic_stack 0
		.amdhsa_enable_private_segment 0
		.amdhsa_system_sgpr_workgroup_id_x 1
		.amdhsa_system_sgpr_workgroup_id_y 0
		.amdhsa_system_sgpr_workgroup_id_z 0
		.amdhsa_system_sgpr_workgroup_info 0
		.amdhsa_system_vgpr_workitem_id 0
		.amdhsa_next_free_vgpr 14
		.amdhsa_next_free_sgpr 29
		.amdhsa_named_barrier_count 0
		.amdhsa_reserve_vcc 1
		.amdhsa_float_round_mode_32 0
		.amdhsa_float_round_mode_16_64 0
		.amdhsa_float_denorm_mode_32 3
		.amdhsa_float_denorm_mode_16_64 3
		.amdhsa_fp16_overflow 0
		.amdhsa_memory_ordered 1
		.amdhsa_forward_progress 1
		.amdhsa_inst_pref_size 255
		.amdhsa_round_robin_scheduling 0
		.amdhsa_exception_fp_ieee_invalid_op 0
		.amdhsa_exception_fp_denorm_src 0
		.amdhsa_exception_fp_ieee_div_zero 0
		.amdhsa_exception_fp_ieee_overflow 0
		.amdhsa_exception_fp_ieee_underflow 0
		.amdhsa_exception_fp_ieee_inexact 0
		.amdhsa_exception_int_div_zero 0
	.end_amdhsa_kernel
	.section	.text._ZN2at6native32elementwise_kernel_manual_unrollILi128ELi4EZNS0_15gpu_kernel_implIZZZNS0_12_GLOBAL__N_119launch_clamp_scalarERNS_18TensorIteratorBaseEN3c106ScalarES7_NS0_6detail11ClampLimitsEENKUlvE_clEvENKUlvE_clEvEUlhE_EEvS5_RKT_EUlibE_EEviT1_,"axG",@progbits,_ZN2at6native32elementwise_kernel_manual_unrollILi128ELi4EZNS0_15gpu_kernel_implIZZZNS0_12_GLOBAL__N_119launch_clamp_scalarERNS_18TensorIteratorBaseEN3c106ScalarES7_NS0_6detail11ClampLimitsEENKUlvE_clEvENKUlvE_clEvEUlhE_EEvS5_RKT_EUlibE_EEviT1_,comdat
.Lfunc_end174:
	.size	_ZN2at6native32elementwise_kernel_manual_unrollILi128ELi4EZNS0_15gpu_kernel_implIZZZNS0_12_GLOBAL__N_119launch_clamp_scalarERNS_18TensorIteratorBaseEN3c106ScalarES7_NS0_6detail11ClampLimitsEENKUlvE_clEvENKUlvE_clEvEUlhE_EEvS5_RKT_EUlibE_EEviT1_, .Lfunc_end174-_ZN2at6native32elementwise_kernel_manual_unrollILi128ELi4EZNS0_15gpu_kernel_implIZZZNS0_12_GLOBAL__N_119launch_clamp_scalarERNS_18TensorIteratorBaseEN3c106ScalarES7_NS0_6detail11ClampLimitsEENKUlvE_clEvENKUlvE_clEvEUlhE_EEvS5_RKT_EUlibE_EEviT1_
                                        ; -- End function
	.set _ZN2at6native32elementwise_kernel_manual_unrollILi128ELi4EZNS0_15gpu_kernel_implIZZZNS0_12_GLOBAL__N_119launch_clamp_scalarERNS_18TensorIteratorBaseEN3c106ScalarES7_NS0_6detail11ClampLimitsEENKUlvE_clEvENKUlvE_clEvEUlhE_EEvS5_RKT_EUlibE_EEviT1_.num_vgpr, 14
	.set _ZN2at6native32elementwise_kernel_manual_unrollILi128ELi4EZNS0_15gpu_kernel_implIZZZNS0_12_GLOBAL__N_119launch_clamp_scalarERNS_18TensorIteratorBaseEN3c106ScalarES7_NS0_6detail11ClampLimitsEENKUlvE_clEvENKUlvE_clEvEUlhE_EEvS5_RKT_EUlibE_EEviT1_.num_agpr, 0
	.set _ZN2at6native32elementwise_kernel_manual_unrollILi128ELi4EZNS0_15gpu_kernel_implIZZZNS0_12_GLOBAL__N_119launch_clamp_scalarERNS_18TensorIteratorBaseEN3c106ScalarES7_NS0_6detail11ClampLimitsEENKUlvE_clEvENKUlvE_clEvEUlhE_EEvS5_RKT_EUlibE_EEviT1_.numbered_sgpr, 29
	.set _ZN2at6native32elementwise_kernel_manual_unrollILi128ELi4EZNS0_15gpu_kernel_implIZZZNS0_12_GLOBAL__N_119launch_clamp_scalarERNS_18TensorIteratorBaseEN3c106ScalarES7_NS0_6detail11ClampLimitsEENKUlvE_clEvENKUlvE_clEvEUlhE_EEvS5_RKT_EUlibE_EEviT1_.num_named_barrier, 0
	.set _ZN2at6native32elementwise_kernel_manual_unrollILi128ELi4EZNS0_15gpu_kernel_implIZZZNS0_12_GLOBAL__N_119launch_clamp_scalarERNS_18TensorIteratorBaseEN3c106ScalarES7_NS0_6detail11ClampLimitsEENKUlvE_clEvENKUlvE_clEvEUlhE_EEvS5_RKT_EUlibE_EEviT1_.private_seg_size, 0
	.set _ZN2at6native32elementwise_kernel_manual_unrollILi128ELi4EZNS0_15gpu_kernel_implIZZZNS0_12_GLOBAL__N_119launch_clamp_scalarERNS_18TensorIteratorBaseEN3c106ScalarES7_NS0_6detail11ClampLimitsEENKUlvE_clEvENKUlvE_clEvEUlhE_EEvS5_RKT_EUlibE_EEviT1_.uses_vcc, 1
	.set _ZN2at6native32elementwise_kernel_manual_unrollILi128ELi4EZNS0_15gpu_kernel_implIZZZNS0_12_GLOBAL__N_119launch_clamp_scalarERNS_18TensorIteratorBaseEN3c106ScalarES7_NS0_6detail11ClampLimitsEENKUlvE_clEvENKUlvE_clEvEUlhE_EEvS5_RKT_EUlibE_EEviT1_.uses_flat_scratch, 0
	.set _ZN2at6native32elementwise_kernel_manual_unrollILi128ELi4EZNS0_15gpu_kernel_implIZZZNS0_12_GLOBAL__N_119launch_clamp_scalarERNS_18TensorIteratorBaseEN3c106ScalarES7_NS0_6detail11ClampLimitsEENKUlvE_clEvENKUlvE_clEvEUlhE_EEvS5_RKT_EUlibE_EEviT1_.has_dyn_sized_stack, 0
	.set _ZN2at6native32elementwise_kernel_manual_unrollILi128ELi4EZNS0_15gpu_kernel_implIZZZNS0_12_GLOBAL__N_119launch_clamp_scalarERNS_18TensorIteratorBaseEN3c106ScalarES7_NS0_6detail11ClampLimitsEENKUlvE_clEvENKUlvE_clEvEUlhE_EEvS5_RKT_EUlibE_EEviT1_.has_recursion, 0
	.set _ZN2at6native32elementwise_kernel_manual_unrollILi128ELi4EZNS0_15gpu_kernel_implIZZZNS0_12_GLOBAL__N_119launch_clamp_scalarERNS_18TensorIteratorBaseEN3c106ScalarES7_NS0_6detail11ClampLimitsEENKUlvE_clEvENKUlvE_clEvEUlhE_EEvS5_RKT_EUlibE_EEviT1_.has_indirect_call, 0
	.section	.AMDGPU.csdata,"",@progbits
; Kernel info:
; codeLenInByte = 40416
; TotalNumSgprs: 31
; NumVgprs: 14
; ScratchSize: 0
; MemoryBound: 1
; FloatMode: 240
; IeeeMode: 1
; LDSByteSize: 0 bytes/workgroup (compile time only)
; SGPRBlocks: 0
; VGPRBlocks: 0
; NumSGPRsForWavesPerEU: 31
; NumVGPRsForWavesPerEU: 14
; NamedBarCnt: 0
; Occupancy: 16
; WaveLimiterHint : 0
; COMPUTE_PGM_RSRC2:SCRATCH_EN: 0
; COMPUTE_PGM_RSRC2:USER_SGPR: 2
; COMPUTE_PGM_RSRC2:TRAP_HANDLER: 0
; COMPUTE_PGM_RSRC2:TGID_X_EN: 1
; COMPUTE_PGM_RSRC2:TGID_Y_EN: 0
; COMPUTE_PGM_RSRC2:TGID_Z_EN: 0
; COMPUTE_PGM_RSRC2:TIDIG_COMP_CNT: 0
	.section	.text._ZN2at6native32elementwise_kernel_manual_unrollILi128ELi4EZNS0_15gpu_kernel_implIZZZNS0_12_GLOBAL__N_119launch_clamp_scalarERNS_18TensorIteratorBaseEN3c106ScalarES7_NS0_6detail11ClampLimitsEENKUlvE_clEvENKUlvE_clEvEUlhE_EEvS5_RKT_EUlibE0_EEviT1_,"axG",@progbits,_ZN2at6native32elementwise_kernel_manual_unrollILi128ELi4EZNS0_15gpu_kernel_implIZZZNS0_12_GLOBAL__N_119launch_clamp_scalarERNS_18TensorIteratorBaseEN3c106ScalarES7_NS0_6detail11ClampLimitsEENKUlvE_clEvENKUlvE_clEvEUlhE_EEvS5_RKT_EUlibE0_EEviT1_,comdat
	.globl	_ZN2at6native32elementwise_kernel_manual_unrollILi128ELi4EZNS0_15gpu_kernel_implIZZZNS0_12_GLOBAL__N_119launch_clamp_scalarERNS_18TensorIteratorBaseEN3c106ScalarES7_NS0_6detail11ClampLimitsEENKUlvE_clEvENKUlvE_clEvEUlhE_EEvS5_RKT_EUlibE0_EEviT1_ ; -- Begin function _ZN2at6native32elementwise_kernel_manual_unrollILi128ELi4EZNS0_15gpu_kernel_implIZZZNS0_12_GLOBAL__N_119launch_clamp_scalarERNS_18TensorIteratorBaseEN3c106ScalarES7_NS0_6detail11ClampLimitsEENKUlvE_clEvENKUlvE_clEvEUlhE_EEvS5_RKT_EUlibE0_EEviT1_
	.p2align	8
	.type	_ZN2at6native32elementwise_kernel_manual_unrollILi128ELi4EZNS0_15gpu_kernel_implIZZZNS0_12_GLOBAL__N_119launch_clamp_scalarERNS_18TensorIteratorBaseEN3c106ScalarES7_NS0_6detail11ClampLimitsEENKUlvE_clEvENKUlvE_clEvEUlhE_EEvS5_RKT_EUlibE0_EEviT1_,@function
_ZN2at6native32elementwise_kernel_manual_unrollILi128ELi4EZNS0_15gpu_kernel_implIZZZNS0_12_GLOBAL__N_119launch_clamp_scalarERNS_18TensorIteratorBaseEN3c106ScalarES7_NS0_6detail11ClampLimitsEENKUlvE_clEvENKUlvE_clEvEUlhE_EEvS5_RKT_EUlibE0_EEviT1_: ; @_ZN2at6native32elementwise_kernel_manual_unrollILi128ELi4EZNS0_15gpu_kernel_implIZZZNS0_12_GLOBAL__N_119launch_clamp_scalarERNS_18TensorIteratorBaseEN3c106ScalarES7_NS0_6detail11ClampLimitsEENKUlvE_clEvENKUlvE_clEvEUlhE_EEvS5_RKT_EUlibE0_EEviT1_
; %bb.0:
	s_clause 0x1
	s_load_b32 s19, s[0:1], 0x8
	s_load_b32 s39, s[0:1], 0x0
	s_bfe_u32 s2, ttmp6, 0x4000c
	s_and_b32 s3, ttmp6, 15
	s_add_co_i32 s2, s2, 1
	s_getreg_b32 s4, hwreg(HW_REG_IB_STS2, 6, 4)
	s_mul_i32 s2, ttmp9, s2
	s_mov_b32 s34, 0
	s_add_co_i32 s3, s3, s2
	s_cmp_eq_u32 s4, 0
	s_mov_b32 s27, -1
	s_cselect_b32 s2, ttmp9, s3
	s_mov_b32 s8, 0
	v_lshl_or_b32 v0, s2, 9, v0
	s_add_nc_u64 s[2:3], s[0:1], 8
	s_wait_xcnt 0x0
	s_mov_b32 s0, exec_lo
	s_delay_alu instid0(VALU_DEP_1) | instskip(SKIP_2) | instid1(SALU_CYCLE_1)
	v_or_b32_e32 v9, 0x180, v0
	s_wait_kmcnt 0x0
	s_add_co_i32 s33, s19, -1
	s_cmp_gt_u32 s33, 1
	s_cselect_b32 s35, -1, 0
	v_cmpx_le_i32_e64 s39, v9
	s_xor_b32 s36, exec_lo, s0
	s_cbranch_execz .LBB175_1124
; %bb.1:
	s_clause 0x4
	s_load_b128 s[8:11], s[2:3], 0x4
	s_load_b64 s[0:1], s[2:3], 0x14
	s_load_b96 s[16:18], s[2:3], 0x158
	s_load_b128 s[12:15], s[2:3], 0xc4
	s_load_b128 s[4:7], s[2:3], 0x148
	s_cmp_lg_u32 s19, 0
	s_mov_b32 s21, 0
	s_cselect_b32 s41, -1, 0
	s_min_u32 s40, s33, 15
	s_cmp_gt_u32 s19, 1
	s_add_nc_u64 s[24:25], s[2:3], 0xc4
	s_mov_b32 s23, s21
	s_mov_b32 s43, s21
	s_cselect_b32 s38, -1, 0
	s_mov_b32 s42, s21
	s_mov_b32 s44, exec_lo
	s_wait_kmcnt 0x0
	s_mov_b32 s20, s9
	s_mov_b32 s22, s0
	s_bfe_u32 s37, s18, 0x80008
	s_bfe_u32 s9, s17, 0x80008
	v_cmpx_gt_i32_e64 s39, v0
	s_cbranch_execz .LBB175_274
; %bb.2:
	s_and_not1_b32 vcc_lo, exec_lo, s35
	s_cbranch_vccnz .LBB175_8
; %bb.3:
	s_and_not1_b32 vcc_lo, exec_lo, s41
	s_cbranch_vccnz .LBB175_9
; %bb.4:
	s_add_co_i32 s0, s40, 1
	s_cmp_eq_u32 s33, 2
	s_cbranch_scc1 .LBB175_10
; %bb.5:
	v_dual_mov_b32 v2, 0 :: v_dual_mov_b32 v4, 0
	v_mov_b32_e32 v1, v0
	s_and_b32 s26, s0, 28
	s_mov_b32 s27, 0
	s_mov_b64 s[28:29], s[2:3]
	s_mov_b64 s[30:31], s[24:25]
.LBB175_6:                              ; =>This Inner Loop Header: Depth=1
	s_clause 0x1
	s_load_b256 s[48:55], s[28:29], 0x4
	s_load_b128 s[64:67], s[28:29], 0x24
	s_load_b256 s[56:63], s[30:31], 0x0
	s_add_co_i32 s27, s27, 4
	s_wait_xcnt 0x0
	s_add_nc_u64 s[28:29], s[28:29], 48
	s_cmp_lg_u32 s26, s27
	s_add_nc_u64 s[30:31], s[30:31], 32
	s_wait_kmcnt 0x0
	v_mul_hi_u32 v3, s49, v1
	s_delay_alu instid0(VALU_DEP_1) | instskip(NEXT) | instid1(VALU_DEP_1)
	v_add_nc_u32_e32 v3, v1, v3
	v_lshrrev_b32_e32 v3, s50, v3
	s_delay_alu instid0(VALU_DEP_1) | instskip(NEXT) | instid1(VALU_DEP_1)
	v_mul_hi_u32 v5, s52, v3
	v_add_nc_u32_e32 v5, v3, v5
	s_delay_alu instid0(VALU_DEP_1) | instskip(NEXT) | instid1(VALU_DEP_1)
	v_lshrrev_b32_e32 v5, s53, v5
	v_mul_hi_u32 v6, s55, v5
	s_delay_alu instid0(VALU_DEP_1) | instskip(SKIP_1) | instid1(VALU_DEP_1)
	v_add_nc_u32_e32 v6, v5, v6
	v_mul_lo_u32 v7, v3, s48
	v_sub_nc_u32_e32 v1, v1, v7
	v_mul_lo_u32 v7, v5, s51
	s_delay_alu instid0(VALU_DEP_4) | instskip(NEXT) | instid1(VALU_DEP_3)
	v_lshrrev_b32_e32 v6, s64, v6
	v_mad_u32 v4, v1, s57, v4
	v_mad_u32 v1, v1, s56, v2
	s_delay_alu instid0(VALU_DEP_4) | instskip(NEXT) | instid1(VALU_DEP_4)
	v_sub_nc_u32_e32 v2, v3, v7
	v_mul_hi_u32 v8, s66, v6
	v_mul_lo_u32 v3, v6, s54
	s_delay_alu instid0(VALU_DEP_3) | instskip(SKIP_1) | instid1(VALU_DEP_3)
	v_mad_u32 v4, v2, s59, v4
	v_mad_u32 v2, v2, s58, v1
	v_dual_add_nc_u32 v7, v6, v8 :: v_dual_sub_nc_u32 v3, v5, v3
	s_delay_alu instid0(VALU_DEP_1) | instskip(NEXT) | instid1(VALU_DEP_2)
	v_lshrrev_b32_e32 v1, s67, v7
	v_mad_u32 v4, v3, s61, v4
	s_delay_alu instid0(VALU_DEP_4) | instskip(NEXT) | instid1(VALU_DEP_3)
	v_mad_u32 v2, v3, s60, v2
	v_mul_lo_u32 v5, v1, s65
	s_delay_alu instid0(VALU_DEP_1) | instskip(NEXT) | instid1(VALU_DEP_1)
	v_sub_nc_u32_e32 v3, v6, v5
	v_mad_u32 v4, v3, s63, v4
	s_delay_alu instid0(VALU_DEP_4)
	v_mad_u32 v2, v3, s62, v2
	s_cbranch_scc1 .LBB175_6
; %bb.7:
	s_delay_alu instid0(VALU_DEP_2)
	v_mov_b32_e32 v3, v4
	s_and_b32 s0, s0, 3
	s_mov_b32 s27, 0
	s_cmp_eq_u32 s0, 0
	s_cbranch_scc0 .LBB175_11
	s_branch .LBB175_14
.LBB175_8:
                                        ; implicit-def: $vgpr4
                                        ; implicit-def: $vgpr2
	s_branch .LBB175_15
.LBB175_9:
	v_dual_mov_b32 v4, 0 :: v_dual_mov_b32 v2, 0
	s_branch .LBB175_14
.LBB175_10:
	v_mov_b64_e32 v[2:3], 0
	v_mov_b32_e32 v1, v0
	s_mov_b32 s26, 0
                                        ; implicit-def: $vgpr4
	s_and_b32 s0, s0, 3
	s_mov_b32 s27, 0
	s_cmp_eq_u32 s0, 0
	s_cbranch_scc1 .LBB175_14
.LBB175_11:
	s_lshl_b32 s28, s26, 3
	s_mov_b32 s29, s27
	s_mul_u64 s[30:31], s[26:27], 12
	s_add_nc_u64 s[28:29], s[2:3], s[28:29]
	s_delay_alu instid0(SALU_CYCLE_1)
	s_add_nc_u64 s[26:27], s[28:29], 0xc4
	s_add_nc_u64 s[28:29], s[2:3], s[30:31]
.LBB175_12:                             ; =>This Inner Loop Header: Depth=1
	s_load_b96 s[48:50], s[28:29], 0x4
	s_load_b64 s[30:31], s[26:27], 0x0
	s_add_co_i32 s0, s0, -1
	s_wait_xcnt 0x0
	s_add_nc_u64 s[28:29], s[28:29], 12
	s_cmp_lg_u32 s0, 0
	s_add_nc_u64 s[26:27], s[26:27], 8
	s_wait_kmcnt 0x0
	v_mul_hi_u32 v4, s49, v1
	s_delay_alu instid0(VALU_DEP_1) | instskip(NEXT) | instid1(VALU_DEP_1)
	v_add_nc_u32_e32 v4, v1, v4
	v_lshrrev_b32_e32 v4, s50, v4
	s_delay_alu instid0(VALU_DEP_1) | instskip(NEXT) | instid1(VALU_DEP_1)
	v_mul_lo_u32 v5, v4, s48
	v_sub_nc_u32_e32 v1, v1, v5
	s_delay_alu instid0(VALU_DEP_1)
	v_mad_u32 v3, v1, s31, v3
	v_mad_u32 v2, v1, s30, v2
	v_mov_b32_e32 v1, v4
	s_cbranch_scc1 .LBB175_12
; %bb.13:
	s_delay_alu instid0(VALU_DEP_3)
	v_mov_b32_e32 v4, v3
.LBB175_14:
	s_cbranch_execnz .LBB175_17
.LBB175_15:
	v_mov_b32_e32 v1, 0
	s_and_not1_b32 vcc_lo, exec_lo, s38
	s_delay_alu instid0(VALU_DEP_1) | instskip(NEXT) | instid1(VALU_DEP_1)
	v_mul_u64_e32 v[2:3], s[20:21], v[0:1]
	v_add_nc_u32_e32 v2, v0, v3
	s_delay_alu instid0(VALU_DEP_1) | instskip(NEXT) | instid1(VALU_DEP_1)
	v_lshrrev_b32_e32 v6, s10, v2
	v_mul_lo_u32 v2, v6, s8
	s_delay_alu instid0(VALU_DEP_1) | instskip(NEXT) | instid1(VALU_DEP_1)
	v_sub_nc_u32_e32 v2, v0, v2
	v_mul_lo_u32 v4, v2, s13
	v_mul_lo_u32 v2, v2, s12
	s_cbranch_vccnz .LBB175_17
; %bb.16:
	v_mov_b32_e32 v7, v1
	s_delay_alu instid0(VALU_DEP_1) | instskip(NEXT) | instid1(VALU_DEP_1)
	v_mul_u64_e32 v[8:9], s[22:23], v[6:7]
	v_add_nc_u32_e32 v1, v6, v9
	s_delay_alu instid0(VALU_DEP_1) | instskip(NEXT) | instid1(VALU_DEP_1)
	v_lshrrev_b32_e32 v1, s1, v1
	v_mul_lo_u32 v1, v1, s11
	s_delay_alu instid0(VALU_DEP_1) | instskip(NEXT) | instid1(VALU_DEP_1)
	v_sub_nc_u32_e32 v1, v6, v1
	v_mad_u32 v2, v1, s14, v2
	v_mad_u32 v4, v1, s15, v4
.LBB175_17:
	v_mov_b32_e32 v5, 0
	s_and_b32 s0, 0xffff, s37
	s_delay_alu instid0(SALU_CYCLE_1) | instskip(NEXT) | instid1(VALU_DEP_1)
	s_cmp_lt_i32 s0, 11
	v_add_nc_u64_e32 v[4:5], s[6:7], v[4:5]
	s_cbranch_scc1 .LBB175_24
; %bb.18:
	s_cmp_gt_i32 s0, 25
	s_cbranch_scc0 .LBB175_29
; %bb.19:
	s_cmp_gt_i32 s0, 28
	s_cbranch_scc0 .LBB175_31
	;; [unrolled: 3-line block ×4, first 2 shown]
; %bb.22:
	s_cmp_eq_u32 s0, 46
	s_mov_b32 s28, 0
	s_cbranch_scc0 .LBB175_53
; %bb.23:
	global_load_b32 v1, v[4:5], off
	s_mov_b32 s27, -1
	s_mov_b32 s26, 0
	s_wait_loadcnt 0x0
	v_lshlrev_b32_e32 v1, 16, v1
	s_delay_alu instid0(VALU_DEP_1) | instskip(NEXT) | instid1(VALU_DEP_1)
	v_trunc_f32_e32 v1, v1
	v_mul_f32_e64 v3, 0x2f800000, |v1|
	s_delay_alu instid0(VALU_DEP_1) | instskip(NEXT) | instid1(VALU_DEP_1)
	v_floor_f32_e32 v3, v3
	v_fma_f32 v3, 0xcf800000, v3, |v1|
	v_ashrrev_i32_e32 v1, 31, v1
	s_delay_alu instid0(VALU_DEP_2) | instskip(NEXT) | instid1(VALU_DEP_1)
	v_cvt_u32_f32_e32 v3, v3
	v_xor_b32_e32 v3, v3, v1
	s_delay_alu instid0(VALU_DEP_1)
	v_sub_nc_u32_e32 v6, v3, v1
	s_branch .LBB175_55
.LBB175_24:
	s_mov_b32 s26, 0
	s_mov_b32 s27, 0
                                        ; implicit-def: $vgpr6
	s_cbranch_execnz .LBB175_224
.LBB175_25:
	s_and_not1_b32 vcc_lo, exec_lo, s27
	s_cbranch_vccnz .LBB175_271
.LBB175_26:
	s_cmp_lt_i32 s16, 1
	s_mov_b32 s0, 0
	s_cbranch_scc1 .LBB175_30
; %bb.27:
	s_cmp_eq_u32 s16, 1
	s_cbranch_scc0 .LBB175_32
; %bb.28:
	s_wait_loadcnt 0x0
	s_delay_alu instid0(VALU_DEP_1)
	v_and_b32_e32 v1, 0xff, v6
	s_and_b32 s27, s17, 0xff
	s_delay_alu instid0(VALU_DEP_1) | instid1(SALU_CYCLE_1)
	v_min_u16 v1, v1, s27
	s_mov_b32 s27, 0
	s_branch .LBB175_33
.LBB175_29:
	s_mov_b32 s26, 0
	s_mov_b32 s27, 0
                                        ; implicit-def: $vgpr6
	s_cbranch_execnz .LBB175_191
	s_branch .LBB175_223
.LBB175_30:
	s_mov_b32 s27, 0
                                        ; implicit-def: $vgpr1
	s_cbranch_execnz .LBB175_34
	s_branch .LBB175_35
.LBB175_31:
	s_mov_b32 s28, -1
	s_mov_b32 s26, 0
	s_mov_b32 s27, 0
                                        ; implicit-def: $vgpr6
	s_branch .LBB175_174
.LBB175_32:
	s_mov_b32 s27, -1
                                        ; implicit-def: $vgpr1
.LBB175_33:
	s_branch .LBB175_35
.LBB175_34:
	s_cmp_lg_u32 s16, 0
	s_mov_b32 s0, -1
	s_cselect_b32 s27, -1, 0
.LBB175_35:
	s_delay_alu instid0(SALU_CYCLE_1)
	s_and_not1_b32 vcc_lo, exec_lo, s27
	s_cbranch_vccnz .LBB175_37
; %bb.36:
	s_wait_loadcnt 0x0
	s_delay_alu instid0(VALU_DEP_1)
	v_and_b32_e32 v1, 0xff, v6
	s_and_b32 s0, s17, 0xff
	s_delay_alu instid0(VALU_DEP_1) | instid1(SALU_CYCLE_1)
	v_max_u16 v1, v1, s0
	s_delay_alu instid0(VALU_DEP_1)
	v_min_u16 v1, v1, s9
	s_cbranch_execz .LBB175_38
	s_branch .LBB175_39
.LBB175_37:
	s_and_not1_b32 vcc_lo, exec_lo, s0
	s_cbranch_vccnz .LBB175_39
.LBB175_38:
	s_wait_loadcnt 0x0
	s_delay_alu instid0(VALU_DEP_1)
	v_and_b32_e32 v1, 0xff, v6
	s_and_b32 s0, s17, 0xff
	s_delay_alu instid0(VALU_DEP_1) | instid1(SALU_CYCLE_1)
	v_max_u16 v1, v1, s0
.LBB175_39:
	v_mov_b32_e32 v3, 0
	s_and_b32 s27, s18, 0xff
	s_delay_alu instid0(SALU_CYCLE_1) | instskip(NEXT) | instid1(VALU_DEP_1)
	s_cmp_lt_i32 s27, 11
	v_add_nc_u64_e32 v[2:3], s[4:5], v[2:3]
	s_cbranch_scc1 .LBB175_46
; %bb.40:
	s_and_b32 s28, 0xffff, s27
	s_delay_alu instid0(SALU_CYCLE_1)
	s_cmp_gt_i32 s28, 25
	s_cbranch_scc0 .LBB175_48
; %bb.41:
	s_cmp_gt_i32 s28, 28
	s_cbranch_scc0 .LBB175_50
; %bb.42:
	;; [unrolled: 3-line block ×4, first 2 shown]
	s_mov_b32 s30, 0
	s_mov_b32 s0, -1
	s_cmp_eq_u32 s28, 46
	s_mov_b32 s29, 0
	s_cbranch_scc0 .LBB175_59
; %bb.45:
	s_wait_xcnt 0x0
	v_cvt_f32_ubyte0_e32 v4, v1
	s_mov_b32 s29, -1
	s_mov_b32 s0, 0
	s_delay_alu instid0(VALU_DEP_1) | instskip(NEXT) | instid1(VALU_DEP_1)
	v_bfe_u32 v5, v4, 16, 1
	v_add3_u32 v4, v4, v5, 0x7fff
	s_delay_alu instid0(VALU_DEP_1)
	v_lshrrev_b32_e32 v4, 16, v4
	global_store_b32 v[2:3], v4, off
	s_branch .LBB175_59
.LBB175_46:
	s_mov_b32 s0, 0
	s_mov_b32 s29, 0
	s_cbranch_execnz .LBB175_128
.LBB175_47:
	s_and_not1_b32 vcc_lo, exec_lo, s29
	s_cbranch_vccz .LBB175_166
	s_branch .LBB175_272
.LBB175_48:
	s_mov_b32 s30, -1
	s_mov_b32 s0, 0
	s_mov_b32 s29, 0
	s_branch .LBB175_86
.LBB175_49:
	s_mov_b32 s28, -1
	s_mov_b32 s26, 0
	s_mov_b32 s27, 0
                                        ; implicit-def: $vgpr6
	s_branch .LBB175_169
.LBB175_50:
	s_mov_b32 s30, -1
	s_mov_b32 s0, 0
	s_mov_b32 s29, 0
	s_branch .LBB175_69
.LBB175_51:
	s_mov_b32 s28, -1
	s_mov_b32 s26, 0
	s_branch .LBB175_54
.LBB175_52:
	s_mov_b32 s30, -1
	s_mov_b32 s0, 0
	s_mov_b32 s29, 0
	s_branch .LBB175_65
.LBB175_53:
	s_mov_b32 s26, -1
.LBB175_54:
	s_mov_b32 s27, 0
                                        ; implicit-def: $vgpr6
.LBB175_55:
	s_and_b32 vcc_lo, exec_lo, s28
	s_cbranch_vccz .LBB175_168
; %bb.56:
	s_cmp_eq_u32 s0, 44
	s_cbranch_scc0 .LBB175_167
; %bb.57:
	global_load_u8 v1, v[4:5], off
	s_mov_b32 s26, 0
	s_mov_b32 s27, -1
	s_wait_loadcnt 0x0
	v_lshlrev_b32_e32 v3, 23, v1
	v_cmp_ne_u32_e32 vcc_lo, 0, v1
	s_delay_alu instid0(VALU_DEP_2) | instskip(NEXT) | instid1(VALU_DEP_1)
	v_trunc_f32_e32 v3, v3
	v_mul_f32_e64 v6, 0x2f800000, |v3|
	s_delay_alu instid0(VALU_DEP_1) | instskip(NEXT) | instid1(VALU_DEP_1)
	v_floor_f32_e32 v6, v6
	v_fma_f32 v6, 0xcf800000, v6, |v3|
	v_ashrrev_i32_e32 v3, 31, v3
	s_delay_alu instid0(VALU_DEP_2) | instskip(NEXT) | instid1(VALU_DEP_1)
	v_cvt_u32_f32_e32 v6, v6
	v_xor_b32_e32 v6, v6, v3
	s_delay_alu instid0(VALU_DEP_1) | instskip(NEXT) | instid1(VALU_DEP_1)
	v_sub_nc_u32_e32 v3, v6, v3
	v_cndmask_b32_e32 v6, 0, v3, vcc_lo
	s_branch .LBB175_168
.LBB175_58:
	s_mov_b32 s30, -1
	s_mov_b32 s0, 0
	s_mov_b32 s29, 0
.LBB175_59:
	s_and_b32 vcc_lo, exec_lo, s30
	s_cbranch_vccz .LBB175_64
; %bb.60:
	s_cmp_eq_u32 s28, 44
	s_mov_b32 s0, -1
	s_cbranch_scc0 .LBB175_64
; %bb.61:
	s_wait_loadcnt 0x0
	v_cvt_f32_ubyte0_e32 v6, v1
	s_mov_b32 s29, exec_lo
	s_wait_xcnt 0x0
	s_delay_alu instid0(VALU_DEP_1) | instskip(NEXT) | instid1(VALU_DEP_1)
	v_dual_mov_b32 v5, 0xff :: v_dual_lshrrev_b32 v4, 23, v6
	v_cmpx_ne_u32_e32 0xff, v4
; %bb.62:
	v_and_b32_e32 v5, 0x400000, v6
	v_and_or_b32 v6, 0x3fffff, v6, v4
	s_delay_alu instid0(VALU_DEP_2) | instskip(NEXT) | instid1(VALU_DEP_2)
	v_cmp_ne_u32_e32 vcc_lo, 0, v5
	v_cmp_ne_u32_e64 s0, 0, v6
	s_and_b32 s0, vcc_lo, s0
	s_delay_alu instid0(SALU_CYCLE_1) | instskip(NEXT) | instid1(VALU_DEP_1)
	v_cndmask_b32_e64 v5, 0, 1, s0
	v_add_nc_u32_e32 v5, v4, v5
; %bb.63:
	s_or_b32 exec_lo, exec_lo, s29
	s_mov_b32 s29, -1
	s_mov_b32 s0, 0
	global_store_b8 v[2:3], v5, off
.LBB175_64:
	s_mov_b32 s30, 0
.LBB175_65:
	s_delay_alu instid0(SALU_CYCLE_1)
	s_and_b32 vcc_lo, exec_lo, s30
	s_cbranch_vccz .LBB175_68
; %bb.66:
	s_cmp_eq_u32 s28, 29
	s_mov_b32 s0, -1
	s_cbranch_scc0 .LBB175_68
; %bb.67:
	s_wait_xcnt 0x0
	v_and_b32_e32 v4, 0xff, v1
	v_mov_b32_e32 v5, 0
	s_mov_b32 s29, -1
	s_mov_b32 s0, 0
	s_mov_b32 s30, 0
	global_store_b64 v[2:3], v[4:5], off
	s_branch .LBB175_69
.LBB175_68:
	s_mov_b32 s30, 0
.LBB175_69:
	s_delay_alu instid0(SALU_CYCLE_1)
	s_and_b32 vcc_lo, exec_lo, s30
	s_cbranch_vccz .LBB175_85
; %bb.70:
	s_cmp_lt_i32 s28, 27
	s_mov_b32 s29, -1
	s_cbranch_scc1 .LBB175_76
; %bb.71:
	s_cmp_gt_i32 s28, 27
	s_cbranch_scc0 .LBB175_73
; %bb.72:
	s_wait_xcnt 0x0
	v_and_b32_e32 v4, 0xff, v1
	s_mov_b32 s29, 0
	global_store_b32 v[2:3], v4, off
.LBB175_73:
	s_and_not1_b32 vcc_lo, exec_lo, s29
	s_cbranch_vccnz .LBB175_75
; %bb.74:
	s_wait_xcnt 0x0
	v_and_b32_e32 v4, 0xff, v1
	global_store_b16 v[2:3], v4, off
.LBB175_75:
	s_mov_b32 s29, 0
.LBB175_76:
	s_delay_alu instid0(SALU_CYCLE_1)
	s_and_not1_b32 vcc_lo, exec_lo, s29
	s_cbranch_vccnz .LBB175_84
; %bb.77:
	s_wait_xcnt 0x0
	v_cvt_f32_ubyte0_e32 v5, v1
	s_wait_loadcnt 0x0
	v_mov_b32_e32 v6, 0x80
	s_mov_b32 s29, exec_lo
	s_delay_alu instid0(VALU_DEP_2)
	v_cmpx_gt_u32_e32 0x43800000, v5
	s_cbranch_execz .LBB175_83
; %bb.78:
	s_mov_b32 s30, 0
	s_mov_b32 s31, exec_lo
                                        ; implicit-def: $vgpr4
	v_cmpx_lt_u32_e32 0x3bffffff, v5
	s_xor_b32 s31, exec_lo, s31
	s_cbranch_execz .LBB175_328
; %bb.79:
	v_bfe_u32 v4, v5, 20, 1
	s_mov_b32 s30, exec_lo
	s_delay_alu instid0(VALU_DEP_1) | instskip(NEXT) | instid1(VALU_DEP_1)
	v_add3_u32 v4, v5, v4, 0x487ffff
                                        ; implicit-def: $vgpr5
	v_lshrrev_b32_e32 v4, 20, v4
	s_and_not1_saveexec_b32 s31, s31
	s_cbranch_execnz .LBB175_329
.LBB175_80:
	s_or_b32 exec_lo, exec_lo, s31
	v_mov_b32_e32 v6, 0
	s_and_saveexec_b32 s31, s30
.LBB175_81:
	v_mov_b32_e32 v6, v4
.LBB175_82:
	s_or_b32 exec_lo, exec_lo, s31
.LBB175_83:
	s_delay_alu instid0(SALU_CYCLE_1)
	s_or_b32 exec_lo, exec_lo, s29
	global_store_b8 v[2:3], v6, off
.LBB175_84:
	s_mov_b32 s29, -1
.LBB175_85:
	s_mov_b32 s30, 0
.LBB175_86:
	s_delay_alu instid0(SALU_CYCLE_1)
	s_and_b32 vcc_lo, exec_lo, s30
	s_cbranch_vccz .LBB175_127
; %bb.87:
	s_cmp_gt_i32 s28, 22
	s_mov_b32 s30, -1
	s_cbranch_scc0 .LBB175_119
; %bb.88:
	s_cmp_lt_i32 s28, 24
	s_mov_b32 s29, -1
	s_cbranch_scc1 .LBB175_108
; %bb.89:
	s_cmp_gt_i32 s28, 24
	s_cbranch_scc0 .LBB175_97
; %bb.90:
	s_wait_xcnt 0x0
	v_cvt_f32_ubyte0_e32 v5, v1
	s_wait_loadcnt 0x0
	v_mov_b32_e32 v6, 0x80
	s_mov_b32 s29, exec_lo
	s_delay_alu instid0(VALU_DEP_2)
	v_cmpx_gt_u32_e32 0x47800000, v5
	s_cbranch_execz .LBB175_96
; %bb.91:
	s_mov_b32 s30, 0
	s_mov_b32 s31, exec_lo
                                        ; implicit-def: $vgpr4
	v_cmpx_lt_u32_e32 0x37ffffff, v5
	s_xor_b32 s31, exec_lo, s31
	s_cbranch_execz .LBB175_332
; %bb.92:
	v_bfe_u32 v4, v5, 21, 1
	s_mov_b32 s30, exec_lo
	s_delay_alu instid0(VALU_DEP_1) | instskip(NEXT) | instid1(VALU_DEP_1)
	v_add3_u32 v4, v5, v4, 0x88fffff
                                        ; implicit-def: $vgpr5
	v_lshrrev_b32_e32 v4, 21, v4
	s_and_not1_saveexec_b32 s31, s31
	s_cbranch_execnz .LBB175_333
.LBB175_93:
	s_or_b32 exec_lo, exec_lo, s31
	v_mov_b32_e32 v6, 0
	s_and_saveexec_b32 s31, s30
.LBB175_94:
	v_mov_b32_e32 v6, v4
.LBB175_95:
	s_or_b32 exec_lo, exec_lo, s31
.LBB175_96:
	s_delay_alu instid0(SALU_CYCLE_1)
	s_or_b32 exec_lo, exec_lo, s29
	s_mov_b32 s29, 0
	global_store_b8 v[2:3], v6, off
.LBB175_97:
	s_and_b32 vcc_lo, exec_lo, s29
	s_cbranch_vccz .LBB175_107
; %bb.98:
	s_wait_xcnt 0x0
	v_cvt_f32_ubyte0_e32 v5, v1
	s_mov_b32 s29, exec_lo
                                        ; implicit-def: $vgpr4
	s_delay_alu instid0(VALU_DEP_1)
	v_cmpx_gt_u32_e32 0x43f00000, v5
	s_xor_b32 s29, exec_lo, s29
	s_cbranch_execz .LBB175_104
; %bb.99:
	s_mov_b32 s30, exec_lo
                                        ; implicit-def: $vgpr4
	v_cmpx_lt_u32_e32 0x3c7fffff, v5
	s_xor_b32 s30, exec_lo, s30
; %bb.100:
	v_bfe_u32 v4, v5, 20, 1
	s_delay_alu instid0(VALU_DEP_1) | instskip(NEXT) | instid1(VALU_DEP_1)
	v_add3_u32 v4, v5, v4, 0x407ffff
	v_and_b32_e32 v5, 0xff00000, v4
	v_lshrrev_b32_e32 v4, 20, v4
	s_delay_alu instid0(VALU_DEP_2) | instskip(NEXT) | instid1(VALU_DEP_2)
	v_cmp_ne_u32_e32 vcc_lo, 0x7f00000, v5
                                        ; implicit-def: $vgpr5
	v_cndmask_b32_e32 v4, 0x7e, v4, vcc_lo
; %bb.101:
	s_and_not1_saveexec_b32 s30, s30
; %bb.102:
	v_add_f32_e32 v4, 0x46800000, v5
; %bb.103:
	s_or_b32 exec_lo, exec_lo, s30
                                        ; implicit-def: $vgpr5
.LBB175_104:
	s_and_not1_saveexec_b32 s29, s29
; %bb.105:
	v_mov_b32_e32 v4, 0x7f
	v_cmp_lt_u32_e32 vcc_lo, 0x7f800000, v5
	s_delay_alu instid0(VALU_DEP_2)
	v_cndmask_b32_e32 v4, 0x7e, v4, vcc_lo
; %bb.106:
	s_or_b32 exec_lo, exec_lo, s29
	global_store_b8 v[2:3], v4, off
.LBB175_107:
	s_mov_b32 s29, 0
.LBB175_108:
	s_delay_alu instid0(SALU_CYCLE_1)
	s_and_not1_b32 vcc_lo, exec_lo, s29
	s_cbranch_vccnz .LBB175_118
; %bb.109:
	s_wait_xcnt 0x0
	v_cvt_f32_ubyte0_e32 v5, v1
	s_mov_b32 s29, exec_lo
                                        ; implicit-def: $vgpr4
	s_delay_alu instid0(VALU_DEP_1)
	v_cmpx_gt_u32_e32 0x47800000, v5
	s_xor_b32 s29, exec_lo, s29
	s_cbranch_execz .LBB175_115
; %bb.110:
	s_mov_b32 s30, exec_lo
                                        ; implicit-def: $vgpr4
	v_cmpx_lt_u32_e32 0x387fffff, v5
	s_xor_b32 s30, exec_lo, s30
; %bb.111:
	v_bfe_u32 v4, v5, 21, 1
	s_delay_alu instid0(VALU_DEP_1) | instskip(NEXT) | instid1(VALU_DEP_1)
	v_add3_u32 v4, v5, v4, 0x80fffff
                                        ; implicit-def: $vgpr5
	v_lshrrev_b32_e32 v4, 21, v4
; %bb.112:
	s_and_not1_saveexec_b32 s30, s30
; %bb.113:
	v_add_f32_e32 v4, 0x43000000, v5
; %bb.114:
	s_or_b32 exec_lo, exec_lo, s30
                                        ; implicit-def: $vgpr5
.LBB175_115:
	s_and_not1_saveexec_b32 s29, s29
; %bb.116:
	v_mov_b32_e32 v4, 0x7f
	v_cmp_lt_u32_e32 vcc_lo, 0x7f800000, v5
	s_delay_alu instid0(VALU_DEP_2)
	v_cndmask_b32_e32 v4, 0x7c, v4, vcc_lo
; %bb.117:
	s_or_b32 exec_lo, exec_lo, s29
	global_store_b8 v[2:3], v4, off
.LBB175_118:
	s_mov_b32 s30, 0
	s_mov_b32 s29, -1
.LBB175_119:
	s_and_not1_b32 vcc_lo, exec_lo, s30
	s_cbranch_vccnz .LBB175_127
; %bb.120:
	s_cmp_gt_i32 s28, 14
	s_mov_b32 s30, -1
	s_cbranch_scc0 .LBB175_124
; %bb.121:
	s_cmp_eq_u32 s28, 15
	s_mov_b32 s0, -1
	s_cbranch_scc0 .LBB175_123
; %bb.122:
	s_wait_xcnt 0x0
	v_cvt_f32_ubyte0_e32 v4, v1
	s_mov_b32 s29, -1
	s_mov_b32 s0, 0
	s_delay_alu instid0(VALU_DEP_1) | instskip(NEXT) | instid1(VALU_DEP_1)
	v_bfe_u32 v5, v4, 16, 1
	v_add3_u32 v4, v4, v5, 0x7fff
	global_store_d16_hi_b16 v[2:3], v4, off
.LBB175_123:
	s_mov_b32 s30, 0
.LBB175_124:
	s_delay_alu instid0(SALU_CYCLE_1)
	s_and_b32 vcc_lo, exec_lo, s30
	s_cbranch_vccz .LBB175_127
; %bb.125:
	s_cmp_eq_u32 s28, 11
	s_mov_b32 s0, -1
	s_cbranch_scc0 .LBB175_127
; %bb.126:
	s_wait_xcnt 0x0
	v_and_b32_e32 v4, 0xff, v1
	s_mov_b32 s0, 0
	s_mov_b32 s29, -1
	s_delay_alu instid0(VALU_DEP_1)
	v_cmp_ne_u16_e32 vcc_lo, 0, v4
	v_cndmask_b32_e64 v4, 0, 1, vcc_lo
	global_store_b8 v[2:3], v4, off
.LBB175_127:
	s_branch .LBB175_47
.LBB175_128:
	s_and_b32 s27, 0xffff, s27
	s_mov_b32 s28, -1
	s_cmp_lt_i32 s27, 5
	s_cbranch_scc1 .LBB175_149
; %bb.129:
	s_cmp_lt_i32 s27, 8
	s_cbranch_scc1 .LBB175_139
; %bb.130:
	;; [unrolled: 3-line block ×3, first 2 shown]
	s_cmp_gt_i32 s27, 9
	s_cbranch_scc0 .LBB175_133
; %bb.132:
	s_wait_xcnt 0x0
	v_and_b32_e32 v4, 0xff, v1
	s_wait_loadcnt 0x0
	v_mov_b32_e32 v6, 0
	s_mov_b32 s28, 0
	s_delay_alu instid0(VALU_DEP_2) | instskip(NEXT) | instid1(VALU_DEP_2)
	v_and_b32_e32 v4, 0xffff, v4
	v_mov_b32_e32 v7, v6
	s_delay_alu instid0(VALU_DEP_2)
	v_cvt_f64_u32_e32 v[4:5], v4
	global_store_b128 v[2:3], v[4:7], off
.LBB175_133:
	s_and_not1_b32 vcc_lo, exec_lo, s28
	s_cbranch_vccnz .LBB175_135
; %bb.134:
	s_wait_xcnt 0x0
	v_cvt_f32_ubyte0_e32 v4, v1
	v_mov_b32_e32 v5, 0
	global_store_b64 v[2:3], v[4:5], off
.LBB175_135:
	s_mov_b32 s28, 0
.LBB175_136:
	s_delay_alu instid0(SALU_CYCLE_1)
	s_and_not1_b32 vcc_lo, exec_lo, s28
	s_cbranch_vccnz .LBB175_138
; %bb.137:
	s_wait_xcnt 0x0
	v_and_b32_e32 v4, 0xff, v1
	s_delay_alu instid0(VALU_DEP_1) | instskip(NEXT) | instid1(VALU_DEP_1)
	v_cvt_f16_u16_e32 v4, v4
	v_and_b32_e32 v4, 0xffff, v4
	global_store_b32 v[2:3], v4, off
.LBB175_138:
	s_mov_b32 s28, 0
.LBB175_139:
	s_delay_alu instid0(SALU_CYCLE_1)
	s_and_not1_b32 vcc_lo, exec_lo, s28
	s_cbranch_vccnz .LBB175_148
; %bb.140:
	s_cmp_lt_i32 s27, 6
	s_mov_b32 s28, -1
	s_cbranch_scc1 .LBB175_146
; %bb.141:
	s_cmp_gt_i32 s27, 6
	s_cbranch_scc0 .LBB175_143
; %bb.142:
	s_wait_xcnt 0x0
	v_and_b32_e32 v4, 0xff, v1
	s_mov_b32 s28, 0
	s_delay_alu instid0(VALU_DEP_1) | instskip(NEXT) | instid1(VALU_DEP_1)
	v_and_b32_e32 v4, 0xffff, v4
	v_cvt_f64_u32_e32 v[4:5], v4
	global_store_b64 v[2:3], v[4:5], off
.LBB175_143:
	s_and_not1_b32 vcc_lo, exec_lo, s28
	s_cbranch_vccnz .LBB175_145
; %bb.144:
	s_wait_xcnt 0x0
	v_cvt_f32_ubyte0_e32 v4, v1
	global_store_b32 v[2:3], v4, off
.LBB175_145:
	s_mov_b32 s28, 0
.LBB175_146:
	s_delay_alu instid0(SALU_CYCLE_1)
	s_and_not1_b32 vcc_lo, exec_lo, s28
	s_cbranch_vccnz .LBB175_148
; %bb.147:
	s_wait_xcnt 0x0
	v_and_b32_e32 v4, 0xff, v1
	s_delay_alu instid0(VALU_DEP_1)
	v_cvt_f16_u16_e32 v4, v4
	global_store_b16 v[2:3], v4, off
.LBB175_148:
	s_mov_b32 s28, 0
.LBB175_149:
	s_delay_alu instid0(SALU_CYCLE_1)
	s_and_not1_b32 vcc_lo, exec_lo, s28
	s_cbranch_vccnz .LBB175_165
; %bb.150:
	s_cmp_lt_i32 s27, 2
	s_mov_b32 s28, -1
	s_cbranch_scc1 .LBB175_160
; %bb.151:
	s_cmp_lt_i32 s27, 3
	s_cbranch_scc1 .LBB175_157
; %bb.152:
	s_cmp_gt_i32 s27, 3
	s_cbranch_scc0 .LBB175_154
; %bb.153:
	s_wait_xcnt 0x0
	v_and_b32_e32 v4, 0xff, v1
	v_mov_b32_e32 v5, 0
	s_mov_b32 s28, 0
	global_store_b64 v[2:3], v[4:5], off
.LBB175_154:
	s_and_not1_b32 vcc_lo, exec_lo, s28
	s_cbranch_vccnz .LBB175_156
; %bb.155:
	s_wait_xcnt 0x0
	v_and_b32_e32 v4, 0xff, v1
	global_store_b32 v[2:3], v4, off
.LBB175_156:
	s_mov_b32 s28, 0
.LBB175_157:
	s_delay_alu instid0(SALU_CYCLE_1)
	s_and_not1_b32 vcc_lo, exec_lo, s28
	s_cbranch_vccnz .LBB175_159
; %bb.158:
	s_wait_xcnt 0x0
	v_and_b32_e32 v4, 0xff, v1
	global_store_b16 v[2:3], v4, off
.LBB175_159:
	s_mov_b32 s28, 0
.LBB175_160:
	s_delay_alu instid0(SALU_CYCLE_1)
	s_and_not1_b32 vcc_lo, exec_lo, s28
	s_cbranch_vccnz .LBB175_165
; %bb.161:
	s_cmp_gt_i32 s27, 0
	s_mov_b32 s27, -1
	s_cbranch_scc0 .LBB175_163
; %bb.162:
	s_mov_b32 s27, 0
	global_store_b8 v[2:3], v1, off
.LBB175_163:
	s_and_not1_b32 vcc_lo, exec_lo, s27
	s_cbranch_vccnz .LBB175_165
; %bb.164:
	global_store_b8 v[2:3], v1, off
.LBB175_165:
.LBB175_166:
	v_add_nc_u32_e32 v0, 0x80, v0
	s_mov_b32 s27, -1
	s_branch .LBB175_273
.LBB175_167:
	s_mov_b32 s26, -1
                                        ; implicit-def: $vgpr6
.LBB175_168:
	s_mov_b32 s28, 0
.LBB175_169:
	s_delay_alu instid0(SALU_CYCLE_1)
	s_and_b32 vcc_lo, exec_lo, s28
	s_cbranch_vccz .LBB175_173
; %bb.170:
	s_cmp_eq_u32 s0, 29
	s_cbranch_scc0 .LBB175_172
; %bb.171:
	global_load_b64 v[6:7], v[4:5], off
	s_mov_b32 s27, -1
	s_mov_b32 s26, 0
	s_branch .LBB175_173
.LBB175_172:
	s_mov_b32 s26, -1
                                        ; implicit-def: $vgpr6
.LBB175_173:
	s_mov_b32 s28, 0
.LBB175_174:
	s_delay_alu instid0(SALU_CYCLE_1)
	s_and_b32 vcc_lo, exec_lo, s28
	s_cbranch_vccz .LBB175_190
; %bb.175:
	s_cmp_lt_i32 s0, 27
	s_cbranch_scc1 .LBB175_178
; %bb.176:
	s_cmp_gt_i32 s0, 27
	s_cbranch_scc0 .LBB175_179
; %bb.177:
	s_wait_loadcnt 0x0
	global_load_b32 v6, v[4:5], off
	s_mov_b32 s27, 0
	s_branch .LBB175_180
.LBB175_178:
	s_mov_b32 s27, -1
                                        ; implicit-def: $vgpr6
	s_branch .LBB175_183
.LBB175_179:
	s_mov_b32 s27, -1
                                        ; implicit-def: $vgpr6
.LBB175_180:
	s_delay_alu instid0(SALU_CYCLE_1)
	s_and_not1_b32 vcc_lo, exec_lo, s27
	s_cbranch_vccnz .LBB175_182
; %bb.181:
	s_wait_loadcnt 0x0
	global_load_u16 v6, v[4:5], off
.LBB175_182:
	s_mov_b32 s27, 0
.LBB175_183:
	s_delay_alu instid0(SALU_CYCLE_1)
	s_and_not1_b32 vcc_lo, exec_lo, s27
	s_cbranch_vccnz .LBB175_189
; %bb.184:
	global_load_u8 v1, v[4:5], off
	s_mov_b32 s28, 0
	s_mov_b32 s27, exec_lo
	s_wait_loadcnt 0x0
	v_cmpx_lt_i16_e32 0x7f, v1
	s_xor_b32 s27, exec_lo, s27
	s_cbranch_execz .LBB175_200
; %bb.185:
	v_cmp_ne_u16_e32 vcc_lo, 0x80, v1
	s_and_b32 s28, vcc_lo, exec_lo
	s_and_not1_saveexec_b32 s27, s27
	s_cbranch_execnz .LBB175_201
.LBB175_186:
	s_or_b32 exec_lo, exec_lo, s27
	v_mov_b32_e32 v6, 0
	s_and_saveexec_b32 s27, s28
	s_cbranch_execz .LBB175_188
.LBB175_187:
	v_and_b32_e32 v3, 0xffff, v1
	s_delay_alu instid0(VALU_DEP_1) | instskip(SKIP_1) | instid1(VALU_DEP_2)
	v_dual_lshlrev_b32 v1, 24, v1 :: v_dual_bitop2_b32 v6, 7, v3 bitop3:0x40
	v_bfe_u32 v9, v3, 3, 4
	v_and_b32_e32 v1, 0x80000000, v1
	s_delay_alu instid0(VALU_DEP_3) | instskip(NEXT) | instid1(VALU_DEP_3)
	v_clz_i32_u32_e32 v7, v6
	v_cmp_eq_u32_e32 vcc_lo, 0, v9
	s_delay_alu instid0(VALU_DEP_2) | instskip(NEXT) | instid1(VALU_DEP_1)
	v_min_u32_e32 v7, 32, v7
	v_subrev_nc_u32_e32 v8, 28, v7
	v_sub_nc_u32_e32 v7, 29, v7
	s_delay_alu instid0(VALU_DEP_2) | instskip(NEXT) | instid1(VALU_DEP_2)
	v_lshlrev_b32_e32 v3, v8, v3
	v_cndmask_b32_e32 v7, v9, v7, vcc_lo
	s_delay_alu instid0(VALU_DEP_2) | instskip(NEXT) | instid1(VALU_DEP_1)
	v_and_b32_e32 v3, 7, v3
	v_cndmask_b32_e32 v3, v6, v3, vcc_lo
	s_delay_alu instid0(VALU_DEP_3) | instskip(NEXT) | instid1(VALU_DEP_2)
	v_lshl_add_u32 v6, v7, 23, 0x3b800000
	v_lshlrev_b32_e32 v3, 20, v3
	s_delay_alu instid0(VALU_DEP_1) | instskip(NEXT) | instid1(VALU_DEP_1)
	v_or3_b32 v1, v1, v6, v3
	v_trunc_f32_e32 v1, v1
	s_delay_alu instid0(VALU_DEP_1) | instskip(NEXT) | instid1(VALU_DEP_1)
	v_mul_f32_e64 v3, 0x2f800000, |v1|
	v_floor_f32_e32 v3, v3
	s_delay_alu instid0(VALU_DEP_1) | instskip(SKIP_1) | instid1(VALU_DEP_2)
	v_fma_f32 v3, 0xcf800000, v3, |v1|
	v_ashrrev_i32_e32 v1, 31, v1
	v_cvt_u32_f32_e32 v3, v3
	s_delay_alu instid0(VALU_DEP_1) | instskip(NEXT) | instid1(VALU_DEP_1)
	v_xor_b32_e32 v3, v3, v1
	v_sub_nc_u32_e32 v6, v3, v1
.LBB175_188:
	s_or_b32 exec_lo, exec_lo, s27
.LBB175_189:
	s_mov_b32 s27, -1
.LBB175_190:
	s_branch .LBB175_223
.LBB175_191:
	s_cmp_gt_i32 s0, 22
	s_cbranch_scc0 .LBB175_199
; %bb.192:
	s_cmp_lt_i32 s0, 24
	s_cbranch_scc1 .LBB175_202
; %bb.193:
	s_cmp_gt_i32 s0, 24
	s_cbranch_scc0 .LBB175_203
; %bb.194:
	global_load_u8 v1, v[4:5], off
	s_mov_b32 s28, 0
	s_mov_b32 s27, exec_lo
	s_wait_loadcnt 0x0
	v_cmpx_lt_i16_e32 0x7f, v1
	s_xor_b32 s27, exec_lo, s27
	s_cbranch_execz .LBB175_215
; %bb.195:
	v_cmp_ne_u16_e32 vcc_lo, 0x80, v1
	s_and_b32 s28, vcc_lo, exec_lo
	s_and_not1_saveexec_b32 s27, s27
	s_cbranch_execnz .LBB175_216
.LBB175_196:
	s_or_b32 exec_lo, exec_lo, s27
	v_mov_b32_e32 v6, 0
	s_and_saveexec_b32 s27, s28
	s_cbranch_execz .LBB175_198
.LBB175_197:
	v_and_b32_e32 v3, 0xffff, v1
	s_delay_alu instid0(VALU_DEP_1) | instskip(SKIP_1) | instid1(VALU_DEP_2)
	v_dual_lshlrev_b32 v1, 24, v1 :: v_dual_bitop2_b32 v6, 3, v3 bitop3:0x40
	v_bfe_u32 v9, v3, 2, 5
	v_and_b32_e32 v1, 0x80000000, v1
	s_delay_alu instid0(VALU_DEP_3) | instskip(NEXT) | instid1(VALU_DEP_3)
	v_clz_i32_u32_e32 v7, v6
	v_cmp_eq_u32_e32 vcc_lo, 0, v9
	s_delay_alu instid0(VALU_DEP_2) | instskip(NEXT) | instid1(VALU_DEP_1)
	v_min_u32_e32 v7, 32, v7
	v_subrev_nc_u32_e32 v8, 29, v7
	v_sub_nc_u32_e32 v7, 30, v7
	s_delay_alu instid0(VALU_DEP_2) | instskip(NEXT) | instid1(VALU_DEP_2)
	v_lshlrev_b32_e32 v3, v8, v3
	v_cndmask_b32_e32 v7, v9, v7, vcc_lo
	s_delay_alu instid0(VALU_DEP_2) | instskip(NEXT) | instid1(VALU_DEP_1)
	v_and_b32_e32 v3, 3, v3
	v_cndmask_b32_e32 v3, v6, v3, vcc_lo
	s_delay_alu instid0(VALU_DEP_3) | instskip(NEXT) | instid1(VALU_DEP_2)
	v_lshl_add_u32 v6, v7, 23, 0x37800000
	v_lshlrev_b32_e32 v3, 21, v3
	s_delay_alu instid0(VALU_DEP_1) | instskip(NEXT) | instid1(VALU_DEP_1)
	v_or3_b32 v1, v1, v6, v3
	v_trunc_f32_e32 v1, v1
	s_delay_alu instid0(VALU_DEP_1) | instskip(NEXT) | instid1(VALU_DEP_1)
	v_mul_f32_e64 v3, 0x2f800000, |v1|
	v_floor_f32_e32 v3, v3
	s_delay_alu instid0(VALU_DEP_1) | instskip(SKIP_1) | instid1(VALU_DEP_2)
	v_fma_f32 v3, 0xcf800000, v3, |v1|
	v_ashrrev_i32_e32 v1, 31, v1
	v_cvt_u32_f32_e32 v3, v3
	s_delay_alu instid0(VALU_DEP_1) | instskip(NEXT) | instid1(VALU_DEP_1)
	v_xor_b32_e32 v3, v3, v1
	v_sub_nc_u32_e32 v6, v3, v1
.LBB175_198:
	s_or_b32 exec_lo, exec_lo, s27
	s_mov_b32 s27, 0
	s_branch .LBB175_204
.LBB175_199:
	s_mov_b32 s28, -1
                                        ; implicit-def: $vgpr6
	s_branch .LBB175_210
.LBB175_200:
	s_and_not1_saveexec_b32 s27, s27
	s_cbranch_execz .LBB175_186
.LBB175_201:
	v_cmp_ne_u16_e32 vcc_lo, 0, v1
	s_and_not1_b32 s28, s28, exec_lo
	s_and_b32 s29, vcc_lo, exec_lo
	s_delay_alu instid0(SALU_CYCLE_1)
	s_or_b32 s28, s28, s29
	s_or_b32 exec_lo, exec_lo, s27
	v_mov_b32_e32 v6, 0
	s_and_saveexec_b32 s27, s28
	s_cbranch_execnz .LBB175_187
	s_branch .LBB175_188
.LBB175_202:
	s_mov_b32 s27, -1
                                        ; implicit-def: $vgpr6
	s_branch .LBB175_207
.LBB175_203:
	s_mov_b32 s27, -1
                                        ; implicit-def: $vgpr6
.LBB175_204:
	s_delay_alu instid0(SALU_CYCLE_1)
	s_and_b32 vcc_lo, exec_lo, s27
	s_cbranch_vccz .LBB175_206
; %bb.205:
	global_load_u8 v1, v[4:5], off
	s_wait_loadcnt 0x0
	v_lshlrev_b32_e32 v1, 24, v1
	s_delay_alu instid0(VALU_DEP_1) | instskip(NEXT) | instid1(VALU_DEP_1)
	v_and_b32_e32 v3, 0x7f000000, v1
	v_clz_i32_u32_e32 v6, v3
	v_cmp_ne_u32_e32 vcc_lo, 0, v3
	v_add_nc_u32_e32 v8, 0x1000000, v3
	s_delay_alu instid0(VALU_DEP_3) | instskip(NEXT) | instid1(VALU_DEP_1)
	v_min_u32_e32 v6, 32, v6
	v_sub_nc_u32_e64 v6, v6, 4 clamp
	s_delay_alu instid0(VALU_DEP_1) | instskip(NEXT) | instid1(VALU_DEP_1)
	v_dual_lshlrev_b32 v7, v6, v3 :: v_dual_lshlrev_b32 v6, 23, v6
	v_lshrrev_b32_e32 v7, 4, v7
	s_delay_alu instid0(VALU_DEP_1) | instskip(NEXT) | instid1(VALU_DEP_1)
	v_dual_sub_nc_u32 v6, v7, v6 :: v_dual_ashrrev_i32 v7, 8, v8
	v_add_nc_u32_e32 v6, 0x3c000000, v6
	s_delay_alu instid0(VALU_DEP_1) | instskip(NEXT) | instid1(VALU_DEP_1)
	v_and_or_b32 v6, 0x7f800000, v7, v6
	v_cndmask_b32_e32 v3, 0, v6, vcc_lo
	s_delay_alu instid0(VALU_DEP_1) | instskip(NEXT) | instid1(VALU_DEP_1)
	v_and_or_b32 v1, 0x80000000, v1, v3
	v_trunc_f32_e32 v1, v1
	s_delay_alu instid0(VALU_DEP_1) | instskip(NEXT) | instid1(VALU_DEP_1)
	v_mul_f32_e64 v3, 0x2f800000, |v1|
	v_floor_f32_e32 v3, v3
	s_delay_alu instid0(VALU_DEP_1) | instskip(SKIP_1) | instid1(VALU_DEP_2)
	v_fma_f32 v3, 0xcf800000, v3, |v1|
	v_ashrrev_i32_e32 v1, 31, v1
	v_cvt_u32_f32_e32 v3, v3
	s_delay_alu instid0(VALU_DEP_1) | instskip(NEXT) | instid1(VALU_DEP_1)
	v_xor_b32_e32 v3, v3, v1
	v_sub_nc_u32_e32 v6, v3, v1
.LBB175_206:
	s_mov_b32 s27, 0
.LBB175_207:
	s_delay_alu instid0(SALU_CYCLE_1)
	s_and_not1_b32 vcc_lo, exec_lo, s27
	s_cbranch_vccnz .LBB175_209
; %bb.208:
	global_load_u8 v1, v[4:5], off
	s_wait_loadcnt 0x0
	v_lshlrev_b32_e32 v3, 25, v1
	v_lshlrev_b16 v1, 8, v1
	s_delay_alu instid0(VALU_DEP_1) | instskip(SKIP_1) | instid1(VALU_DEP_2)
	v_and_or_b32 v7, 0x7f00, v1, 0.5
	v_bfe_i32 v1, v1, 0, 16
	v_add_f32_e32 v7, -0.5, v7
	v_lshrrev_b32_e32 v6, 4, v3
	v_cmp_gt_u32_e32 vcc_lo, 0x8000000, v3
	s_delay_alu instid0(VALU_DEP_2) | instskip(NEXT) | instid1(VALU_DEP_1)
	v_or_b32_e32 v6, 0x70000000, v6
	v_mul_f32_e32 v6, 0x7800000, v6
	s_delay_alu instid0(VALU_DEP_1) | instskip(NEXT) | instid1(VALU_DEP_1)
	v_cndmask_b32_e32 v3, v6, v7, vcc_lo
	v_and_or_b32 v1, 0x80000000, v1, v3
	s_delay_alu instid0(VALU_DEP_1) | instskip(NEXT) | instid1(VALU_DEP_1)
	v_trunc_f32_e32 v1, v1
	v_mul_f32_e64 v3, 0x2f800000, |v1|
	s_delay_alu instid0(VALU_DEP_1) | instskip(NEXT) | instid1(VALU_DEP_1)
	v_floor_f32_e32 v3, v3
	v_fma_f32 v3, 0xcf800000, v3, |v1|
	v_ashrrev_i32_e32 v1, 31, v1
	s_delay_alu instid0(VALU_DEP_2) | instskip(NEXT) | instid1(VALU_DEP_1)
	v_cvt_u32_f32_e32 v3, v3
	v_xor_b32_e32 v3, v3, v1
	s_delay_alu instid0(VALU_DEP_1)
	v_sub_nc_u32_e32 v6, v3, v1
.LBB175_209:
	s_mov_b32 s28, 0
	s_mov_b32 s27, -1
.LBB175_210:
	s_and_not1_b32 vcc_lo, exec_lo, s28
	s_cbranch_vccnz .LBB175_223
; %bb.211:
	s_cmp_gt_i32 s0, 14
	s_cbranch_scc0 .LBB175_214
; %bb.212:
	s_cmp_eq_u32 s0, 15
	s_cbranch_scc0 .LBB175_217
; %bb.213:
	global_load_u16 v1, v[4:5], off
	s_mov_b32 s27, -1
	s_mov_b32 s26, 0
	s_wait_loadcnt 0x0
	v_lshlrev_b32_e32 v1, 16, v1
	s_delay_alu instid0(VALU_DEP_1) | instskip(NEXT) | instid1(VALU_DEP_1)
	v_trunc_f32_e32 v1, v1
	v_mul_f32_e64 v3, 0x2f800000, |v1|
	s_delay_alu instid0(VALU_DEP_1) | instskip(NEXT) | instid1(VALU_DEP_1)
	v_floor_f32_e32 v3, v3
	v_fma_f32 v3, 0xcf800000, v3, |v1|
	v_ashrrev_i32_e32 v1, 31, v1
	s_delay_alu instid0(VALU_DEP_2) | instskip(NEXT) | instid1(VALU_DEP_1)
	v_cvt_u32_f32_e32 v3, v3
	v_xor_b32_e32 v3, v3, v1
	s_delay_alu instid0(VALU_DEP_1)
	v_sub_nc_u32_e32 v6, v3, v1
	s_branch .LBB175_218
.LBB175_214:
	s_mov_b32 s28, -1
                                        ; implicit-def: $vgpr6
	s_branch .LBB175_219
.LBB175_215:
	s_and_not1_saveexec_b32 s27, s27
	s_cbranch_execz .LBB175_196
.LBB175_216:
	v_cmp_ne_u16_e32 vcc_lo, 0, v1
	s_and_not1_b32 s28, s28, exec_lo
	s_and_b32 s29, vcc_lo, exec_lo
	s_delay_alu instid0(SALU_CYCLE_1)
	s_or_b32 s28, s28, s29
	s_or_b32 exec_lo, exec_lo, s27
	v_mov_b32_e32 v6, 0
	s_and_saveexec_b32 s27, s28
	s_cbranch_execnz .LBB175_197
	s_branch .LBB175_198
.LBB175_217:
	s_mov_b32 s26, -1
                                        ; implicit-def: $vgpr6
.LBB175_218:
	s_mov_b32 s28, 0
.LBB175_219:
	s_delay_alu instid0(SALU_CYCLE_1)
	s_and_b32 vcc_lo, exec_lo, s28
	s_cbranch_vccz .LBB175_223
; %bb.220:
	s_cmp_eq_u32 s0, 11
	s_cbranch_scc0 .LBB175_222
; %bb.221:
	global_load_u8 v1, v[4:5], off
	s_mov_b32 s26, 0
	s_mov_b32 s27, -1
	s_wait_loadcnt 0x0
	v_cmp_ne_u16_e32 vcc_lo, 0, v1
	v_cndmask_b32_e64 v6, 0, 1, vcc_lo
	s_branch .LBB175_223
.LBB175_222:
	s_mov_b32 s26, -1
                                        ; implicit-def: $vgpr6
.LBB175_223:
	s_branch .LBB175_25
.LBB175_224:
	s_cmp_lt_i32 s0, 5
	s_cbranch_scc1 .LBB175_229
; %bb.225:
	s_cmp_lt_i32 s0, 8
	s_cbranch_scc1 .LBB175_230
; %bb.226:
	;; [unrolled: 3-line block ×3, first 2 shown]
	s_cmp_gt_i32 s0, 9
	s_cbranch_scc0 .LBB175_232
; %bb.228:
	s_wait_loadcnt 0x0
	global_load_b64 v[6:7], v[4:5], off
	s_mov_b32 s27, 0
	s_wait_loadcnt 0x0
	v_trunc_f64_e32 v[6:7], v[6:7]
	s_delay_alu instid0(VALU_DEP_1) | instskip(NEXT) | instid1(VALU_DEP_1)
	v_ldexp_f64 v[8:9], v[6:7], 0xffffffe0
	v_floor_f64_e32 v[8:9], v[8:9]
	s_delay_alu instid0(VALU_DEP_1) | instskip(NEXT) | instid1(VALU_DEP_1)
	v_fmamk_f64 v[6:7], v[8:9], 0xc1f00000, v[6:7]
	v_cvt_u32_f64_e32 v6, v[6:7]
	s_branch .LBB175_233
.LBB175_229:
                                        ; implicit-def: $vgpr6
	s_branch .LBB175_251
.LBB175_230:
	s_mov_b32 s27, -1
                                        ; implicit-def: $vgpr6
	s_branch .LBB175_239
.LBB175_231:
	s_mov_b32 s27, -1
                                        ; implicit-def: $vgpr6
	s_branch .LBB175_236
.LBB175_232:
	s_mov_b32 s27, -1
                                        ; implicit-def: $vgpr6
.LBB175_233:
	s_delay_alu instid0(SALU_CYCLE_1)
	s_and_not1_b32 vcc_lo, exec_lo, s27
	s_cbranch_vccnz .LBB175_235
; %bb.234:
	global_load_b32 v1, v[4:5], off
	s_wait_loadcnt 0x0
	v_trunc_f32_e32 v1, v1
	s_delay_alu instid0(VALU_DEP_1) | instskip(NEXT) | instid1(VALU_DEP_1)
	v_mul_f32_e64 v3, 0x2f800000, |v1|
	v_floor_f32_e32 v3, v3
	s_delay_alu instid0(VALU_DEP_1) | instskip(SKIP_1) | instid1(VALU_DEP_2)
	v_fma_f32 v3, 0xcf800000, v3, |v1|
	v_ashrrev_i32_e32 v1, 31, v1
	v_cvt_u32_f32_e32 v3, v3
	s_delay_alu instid0(VALU_DEP_1) | instskip(NEXT) | instid1(VALU_DEP_1)
	v_xor_b32_e32 v3, v3, v1
	v_sub_nc_u32_e32 v6, v3, v1
.LBB175_235:
	s_mov_b32 s27, 0
.LBB175_236:
	s_delay_alu instid0(SALU_CYCLE_1)
	s_and_not1_b32 vcc_lo, exec_lo, s27
	s_cbranch_vccnz .LBB175_238
; %bb.237:
	global_load_b32 v1, v[4:5], off
	s_wait_loadcnt 0x0
	v_cvt_f32_f16_e32 v1, v1
	s_delay_alu instid0(VALU_DEP_1)
	v_cvt_i32_f32_e32 v6, v1
.LBB175_238:
	s_mov_b32 s27, 0
.LBB175_239:
	s_delay_alu instid0(SALU_CYCLE_1)
	s_and_not1_b32 vcc_lo, exec_lo, s27
	s_cbranch_vccnz .LBB175_250
; %bb.240:
	s_cmp_lt_i32 s0, 6
	s_cbranch_scc1 .LBB175_243
; %bb.241:
	s_cmp_gt_i32 s0, 6
	s_cbranch_scc0 .LBB175_244
; %bb.242:
	s_wait_loadcnt 0x0
	global_load_b64 v[6:7], v[4:5], off
	s_mov_b32 s27, 0
	s_wait_loadcnt 0x0
	v_trunc_f64_e32 v[6:7], v[6:7]
	s_delay_alu instid0(VALU_DEP_1) | instskip(NEXT) | instid1(VALU_DEP_1)
	v_ldexp_f64 v[8:9], v[6:7], 0xffffffe0
	v_floor_f64_e32 v[8:9], v[8:9]
	s_delay_alu instid0(VALU_DEP_1) | instskip(NEXT) | instid1(VALU_DEP_1)
	v_fmamk_f64 v[6:7], v[8:9], 0xc1f00000, v[6:7]
	v_cvt_u32_f64_e32 v6, v[6:7]
	s_branch .LBB175_245
.LBB175_243:
	s_mov_b32 s27, -1
                                        ; implicit-def: $vgpr6
	s_branch .LBB175_248
.LBB175_244:
	s_mov_b32 s27, -1
                                        ; implicit-def: $vgpr6
.LBB175_245:
	s_delay_alu instid0(SALU_CYCLE_1)
	s_and_not1_b32 vcc_lo, exec_lo, s27
	s_cbranch_vccnz .LBB175_247
; %bb.246:
	global_load_b32 v1, v[4:5], off
	s_wait_loadcnt 0x0
	v_trunc_f32_e32 v1, v1
	s_delay_alu instid0(VALU_DEP_1) | instskip(NEXT) | instid1(VALU_DEP_1)
	v_mul_f32_e64 v3, 0x2f800000, |v1|
	v_floor_f32_e32 v3, v3
	s_delay_alu instid0(VALU_DEP_1) | instskip(SKIP_1) | instid1(VALU_DEP_2)
	v_fma_f32 v3, 0xcf800000, v3, |v1|
	v_ashrrev_i32_e32 v1, 31, v1
	v_cvt_u32_f32_e32 v3, v3
	s_delay_alu instid0(VALU_DEP_1) | instskip(NEXT) | instid1(VALU_DEP_1)
	v_xor_b32_e32 v3, v3, v1
	v_sub_nc_u32_e32 v6, v3, v1
.LBB175_247:
	s_mov_b32 s27, 0
.LBB175_248:
	s_delay_alu instid0(SALU_CYCLE_1)
	s_and_not1_b32 vcc_lo, exec_lo, s27
	s_cbranch_vccnz .LBB175_250
; %bb.249:
	global_load_u16 v1, v[4:5], off
	s_wait_loadcnt 0x0
	v_cvt_f32_f16_e32 v1, v1
	s_delay_alu instid0(VALU_DEP_1)
	v_cvt_i32_f32_e32 v6, v1
.LBB175_250:
	s_cbranch_execnz .LBB175_270
.LBB175_251:
	s_cmp_lt_i32 s0, 2
	s_cbranch_scc1 .LBB175_255
; %bb.252:
	s_cmp_lt_i32 s0, 3
	s_cbranch_scc1 .LBB175_256
; %bb.253:
	s_cmp_gt_i32 s0, 3
	s_cbranch_scc0 .LBB175_257
; %bb.254:
	s_wait_loadcnt 0x0
	global_load_b64 v[6:7], v[4:5], off
	s_mov_b32 s27, 0
	s_branch .LBB175_258
.LBB175_255:
	s_mov_b32 s27, -1
                                        ; implicit-def: $vgpr6
	s_branch .LBB175_264
.LBB175_256:
	s_mov_b32 s27, -1
                                        ; implicit-def: $vgpr6
	s_branch .LBB175_261
.LBB175_257:
	s_mov_b32 s27, -1
                                        ; implicit-def: $vgpr6
.LBB175_258:
	s_delay_alu instid0(SALU_CYCLE_1)
	s_and_not1_b32 vcc_lo, exec_lo, s27
	s_cbranch_vccnz .LBB175_260
; %bb.259:
	s_wait_loadcnt 0x0
	global_load_b32 v6, v[4:5], off
.LBB175_260:
	s_mov_b32 s27, 0
.LBB175_261:
	s_delay_alu instid0(SALU_CYCLE_1)
	s_and_not1_b32 vcc_lo, exec_lo, s27
	s_cbranch_vccnz .LBB175_263
; %bb.262:
	s_wait_loadcnt 0x0
	global_load_u16 v6, v[4:5], off
.LBB175_263:
	s_mov_b32 s27, 0
.LBB175_264:
	s_delay_alu instid0(SALU_CYCLE_1)
	s_and_not1_b32 vcc_lo, exec_lo, s27
	s_cbranch_vccnz .LBB175_270
; %bb.265:
	s_cmp_gt_i32 s0, 0
	s_mov_b32 s0, 0
	s_cbranch_scc0 .LBB175_267
; %bb.266:
	s_wait_loadcnt 0x0
	global_load_u8 v6, v[4:5], off
	s_branch .LBB175_268
.LBB175_267:
	s_mov_b32 s0, -1
                                        ; implicit-def: $vgpr6
.LBB175_268:
	s_delay_alu instid0(SALU_CYCLE_1)
	s_and_not1_b32 vcc_lo, exec_lo, s0
	s_cbranch_vccnz .LBB175_270
; %bb.269:
	s_wait_loadcnt 0x0
	global_load_u8 v6, v[4:5], off
.LBB175_270:
	s_branch .LBB175_26
.LBB175_271:
	s_mov_b32 s0, 0
.LBB175_272:
	s_mov_b32 s27, 0
                                        ; implicit-def: $vgpr0
.LBB175_273:
	s_and_b32 s42, s0, exec_lo
	s_and_b32 s43, s26, exec_lo
	s_or_not1_b32 s27, s27, exec_lo
.LBB175_274:
	s_wait_xcnt 0x0
	s_or_b32 exec_lo, exec_lo, s44
	s_mov_b32 s26, 0
	s_mov_b32 s0, 0
                                        ; implicit-def: $vgpr4_vgpr5
                                        ; implicit-def: $vgpr2
                                        ; implicit-def: $vgpr6
	s_and_saveexec_b32 s44, s27
	s_cbranch_execz .LBB175_282
; %bb.275:
	s_mov_b32 s0, -1
	s_mov_b32 s45, s43
	s_mov_b32 s46, s42
	s_mov_b32 s47, exec_lo
	v_cmpx_gt_i32_e64 s39, v0
	s_cbranch_execz .LBB175_560
; %bb.276:
	s_and_not1_b32 vcc_lo, exec_lo, s35
	s_cbranch_vccnz .LBB175_285
; %bb.277:
	s_and_not1_b32 vcc_lo, exec_lo, s41
	s_cbranch_vccnz .LBB175_286
; %bb.278:
	s_add_co_i32 s0, s40, 1
	s_cmp_eq_u32 s33, 2
	s_cbranch_scc1 .LBB175_287
; %bb.279:
	v_dual_mov_b32 v2, 0 :: v_dual_mov_b32 v4, 0
	v_mov_b32_e32 v1, v0
	s_and_b32 s26, s0, 28
	s_mov_b32 s27, 0
	s_mov_b64 s[28:29], s[2:3]
	s_mov_b64 s[30:31], s[24:25]
.LBB175_280:                            ; =>This Inner Loop Header: Depth=1
	s_clause 0x1
	s_load_b256 s[48:55], s[28:29], 0x4
	s_load_b128 s[64:67], s[28:29], 0x24
	s_load_b256 s[56:63], s[30:31], 0x0
	s_add_co_i32 s27, s27, 4
	s_wait_xcnt 0x0
	s_add_nc_u64 s[28:29], s[28:29], 48
	s_cmp_eq_u32 s26, s27
	s_add_nc_u64 s[30:31], s[30:31], 32
	s_wait_kmcnt 0x0
	v_mul_hi_u32 v3, s49, v1
	s_delay_alu instid0(VALU_DEP_1) | instskip(NEXT) | instid1(VALU_DEP_1)
	v_add_nc_u32_e32 v3, v1, v3
	v_lshrrev_b32_e32 v3, s50, v3
	s_delay_alu instid0(VALU_DEP_1) | instskip(NEXT) | instid1(VALU_DEP_1)
	v_mul_hi_u32 v5, s52, v3
	v_add_nc_u32_e32 v5, v3, v5
	s_delay_alu instid0(VALU_DEP_1) | instskip(SKIP_1) | instid1(VALU_DEP_1)
	v_lshrrev_b32_e32 v5, s53, v5
	s_wait_loadcnt 0x0
	v_mul_hi_u32 v6, s55, v5
	s_delay_alu instid0(VALU_DEP_1) | instskip(SKIP_1) | instid1(VALU_DEP_1)
	v_add_nc_u32_e32 v6, v5, v6
	v_mul_lo_u32 v7, v3, s48
	v_sub_nc_u32_e32 v1, v1, v7
	v_mul_lo_u32 v7, v5, s51
	s_delay_alu instid0(VALU_DEP_4) | instskip(NEXT) | instid1(VALU_DEP_3)
	v_lshrrev_b32_e32 v6, s64, v6
	v_mad_u32 v4, v1, s57, v4
	v_mad_u32 v1, v1, s56, v2
	s_delay_alu instid0(VALU_DEP_4) | instskip(NEXT) | instid1(VALU_DEP_4)
	v_sub_nc_u32_e32 v2, v3, v7
	v_mul_hi_u32 v8, s66, v6
	v_mul_lo_u32 v3, v6, s54
	s_delay_alu instid0(VALU_DEP_3) | instskip(SKIP_1) | instid1(VALU_DEP_3)
	v_mad_u32 v4, v2, s59, v4
	v_mad_u32 v2, v2, s58, v1
	v_dual_add_nc_u32 v7, v6, v8 :: v_dual_sub_nc_u32 v3, v5, v3
	s_delay_alu instid0(VALU_DEP_1) | instskip(NEXT) | instid1(VALU_DEP_2)
	v_lshrrev_b32_e32 v1, s67, v7
	v_mad_u32 v4, v3, s61, v4
	s_delay_alu instid0(VALU_DEP_4) | instskip(NEXT) | instid1(VALU_DEP_3)
	v_mad_u32 v2, v3, s60, v2
	v_mul_lo_u32 v5, v1, s65
	s_delay_alu instid0(VALU_DEP_1) | instskip(NEXT) | instid1(VALU_DEP_1)
	v_sub_nc_u32_e32 v3, v6, v5
	v_mad_u32 v4, v3, s63, v4
	s_delay_alu instid0(VALU_DEP_4)
	v_mad_u32 v2, v3, s62, v2
	s_cbranch_scc0 .LBB175_280
; %bb.281:
	s_delay_alu instid0(VALU_DEP_2)
	v_mov_b32_e32 v3, v4
	s_branch .LBB175_288
.LBB175_282:
	s_or_b32 exec_lo, exec_lo, s44
	s_mov_b32 s1, 0
	s_and_saveexec_b32 s6, s43
	s_cbranch_execnz .LBB175_946
.LBB175_283:
	s_or_b32 exec_lo, exec_lo, s6
	s_and_saveexec_b32 s6, s21
	s_delay_alu instid0(SALU_CYCLE_1)
	s_xor_b32 s6, exec_lo, s6
	s_cbranch_execz .LBB175_947
.LBB175_284:
	global_load_u8 v0, v[4:5], off
	s_or_b32 s0, s0, exec_lo
	s_wait_loadcnt 0x0
	v_cmp_ne_u16_e32 vcc_lo, 0, v0
	v_cndmask_b32_e64 v6, 0, 1, vcc_lo
	s_wait_xcnt 0x0
	s_or_b32 exec_lo, exec_lo, s6
	s_and_saveexec_b32 s6, s26
	s_cbranch_execz .LBB175_993
	s_branch .LBB175_948
.LBB175_285:
                                        ; implicit-def: $vgpr4
                                        ; implicit-def: $vgpr2
	s_and_not1_b32 vcc_lo, exec_lo, s0
	s_cbranch_vccnz .LBB175_295
	s_branch .LBB175_293
.LBB175_286:
	v_dual_mov_b32 v4, 0 :: v_dual_mov_b32 v2, 0
	s_branch .LBB175_292
.LBB175_287:
	v_mov_b64_e32 v[2:3], 0
	v_mov_b32_e32 v1, v0
                                        ; implicit-def: $vgpr4
.LBB175_288:
	s_and_b32 s0, s0, 3
	s_mov_b32 s27, 0
	s_cmp_eq_u32 s0, 0
	s_cbranch_scc1 .LBB175_292
; %bb.289:
	s_lshl_b32 s28, s26, 3
	s_mov_b32 s29, s27
	s_mul_u64 s[30:31], s[26:27], 12
	s_add_nc_u64 s[28:29], s[2:3], s[28:29]
	s_delay_alu instid0(SALU_CYCLE_1)
	s_add_nc_u64 s[26:27], s[28:29], 0xc4
	s_add_nc_u64 s[28:29], s[2:3], s[30:31]
.LBB175_290:                            ; =>This Inner Loop Header: Depth=1
	s_load_b96 s[48:50], s[28:29], 0x4
	s_load_b64 s[30:31], s[26:27], 0x0
	s_add_co_i32 s0, s0, -1
	s_wait_xcnt 0x0
	s_add_nc_u64 s[28:29], s[28:29], 12
	s_cmp_lg_u32 s0, 0
	s_add_nc_u64 s[26:27], s[26:27], 8
	s_wait_kmcnt 0x0
	v_mul_hi_u32 v4, s49, v1
	s_delay_alu instid0(VALU_DEP_1) | instskip(NEXT) | instid1(VALU_DEP_1)
	v_add_nc_u32_e32 v4, v1, v4
	v_lshrrev_b32_e32 v4, s50, v4
	s_delay_alu instid0(VALU_DEP_1) | instskip(NEXT) | instid1(VALU_DEP_1)
	v_mul_lo_u32 v5, v4, s48
	v_sub_nc_u32_e32 v1, v1, v5
	s_delay_alu instid0(VALU_DEP_1)
	v_mad_u32 v3, v1, s31, v3
	v_mad_u32 v2, v1, s30, v2
	v_mov_b32_e32 v1, v4
	s_cbranch_scc1 .LBB175_290
; %bb.291:
	s_delay_alu instid0(VALU_DEP_3)
	v_mov_b32_e32 v4, v3
.LBB175_292:
	s_cbranch_execnz .LBB175_295
.LBB175_293:
	v_mov_b32_e32 v1, 0
	s_and_not1_b32 vcc_lo, exec_lo, s38
	s_delay_alu instid0(VALU_DEP_1) | instskip(NEXT) | instid1(VALU_DEP_1)
	v_mul_u64_e32 v[2:3], s[20:21], v[0:1]
	v_add_nc_u32_e32 v2, v0, v3
	s_wait_loadcnt 0x0
	s_delay_alu instid0(VALU_DEP_1) | instskip(NEXT) | instid1(VALU_DEP_1)
	v_lshrrev_b32_e32 v6, s10, v2
	v_mul_lo_u32 v2, v6, s8
	s_delay_alu instid0(VALU_DEP_1) | instskip(NEXT) | instid1(VALU_DEP_1)
	v_sub_nc_u32_e32 v2, v0, v2
	v_mul_lo_u32 v4, v2, s13
	v_mul_lo_u32 v2, v2, s12
	s_cbranch_vccnz .LBB175_295
; %bb.294:
	v_mov_b32_e32 v7, v1
	s_delay_alu instid0(VALU_DEP_1) | instskip(NEXT) | instid1(VALU_DEP_1)
	v_mul_u64_e32 v[8:9], s[22:23], v[6:7]
	v_add_nc_u32_e32 v1, v6, v9
	s_delay_alu instid0(VALU_DEP_1) | instskip(NEXT) | instid1(VALU_DEP_1)
	v_lshrrev_b32_e32 v1, s1, v1
	v_mul_lo_u32 v1, v1, s11
	s_delay_alu instid0(VALU_DEP_1) | instskip(NEXT) | instid1(VALU_DEP_1)
	v_sub_nc_u32_e32 v1, v6, v1
	v_mad_u32 v2, v1, s14, v2
	v_mad_u32 v4, v1, s15, v4
.LBB175_295:
	v_mov_b32_e32 v5, 0
	s_and_b32 s0, 0xffff, s37
	s_delay_alu instid0(SALU_CYCLE_1) | instskip(NEXT) | instid1(VALU_DEP_1)
	s_cmp_lt_i32 s0, 11
	v_add_nc_u64_e32 v[4:5], s[6:7], v[4:5]
	s_cbranch_scc1 .LBB175_302
; %bb.296:
	s_cmp_gt_i32 s0, 25
	s_cbranch_scc0 .LBB175_307
; %bb.297:
	s_cmp_gt_i32 s0, 28
	s_cbranch_scc0 .LBB175_311
	;; [unrolled: 3-line block ×4, first 2 shown]
; %bb.300:
	s_cmp_eq_u32 s0, 46
	s_mov_b32 s28, 0
	s_cbranch_scc0 .LBB175_334
; %bb.301:
	global_load_b32 v1, v[4:5], off
	s_mov_b32 s27, -1
	s_mov_b32 s26, 0
	s_wait_loadcnt 0x0
	v_lshlrev_b32_e32 v1, 16, v1
	s_delay_alu instid0(VALU_DEP_1) | instskip(NEXT) | instid1(VALU_DEP_1)
	v_trunc_f32_e32 v1, v1
	v_mul_f32_e64 v3, 0x2f800000, |v1|
	s_delay_alu instid0(VALU_DEP_1) | instskip(NEXT) | instid1(VALU_DEP_1)
	v_floor_f32_e32 v3, v3
	v_fma_f32 v3, 0xcf800000, v3, |v1|
	v_ashrrev_i32_e32 v1, 31, v1
	s_delay_alu instid0(VALU_DEP_2) | instskip(NEXT) | instid1(VALU_DEP_1)
	v_cvt_u32_f32_e32 v3, v3
	v_xor_b32_e32 v3, v3, v1
	s_delay_alu instid0(VALU_DEP_1)
	v_sub_nc_u32_e32 v6, v3, v1
	s_branch .LBB175_336
.LBB175_302:
	s_mov_b32 s27, 0
	s_mov_b32 s26, s43
                                        ; implicit-def: $vgpr6
	s_cbranch_execnz .LBB175_509
.LBB175_303:
	s_and_not1_b32 vcc_lo, exec_lo, s27
	s_cbranch_vccnz .LBB175_557
.LBB175_304:
	s_cmp_lt_i32 s16, 1
	s_mov_b32 s0, 0
	s_cbranch_scc1 .LBB175_308
; %bb.305:
	s_cmp_eq_u32 s16, 1
	s_cbranch_scc0 .LBB175_312
; %bb.306:
	s_wait_loadcnt 0x0
	s_delay_alu instid0(VALU_DEP_1)
	v_and_b32_e32 v1, 0xff, v6
	s_and_b32 s27, s17, 0xff
	s_delay_alu instid0(VALU_DEP_1) | instid1(SALU_CYCLE_1)
	v_min_u16 v1, v1, s27
	s_mov_b32 s27, 0
	s_branch .LBB175_313
.LBB175_307:
	s_mov_b32 s28, -1
	s_mov_b32 s27, 0
	s_mov_b32 s26, s43
                                        ; implicit-def: $vgpr6
	s_branch .LBB175_475
.LBB175_308:
	s_mov_b32 s27, 0
                                        ; implicit-def: $vgpr1
	s_cbranch_execnz .LBB175_314
.LBB175_309:
	s_and_not1_b32 vcc_lo, exec_lo, s27
	s_cbranch_vccnz .LBB175_315
.LBB175_310:
	s_wait_loadcnt 0x0
	s_delay_alu instid0(VALU_DEP_1)
	v_and_b32_e32 v1, 0xff, v6
	s_and_b32 s0, s17, 0xff
	s_delay_alu instid0(VALU_DEP_1) | instid1(SALU_CYCLE_1)
	v_max_u16 v1, v1, s0
	s_delay_alu instid0(VALU_DEP_1)
	v_min_u16 v1, v1, s9
	s_cbranch_execz .LBB175_316
	s_branch .LBB175_317
.LBB175_311:
	s_mov_b32 s28, -1
	s_mov_b32 s27, 0
	s_mov_b32 s26, s43
                                        ; implicit-def: $vgpr6
	s_branch .LBB175_458
.LBB175_312:
	s_mov_b32 s27, -1
                                        ; implicit-def: $vgpr1
.LBB175_313:
	s_branch .LBB175_309
.LBB175_314:
	s_cmp_lg_u32 s16, 0
	s_mov_b32 s0, -1
	s_cselect_b32 s27, -1, 0
	s_delay_alu instid0(SALU_CYCLE_1)
	s_and_not1_b32 vcc_lo, exec_lo, s27
	s_cbranch_vccz .LBB175_310
.LBB175_315:
	s_and_not1_b32 vcc_lo, exec_lo, s0
	s_cbranch_vccnz .LBB175_317
.LBB175_316:
	s_wait_loadcnt 0x0
	s_delay_alu instid0(VALU_DEP_1)
	v_and_b32_e32 v1, 0xff, v6
	s_and_b32 s0, s17, 0xff
	s_delay_alu instid0(VALU_DEP_1) | instid1(SALU_CYCLE_1)
	v_max_u16 v1, v1, s0
.LBB175_317:
	v_mov_b32_e32 v3, 0
	s_and_b32 s27, s18, 0xff
	s_delay_alu instid0(SALU_CYCLE_1) | instskip(NEXT) | instid1(VALU_DEP_1)
	s_cmp_lt_i32 s27, 11
	v_add_nc_u64_e32 v[2:3], s[4:5], v[2:3]
	s_cbranch_scc1 .LBB175_324
; %bb.318:
	s_and_b32 s28, 0xffff, s27
	s_delay_alu instid0(SALU_CYCLE_1)
	s_cmp_gt_i32 s28, 25
	s_cbranch_scc0 .LBB175_325
; %bb.319:
	s_cmp_gt_i32 s28, 28
	s_cbranch_scc0 .LBB175_327
; %bb.320:
	;; [unrolled: 3-line block ×4, first 2 shown]
	s_mov_b32 s30, 0
	s_mov_b32 s0, -1
	s_cmp_eq_u32 s28, 46
	s_mov_b32 s29, 0
	s_cbranch_scc0 .LBB175_340
; %bb.323:
	s_wait_xcnt 0x0
	v_cvt_f32_ubyte0_e32 v4, v1
	s_mov_b32 s29, -1
	s_mov_b32 s0, 0
	s_delay_alu instid0(VALU_DEP_1) | instskip(NEXT) | instid1(VALU_DEP_1)
	v_bfe_u32 v5, v4, 16, 1
	v_add3_u32 v4, v4, v5, 0x7fff
	s_delay_alu instid0(VALU_DEP_1)
	v_lshrrev_b32_e32 v4, 16, v4
	global_store_b32 v[2:3], v4, off
	s_branch .LBB175_340
.LBB175_324:
	s_mov_b32 s28, -1
	s_mov_b32 s29, 0
	s_mov_b32 s0, s42
	s_branch .LBB175_409
.LBB175_325:
	s_mov_b32 s30, -1
	s_mov_b32 s29, 0
	s_mov_b32 s0, s42
	s_branch .LBB175_367
.LBB175_326:
	s_mov_b32 s28, -1
	s_mov_b32 s27, 0
	s_mov_b32 s26, s43
                                        ; implicit-def: $vgpr6
	s_branch .LBB175_453
.LBB175_327:
	s_mov_b32 s30, -1
	s_mov_b32 s29, 0
	s_mov_b32 s0, s42
	s_branch .LBB175_350
.LBB175_328:
	s_and_not1_saveexec_b32 s31, s31
	s_cbranch_execz .LBB175_80
.LBB175_329:
	v_add_f32_e32 v4, 0x46000000, v5
	s_and_not1_b32 s30, s30, exec_lo
	s_delay_alu instid0(VALU_DEP_1) | instskip(NEXT) | instid1(VALU_DEP_1)
	v_and_b32_e32 v4, 0xff, v4
	v_cmp_ne_u32_e32 vcc_lo, 0, v4
	s_and_b32 s42, vcc_lo, exec_lo
	s_delay_alu instid0(SALU_CYCLE_1)
	s_or_b32 s30, s30, s42
	s_or_b32 exec_lo, exec_lo, s31
	v_mov_b32_e32 v6, 0
	s_and_saveexec_b32 s31, s30
	s_cbranch_execnz .LBB175_81
	s_branch .LBB175_82
.LBB175_330:
	s_mov_b32 s28, -1
	s_mov_b32 s27, 0
	s_mov_b32 s26, s43
	s_branch .LBB175_335
.LBB175_331:
	s_mov_b32 s30, -1
	s_mov_b32 s29, 0
	s_mov_b32 s0, s42
	s_branch .LBB175_346
.LBB175_332:
	s_and_not1_saveexec_b32 s31, s31
	s_cbranch_execz .LBB175_93
.LBB175_333:
	v_add_f32_e32 v4, 0x42800000, v5
	s_and_not1_b32 s30, s30, exec_lo
	s_delay_alu instid0(VALU_DEP_1) | instskip(NEXT) | instid1(VALU_DEP_1)
	v_and_b32_e32 v4, 0xff, v4
	v_cmp_ne_u32_e32 vcc_lo, 0, v4
	s_and_b32 s42, vcc_lo, exec_lo
	s_delay_alu instid0(SALU_CYCLE_1)
	s_or_b32 s30, s30, s42
	s_or_b32 exec_lo, exec_lo, s31
	v_mov_b32_e32 v6, 0
	s_and_saveexec_b32 s31, s30
	s_cbranch_execnz .LBB175_94
	s_branch .LBB175_95
.LBB175_334:
	s_mov_b32 s26, -1
	s_mov_b32 s27, 0
.LBB175_335:
                                        ; implicit-def: $vgpr6
.LBB175_336:
	s_and_b32 vcc_lo, exec_lo, s28
	s_cbranch_vccz .LBB175_452
; %bb.337:
	s_cmp_eq_u32 s0, 44
	s_cbranch_scc0 .LBB175_451
; %bb.338:
	global_load_u8 v1, v[4:5], off
	s_mov_b32 s26, 0
	s_mov_b32 s27, -1
	s_wait_loadcnt 0x0
	v_lshlrev_b32_e32 v3, 23, v1
	v_cmp_ne_u32_e32 vcc_lo, 0, v1
	s_delay_alu instid0(VALU_DEP_2) | instskip(NEXT) | instid1(VALU_DEP_1)
	v_trunc_f32_e32 v3, v3
	v_mul_f32_e64 v6, 0x2f800000, |v3|
	s_delay_alu instid0(VALU_DEP_1) | instskip(NEXT) | instid1(VALU_DEP_1)
	v_floor_f32_e32 v6, v6
	v_fma_f32 v6, 0xcf800000, v6, |v3|
	v_ashrrev_i32_e32 v3, 31, v3
	s_delay_alu instid0(VALU_DEP_2) | instskip(NEXT) | instid1(VALU_DEP_1)
	v_cvt_u32_f32_e32 v6, v6
	v_xor_b32_e32 v6, v6, v3
	s_delay_alu instid0(VALU_DEP_1) | instskip(NEXT) | instid1(VALU_DEP_1)
	v_sub_nc_u32_e32 v3, v6, v3
	v_cndmask_b32_e32 v6, 0, v3, vcc_lo
	s_branch .LBB175_452
.LBB175_339:
	s_mov_b32 s30, -1
	s_mov_b32 s29, 0
	s_mov_b32 s0, s42
.LBB175_340:
	s_and_b32 vcc_lo, exec_lo, s30
	s_cbranch_vccz .LBB175_345
; %bb.341:
	s_cmp_eq_u32 s28, 44
	s_mov_b32 s0, -1
	s_cbranch_scc0 .LBB175_345
; %bb.342:
	s_wait_loadcnt 0x0
	v_cvt_f32_ubyte0_e32 v6, v1
	s_mov_b32 s29, exec_lo
	s_wait_xcnt 0x0
	s_delay_alu instid0(VALU_DEP_1) | instskip(NEXT) | instid1(VALU_DEP_1)
	v_dual_mov_b32 v5, 0xff :: v_dual_lshrrev_b32 v4, 23, v6
	v_cmpx_ne_u32_e32 0xff, v4
; %bb.343:
	v_and_b32_e32 v5, 0x400000, v6
	v_and_or_b32 v6, 0x3fffff, v6, v4
	s_delay_alu instid0(VALU_DEP_2) | instskip(NEXT) | instid1(VALU_DEP_2)
	v_cmp_ne_u32_e32 vcc_lo, 0, v5
	v_cmp_ne_u32_e64 s0, 0, v6
	s_and_b32 s0, vcc_lo, s0
	s_delay_alu instid0(SALU_CYCLE_1) | instskip(NEXT) | instid1(VALU_DEP_1)
	v_cndmask_b32_e64 v5, 0, 1, s0
	v_add_nc_u32_e32 v5, v4, v5
; %bb.344:
	s_or_b32 exec_lo, exec_lo, s29
	s_mov_b32 s29, -1
	s_mov_b32 s0, 0
	global_store_b8 v[2:3], v5, off
.LBB175_345:
	s_mov_b32 s30, 0
.LBB175_346:
	s_delay_alu instid0(SALU_CYCLE_1)
	s_and_b32 vcc_lo, exec_lo, s30
	s_cbranch_vccz .LBB175_349
; %bb.347:
	s_cmp_eq_u32 s28, 29
	s_mov_b32 s0, -1
	s_cbranch_scc0 .LBB175_349
; %bb.348:
	s_wait_xcnt 0x0
	v_and_b32_e32 v4, 0xff, v1
	v_mov_b32_e32 v5, 0
	s_mov_b32 s29, -1
	s_mov_b32 s0, 0
	s_mov_b32 s30, 0
	global_store_b64 v[2:3], v[4:5], off
	s_branch .LBB175_350
.LBB175_349:
	s_mov_b32 s30, 0
.LBB175_350:
	s_delay_alu instid0(SALU_CYCLE_1)
	s_and_b32 vcc_lo, exec_lo, s30
	s_cbranch_vccz .LBB175_366
; %bb.351:
	s_cmp_lt_i32 s28, 27
	s_mov_b32 s29, -1
	s_cbranch_scc1 .LBB175_357
; %bb.352:
	s_cmp_gt_i32 s28, 27
	s_cbranch_scc0 .LBB175_354
; %bb.353:
	s_wait_xcnt 0x0
	v_and_b32_e32 v4, 0xff, v1
	s_mov_b32 s29, 0
	global_store_b32 v[2:3], v4, off
.LBB175_354:
	s_and_not1_b32 vcc_lo, exec_lo, s29
	s_cbranch_vccnz .LBB175_356
; %bb.355:
	s_wait_xcnt 0x0
	v_and_b32_e32 v4, 0xff, v1
	global_store_b16 v[2:3], v4, off
.LBB175_356:
	s_mov_b32 s29, 0
.LBB175_357:
	s_delay_alu instid0(SALU_CYCLE_1)
	s_and_not1_b32 vcc_lo, exec_lo, s29
	s_cbranch_vccnz .LBB175_365
; %bb.358:
	s_wait_xcnt 0x0
	v_cvt_f32_ubyte0_e32 v5, v1
	s_wait_loadcnt 0x0
	v_mov_b32_e32 v6, 0x80
	s_mov_b32 s29, exec_lo
	s_delay_alu instid0(VALU_DEP_2)
	v_cmpx_gt_u32_e32 0x43800000, v5
	s_cbranch_execz .LBB175_364
; %bb.359:
	s_mov_b32 s30, 0
	s_mov_b32 s31, exec_lo
                                        ; implicit-def: $vgpr4
	v_cmpx_lt_u32_e32 0x3bffffff, v5
	s_xor_b32 s31, exec_lo, s31
	s_cbranch_execz .LBB175_590
; %bb.360:
	v_bfe_u32 v4, v5, 20, 1
	s_mov_b32 s30, exec_lo
	s_delay_alu instid0(VALU_DEP_1) | instskip(NEXT) | instid1(VALU_DEP_1)
	v_add3_u32 v4, v5, v4, 0x487ffff
                                        ; implicit-def: $vgpr5
	v_lshrrev_b32_e32 v4, 20, v4
	s_and_not1_saveexec_b32 s31, s31
	s_cbranch_execnz .LBB175_591
.LBB175_361:
	s_or_b32 exec_lo, exec_lo, s31
	v_mov_b32_e32 v6, 0
	s_and_saveexec_b32 s31, s30
.LBB175_362:
	v_mov_b32_e32 v6, v4
.LBB175_363:
	s_or_b32 exec_lo, exec_lo, s31
.LBB175_364:
	s_delay_alu instid0(SALU_CYCLE_1)
	s_or_b32 exec_lo, exec_lo, s29
	global_store_b8 v[2:3], v6, off
.LBB175_365:
	s_mov_b32 s29, -1
.LBB175_366:
	s_mov_b32 s30, 0
.LBB175_367:
	s_delay_alu instid0(SALU_CYCLE_1)
	s_and_b32 vcc_lo, exec_lo, s30
	s_cbranch_vccz .LBB175_408
; %bb.368:
	s_cmp_gt_i32 s28, 22
	s_mov_b32 s30, -1
	s_cbranch_scc0 .LBB175_400
; %bb.369:
	s_cmp_lt_i32 s28, 24
	s_mov_b32 s29, -1
	s_cbranch_scc1 .LBB175_389
; %bb.370:
	s_cmp_gt_i32 s28, 24
	s_cbranch_scc0 .LBB175_378
; %bb.371:
	s_wait_xcnt 0x0
	v_cvt_f32_ubyte0_e32 v5, v1
	s_wait_loadcnt 0x0
	v_mov_b32_e32 v6, 0x80
	s_mov_b32 s29, exec_lo
	s_delay_alu instid0(VALU_DEP_2)
	v_cmpx_gt_u32_e32 0x47800000, v5
	s_cbranch_execz .LBB175_377
; %bb.372:
	s_mov_b32 s30, 0
	s_mov_b32 s31, exec_lo
                                        ; implicit-def: $vgpr4
	v_cmpx_lt_u32_e32 0x37ffffff, v5
	s_xor_b32 s31, exec_lo, s31
	s_cbranch_execz .LBB175_593
; %bb.373:
	v_bfe_u32 v4, v5, 21, 1
	s_mov_b32 s30, exec_lo
	s_delay_alu instid0(VALU_DEP_1) | instskip(NEXT) | instid1(VALU_DEP_1)
	v_add3_u32 v4, v5, v4, 0x88fffff
                                        ; implicit-def: $vgpr5
	v_lshrrev_b32_e32 v4, 21, v4
	s_and_not1_saveexec_b32 s31, s31
	s_cbranch_execnz .LBB175_594
.LBB175_374:
	s_or_b32 exec_lo, exec_lo, s31
	v_mov_b32_e32 v6, 0
	s_and_saveexec_b32 s31, s30
.LBB175_375:
	v_mov_b32_e32 v6, v4
.LBB175_376:
	s_or_b32 exec_lo, exec_lo, s31
.LBB175_377:
	s_delay_alu instid0(SALU_CYCLE_1)
	s_or_b32 exec_lo, exec_lo, s29
	s_mov_b32 s29, 0
	global_store_b8 v[2:3], v6, off
.LBB175_378:
	s_and_b32 vcc_lo, exec_lo, s29
	s_cbranch_vccz .LBB175_388
; %bb.379:
	s_wait_xcnt 0x0
	v_cvt_f32_ubyte0_e32 v5, v1
	s_mov_b32 s29, exec_lo
                                        ; implicit-def: $vgpr4
	s_delay_alu instid0(VALU_DEP_1)
	v_cmpx_gt_u32_e32 0x43f00000, v5
	s_xor_b32 s29, exec_lo, s29
	s_cbranch_execz .LBB175_385
; %bb.380:
	s_mov_b32 s30, exec_lo
                                        ; implicit-def: $vgpr4
	v_cmpx_lt_u32_e32 0x3c7fffff, v5
	s_xor_b32 s30, exec_lo, s30
; %bb.381:
	v_bfe_u32 v4, v5, 20, 1
	s_delay_alu instid0(VALU_DEP_1) | instskip(NEXT) | instid1(VALU_DEP_1)
	v_add3_u32 v4, v5, v4, 0x407ffff
	v_and_b32_e32 v5, 0xff00000, v4
	v_lshrrev_b32_e32 v4, 20, v4
	s_delay_alu instid0(VALU_DEP_2) | instskip(NEXT) | instid1(VALU_DEP_2)
	v_cmp_ne_u32_e32 vcc_lo, 0x7f00000, v5
                                        ; implicit-def: $vgpr5
	v_cndmask_b32_e32 v4, 0x7e, v4, vcc_lo
; %bb.382:
	s_and_not1_saveexec_b32 s30, s30
; %bb.383:
	v_add_f32_e32 v4, 0x46800000, v5
; %bb.384:
	s_or_b32 exec_lo, exec_lo, s30
                                        ; implicit-def: $vgpr5
.LBB175_385:
	s_and_not1_saveexec_b32 s29, s29
; %bb.386:
	v_mov_b32_e32 v4, 0x7f
	v_cmp_lt_u32_e32 vcc_lo, 0x7f800000, v5
	s_delay_alu instid0(VALU_DEP_2)
	v_cndmask_b32_e32 v4, 0x7e, v4, vcc_lo
; %bb.387:
	s_or_b32 exec_lo, exec_lo, s29
	global_store_b8 v[2:3], v4, off
.LBB175_388:
	s_mov_b32 s29, 0
.LBB175_389:
	s_delay_alu instid0(SALU_CYCLE_1)
	s_and_not1_b32 vcc_lo, exec_lo, s29
	s_cbranch_vccnz .LBB175_399
; %bb.390:
	s_wait_xcnt 0x0
	v_cvt_f32_ubyte0_e32 v5, v1
	s_mov_b32 s29, exec_lo
                                        ; implicit-def: $vgpr4
	s_delay_alu instid0(VALU_DEP_1)
	v_cmpx_gt_u32_e32 0x47800000, v5
	s_xor_b32 s29, exec_lo, s29
	s_cbranch_execz .LBB175_396
; %bb.391:
	s_mov_b32 s30, exec_lo
                                        ; implicit-def: $vgpr4
	v_cmpx_lt_u32_e32 0x387fffff, v5
	s_xor_b32 s30, exec_lo, s30
; %bb.392:
	v_bfe_u32 v4, v5, 21, 1
	s_delay_alu instid0(VALU_DEP_1) | instskip(NEXT) | instid1(VALU_DEP_1)
	v_add3_u32 v4, v5, v4, 0x80fffff
                                        ; implicit-def: $vgpr5
	v_lshrrev_b32_e32 v4, 21, v4
; %bb.393:
	s_and_not1_saveexec_b32 s30, s30
; %bb.394:
	v_add_f32_e32 v4, 0x43000000, v5
; %bb.395:
	s_or_b32 exec_lo, exec_lo, s30
                                        ; implicit-def: $vgpr5
.LBB175_396:
	s_and_not1_saveexec_b32 s29, s29
; %bb.397:
	v_mov_b32_e32 v4, 0x7f
	v_cmp_lt_u32_e32 vcc_lo, 0x7f800000, v5
	s_delay_alu instid0(VALU_DEP_2)
	v_cndmask_b32_e32 v4, 0x7c, v4, vcc_lo
; %bb.398:
	s_or_b32 exec_lo, exec_lo, s29
	global_store_b8 v[2:3], v4, off
.LBB175_399:
	s_mov_b32 s30, 0
	s_mov_b32 s29, -1
.LBB175_400:
	s_and_not1_b32 vcc_lo, exec_lo, s30
	s_cbranch_vccnz .LBB175_408
; %bb.401:
	s_cmp_gt_i32 s28, 14
	s_mov_b32 s30, -1
	s_cbranch_scc0 .LBB175_405
; %bb.402:
	s_cmp_eq_u32 s28, 15
	s_mov_b32 s0, -1
	s_cbranch_scc0 .LBB175_404
; %bb.403:
	s_wait_xcnt 0x0
	v_cvt_f32_ubyte0_e32 v4, v1
	s_mov_b32 s29, -1
	s_mov_b32 s0, 0
	s_delay_alu instid0(VALU_DEP_1) | instskip(NEXT) | instid1(VALU_DEP_1)
	v_bfe_u32 v5, v4, 16, 1
	v_add3_u32 v4, v4, v5, 0x7fff
	global_store_d16_hi_b16 v[2:3], v4, off
.LBB175_404:
	s_mov_b32 s30, 0
.LBB175_405:
	s_delay_alu instid0(SALU_CYCLE_1)
	s_and_b32 vcc_lo, exec_lo, s30
	s_cbranch_vccz .LBB175_408
; %bb.406:
	s_cmp_eq_u32 s28, 11
	s_mov_b32 s0, -1
	s_cbranch_scc0 .LBB175_408
; %bb.407:
	s_wait_xcnt 0x0
	v_and_b32_e32 v4, 0xff, v1
	s_mov_b32 s0, 0
	s_mov_b32 s29, -1
	s_delay_alu instid0(VALU_DEP_1)
	v_cmp_ne_u16_e32 vcc_lo, 0, v4
	v_cndmask_b32_e64 v4, 0, 1, vcc_lo
	global_store_b8 v[2:3], v4, off
.LBB175_408:
	s_mov_b32 s28, 0
.LBB175_409:
	s_delay_alu instid0(SALU_CYCLE_1)
	s_and_b32 vcc_lo, exec_lo, s28
	s_cbranch_vccz .LBB175_448
; %bb.410:
	s_and_b32 s27, 0xffff, s27
	s_mov_b32 s28, -1
	s_cmp_lt_i32 s27, 5
	s_cbranch_scc1 .LBB175_431
; %bb.411:
	s_cmp_lt_i32 s27, 8
	s_cbranch_scc1 .LBB175_421
; %bb.412:
	;; [unrolled: 3-line block ×3, first 2 shown]
	s_cmp_gt_i32 s27, 9
	s_cbranch_scc0 .LBB175_415
; %bb.414:
	s_wait_xcnt 0x0
	v_and_b32_e32 v4, 0xff, v1
	s_wait_loadcnt 0x0
	v_mov_b32_e32 v6, 0
	s_mov_b32 s28, 0
	s_delay_alu instid0(VALU_DEP_2) | instskip(NEXT) | instid1(VALU_DEP_2)
	v_and_b32_e32 v4, 0xffff, v4
	v_mov_b32_e32 v7, v6
	s_delay_alu instid0(VALU_DEP_2)
	v_cvt_f64_u32_e32 v[4:5], v4
	global_store_b128 v[2:3], v[4:7], off
.LBB175_415:
	s_and_not1_b32 vcc_lo, exec_lo, s28
	s_cbranch_vccnz .LBB175_417
; %bb.416:
	s_wait_xcnt 0x0
	v_cvt_f32_ubyte0_e32 v4, v1
	v_mov_b32_e32 v5, 0
	global_store_b64 v[2:3], v[4:5], off
.LBB175_417:
	s_mov_b32 s28, 0
.LBB175_418:
	s_delay_alu instid0(SALU_CYCLE_1)
	s_and_not1_b32 vcc_lo, exec_lo, s28
	s_cbranch_vccnz .LBB175_420
; %bb.419:
	s_wait_xcnt 0x0
	v_and_b32_e32 v4, 0xff, v1
	s_delay_alu instid0(VALU_DEP_1) | instskip(NEXT) | instid1(VALU_DEP_1)
	v_cvt_f16_u16_e32 v4, v4
	v_and_b32_e32 v4, 0xffff, v4
	global_store_b32 v[2:3], v4, off
.LBB175_420:
	s_mov_b32 s28, 0
.LBB175_421:
	s_delay_alu instid0(SALU_CYCLE_1)
	s_and_not1_b32 vcc_lo, exec_lo, s28
	s_cbranch_vccnz .LBB175_430
; %bb.422:
	s_cmp_lt_i32 s27, 6
	s_mov_b32 s28, -1
	s_cbranch_scc1 .LBB175_428
; %bb.423:
	s_cmp_gt_i32 s27, 6
	s_cbranch_scc0 .LBB175_425
; %bb.424:
	s_wait_xcnt 0x0
	v_and_b32_e32 v4, 0xff, v1
	s_mov_b32 s28, 0
	s_delay_alu instid0(VALU_DEP_1) | instskip(NEXT) | instid1(VALU_DEP_1)
	v_and_b32_e32 v4, 0xffff, v4
	v_cvt_f64_u32_e32 v[4:5], v4
	global_store_b64 v[2:3], v[4:5], off
.LBB175_425:
	s_and_not1_b32 vcc_lo, exec_lo, s28
	s_cbranch_vccnz .LBB175_427
; %bb.426:
	s_wait_xcnt 0x0
	v_cvt_f32_ubyte0_e32 v4, v1
	global_store_b32 v[2:3], v4, off
.LBB175_427:
	s_mov_b32 s28, 0
.LBB175_428:
	s_delay_alu instid0(SALU_CYCLE_1)
	s_and_not1_b32 vcc_lo, exec_lo, s28
	s_cbranch_vccnz .LBB175_430
; %bb.429:
	s_wait_xcnt 0x0
	v_and_b32_e32 v4, 0xff, v1
	s_delay_alu instid0(VALU_DEP_1)
	v_cvt_f16_u16_e32 v4, v4
	global_store_b16 v[2:3], v4, off
.LBB175_430:
	s_mov_b32 s28, 0
.LBB175_431:
	s_delay_alu instid0(SALU_CYCLE_1)
	s_and_not1_b32 vcc_lo, exec_lo, s28
	s_cbranch_vccnz .LBB175_447
; %bb.432:
	s_cmp_lt_i32 s27, 2
	s_mov_b32 s28, -1
	s_cbranch_scc1 .LBB175_442
; %bb.433:
	s_cmp_lt_i32 s27, 3
	s_cbranch_scc1 .LBB175_439
; %bb.434:
	s_cmp_gt_i32 s27, 3
	s_cbranch_scc0 .LBB175_436
; %bb.435:
	s_wait_xcnt 0x0
	v_and_b32_e32 v4, 0xff, v1
	v_mov_b32_e32 v5, 0
	s_mov_b32 s28, 0
	global_store_b64 v[2:3], v[4:5], off
.LBB175_436:
	s_and_not1_b32 vcc_lo, exec_lo, s28
	s_cbranch_vccnz .LBB175_438
; %bb.437:
	s_wait_xcnt 0x0
	v_and_b32_e32 v4, 0xff, v1
	global_store_b32 v[2:3], v4, off
.LBB175_438:
	s_mov_b32 s28, 0
.LBB175_439:
	s_delay_alu instid0(SALU_CYCLE_1)
	s_and_not1_b32 vcc_lo, exec_lo, s28
	s_cbranch_vccnz .LBB175_441
; %bb.440:
	s_wait_xcnt 0x0
	v_and_b32_e32 v4, 0xff, v1
	global_store_b16 v[2:3], v4, off
.LBB175_441:
	s_mov_b32 s28, 0
.LBB175_442:
	s_delay_alu instid0(SALU_CYCLE_1)
	s_and_not1_b32 vcc_lo, exec_lo, s28
	s_cbranch_vccnz .LBB175_447
; %bb.443:
	s_cmp_gt_i32 s27, 0
	s_mov_b32 s27, -1
	s_cbranch_scc0 .LBB175_445
; %bb.444:
	s_mov_b32 s27, 0
	global_store_b8 v[2:3], v1, off
.LBB175_445:
	s_and_not1_b32 vcc_lo, exec_lo, s27
	s_cbranch_vccnz .LBB175_447
; %bb.446:
	global_store_b8 v[2:3], v1, off
.LBB175_447:
	s_mov_b32 s29, -1
.LBB175_448:
	s_delay_alu instid0(SALU_CYCLE_1)
	s_and_not1_b32 vcc_lo, exec_lo, s29
	s_cbranch_vccnz .LBB175_450
; %bb.449:
	v_add_nc_u32_e32 v0, 0x80, v0
	s_mov_b32 s27, -1
	s_branch .LBB175_559
.LBB175_450:
	s_mov_b32 s27, 0
	s_branch .LBB175_558
.LBB175_451:
	s_mov_b32 s26, -1
                                        ; implicit-def: $vgpr6
.LBB175_452:
	s_mov_b32 s28, 0
.LBB175_453:
	s_delay_alu instid0(SALU_CYCLE_1)
	s_and_b32 vcc_lo, exec_lo, s28
	s_cbranch_vccz .LBB175_457
; %bb.454:
	s_cmp_eq_u32 s0, 29
	s_cbranch_scc0 .LBB175_456
; %bb.455:
	s_wait_loadcnt 0x0
	global_load_b64 v[6:7], v[4:5], off
	s_mov_b32 s27, -1
	s_mov_b32 s26, 0
	s_branch .LBB175_457
.LBB175_456:
	s_mov_b32 s26, -1
                                        ; implicit-def: $vgpr6
.LBB175_457:
	s_mov_b32 s28, 0
.LBB175_458:
	s_delay_alu instid0(SALU_CYCLE_1)
	s_and_b32 vcc_lo, exec_lo, s28
	s_cbranch_vccz .LBB175_474
; %bb.459:
	s_cmp_lt_i32 s0, 27
	s_cbranch_scc1 .LBB175_462
; %bb.460:
	s_cmp_gt_i32 s0, 27
	s_cbranch_scc0 .LBB175_463
; %bb.461:
	s_wait_loadcnt 0x0
	global_load_b32 v6, v[4:5], off
	s_mov_b32 s27, 0
	s_branch .LBB175_464
.LBB175_462:
	s_mov_b32 s27, -1
                                        ; implicit-def: $vgpr6
	s_branch .LBB175_467
.LBB175_463:
	s_mov_b32 s27, -1
                                        ; implicit-def: $vgpr6
.LBB175_464:
	s_delay_alu instid0(SALU_CYCLE_1)
	s_and_not1_b32 vcc_lo, exec_lo, s27
	s_cbranch_vccnz .LBB175_466
; %bb.465:
	s_wait_loadcnt 0x0
	global_load_u16 v6, v[4:5], off
.LBB175_466:
	s_mov_b32 s27, 0
.LBB175_467:
	s_delay_alu instid0(SALU_CYCLE_1)
	s_and_not1_b32 vcc_lo, exec_lo, s27
	s_cbranch_vccnz .LBB175_473
; %bb.468:
	global_load_u8 v1, v[4:5], off
	s_mov_b32 s28, 0
	s_mov_b32 s27, exec_lo
	s_wait_loadcnt 0x0
	v_cmpx_lt_i16_e32 0x7f, v1
	s_xor_b32 s27, exec_lo, s27
	s_cbranch_execz .LBB175_485
; %bb.469:
	v_cmp_ne_u16_e32 vcc_lo, 0x80, v1
	s_and_b32 s28, vcc_lo, exec_lo
	s_and_not1_saveexec_b32 s27, s27
	s_cbranch_execnz .LBB175_486
.LBB175_470:
	s_or_b32 exec_lo, exec_lo, s27
	v_mov_b32_e32 v6, 0
	s_and_saveexec_b32 s27, s28
	s_cbranch_execz .LBB175_472
.LBB175_471:
	v_and_b32_e32 v3, 0xffff, v1
	s_delay_alu instid0(VALU_DEP_1) | instskip(SKIP_1) | instid1(VALU_DEP_2)
	v_dual_lshlrev_b32 v1, 24, v1 :: v_dual_bitop2_b32 v6, 7, v3 bitop3:0x40
	v_bfe_u32 v9, v3, 3, 4
	v_and_b32_e32 v1, 0x80000000, v1
	s_delay_alu instid0(VALU_DEP_3) | instskip(NEXT) | instid1(VALU_DEP_3)
	v_clz_i32_u32_e32 v7, v6
	v_cmp_eq_u32_e32 vcc_lo, 0, v9
	s_delay_alu instid0(VALU_DEP_2) | instskip(NEXT) | instid1(VALU_DEP_1)
	v_min_u32_e32 v7, 32, v7
	v_subrev_nc_u32_e32 v8, 28, v7
	v_sub_nc_u32_e32 v7, 29, v7
	s_delay_alu instid0(VALU_DEP_2) | instskip(NEXT) | instid1(VALU_DEP_2)
	v_lshlrev_b32_e32 v3, v8, v3
	v_cndmask_b32_e32 v7, v9, v7, vcc_lo
	s_delay_alu instid0(VALU_DEP_2) | instskip(NEXT) | instid1(VALU_DEP_1)
	v_and_b32_e32 v3, 7, v3
	v_cndmask_b32_e32 v3, v6, v3, vcc_lo
	s_delay_alu instid0(VALU_DEP_3) | instskip(NEXT) | instid1(VALU_DEP_2)
	v_lshl_add_u32 v6, v7, 23, 0x3b800000
	v_lshlrev_b32_e32 v3, 20, v3
	s_delay_alu instid0(VALU_DEP_1) | instskip(NEXT) | instid1(VALU_DEP_1)
	v_or3_b32 v1, v1, v6, v3
	v_trunc_f32_e32 v1, v1
	s_delay_alu instid0(VALU_DEP_1) | instskip(NEXT) | instid1(VALU_DEP_1)
	v_mul_f32_e64 v3, 0x2f800000, |v1|
	v_floor_f32_e32 v3, v3
	s_delay_alu instid0(VALU_DEP_1) | instskip(SKIP_1) | instid1(VALU_DEP_2)
	v_fma_f32 v3, 0xcf800000, v3, |v1|
	v_ashrrev_i32_e32 v1, 31, v1
	v_cvt_u32_f32_e32 v3, v3
	s_delay_alu instid0(VALU_DEP_1) | instskip(NEXT) | instid1(VALU_DEP_1)
	v_xor_b32_e32 v3, v3, v1
	v_sub_nc_u32_e32 v6, v3, v1
.LBB175_472:
	s_or_b32 exec_lo, exec_lo, s27
.LBB175_473:
	s_mov_b32 s27, -1
.LBB175_474:
	s_mov_b32 s28, 0
.LBB175_475:
	s_delay_alu instid0(SALU_CYCLE_1)
	s_and_b32 vcc_lo, exec_lo, s28
	s_cbranch_vccz .LBB175_508
; %bb.476:
	s_cmp_gt_i32 s0, 22
	s_cbranch_scc0 .LBB175_484
; %bb.477:
	s_cmp_lt_i32 s0, 24
	s_cbranch_scc1 .LBB175_487
; %bb.478:
	s_cmp_gt_i32 s0, 24
	s_cbranch_scc0 .LBB175_488
; %bb.479:
	global_load_u8 v1, v[4:5], off
	s_mov_b32 s28, 0
	s_mov_b32 s27, exec_lo
	s_wait_loadcnt 0x0
	v_cmpx_lt_i16_e32 0x7f, v1
	s_xor_b32 s27, exec_lo, s27
	s_cbranch_execz .LBB175_500
; %bb.480:
	v_cmp_ne_u16_e32 vcc_lo, 0x80, v1
	s_and_b32 s28, vcc_lo, exec_lo
	s_and_not1_saveexec_b32 s27, s27
	s_cbranch_execnz .LBB175_501
.LBB175_481:
	s_or_b32 exec_lo, exec_lo, s27
	v_mov_b32_e32 v6, 0
	s_and_saveexec_b32 s27, s28
	s_cbranch_execz .LBB175_483
.LBB175_482:
	v_and_b32_e32 v3, 0xffff, v1
	s_delay_alu instid0(VALU_DEP_1) | instskip(SKIP_1) | instid1(VALU_DEP_2)
	v_dual_lshlrev_b32 v1, 24, v1 :: v_dual_bitop2_b32 v6, 3, v3 bitop3:0x40
	v_bfe_u32 v9, v3, 2, 5
	v_and_b32_e32 v1, 0x80000000, v1
	s_delay_alu instid0(VALU_DEP_3) | instskip(NEXT) | instid1(VALU_DEP_3)
	v_clz_i32_u32_e32 v7, v6
	v_cmp_eq_u32_e32 vcc_lo, 0, v9
	s_delay_alu instid0(VALU_DEP_2) | instskip(NEXT) | instid1(VALU_DEP_1)
	v_min_u32_e32 v7, 32, v7
	v_subrev_nc_u32_e32 v8, 29, v7
	v_sub_nc_u32_e32 v7, 30, v7
	s_delay_alu instid0(VALU_DEP_2) | instskip(NEXT) | instid1(VALU_DEP_2)
	v_lshlrev_b32_e32 v3, v8, v3
	v_cndmask_b32_e32 v7, v9, v7, vcc_lo
	s_delay_alu instid0(VALU_DEP_2) | instskip(NEXT) | instid1(VALU_DEP_1)
	v_and_b32_e32 v3, 3, v3
	v_cndmask_b32_e32 v3, v6, v3, vcc_lo
	s_delay_alu instid0(VALU_DEP_3) | instskip(NEXT) | instid1(VALU_DEP_2)
	v_lshl_add_u32 v6, v7, 23, 0x37800000
	v_lshlrev_b32_e32 v3, 21, v3
	s_delay_alu instid0(VALU_DEP_1) | instskip(NEXT) | instid1(VALU_DEP_1)
	v_or3_b32 v1, v1, v6, v3
	v_trunc_f32_e32 v1, v1
	s_delay_alu instid0(VALU_DEP_1) | instskip(NEXT) | instid1(VALU_DEP_1)
	v_mul_f32_e64 v3, 0x2f800000, |v1|
	v_floor_f32_e32 v3, v3
	s_delay_alu instid0(VALU_DEP_1) | instskip(SKIP_1) | instid1(VALU_DEP_2)
	v_fma_f32 v3, 0xcf800000, v3, |v1|
	v_ashrrev_i32_e32 v1, 31, v1
	v_cvt_u32_f32_e32 v3, v3
	s_delay_alu instid0(VALU_DEP_1) | instskip(NEXT) | instid1(VALU_DEP_1)
	v_xor_b32_e32 v3, v3, v1
	v_sub_nc_u32_e32 v6, v3, v1
.LBB175_483:
	s_or_b32 exec_lo, exec_lo, s27
	s_mov_b32 s27, 0
	s_branch .LBB175_489
.LBB175_484:
	s_mov_b32 s28, -1
                                        ; implicit-def: $vgpr6
	s_branch .LBB175_495
.LBB175_485:
	s_and_not1_saveexec_b32 s27, s27
	s_cbranch_execz .LBB175_470
.LBB175_486:
	v_cmp_ne_u16_e32 vcc_lo, 0, v1
	s_and_not1_b32 s28, s28, exec_lo
	s_and_b32 s29, vcc_lo, exec_lo
	s_delay_alu instid0(SALU_CYCLE_1)
	s_or_b32 s28, s28, s29
	s_or_b32 exec_lo, exec_lo, s27
	v_mov_b32_e32 v6, 0
	s_and_saveexec_b32 s27, s28
	s_cbranch_execnz .LBB175_471
	s_branch .LBB175_472
.LBB175_487:
	s_mov_b32 s27, -1
                                        ; implicit-def: $vgpr6
	s_branch .LBB175_492
.LBB175_488:
	s_mov_b32 s27, -1
                                        ; implicit-def: $vgpr6
.LBB175_489:
	s_delay_alu instid0(SALU_CYCLE_1)
	s_and_b32 vcc_lo, exec_lo, s27
	s_cbranch_vccz .LBB175_491
; %bb.490:
	global_load_u8 v1, v[4:5], off
	s_wait_loadcnt 0x0
	v_lshlrev_b32_e32 v1, 24, v1
	s_delay_alu instid0(VALU_DEP_1) | instskip(NEXT) | instid1(VALU_DEP_1)
	v_and_b32_e32 v3, 0x7f000000, v1
	v_clz_i32_u32_e32 v6, v3
	v_cmp_ne_u32_e32 vcc_lo, 0, v3
	v_add_nc_u32_e32 v8, 0x1000000, v3
	s_delay_alu instid0(VALU_DEP_3) | instskip(NEXT) | instid1(VALU_DEP_1)
	v_min_u32_e32 v6, 32, v6
	v_sub_nc_u32_e64 v6, v6, 4 clamp
	s_delay_alu instid0(VALU_DEP_1) | instskip(NEXT) | instid1(VALU_DEP_1)
	v_dual_lshlrev_b32 v7, v6, v3 :: v_dual_lshlrev_b32 v6, 23, v6
	v_lshrrev_b32_e32 v7, 4, v7
	s_delay_alu instid0(VALU_DEP_1) | instskip(NEXT) | instid1(VALU_DEP_1)
	v_dual_sub_nc_u32 v6, v7, v6 :: v_dual_ashrrev_i32 v7, 8, v8
	v_add_nc_u32_e32 v6, 0x3c000000, v6
	s_delay_alu instid0(VALU_DEP_1) | instskip(NEXT) | instid1(VALU_DEP_1)
	v_and_or_b32 v6, 0x7f800000, v7, v6
	v_cndmask_b32_e32 v3, 0, v6, vcc_lo
	s_delay_alu instid0(VALU_DEP_1) | instskip(NEXT) | instid1(VALU_DEP_1)
	v_and_or_b32 v1, 0x80000000, v1, v3
	v_trunc_f32_e32 v1, v1
	s_delay_alu instid0(VALU_DEP_1) | instskip(NEXT) | instid1(VALU_DEP_1)
	v_mul_f32_e64 v3, 0x2f800000, |v1|
	v_floor_f32_e32 v3, v3
	s_delay_alu instid0(VALU_DEP_1) | instskip(SKIP_1) | instid1(VALU_DEP_2)
	v_fma_f32 v3, 0xcf800000, v3, |v1|
	v_ashrrev_i32_e32 v1, 31, v1
	v_cvt_u32_f32_e32 v3, v3
	s_delay_alu instid0(VALU_DEP_1) | instskip(NEXT) | instid1(VALU_DEP_1)
	v_xor_b32_e32 v3, v3, v1
	v_sub_nc_u32_e32 v6, v3, v1
.LBB175_491:
	s_mov_b32 s27, 0
.LBB175_492:
	s_delay_alu instid0(SALU_CYCLE_1)
	s_and_not1_b32 vcc_lo, exec_lo, s27
	s_cbranch_vccnz .LBB175_494
; %bb.493:
	global_load_u8 v1, v[4:5], off
	s_wait_loadcnt 0x0
	v_lshlrev_b32_e32 v3, 25, v1
	v_lshlrev_b16 v1, 8, v1
	s_delay_alu instid0(VALU_DEP_1) | instskip(SKIP_1) | instid1(VALU_DEP_2)
	v_and_or_b32 v7, 0x7f00, v1, 0.5
	v_bfe_i32 v1, v1, 0, 16
	v_add_f32_e32 v7, -0.5, v7
	v_lshrrev_b32_e32 v6, 4, v3
	v_cmp_gt_u32_e32 vcc_lo, 0x8000000, v3
	s_delay_alu instid0(VALU_DEP_2) | instskip(NEXT) | instid1(VALU_DEP_1)
	v_or_b32_e32 v6, 0x70000000, v6
	v_mul_f32_e32 v6, 0x7800000, v6
	s_delay_alu instid0(VALU_DEP_1) | instskip(NEXT) | instid1(VALU_DEP_1)
	v_cndmask_b32_e32 v3, v6, v7, vcc_lo
	v_and_or_b32 v1, 0x80000000, v1, v3
	s_delay_alu instid0(VALU_DEP_1) | instskip(NEXT) | instid1(VALU_DEP_1)
	v_trunc_f32_e32 v1, v1
	v_mul_f32_e64 v3, 0x2f800000, |v1|
	s_delay_alu instid0(VALU_DEP_1) | instskip(NEXT) | instid1(VALU_DEP_1)
	v_floor_f32_e32 v3, v3
	v_fma_f32 v3, 0xcf800000, v3, |v1|
	v_ashrrev_i32_e32 v1, 31, v1
	s_delay_alu instid0(VALU_DEP_2) | instskip(NEXT) | instid1(VALU_DEP_1)
	v_cvt_u32_f32_e32 v3, v3
	v_xor_b32_e32 v3, v3, v1
	s_delay_alu instid0(VALU_DEP_1)
	v_sub_nc_u32_e32 v6, v3, v1
.LBB175_494:
	s_mov_b32 s28, 0
	s_mov_b32 s27, -1
.LBB175_495:
	s_and_not1_b32 vcc_lo, exec_lo, s28
	s_cbranch_vccnz .LBB175_508
; %bb.496:
	s_cmp_gt_i32 s0, 14
	s_cbranch_scc0 .LBB175_499
; %bb.497:
	s_cmp_eq_u32 s0, 15
	s_cbranch_scc0 .LBB175_502
; %bb.498:
	global_load_u16 v1, v[4:5], off
	s_mov_b32 s27, -1
	s_mov_b32 s26, 0
	s_wait_loadcnt 0x0
	v_lshlrev_b32_e32 v1, 16, v1
	s_delay_alu instid0(VALU_DEP_1) | instskip(NEXT) | instid1(VALU_DEP_1)
	v_trunc_f32_e32 v1, v1
	v_mul_f32_e64 v3, 0x2f800000, |v1|
	s_delay_alu instid0(VALU_DEP_1) | instskip(NEXT) | instid1(VALU_DEP_1)
	v_floor_f32_e32 v3, v3
	v_fma_f32 v3, 0xcf800000, v3, |v1|
	v_ashrrev_i32_e32 v1, 31, v1
	s_delay_alu instid0(VALU_DEP_2) | instskip(NEXT) | instid1(VALU_DEP_1)
	v_cvt_u32_f32_e32 v3, v3
	v_xor_b32_e32 v3, v3, v1
	s_delay_alu instid0(VALU_DEP_1)
	v_sub_nc_u32_e32 v6, v3, v1
	s_branch .LBB175_503
.LBB175_499:
	s_mov_b32 s28, -1
                                        ; implicit-def: $vgpr6
	s_branch .LBB175_504
.LBB175_500:
	s_and_not1_saveexec_b32 s27, s27
	s_cbranch_execz .LBB175_481
.LBB175_501:
	v_cmp_ne_u16_e32 vcc_lo, 0, v1
	s_and_not1_b32 s28, s28, exec_lo
	s_and_b32 s29, vcc_lo, exec_lo
	s_delay_alu instid0(SALU_CYCLE_1)
	s_or_b32 s28, s28, s29
	s_or_b32 exec_lo, exec_lo, s27
	v_mov_b32_e32 v6, 0
	s_and_saveexec_b32 s27, s28
	s_cbranch_execnz .LBB175_482
	s_branch .LBB175_483
.LBB175_502:
	s_mov_b32 s26, -1
                                        ; implicit-def: $vgpr6
.LBB175_503:
	s_mov_b32 s28, 0
.LBB175_504:
	s_delay_alu instid0(SALU_CYCLE_1)
	s_and_b32 vcc_lo, exec_lo, s28
	s_cbranch_vccz .LBB175_508
; %bb.505:
	s_cmp_eq_u32 s0, 11
	s_cbranch_scc0 .LBB175_507
; %bb.506:
	global_load_u8 v1, v[4:5], off
	s_mov_b32 s26, 0
	s_mov_b32 s27, -1
	s_wait_loadcnt 0x0
	v_cmp_ne_u16_e32 vcc_lo, 0, v1
	v_cndmask_b32_e64 v6, 0, 1, vcc_lo
	s_branch .LBB175_508
.LBB175_507:
	s_mov_b32 s26, -1
                                        ; implicit-def: $vgpr6
.LBB175_508:
	s_branch .LBB175_303
.LBB175_509:
	s_cmp_lt_i32 s0, 5
	s_cbranch_scc1 .LBB175_514
; %bb.510:
	s_cmp_lt_i32 s0, 8
	s_cbranch_scc1 .LBB175_515
; %bb.511:
	s_cmp_lt_i32 s0, 9
	s_cbranch_scc1 .LBB175_516
; %bb.512:
	s_cmp_gt_i32 s0, 9
	s_cbranch_scc0 .LBB175_517
; %bb.513:
	s_wait_loadcnt 0x0
	global_load_b64 v[6:7], v[4:5], off
	s_mov_b32 s27, 0
	s_wait_loadcnt 0x0
	v_trunc_f64_e32 v[6:7], v[6:7]
	s_delay_alu instid0(VALU_DEP_1) | instskip(NEXT) | instid1(VALU_DEP_1)
	v_ldexp_f64 v[8:9], v[6:7], 0xffffffe0
	v_floor_f64_e32 v[8:9], v[8:9]
	s_delay_alu instid0(VALU_DEP_1) | instskip(NEXT) | instid1(VALU_DEP_1)
	v_fmamk_f64 v[6:7], v[8:9], 0xc1f00000, v[6:7]
	v_cvt_u32_f64_e32 v6, v[6:7]
	s_branch .LBB175_518
.LBB175_514:
	s_mov_b32 s27, -1
                                        ; implicit-def: $vgpr6
	s_branch .LBB175_536
.LBB175_515:
	s_mov_b32 s27, -1
                                        ; implicit-def: $vgpr6
	s_branch .LBB175_524
.LBB175_516:
	s_mov_b32 s27, -1
                                        ; implicit-def: $vgpr6
	s_branch .LBB175_521
.LBB175_517:
	s_mov_b32 s27, -1
                                        ; implicit-def: $vgpr6
.LBB175_518:
	s_delay_alu instid0(SALU_CYCLE_1)
	s_and_not1_b32 vcc_lo, exec_lo, s27
	s_cbranch_vccnz .LBB175_520
; %bb.519:
	global_load_b32 v1, v[4:5], off
	s_wait_loadcnt 0x0
	v_trunc_f32_e32 v1, v1
	s_delay_alu instid0(VALU_DEP_1) | instskip(NEXT) | instid1(VALU_DEP_1)
	v_mul_f32_e64 v3, 0x2f800000, |v1|
	v_floor_f32_e32 v3, v3
	s_delay_alu instid0(VALU_DEP_1) | instskip(SKIP_1) | instid1(VALU_DEP_2)
	v_fma_f32 v3, 0xcf800000, v3, |v1|
	v_ashrrev_i32_e32 v1, 31, v1
	v_cvt_u32_f32_e32 v3, v3
	s_delay_alu instid0(VALU_DEP_1) | instskip(NEXT) | instid1(VALU_DEP_1)
	v_xor_b32_e32 v3, v3, v1
	v_sub_nc_u32_e32 v6, v3, v1
.LBB175_520:
	s_mov_b32 s27, 0
.LBB175_521:
	s_delay_alu instid0(SALU_CYCLE_1)
	s_and_not1_b32 vcc_lo, exec_lo, s27
	s_cbranch_vccnz .LBB175_523
; %bb.522:
	global_load_b32 v1, v[4:5], off
	s_wait_loadcnt 0x0
	v_cvt_f32_f16_e32 v1, v1
	s_delay_alu instid0(VALU_DEP_1)
	v_cvt_i32_f32_e32 v6, v1
.LBB175_523:
	s_mov_b32 s27, 0
.LBB175_524:
	s_delay_alu instid0(SALU_CYCLE_1)
	s_and_not1_b32 vcc_lo, exec_lo, s27
	s_cbranch_vccnz .LBB175_535
; %bb.525:
	s_cmp_lt_i32 s0, 6
	s_cbranch_scc1 .LBB175_528
; %bb.526:
	s_cmp_gt_i32 s0, 6
	s_cbranch_scc0 .LBB175_529
; %bb.527:
	s_wait_loadcnt 0x0
	global_load_b64 v[6:7], v[4:5], off
	s_mov_b32 s27, 0
	s_wait_loadcnt 0x0
	v_trunc_f64_e32 v[6:7], v[6:7]
	s_delay_alu instid0(VALU_DEP_1) | instskip(NEXT) | instid1(VALU_DEP_1)
	v_ldexp_f64 v[8:9], v[6:7], 0xffffffe0
	v_floor_f64_e32 v[8:9], v[8:9]
	s_delay_alu instid0(VALU_DEP_1) | instskip(NEXT) | instid1(VALU_DEP_1)
	v_fmamk_f64 v[6:7], v[8:9], 0xc1f00000, v[6:7]
	v_cvt_u32_f64_e32 v6, v[6:7]
	s_branch .LBB175_530
.LBB175_528:
	s_mov_b32 s27, -1
                                        ; implicit-def: $vgpr6
	s_branch .LBB175_533
.LBB175_529:
	s_mov_b32 s27, -1
                                        ; implicit-def: $vgpr6
.LBB175_530:
	s_delay_alu instid0(SALU_CYCLE_1)
	s_and_not1_b32 vcc_lo, exec_lo, s27
	s_cbranch_vccnz .LBB175_532
; %bb.531:
	global_load_b32 v1, v[4:5], off
	s_wait_loadcnt 0x0
	v_trunc_f32_e32 v1, v1
	s_delay_alu instid0(VALU_DEP_1) | instskip(NEXT) | instid1(VALU_DEP_1)
	v_mul_f32_e64 v3, 0x2f800000, |v1|
	v_floor_f32_e32 v3, v3
	s_delay_alu instid0(VALU_DEP_1) | instskip(SKIP_1) | instid1(VALU_DEP_2)
	v_fma_f32 v3, 0xcf800000, v3, |v1|
	v_ashrrev_i32_e32 v1, 31, v1
	v_cvt_u32_f32_e32 v3, v3
	s_delay_alu instid0(VALU_DEP_1) | instskip(NEXT) | instid1(VALU_DEP_1)
	v_xor_b32_e32 v3, v3, v1
	v_sub_nc_u32_e32 v6, v3, v1
.LBB175_532:
	s_mov_b32 s27, 0
.LBB175_533:
	s_delay_alu instid0(SALU_CYCLE_1)
	s_and_not1_b32 vcc_lo, exec_lo, s27
	s_cbranch_vccnz .LBB175_535
; %bb.534:
	global_load_u16 v1, v[4:5], off
	s_wait_loadcnt 0x0
	v_cvt_f32_f16_e32 v1, v1
	s_delay_alu instid0(VALU_DEP_1)
	v_cvt_i32_f32_e32 v6, v1
.LBB175_535:
	s_mov_b32 s27, 0
.LBB175_536:
	s_delay_alu instid0(SALU_CYCLE_1)
	s_and_not1_b32 vcc_lo, exec_lo, s27
	s_cbranch_vccnz .LBB175_556
; %bb.537:
	s_cmp_lt_i32 s0, 2
	s_cbranch_scc1 .LBB175_541
; %bb.538:
	s_cmp_lt_i32 s0, 3
	s_cbranch_scc1 .LBB175_542
; %bb.539:
	s_cmp_gt_i32 s0, 3
	s_cbranch_scc0 .LBB175_543
; %bb.540:
	s_wait_loadcnt 0x0
	global_load_b64 v[6:7], v[4:5], off
	s_mov_b32 s27, 0
	s_branch .LBB175_544
.LBB175_541:
	s_mov_b32 s27, -1
                                        ; implicit-def: $vgpr6
	s_branch .LBB175_550
.LBB175_542:
	s_mov_b32 s27, -1
                                        ; implicit-def: $vgpr6
	s_branch .LBB175_547
.LBB175_543:
	s_mov_b32 s27, -1
                                        ; implicit-def: $vgpr6
.LBB175_544:
	s_delay_alu instid0(SALU_CYCLE_1)
	s_and_not1_b32 vcc_lo, exec_lo, s27
	s_cbranch_vccnz .LBB175_546
; %bb.545:
	s_wait_loadcnt 0x0
	global_load_b32 v6, v[4:5], off
.LBB175_546:
	s_mov_b32 s27, 0
.LBB175_547:
	s_delay_alu instid0(SALU_CYCLE_1)
	s_and_not1_b32 vcc_lo, exec_lo, s27
	s_cbranch_vccnz .LBB175_549
; %bb.548:
	s_wait_loadcnt 0x0
	global_load_u16 v6, v[4:5], off
.LBB175_549:
	s_mov_b32 s27, 0
.LBB175_550:
	s_delay_alu instid0(SALU_CYCLE_1)
	s_and_not1_b32 vcc_lo, exec_lo, s27
	s_cbranch_vccnz .LBB175_556
; %bb.551:
	s_cmp_gt_i32 s0, 0
	s_mov_b32 s0, 0
	s_cbranch_scc0 .LBB175_553
; %bb.552:
	s_wait_loadcnt 0x0
	global_load_u8 v6, v[4:5], off
	s_branch .LBB175_554
.LBB175_553:
	s_mov_b32 s0, -1
                                        ; implicit-def: $vgpr6
.LBB175_554:
	s_delay_alu instid0(SALU_CYCLE_1)
	s_and_not1_b32 vcc_lo, exec_lo, s0
	s_cbranch_vccnz .LBB175_556
; %bb.555:
	s_wait_loadcnt 0x0
	global_load_u8 v6, v[4:5], off
.LBB175_556:
	s_branch .LBB175_304
.LBB175_557:
	s_mov_b32 s27, 0
	s_mov_b32 s0, s42
.LBB175_558:
                                        ; implicit-def: $vgpr0
.LBB175_559:
	s_and_not1_b32 s28, s42, exec_lo
	s_and_b32 s0, s0, exec_lo
	s_and_not1_b32 s29, s43, exec_lo
	s_and_b32 s26, s26, exec_lo
	s_or_b32 s46, s28, s0
	s_or_b32 s45, s29, s26
	s_or_not1_b32 s0, s27, exec_lo
.LBB175_560:
	s_wait_xcnt 0x0
	s_or_b32 exec_lo, exec_lo, s47
	s_mov_b32 s27, 0
	s_mov_b32 s26, 0
	;; [unrolled: 1-line block ×3, first 2 shown]
                                        ; implicit-def: $vgpr4_vgpr5
                                        ; implicit-def: $vgpr2
                                        ; implicit-def: $vgpr6
	s_and_saveexec_b32 s47, s0
	s_cbranch_execz .LBB175_945
; %bb.561:
	s_mov_b32 s29, -1
	s_mov_b32 s0, s45
	s_mov_b32 s30, s46
	s_mov_b32 s48, exec_lo
	v_cmpx_gt_i32_e64 s39, v0
	s_cbranch_execz .LBB175_846
; %bb.562:
	s_and_not1_b32 vcc_lo, exec_lo, s35
	s_cbranch_vccnz .LBB175_568
; %bb.563:
	s_and_not1_b32 vcc_lo, exec_lo, s41
	s_cbranch_vccnz .LBB175_569
; %bb.564:
	s_add_co_i32 s0, s40, 1
	s_cmp_eq_u32 s33, 2
	s_cbranch_scc1 .LBB175_570
; %bb.565:
	v_dual_mov_b32 v2, 0 :: v_dual_mov_b32 v4, 0
	v_mov_b32_e32 v1, v0
	s_and_b32 s26, s0, 28
	s_mov_b64 s[28:29], s[2:3]
	s_mov_b64 s[30:31], s[24:25]
.LBB175_566:                            ; =>This Inner Loop Header: Depth=1
	s_clause 0x1
	s_load_b256 s[52:59], s[28:29], 0x4
	s_load_b128 s[68:71], s[28:29], 0x24
	s_load_b256 s[60:67], s[30:31], 0x0
	s_add_co_i32 s27, s27, 4
	s_wait_xcnt 0x0
	s_add_nc_u64 s[28:29], s[28:29], 48
	s_cmp_eq_u32 s26, s27
	s_add_nc_u64 s[30:31], s[30:31], 32
	s_wait_kmcnt 0x0
	v_mul_hi_u32 v3, s53, v1
	s_delay_alu instid0(VALU_DEP_1) | instskip(NEXT) | instid1(VALU_DEP_1)
	v_add_nc_u32_e32 v3, v1, v3
	v_lshrrev_b32_e32 v3, s54, v3
	s_delay_alu instid0(VALU_DEP_1) | instskip(NEXT) | instid1(VALU_DEP_1)
	v_mul_hi_u32 v5, s56, v3
	v_add_nc_u32_e32 v5, v3, v5
	s_delay_alu instid0(VALU_DEP_1) | instskip(SKIP_1) | instid1(VALU_DEP_1)
	v_lshrrev_b32_e32 v5, s57, v5
	s_wait_loadcnt 0x0
	v_mul_hi_u32 v6, s59, v5
	s_delay_alu instid0(VALU_DEP_1) | instskip(SKIP_1) | instid1(VALU_DEP_1)
	v_add_nc_u32_e32 v6, v5, v6
	v_mul_lo_u32 v7, v3, s52
	v_sub_nc_u32_e32 v1, v1, v7
	v_mul_lo_u32 v7, v5, s55
	s_delay_alu instid0(VALU_DEP_4) | instskip(NEXT) | instid1(VALU_DEP_3)
	v_lshrrev_b32_e32 v6, s68, v6
	v_mad_u32 v4, v1, s61, v4
	v_mad_u32 v1, v1, s60, v2
	s_delay_alu instid0(VALU_DEP_4) | instskip(NEXT) | instid1(VALU_DEP_4)
	v_sub_nc_u32_e32 v2, v3, v7
	v_mul_hi_u32 v8, s70, v6
	v_mul_lo_u32 v3, v6, s58
	s_delay_alu instid0(VALU_DEP_3) | instskip(SKIP_1) | instid1(VALU_DEP_3)
	v_mad_u32 v4, v2, s63, v4
	v_mad_u32 v2, v2, s62, v1
	v_dual_add_nc_u32 v7, v6, v8 :: v_dual_sub_nc_u32 v3, v5, v3
	s_delay_alu instid0(VALU_DEP_1) | instskip(NEXT) | instid1(VALU_DEP_2)
	v_lshrrev_b32_e32 v1, s71, v7
	v_mad_u32 v4, v3, s65, v4
	s_delay_alu instid0(VALU_DEP_4) | instskip(NEXT) | instid1(VALU_DEP_3)
	v_mad_u32 v2, v3, s64, v2
	v_mul_lo_u32 v5, v1, s69
	s_delay_alu instid0(VALU_DEP_1) | instskip(NEXT) | instid1(VALU_DEP_1)
	v_sub_nc_u32_e32 v3, v6, v5
	v_mad_u32 v4, v3, s67, v4
	s_delay_alu instid0(VALU_DEP_4)
	v_mad_u32 v2, v3, s66, v2
	s_cbranch_scc0 .LBB175_566
; %bb.567:
	s_delay_alu instid0(VALU_DEP_2)
	v_mov_b32_e32 v3, v4
	s_branch .LBB175_571
.LBB175_568:
	s_mov_b32 s0, -1
                                        ; implicit-def: $vgpr4
                                        ; implicit-def: $vgpr2
	s_branch .LBB175_576
.LBB175_569:
	v_dual_mov_b32 v4, 0 :: v_dual_mov_b32 v2, 0
	s_branch .LBB175_575
.LBB175_570:
	v_mov_b64_e32 v[2:3], 0
	v_mov_b32_e32 v1, v0
                                        ; implicit-def: $vgpr4
.LBB175_571:
	s_and_b32 s0, s0, 3
	s_mov_b32 s27, 0
	s_cmp_eq_u32 s0, 0
	s_cbranch_scc1 .LBB175_575
; %bb.572:
	s_lshl_b32 s28, s26, 3
	s_mov_b32 s29, s27
	s_mul_u64 s[30:31], s[26:27], 12
	s_add_nc_u64 s[28:29], s[2:3], s[28:29]
	s_delay_alu instid0(SALU_CYCLE_1)
	s_add_nc_u64 s[26:27], s[28:29], 0xc4
	s_add_nc_u64 s[28:29], s[2:3], s[30:31]
.LBB175_573:                            ; =>This Inner Loop Header: Depth=1
	s_load_b96 s[52:54], s[28:29], 0x4
	s_load_b64 s[30:31], s[26:27], 0x0
	s_add_co_i32 s0, s0, -1
	s_wait_xcnt 0x0
	s_add_nc_u64 s[28:29], s[28:29], 12
	s_cmp_lg_u32 s0, 0
	s_add_nc_u64 s[26:27], s[26:27], 8
	s_wait_kmcnt 0x0
	v_mul_hi_u32 v4, s53, v1
	s_delay_alu instid0(VALU_DEP_1) | instskip(NEXT) | instid1(VALU_DEP_1)
	v_add_nc_u32_e32 v4, v1, v4
	v_lshrrev_b32_e32 v4, s54, v4
	s_delay_alu instid0(VALU_DEP_1) | instskip(NEXT) | instid1(VALU_DEP_1)
	v_mul_lo_u32 v5, v4, s52
	v_sub_nc_u32_e32 v1, v1, v5
	s_delay_alu instid0(VALU_DEP_1)
	v_mad_u32 v3, v1, s31, v3
	v_mad_u32 v2, v1, s30, v2
	v_mov_b32_e32 v1, v4
	s_cbranch_scc1 .LBB175_573
; %bb.574:
	s_delay_alu instid0(VALU_DEP_3)
	v_mov_b32_e32 v4, v3
.LBB175_575:
	s_mov_b32 s0, 0
.LBB175_576:
	s_delay_alu instid0(SALU_CYCLE_1)
	s_and_not1_b32 vcc_lo, exec_lo, s0
	s_cbranch_vccnz .LBB175_579
; %bb.577:
	v_mov_b32_e32 v1, 0
	s_and_not1_b32 vcc_lo, exec_lo, s38
	s_delay_alu instid0(VALU_DEP_1) | instskip(NEXT) | instid1(VALU_DEP_1)
	v_mul_u64_e32 v[2:3], s[20:21], v[0:1]
	v_add_nc_u32_e32 v2, v0, v3
	s_wait_loadcnt 0x0
	s_delay_alu instid0(VALU_DEP_1) | instskip(NEXT) | instid1(VALU_DEP_1)
	v_lshrrev_b32_e32 v6, s10, v2
	v_mul_lo_u32 v2, v6, s8
	s_delay_alu instid0(VALU_DEP_1) | instskip(NEXT) | instid1(VALU_DEP_1)
	v_sub_nc_u32_e32 v2, v0, v2
	v_mul_lo_u32 v4, v2, s13
	v_mul_lo_u32 v2, v2, s12
	s_cbranch_vccnz .LBB175_579
; %bb.578:
	v_mov_b32_e32 v7, v1
	s_delay_alu instid0(VALU_DEP_1) | instskip(NEXT) | instid1(VALU_DEP_1)
	v_mul_u64_e32 v[8:9], s[22:23], v[6:7]
	v_add_nc_u32_e32 v1, v6, v9
	s_delay_alu instid0(VALU_DEP_1) | instskip(NEXT) | instid1(VALU_DEP_1)
	v_lshrrev_b32_e32 v1, s1, v1
	v_mul_lo_u32 v1, v1, s11
	s_delay_alu instid0(VALU_DEP_1) | instskip(NEXT) | instid1(VALU_DEP_1)
	v_sub_nc_u32_e32 v1, v6, v1
	v_mad_u32 v2, v1, s14, v2
	v_mad_u32 v4, v1, s15, v4
.LBB175_579:
	v_mov_b32_e32 v5, 0
	s_and_b32 s0, 0xffff, s37
	s_delay_alu instid0(SALU_CYCLE_1) | instskip(NEXT) | instid1(VALU_DEP_1)
	s_cmp_lt_i32 s0, 11
	v_add_nc_u64_e32 v[4:5], s[6:7], v[4:5]
	s_cbranch_scc1 .LBB175_586
; %bb.580:
	s_cmp_gt_i32 s0, 25
	s_cbranch_scc0 .LBB175_587
; %bb.581:
	s_cmp_gt_i32 s0, 28
	s_cbranch_scc0 .LBB175_588
	;; [unrolled: 3-line block ×4, first 2 shown]
; %bb.584:
	s_cmp_eq_u32 s0, 46
	s_mov_b32 s28, 0
	s_cbranch_scc0 .LBB175_595
; %bb.585:
	global_load_b32 v1, v[4:5], off
	s_mov_b32 s27, -1
	s_mov_b32 s26, 0
	s_wait_loadcnt 0x0
	v_lshlrev_b32_e32 v1, 16, v1
	s_delay_alu instid0(VALU_DEP_1) | instskip(NEXT) | instid1(VALU_DEP_1)
	v_trunc_f32_e32 v1, v1
	v_mul_f32_e64 v3, 0x2f800000, |v1|
	s_delay_alu instid0(VALU_DEP_1) | instskip(NEXT) | instid1(VALU_DEP_1)
	v_floor_f32_e32 v3, v3
	v_fma_f32 v3, 0xcf800000, v3, |v1|
	v_ashrrev_i32_e32 v1, 31, v1
	s_delay_alu instid0(VALU_DEP_2) | instskip(NEXT) | instid1(VALU_DEP_1)
	v_cvt_u32_f32_e32 v3, v3
	v_xor_b32_e32 v3, v3, v1
	s_delay_alu instid0(VALU_DEP_1)
	v_sub_nc_u32_e32 v6, v3, v1
	s_branch .LBB175_597
.LBB175_586:
	s_mov_b32 s28, -1
	s_mov_b32 s27, 0
	s_mov_b32 s26, s45
                                        ; implicit-def: $vgpr6
	s_branch .LBB175_658
.LBB175_587:
	s_mov_b32 s28, -1
	s_mov_b32 s27, 0
	s_mov_b32 s26, s45
                                        ; implicit-def: $vgpr6
	s_branch .LBB175_624
.LBB175_588:
	s_mov_b32 s28, -1
	s_mov_b32 s27, 0
	s_mov_b32 s26, s45
                                        ; implicit-def: $vgpr6
	s_branch .LBB175_607
.LBB175_589:
	s_mov_b32 s28, -1
	s_mov_b32 s27, 0
	s_mov_b32 s26, s45
                                        ; implicit-def: $vgpr6
	s_branch .LBB175_602
.LBB175_590:
	s_and_not1_saveexec_b32 s31, s31
	s_cbranch_execz .LBB175_361
.LBB175_591:
	v_add_f32_e32 v4, 0x46000000, v5
	s_and_not1_b32 s30, s30, exec_lo
	s_delay_alu instid0(VALU_DEP_1) | instskip(NEXT) | instid1(VALU_DEP_1)
	v_and_b32_e32 v4, 0xff, v4
	v_cmp_ne_u32_e32 vcc_lo, 0, v4
	s_and_b32 s45, vcc_lo, exec_lo
	s_delay_alu instid0(SALU_CYCLE_1)
	s_or_b32 s30, s30, s45
	s_or_b32 exec_lo, exec_lo, s31
	v_mov_b32_e32 v6, 0
	s_and_saveexec_b32 s31, s30
	s_cbranch_execnz .LBB175_362
	s_branch .LBB175_363
.LBB175_592:
	s_mov_b32 s28, -1
	s_mov_b32 s27, 0
	s_mov_b32 s26, s45
	s_branch .LBB175_596
.LBB175_593:
	s_and_not1_saveexec_b32 s31, s31
	s_cbranch_execz .LBB175_374
.LBB175_594:
	v_add_f32_e32 v4, 0x42800000, v5
	s_and_not1_b32 s30, s30, exec_lo
	s_delay_alu instid0(VALU_DEP_1) | instskip(NEXT) | instid1(VALU_DEP_1)
	v_and_b32_e32 v4, 0xff, v4
	v_cmp_ne_u32_e32 vcc_lo, 0, v4
	s_and_b32 s45, vcc_lo, exec_lo
	s_delay_alu instid0(SALU_CYCLE_1)
	s_or_b32 s30, s30, s45
	s_or_b32 exec_lo, exec_lo, s31
	v_mov_b32_e32 v6, 0
	s_and_saveexec_b32 s31, s30
	s_cbranch_execnz .LBB175_375
	s_branch .LBB175_376
.LBB175_595:
	s_mov_b32 s26, -1
	s_mov_b32 s27, 0
.LBB175_596:
                                        ; implicit-def: $vgpr6
.LBB175_597:
	s_and_b32 vcc_lo, exec_lo, s28
	s_cbranch_vccz .LBB175_601
; %bb.598:
	s_cmp_eq_u32 s0, 44
	s_cbranch_scc0 .LBB175_600
; %bb.599:
	global_load_u8 v1, v[4:5], off
	s_mov_b32 s26, 0
	s_mov_b32 s27, -1
	s_wait_loadcnt 0x0
	v_lshlrev_b32_e32 v3, 23, v1
	v_cmp_ne_u32_e32 vcc_lo, 0, v1
	s_delay_alu instid0(VALU_DEP_2) | instskip(NEXT) | instid1(VALU_DEP_1)
	v_trunc_f32_e32 v3, v3
	v_mul_f32_e64 v6, 0x2f800000, |v3|
	s_delay_alu instid0(VALU_DEP_1) | instskip(NEXT) | instid1(VALU_DEP_1)
	v_floor_f32_e32 v6, v6
	v_fma_f32 v6, 0xcf800000, v6, |v3|
	v_ashrrev_i32_e32 v3, 31, v3
	s_delay_alu instid0(VALU_DEP_2) | instskip(NEXT) | instid1(VALU_DEP_1)
	v_cvt_u32_f32_e32 v6, v6
	v_xor_b32_e32 v6, v6, v3
	s_delay_alu instid0(VALU_DEP_1) | instskip(NEXT) | instid1(VALU_DEP_1)
	v_sub_nc_u32_e32 v3, v6, v3
	v_cndmask_b32_e32 v6, 0, v3, vcc_lo
	s_branch .LBB175_601
.LBB175_600:
	s_mov_b32 s26, -1
                                        ; implicit-def: $vgpr6
.LBB175_601:
	s_mov_b32 s28, 0
.LBB175_602:
	s_delay_alu instid0(SALU_CYCLE_1)
	s_and_b32 vcc_lo, exec_lo, s28
	s_cbranch_vccz .LBB175_606
; %bb.603:
	s_cmp_eq_u32 s0, 29
	s_cbranch_scc0 .LBB175_605
; %bb.604:
	s_wait_loadcnt 0x0
	global_load_b64 v[6:7], v[4:5], off
	s_mov_b32 s27, -1
	s_mov_b32 s26, 0
	s_branch .LBB175_606
.LBB175_605:
	s_mov_b32 s26, -1
                                        ; implicit-def: $vgpr6
.LBB175_606:
	s_mov_b32 s28, 0
.LBB175_607:
	s_delay_alu instid0(SALU_CYCLE_1)
	s_and_b32 vcc_lo, exec_lo, s28
	s_cbranch_vccz .LBB175_623
; %bb.608:
	s_cmp_lt_i32 s0, 27
	s_cbranch_scc1 .LBB175_611
; %bb.609:
	s_cmp_gt_i32 s0, 27
	s_cbranch_scc0 .LBB175_612
; %bb.610:
	s_wait_loadcnt 0x0
	global_load_b32 v6, v[4:5], off
	s_mov_b32 s27, 0
	s_branch .LBB175_613
.LBB175_611:
	s_mov_b32 s27, -1
                                        ; implicit-def: $vgpr6
	s_branch .LBB175_616
.LBB175_612:
	s_mov_b32 s27, -1
                                        ; implicit-def: $vgpr6
.LBB175_613:
	s_delay_alu instid0(SALU_CYCLE_1)
	s_and_not1_b32 vcc_lo, exec_lo, s27
	s_cbranch_vccnz .LBB175_615
; %bb.614:
	s_wait_loadcnt 0x0
	global_load_u16 v6, v[4:5], off
.LBB175_615:
	s_mov_b32 s27, 0
.LBB175_616:
	s_delay_alu instid0(SALU_CYCLE_1)
	s_and_not1_b32 vcc_lo, exec_lo, s27
	s_cbranch_vccnz .LBB175_622
; %bb.617:
	global_load_u8 v1, v[4:5], off
	s_mov_b32 s28, 0
	s_mov_b32 s27, exec_lo
	s_wait_loadcnt 0x0
	v_cmpx_lt_i16_e32 0x7f, v1
	s_xor_b32 s27, exec_lo, s27
	s_cbranch_execz .LBB175_634
; %bb.618:
	v_cmp_ne_u16_e32 vcc_lo, 0x80, v1
	s_and_b32 s28, vcc_lo, exec_lo
	s_and_not1_saveexec_b32 s27, s27
	s_cbranch_execnz .LBB175_635
.LBB175_619:
	s_or_b32 exec_lo, exec_lo, s27
	v_mov_b32_e32 v6, 0
	s_and_saveexec_b32 s27, s28
	s_cbranch_execz .LBB175_621
.LBB175_620:
	v_and_b32_e32 v3, 0xffff, v1
	s_delay_alu instid0(VALU_DEP_1) | instskip(SKIP_1) | instid1(VALU_DEP_2)
	v_dual_lshlrev_b32 v1, 24, v1 :: v_dual_bitop2_b32 v6, 7, v3 bitop3:0x40
	v_bfe_u32 v9, v3, 3, 4
	v_and_b32_e32 v1, 0x80000000, v1
	s_delay_alu instid0(VALU_DEP_3) | instskip(NEXT) | instid1(VALU_DEP_3)
	v_clz_i32_u32_e32 v7, v6
	v_cmp_eq_u32_e32 vcc_lo, 0, v9
	s_delay_alu instid0(VALU_DEP_2) | instskip(NEXT) | instid1(VALU_DEP_1)
	v_min_u32_e32 v7, 32, v7
	v_subrev_nc_u32_e32 v8, 28, v7
	v_sub_nc_u32_e32 v7, 29, v7
	s_delay_alu instid0(VALU_DEP_2) | instskip(NEXT) | instid1(VALU_DEP_2)
	v_lshlrev_b32_e32 v3, v8, v3
	v_cndmask_b32_e32 v7, v9, v7, vcc_lo
	s_delay_alu instid0(VALU_DEP_2) | instskip(NEXT) | instid1(VALU_DEP_1)
	v_and_b32_e32 v3, 7, v3
	v_cndmask_b32_e32 v3, v6, v3, vcc_lo
	s_delay_alu instid0(VALU_DEP_3) | instskip(NEXT) | instid1(VALU_DEP_2)
	v_lshl_add_u32 v6, v7, 23, 0x3b800000
	v_lshlrev_b32_e32 v3, 20, v3
	s_delay_alu instid0(VALU_DEP_1) | instskip(NEXT) | instid1(VALU_DEP_1)
	v_or3_b32 v1, v1, v6, v3
	v_trunc_f32_e32 v1, v1
	s_delay_alu instid0(VALU_DEP_1) | instskip(NEXT) | instid1(VALU_DEP_1)
	v_mul_f32_e64 v3, 0x2f800000, |v1|
	v_floor_f32_e32 v3, v3
	s_delay_alu instid0(VALU_DEP_1) | instskip(SKIP_1) | instid1(VALU_DEP_2)
	v_fma_f32 v3, 0xcf800000, v3, |v1|
	v_ashrrev_i32_e32 v1, 31, v1
	v_cvt_u32_f32_e32 v3, v3
	s_delay_alu instid0(VALU_DEP_1) | instskip(NEXT) | instid1(VALU_DEP_1)
	v_xor_b32_e32 v3, v3, v1
	v_sub_nc_u32_e32 v6, v3, v1
.LBB175_621:
	s_or_b32 exec_lo, exec_lo, s27
.LBB175_622:
	s_mov_b32 s27, -1
.LBB175_623:
	s_mov_b32 s28, 0
.LBB175_624:
	s_delay_alu instid0(SALU_CYCLE_1)
	s_and_b32 vcc_lo, exec_lo, s28
	s_cbranch_vccz .LBB175_657
; %bb.625:
	s_cmp_gt_i32 s0, 22
	s_cbranch_scc0 .LBB175_633
; %bb.626:
	s_cmp_lt_i32 s0, 24
	s_cbranch_scc1 .LBB175_636
; %bb.627:
	s_cmp_gt_i32 s0, 24
	s_cbranch_scc0 .LBB175_637
; %bb.628:
	global_load_u8 v1, v[4:5], off
	s_mov_b32 s28, 0
	s_mov_b32 s27, exec_lo
	s_wait_loadcnt 0x0
	v_cmpx_lt_i16_e32 0x7f, v1
	s_xor_b32 s27, exec_lo, s27
	s_cbranch_execz .LBB175_649
; %bb.629:
	v_cmp_ne_u16_e32 vcc_lo, 0x80, v1
	s_and_b32 s28, vcc_lo, exec_lo
	s_and_not1_saveexec_b32 s27, s27
	s_cbranch_execnz .LBB175_650
.LBB175_630:
	s_or_b32 exec_lo, exec_lo, s27
	v_mov_b32_e32 v6, 0
	s_and_saveexec_b32 s27, s28
	s_cbranch_execz .LBB175_632
.LBB175_631:
	v_and_b32_e32 v3, 0xffff, v1
	s_delay_alu instid0(VALU_DEP_1) | instskip(SKIP_1) | instid1(VALU_DEP_2)
	v_dual_lshlrev_b32 v1, 24, v1 :: v_dual_bitop2_b32 v6, 3, v3 bitop3:0x40
	v_bfe_u32 v9, v3, 2, 5
	v_and_b32_e32 v1, 0x80000000, v1
	s_delay_alu instid0(VALU_DEP_3) | instskip(NEXT) | instid1(VALU_DEP_3)
	v_clz_i32_u32_e32 v7, v6
	v_cmp_eq_u32_e32 vcc_lo, 0, v9
	s_delay_alu instid0(VALU_DEP_2) | instskip(NEXT) | instid1(VALU_DEP_1)
	v_min_u32_e32 v7, 32, v7
	v_subrev_nc_u32_e32 v8, 29, v7
	v_sub_nc_u32_e32 v7, 30, v7
	s_delay_alu instid0(VALU_DEP_2) | instskip(NEXT) | instid1(VALU_DEP_2)
	v_lshlrev_b32_e32 v3, v8, v3
	v_cndmask_b32_e32 v7, v9, v7, vcc_lo
	s_delay_alu instid0(VALU_DEP_2) | instskip(NEXT) | instid1(VALU_DEP_1)
	v_and_b32_e32 v3, 3, v3
	v_cndmask_b32_e32 v3, v6, v3, vcc_lo
	s_delay_alu instid0(VALU_DEP_3) | instskip(NEXT) | instid1(VALU_DEP_2)
	v_lshl_add_u32 v6, v7, 23, 0x37800000
	v_lshlrev_b32_e32 v3, 21, v3
	s_delay_alu instid0(VALU_DEP_1) | instskip(NEXT) | instid1(VALU_DEP_1)
	v_or3_b32 v1, v1, v6, v3
	v_trunc_f32_e32 v1, v1
	s_delay_alu instid0(VALU_DEP_1) | instskip(NEXT) | instid1(VALU_DEP_1)
	v_mul_f32_e64 v3, 0x2f800000, |v1|
	v_floor_f32_e32 v3, v3
	s_delay_alu instid0(VALU_DEP_1) | instskip(SKIP_1) | instid1(VALU_DEP_2)
	v_fma_f32 v3, 0xcf800000, v3, |v1|
	v_ashrrev_i32_e32 v1, 31, v1
	v_cvt_u32_f32_e32 v3, v3
	s_delay_alu instid0(VALU_DEP_1) | instskip(NEXT) | instid1(VALU_DEP_1)
	v_xor_b32_e32 v3, v3, v1
	v_sub_nc_u32_e32 v6, v3, v1
.LBB175_632:
	s_or_b32 exec_lo, exec_lo, s27
	s_mov_b32 s27, 0
	s_branch .LBB175_638
.LBB175_633:
	s_mov_b32 s28, -1
                                        ; implicit-def: $vgpr6
	s_branch .LBB175_644
.LBB175_634:
	s_and_not1_saveexec_b32 s27, s27
	s_cbranch_execz .LBB175_619
.LBB175_635:
	v_cmp_ne_u16_e32 vcc_lo, 0, v1
	s_and_not1_b32 s28, s28, exec_lo
	s_and_b32 s29, vcc_lo, exec_lo
	s_delay_alu instid0(SALU_CYCLE_1)
	s_or_b32 s28, s28, s29
	s_or_b32 exec_lo, exec_lo, s27
	v_mov_b32_e32 v6, 0
	s_and_saveexec_b32 s27, s28
	s_cbranch_execnz .LBB175_620
	s_branch .LBB175_621
.LBB175_636:
	s_mov_b32 s27, -1
                                        ; implicit-def: $vgpr6
	s_branch .LBB175_641
.LBB175_637:
	s_mov_b32 s27, -1
                                        ; implicit-def: $vgpr6
.LBB175_638:
	s_delay_alu instid0(SALU_CYCLE_1)
	s_and_b32 vcc_lo, exec_lo, s27
	s_cbranch_vccz .LBB175_640
; %bb.639:
	global_load_u8 v1, v[4:5], off
	s_wait_loadcnt 0x0
	v_lshlrev_b32_e32 v1, 24, v1
	s_delay_alu instid0(VALU_DEP_1) | instskip(NEXT) | instid1(VALU_DEP_1)
	v_and_b32_e32 v3, 0x7f000000, v1
	v_clz_i32_u32_e32 v6, v3
	v_cmp_ne_u32_e32 vcc_lo, 0, v3
	v_add_nc_u32_e32 v8, 0x1000000, v3
	s_delay_alu instid0(VALU_DEP_3) | instskip(NEXT) | instid1(VALU_DEP_1)
	v_min_u32_e32 v6, 32, v6
	v_sub_nc_u32_e64 v6, v6, 4 clamp
	s_delay_alu instid0(VALU_DEP_1) | instskip(NEXT) | instid1(VALU_DEP_1)
	v_dual_lshlrev_b32 v7, v6, v3 :: v_dual_lshlrev_b32 v6, 23, v6
	v_lshrrev_b32_e32 v7, 4, v7
	s_delay_alu instid0(VALU_DEP_1) | instskip(NEXT) | instid1(VALU_DEP_1)
	v_dual_sub_nc_u32 v6, v7, v6 :: v_dual_ashrrev_i32 v7, 8, v8
	v_add_nc_u32_e32 v6, 0x3c000000, v6
	s_delay_alu instid0(VALU_DEP_1) | instskip(NEXT) | instid1(VALU_DEP_1)
	v_and_or_b32 v6, 0x7f800000, v7, v6
	v_cndmask_b32_e32 v3, 0, v6, vcc_lo
	s_delay_alu instid0(VALU_DEP_1) | instskip(NEXT) | instid1(VALU_DEP_1)
	v_and_or_b32 v1, 0x80000000, v1, v3
	v_trunc_f32_e32 v1, v1
	s_delay_alu instid0(VALU_DEP_1) | instskip(NEXT) | instid1(VALU_DEP_1)
	v_mul_f32_e64 v3, 0x2f800000, |v1|
	v_floor_f32_e32 v3, v3
	s_delay_alu instid0(VALU_DEP_1) | instskip(SKIP_1) | instid1(VALU_DEP_2)
	v_fma_f32 v3, 0xcf800000, v3, |v1|
	v_ashrrev_i32_e32 v1, 31, v1
	v_cvt_u32_f32_e32 v3, v3
	s_delay_alu instid0(VALU_DEP_1) | instskip(NEXT) | instid1(VALU_DEP_1)
	v_xor_b32_e32 v3, v3, v1
	v_sub_nc_u32_e32 v6, v3, v1
.LBB175_640:
	s_mov_b32 s27, 0
.LBB175_641:
	s_delay_alu instid0(SALU_CYCLE_1)
	s_and_not1_b32 vcc_lo, exec_lo, s27
	s_cbranch_vccnz .LBB175_643
; %bb.642:
	global_load_u8 v1, v[4:5], off
	s_wait_loadcnt 0x0
	v_lshlrev_b32_e32 v3, 25, v1
	v_lshlrev_b16 v1, 8, v1
	s_delay_alu instid0(VALU_DEP_1) | instskip(SKIP_1) | instid1(VALU_DEP_2)
	v_and_or_b32 v7, 0x7f00, v1, 0.5
	v_bfe_i32 v1, v1, 0, 16
	v_add_f32_e32 v7, -0.5, v7
	v_lshrrev_b32_e32 v6, 4, v3
	v_cmp_gt_u32_e32 vcc_lo, 0x8000000, v3
	s_delay_alu instid0(VALU_DEP_2) | instskip(NEXT) | instid1(VALU_DEP_1)
	v_or_b32_e32 v6, 0x70000000, v6
	v_mul_f32_e32 v6, 0x7800000, v6
	s_delay_alu instid0(VALU_DEP_1) | instskip(NEXT) | instid1(VALU_DEP_1)
	v_cndmask_b32_e32 v3, v6, v7, vcc_lo
	v_and_or_b32 v1, 0x80000000, v1, v3
	s_delay_alu instid0(VALU_DEP_1) | instskip(NEXT) | instid1(VALU_DEP_1)
	v_trunc_f32_e32 v1, v1
	v_mul_f32_e64 v3, 0x2f800000, |v1|
	s_delay_alu instid0(VALU_DEP_1) | instskip(NEXT) | instid1(VALU_DEP_1)
	v_floor_f32_e32 v3, v3
	v_fma_f32 v3, 0xcf800000, v3, |v1|
	v_ashrrev_i32_e32 v1, 31, v1
	s_delay_alu instid0(VALU_DEP_2) | instskip(NEXT) | instid1(VALU_DEP_1)
	v_cvt_u32_f32_e32 v3, v3
	v_xor_b32_e32 v3, v3, v1
	s_delay_alu instid0(VALU_DEP_1)
	v_sub_nc_u32_e32 v6, v3, v1
.LBB175_643:
	s_mov_b32 s28, 0
	s_mov_b32 s27, -1
.LBB175_644:
	s_and_not1_b32 vcc_lo, exec_lo, s28
	s_cbranch_vccnz .LBB175_657
; %bb.645:
	s_cmp_gt_i32 s0, 14
	s_cbranch_scc0 .LBB175_648
; %bb.646:
	s_cmp_eq_u32 s0, 15
	s_cbranch_scc0 .LBB175_651
; %bb.647:
	global_load_u16 v1, v[4:5], off
	s_mov_b32 s27, -1
	s_mov_b32 s26, 0
	s_wait_loadcnt 0x0
	v_lshlrev_b32_e32 v1, 16, v1
	s_delay_alu instid0(VALU_DEP_1) | instskip(NEXT) | instid1(VALU_DEP_1)
	v_trunc_f32_e32 v1, v1
	v_mul_f32_e64 v3, 0x2f800000, |v1|
	s_delay_alu instid0(VALU_DEP_1) | instskip(NEXT) | instid1(VALU_DEP_1)
	v_floor_f32_e32 v3, v3
	v_fma_f32 v3, 0xcf800000, v3, |v1|
	v_ashrrev_i32_e32 v1, 31, v1
	s_delay_alu instid0(VALU_DEP_2) | instskip(NEXT) | instid1(VALU_DEP_1)
	v_cvt_u32_f32_e32 v3, v3
	v_xor_b32_e32 v3, v3, v1
	s_delay_alu instid0(VALU_DEP_1)
	v_sub_nc_u32_e32 v6, v3, v1
	s_branch .LBB175_652
.LBB175_648:
	s_mov_b32 s28, -1
                                        ; implicit-def: $vgpr6
	s_branch .LBB175_653
.LBB175_649:
	s_and_not1_saveexec_b32 s27, s27
	s_cbranch_execz .LBB175_630
.LBB175_650:
	v_cmp_ne_u16_e32 vcc_lo, 0, v1
	s_and_not1_b32 s28, s28, exec_lo
	s_and_b32 s29, vcc_lo, exec_lo
	s_delay_alu instid0(SALU_CYCLE_1)
	s_or_b32 s28, s28, s29
	s_or_b32 exec_lo, exec_lo, s27
	v_mov_b32_e32 v6, 0
	s_and_saveexec_b32 s27, s28
	s_cbranch_execnz .LBB175_631
	s_branch .LBB175_632
.LBB175_651:
	s_mov_b32 s26, -1
                                        ; implicit-def: $vgpr6
.LBB175_652:
	s_mov_b32 s28, 0
.LBB175_653:
	s_delay_alu instid0(SALU_CYCLE_1)
	s_and_b32 vcc_lo, exec_lo, s28
	s_cbranch_vccz .LBB175_657
; %bb.654:
	s_cmp_eq_u32 s0, 11
	s_cbranch_scc0 .LBB175_656
; %bb.655:
	global_load_u8 v1, v[4:5], off
	s_mov_b32 s26, 0
	s_mov_b32 s27, -1
	s_wait_loadcnt 0x0
	v_cmp_ne_u16_e32 vcc_lo, 0, v1
	v_cndmask_b32_e64 v6, 0, 1, vcc_lo
	s_branch .LBB175_657
.LBB175_656:
	s_mov_b32 s26, -1
                                        ; implicit-def: $vgpr6
.LBB175_657:
	s_mov_b32 s28, 0
.LBB175_658:
	s_delay_alu instid0(SALU_CYCLE_1)
	s_and_b32 vcc_lo, exec_lo, s28
	s_cbranch_vccz .LBB175_707
; %bb.659:
	s_cmp_lt_i32 s0, 5
	s_cbranch_scc1 .LBB175_664
; %bb.660:
	s_cmp_lt_i32 s0, 8
	s_cbranch_scc1 .LBB175_665
	;; [unrolled: 3-line block ×3, first 2 shown]
; %bb.662:
	s_cmp_gt_i32 s0, 9
	s_cbranch_scc0 .LBB175_667
; %bb.663:
	s_wait_loadcnt 0x0
	global_load_b64 v[6:7], v[4:5], off
	s_mov_b32 s27, 0
	s_wait_loadcnt 0x0
	v_trunc_f64_e32 v[6:7], v[6:7]
	s_delay_alu instid0(VALU_DEP_1) | instskip(NEXT) | instid1(VALU_DEP_1)
	v_ldexp_f64 v[8:9], v[6:7], 0xffffffe0
	v_floor_f64_e32 v[8:9], v[8:9]
	s_delay_alu instid0(VALU_DEP_1) | instskip(NEXT) | instid1(VALU_DEP_1)
	v_fmamk_f64 v[6:7], v[8:9], 0xc1f00000, v[6:7]
	v_cvt_u32_f64_e32 v6, v[6:7]
	s_branch .LBB175_668
.LBB175_664:
	s_mov_b32 s27, -1
                                        ; implicit-def: $vgpr6
	s_branch .LBB175_686
.LBB175_665:
	s_mov_b32 s27, -1
                                        ; implicit-def: $vgpr6
	s_branch .LBB175_674
.LBB175_666:
	s_mov_b32 s27, -1
                                        ; implicit-def: $vgpr6
	s_branch .LBB175_671
.LBB175_667:
	s_mov_b32 s27, -1
                                        ; implicit-def: $vgpr6
.LBB175_668:
	s_delay_alu instid0(SALU_CYCLE_1)
	s_and_not1_b32 vcc_lo, exec_lo, s27
	s_cbranch_vccnz .LBB175_670
; %bb.669:
	global_load_b32 v1, v[4:5], off
	s_wait_loadcnt 0x0
	v_trunc_f32_e32 v1, v1
	s_delay_alu instid0(VALU_DEP_1) | instskip(NEXT) | instid1(VALU_DEP_1)
	v_mul_f32_e64 v3, 0x2f800000, |v1|
	v_floor_f32_e32 v3, v3
	s_delay_alu instid0(VALU_DEP_1) | instskip(SKIP_1) | instid1(VALU_DEP_2)
	v_fma_f32 v3, 0xcf800000, v3, |v1|
	v_ashrrev_i32_e32 v1, 31, v1
	v_cvt_u32_f32_e32 v3, v3
	s_delay_alu instid0(VALU_DEP_1) | instskip(NEXT) | instid1(VALU_DEP_1)
	v_xor_b32_e32 v3, v3, v1
	v_sub_nc_u32_e32 v6, v3, v1
.LBB175_670:
	s_mov_b32 s27, 0
.LBB175_671:
	s_delay_alu instid0(SALU_CYCLE_1)
	s_and_not1_b32 vcc_lo, exec_lo, s27
	s_cbranch_vccnz .LBB175_673
; %bb.672:
	global_load_b32 v1, v[4:5], off
	s_wait_loadcnt 0x0
	v_cvt_f32_f16_e32 v1, v1
	s_delay_alu instid0(VALU_DEP_1)
	v_cvt_i32_f32_e32 v6, v1
.LBB175_673:
	s_mov_b32 s27, 0
.LBB175_674:
	s_delay_alu instid0(SALU_CYCLE_1)
	s_and_not1_b32 vcc_lo, exec_lo, s27
	s_cbranch_vccnz .LBB175_685
; %bb.675:
	s_cmp_lt_i32 s0, 6
	s_cbranch_scc1 .LBB175_678
; %bb.676:
	s_cmp_gt_i32 s0, 6
	s_cbranch_scc0 .LBB175_679
; %bb.677:
	s_wait_loadcnt 0x0
	global_load_b64 v[6:7], v[4:5], off
	s_mov_b32 s27, 0
	s_wait_loadcnt 0x0
	v_trunc_f64_e32 v[6:7], v[6:7]
	s_delay_alu instid0(VALU_DEP_1) | instskip(NEXT) | instid1(VALU_DEP_1)
	v_ldexp_f64 v[8:9], v[6:7], 0xffffffe0
	v_floor_f64_e32 v[8:9], v[8:9]
	s_delay_alu instid0(VALU_DEP_1) | instskip(NEXT) | instid1(VALU_DEP_1)
	v_fmamk_f64 v[6:7], v[8:9], 0xc1f00000, v[6:7]
	v_cvt_u32_f64_e32 v6, v[6:7]
	s_branch .LBB175_680
.LBB175_678:
	s_mov_b32 s27, -1
                                        ; implicit-def: $vgpr6
	s_branch .LBB175_683
.LBB175_679:
	s_mov_b32 s27, -1
                                        ; implicit-def: $vgpr6
.LBB175_680:
	s_delay_alu instid0(SALU_CYCLE_1)
	s_and_not1_b32 vcc_lo, exec_lo, s27
	s_cbranch_vccnz .LBB175_682
; %bb.681:
	global_load_b32 v1, v[4:5], off
	s_wait_loadcnt 0x0
	v_trunc_f32_e32 v1, v1
	s_delay_alu instid0(VALU_DEP_1) | instskip(NEXT) | instid1(VALU_DEP_1)
	v_mul_f32_e64 v3, 0x2f800000, |v1|
	v_floor_f32_e32 v3, v3
	s_delay_alu instid0(VALU_DEP_1) | instskip(SKIP_1) | instid1(VALU_DEP_2)
	v_fma_f32 v3, 0xcf800000, v3, |v1|
	v_ashrrev_i32_e32 v1, 31, v1
	v_cvt_u32_f32_e32 v3, v3
	s_delay_alu instid0(VALU_DEP_1) | instskip(NEXT) | instid1(VALU_DEP_1)
	v_xor_b32_e32 v3, v3, v1
	v_sub_nc_u32_e32 v6, v3, v1
.LBB175_682:
	s_mov_b32 s27, 0
.LBB175_683:
	s_delay_alu instid0(SALU_CYCLE_1)
	s_and_not1_b32 vcc_lo, exec_lo, s27
	s_cbranch_vccnz .LBB175_685
; %bb.684:
	global_load_u16 v1, v[4:5], off
	s_wait_loadcnt 0x0
	v_cvt_f32_f16_e32 v1, v1
	s_delay_alu instid0(VALU_DEP_1)
	v_cvt_i32_f32_e32 v6, v1
.LBB175_685:
	s_mov_b32 s27, 0
.LBB175_686:
	s_delay_alu instid0(SALU_CYCLE_1)
	s_and_not1_b32 vcc_lo, exec_lo, s27
	s_cbranch_vccnz .LBB175_706
; %bb.687:
	s_cmp_lt_i32 s0, 2
	s_cbranch_scc1 .LBB175_691
; %bb.688:
	s_cmp_lt_i32 s0, 3
	s_cbranch_scc1 .LBB175_692
; %bb.689:
	s_cmp_gt_i32 s0, 3
	s_cbranch_scc0 .LBB175_693
; %bb.690:
	s_wait_loadcnt 0x0
	global_load_b64 v[6:7], v[4:5], off
	s_mov_b32 s27, 0
	s_branch .LBB175_694
.LBB175_691:
	s_mov_b32 s27, -1
                                        ; implicit-def: $vgpr6
	s_branch .LBB175_700
.LBB175_692:
	s_mov_b32 s27, -1
                                        ; implicit-def: $vgpr6
	s_branch .LBB175_697
.LBB175_693:
	s_mov_b32 s27, -1
                                        ; implicit-def: $vgpr6
.LBB175_694:
	s_delay_alu instid0(SALU_CYCLE_1)
	s_and_not1_b32 vcc_lo, exec_lo, s27
	s_cbranch_vccnz .LBB175_696
; %bb.695:
	s_wait_loadcnt 0x0
	global_load_b32 v6, v[4:5], off
.LBB175_696:
	s_mov_b32 s27, 0
.LBB175_697:
	s_delay_alu instid0(SALU_CYCLE_1)
	s_and_not1_b32 vcc_lo, exec_lo, s27
	s_cbranch_vccnz .LBB175_699
; %bb.698:
	s_wait_loadcnt 0x0
	global_load_u16 v6, v[4:5], off
.LBB175_699:
	s_mov_b32 s27, 0
.LBB175_700:
	s_delay_alu instid0(SALU_CYCLE_1)
	s_and_not1_b32 vcc_lo, exec_lo, s27
	s_cbranch_vccnz .LBB175_706
; %bb.701:
	s_cmp_gt_i32 s0, 0
	s_mov_b32 s0, 0
	s_cbranch_scc0 .LBB175_703
; %bb.702:
	s_wait_loadcnt 0x0
	global_load_u8 v6, v[4:5], off
	s_branch .LBB175_704
.LBB175_703:
	s_mov_b32 s0, -1
                                        ; implicit-def: $vgpr6
.LBB175_704:
	s_delay_alu instid0(SALU_CYCLE_1)
	s_and_not1_b32 vcc_lo, exec_lo, s0
	s_cbranch_vccnz .LBB175_706
; %bb.705:
	s_wait_loadcnt 0x0
	global_load_u8 v6, v[4:5], off
.LBB175_706:
	s_mov_b32 s27, -1
.LBB175_707:
	s_delay_alu instid0(SALU_CYCLE_1)
	s_and_not1_b32 vcc_lo, exec_lo, s27
	s_cbranch_vccnz .LBB175_711
; %bb.708:
	s_cmp_lt_i32 s16, 1
	s_mov_b32 s0, 0
	s_cbranch_scc1 .LBB175_712
; %bb.709:
	s_cmp_eq_u32 s16, 1
	s_cbranch_scc0 .LBB175_713
; %bb.710:
	s_wait_loadcnt 0x0
	s_delay_alu instid0(VALU_DEP_1)
	v_and_b32_e32 v1, 0xff, v6
	s_and_b32 s27, s17, 0xff
	s_delay_alu instid0(VALU_DEP_1) | instid1(SALU_CYCLE_1)
	v_min_u16 v1, v1, s27
	s_mov_b32 s27, 0
	s_branch .LBB175_714
.LBB175_711:
	s_mov_b32 s27, 0
	s_mov_b32 s0, s46
	s_branch .LBB175_844
.LBB175_712:
	s_mov_b32 s28, -1
	s_mov_b32 s27, 0
                                        ; implicit-def: $vgpr1
	s_branch .LBB175_715
.LBB175_713:
	s_mov_b32 s27, -1
                                        ; implicit-def: $vgpr1
.LBB175_714:
	s_mov_b32 s28, 0
.LBB175_715:
	s_delay_alu instid0(SALU_CYCLE_1)
	s_and_b32 vcc_lo, exec_lo, s28
	s_cbranch_vccz .LBB175_726
; %bb.716:
	s_cmp_lg_u32 s16, 0
	s_mov_b32 s0, -1
	s_cselect_b32 s27, -1, 0
	s_delay_alu instid0(SALU_CYCLE_1)
	s_and_not1_b32 vcc_lo, exec_lo, s27
	s_cbranch_vccz .LBB175_727
.LBB175_717:
	s_and_not1_b32 vcc_lo, exec_lo, s0
	s_cbranch_vccnz .LBB175_719
.LBB175_718:
	s_wait_loadcnt 0x0
	s_delay_alu instid0(VALU_DEP_1)
	v_and_b32_e32 v1, 0xff, v6
	s_and_b32 s0, s17, 0xff
	s_delay_alu instid0(VALU_DEP_1) | instid1(SALU_CYCLE_1)
	v_max_u16 v1, v1, s0
.LBB175_719:
	v_mov_b32_e32 v3, 0
	s_and_b32 s27, s18, 0xff
	s_delay_alu instid0(SALU_CYCLE_1) | instskip(NEXT) | instid1(VALU_DEP_1)
	s_cmp_lt_i32 s27, 11
	v_add_nc_u64_e32 v[2:3], s[4:5], v[2:3]
	s_cbranch_scc1 .LBB175_728
; %bb.720:
	s_and_b32 s28, 0xffff, s27
	s_delay_alu instid0(SALU_CYCLE_1)
	s_cmp_gt_i32 s28, 25
	s_cbranch_scc0 .LBB175_729
; %bb.721:
	s_cmp_gt_i32 s28, 28
	s_cbranch_scc0 .LBB175_730
; %bb.722:
	;; [unrolled: 3-line block ×4, first 2 shown]
	s_mov_b32 s30, 0
	s_mov_b32 s0, -1
	s_cmp_eq_u32 s28, 46
	s_mov_b32 s29, 0
	s_cbranch_scc0 .LBB175_733
; %bb.725:
	s_wait_xcnt 0x0
	v_cvt_f32_ubyte0_e32 v4, v1
	s_mov_b32 s29, -1
	s_mov_b32 s0, 0
	s_delay_alu instid0(VALU_DEP_1) | instskip(NEXT) | instid1(VALU_DEP_1)
	v_bfe_u32 v5, v4, 16, 1
	v_add3_u32 v4, v4, v5, 0x7fff
	s_delay_alu instid0(VALU_DEP_1)
	v_lshrrev_b32_e32 v4, 16, v4
	global_store_b32 v[2:3], v4, off
	s_branch .LBB175_733
.LBB175_726:
	s_and_not1_b32 vcc_lo, exec_lo, s27
	s_cbranch_vccnz .LBB175_717
.LBB175_727:
	s_wait_loadcnt 0x0
	s_delay_alu instid0(VALU_DEP_1)
	v_and_b32_e32 v1, 0xff, v6
	s_and_b32 s0, s17, 0xff
	s_delay_alu instid0(VALU_DEP_1) | instid1(SALU_CYCLE_1)
	v_max_u16 v1, v1, s0
	s_delay_alu instid0(VALU_DEP_1)
	v_min_u16 v1, v1, s9
	s_cbranch_execz .LBB175_718
	s_branch .LBB175_719
.LBB175_728:
	s_mov_b32 s28, -1
	s_mov_b32 s29, 0
	s_mov_b32 s0, s46
	s_branch .LBB175_802
.LBB175_729:
	s_mov_b32 s30, -1
	s_mov_b32 s29, 0
	s_mov_b32 s0, s46
	s_branch .LBB175_760
.LBB175_730:
	s_mov_b32 s30, -1
	s_mov_b32 s29, 0
	s_mov_b32 s0, s46
	s_branch .LBB175_743
.LBB175_731:
	s_mov_b32 s30, -1
	s_mov_b32 s29, 0
	s_mov_b32 s0, s46
	s_branch .LBB175_739
.LBB175_732:
	s_mov_b32 s30, -1
	s_mov_b32 s29, 0
	s_mov_b32 s0, s46
.LBB175_733:
	s_and_b32 vcc_lo, exec_lo, s30
	s_cbranch_vccz .LBB175_738
; %bb.734:
	s_cmp_eq_u32 s28, 44
	s_mov_b32 s0, -1
	s_cbranch_scc0 .LBB175_738
; %bb.735:
	s_wait_loadcnt 0x0
	v_cvt_f32_ubyte0_e32 v6, v1
	s_mov_b32 s29, exec_lo
	s_wait_xcnt 0x0
	s_delay_alu instid0(VALU_DEP_1) | instskip(NEXT) | instid1(VALU_DEP_1)
	v_dual_mov_b32 v5, 0xff :: v_dual_lshrrev_b32 v4, 23, v6
	v_cmpx_ne_u32_e32 0xff, v4
; %bb.736:
	v_and_b32_e32 v5, 0x400000, v6
	v_and_or_b32 v6, 0x3fffff, v6, v4
	s_delay_alu instid0(VALU_DEP_2) | instskip(NEXT) | instid1(VALU_DEP_2)
	v_cmp_ne_u32_e32 vcc_lo, 0, v5
	v_cmp_ne_u32_e64 s0, 0, v6
	s_and_b32 s0, vcc_lo, s0
	s_delay_alu instid0(SALU_CYCLE_1) | instskip(NEXT) | instid1(VALU_DEP_1)
	v_cndmask_b32_e64 v5, 0, 1, s0
	v_add_nc_u32_e32 v5, v4, v5
; %bb.737:
	s_or_b32 exec_lo, exec_lo, s29
	s_mov_b32 s29, -1
	s_mov_b32 s0, 0
	global_store_b8 v[2:3], v5, off
.LBB175_738:
	s_mov_b32 s30, 0
.LBB175_739:
	s_delay_alu instid0(SALU_CYCLE_1)
	s_and_b32 vcc_lo, exec_lo, s30
	s_cbranch_vccz .LBB175_742
; %bb.740:
	s_cmp_eq_u32 s28, 29
	s_mov_b32 s0, -1
	s_cbranch_scc0 .LBB175_742
; %bb.741:
	s_wait_xcnt 0x0
	v_and_b32_e32 v4, 0xff, v1
	v_mov_b32_e32 v5, 0
	s_mov_b32 s29, -1
	s_mov_b32 s0, 0
	s_mov_b32 s30, 0
	global_store_b64 v[2:3], v[4:5], off
	s_branch .LBB175_743
.LBB175_742:
	s_mov_b32 s30, 0
.LBB175_743:
	s_delay_alu instid0(SALU_CYCLE_1)
	s_and_b32 vcc_lo, exec_lo, s30
	s_cbranch_vccz .LBB175_759
; %bb.744:
	s_cmp_lt_i32 s28, 27
	s_mov_b32 s29, -1
	s_cbranch_scc1 .LBB175_750
; %bb.745:
	s_cmp_gt_i32 s28, 27
	s_cbranch_scc0 .LBB175_747
; %bb.746:
	s_wait_xcnt 0x0
	v_and_b32_e32 v4, 0xff, v1
	s_mov_b32 s29, 0
	global_store_b32 v[2:3], v4, off
.LBB175_747:
	s_and_not1_b32 vcc_lo, exec_lo, s29
	s_cbranch_vccnz .LBB175_749
; %bb.748:
	s_wait_xcnt 0x0
	v_and_b32_e32 v4, 0xff, v1
	global_store_b16 v[2:3], v4, off
.LBB175_749:
	s_mov_b32 s29, 0
.LBB175_750:
	s_delay_alu instid0(SALU_CYCLE_1)
	s_and_not1_b32 vcc_lo, exec_lo, s29
	s_cbranch_vccnz .LBB175_758
; %bb.751:
	s_wait_xcnt 0x0
	v_cvt_f32_ubyte0_e32 v5, v1
	s_wait_loadcnt 0x0
	v_mov_b32_e32 v6, 0x80
	s_mov_b32 s29, exec_lo
	s_delay_alu instid0(VALU_DEP_2)
	v_cmpx_gt_u32_e32 0x43800000, v5
	s_cbranch_execz .LBB175_757
; %bb.752:
	s_mov_b32 s30, 0
	s_mov_b32 s31, exec_lo
                                        ; implicit-def: $vgpr4
	v_cmpx_lt_u32_e32 0x3bffffff, v5
	s_xor_b32 s31, exec_lo, s31
	s_cbranch_execz .LBB175_876
; %bb.753:
	v_bfe_u32 v4, v5, 20, 1
	s_mov_b32 s30, exec_lo
	s_delay_alu instid0(VALU_DEP_1) | instskip(NEXT) | instid1(VALU_DEP_1)
	v_add3_u32 v4, v5, v4, 0x487ffff
                                        ; implicit-def: $vgpr5
	v_lshrrev_b32_e32 v4, 20, v4
	s_and_not1_saveexec_b32 s31, s31
	s_cbranch_execnz .LBB175_877
.LBB175_754:
	s_or_b32 exec_lo, exec_lo, s31
	v_mov_b32_e32 v6, 0
	s_and_saveexec_b32 s31, s30
.LBB175_755:
	v_mov_b32_e32 v6, v4
.LBB175_756:
	s_or_b32 exec_lo, exec_lo, s31
.LBB175_757:
	s_delay_alu instid0(SALU_CYCLE_1)
	s_or_b32 exec_lo, exec_lo, s29
	global_store_b8 v[2:3], v6, off
.LBB175_758:
	s_mov_b32 s29, -1
.LBB175_759:
	s_mov_b32 s30, 0
.LBB175_760:
	s_delay_alu instid0(SALU_CYCLE_1)
	s_and_b32 vcc_lo, exec_lo, s30
	s_cbranch_vccz .LBB175_801
; %bb.761:
	s_cmp_gt_i32 s28, 22
	s_mov_b32 s30, -1
	s_cbranch_scc0 .LBB175_793
; %bb.762:
	s_cmp_lt_i32 s28, 24
	s_mov_b32 s29, -1
	s_cbranch_scc1 .LBB175_782
; %bb.763:
	s_cmp_gt_i32 s28, 24
	s_cbranch_scc0 .LBB175_771
; %bb.764:
	s_wait_xcnt 0x0
	v_cvt_f32_ubyte0_e32 v5, v1
	s_wait_loadcnt 0x0
	v_mov_b32_e32 v6, 0x80
	s_mov_b32 s29, exec_lo
	s_delay_alu instid0(VALU_DEP_2)
	v_cmpx_gt_u32_e32 0x47800000, v5
	s_cbranch_execz .LBB175_770
; %bb.765:
	s_mov_b32 s30, 0
	s_mov_b32 s31, exec_lo
                                        ; implicit-def: $vgpr4
	v_cmpx_lt_u32_e32 0x37ffffff, v5
	s_xor_b32 s31, exec_lo, s31
	s_cbranch_execz .LBB175_879
; %bb.766:
	v_bfe_u32 v4, v5, 21, 1
	s_mov_b32 s30, exec_lo
	s_delay_alu instid0(VALU_DEP_1) | instskip(NEXT) | instid1(VALU_DEP_1)
	v_add3_u32 v4, v5, v4, 0x88fffff
                                        ; implicit-def: $vgpr5
	v_lshrrev_b32_e32 v4, 21, v4
	s_and_not1_saveexec_b32 s31, s31
	s_cbranch_execnz .LBB175_880
.LBB175_767:
	s_or_b32 exec_lo, exec_lo, s31
	v_mov_b32_e32 v6, 0
	s_and_saveexec_b32 s31, s30
.LBB175_768:
	v_mov_b32_e32 v6, v4
.LBB175_769:
	s_or_b32 exec_lo, exec_lo, s31
.LBB175_770:
	s_delay_alu instid0(SALU_CYCLE_1)
	s_or_b32 exec_lo, exec_lo, s29
	s_mov_b32 s29, 0
	global_store_b8 v[2:3], v6, off
.LBB175_771:
	s_and_b32 vcc_lo, exec_lo, s29
	s_cbranch_vccz .LBB175_781
; %bb.772:
	s_wait_xcnt 0x0
	v_cvt_f32_ubyte0_e32 v5, v1
	s_mov_b32 s29, exec_lo
                                        ; implicit-def: $vgpr4
	s_delay_alu instid0(VALU_DEP_1)
	v_cmpx_gt_u32_e32 0x43f00000, v5
	s_xor_b32 s29, exec_lo, s29
	s_cbranch_execz .LBB175_778
; %bb.773:
	s_mov_b32 s30, exec_lo
                                        ; implicit-def: $vgpr4
	v_cmpx_lt_u32_e32 0x3c7fffff, v5
	s_xor_b32 s30, exec_lo, s30
; %bb.774:
	v_bfe_u32 v4, v5, 20, 1
	s_delay_alu instid0(VALU_DEP_1) | instskip(NEXT) | instid1(VALU_DEP_1)
	v_add3_u32 v4, v5, v4, 0x407ffff
	v_and_b32_e32 v5, 0xff00000, v4
	v_lshrrev_b32_e32 v4, 20, v4
	s_delay_alu instid0(VALU_DEP_2) | instskip(NEXT) | instid1(VALU_DEP_2)
	v_cmp_ne_u32_e32 vcc_lo, 0x7f00000, v5
                                        ; implicit-def: $vgpr5
	v_cndmask_b32_e32 v4, 0x7e, v4, vcc_lo
; %bb.775:
	s_and_not1_saveexec_b32 s30, s30
; %bb.776:
	v_add_f32_e32 v4, 0x46800000, v5
; %bb.777:
	s_or_b32 exec_lo, exec_lo, s30
                                        ; implicit-def: $vgpr5
.LBB175_778:
	s_and_not1_saveexec_b32 s29, s29
; %bb.779:
	v_mov_b32_e32 v4, 0x7f
	v_cmp_lt_u32_e32 vcc_lo, 0x7f800000, v5
	s_delay_alu instid0(VALU_DEP_2)
	v_cndmask_b32_e32 v4, 0x7e, v4, vcc_lo
; %bb.780:
	s_or_b32 exec_lo, exec_lo, s29
	global_store_b8 v[2:3], v4, off
.LBB175_781:
	s_mov_b32 s29, 0
.LBB175_782:
	s_delay_alu instid0(SALU_CYCLE_1)
	s_and_not1_b32 vcc_lo, exec_lo, s29
	s_cbranch_vccnz .LBB175_792
; %bb.783:
	s_wait_xcnt 0x0
	v_cvt_f32_ubyte0_e32 v5, v1
	s_mov_b32 s29, exec_lo
                                        ; implicit-def: $vgpr4
	s_delay_alu instid0(VALU_DEP_1)
	v_cmpx_gt_u32_e32 0x47800000, v5
	s_xor_b32 s29, exec_lo, s29
	s_cbranch_execz .LBB175_789
; %bb.784:
	s_mov_b32 s30, exec_lo
                                        ; implicit-def: $vgpr4
	v_cmpx_lt_u32_e32 0x387fffff, v5
	s_xor_b32 s30, exec_lo, s30
; %bb.785:
	v_bfe_u32 v4, v5, 21, 1
	s_delay_alu instid0(VALU_DEP_1) | instskip(NEXT) | instid1(VALU_DEP_1)
	v_add3_u32 v4, v5, v4, 0x80fffff
                                        ; implicit-def: $vgpr5
	v_lshrrev_b32_e32 v4, 21, v4
; %bb.786:
	s_and_not1_saveexec_b32 s30, s30
; %bb.787:
	v_add_f32_e32 v4, 0x43000000, v5
; %bb.788:
	s_or_b32 exec_lo, exec_lo, s30
                                        ; implicit-def: $vgpr5
.LBB175_789:
	s_and_not1_saveexec_b32 s29, s29
; %bb.790:
	v_mov_b32_e32 v4, 0x7f
	v_cmp_lt_u32_e32 vcc_lo, 0x7f800000, v5
	s_delay_alu instid0(VALU_DEP_2)
	v_cndmask_b32_e32 v4, 0x7c, v4, vcc_lo
; %bb.791:
	s_or_b32 exec_lo, exec_lo, s29
	global_store_b8 v[2:3], v4, off
.LBB175_792:
	s_mov_b32 s30, 0
	s_mov_b32 s29, -1
.LBB175_793:
	s_and_not1_b32 vcc_lo, exec_lo, s30
	s_cbranch_vccnz .LBB175_801
; %bb.794:
	s_cmp_gt_i32 s28, 14
	s_mov_b32 s30, -1
	s_cbranch_scc0 .LBB175_798
; %bb.795:
	s_cmp_eq_u32 s28, 15
	s_mov_b32 s0, -1
	s_cbranch_scc0 .LBB175_797
; %bb.796:
	s_wait_xcnt 0x0
	v_cvt_f32_ubyte0_e32 v4, v1
	s_mov_b32 s29, -1
	s_mov_b32 s0, 0
	s_delay_alu instid0(VALU_DEP_1) | instskip(NEXT) | instid1(VALU_DEP_1)
	v_bfe_u32 v5, v4, 16, 1
	v_add3_u32 v4, v4, v5, 0x7fff
	global_store_d16_hi_b16 v[2:3], v4, off
.LBB175_797:
	s_mov_b32 s30, 0
.LBB175_798:
	s_delay_alu instid0(SALU_CYCLE_1)
	s_and_b32 vcc_lo, exec_lo, s30
	s_cbranch_vccz .LBB175_801
; %bb.799:
	s_cmp_eq_u32 s28, 11
	s_mov_b32 s0, -1
	s_cbranch_scc0 .LBB175_801
; %bb.800:
	s_wait_xcnt 0x0
	v_and_b32_e32 v4, 0xff, v1
	s_mov_b32 s0, 0
	s_mov_b32 s29, -1
	s_delay_alu instid0(VALU_DEP_1)
	v_cmp_ne_u16_e32 vcc_lo, 0, v4
	v_cndmask_b32_e64 v4, 0, 1, vcc_lo
	global_store_b8 v[2:3], v4, off
.LBB175_801:
	s_mov_b32 s28, 0
.LBB175_802:
	s_delay_alu instid0(SALU_CYCLE_1)
	s_and_b32 vcc_lo, exec_lo, s28
	s_cbranch_vccz .LBB175_841
; %bb.803:
	s_and_b32 s27, 0xffff, s27
	s_mov_b32 s28, -1
	s_cmp_lt_i32 s27, 5
	s_cbranch_scc1 .LBB175_824
; %bb.804:
	s_cmp_lt_i32 s27, 8
	s_cbranch_scc1 .LBB175_814
; %bb.805:
	;; [unrolled: 3-line block ×3, first 2 shown]
	s_cmp_gt_i32 s27, 9
	s_cbranch_scc0 .LBB175_808
; %bb.807:
	s_wait_xcnt 0x0
	v_and_b32_e32 v4, 0xff, v1
	s_wait_loadcnt 0x0
	v_mov_b32_e32 v6, 0
	s_mov_b32 s28, 0
	s_delay_alu instid0(VALU_DEP_2) | instskip(NEXT) | instid1(VALU_DEP_2)
	v_and_b32_e32 v4, 0xffff, v4
	v_mov_b32_e32 v7, v6
	s_delay_alu instid0(VALU_DEP_2)
	v_cvt_f64_u32_e32 v[4:5], v4
	global_store_b128 v[2:3], v[4:7], off
.LBB175_808:
	s_and_not1_b32 vcc_lo, exec_lo, s28
	s_cbranch_vccnz .LBB175_810
; %bb.809:
	s_wait_xcnt 0x0
	v_cvt_f32_ubyte0_e32 v4, v1
	v_mov_b32_e32 v5, 0
	global_store_b64 v[2:3], v[4:5], off
.LBB175_810:
	s_mov_b32 s28, 0
.LBB175_811:
	s_delay_alu instid0(SALU_CYCLE_1)
	s_and_not1_b32 vcc_lo, exec_lo, s28
	s_cbranch_vccnz .LBB175_813
; %bb.812:
	s_wait_xcnt 0x0
	v_and_b32_e32 v4, 0xff, v1
	s_delay_alu instid0(VALU_DEP_1) | instskip(NEXT) | instid1(VALU_DEP_1)
	v_cvt_f16_u16_e32 v4, v4
	v_and_b32_e32 v4, 0xffff, v4
	global_store_b32 v[2:3], v4, off
.LBB175_813:
	s_mov_b32 s28, 0
.LBB175_814:
	s_delay_alu instid0(SALU_CYCLE_1)
	s_and_not1_b32 vcc_lo, exec_lo, s28
	s_cbranch_vccnz .LBB175_823
; %bb.815:
	s_cmp_lt_i32 s27, 6
	s_mov_b32 s28, -1
	s_cbranch_scc1 .LBB175_821
; %bb.816:
	s_cmp_gt_i32 s27, 6
	s_cbranch_scc0 .LBB175_818
; %bb.817:
	s_wait_xcnt 0x0
	v_and_b32_e32 v4, 0xff, v1
	s_mov_b32 s28, 0
	s_delay_alu instid0(VALU_DEP_1) | instskip(NEXT) | instid1(VALU_DEP_1)
	v_and_b32_e32 v4, 0xffff, v4
	v_cvt_f64_u32_e32 v[4:5], v4
	global_store_b64 v[2:3], v[4:5], off
.LBB175_818:
	s_and_not1_b32 vcc_lo, exec_lo, s28
	s_cbranch_vccnz .LBB175_820
; %bb.819:
	s_wait_xcnt 0x0
	v_cvt_f32_ubyte0_e32 v4, v1
	global_store_b32 v[2:3], v4, off
.LBB175_820:
	s_mov_b32 s28, 0
.LBB175_821:
	s_delay_alu instid0(SALU_CYCLE_1)
	s_and_not1_b32 vcc_lo, exec_lo, s28
	s_cbranch_vccnz .LBB175_823
; %bb.822:
	s_wait_xcnt 0x0
	v_and_b32_e32 v4, 0xff, v1
	s_delay_alu instid0(VALU_DEP_1)
	v_cvt_f16_u16_e32 v4, v4
	global_store_b16 v[2:3], v4, off
.LBB175_823:
	s_mov_b32 s28, 0
.LBB175_824:
	s_delay_alu instid0(SALU_CYCLE_1)
	s_and_not1_b32 vcc_lo, exec_lo, s28
	s_cbranch_vccnz .LBB175_840
; %bb.825:
	s_cmp_lt_i32 s27, 2
	s_mov_b32 s28, -1
	s_cbranch_scc1 .LBB175_835
; %bb.826:
	s_cmp_lt_i32 s27, 3
	s_cbranch_scc1 .LBB175_832
; %bb.827:
	s_cmp_gt_i32 s27, 3
	s_cbranch_scc0 .LBB175_829
; %bb.828:
	s_wait_xcnt 0x0
	v_and_b32_e32 v4, 0xff, v1
	v_mov_b32_e32 v5, 0
	s_mov_b32 s28, 0
	global_store_b64 v[2:3], v[4:5], off
.LBB175_829:
	s_and_not1_b32 vcc_lo, exec_lo, s28
	s_cbranch_vccnz .LBB175_831
; %bb.830:
	s_wait_xcnt 0x0
	v_and_b32_e32 v4, 0xff, v1
	global_store_b32 v[2:3], v4, off
.LBB175_831:
	s_mov_b32 s28, 0
.LBB175_832:
	s_delay_alu instid0(SALU_CYCLE_1)
	s_and_not1_b32 vcc_lo, exec_lo, s28
	s_cbranch_vccnz .LBB175_834
; %bb.833:
	s_wait_xcnt 0x0
	v_and_b32_e32 v4, 0xff, v1
	global_store_b16 v[2:3], v4, off
.LBB175_834:
	s_mov_b32 s28, 0
.LBB175_835:
	s_delay_alu instid0(SALU_CYCLE_1)
	s_and_not1_b32 vcc_lo, exec_lo, s28
	s_cbranch_vccnz .LBB175_840
; %bb.836:
	s_cmp_gt_i32 s27, 0
	s_mov_b32 s27, -1
	s_cbranch_scc0 .LBB175_838
; %bb.837:
	s_mov_b32 s27, 0
	global_store_b8 v[2:3], v1, off
.LBB175_838:
	s_and_not1_b32 vcc_lo, exec_lo, s27
	s_cbranch_vccnz .LBB175_840
; %bb.839:
	global_store_b8 v[2:3], v1, off
.LBB175_840:
	s_mov_b32 s29, -1
.LBB175_841:
	s_delay_alu instid0(SALU_CYCLE_1)
	s_and_not1_b32 vcc_lo, exec_lo, s29
	s_cbranch_vccnz .LBB175_843
; %bb.842:
	v_add_nc_u32_e32 v0, 0x80, v0
	s_mov_b32 s27, -1
	s_branch .LBB175_845
.LBB175_843:
	s_mov_b32 s27, 0
.LBB175_844:
                                        ; implicit-def: $vgpr0
.LBB175_845:
	s_and_not1_b32 s28, s46, exec_lo
	s_and_b32 s0, s0, exec_lo
	s_and_not1_b32 s29, s45, exec_lo
	s_and_b32 s26, s26, exec_lo
	s_or_b32 s30, s28, s0
	s_or_b32 s0, s29, s26
	s_or_not1_b32 s29, s27, exec_lo
.LBB175_846:
	s_wait_xcnt 0x0
	s_or_b32 exec_lo, exec_lo, s48
	s_mov_b32 s27, 0
	s_mov_b32 s26, 0
	;; [unrolled: 1-line block ×3, first 2 shown]
                                        ; implicit-def: $vgpr4_vgpr5
                                        ; implicit-def: $vgpr2
                                        ; implicit-def: $vgpr6
	s_and_saveexec_b32 s31, s29
	s_cbranch_execz .LBB175_944
; %bb.847:
	v_cmp_gt_i32_e32 vcc_lo, s39, v0
	s_mov_b32 s29, s0
                                        ; implicit-def: $vgpr4_vgpr5
                                        ; implicit-def: $vgpr2
                                        ; implicit-def: $vgpr6
	s_and_saveexec_b32 s39, vcc_lo
	s_cbranch_execz .LBB175_943
; %bb.848:
	s_and_not1_b32 vcc_lo, exec_lo, s35
	s_cbranch_vccnz .LBB175_854
; %bb.849:
	s_and_not1_b32 vcc_lo, exec_lo, s41
	s_cbranch_vccnz .LBB175_855
; %bb.850:
	s_add_co_i32 s40, s40, 1
	s_cmp_eq_u32 s33, 2
	s_cbranch_scc1 .LBB175_856
; %bb.851:
	v_dual_mov_b32 v2, 0 :: v_dual_mov_b32 v4, 0
	v_mov_b32_e32 v1, v0
	s_and_b32 s26, s40, 28
	s_mov_b64 s[28:29], s[2:3]
.LBB175_852:                            ; =>This Inner Loop Header: Depth=1
	s_clause 0x1
	s_load_b256 s[48:55], s[28:29], 0x4
	s_load_b128 s[64:67], s[28:29], 0x24
	s_load_b256 s[56:63], s[24:25], 0x0
	s_add_co_i32 s27, s27, 4
	s_wait_xcnt 0x0
	s_add_nc_u64 s[28:29], s[28:29], 48
	s_cmp_eq_u32 s26, s27
	s_add_nc_u64 s[24:25], s[24:25], 32
	s_wait_kmcnt 0x0
	v_mul_hi_u32 v3, s49, v1
	s_delay_alu instid0(VALU_DEP_1) | instskip(NEXT) | instid1(VALU_DEP_1)
	v_add_nc_u32_e32 v3, v1, v3
	v_lshrrev_b32_e32 v3, s50, v3
	s_delay_alu instid0(VALU_DEP_1) | instskip(NEXT) | instid1(VALU_DEP_1)
	v_mul_hi_u32 v5, s52, v3
	v_add_nc_u32_e32 v5, v3, v5
	s_delay_alu instid0(VALU_DEP_1) | instskip(SKIP_1) | instid1(VALU_DEP_1)
	v_lshrrev_b32_e32 v5, s53, v5
	s_wait_loadcnt 0x0
	v_mul_hi_u32 v6, s55, v5
	s_delay_alu instid0(VALU_DEP_1) | instskip(SKIP_1) | instid1(VALU_DEP_1)
	v_add_nc_u32_e32 v6, v5, v6
	v_mul_lo_u32 v7, v3, s48
	v_sub_nc_u32_e32 v1, v1, v7
	v_mul_lo_u32 v7, v5, s51
	s_delay_alu instid0(VALU_DEP_4) | instskip(NEXT) | instid1(VALU_DEP_3)
	v_lshrrev_b32_e32 v6, s64, v6
	v_mad_u32 v4, v1, s57, v4
	v_mad_u32 v1, v1, s56, v2
	s_delay_alu instid0(VALU_DEP_4) | instskip(NEXT) | instid1(VALU_DEP_4)
	v_sub_nc_u32_e32 v2, v3, v7
	v_mul_hi_u32 v8, s66, v6
	v_mul_lo_u32 v3, v6, s54
	s_delay_alu instid0(VALU_DEP_3) | instskip(SKIP_1) | instid1(VALU_DEP_3)
	v_mad_u32 v4, v2, s59, v4
	v_mad_u32 v2, v2, s58, v1
	v_dual_add_nc_u32 v7, v6, v8 :: v_dual_sub_nc_u32 v3, v5, v3
	s_delay_alu instid0(VALU_DEP_1) | instskip(NEXT) | instid1(VALU_DEP_2)
	v_lshrrev_b32_e32 v1, s67, v7
	v_mad_u32 v4, v3, s61, v4
	s_delay_alu instid0(VALU_DEP_4) | instskip(NEXT) | instid1(VALU_DEP_3)
	v_mad_u32 v2, v3, s60, v2
	v_mul_lo_u32 v5, v1, s65
	s_delay_alu instid0(VALU_DEP_1) | instskip(NEXT) | instid1(VALU_DEP_1)
	v_sub_nc_u32_e32 v3, v6, v5
	v_mad_u32 v4, v3, s63, v4
	s_delay_alu instid0(VALU_DEP_4)
	v_mad_u32 v2, v3, s62, v2
	s_cbranch_scc0 .LBB175_852
; %bb.853:
	s_delay_alu instid0(VALU_DEP_2)
	v_mov_b32_e32 v3, v4
	s_branch .LBB175_857
.LBB175_854:
	s_mov_b32 s24, -1
                                        ; implicit-def: $vgpr4
                                        ; implicit-def: $vgpr2
	s_branch .LBB175_862
.LBB175_855:
	v_dual_mov_b32 v4, 0 :: v_dual_mov_b32 v2, 0
	s_branch .LBB175_861
.LBB175_856:
	v_mov_b64_e32 v[2:3], 0
	v_mov_b32_e32 v1, v0
                                        ; implicit-def: $vgpr4
.LBB175_857:
	s_and_b32 s28, s40, 3
	s_mov_b32 s27, 0
	s_cmp_eq_u32 s28, 0
	s_cbranch_scc1 .LBB175_861
; %bb.858:
	s_lshl_b32 s24, s26, 3
	s_mov_b32 s25, s27
	s_mul_u64 s[26:27], s[26:27], 12
	s_add_nc_u64 s[24:25], s[2:3], s[24:25]
	s_add_nc_u64 s[26:27], s[2:3], s[26:27]
	;; [unrolled: 1-line block ×3, first 2 shown]
.LBB175_859:                            ; =>This Inner Loop Header: Depth=1
	s_load_b96 s[48:50], s[26:27], 0x4
	s_load_b64 s[40:41], s[24:25], 0x0
	s_add_co_i32 s28, s28, -1
	s_wait_xcnt 0x0
	s_add_nc_u64 s[26:27], s[26:27], 12
	s_cmp_lg_u32 s28, 0
	s_add_nc_u64 s[24:25], s[24:25], 8
	s_wait_kmcnt 0x0
	v_mul_hi_u32 v4, s49, v1
	s_delay_alu instid0(VALU_DEP_1) | instskip(NEXT) | instid1(VALU_DEP_1)
	v_add_nc_u32_e32 v4, v1, v4
	v_lshrrev_b32_e32 v4, s50, v4
	s_delay_alu instid0(VALU_DEP_1) | instskip(NEXT) | instid1(VALU_DEP_1)
	v_mul_lo_u32 v5, v4, s48
	v_sub_nc_u32_e32 v1, v1, v5
	s_delay_alu instid0(VALU_DEP_1)
	v_mad_u32 v3, v1, s41, v3
	v_mad_u32 v2, v1, s40, v2
	v_mov_b32_e32 v1, v4
	s_cbranch_scc1 .LBB175_859
; %bb.860:
	s_delay_alu instid0(VALU_DEP_3)
	v_mov_b32_e32 v4, v3
.LBB175_861:
	s_mov_b32 s24, 0
.LBB175_862:
	s_delay_alu instid0(SALU_CYCLE_1)
	s_and_not1_b32 vcc_lo, exec_lo, s24
	s_cbranch_vccnz .LBB175_865
; %bb.863:
	v_mov_b32_e32 v1, 0
	s_and_not1_b32 vcc_lo, exec_lo, s38
	s_delay_alu instid0(VALU_DEP_1) | instskip(NEXT) | instid1(VALU_DEP_1)
	v_mul_u64_e32 v[2:3], s[20:21], v[0:1]
	v_add_nc_u32_e32 v2, v0, v3
	s_wait_loadcnt 0x0
	s_delay_alu instid0(VALU_DEP_1) | instskip(NEXT) | instid1(VALU_DEP_1)
	v_lshrrev_b32_e32 v6, s10, v2
	v_mul_lo_u32 v2, v6, s8
	s_delay_alu instid0(VALU_DEP_1) | instskip(NEXT) | instid1(VALU_DEP_1)
	v_sub_nc_u32_e32 v0, v0, v2
	v_mul_lo_u32 v4, v0, s13
	v_mul_lo_u32 v2, v0, s12
	s_cbranch_vccnz .LBB175_865
; %bb.864:
	v_mov_b32_e32 v7, v1
	s_delay_alu instid0(VALU_DEP_1) | instskip(NEXT) | instid1(VALU_DEP_1)
	v_mul_u64_e32 v[0:1], s[22:23], v[6:7]
	v_add_nc_u32_e32 v0, v6, v1
	s_delay_alu instid0(VALU_DEP_1) | instskip(NEXT) | instid1(VALU_DEP_1)
	v_lshrrev_b32_e32 v0, s1, v0
	v_mul_lo_u32 v0, v0, s11
	s_delay_alu instid0(VALU_DEP_1) | instskip(NEXT) | instid1(VALU_DEP_1)
	v_sub_nc_u32_e32 v0, v6, v0
	v_mad_u32 v2, v0, s14, v2
	v_mad_u32 v4, v0, s15, v4
.LBB175_865:
	v_mov_b32_e32 v5, 0
	s_and_b32 s1, 0xffff, s37
	s_delay_alu instid0(SALU_CYCLE_1) | instskip(NEXT) | instid1(VALU_DEP_1)
	s_cmp_lt_i32 s1, 11
	v_add_nc_u64_e32 v[4:5], s[6:7], v[4:5]
	s_cbranch_scc1 .LBB175_872
; %bb.866:
	s_cmp_gt_i32 s1, 25
	s_mov_b32 s7, 0
	s_cbranch_scc0 .LBB175_873
; %bb.867:
	s_cmp_gt_i32 s1, 28
	s_cbranch_scc0 .LBB175_874
; %bb.868:
	s_cmp_gt_i32 s1, 43
	;; [unrolled: 3-line block ×3, first 2 shown]
	s_cbranch_scc0 .LBB175_878
; %bb.870:
	s_cmp_eq_u32 s1, 46
	s_mov_b32 s10, 0
	s_cbranch_scc0 .LBB175_881
; %bb.871:
	global_load_b32 v0, v[4:5], off
	s_mov_b32 s6, 0
	s_mov_b32 s8, -1
	s_wait_loadcnt 0x0
	v_lshlrev_b32_e32 v0, 16, v0
	s_delay_alu instid0(VALU_DEP_1) | instskip(NEXT) | instid1(VALU_DEP_1)
	v_trunc_f32_e32 v0, v0
	v_mul_f32_e64 v1, 0x2f800000, |v0|
	s_delay_alu instid0(VALU_DEP_1) | instskip(NEXT) | instid1(VALU_DEP_1)
	v_floor_f32_e32 v1, v1
	v_fma_f32 v1, 0xcf800000, v1, |v0|
	v_ashrrev_i32_e32 v0, 31, v0
	s_delay_alu instid0(VALU_DEP_2) | instskip(NEXT) | instid1(VALU_DEP_1)
	v_cvt_u32_f32_e32 v1, v1
	v_xor_b32_e32 v1, v1, v0
	s_delay_alu instid0(VALU_DEP_1)
	v_sub_nc_u32_e32 v6, v1, v0
	s_branch .LBB175_883
.LBB175_872:
	s_mov_b32 s1, -1
	s_mov_b32 s8, 0
	s_mov_b32 s7, 0
	;; [unrolled: 1-line block ×3, first 2 shown]
                                        ; implicit-def: $vgpr6
	s_branch .LBB175_942
.LBB175_873:
	s_mov_b32 s10, -1
	s_mov_b32 s8, 0
	s_mov_b32 s6, s0
                                        ; implicit-def: $vgpr6
	s_branch .LBB175_910
.LBB175_874:
	s_mov_b32 s10, -1
	s_mov_b32 s8, 0
	s_mov_b32 s6, s0
                                        ; implicit-def: $vgpr6
	s_branch .LBB175_893
.LBB175_875:
	s_mov_b32 s10, -1
	s_mov_b32 s8, 0
	s_mov_b32 s6, s0
                                        ; implicit-def: $vgpr6
	s_branch .LBB175_888
.LBB175_876:
	s_and_not1_saveexec_b32 s31, s31
	s_cbranch_execz .LBB175_754
.LBB175_877:
	v_add_f32_e32 v4, 0x46000000, v5
	s_and_not1_b32 s30, s30, exec_lo
	s_delay_alu instid0(VALU_DEP_1) | instskip(NEXT) | instid1(VALU_DEP_1)
	v_and_b32_e32 v4, 0xff, v4
	v_cmp_ne_u32_e32 vcc_lo, 0, v4
	s_and_b32 s49, vcc_lo, exec_lo
	s_delay_alu instid0(SALU_CYCLE_1)
	s_or_b32 s30, s30, s49
	s_or_b32 exec_lo, exec_lo, s31
	v_mov_b32_e32 v6, 0
	s_and_saveexec_b32 s31, s30
	s_cbranch_execnz .LBB175_755
	s_branch .LBB175_756
.LBB175_878:
	s_mov_b32 s10, -1
	s_mov_b32 s8, 0
	s_mov_b32 s6, s0
	s_branch .LBB175_882
.LBB175_879:
	s_and_not1_saveexec_b32 s31, s31
	s_cbranch_execz .LBB175_767
.LBB175_880:
	v_add_f32_e32 v4, 0x42800000, v5
	s_and_not1_b32 s30, s30, exec_lo
	s_delay_alu instid0(VALU_DEP_1) | instskip(NEXT) | instid1(VALU_DEP_1)
	v_and_b32_e32 v4, 0xff, v4
	v_cmp_ne_u32_e32 vcc_lo, 0, v4
	s_and_b32 s49, vcc_lo, exec_lo
	s_delay_alu instid0(SALU_CYCLE_1)
	s_or_b32 s30, s30, s49
	s_or_b32 exec_lo, exec_lo, s31
	v_mov_b32_e32 v6, 0
	s_and_saveexec_b32 s31, s30
	s_cbranch_execnz .LBB175_768
	s_branch .LBB175_769
.LBB175_881:
	s_mov_b32 s6, -1
	s_mov_b32 s8, 0
.LBB175_882:
                                        ; implicit-def: $vgpr6
.LBB175_883:
	s_and_b32 vcc_lo, exec_lo, s10
	s_cbranch_vccz .LBB175_887
; %bb.884:
	s_cmp_eq_u32 s1, 44
	s_cbranch_scc0 .LBB175_886
; %bb.885:
	global_load_u8 v0, v[4:5], off
	s_mov_b32 s6, 0
	s_mov_b32 s8, -1
	s_wait_loadcnt 0x0
	v_lshlrev_b32_e32 v1, 23, v0
	v_cmp_ne_u32_e32 vcc_lo, 0, v0
	s_delay_alu instid0(VALU_DEP_2) | instskip(NEXT) | instid1(VALU_DEP_1)
	v_trunc_f32_e32 v1, v1
	v_mul_f32_e64 v3, 0x2f800000, |v1|
	s_delay_alu instid0(VALU_DEP_1) | instskip(NEXT) | instid1(VALU_DEP_1)
	v_floor_f32_e32 v3, v3
	v_fma_f32 v3, 0xcf800000, v3, |v1|
	v_ashrrev_i32_e32 v1, 31, v1
	s_delay_alu instid0(VALU_DEP_2) | instskip(NEXT) | instid1(VALU_DEP_1)
	v_cvt_u32_f32_e32 v3, v3
	v_xor_b32_e32 v3, v3, v1
	s_delay_alu instid0(VALU_DEP_1) | instskip(NEXT) | instid1(VALU_DEP_1)
	v_sub_nc_u32_e32 v1, v3, v1
	v_cndmask_b32_e32 v6, 0, v1, vcc_lo
	s_branch .LBB175_887
.LBB175_886:
	s_mov_b32 s6, -1
                                        ; implicit-def: $vgpr6
.LBB175_887:
	s_mov_b32 s10, 0
.LBB175_888:
	s_delay_alu instid0(SALU_CYCLE_1)
	s_and_b32 vcc_lo, exec_lo, s10
	s_cbranch_vccz .LBB175_892
; %bb.889:
	s_cmp_eq_u32 s1, 29
	s_cbranch_scc0 .LBB175_891
; %bb.890:
	s_wait_loadcnt 0x0
	global_load_b64 v[6:7], v[4:5], off
	s_mov_b32 s6, 0
	s_mov_b32 s8, -1
	s_branch .LBB175_892
.LBB175_891:
	s_mov_b32 s6, -1
                                        ; implicit-def: $vgpr6
.LBB175_892:
	s_mov_b32 s10, 0
.LBB175_893:
	s_delay_alu instid0(SALU_CYCLE_1)
	s_and_b32 vcc_lo, exec_lo, s10
	s_cbranch_vccz .LBB175_909
; %bb.894:
	s_cmp_lt_i32 s1, 27
	s_cbranch_scc1 .LBB175_897
; %bb.895:
	s_cmp_gt_i32 s1, 27
	s_cbranch_scc0 .LBB175_898
; %bb.896:
	s_wait_loadcnt 0x0
	global_load_b32 v6, v[4:5], off
	s_mov_b32 s8, 0
	s_branch .LBB175_899
.LBB175_897:
	s_mov_b32 s8, -1
                                        ; implicit-def: $vgpr6
	s_branch .LBB175_902
.LBB175_898:
	s_mov_b32 s8, -1
                                        ; implicit-def: $vgpr6
.LBB175_899:
	s_delay_alu instid0(SALU_CYCLE_1)
	s_and_not1_b32 vcc_lo, exec_lo, s8
	s_cbranch_vccnz .LBB175_901
; %bb.900:
	s_wait_loadcnt 0x0
	global_load_u16 v6, v[4:5], off
.LBB175_901:
	s_mov_b32 s8, 0
.LBB175_902:
	s_delay_alu instid0(SALU_CYCLE_1)
	s_and_not1_b32 vcc_lo, exec_lo, s8
	s_cbranch_vccnz .LBB175_908
; %bb.903:
	global_load_u8 v0, v[4:5], off
	s_mov_b32 s10, 0
	s_mov_b32 s8, exec_lo
	s_wait_loadcnt 0x0
	v_cmpx_lt_i16_e32 0x7f, v0
	s_xor_b32 s8, exec_lo, s8
	s_cbranch_execz .LBB175_920
; %bb.904:
	v_cmp_ne_u16_e32 vcc_lo, 0x80, v0
	s_and_b32 s10, vcc_lo, exec_lo
	s_and_not1_saveexec_b32 s8, s8
	s_cbranch_execnz .LBB175_921
.LBB175_905:
	s_or_b32 exec_lo, exec_lo, s8
	v_mov_b32_e32 v6, 0
	s_and_saveexec_b32 s8, s10
	s_cbranch_execz .LBB175_907
.LBB175_906:
	v_and_b32_e32 v1, 0xffff, v0
	s_delay_alu instid0(VALU_DEP_1) | instskip(SKIP_1) | instid1(VALU_DEP_2)
	v_and_b32_e32 v3, 7, v1
	v_bfe_u32 v8, v1, 3, 4
	v_clz_i32_u32_e32 v6, v3
	s_delay_alu instid0(VALU_DEP_2) | instskip(NEXT) | instid1(VALU_DEP_2)
	v_cmp_eq_u32_e32 vcc_lo, 0, v8
	v_min_u32_e32 v6, 32, v6
	s_delay_alu instid0(VALU_DEP_1) | instskip(NEXT) | instid1(VALU_DEP_1)
	v_subrev_nc_u32_e32 v7, 28, v6
	v_dual_lshlrev_b32 v1, v7, v1 :: v_dual_sub_nc_u32 v6, 29, v6
	s_delay_alu instid0(VALU_DEP_1) | instskip(NEXT) | instid1(VALU_DEP_1)
	v_dual_lshlrev_b32 v0, 24, v0 :: v_dual_bitop2_b32 v1, 7, v1 bitop3:0x40
	v_dual_cndmask_b32 v6, v8, v6 :: v_dual_cndmask_b32 v1, v3, v1
	s_delay_alu instid0(VALU_DEP_2) | instskip(NEXT) | instid1(VALU_DEP_2)
	v_and_b32_e32 v0, 0x80000000, v0
	v_lshl_add_u32 v3, v6, 23, 0x3b800000
	s_delay_alu instid0(VALU_DEP_3) | instskip(NEXT) | instid1(VALU_DEP_1)
	v_lshlrev_b32_e32 v1, 20, v1
	v_or3_b32 v0, v0, v3, v1
	s_delay_alu instid0(VALU_DEP_1) | instskip(NEXT) | instid1(VALU_DEP_1)
	v_trunc_f32_e32 v0, v0
	v_mul_f32_e64 v1, 0x2f800000, |v0|
	s_delay_alu instid0(VALU_DEP_1) | instskip(NEXT) | instid1(VALU_DEP_1)
	v_floor_f32_e32 v1, v1
	v_fma_f32 v1, 0xcf800000, v1, |v0|
	v_ashrrev_i32_e32 v0, 31, v0
	s_delay_alu instid0(VALU_DEP_2) | instskip(NEXT) | instid1(VALU_DEP_1)
	v_cvt_u32_f32_e32 v1, v1
	v_xor_b32_e32 v1, v1, v0
	s_delay_alu instid0(VALU_DEP_1)
	v_sub_nc_u32_e32 v6, v1, v0
.LBB175_907:
	s_or_b32 exec_lo, exec_lo, s8
.LBB175_908:
	s_mov_b32 s8, -1
.LBB175_909:
	s_mov_b32 s10, 0
.LBB175_910:
	s_delay_alu instid0(SALU_CYCLE_1)
	s_and_b32 vcc_lo, exec_lo, s10
	s_cbranch_vccz .LBB175_941
; %bb.911:
	s_cmp_gt_i32 s1, 22
	s_cbranch_scc0 .LBB175_919
; %bb.912:
	s_cmp_lt_i32 s1, 24
	s_cbranch_scc1 .LBB175_922
; %bb.913:
	s_cmp_gt_i32 s1, 24
	s_cbranch_scc0 .LBB175_923
; %bb.914:
	global_load_u8 v0, v[4:5], off
	s_mov_b32 s8, 0
	s_mov_b32 s7, exec_lo
	s_wait_loadcnt 0x0
	v_cmpx_lt_i16_e32 0x7f, v0
	s_xor_b32 s7, exec_lo, s7
	s_cbranch_execz .LBB175_935
; %bb.915:
	v_cmp_ne_u16_e32 vcc_lo, 0x80, v0
	s_and_b32 s8, vcc_lo, exec_lo
	s_and_not1_saveexec_b32 s7, s7
	s_cbranch_execnz .LBB175_936
.LBB175_916:
	s_or_b32 exec_lo, exec_lo, s7
	v_mov_b32_e32 v6, 0
	s_and_saveexec_b32 s7, s8
	s_cbranch_execz .LBB175_918
.LBB175_917:
	v_and_b32_e32 v1, 0xffff, v0
	s_delay_alu instid0(VALU_DEP_1) | instskip(SKIP_1) | instid1(VALU_DEP_2)
	v_and_b32_e32 v3, 3, v1
	v_bfe_u32 v8, v1, 2, 5
	v_clz_i32_u32_e32 v6, v3
	s_delay_alu instid0(VALU_DEP_2) | instskip(NEXT) | instid1(VALU_DEP_2)
	v_cmp_eq_u32_e32 vcc_lo, 0, v8
	v_min_u32_e32 v6, 32, v6
	s_delay_alu instid0(VALU_DEP_1) | instskip(NEXT) | instid1(VALU_DEP_1)
	v_subrev_nc_u32_e32 v7, 29, v6
	v_dual_lshlrev_b32 v1, v7, v1 :: v_dual_sub_nc_u32 v6, 30, v6
	s_delay_alu instid0(VALU_DEP_1) | instskip(NEXT) | instid1(VALU_DEP_1)
	v_dual_lshlrev_b32 v0, 24, v0 :: v_dual_bitop2_b32 v1, 3, v1 bitop3:0x40
	v_dual_cndmask_b32 v6, v8, v6 :: v_dual_cndmask_b32 v1, v3, v1
	s_delay_alu instid0(VALU_DEP_2) | instskip(NEXT) | instid1(VALU_DEP_2)
	v_and_b32_e32 v0, 0x80000000, v0
	v_lshl_add_u32 v3, v6, 23, 0x37800000
	s_delay_alu instid0(VALU_DEP_3) | instskip(NEXT) | instid1(VALU_DEP_1)
	v_lshlrev_b32_e32 v1, 21, v1
	v_or3_b32 v0, v0, v3, v1
	s_delay_alu instid0(VALU_DEP_1) | instskip(NEXT) | instid1(VALU_DEP_1)
	v_trunc_f32_e32 v0, v0
	v_mul_f32_e64 v1, 0x2f800000, |v0|
	s_delay_alu instid0(VALU_DEP_1) | instskip(NEXT) | instid1(VALU_DEP_1)
	v_floor_f32_e32 v1, v1
	v_fma_f32 v1, 0xcf800000, v1, |v0|
	v_ashrrev_i32_e32 v0, 31, v0
	s_delay_alu instid0(VALU_DEP_2) | instskip(NEXT) | instid1(VALU_DEP_1)
	v_cvt_u32_f32_e32 v1, v1
	v_xor_b32_e32 v1, v1, v0
	s_delay_alu instid0(VALU_DEP_1)
	v_sub_nc_u32_e32 v6, v1, v0
.LBB175_918:
	s_or_b32 exec_lo, exec_lo, s7
	s_mov_b32 s7, 0
	s_branch .LBB175_924
.LBB175_919:
	s_mov_b32 s7, -1
                                        ; implicit-def: $vgpr6
	s_branch .LBB175_930
.LBB175_920:
	s_and_not1_saveexec_b32 s8, s8
	s_cbranch_execz .LBB175_905
.LBB175_921:
	v_cmp_ne_u16_e32 vcc_lo, 0, v0
	s_and_not1_b32 s10, s10, exec_lo
	s_and_b32 s11, vcc_lo, exec_lo
	s_delay_alu instid0(SALU_CYCLE_1)
	s_or_b32 s10, s10, s11
	s_or_b32 exec_lo, exec_lo, s8
	v_mov_b32_e32 v6, 0
	s_and_saveexec_b32 s8, s10
	s_cbranch_execnz .LBB175_906
	s_branch .LBB175_907
.LBB175_922:
	s_mov_b32 s7, -1
                                        ; implicit-def: $vgpr6
	s_branch .LBB175_927
.LBB175_923:
	s_mov_b32 s7, -1
                                        ; implicit-def: $vgpr6
.LBB175_924:
	s_delay_alu instid0(SALU_CYCLE_1)
	s_and_b32 vcc_lo, exec_lo, s7
	s_cbranch_vccz .LBB175_926
; %bb.925:
	global_load_u8 v0, v[4:5], off
	s_wait_loadcnt 0x0
	v_lshlrev_b32_e32 v0, 24, v0
	s_delay_alu instid0(VALU_DEP_1) | instskip(NEXT) | instid1(VALU_DEP_1)
	v_and_b32_e32 v1, 0x7f000000, v0
	v_clz_i32_u32_e32 v3, v1
	v_add_nc_u32_e32 v7, 0x1000000, v1
	v_cmp_ne_u32_e32 vcc_lo, 0, v1
	s_delay_alu instid0(VALU_DEP_3) | instskip(NEXT) | instid1(VALU_DEP_1)
	v_min_u32_e32 v3, 32, v3
	v_sub_nc_u32_e64 v3, v3, 4 clamp
	s_delay_alu instid0(VALU_DEP_1) | instskip(NEXT) | instid1(VALU_DEP_1)
	v_dual_lshlrev_b32 v6, v3, v1 :: v_dual_lshlrev_b32 v3, 23, v3
	v_lshrrev_b32_e32 v6, 4, v6
	s_delay_alu instid0(VALU_DEP_1) | instskip(SKIP_1) | instid1(VALU_DEP_2)
	v_sub_nc_u32_e32 v3, v6, v3
	v_ashrrev_i32_e32 v6, 8, v7
	v_add_nc_u32_e32 v3, 0x3c000000, v3
	s_delay_alu instid0(VALU_DEP_1) | instskip(NEXT) | instid1(VALU_DEP_1)
	v_and_or_b32 v3, 0x7f800000, v6, v3
	v_cndmask_b32_e32 v1, 0, v3, vcc_lo
	s_delay_alu instid0(VALU_DEP_1) | instskip(NEXT) | instid1(VALU_DEP_1)
	v_and_or_b32 v0, 0x80000000, v0, v1
	v_trunc_f32_e32 v0, v0
	s_delay_alu instid0(VALU_DEP_1) | instskip(NEXT) | instid1(VALU_DEP_1)
	v_mul_f32_e64 v1, 0x2f800000, |v0|
	v_floor_f32_e32 v1, v1
	s_delay_alu instid0(VALU_DEP_1) | instskip(SKIP_1) | instid1(VALU_DEP_2)
	v_fma_f32 v1, 0xcf800000, v1, |v0|
	v_ashrrev_i32_e32 v0, 31, v0
	v_cvt_u32_f32_e32 v1, v1
	s_delay_alu instid0(VALU_DEP_1) | instskip(NEXT) | instid1(VALU_DEP_1)
	v_xor_b32_e32 v1, v1, v0
	v_sub_nc_u32_e32 v6, v1, v0
.LBB175_926:
	s_mov_b32 s7, 0
.LBB175_927:
	s_delay_alu instid0(SALU_CYCLE_1)
	s_and_not1_b32 vcc_lo, exec_lo, s7
	s_cbranch_vccnz .LBB175_929
; %bb.928:
	global_load_u8 v0, v[4:5], off
	s_wait_loadcnt 0x0
	v_lshlrev_b32_e32 v1, 25, v0
	v_lshlrev_b16 v0, 8, v0
	s_delay_alu instid0(VALU_DEP_1) | instskip(SKIP_1) | instid1(VALU_DEP_2)
	v_and_or_b32 v6, 0x7f00, v0, 0.5
	v_bfe_i32 v0, v0, 0, 16
	v_dual_add_f32 v6, -0.5, v6 :: v_dual_lshrrev_b32 v3, 4, v1
	v_cmp_gt_u32_e32 vcc_lo, 0x8000000, v1
	s_delay_alu instid0(VALU_DEP_2) | instskip(NEXT) | instid1(VALU_DEP_1)
	v_or_b32_e32 v3, 0x70000000, v3
	v_mul_f32_e32 v3, 0x7800000, v3
	s_delay_alu instid0(VALU_DEP_1) | instskip(NEXT) | instid1(VALU_DEP_1)
	v_cndmask_b32_e32 v1, v3, v6, vcc_lo
	v_and_or_b32 v0, 0x80000000, v0, v1
	s_delay_alu instid0(VALU_DEP_1) | instskip(NEXT) | instid1(VALU_DEP_1)
	v_trunc_f32_e32 v0, v0
	v_mul_f32_e64 v1, 0x2f800000, |v0|
	s_delay_alu instid0(VALU_DEP_1) | instskip(NEXT) | instid1(VALU_DEP_1)
	v_floor_f32_e32 v1, v1
	v_fma_f32 v1, 0xcf800000, v1, |v0|
	v_ashrrev_i32_e32 v0, 31, v0
	s_delay_alu instid0(VALU_DEP_2) | instskip(NEXT) | instid1(VALU_DEP_1)
	v_cvt_u32_f32_e32 v1, v1
	v_xor_b32_e32 v1, v1, v0
	s_delay_alu instid0(VALU_DEP_1)
	v_sub_nc_u32_e32 v6, v1, v0
.LBB175_929:
	s_mov_b32 s7, 0
	s_mov_b32 s8, -1
.LBB175_930:
	s_and_not1_b32 vcc_lo, exec_lo, s7
	s_mov_b32 s7, 0
	s_cbranch_vccnz .LBB175_941
; %bb.931:
	s_cmp_gt_i32 s1, 14
	s_cbranch_scc0 .LBB175_934
; %bb.932:
	s_cmp_eq_u32 s1, 15
	s_cbranch_scc0 .LBB175_937
; %bb.933:
	global_load_u16 v0, v[4:5], off
	s_mov_b32 s6, 0
	s_mov_b32 s8, -1
	s_wait_loadcnt 0x0
	v_lshlrev_b32_e32 v0, 16, v0
	s_delay_alu instid0(VALU_DEP_1) | instskip(NEXT) | instid1(VALU_DEP_1)
	v_trunc_f32_e32 v0, v0
	v_mul_f32_e64 v1, 0x2f800000, |v0|
	s_delay_alu instid0(VALU_DEP_1) | instskip(NEXT) | instid1(VALU_DEP_1)
	v_floor_f32_e32 v1, v1
	v_fma_f32 v1, 0xcf800000, v1, |v0|
	v_ashrrev_i32_e32 v0, 31, v0
	s_delay_alu instid0(VALU_DEP_2) | instskip(NEXT) | instid1(VALU_DEP_1)
	v_cvt_u32_f32_e32 v1, v1
	v_xor_b32_e32 v1, v1, v0
	s_delay_alu instid0(VALU_DEP_1)
	v_sub_nc_u32_e32 v6, v1, v0
	s_branch .LBB175_939
.LBB175_934:
	s_mov_b32 s7, -1
	s_branch .LBB175_938
.LBB175_935:
	s_and_not1_saveexec_b32 s7, s7
	s_cbranch_execz .LBB175_916
.LBB175_936:
	v_cmp_ne_u16_e32 vcc_lo, 0, v0
	s_and_not1_b32 s8, s8, exec_lo
	s_and_b32 s10, vcc_lo, exec_lo
	s_delay_alu instid0(SALU_CYCLE_1)
	s_or_b32 s8, s8, s10
	s_or_b32 exec_lo, exec_lo, s7
	v_mov_b32_e32 v6, 0
	s_and_saveexec_b32 s7, s8
	s_cbranch_execnz .LBB175_917
	s_branch .LBB175_918
.LBB175_937:
	s_mov_b32 s6, -1
.LBB175_938:
                                        ; implicit-def: $vgpr6
.LBB175_939:
	s_and_b32 vcc_lo, exec_lo, s7
	s_mov_b32 s7, 0
	s_cbranch_vccz .LBB175_941
; %bb.940:
	s_cmp_lg_u32 s1, 11
	s_mov_b32 s7, -1
	s_cselect_b32 s1, -1, 0
	s_and_not1_b32 s6, s6, exec_lo
	s_and_b32 s1, s1, exec_lo
	s_delay_alu instid0(SALU_CYCLE_1)
	s_or_b32 s6, s6, s1
.LBB175_941:
	s_mov_b32 s1, 0
.LBB175_942:
	s_delay_alu instid0(SALU_CYCLE_1)
	s_and_b32 s26, s1, exec_lo
	s_and_not1_b32 s1, s0, exec_lo
	s_and_b32 s6, s6, exec_lo
	s_and_b32 s28, s8, exec_lo
	;; [unrolled: 1-line block ×3, first 2 shown]
	s_or_b32 s29, s1, s6
.LBB175_943:
	s_wait_xcnt 0x0
	s_or_b32 exec_lo, exec_lo, s39
	s_delay_alu instid0(SALU_CYCLE_1)
	s_and_not1_b32 s0, s0, exec_lo
	s_and_b32 s1, s29, exec_lo
	s_and_b32 s28, s28, exec_lo
	;; [unrolled: 1-line block ×4, first 2 shown]
	s_or_b32 s0, s0, s1
.LBB175_944:
	s_or_b32 exec_lo, exec_lo, s31
	s_delay_alu instid0(SALU_CYCLE_1)
	s_and_not1_b32 s1, s46, exec_lo
	s_and_b32 s6, s30, exec_lo
	s_and_b32 s0, s0, exec_lo
	s_or_b32 s46, s1, s6
	s_and_not1_b32 s1, s45, exec_lo
	s_and_b32 s28, s28, exec_lo
	s_and_b32 s26, s26, exec_lo
	;; [unrolled: 1-line block ×3, first 2 shown]
	s_or_b32 s45, s1, s0
.LBB175_945:
	s_or_b32 exec_lo, exec_lo, s47
	s_delay_alu instid0(SALU_CYCLE_1)
	s_and_not1_b32 s0, s42, exec_lo
	s_and_b32 s1, s46, exec_lo
	s_and_b32 s6, s45, exec_lo
	s_or_b32 s42, s0, s1
	s_and_not1_b32 s1, s43, exec_lo
	s_and_b32 s0, s28, exec_lo
	s_and_b32 s26, s26, exec_lo
	;; [unrolled: 1-line block ×3, first 2 shown]
	s_or_b32 s43, s1, s6
	s_or_b32 exec_lo, exec_lo, s44
	s_mov_b32 s1, 0
	s_and_saveexec_b32 s6, s43
	s_cbranch_execz .LBB175_283
.LBB175_946:
	s_mov_b32 s1, exec_lo
	s_and_not1_b32 s21, s21, exec_lo
	s_trap 2
	s_or_b32 exec_lo, exec_lo, s6
	s_and_saveexec_b32 s6, s21
	s_delay_alu instid0(SALU_CYCLE_1)
	s_xor_b32 s6, exec_lo, s6
	s_cbranch_execnz .LBB175_284
.LBB175_947:
	s_or_b32 exec_lo, exec_lo, s6
	s_and_saveexec_b32 s6, s26
	s_cbranch_execz .LBB175_993
.LBB175_948:
	s_sext_i32_i16 s7, s37
	s_delay_alu instid0(SALU_CYCLE_1)
	s_cmp_lt_i32 s7, 5
	s_cbranch_scc1 .LBB175_953
; %bb.949:
	s_cmp_lt_i32 s7, 8
	s_cbranch_scc1 .LBB175_954
; %bb.950:
	;; [unrolled: 3-line block ×3, first 2 shown]
	s_cmp_gt_i32 s7, 9
	s_cbranch_scc0 .LBB175_956
; %bb.952:
	global_load_b64 v[0:1], v[4:5], off
	s_mov_b32 s7, 0
	s_wait_loadcnt 0x0
	v_trunc_f64_e32 v[0:1], v[0:1]
	s_delay_alu instid0(VALU_DEP_1) | instskip(NEXT) | instid1(VALU_DEP_1)
	v_ldexp_f64 v[6:7], v[0:1], 0xffffffe0
	v_floor_f64_e32 v[6:7], v[6:7]
	s_delay_alu instid0(VALU_DEP_1) | instskip(NEXT) | instid1(VALU_DEP_1)
	v_fmamk_f64 v[0:1], v[6:7], 0xc1f00000, v[0:1]
	v_cvt_u32_f64_e32 v6, v[0:1]
	s_branch .LBB175_957
.LBB175_953:
                                        ; implicit-def: $vgpr6
	s_branch .LBB175_974
.LBB175_954:
                                        ; implicit-def: $vgpr6
	s_branch .LBB175_963
.LBB175_955:
	s_mov_b32 s7, -1
                                        ; implicit-def: $vgpr6
	s_branch .LBB175_960
.LBB175_956:
	s_mov_b32 s7, -1
                                        ; implicit-def: $vgpr6
.LBB175_957:
	s_delay_alu instid0(SALU_CYCLE_1)
	s_and_not1_b32 vcc_lo, exec_lo, s7
	s_cbranch_vccnz .LBB175_959
; %bb.958:
	global_load_b32 v0, v[4:5], off
	s_wait_loadcnt 0x0
	v_trunc_f32_e32 v0, v0
	s_delay_alu instid0(VALU_DEP_1) | instskip(NEXT) | instid1(VALU_DEP_1)
	v_mul_f32_e64 v1, 0x2f800000, |v0|
	v_floor_f32_e32 v1, v1
	s_delay_alu instid0(VALU_DEP_1) | instskip(SKIP_1) | instid1(VALU_DEP_2)
	v_fma_f32 v1, 0xcf800000, v1, |v0|
	v_ashrrev_i32_e32 v0, 31, v0
	v_cvt_u32_f32_e32 v1, v1
	s_delay_alu instid0(VALU_DEP_1) | instskip(NEXT) | instid1(VALU_DEP_1)
	v_xor_b32_e32 v1, v1, v0
	v_sub_nc_u32_e32 v6, v1, v0
.LBB175_959:
	s_mov_b32 s7, 0
.LBB175_960:
	s_delay_alu instid0(SALU_CYCLE_1)
	s_and_not1_b32 vcc_lo, exec_lo, s7
	s_cbranch_vccnz .LBB175_962
; %bb.961:
	global_load_b32 v0, v[4:5], off
	s_wait_loadcnt 0x0
	v_cvt_f32_f16_e32 v0, v0
	s_delay_alu instid0(VALU_DEP_1)
	v_cvt_i32_f32_e32 v6, v0
.LBB175_962:
	s_cbranch_execnz .LBB175_973
.LBB175_963:
	s_sext_i32_i16 s7, s37
	s_delay_alu instid0(SALU_CYCLE_1)
	s_cmp_lt_i32 s7, 6
	s_cbranch_scc1 .LBB175_966
; %bb.964:
	s_cmp_gt_i32 s7, 6
	s_cbranch_scc0 .LBB175_967
; %bb.965:
	global_load_b64 v[0:1], v[4:5], off
	s_mov_b32 s7, 0
	s_wait_loadcnt 0x0
	v_trunc_f64_e32 v[0:1], v[0:1]
	s_delay_alu instid0(VALU_DEP_1) | instskip(NEXT) | instid1(VALU_DEP_1)
	v_ldexp_f64 v[6:7], v[0:1], 0xffffffe0
	v_floor_f64_e32 v[6:7], v[6:7]
	s_delay_alu instid0(VALU_DEP_1) | instskip(NEXT) | instid1(VALU_DEP_1)
	v_fmamk_f64 v[0:1], v[6:7], 0xc1f00000, v[0:1]
	v_cvt_u32_f64_e32 v6, v[0:1]
	s_branch .LBB175_968
.LBB175_966:
	s_mov_b32 s7, -1
                                        ; implicit-def: $vgpr6
	s_branch .LBB175_971
.LBB175_967:
	s_mov_b32 s7, -1
                                        ; implicit-def: $vgpr6
.LBB175_968:
	s_delay_alu instid0(SALU_CYCLE_1)
	s_and_not1_b32 vcc_lo, exec_lo, s7
	s_cbranch_vccnz .LBB175_970
; %bb.969:
	global_load_b32 v0, v[4:5], off
	s_wait_loadcnt 0x0
	v_trunc_f32_e32 v0, v0
	s_delay_alu instid0(VALU_DEP_1) | instskip(NEXT) | instid1(VALU_DEP_1)
	v_mul_f32_e64 v1, 0x2f800000, |v0|
	v_floor_f32_e32 v1, v1
	s_delay_alu instid0(VALU_DEP_1) | instskip(SKIP_1) | instid1(VALU_DEP_2)
	v_fma_f32 v1, 0xcf800000, v1, |v0|
	v_ashrrev_i32_e32 v0, 31, v0
	v_cvt_u32_f32_e32 v1, v1
	s_delay_alu instid0(VALU_DEP_1) | instskip(NEXT) | instid1(VALU_DEP_1)
	v_xor_b32_e32 v1, v1, v0
	v_sub_nc_u32_e32 v6, v1, v0
.LBB175_970:
	s_mov_b32 s7, 0
.LBB175_971:
	s_delay_alu instid0(SALU_CYCLE_1)
	s_and_not1_b32 vcc_lo, exec_lo, s7
	s_cbranch_vccnz .LBB175_973
; %bb.972:
	global_load_u16 v0, v[4:5], off
	s_wait_loadcnt 0x0
	v_cvt_f32_f16_e32 v0, v0
	s_delay_alu instid0(VALU_DEP_1)
	v_cvt_i32_f32_e32 v6, v0
.LBB175_973:
	s_cbranch_execnz .LBB175_992
.LBB175_974:
	s_sext_i32_i16 s7, s37
	s_delay_alu instid0(SALU_CYCLE_1)
	s_cmp_lt_i32 s7, 2
	s_cbranch_scc1 .LBB175_978
; %bb.975:
	s_cmp_lt_i32 s7, 3
	s_cbranch_scc1 .LBB175_979
; %bb.976:
	s_cmp_gt_i32 s7, 3
	s_cbranch_scc0 .LBB175_980
; %bb.977:
	s_wait_loadcnt 0x0
	global_load_b64 v[6:7], v[4:5], off
	s_mov_b32 s7, 0
	s_branch .LBB175_981
.LBB175_978:
                                        ; implicit-def: $vgpr6
	s_branch .LBB175_987
.LBB175_979:
	s_mov_b32 s7, -1
                                        ; implicit-def: $vgpr6
	s_branch .LBB175_984
.LBB175_980:
	s_mov_b32 s7, -1
                                        ; implicit-def: $vgpr6
.LBB175_981:
	s_delay_alu instid0(SALU_CYCLE_1)
	s_and_not1_b32 vcc_lo, exec_lo, s7
	s_cbranch_vccnz .LBB175_983
; %bb.982:
	s_wait_loadcnt 0x0
	global_load_b32 v6, v[4:5], off
.LBB175_983:
	s_mov_b32 s7, 0
.LBB175_984:
	s_delay_alu instid0(SALU_CYCLE_1)
	s_and_not1_b32 vcc_lo, exec_lo, s7
	s_cbranch_vccnz .LBB175_986
; %bb.985:
	s_wait_loadcnt 0x0
	global_load_u16 v6, v[4:5], off
.LBB175_986:
	s_cbranch_execnz .LBB175_992
.LBB175_987:
	s_sext_i32_i16 s7, s37
	s_delay_alu instid0(SALU_CYCLE_1)
	s_cmp_gt_i32 s7, 0
	s_mov_b32 s7, 0
	s_cbranch_scc0 .LBB175_989
; %bb.988:
	s_wait_loadcnt 0x0
	global_load_u8 v6, v[4:5], off
	s_branch .LBB175_990
.LBB175_989:
	s_mov_b32 s7, -1
                                        ; implicit-def: $vgpr6
.LBB175_990:
	s_delay_alu instid0(SALU_CYCLE_1)
	s_and_not1_b32 vcc_lo, exec_lo, s7
	s_cbranch_vccnz .LBB175_992
; %bb.991:
	s_wait_loadcnt 0x0
	global_load_u8 v6, v[4:5], off
.LBB175_992:
	s_or_b32 s0, s0, exec_lo
.LBB175_993:
	s_wait_xcnt 0x0
	s_or_b32 exec_lo, exec_lo, s6
	s_mov_b32 s10, 0
	s_mov_b32 s8, 0
                                        ; implicit-def: $sgpr6
                                        ; implicit-def: $vgpr0_vgpr1
                                        ; implicit-def: $vgpr4
	s_and_saveexec_b32 s7, s0
	s_cbranch_execz .LBB175_997
; %bb.994:
	s_cmp_lt_i32 s16, 1
	s_mov_b32 s0, 0
	s_cbranch_scc1 .LBB175_1000
; %bb.995:
	s_cmp_eq_u32 s16, 1
	s_cbranch_scc0 .LBB175_1014
; %bb.996:
	s_wait_loadcnt 0x0
	s_delay_alu instid0(VALU_DEP_1)
	v_and_b32_e32 v0, 0xff, v6
	s_and_b32 s6, s17, 0xff
	s_delay_alu instid0(VALU_DEP_1) | instid1(SALU_CYCLE_1)
	v_min_u16 v4, v0, s6
	s_mov_b32 s6, 0
	s_and_b32 vcc_lo, exec_lo, s8
	s_cbranch_vccnz .LBB175_1001
	s_branch .LBB175_1002
.LBB175_997:
	s_or_b32 exec_lo, exec_lo, s7
	s_and_saveexec_b32 s0, s42
	s_cbranch_execnz .LBB175_1084
.LBB175_998:
	s_or_b32 exec_lo, exec_lo, s0
	s_and_saveexec_b32 s0, s10
	s_delay_alu instid0(SALU_CYCLE_1)
	s_xor_b32 s0, exec_lo, s0
	s_cbranch_execz .LBB175_1085
.LBB175_999:
	v_and_b32_e32 v2, 0xff, v4
	s_delay_alu instid0(VALU_DEP_1)
	v_cmp_ne_u16_e32 vcc_lo, 0, v2
	v_cndmask_b32_e64 v2, 0, 1, vcc_lo
	global_store_b8 v[0:1], v2, off
	s_wait_xcnt 0x0
	s_or_b32 exec_lo, exec_lo, s0
	s_and_saveexec_b32 s0, s8
	s_delay_alu instid0(SALU_CYCLE_1)
	s_xor_b32 s0, exec_lo, s0
	s_cbranch_execz .LBB175_1123
	s_branch .LBB175_1086
.LBB175_1000:
	s_mov_b32 s6, 0
                                        ; implicit-def: $vgpr4
	s_cbranch_execz .LBB175_1002
.LBB175_1001:
	s_cmp_lg_u32 s16, 0
	s_mov_b32 s0, -1
	s_cselect_b32 s6, -1, 0
.LBB175_1002:
	s_wait_loadcnt 0x0
	s_delay_alu instid0(VALU_DEP_1)
	v_and_b32_e32 v0, 0xff, v6
	s_and_not1_b32 vcc_lo, exec_lo, s6
	s_cbranch_vccnz .LBB175_1004
; %bb.1003:
	s_and_b32 s0, s17, 0xff
	s_delay_alu instid0(VALU_DEP_1) | instid1(SALU_CYCLE_1)
	v_max_u16 v1, v0, s0
	s_delay_alu instid0(VALU_DEP_1)
	v_min_u16 v4, v1, s9
	s_cbranch_execz .LBB175_1005
	s_branch .LBB175_1006
.LBB175_1004:
	s_and_not1_b32 vcc_lo, exec_lo, s0
	s_cbranch_vccnz .LBB175_1006
.LBB175_1005:
	s_and_b32 s0, s17, 0xff
	s_delay_alu instid0(SALU_CYCLE_1)
	v_max_u16 v4, v0, s0
.LBB175_1006:
	v_mov_b32_e32 v3, 0
	s_and_b32 s6, s18, 0xff
	s_delay_alu instid0(SALU_CYCLE_1) | instskip(NEXT) | instid1(VALU_DEP_1)
	s_cmp_lt_i32 s6, 11
	v_add_nc_u64_e32 v[0:1], s[4:5], v[2:3]
	s_cbranch_scc1 .LBB175_1013
; %bb.1007:
	s_and_b32 s4, 0xffff, s6
	s_mov_b32 s5, -1
	s_cmp_gt_i32 s4, 25
	s_mov_b32 s0, s42
	s_cbranch_scc0 .LBB175_1042
; %bb.1008:
	s_cmp_gt_i32 s4, 28
	s_mov_b32 s0, s42
	s_cbranch_scc0 .LBB175_1026
; %bb.1009:
	;; [unrolled: 4-line block ×4, first 2 shown]
	s_cmp_eq_u32 s4, 46
	s_mov_b32 s0, -1
	s_cbranch_scc0 .LBB175_1015
; %bb.1012:
	v_cvt_f32_ubyte0_e32 v2, v4
	s_mov_b32 s0, 0
	s_mov_b32 s5, 0
	s_delay_alu instid0(VALU_DEP_1) | instskip(NEXT) | instid1(VALU_DEP_1)
	v_bfe_u32 v3, v2, 16, 1
	v_add3_u32 v2, v2, v3, 0x7fff
	s_delay_alu instid0(VALU_DEP_1)
	v_lshrrev_b32_e32 v2, 16, v2
	global_store_b32 v[0:1], v2, off
	s_branch .LBB175_1016
.LBB175_1013:
	s_mov_b32 s9, 0
	s_mov_b32 s5, -1
	s_mov_b32 s0, s42
	s_branch .LBB175_1083
.LBB175_1014:
	s_mov_b32 s6, -1
                                        ; implicit-def: $vgpr4
	s_and_b32 vcc_lo, exec_lo, s8
	s_cbranch_vccnz .LBB175_1001
	s_branch .LBB175_1002
.LBB175_1015:
	s_mov_b32 s5, 0
.LBB175_1016:
	s_delay_alu instid0(SALU_CYCLE_1)
	s_and_b32 vcc_lo, exec_lo, s5
	s_cbranch_vccz .LBB175_1021
; %bb.1017:
	s_cmp_eq_u32 s4, 44
	s_mov_b32 s0, -1
	s_cbranch_scc0 .LBB175_1021
; %bb.1018:
	v_cvt_f32_ubyte0_e32 v5, v4
	s_mov_b32 s5, exec_lo
	s_wait_xcnt 0x0
	s_delay_alu instid0(VALU_DEP_1) | instskip(NEXT) | instid1(VALU_DEP_1)
	v_dual_mov_b32 v3, 0xff :: v_dual_lshrrev_b32 v2, 23, v5
	v_cmpx_ne_u32_e32 0xff, v2
; %bb.1019:
	v_and_b32_e32 v3, 0x400000, v5
	v_and_or_b32 v5, 0x3fffff, v5, v2
	s_delay_alu instid0(VALU_DEP_2) | instskip(NEXT) | instid1(VALU_DEP_2)
	v_cmp_ne_u32_e32 vcc_lo, 0, v3
	v_cmp_ne_u32_e64 s0, 0, v5
	s_and_b32 s0, vcc_lo, s0
	s_delay_alu instid0(SALU_CYCLE_1) | instskip(NEXT) | instid1(VALU_DEP_1)
	v_cndmask_b32_e64 v3, 0, 1, s0
	v_add_nc_u32_e32 v3, v2, v3
; %bb.1020:
	s_or_b32 exec_lo, exec_lo, s5
	s_mov_b32 s0, 0
	global_store_b8 v[0:1], v3, off
.LBB175_1021:
	s_mov_b32 s5, 0
.LBB175_1022:
	s_delay_alu instid0(SALU_CYCLE_1)
	s_and_b32 vcc_lo, exec_lo, s5
	s_cbranch_vccz .LBB175_1025
; %bb.1023:
	s_cmp_eq_u32 s4, 29
	s_mov_b32 s0, -1
	s_cbranch_scc0 .LBB175_1025
; %bb.1024:
	s_wait_xcnt 0x0
	v_and_b32_e32 v2, 0xff, v4
	v_mov_b32_e32 v3, 0
	s_mov_b32 s0, 0
	s_mov_b32 s5, 0
	global_store_b64 v[0:1], v[2:3], off
	s_branch .LBB175_1026
.LBB175_1025:
	s_mov_b32 s5, 0
.LBB175_1026:
	s_delay_alu instid0(SALU_CYCLE_1)
	s_and_b32 vcc_lo, exec_lo, s5
	s_cbranch_vccz .LBB175_1041
; %bb.1027:
	s_cmp_lt_i32 s4, 27
	s_mov_b32 s5, -1
	s_cbranch_scc1 .LBB175_1033
; %bb.1028:
	s_cmp_gt_i32 s4, 27
	s_cbranch_scc0 .LBB175_1030
; %bb.1029:
	s_wait_xcnt 0x0
	v_and_b32_e32 v2, 0xff, v4
	s_mov_b32 s5, 0
	global_store_b32 v[0:1], v2, off
.LBB175_1030:
	s_and_not1_b32 vcc_lo, exec_lo, s5
	s_cbranch_vccnz .LBB175_1032
; %bb.1031:
	s_wait_xcnt 0x0
	v_and_b32_e32 v2, 0xff, v4
	global_store_b16 v[0:1], v2, off
.LBB175_1032:
	s_mov_b32 s5, 0
.LBB175_1033:
	s_delay_alu instid0(SALU_CYCLE_1)
	s_and_not1_b32 vcc_lo, exec_lo, s5
	s_cbranch_vccnz .LBB175_1041
; %bb.1034:
	s_wait_xcnt 0x0
	v_cvt_f32_ubyte0_e32 v3, v4
	v_mov_b32_e32 v5, 0x80
	s_mov_b32 s5, exec_lo
	s_delay_alu instid0(VALU_DEP_2)
	v_cmpx_gt_u32_e32 0x43800000, v3
	s_cbranch_execz .LBB175_1040
; %bb.1035:
	s_mov_b32 s8, 0
	s_mov_b32 s9, exec_lo
                                        ; implicit-def: $vgpr2
	v_cmpx_lt_u32_e32 0x3bffffff, v3
	s_xor_b32 s9, exec_lo, s9
	s_cbranch_execz .LBB175_1198
; %bb.1036:
	v_bfe_u32 v2, v3, 20, 1
	s_mov_b32 s8, exec_lo
	s_delay_alu instid0(VALU_DEP_1) | instskip(NEXT) | instid1(VALU_DEP_1)
	v_add3_u32 v2, v3, v2, 0x487ffff
                                        ; implicit-def: $vgpr3
	v_lshrrev_b32_e32 v2, 20, v2
	s_and_not1_saveexec_b32 s9, s9
	s_cbranch_execnz .LBB175_1199
.LBB175_1037:
	s_or_b32 exec_lo, exec_lo, s9
	v_mov_b32_e32 v5, 0
	s_and_saveexec_b32 s9, s8
.LBB175_1038:
	v_mov_b32_e32 v5, v2
.LBB175_1039:
	s_or_b32 exec_lo, exec_lo, s9
.LBB175_1040:
	s_delay_alu instid0(SALU_CYCLE_1)
	s_or_b32 exec_lo, exec_lo, s5
	global_store_b8 v[0:1], v5, off
.LBB175_1041:
	s_mov_b32 s5, 0
.LBB175_1042:
	s_delay_alu instid0(SALU_CYCLE_1)
	s_and_b32 vcc_lo, exec_lo, s5
	s_mov_b32 s5, 0
	s_cbranch_vccz .LBB175_1082
; %bb.1043:
	s_cmp_gt_i32 s4, 22
	s_mov_b32 s8, -1
	s_cbranch_scc0 .LBB175_1075
; %bb.1044:
	s_cmp_lt_i32 s4, 24
	s_cbranch_scc1 .LBB175_1064
; %bb.1045:
	s_cmp_gt_i32 s4, 24
	s_cbranch_scc0 .LBB175_1053
; %bb.1046:
	s_wait_xcnt 0x0
	v_cvt_f32_ubyte0_e32 v3, v4
	v_mov_b32_e32 v5, 0x80
	s_mov_b32 s8, exec_lo
	s_delay_alu instid0(VALU_DEP_2)
	v_cmpx_gt_u32_e32 0x47800000, v3
	s_cbranch_execz .LBB175_1052
; %bb.1047:
	s_mov_b32 s9, 0
	s_mov_b32 s10, exec_lo
                                        ; implicit-def: $vgpr2
	v_cmpx_lt_u32_e32 0x37ffffff, v3
	s_xor_b32 s10, exec_lo, s10
	s_cbranch_execz .LBB175_1329
; %bb.1048:
	v_bfe_u32 v2, v3, 21, 1
	s_mov_b32 s9, exec_lo
	s_delay_alu instid0(VALU_DEP_1) | instskip(NEXT) | instid1(VALU_DEP_1)
	v_add3_u32 v2, v3, v2, 0x88fffff
                                        ; implicit-def: $vgpr3
	v_lshrrev_b32_e32 v2, 21, v2
	s_and_not1_saveexec_b32 s10, s10
	s_cbranch_execnz .LBB175_1330
.LBB175_1049:
	s_or_b32 exec_lo, exec_lo, s10
	v_mov_b32_e32 v5, 0
	s_and_saveexec_b32 s10, s9
.LBB175_1050:
	v_mov_b32_e32 v5, v2
.LBB175_1051:
	s_or_b32 exec_lo, exec_lo, s10
.LBB175_1052:
	s_delay_alu instid0(SALU_CYCLE_1)
	s_or_b32 exec_lo, exec_lo, s8
	s_mov_b32 s8, 0
	global_store_b8 v[0:1], v5, off
.LBB175_1053:
	s_and_b32 vcc_lo, exec_lo, s8
	s_cbranch_vccz .LBB175_1063
; %bb.1054:
	s_wait_xcnt 0x0
	v_cvt_f32_ubyte0_e32 v3, v4
	s_mov_b32 s8, exec_lo
                                        ; implicit-def: $vgpr2
	s_delay_alu instid0(VALU_DEP_1)
	v_cmpx_gt_u32_e32 0x43f00000, v3
	s_xor_b32 s8, exec_lo, s8
	s_cbranch_execz .LBB175_1060
; %bb.1055:
	s_mov_b32 s9, exec_lo
                                        ; implicit-def: $vgpr2
	v_cmpx_lt_u32_e32 0x3c7fffff, v3
	s_xor_b32 s9, exec_lo, s9
; %bb.1056:
	v_bfe_u32 v2, v3, 20, 1
	s_delay_alu instid0(VALU_DEP_1) | instskip(NEXT) | instid1(VALU_DEP_1)
	v_add3_u32 v2, v3, v2, 0x407ffff
	v_and_b32_e32 v3, 0xff00000, v2
	v_lshrrev_b32_e32 v2, 20, v2
	s_delay_alu instid0(VALU_DEP_2) | instskip(NEXT) | instid1(VALU_DEP_2)
	v_cmp_ne_u32_e32 vcc_lo, 0x7f00000, v3
                                        ; implicit-def: $vgpr3
	v_cndmask_b32_e32 v2, 0x7e, v2, vcc_lo
; %bb.1057:
	s_and_not1_saveexec_b32 s9, s9
; %bb.1058:
	v_add_f32_e32 v2, 0x46800000, v3
; %bb.1059:
	s_or_b32 exec_lo, exec_lo, s9
                                        ; implicit-def: $vgpr3
.LBB175_1060:
	s_and_not1_saveexec_b32 s8, s8
; %bb.1061:
	v_mov_b32_e32 v2, 0x7f
	v_cmp_lt_u32_e32 vcc_lo, 0x7f800000, v3
	s_delay_alu instid0(VALU_DEP_2)
	v_cndmask_b32_e32 v2, 0x7e, v2, vcc_lo
; %bb.1062:
	s_or_b32 exec_lo, exec_lo, s8
	global_store_b8 v[0:1], v2, off
.LBB175_1063:
	s_mov_b32 s8, 0
.LBB175_1064:
	s_delay_alu instid0(SALU_CYCLE_1)
	s_and_not1_b32 vcc_lo, exec_lo, s8
	s_cbranch_vccnz .LBB175_1074
; %bb.1065:
	s_wait_xcnt 0x0
	v_cvt_f32_ubyte0_e32 v3, v4
	s_mov_b32 s8, exec_lo
                                        ; implicit-def: $vgpr2
	s_delay_alu instid0(VALU_DEP_1)
	v_cmpx_gt_u32_e32 0x47800000, v3
	s_xor_b32 s8, exec_lo, s8
	s_cbranch_execz .LBB175_1071
; %bb.1066:
	s_mov_b32 s9, exec_lo
                                        ; implicit-def: $vgpr2
	v_cmpx_lt_u32_e32 0x387fffff, v3
	s_xor_b32 s9, exec_lo, s9
; %bb.1067:
	v_bfe_u32 v2, v3, 21, 1
	s_delay_alu instid0(VALU_DEP_1) | instskip(NEXT) | instid1(VALU_DEP_1)
	v_add3_u32 v2, v3, v2, 0x80fffff
                                        ; implicit-def: $vgpr3
	v_lshrrev_b32_e32 v2, 21, v2
; %bb.1068:
	s_and_not1_saveexec_b32 s9, s9
; %bb.1069:
	v_add_f32_e32 v2, 0x43000000, v3
; %bb.1070:
	s_or_b32 exec_lo, exec_lo, s9
                                        ; implicit-def: $vgpr3
.LBB175_1071:
	s_and_not1_saveexec_b32 s8, s8
; %bb.1072:
	v_mov_b32_e32 v2, 0x7f
	v_cmp_lt_u32_e32 vcc_lo, 0x7f800000, v3
	s_delay_alu instid0(VALU_DEP_2)
	v_cndmask_b32_e32 v2, 0x7c, v2, vcc_lo
; %bb.1073:
	s_or_b32 exec_lo, exec_lo, s8
	global_store_b8 v[0:1], v2, off
.LBB175_1074:
	s_mov_b32 s8, 0
.LBB175_1075:
	s_delay_alu instid0(SALU_CYCLE_1)
	s_and_not1_b32 vcc_lo, exec_lo, s8
	s_mov_b32 s9, 0
	s_cbranch_vccnz .LBB175_1083
; %bb.1076:
	s_cmp_gt_i32 s4, 14
	s_mov_b32 s8, -1
	s_cbranch_scc0 .LBB175_1080
; %bb.1077:
	s_cmp_eq_u32 s4, 15
	s_mov_b32 s0, -1
	s_cbranch_scc0 .LBB175_1079
; %bb.1078:
	s_wait_xcnt 0x0
	v_cvt_f32_ubyte0_e32 v2, v4
	s_mov_b32 s0, 0
	s_delay_alu instid0(VALU_DEP_1) | instskip(NEXT) | instid1(VALU_DEP_1)
	v_bfe_u32 v3, v2, 16, 1
	v_add3_u32 v2, v2, v3, 0x7fff
	global_store_d16_hi_b16 v[0:1], v2, off
.LBB175_1079:
	s_mov_b32 s8, 0
.LBB175_1080:
	s_delay_alu instid0(SALU_CYCLE_1)
	s_and_b32 vcc_lo, exec_lo, s8
	s_cbranch_vccz .LBB175_1083
; %bb.1081:
	s_cmp_lg_u32 s4, 11
	s_mov_b32 s9, -1
	s_cselect_b32 s4, -1, 0
	s_and_not1_b32 s0, s0, exec_lo
	s_and_b32 s4, s4, exec_lo
	s_delay_alu instid0(SALU_CYCLE_1)
	s_or_b32 s0, s0, s4
	s_branch .LBB175_1083
.LBB175_1082:
	s_mov_b32 s9, 0
.LBB175_1083:
	s_and_not1_b32 s4, s42, exec_lo
	s_and_b32 s0, s0, exec_lo
	s_and_b32 s8, s5, exec_lo
	;; [unrolled: 1-line block ×3, first 2 shown]
	s_or_b32 s42, s4, s0
	s_wait_xcnt 0x0
	s_or_b32 exec_lo, exec_lo, s7
	s_and_saveexec_b32 s0, s42
	s_cbranch_execz .LBB175_998
.LBB175_1084:
	s_or_b32 s1, s1, exec_lo
	s_and_not1_b32 s10, s10, exec_lo
	s_trap 2
	s_or_b32 exec_lo, exec_lo, s0
	s_and_saveexec_b32 s0, s10
	s_delay_alu instid0(SALU_CYCLE_1)
	s_xor_b32 s0, exec_lo, s0
	s_cbranch_execnz .LBB175_999
.LBB175_1085:
	s_or_b32 exec_lo, exec_lo, s0
	s_and_saveexec_b32 s0, s8
	s_delay_alu instid0(SALU_CYCLE_1)
	s_xor_b32 s0, exec_lo, s0
	s_cbranch_execz .LBB175_1123
.LBB175_1086:
	s_sext_i32_i16 s5, s6
	s_mov_b32 s4, -1
	s_cmp_lt_i32 s5, 5
	s_cbranch_scc1 .LBB175_1107
; %bb.1087:
	s_cmp_lt_i32 s5, 8
	s_cbranch_scc1 .LBB175_1097
; %bb.1088:
	;; [unrolled: 3-line block ×3, first 2 shown]
	s_cmp_gt_i32 s5, 9
	s_cbranch_scc0 .LBB175_1091
; %bb.1090:
	v_and_b32_e32 v2, 0xff, v4
	v_mov_b32_e32 v8, 0
	s_mov_b32 s4, 0
	s_delay_alu instid0(VALU_DEP_2) | instskip(NEXT) | instid1(VALU_DEP_2)
	v_and_b32_e32 v2, 0xffff, v2
	v_mov_b32_e32 v9, v8
	s_wait_loadcnt 0x0
	s_delay_alu instid0(VALU_DEP_2)
	v_cvt_f64_u32_e32 v[6:7], v2
	global_store_b128 v[0:1], v[6:9], off
.LBB175_1091:
	s_and_not1_b32 vcc_lo, exec_lo, s4
	s_cbranch_vccnz .LBB175_1093
; %bb.1092:
	v_cvt_f32_ubyte0_e32 v2, v4
	v_mov_b32_e32 v3, 0
	global_store_b64 v[0:1], v[2:3], off
.LBB175_1093:
	s_mov_b32 s4, 0
.LBB175_1094:
	s_delay_alu instid0(SALU_CYCLE_1)
	s_and_not1_b32 vcc_lo, exec_lo, s4
	s_cbranch_vccnz .LBB175_1096
; %bb.1095:
	s_wait_xcnt 0x0
	v_and_b32_e32 v2, 0xff, v4
	s_delay_alu instid0(VALU_DEP_1) | instskip(NEXT) | instid1(VALU_DEP_1)
	v_cvt_f16_u16_e32 v2, v2
	v_and_b32_e32 v2, 0xffff, v2
	global_store_b32 v[0:1], v2, off
.LBB175_1096:
	s_mov_b32 s4, 0
.LBB175_1097:
	s_delay_alu instid0(SALU_CYCLE_1)
	s_and_not1_b32 vcc_lo, exec_lo, s4
	s_cbranch_vccnz .LBB175_1106
; %bb.1098:
	s_sext_i32_i16 s5, s6
	s_mov_b32 s4, -1
	s_cmp_lt_i32 s5, 6
	s_cbranch_scc1 .LBB175_1104
; %bb.1099:
	s_cmp_gt_i32 s5, 6
	s_cbranch_scc0 .LBB175_1101
; %bb.1100:
	s_wait_xcnt 0x0
	v_and_b32_e32 v2, 0xff, v4
	s_mov_b32 s4, 0
	s_delay_alu instid0(VALU_DEP_1) | instskip(NEXT) | instid1(VALU_DEP_1)
	v_and_b32_e32 v2, 0xffff, v2
	v_cvt_f64_u32_e32 v[2:3], v2
	global_store_b64 v[0:1], v[2:3], off
.LBB175_1101:
	s_and_not1_b32 vcc_lo, exec_lo, s4
	s_cbranch_vccnz .LBB175_1103
; %bb.1102:
	s_wait_xcnt 0x0
	v_cvt_f32_ubyte0_e32 v2, v4
	global_store_b32 v[0:1], v2, off
.LBB175_1103:
	s_mov_b32 s4, 0
.LBB175_1104:
	s_delay_alu instid0(SALU_CYCLE_1)
	s_and_not1_b32 vcc_lo, exec_lo, s4
	s_cbranch_vccnz .LBB175_1106
; %bb.1105:
	s_wait_xcnt 0x0
	v_and_b32_e32 v2, 0xff, v4
	s_delay_alu instid0(VALU_DEP_1)
	v_cvt_f16_u16_e32 v2, v2
	global_store_b16 v[0:1], v2, off
.LBB175_1106:
	s_mov_b32 s4, 0
.LBB175_1107:
	s_delay_alu instid0(SALU_CYCLE_1)
	s_and_not1_b32 vcc_lo, exec_lo, s4
	s_cbranch_vccnz .LBB175_1123
; %bb.1108:
	s_sext_i32_i16 s5, s6
	s_mov_b32 s4, -1
	s_cmp_lt_i32 s5, 2
	s_cbranch_scc1 .LBB175_1118
; %bb.1109:
	s_cmp_lt_i32 s5, 3
	s_cbranch_scc1 .LBB175_1115
; %bb.1110:
	s_cmp_gt_i32 s5, 3
	s_cbranch_scc0 .LBB175_1112
; %bb.1111:
	s_wait_xcnt 0x0
	v_and_b32_e32 v2, 0xff, v4
	v_mov_b32_e32 v3, 0
	s_mov_b32 s4, 0
	global_store_b64 v[0:1], v[2:3], off
.LBB175_1112:
	s_and_not1_b32 vcc_lo, exec_lo, s4
	s_cbranch_vccnz .LBB175_1114
; %bb.1113:
	s_wait_xcnt 0x0
	v_and_b32_e32 v2, 0xff, v4
	global_store_b32 v[0:1], v2, off
.LBB175_1114:
	s_mov_b32 s4, 0
.LBB175_1115:
	s_delay_alu instid0(SALU_CYCLE_1)
	s_and_not1_b32 vcc_lo, exec_lo, s4
	s_cbranch_vccnz .LBB175_1117
; %bb.1116:
	s_wait_xcnt 0x0
	v_and_b32_e32 v2, 0xff, v4
	global_store_b16 v[0:1], v2, off
.LBB175_1117:
	s_mov_b32 s4, 0
.LBB175_1118:
	s_delay_alu instid0(SALU_CYCLE_1)
	s_and_not1_b32 vcc_lo, exec_lo, s4
	s_cbranch_vccnz .LBB175_1123
; %bb.1119:
	s_sext_i32_i16 s4, s6
	s_delay_alu instid0(SALU_CYCLE_1)
	s_cmp_gt_i32 s4, 0
	s_mov_b32 s4, -1
	s_cbranch_scc0 .LBB175_1121
; %bb.1120:
	s_mov_b32 s4, 0
	global_store_b8 v[0:1], v4, off
.LBB175_1121:
	s_and_not1_b32 vcc_lo, exec_lo, s4
	s_cbranch_vccnz .LBB175_1123
; %bb.1122:
	global_store_b8 v[0:1], v4, off
.LBB175_1123:
	s_wait_xcnt 0x0
	s_or_b32 exec_lo, exec_lo, s0
	s_delay_alu instid0(SALU_CYCLE_1)
	s_and_b32 s8, s1, exec_lo
                                        ; implicit-def: $vgpr9
                                        ; implicit-def: $vgpr0
.LBB175_1124:
	s_or_saveexec_b32 s9, s36
	s_mov_b32 s0, 0
                                        ; implicit-def: $vgpr2_vgpr3
                                        ; implicit-def: $sgpr1
                                        ; implicit-def: $vgpr8
	s_xor_b32 exec_lo, exec_lo, s9
	s_cbranch_execz .LBB175_1721
; %bb.1125:
	v_cndmask_b32_e64 v1, 0, 1, s35
	s_and_not1_b32 vcc_lo, exec_lo, s35
	s_cbranch_vccnz .LBB175_1131
; %bb.1126:
	s_cmp_lg_u32 s19, 0
	s_mov_b32 s10, 0
	s_cbranch_scc0 .LBB175_1132
; %bb.1127:
	s_min_u32 s1, s33, 15
	s_delay_alu instid0(SALU_CYCLE_1)
	s_add_co_i32 s1, s1, 1
	s_cmp_eq_u32 s33, 2
	s_cbranch_scc1 .LBB175_1133
; %bb.1128:
	s_wait_loadcnt 0x0
	v_dual_mov_b32 v6, 0 :: v_dual_mov_b32 v14, 0
	v_mov_b32_e32 v2, v0
	s_and_b32 s0, s1, 28
	s_add_nc_u64 s[4:5], s[2:3], 0xc4
	s_mov_b32 s11, 0
	s_mov_b64 s[6:7], s[2:3]
.LBB175_1129:                           ; =>This Inner Loop Header: Depth=1
	s_clause 0x1
	s_load_b256 s[20:27], s[6:7], 0x4
	s_load_b128 s[12:15], s[6:7], 0x24
	s_load_b256 s[36:43], s[4:5], 0x0
	s_add_co_i32 s11, s11, 4
	s_wait_xcnt 0x0
	s_add_nc_u64 s[6:7], s[6:7], 48
	s_cmp_lg_u32 s0, s11
	s_add_nc_u64 s[4:5], s[4:5], 32
	s_wait_kmcnt 0x0
	v_mul_hi_u32 v3, s21, v2
	s_delay_alu instid0(VALU_DEP_1) | instskip(NEXT) | instid1(VALU_DEP_1)
	v_add_nc_u32_e32 v3, v2, v3
	v_lshrrev_b32_e32 v3, s22, v3
	s_delay_alu instid0(VALU_DEP_1) | instskip(NEXT) | instid1(VALU_DEP_1)
	v_mul_hi_u32 v4, s24, v3
	v_add_nc_u32_e32 v4, v3, v4
	s_delay_alu instid0(VALU_DEP_1) | instskip(NEXT) | instid1(VALU_DEP_1)
	v_lshrrev_b32_e32 v4, s25, v4
	v_mul_hi_u32 v5, s27, v4
	s_delay_alu instid0(VALU_DEP_1) | instskip(SKIP_1) | instid1(VALU_DEP_1)
	v_add_nc_u32_e32 v5, v4, v5
	v_mul_lo_u32 v7, v3, s20
	v_sub_nc_u32_e32 v2, v2, v7
	v_mul_lo_u32 v7, v4, s23
	s_delay_alu instid0(VALU_DEP_4) | instskip(NEXT) | instid1(VALU_DEP_3)
	v_lshrrev_b32_e32 v5, s12, v5
	v_mad_u32 v10, v2, s37, v14
	v_mad_u32 v2, v2, s36, v6
	s_delay_alu instid0(VALU_DEP_4) | instskip(NEXT) | instid1(VALU_DEP_4)
	v_sub_nc_u32_e32 v3, v3, v7
	v_mul_hi_u32 v8, s14, v5
	v_mul_lo_u32 v6, v5, s26
	s_delay_alu instid0(VALU_DEP_1) | instskip(NEXT) | instid1(VALU_DEP_4)
	v_dual_add_nc_u32 v7, v5, v8 :: v_dual_sub_nc_u32 v4, v4, v6
	v_mad_u32 v8, v3, s39, v10
	v_mad_u32 v3, v3, s38, v2
	s_delay_alu instid0(VALU_DEP_3) | instskip(NEXT) | instid1(VALU_DEP_1)
	v_lshrrev_b32_e32 v2, s15, v7
	v_mul_lo_u32 v6, v2, s13
	s_delay_alu instid0(VALU_DEP_4) | instskip(NEXT) | instid1(VALU_DEP_4)
	v_mad_u32 v7, v4, s41, v8
	v_mad_u32 v3, v4, s40, v3
	s_delay_alu instid0(VALU_DEP_3) | instskip(NEXT) | instid1(VALU_DEP_1)
	v_sub_nc_u32_e32 v4, v5, v6
	v_mad_u32 v14, v4, s43, v7
	s_delay_alu instid0(VALU_DEP_3)
	v_mad_u32 v6, v4, s42, v3
	s_cbranch_scc1 .LBB175_1129
; %bb.1130:
	s_delay_alu instid0(VALU_DEP_2)
	v_mov_b32_e32 v7, v14
	s_and_b32 s6, s1, 3
	s_mov_b32 s1, 0
	s_cmp_eq_u32 s6, 0
	s_cbranch_scc0 .LBB175_1134
	s_branch .LBB175_1137
.LBB175_1131:
	s_mov_b32 s10, -1
                                        ; implicit-def: $vgpr14
                                        ; implicit-def: $vgpr6
	s_branch .LBB175_1137
.LBB175_1132:
	s_wait_loadcnt 0x0
	v_dual_mov_b32 v14, 0 :: v_dual_mov_b32 v6, 0
	s_branch .LBB175_1137
.LBB175_1133:
	s_wait_loadcnt 0x0
	v_mov_b64_e32 v[6:7], 0
	v_mov_b32_e32 v2, v0
                                        ; implicit-def: $vgpr14
	s_and_b32 s6, s1, 3
	s_mov_b32 s1, 0
	s_cmp_eq_u32 s6, 0
	s_cbranch_scc1 .LBB175_1137
.LBB175_1134:
	s_lshl_b32 s4, s0, 3
	s_mov_b32 s5, s1
	s_mul_u64 s[12:13], s[0:1], 12
	s_add_nc_u64 s[4:5], s[2:3], s[4:5]
	s_delay_alu instid0(SALU_CYCLE_1)
	s_add_nc_u64 s[0:1], s[4:5], 0xc4
	s_add_nc_u64 s[4:5], s[2:3], s[12:13]
.LBB175_1135:                           ; =>This Inner Loop Header: Depth=1
	s_load_b96 s[12:14], s[4:5], 0x4
	s_add_co_i32 s6, s6, -1
	s_wait_xcnt 0x0
	s_add_nc_u64 s[4:5], s[4:5], 12
	s_cmp_lg_u32 s6, 0
	s_wait_kmcnt 0x0
	v_mul_hi_u32 v3, s13, v2
	s_delay_alu instid0(VALU_DEP_1) | instskip(NEXT) | instid1(VALU_DEP_1)
	v_add_nc_u32_e32 v3, v2, v3
	v_lshrrev_b32_e32 v3, s14, v3
	s_load_b64 s[14:15], s[0:1], 0x0
	s_wait_xcnt 0x0
	s_add_nc_u64 s[0:1], s[0:1], 8
	s_delay_alu instid0(VALU_DEP_1) | instskip(NEXT) | instid1(VALU_DEP_1)
	v_mul_lo_u32 v4, v3, s12
	v_sub_nc_u32_e32 v2, v2, v4
	s_wait_kmcnt 0x0
	s_delay_alu instid0(VALU_DEP_1)
	v_mad_u32 v7, v2, s15, v7
	v_mad_u32 v6, v2, s14, v6
	v_mov_b32_e32 v2, v3
	s_cbranch_scc1 .LBB175_1135
; %bb.1136:
	s_delay_alu instid0(VALU_DEP_3)
	v_mov_b32_e32 v14, v7
.LBB175_1137:
	s_and_not1_b32 vcc_lo, exec_lo, s10
	s_cbranch_vccnz .LBB175_1140
; %bb.1138:
	s_clause 0x1
	s_load_b96 s[4:6], s[2:3], 0x4
	s_load_b64 s[0:1], s[2:3], 0xc4
	s_cmp_lt_u32 s19, 2
	s_wait_kmcnt 0x0
	v_mul_hi_u32 v2, s5, v0
	s_delay_alu instid0(VALU_DEP_1) | instskip(NEXT) | instid1(VALU_DEP_1)
	v_add_nc_u32_e32 v2, v0, v2
	v_lshrrev_b32_e32 v2, s6, v2
	s_delay_alu instid0(VALU_DEP_1) | instskip(NEXT) | instid1(VALU_DEP_1)
	v_mul_lo_u32 v3, v2, s4
	v_sub_nc_u32_e32 v3, v0, v3
	s_delay_alu instid0(VALU_DEP_1)
	v_mul_lo_u32 v14, v3, s1
	s_wait_loadcnt 0x0
	v_mul_lo_u32 v6, v3, s0
	s_cbranch_scc1 .LBB175_1140
; %bb.1139:
	s_clause 0x1
	s_load_b96 s[4:6], s[2:3], 0x10
	s_load_b64 s[0:1], s[2:3], 0xcc
	s_wait_kmcnt 0x0
	v_mul_hi_u32 v3, s5, v2
	s_delay_alu instid0(VALU_DEP_1) | instskip(NEXT) | instid1(VALU_DEP_1)
	v_add_nc_u32_e32 v3, v2, v3
	v_lshrrev_b32_e32 v3, s6, v3
	s_delay_alu instid0(VALU_DEP_1) | instskip(NEXT) | instid1(VALU_DEP_1)
	v_mul_lo_u32 v3, v3, s4
	v_sub_nc_u32_e32 v2, v2, v3
	s_delay_alu instid0(VALU_DEP_1)
	v_mad_u32 v6, v2, s0, v6
	v_mad_u32 v14, v2, s1, v14
.LBB175_1140:
	v_cmp_ne_u32_e32 vcc_lo, 1, v1
	v_add_nc_u32_e32 v2, 0x80, v0
	s_cbranch_vccnz .LBB175_1146
; %bb.1141:
	s_cmp_lg_u32 s19, 0
	s_mov_b32 s10, 0
	s_cbranch_scc0 .LBB175_1147
; %bb.1142:
	s_min_u32 s1, s33, 15
	s_delay_alu instid0(SALU_CYCLE_1)
	s_add_co_i32 s1, s1, 1
	s_cmp_eq_u32 s33, 2
	s_cbranch_scc1 .LBB175_1148
; %bb.1143:
	v_dual_mov_b32 v4, 0 :: v_dual_mov_b32 v12, 0
	v_mov_b32_e32 v3, v2
	s_and_b32 s0, s1, 28
	s_add_nc_u64 s[4:5], s[2:3], 0xc4
	s_mov_b32 s11, 0
	s_mov_b64 s[6:7], s[2:3]
.LBB175_1144:                           ; =>This Inner Loop Header: Depth=1
	s_clause 0x1
	s_load_b256 s[20:27], s[6:7], 0x4
	s_load_b128 s[12:15], s[6:7], 0x24
	s_load_b256 s[36:43], s[4:5], 0x0
	s_add_co_i32 s11, s11, 4
	s_wait_xcnt 0x0
	s_add_nc_u64 s[6:7], s[6:7], 48
	s_cmp_lg_u32 s0, s11
	s_add_nc_u64 s[4:5], s[4:5], 32
	s_wait_kmcnt 0x0
	v_mul_hi_u32 v5, s21, v3
	s_delay_alu instid0(VALU_DEP_1) | instskip(NEXT) | instid1(VALU_DEP_1)
	v_add_nc_u32_e32 v5, v3, v5
	v_lshrrev_b32_e32 v5, s22, v5
	s_wait_loadcnt 0x0
	s_delay_alu instid0(VALU_DEP_1) | instskip(NEXT) | instid1(VALU_DEP_1)
	v_mul_hi_u32 v7, s24, v5
	v_add_nc_u32_e32 v7, v5, v7
	s_delay_alu instid0(VALU_DEP_1) | instskip(NEXT) | instid1(VALU_DEP_1)
	v_lshrrev_b32_e32 v7, s25, v7
	v_mul_hi_u32 v8, s27, v7
	s_delay_alu instid0(VALU_DEP_1) | instskip(SKIP_1) | instid1(VALU_DEP_1)
	v_add_nc_u32_e32 v8, v7, v8
	v_mul_lo_u32 v10, v5, s20
	v_sub_nc_u32_e32 v3, v3, v10
	v_mul_lo_u32 v10, v7, s23
	s_delay_alu instid0(VALU_DEP_4) | instskip(NEXT) | instid1(VALU_DEP_3)
	v_lshrrev_b32_e32 v8, s12, v8
	v_mad_u32 v12, v3, s37, v12
	v_mad_u32 v3, v3, s36, v4
	s_delay_alu instid0(VALU_DEP_4) | instskip(NEXT) | instid1(VALU_DEP_4)
	v_sub_nc_u32_e32 v4, v5, v10
	v_mul_hi_u32 v11, s14, v8
	v_mul_lo_u32 v5, v8, s26
	s_delay_alu instid0(VALU_DEP_1) | instskip(NEXT) | instid1(VALU_DEP_4)
	v_dual_add_nc_u32 v10, v8, v11 :: v_dual_sub_nc_u32 v5, v7, v5
	v_mad_u32 v11, v4, s39, v12
	v_mad_u32 v4, v4, s38, v3
	s_delay_alu instid0(VALU_DEP_3) | instskip(NEXT) | instid1(VALU_DEP_1)
	v_lshrrev_b32_e32 v3, s15, v10
	v_mul_lo_u32 v7, v3, s13
	s_delay_alu instid0(VALU_DEP_4) | instskip(NEXT) | instid1(VALU_DEP_4)
	v_mad_u32 v10, v5, s41, v11
	v_mad_u32 v4, v5, s40, v4
	s_delay_alu instid0(VALU_DEP_3) | instskip(NEXT) | instid1(VALU_DEP_1)
	v_sub_nc_u32_e32 v5, v8, v7
	v_mad_u32 v12, v5, s43, v10
	s_delay_alu instid0(VALU_DEP_3)
	v_mad_u32 v4, v5, s42, v4
	s_cbranch_scc1 .LBB175_1144
; %bb.1145:
	s_delay_alu instid0(VALU_DEP_2)
	v_mov_b32_e32 v5, v12
	s_and_b32 s6, s1, 3
	s_mov_b32 s1, 0
	s_cmp_eq_u32 s6, 0
	s_cbranch_scc0 .LBB175_1149
	s_branch .LBB175_1152
.LBB175_1146:
	s_mov_b32 s10, -1
                                        ; implicit-def: $vgpr12
                                        ; implicit-def: $vgpr4
	s_branch .LBB175_1152
.LBB175_1147:
	v_dual_mov_b32 v12, 0 :: v_dual_mov_b32 v4, 0
	s_branch .LBB175_1152
.LBB175_1148:
	v_mov_b64_e32 v[4:5], 0
	v_mov_b32_e32 v3, v2
	s_mov_b32 s0, 0
                                        ; implicit-def: $vgpr12
	s_and_b32 s6, s1, 3
	s_mov_b32 s1, 0
	s_cmp_eq_u32 s6, 0
	s_cbranch_scc1 .LBB175_1152
.LBB175_1149:
	s_lshl_b32 s4, s0, 3
	s_mov_b32 s5, s1
	s_mul_u64 s[12:13], s[0:1], 12
	s_add_nc_u64 s[4:5], s[2:3], s[4:5]
	s_delay_alu instid0(SALU_CYCLE_1)
	s_add_nc_u64 s[0:1], s[4:5], 0xc4
	s_add_nc_u64 s[4:5], s[2:3], s[12:13]
.LBB175_1150:                           ; =>This Inner Loop Header: Depth=1
	s_load_b96 s[12:14], s[4:5], 0x4
	s_add_co_i32 s6, s6, -1
	s_wait_xcnt 0x0
	s_add_nc_u64 s[4:5], s[4:5], 12
	s_cmp_lg_u32 s6, 0
	s_wait_loadcnt 0x0
	s_wait_kmcnt 0x0
	v_mul_hi_u32 v7, s13, v3
	s_delay_alu instid0(VALU_DEP_1) | instskip(NEXT) | instid1(VALU_DEP_1)
	v_add_nc_u32_e32 v7, v3, v7
	v_lshrrev_b32_e32 v7, s14, v7
	s_load_b64 s[14:15], s[0:1], 0x0
	s_wait_xcnt 0x0
	s_add_nc_u64 s[0:1], s[0:1], 8
	s_delay_alu instid0(VALU_DEP_1) | instskip(NEXT) | instid1(VALU_DEP_1)
	v_mul_lo_u32 v8, v7, s12
	v_sub_nc_u32_e32 v3, v3, v8
	s_wait_kmcnt 0x0
	s_delay_alu instid0(VALU_DEP_1)
	v_mad_u32 v5, v3, s15, v5
	v_mad_u32 v4, v3, s14, v4
	v_mov_b32_e32 v3, v7
	s_cbranch_scc1 .LBB175_1150
; %bb.1151:
	s_delay_alu instid0(VALU_DEP_3)
	v_mov_b32_e32 v12, v5
.LBB175_1152:
	s_and_not1_b32 vcc_lo, exec_lo, s10
	s_cbranch_vccnz .LBB175_1155
; %bb.1153:
	s_clause 0x1
	s_load_b96 s[4:6], s[2:3], 0x4
	s_load_b64 s[0:1], s[2:3], 0xc4
	s_cmp_lt_u32 s19, 2
	s_wait_kmcnt 0x0
	v_mul_hi_u32 v3, s5, v2
	s_delay_alu instid0(VALU_DEP_1) | instskip(NEXT) | instid1(VALU_DEP_1)
	v_add_nc_u32_e32 v3, v2, v3
	v_lshrrev_b32_e32 v3, s6, v3
	s_delay_alu instid0(VALU_DEP_1) | instskip(NEXT) | instid1(VALU_DEP_1)
	v_mul_lo_u32 v4, v3, s4
	v_sub_nc_u32_e32 v2, v2, v4
	s_delay_alu instid0(VALU_DEP_1)
	v_mul_lo_u32 v12, v2, s1
	v_mul_lo_u32 v4, v2, s0
	s_cbranch_scc1 .LBB175_1155
; %bb.1154:
	s_clause 0x1
	s_load_b96 s[4:6], s[2:3], 0x10
	s_load_b64 s[0:1], s[2:3], 0xcc
	s_wait_kmcnt 0x0
	v_mul_hi_u32 v2, s5, v3
	s_delay_alu instid0(VALU_DEP_1) | instskip(NEXT) | instid1(VALU_DEP_1)
	v_add_nc_u32_e32 v2, v3, v2
	v_lshrrev_b32_e32 v2, s6, v2
	s_delay_alu instid0(VALU_DEP_1) | instskip(NEXT) | instid1(VALU_DEP_1)
	v_mul_lo_u32 v2, v2, s4
	v_sub_nc_u32_e32 v2, v3, v2
	s_delay_alu instid0(VALU_DEP_1)
	v_mad_u32 v4, v2, s0, v4
	v_mad_u32 v12, v2, s1, v12
.LBB175_1155:
	v_cmp_ne_u32_e32 vcc_lo, 1, v1
	v_add_nc_u32_e32 v0, 0x100, v0
	s_cbranch_vccnz .LBB175_1161
; %bb.1156:
	s_cmp_lg_u32 s19, 0
	s_mov_b32 s10, 0
	s_cbranch_scc0 .LBB175_1162
; %bb.1157:
	s_min_u32 s1, s33, 15
	s_delay_alu instid0(SALU_CYCLE_1)
	s_add_co_i32 s1, s1, 1
	s_cmp_eq_u32 s33, 2
	s_cbranch_scc1 .LBB175_1163
; %bb.1158:
	v_dual_mov_b32 v2, 0 :: v_dual_mov_b32 v10, 0
	v_mov_b32_e32 v5, v0
	s_and_b32 s0, s1, 28
	s_add_nc_u64 s[4:5], s[2:3], 0xc4
	s_mov_b32 s11, 0
	s_mov_b64 s[6:7], s[2:3]
.LBB175_1159:                           ; =>This Inner Loop Header: Depth=1
	s_clause 0x1
	s_load_b256 s[20:27], s[6:7], 0x4
	s_load_b128 s[12:15], s[6:7], 0x24
	s_load_b256 s[36:43], s[4:5], 0x0
	s_add_co_i32 s11, s11, 4
	s_wait_xcnt 0x0
	s_add_nc_u64 s[6:7], s[6:7], 48
	s_cmp_lg_u32 s0, s11
	s_add_nc_u64 s[4:5], s[4:5], 32
	s_wait_kmcnt 0x0
	v_mul_hi_u32 v3, s21, v5
	s_delay_alu instid0(VALU_DEP_1) | instskip(NEXT) | instid1(VALU_DEP_1)
	v_add_nc_u32_e32 v3, v5, v3
	v_lshrrev_b32_e32 v3, s22, v3
	s_wait_loadcnt 0x0
	s_delay_alu instid0(VALU_DEP_1) | instskip(NEXT) | instid1(VALU_DEP_1)
	v_mul_hi_u32 v7, s24, v3
	v_add_nc_u32_e32 v7, v3, v7
	s_delay_alu instid0(VALU_DEP_1) | instskip(NEXT) | instid1(VALU_DEP_1)
	v_lshrrev_b32_e32 v7, s25, v7
	v_mul_hi_u32 v8, s27, v7
	s_delay_alu instid0(VALU_DEP_1) | instskip(NEXT) | instid1(VALU_DEP_1)
	v_add_nc_u32_e32 v8, v7, v8
	v_lshrrev_b32_e32 v8, s12, v8
	v_mul_lo_u32 v11, v3, s20
	s_delay_alu instid0(VALU_DEP_2) | instskip(NEXT) | instid1(VALU_DEP_2)
	v_mul_hi_u32 v13, s14, v8
	v_sub_nc_u32_e32 v5, v5, v11
	s_delay_alu instid0(VALU_DEP_1) | instskip(SKIP_1) | instid1(VALU_DEP_4)
	v_mad_u32 v10, v5, s37, v10
	v_mad_u32 v2, v5, s36, v2
	v_add_nc_u32_e32 v5, v8, v13
	s_delay_alu instid0(VALU_DEP_1) | instskip(SKIP_1) | instid1(VALU_DEP_1)
	v_lshrrev_b32_e32 v5, s15, v5
	v_mul_lo_u32 v11, v7, s23
	v_sub_nc_u32_e32 v3, v3, v11
	v_mul_lo_u32 v11, v8, s26
	s_delay_alu instid0(VALU_DEP_2) | instskip(SKIP_1) | instid1(VALU_DEP_3)
	v_mad_u32 v10, v3, s39, v10
	v_mad_u32 v2, v3, s38, v2
	v_sub_nc_u32_e32 v3, v7, v11
	v_mul_lo_u32 v7, v5, s13
	s_delay_alu instid0(VALU_DEP_2) | instskip(NEXT) | instid1(VALU_DEP_4)
	v_mad_u32 v10, v3, s41, v10
	v_mad_u32 v2, v3, s40, v2
	s_delay_alu instid0(VALU_DEP_3) | instskip(NEXT) | instid1(VALU_DEP_1)
	v_sub_nc_u32_e32 v3, v8, v7
	v_mad_u32 v10, v3, s43, v10
	s_delay_alu instid0(VALU_DEP_3)
	v_mad_u32 v2, v3, s42, v2
	s_cbranch_scc1 .LBB175_1159
; %bb.1160:
	s_delay_alu instid0(VALU_DEP_2)
	v_mov_b32_e32 v3, v10
	s_and_b32 s6, s1, 3
	s_mov_b32 s1, 0
	s_cmp_eq_u32 s6, 0
	s_cbranch_scc0 .LBB175_1164
	s_branch .LBB175_1167
.LBB175_1161:
	s_mov_b32 s10, -1
                                        ; implicit-def: $vgpr10
                                        ; implicit-def: $vgpr2
	s_branch .LBB175_1167
.LBB175_1162:
	v_dual_mov_b32 v10, 0 :: v_dual_mov_b32 v2, 0
	s_branch .LBB175_1167
.LBB175_1163:
	v_mov_b64_e32 v[2:3], 0
	v_mov_b32_e32 v5, v0
	s_mov_b32 s0, 0
                                        ; implicit-def: $vgpr10
	s_and_b32 s6, s1, 3
	s_mov_b32 s1, 0
	s_cmp_eq_u32 s6, 0
	s_cbranch_scc1 .LBB175_1167
.LBB175_1164:
	s_lshl_b32 s4, s0, 3
	s_mov_b32 s5, s1
	s_mul_u64 s[12:13], s[0:1], 12
	s_add_nc_u64 s[4:5], s[2:3], s[4:5]
	s_delay_alu instid0(SALU_CYCLE_1)
	s_add_nc_u64 s[0:1], s[4:5], 0xc4
	s_add_nc_u64 s[4:5], s[2:3], s[12:13]
.LBB175_1165:                           ; =>This Inner Loop Header: Depth=1
	s_load_b96 s[12:14], s[4:5], 0x4
	s_add_co_i32 s6, s6, -1
	s_wait_xcnt 0x0
	s_add_nc_u64 s[4:5], s[4:5], 12
	s_cmp_lg_u32 s6, 0
	s_wait_loadcnt 0x0
	s_wait_kmcnt 0x0
	v_mul_hi_u32 v7, s13, v5
	s_delay_alu instid0(VALU_DEP_1) | instskip(NEXT) | instid1(VALU_DEP_1)
	v_add_nc_u32_e32 v7, v5, v7
	v_lshrrev_b32_e32 v7, s14, v7
	s_load_b64 s[14:15], s[0:1], 0x0
	s_wait_xcnt 0x0
	s_add_nc_u64 s[0:1], s[0:1], 8
	s_delay_alu instid0(VALU_DEP_1) | instskip(NEXT) | instid1(VALU_DEP_1)
	v_mul_lo_u32 v8, v7, s12
	v_sub_nc_u32_e32 v5, v5, v8
	s_wait_kmcnt 0x0
	s_delay_alu instid0(VALU_DEP_1)
	v_mad_u32 v3, v5, s15, v3
	v_mad_u32 v2, v5, s14, v2
	v_mov_b32_e32 v5, v7
	s_cbranch_scc1 .LBB175_1165
; %bb.1166:
	s_delay_alu instid0(VALU_DEP_3)
	v_mov_b32_e32 v10, v3
.LBB175_1167:
	s_and_not1_b32 vcc_lo, exec_lo, s10
	s_cbranch_vccnz .LBB175_1170
; %bb.1168:
	s_clause 0x1
	s_load_b96 s[4:6], s[2:3], 0x4
	s_load_b64 s[0:1], s[2:3], 0xc4
	s_cmp_lt_u32 s19, 2
	s_wait_kmcnt 0x0
	v_mul_hi_u32 v2, s5, v0
	s_delay_alu instid0(VALU_DEP_1) | instskip(NEXT) | instid1(VALU_DEP_1)
	v_add_nc_u32_e32 v2, v0, v2
	v_lshrrev_b32_e32 v3, s6, v2
	s_delay_alu instid0(VALU_DEP_1) | instskip(NEXT) | instid1(VALU_DEP_1)
	v_mul_lo_u32 v2, v3, s4
	v_sub_nc_u32_e32 v0, v0, v2
	s_delay_alu instid0(VALU_DEP_1)
	v_mul_lo_u32 v10, v0, s1
	v_mul_lo_u32 v2, v0, s0
	s_cbranch_scc1 .LBB175_1170
; %bb.1169:
	s_clause 0x1
	s_load_b96 s[4:6], s[2:3], 0x10
	s_load_b64 s[0:1], s[2:3], 0xcc
	s_wait_kmcnt 0x0
	v_mul_hi_u32 v0, s5, v3
	s_delay_alu instid0(VALU_DEP_1) | instskip(NEXT) | instid1(VALU_DEP_1)
	v_add_nc_u32_e32 v0, v3, v0
	v_lshrrev_b32_e32 v0, s6, v0
	s_delay_alu instid0(VALU_DEP_1) | instskip(NEXT) | instid1(VALU_DEP_1)
	v_mul_lo_u32 v0, v0, s4
	v_sub_nc_u32_e32 v0, v3, v0
	s_delay_alu instid0(VALU_DEP_1)
	v_mad_u32 v2, v0, s0, v2
	v_mad_u32 v10, v0, s1, v10
.LBB175_1170:
	v_cmp_ne_u32_e32 vcc_lo, 1, v1
	s_cbranch_vccnz .LBB175_1176
; %bb.1171:
	s_cmp_lg_u32 s19, 0
	s_mov_b32 s10, 0
	s_cbranch_scc0 .LBB175_1177
; %bb.1172:
	s_min_u32 s1, s33, 15
	s_delay_alu instid0(SALU_CYCLE_1)
	s_add_co_i32 s1, s1, 1
	s_cmp_eq_u32 s33, 2
	s_cbranch_scc1 .LBB175_1178
; %bb.1173:
	v_dual_mov_b32 v0, 0 :: v_dual_mov_b32 v8, 0
	v_mov_b32_e32 v3, v9
	s_and_b32 s0, s1, 28
	s_add_nc_u64 s[4:5], s[2:3], 0xc4
	s_mov_b32 s11, 0
	s_mov_b64 s[6:7], s[2:3]
.LBB175_1174:                           ; =>This Inner Loop Header: Depth=1
	s_clause 0x1
	s_load_b256 s[20:27], s[6:7], 0x4
	s_load_b128 s[12:15], s[6:7], 0x24
	s_load_b256 s[36:43], s[4:5], 0x0
	s_add_co_i32 s11, s11, 4
	s_wait_xcnt 0x0
	s_add_nc_u64 s[6:7], s[6:7], 48
	s_cmp_lg_u32 s0, s11
	s_add_nc_u64 s[4:5], s[4:5], 32
	s_wait_kmcnt 0x0
	v_mul_hi_u32 v1, s21, v3
	s_delay_alu instid0(VALU_DEP_1) | instskip(NEXT) | instid1(VALU_DEP_1)
	v_add_nc_u32_e32 v1, v3, v1
	v_lshrrev_b32_e32 v1, s22, v1
	s_delay_alu instid0(VALU_DEP_1) | instskip(NEXT) | instid1(VALU_DEP_1)
	v_mul_lo_u32 v11, v1, s20
	v_sub_nc_u32_e32 v3, v3, v11
	v_mul_hi_u32 v5, s24, v1
	s_delay_alu instid0(VALU_DEP_2) | instskip(SKIP_1) | instid1(VALU_DEP_3)
	v_mad_u32 v8, v3, s37, v8
	v_mad_u32 v0, v3, s36, v0
	v_add_nc_u32_e32 v5, v1, v5
	s_delay_alu instid0(VALU_DEP_1) | instskip(NEXT) | instid1(VALU_DEP_1)
	v_lshrrev_b32_e32 v5, s25, v5
	v_mul_lo_u32 v11, v5, s23
	s_delay_alu instid0(VALU_DEP_1) | instskip(SKIP_2) | instid1(VALU_DEP_2)
	v_sub_nc_u32_e32 v1, v1, v11
	s_wait_loadcnt 0x0
	v_mul_hi_u32 v7, s27, v5
	v_mad_u32 v8, v1, s39, v8
	v_mad_u32 v0, v1, s38, v0
	s_delay_alu instid0(VALU_DEP_3) | instskip(NEXT) | instid1(VALU_DEP_1)
	v_add_nc_u32_e32 v7, v5, v7
	v_lshrrev_b32_e32 v7, s12, v7
	s_delay_alu instid0(VALU_DEP_1) | instskip(SKIP_1) | instid1(VALU_DEP_1)
	v_mul_hi_u32 v13, s14, v7
	v_mul_lo_u32 v11, v7, s26
	v_dual_add_nc_u32 v3, v7, v13 :: v_dual_sub_nc_u32 v1, v5, v11
	s_delay_alu instid0(VALU_DEP_1) | instskip(NEXT) | instid1(VALU_DEP_2)
	v_lshrrev_b32_e32 v3, s15, v3
	v_mad_u32 v8, v1, s41, v8
	v_mad_u32 v0, v1, s40, v0
	s_delay_alu instid0(VALU_DEP_3) | instskip(NEXT) | instid1(VALU_DEP_1)
	v_mul_lo_u32 v5, v3, s13
	v_sub_nc_u32_e32 v1, v7, v5
	s_delay_alu instid0(VALU_DEP_1) | instskip(NEXT) | instid1(VALU_DEP_4)
	v_mad_u32 v8, v1, s43, v8
	v_mad_u32 v0, v1, s42, v0
	s_cbranch_scc1 .LBB175_1174
; %bb.1175:
	s_delay_alu instid0(VALU_DEP_2)
	v_mov_b32_e32 v1, v8
	s_and_b32 s6, s1, 3
	s_mov_b32 s1, 0
	s_cmp_eq_u32 s6, 0
	s_cbranch_scc0 .LBB175_1179
	s_branch .LBB175_1182
.LBB175_1176:
	s_mov_b32 s10, -1
                                        ; implicit-def: $vgpr8
                                        ; implicit-def: $vgpr0
	s_branch .LBB175_1182
.LBB175_1177:
	v_dual_mov_b32 v8, 0 :: v_dual_mov_b32 v0, 0
	s_branch .LBB175_1182
.LBB175_1178:
	v_mov_b64_e32 v[0:1], 0
	v_mov_b32_e32 v3, v9
	s_mov_b32 s0, 0
                                        ; implicit-def: $vgpr8
	s_and_b32 s6, s1, 3
	s_mov_b32 s1, 0
	s_cmp_eq_u32 s6, 0
	s_cbranch_scc1 .LBB175_1182
.LBB175_1179:
	s_lshl_b32 s4, s0, 3
	s_mov_b32 s5, s1
	s_mul_u64 s[12:13], s[0:1], 12
	s_add_nc_u64 s[4:5], s[2:3], s[4:5]
	s_delay_alu instid0(SALU_CYCLE_1)
	s_add_nc_u64 s[0:1], s[4:5], 0xc4
	s_add_nc_u64 s[4:5], s[2:3], s[12:13]
.LBB175_1180:                           ; =>This Inner Loop Header: Depth=1
	s_load_b96 s[12:14], s[4:5], 0x4
	s_add_co_i32 s6, s6, -1
	s_wait_xcnt 0x0
	s_add_nc_u64 s[4:5], s[4:5], 12
	s_cmp_lg_u32 s6, 0
	s_wait_kmcnt 0x0
	v_mul_hi_u32 v5, s13, v3
	s_delay_alu instid0(VALU_DEP_1) | instskip(NEXT) | instid1(VALU_DEP_1)
	v_add_nc_u32_e32 v5, v3, v5
	v_lshrrev_b32_e32 v5, s14, v5
	s_load_b64 s[14:15], s[0:1], 0x0
	s_wait_xcnt 0x0
	s_add_nc_u64 s[0:1], s[0:1], 8
	s_wait_loadcnt 0x0
	v_mul_lo_u32 v7, v5, s12
	s_delay_alu instid0(VALU_DEP_1) | instskip(SKIP_1) | instid1(VALU_DEP_1)
	v_sub_nc_u32_e32 v3, v3, v7
	s_wait_kmcnt 0x0
	v_mad_u32 v1, v3, s15, v1
	v_mad_u32 v0, v3, s14, v0
	v_mov_b32_e32 v3, v5
	s_cbranch_scc1 .LBB175_1180
; %bb.1181:
	s_delay_alu instid0(VALU_DEP_3)
	v_mov_b32_e32 v8, v1
.LBB175_1182:
	s_and_not1_b32 vcc_lo, exec_lo, s10
	s_cbranch_vccnz .LBB175_1185
; %bb.1183:
	s_clause 0x1
	s_load_b96 s[4:6], s[2:3], 0x4
	s_load_b64 s[0:1], s[2:3], 0xc4
	s_cmp_lt_u32 s19, 2
	s_wait_kmcnt 0x0
	v_mul_hi_u32 v0, s5, v9
	s_delay_alu instid0(VALU_DEP_1) | instskip(NEXT) | instid1(VALU_DEP_1)
	v_add_nc_u32_e32 v0, v9, v0
	v_lshrrev_b32_e32 v1, s6, v0
	s_delay_alu instid0(VALU_DEP_1) | instskip(NEXT) | instid1(VALU_DEP_1)
	v_mul_lo_u32 v0, v1, s4
	v_sub_nc_u32_e32 v0, v9, v0
	s_delay_alu instid0(VALU_DEP_1)
	v_mul_lo_u32 v8, v0, s1
	v_mul_lo_u32 v0, v0, s0
	s_cbranch_scc1 .LBB175_1185
; %bb.1184:
	s_clause 0x1
	s_load_b96 s[4:6], s[2:3], 0x10
	s_load_b64 s[0:1], s[2:3], 0xcc
	s_wait_kmcnt 0x0
	v_mul_hi_u32 v3, s5, v1
	s_delay_alu instid0(VALU_DEP_1) | instskip(NEXT) | instid1(VALU_DEP_1)
	v_add_nc_u32_e32 v3, v1, v3
	v_lshrrev_b32_e32 v3, s6, v3
	s_delay_alu instid0(VALU_DEP_1) | instskip(NEXT) | instid1(VALU_DEP_1)
	v_mul_lo_u32 v3, v3, s4
	v_sub_nc_u32_e32 v1, v1, v3
	s_delay_alu instid0(VALU_DEP_1)
	v_mad_u32 v0, v1, s0, v0
	v_mad_u32 v8, v1, s1, v8
.LBB175_1185:
	v_mov_b32_e32 v15, 0
	s_load_b128 s[4:7], s[2:3], 0x148
	global_load_u8 v1, v15, s[2:3] offset:353
	s_wait_kmcnt 0x0
	v_add_nc_u64_e32 v[14:15], s[6:7], v[14:15]
	s_wait_loadcnt 0x0
	v_and_b32_e32 v3, 0xffff, v1
	v_readfirstlane_b32 s11, v1
	s_delay_alu instid0(VALU_DEP_2)
	v_cmp_gt_i32_e32 vcc_lo, 11, v3
	s_cbranch_vccnz .LBB175_1192
; %bb.1186:
	s_and_b32 s0, 0xffff, s11
	s_mov_b32 s12, 0
	s_cmp_gt_i32 s0, 25
	s_cbranch_scc0 .LBB175_1194
; %bb.1187:
	s_cmp_gt_i32 s0, 28
	s_cbranch_scc0 .LBB175_1195
; %bb.1188:
	;; [unrolled: 3-line block ×4, first 2 shown]
	s_cmp_eq_u32 s0, 46
	s_mov_b32 s10, 0
	s_cbranch_scc0 .LBB175_1200
; %bb.1191:
	global_load_b32 v1, v[14:15], off
	s_mov_b32 s1, 0
	s_mov_b32 s13, -1
	s_wait_loadcnt 0x0
	v_lshlrev_b32_e32 v1, 16, v1
	s_delay_alu instid0(VALU_DEP_1) | instskip(NEXT) | instid1(VALU_DEP_1)
	v_trunc_f32_e32 v1, v1
	v_mul_f32_e64 v3, 0x2f800000, |v1|
	s_delay_alu instid0(VALU_DEP_1) | instskip(NEXT) | instid1(VALU_DEP_1)
	v_floor_f32_e32 v3, v3
	v_fma_f32 v3, 0xcf800000, v3, |v1|
	v_ashrrev_i32_e32 v1, 31, v1
	s_delay_alu instid0(VALU_DEP_2) | instskip(NEXT) | instid1(VALU_DEP_1)
	v_cvt_u32_f32_e32 v3, v3
	v_xor_b32_e32 v3, v3, v1
	s_delay_alu instid0(VALU_DEP_1)
	v_sub_nc_u32_e32 v16, v3, v1
	s_branch .LBB175_1202
.LBB175_1192:
	s_mov_b32 s13, 0
	s_mov_b32 s10, s8
                                        ; implicit-def: $vgpr16
	s_cbranch_execnz .LBB175_1260
.LBB175_1193:
	s_and_not1_b32 vcc_lo, exec_lo, s13
	s_cbranch_vccz .LBB175_1305
	s_branch .LBB175_1719
.LBB175_1194:
	s_mov_b32 s13, 0
	s_mov_b32 s1, 0
                                        ; implicit-def: $vgpr16
	s_cbranch_execnz .LBB175_1227
	s_branch .LBB175_1256
.LBB175_1195:
	s_mov_b32 s13, 0
	s_mov_b32 s1, 0
                                        ; implicit-def: $vgpr16
	s_cbranch_execz .LBB175_1226
	s_branch .LBB175_1211
.LBB175_1196:
	s_mov_b32 s13, 0
	s_mov_b32 s1, 0
                                        ; implicit-def: $vgpr16
	s_cbranch_execnz .LBB175_1207
	s_branch .LBB175_1210
.LBB175_1197:
	s_mov_b32 s10, -1
	s_mov_b32 s13, 0
	s_mov_b32 s1, 0
	s_branch .LBB175_1201
.LBB175_1198:
	s_and_not1_saveexec_b32 s9, s9
	s_cbranch_execz .LBB175_1037
.LBB175_1199:
	v_add_f32_e32 v2, 0x46000000, v3
	s_and_not1_b32 s8, s8, exec_lo
	s_delay_alu instid0(VALU_DEP_1) | instskip(NEXT) | instid1(VALU_DEP_1)
	v_and_b32_e32 v2, 0xff, v2
	v_cmp_ne_u32_e32 vcc_lo, 0, v2
	s_and_b32 s10, vcc_lo, exec_lo
	s_delay_alu instid0(SALU_CYCLE_1)
	s_or_b32 s8, s8, s10
	s_or_b32 exec_lo, exec_lo, s9
	v_mov_b32_e32 v5, 0
	s_and_saveexec_b32 s9, s8
	s_cbranch_execnz .LBB175_1038
	s_branch .LBB175_1039
.LBB175_1200:
	s_mov_b32 s1, -1
	s_mov_b32 s13, 0
.LBB175_1201:
                                        ; implicit-def: $vgpr16
.LBB175_1202:
	s_and_b32 vcc_lo, exec_lo, s10
	s_cbranch_vccz .LBB175_1205
; %bb.1203:
	s_cmp_eq_u32 s0, 44
	s_cbranch_scc0 .LBB175_1206
; %bb.1204:
	global_load_u8 v1, v[14:15], off
	s_mov_b32 s1, 0
	s_mov_b32 s13, -1
	s_wait_loadcnt 0x0
	v_lshlrev_b32_e32 v3, 23, v1
	v_cmp_ne_u32_e32 vcc_lo, 0, v1
	s_delay_alu instid0(VALU_DEP_2) | instskip(NEXT) | instid1(VALU_DEP_1)
	v_trunc_f32_e32 v3, v3
	v_mul_f32_e64 v5, 0x2f800000, |v3|
	s_delay_alu instid0(VALU_DEP_1) | instskip(NEXT) | instid1(VALU_DEP_1)
	v_floor_f32_e32 v5, v5
	v_fma_f32 v5, 0xcf800000, v5, |v3|
	v_ashrrev_i32_e32 v3, 31, v3
	s_delay_alu instid0(VALU_DEP_2) | instskip(NEXT) | instid1(VALU_DEP_1)
	v_cvt_u32_f32_e32 v5, v5
	v_xor_b32_e32 v5, v5, v3
	s_delay_alu instid0(VALU_DEP_1) | instskip(NEXT) | instid1(VALU_DEP_1)
	v_sub_nc_u32_e32 v3, v5, v3
	v_cndmask_b32_e32 v16, 0, v3, vcc_lo
.LBB175_1205:
	s_branch .LBB175_1210
.LBB175_1206:
	s_mov_b32 s1, -1
                                        ; implicit-def: $vgpr16
	s_branch .LBB175_1210
.LBB175_1207:
	s_cmp_eq_u32 s0, 29
	s_cbranch_scc0 .LBB175_1209
; %bb.1208:
	global_load_b64 v[16:17], v[14:15], off
	s_mov_b32 s1, 0
	s_mov_b32 s13, -1
	s_branch .LBB175_1210
.LBB175_1209:
	s_mov_b32 s1, -1
                                        ; implicit-def: $vgpr16
.LBB175_1210:
	s_branch .LBB175_1226
.LBB175_1211:
	s_cmp_lt_i32 s0, 27
	s_cbranch_scc1 .LBB175_1214
; %bb.1212:
	s_cmp_gt_i32 s0, 27
	s_cbranch_scc0 .LBB175_1215
; %bb.1213:
	s_wait_loadcnt 0x0
	global_load_b32 v16, v[14:15], off
	s_mov_b32 s10, 0
	s_branch .LBB175_1216
.LBB175_1214:
	s_mov_b32 s10, -1
                                        ; implicit-def: $vgpr16
	s_branch .LBB175_1219
.LBB175_1215:
	s_mov_b32 s10, -1
                                        ; implicit-def: $vgpr16
.LBB175_1216:
	s_delay_alu instid0(SALU_CYCLE_1)
	s_and_not1_b32 vcc_lo, exec_lo, s10
	s_cbranch_vccnz .LBB175_1218
; %bb.1217:
	s_wait_loadcnt 0x0
	global_load_u16 v16, v[14:15], off
.LBB175_1218:
	s_mov_b32 s10, 0
.LBB175_1219:
	s_delay_alu instid0(SALU_CYCLE_1)
	s_and_not1_b32 vcc_lo, exec_lo, s10
	s_cbranch_vccnz .LBB175_1225
; %bb.1220:
	global_load_u8 v1, v[14:15], off
	s_mov_b32 s13, 0
	s_mov_b32 s10, exec_lo
	s_wait_loadcnt 0x0
	v_cmpx_lt_i16_e32 0x7f, v1
	s_xor_b32 s10, exec_lo, s10
	s_cbranch_execz .LBB175_1236
; %bb.1221:
	v_cmp_ne_u16_e32 vcc_lo, 0x80, v1
	s_and_b32 s13, vcc_lo, exec_lo
	s_and_not1_saveexec_b32 s10, s10
	s_cbranch_execnz .LBB175_1237
.LBB175_1222:
	s_or_b32 exec_lo, exec_lo, s10
	v_mov_b32_e32 v16, 0
	s_and_saveexec_b32 s10, s13
	s_cbranch_execz .LBB175_1224
.LBB175_1223:
	v_and_b32_e32 v3, 0xffff, v1
	s_delay_alu instid0(VALU_DEP_1) | instskip(SKIP_1) | instid1(VALU_DEP_2)
	v_dual_lshlrev_b32 v1, 24, v1 :: v_dual_bitop2_b32 v5, 7, v3 bitop3:0x40
	v_bfe_u32 v11, v3, 3, 4
	v_and_b32_e32 v1, 0x80000000, v1
	s_delay_alu instid0(VALU_DEP_3) | instskip(NEXT) | instid1(VALU_DEP_3)
	v_clz_i32_u32_e32 v7, v5
	v_cmp_eq_u32_e32 vcc_lo, 0, v11
	s_delay_alu instid0(VALU_DEP_2) | instskip(NEXT) | instid1(VALU_DEP_1)
	v_min_u32_e32 v7, 32, v7
	v_subrev_nc_u32_e32 v9, 28, v7
	v_sub_nc_u32_e32 v7, 29, v7
	s_delay_alu instid0(VALU_DEP_2) | instskip(NEXT) | instid1(VALU_DEP_2)
	v_lshlrev_b32_e32 v3, v9, v3
	v_cndmask_b32_e32 v7, v11, v7, vcc_lo
	s_delay_alu instid0(VALU_DEP_2) | instskip(NEXT) | instid1(VALU_DEP_1)
	v_and_b32_e32 v3, 7, v3
	v_cndmask_b32_e32 v3, v5, v3, vcc_lo
	s_delay_alu instid0(VALU_DEP_3) | instskip(NEXT) | instid1(VALU_DEP_2)
	v_lshl_add_u32 v5, v7, 23, 0x3b800000
	v_lshlrev_b32_e32 v3, 20, v3
	s_delay_alu instid0(VALU_DEP_1) | instskip(NEXT) | instid1(VALU_DEP_1)
	v_or3_b32 v1, v1, v5, v3
	v_trunc_f32_e32 v1, v1
	s_delay_alu instid0(VALU_DEP_1) | instskip(NEXT) | instid1(VALU_DEP_1)
	v_mul_f32_e64 v3, 0x2f800000, |v1|
	v_floor_f32_e32 v3, v3
	s_delay_alu instid0(VALU_DEP_1) | instskip(SKIP_1) | instid1(VALU_DEP_2)
	v_fma_f32 v3, 0xcf800000, v3, |v1|
	v_ashrrev_i32_e32 v1, 31, v1
	v_cvt_u32_f32_e32 v3, v3
	s_delay_alu instid0(VALU_DEP_1) | instskip(NEXT) | instid1(VALU_DEP_1)
	v_xor_b32_e32 v3, v3, v1
	v_sub_nc_u32_e32 v16, v3, v1
.LBB175_1224:
	s_or_b32 exec_lo, exec_lo, s10
.LBB175_1225:
	s_mov_b32 s13, -1
.LBB175_1226:
	s_branch .LBB175_1256
.LBB175_1227:
	s_cmp_gt_i32 s0, 22
	s_cbranch_scc0 .LBB175_1235
; %bb.1228:
	s_cmp_lt_i32 s0, 24
	s_cbranch_scc1 .LBB175_1238
; %bb.1229:
	s_cmp_gt_i32 s0, 24
	s_cbranch_scc0 .LBB175_1239
; %bb.1230:
	global_load_u8 v1, v[14:15], off
	s_mov_b32 s10, exec_lo
	s_wait_loadcnt 0x0
	v_cmpx_lt_i16_e32 0x7f, v1
	s_xor_b32 s10, exec_lo, s10
	s_cbranch_execz .LBB175_1250
; %bb.1231:
	v_cmp_ne_u16_e32 vcc_lo, 0x80, v1
	s_and_b32 s12, vcc_lo, exec_lo
	s_and_not1_saveexec_b32 s10, s10
	s_cbranch_execnz .LBB175_1251
.LBB175_1232:
	s_or_b32 exec_lo, exec_lo, s10
	v_mov_b32_e32 v16, 0
	s_and_saveexec_b32 s10, s12
	s_cbranch_execz .LBB175_1234
.LBB175_1233:
	v_and_b32_e32 v3, 0xffff, v1
	s_delay_alu instid0(VALU_DEP_1) | instskip(SKIP_1) | instid1(VALU_DEP_2)
	v_dual_lshlrev_b32 v1, 24, v1 :: v_dual_bitop2_b32 v5, 3, v3 bitop3:0x40
	v_bfe_u32 v11, v3, 2, 5
	v_and_b32_e32 v1, 0x80000000, v1
	s_delay_alu instid0(VALU_DEP_3) | instskip(NEXT) | instid1(VALU_DEP_3)
	v_clz_i32_u32_e32 v7, v5
	v_cmp_eq_u32_e32 vcc_lo, 0, v11
	s_delay_alu instid0(VALU_DEP_2) | instskip(NEXT) | instid1(VALU_DEP_1)
	v_min_u32_e32 v7, 32, v7
	v_subrev_nc_u32_e32 v9, 29, v7
	v_sub_nc_u32_e32 v7, 30, v7
	s_delay_alu instid0(VALU_DEP_2) | instskip(NEXT) | instid1(VALU_DEP_2)
	v_lshlrev_b32_e32 v3, v9, v3
	v_cndmask_b32_e32 v7, v11, v7, vcc_lo
	s_delay_alu instid0(VALU_DEP_2) | instskip(NEXT) | instid1(VALU_DEP_1)
	v_and_b32_e32 v3, 3, v3
	v_cndmask_b32_e32 v3, v5, v3, vcc_lo
	s_delay_alu instid0(VALU_DEP_3) | instskip(NEXT) | instid1(VALU_DEP_2)
	v_lshl_add_u32 v5, v7, 23, 0x37800000
	v_lshlrev_b32_e32 v3, 21, v3
	s_delay_alu instid0(VALU_DEP_1) | instskip(NEXT) | instid1(VALU_DEP_1)
	v_or3_b32 v1, v1, v5, v3
	v_trunc_f32_e32 v1, v1
	s_delay_alu instid0(VALU_DEP_1) | instskip(NEXT) | instid1(VALU_DEP_1)
	v_mul_f32_e64 v3, 0x2f800000, |v1|
	v_floor_f32_e32 v3, v3
	s_delay_alu instid0(VALU_DEP_1) | instskip(SKIP_1) | instid1(VALU_DEP_2)
	v_fma_f32 v3, 0xcf800000, v3, |v1|
	v_ashrrev_i32_e32 v1, 31, v1
	v_cvt_u32_f32_e32 v3, v3
	s_delay_alu instid0(VALU_DEP_1) | instskip(NEXT) | instid1(VALU_DEP_1)
	v_xor_b32_e32 v3, v3, v1
	v_sub_nc_u32_e32 v16, v3, v1
.LBB175_1234:
	s_or_b32 exec_lo, exec_lo, s10
	s_mov_b32 s10, 0
	s_branch .LBB175_1240
.LBB175_1235:
                                        ; implicit-def: $vgpr16
	s_mov_b32 s12, 0
	s_branch .LBB175_1246
.LBB175_1236:
	s_and_not1_saveexec_b32 s10, s10
	s_cbranch_execz .LBB175_1222
.LBB175_1237:
	v_cmp_ne_u16_e32 vcc_lo, 0, v1
	s_and_not1_b32 s13, s13, exec_lo
	s_and_b32 s14, vcc_lo, exec_lo
	s_delay_alu instid0(SALU_CYCLE_1)
	s_or_b32 s13, s13, s14
	s_or_b32 exec_lo, exec_lo, s10
	v_mov_b32_e32 v16, 0
	s_and_saveexec_b32 s10, s13
	s_cbranch_execnz .LBB175_1223
	s_branch .LBB175_1224
.LBB175_1238:
	s_mov_b32 s10, -1
                                        ; implicit-def: $vgpr16
	s_branch .LBB175_1243
.LBB175_1239:
	s_mov_b32 s10, -1
                                        ; implicit-def: $vgpr16
.LBB175_1240:
	s_delay_alu instid0(SALU_CYCLE_1)
	s_and_b32 vcc_lo, exec_lo, s10
	s_cbranch_vccz .LBB175_1242
; %bb.1241:
	global_load_u8 v1, v[14:15], off
	s_wait_loadcnt 0x0
	v_lshlrev_b32_e32 v1, 24, v1
	s_delay_alu instid0(VALU_DEP_1) | instskip(NEXT) | instid1(VALU_DEP_1)
	v_and_b32_e32 v3, 0x7f000000, v1
	v_clz_i32_u32_e32 v5, v3
	v_add_nc_u32_e32 v9, 0x1000000, v3
	v_cmp_ne_u32_e32 vcc_lo, 0, v3
	s_delay_alu instid0(VALU_DEP_3) | instskip(NEXT) | instid1(VALU_DEP_1)
	v_min_u32_e32 v5, 32, v5
	v_sub_nc_u32_e64 v5, v5, 4 clamp
	s_delay_alu instid0(VALU_DEP_1) | instskip(NEXT) | instid1(VALU_DEP_1)
	v_dual_lshlrev_b32 v7, v5, v3 :: v_dual_lshlrev_b32 v5, 23, v5
	v_lshrrev_b32_e32 v7, 4, v7
	s_delay_alu instid0(VALU_DEP_1) | instskip(SKIP_1) | instid1(VALU_DEP_2)
	v_sub_nc_u32_e32 v5, v7, v5
	v_ashrrev_i32_e32 v7, 8, v9
	v_add_nc_u32_e32 v5, 0x3c000000, v5
	s_delay_alu instid0(VALU_DEP_1) | instskip(NEXT) | instid1(VALU_DEP_1)
	v_and_or_b32 v5, 0x7f800000, v7, v5
	v_cndmask_b32_e32 v3, 0, v5, vcc_lo
	s_delay_alu instid0(VALU_DEP_1) | instskip(NEXT) | instid1(VALU_DEP_1)
	v_and_or_b32 v1, 0x80000000, v1, v3
	v_trunc_f32_e32 v1, v1
	s_delay_alu instid0(VALU_DEP_1) | instskip(NEXT) | instid1(VALU_DEP_1)
	v_mul_f32_e64 v3, 0x2f800000, |v1|
	v_floor_f32_e32 v3, v3
	s_delay_alu instid0(VALU_DEP_1) | instskip(SKIP_1) | instid1(VALU_DEP_2)
	v_fma_f32 v3, 0xcf800000, v3, |v1|
	v_ashrrev_i32_e32 v1, 31, v1
	v_cvt_u32_f32_e32 v3, v3
	s_delay_alu instid0(VALU_DEP_1) | instskip(NEXT) | instid1(VALU_DEP_1)
	v_xor_b32_e32 v3, v3, v1
	v_sub_nc_u32_e32 v16, v3, v1
.LBB175_1242:
	s_mov_b32 s10, 0
.LBB175_1243:
	s_delay_alu instid0(SALU_CYCLE_1)
	s_and_not1_b32 vcc_lo, exec_lo, s10
	s_cbranch_vccnz .LBB175_1245
; %bb.1244:
	global_load_u8 v1, v[14:15], off
	s_wait_loadcnt 0x0
	v_lshlrev_b32_e32 v3, 25, v1
	v_lshlrev_b16 v1, 8, v1
	s_delay_alu instid0(VALU_DEP_1) | instskip(SKIP_1) | instid1(VALU_DEP_2)
	v_and_or_b32 v7, 0x7f00, v1, 0.5
	v_bfe_i32 v1, v1, 0, 16
	v_add_f32_e32 v7, -0.5, v7
	v_lshrrev_b32_e32 v5, 4, v3
	v_cmp_gt_u32_e32 vcc_lo, 0x8000000, v3
	s_delay_alu instid0(VALU_DEP_2) | instskip(NEXT) | instid1(VALU_DEP_1)
	v_or_b32_e32 v5, 0x70000000, v5
	v_mul_f32_e32 v5, 0x7800000, v5
	s_delay_alu instid0(VALU_DEP_1) | instskip(NEXT) | instid1(VALU_DEP_1)
	v_cndmask_b32_e32 v3, v5, v7, vcc_lo
	v_and_or_b32 v1, 0x80000000, v1, v3
	s_delay_alu instid0(VALU_DEP_1) | instskip(NEXT) | instid1(VALU_DEP_1)
	v_trunc_f32_e32 v1, v1
	v_mul_f32_e64 v3, 0x2f800000, |v1|
	s_delay_alu instid0(VALU_DEP_1) | instskip(NEXT) | instid1(VALU_DEP_1)
	v_floor_f32_e32 v3, v3
	v_fma_f32 v3, 0xcf800000, v3, |v1|
	v_ashrrev_i32_e32 v1, 31, v1
	s_delay_alu instid0(VALU_DEP_2) | instskip(NEXT) | instid1(VALU_DEP_1)
	v_cvt_u32_f32_e32 v3, v3
	v_xor_b32_e32 v3, v3, v1
	s_delay_alu instid0(VALU_DEP_1)
	v_sub_nc_u32_e32 v16, v3, v1
.LBB175_1245:
	s_mov_b32 s13, -1
	s_mov_b32 s12, 0
	s_cbranch_execnz .LBB175_1256
.LBB175_1246:
	s_cmp_gt_i32 s0, 14
	s_cbranch_scc0 .LBB175_1249
; %bb.1247:
	s_cmp_eq_u32 s0, 15
	s_cbranch_scc0 .LBB175_1252
; %bb.1248:
	global_load_u16 v1, v[14:15], off
	s_mov_b32 s1, 0
	s_mov_b32 s13, -1
	s_wait_loadcnt 0x0
	v_lshlrev_b32_e32 v1, 16, v1
	s_delay_alu instid0(VALU_DEP_1) | instskip(NEXT) | instid1(VALU_DEP_1)
	v_trunc_f32_e32 v1, v1
	v_mul_f32_e64 v3, 0x2f800000, |v1|
	s_delay_alu instid0(VALU_DEP_1) | instskip(NEXT) | instid1(VALU_DEP_1)
	v_floor_f32_e32 v3, v3
	v_fma_f32 v3, 0xcf800000, v3, |v1|
	v_ashrrev_i32_e32 v1, 31, v1
	s_delay_alu instid0(VALU_DEP_2) | instskip(NEXT) | instid1(VALU_DEP_1)
	v_cvt_u32_f32_e32 v3, v3
	v_xor_b32_e32 v3, v3, v1
	s_delay_alu instid0(VALU_DEP_1)
	v_sub_nc_u32_e32 v16, v3, v1
	s_branch .LBB175_1253
.LBB175_1249:
	s_mov_b32 s10, -1
                                        ; implicit-def: $vgpr16
	s_branch .LBB175_1254
.LBB175_1250:
	s_and_not1_saveexec_b32 s10, s10
	s_cbranch_execz .LBB175_1232
.LBB175_1251:
	v_cmp_ne_u16_e32 vcc_lo, 0, v1
	s_and_not1_b32 s12, s12, exec_lo
	s_and_b32 s13, vcc_lo, exec_lo
	s_delay_alu instid0(SALU_CYCLE_1)
	s_or_b32 s12, s12, s13
	s_or_b32 exec_lo, exec_lo, s10
	v_mov_b32_e32 v16, 0
	s_and_saveexec_b32 s10, s12
	s_cbranch_execnz .LBB175_1233
	s_branch .LBB175_1234
.LBB175_1252:
	s_mov_b32 s1, -1
                                        ; implicit-def: $vgpr16
.LBB175_1253:
	s_mov_b32 s10, 0
.LBB175_1254:
	s_delay_alu instid0(SALU_CYCLE_1)
	s_and_b32 vcc_lo, exec_lo, s10
	s_cbranch_vccz .LBB175_1256
; %bb.1255:
	s_cmp_lg_u32 s0, 11
	s_mov_b32 s12, -1
	s_cselect_b32 s1, -1, 0
.LBB175_1256:
	s_delay_alu instid0(SALU_CYCLE_1)
	s_and_b32 vcc_lo, exec_lo, s1
	s_mov_b32 s10, s8
	s_cbranch_vccnz .LBB175_1327
; %bb.1257:
	s_and_not1_b32 vcc_lo, exec_lo, s12
	s_cbranch_vccnz .LBB175_1259
.LBB175_1258:
	global_load_u8 v1, v[14:15], off
	s_mov_b32 s13, -1
	s_wait_loadcnt 0x0
	v_cmp_ne_u16_e32 vcc_lo, 0, v1
	v_cndmask_b32_e64 v16, 0, 1, vcc_lo
.LBB175_1259:
	s_branch .LBB175_1193
.LBB175_1260:
	s_and_b32 s0, 0xffff, s11
	s_delay_alu instid0(SALU_CYCLE_1)
	s_cmp_lt_i32 s0, 5
	s_cbranch_scc1 .LBB175_1265
; %bb.1261:
	s_cmp_lt_i32 s0, 8
	s_cbranch_scc1 .LBB175_1266
; %bb.1262:
	;; [unrolled: 3-line block ×3, first 2 shown]
	s_cmp_gt_i32 s0, 9
	s_cbranch_scc0 .LBB175_1268
; %bb.1264:
	s_wait_loadcnt 0x0
	global_load_b64 v[16:17], v[14:15], off
	s_mov_b32 s1, 0
	s_wait_loadcnt 0x0
	v_trunc_f64_e32 v[16:17], v[16:17]
	s_delay_alu instid0(VALU_DEP_1) | instskip(NEXT) | instid1(VALU_DEP_1)
	v_ldexp_f64 v[18:19], v[16:17], 0xffffffe0
	v_floor_f64_e32 v[18:19], v[18:19]
	s_delay_alu instid0(VALU_DEP_1) | instskip(NEXT) | instid1(VALU_DEP_1)
	v_fmamk_f64 v[16:17], v[18:19], 0xc1f00000, v[16:17]
	v_cvt_u32_f64_e32 v16, v[16:17]
	s_branch .LBB175_1269
.LBB175_1265:
                                        ; implicit-def: $vgpr16
	s_branch .LBB175_1286
.LBB175_1266:
                                        ; implicit-def: $vgpr16
	s_branch .LBB175_1275
.LBB175_1267:
	s_mov_b32 s1, -1
                                        ; implicit-def: $vgpr16
	s_branch .LBB175_1272
.LBB175_1268:
	s_mov_b32 s1, -1
                                        ; implicit-def: $vgpr16
.LBB175_1269:
	s_delay_alu instid0(SALU_CYCLE_1)
	s_and_not1_b32 vcc_lo, exec_lo, s1
	s_cbranch_vccnz .LBB175_1271
; %bb.1270:
	global_load_b32 v1, v[14:15], off
	s_wait_loadcnt 0x0
	v_trunc_f32_e32 v1, v1
	s_delay_alu instid0(VALU_DEP_1) | instskip(NEXT) | instid1(VALU_DEP_1)
	v_mul_f32_e64 v3, 0x2f800000, |v1|
	v_floor_f32_e32 v3, v3
	s_delay_alu instid0(VALU_DEP_1) | instskip(SKIP_1) | instid1(VALU_DEP_2)
	v_fma_f32 v3, 0xcf800000, v3, |v1|
	v_ashrrev_i32_e32 v1, 31, v1
	v_cvt_u32_f32_e32 v3, v3
	s_delay_alu instid0(VALU_DEP_1) | instskip(NEXT) | instid1(VALU_DEP_1)
	v_xor_b32_e32 v3, v3, v1
	v_sub_nc_u32_e32 v16, v3, v1
.LBB175_1271:
	s_mov_b32 s1, 0
.LBB175_1272:
	s_delay_alu instid0(SALU_CYCLE_1)
	s_and_not1_b32 vcc_lo, exec_lo, s1
	s_cbranch_vccnz .LBB175_1274
; %bb.1273:
	global_load_b32 v1, v[14:15], off
	s_wait_loadcnt 0x0
	v_cvt_f32_f16_e32 v1, v1
	s_delay_alu instid0(VALU_DEP_1)
	v_cvt_i32_f32_e32 v16, v1
.LBB175_1274:
	s_cbranch_execnz .LBB175_1285
.LBB175_1275:
	s_cmp_lt_i32 s0, 6
	s_cbranch_scc1 .LBB175_1278
; %bb.1276:
	s_cmp_gt_i32 s0, 6
	s_cbranch_scc0 .LBB175_1279
; %bb.1277:
	s_wait_loadcnt 0x0
	global_load_b64 v[16:17], v[14:15], off
	s_mov_b32 s1, 0
	s_wait_loadcnt 0x0
	v_trunc_f64_e32 v[16:17], v[16:17]
	s_delay_alu instid0(VALU_DEP_1) | instskip(NEXT) | instid1(VALU_DEP_1)
	v_ldexp_f64 v[18:19], v[16:17], 0xffffffe0
	v_floor_f64_e32 v[18:19], v[18:19]
	s_delay_alu instid0(VALU_DEP_1) | instskip(NEXT) | instid1(VALU_DEP_1)
	v_fmamk_f64 v[16:17], v[18:19], 0xc1f00000, v[16:17]
	v_cvt_u32_f64_e32 v16, v[16:17]
	s_branch .LBB175_1280
.LBB175_1278:
	s_mov_b32 s1, -1
                                        ; implicit-def: $vgpr16
	s_branch .LBB175_1283
.LBB175_1279:
	s_mov_b32 s1, -1
                                        ; implicit-def: $vgpr16
.LBB175_1280:
	s_delay_alu instid0(SALU_CYCLE_1)
	s_and_not1_b32 vcc_lo, exec_lo, s1
	s_cbranch_vccnz .LBB175_1282
; %bb.1281:
	global_load_b32 v1, v[14:15], off
	s_wait_loadcnt 0x0
	v_trunc_f32_e32 v1, v1
	s_delay_alu instid0(VALU_DEP_1) | instskip(NEXT) | instid1(VALU_DEP_1)
	v_mul_f32_e64 v3, 0x2f800000, |v1|
	v_floor_f32_e32 v3, v3
	s_delay_alu instid0(VALU_DEP_1) | instskip(SKIP_1) | instid1(VALU_DEP_2)
	v_fma_f32 v3, 0xcf800000, v3, |v1|
	v_ashrrev_i32_e32 v1, 31, v1
	v_cvt_u32_f32_e32 v3, v3
	s_delay_alu instid0(VALU_DEP_1) | instskip(NEXT) | instid1(VALU_DEP_1)
	v_xor_b32_e32 v3, v3, v1
	v_sub_nc_u32_e32 v16, v3, v1
.LBB175_1282:
	s_mov_b32 s1, 0
.LBB175_1283:
	s_delay_alu instid0(SALU_CYCLE_1)
	s_and_not1_b32 vcc_lo, exec_lo, s1
	s_cbranch_vccnz .LBB175_1285
; %bb.1284:
	global_load_u16 v1, v[14:15], off
	s_wait_loadcnt 0x0
	v_cvt_f32_f16_e32 v1, v1
	s_delay_alu instid0(VALU_DEP_1)
	v_cvt_i32_f32_e32 v16, v1
.LBB175_1285:
	s_cbranch_execnz .LBB175_1304
.LBB175_1286:
	s_cmp_lt_i32 s0, 2
	s_cbranch_scc1 .LBB175_1290
; %bb.1287:
	s_cmp_lt_i32 s0, 3
	s_cbranch_scc1 .LBB175_1291
; %bb.1288:
	s_cmp_gt_i32 s0, 3
	s_cbranch_scc0 .LBB175_1292
; %bb.1289:
	s_wait_loadcnt 0x0
	global_load_b64 v[16:17], v[14:15], off
	s_mov_b32 s1, 0
	s_branch .LBB175_1293
.LBB175_1290:
                                        ; implicit-def: $vgpr16
	s_branch .LBB175_1299
.LBB175_1291:
	s_mov_b32 s1, -1
                                        ; implicit-def: $vgpr16
	s_branch .LBB175_1296
.LBB175_1292:
	s_mov_b32 s1, -1
                                        ; implicit-def: $vgpr16
.LBB175_1293:
	s_delay_alu instid0(SALU_CYCLE_1)
	s_and_not1_b32 vcc_lo, exec_lo, s1
	s_cbranch_vccnz .LBB175_1295
; %bb.1294:
	s_wait_loadcnt 0x0
	global_load_b32 v16, v[14:15], off
.LBB175_1295:
	s_mov_b32 s1, 0
.LBB175_1296:
	s_delay_alu instid0(SALU_CYCLE_1)
	s_and_not1_b32 vcc_lo, exec_lo, s1
	s_cbranch_vccnz .LBB175_1298
; %bb.1297:
	s_wait_loadcnt 0x0
	global_load_u16 v16, v[14:15], off
.LBB175_1298:
	s_cbranch_execnz .LBB175_1304
.LBB175_1299:
	s_cmp_gt_i32 s0, 0
	s_mov_b32 s0, 0
	s_cbranch_scc0 .LBB175_1301
; %bb.1300:
	s_wait_loadcnt 0x0
	global_load_u8 v16, v[14:15], off
	s_branch .LBB175_1302
.LBB175_1301:
	s_mov_b32 s0, -1
                                        ; implicit-def: $vgpr16
.LBB175_1302:
	s_delay_alu instid0(SALU_CYCLE_1)
	s_and_not1_b32 vcc_lo, exec_lo, s0
	s_cbranch_vccnz .LBB175_1304
; %bb.1303:
	s_wait_loadcnt 0x0
	global_load_u8 v16, v[14:15], off
.LBB175_1304:
.LBB175_1305:
	s_load_b64 s[0:1], s[2:3], 0x158
	s_mov_b32 s12, 0
	s_wait_kmcnt 0x0
	s_cmp_lt_i32 s0, 1
	s_cbranch_scc1 .LBB175_1308
; %bb.1306:
	s_cmp_eq_u32 s0, 1
	s_cbranch_scc0 .LBB175_1323
; %bb.1307:
	s_wait_loadcnt 0x0
	s_delay_alu instid0(VALU_DEP_1)
	v_and_b32_e32 v1, 0xff, v16
	s_and_b32 s13, s1, 0xff
	s_delay_alu instid0(VALU_DEP_1) | instid1(SALU_CYCLE_1)
	v_min_u16 v1, v1, s13
	s_mov_b32 s13, 0
	s_branch .LBB175_1310
.LBB175_1308:
	s_mov_b32 s13, 0
                                        ; implicit-def: $vgpr1
	s_cbranch_execz .LBB175_1310
; %bb.1309:
	s_cmp_lg_u32 s0, 0
	s_mov_b32 s12, -1
	s_cselect_b32 s13, -1, 0
.LBB175_1310:
	s_wait_loadcnt 0x0
	s_delay_alu instid0(VALU_DEP_1)
	v_and_b32_e32 v3, 0xff, v16
	s_and_not1_b32 vcc_lo, exec_lo, s13
	s_cbranch_vccnz .LBB175_1312
; %bb.1311:
	v_mov_b32_e32 v1, 0
	s_and_b32 s12, s1, 0xff
	s_delay_alu instid0(SALU_CYCLE_1)
	v_max_u16 v5, v3, s12
	global_load_u8 v1, v1, s[2:3] offset:349
	s_wait_loadcnt 0x0
	v_min_u16 v1, v5, v1
	s_cbranch_execz .LBB175_1313
	s_branch .LBB175_1314
.LBB175_1312:
	s_and_not1_b32 vcc_lo, exec_lo, s12
	s_cbranch_vccnz .LBB175_1314
.LBB175_1313:
	s_and_b32 s12, s1, 0xff
	s_delay_alu instid0(SALU_CYCLE_1)
	v_max_u16 v1, v3, s12
.LBB175_1314:
	v_mov_b32_e32 v13, 0
	s_and_b32 s11, 0xffff, s11
	s_delay_alu instid0(SALU_CYCLE_1) | instskip(NEXT) | instid1(VALU_DEP_1)
	s_cmp_lt_i32 s11, 11
	v_add_nc_u64_e32 v[12:13], s[6:7], v[12:13]
	s_cbranch_scc1 .LBB175_1321
; %bb.1315:
	s_cmp_gt_i32 s11, 25
	s_mov_b32 s13, 0
	s_cbranch_scc0 .LBB175_1324
; %bb.1316:
	s_cmp_gt_i32 s11, 28
	s_cbranch_scc0 .LBB175_1325
; %bb.1317:
	s_cmp_gt_i32 s11, 43
	s_cbranch_scc0 .LBB175_1326
; %bb.1318:
	s_cmp_gt_i32 s11, 45
	s_cbranch_scc0 .LBB175_1328
; %bb.1319:
	s_cmp_eq_u32 s11, 46
	s_mov_b32 s15, 0
	s_cbranch_scc0 .LBB175_1331
; %bb.1320:
	global_load_b32 v3, v[12:13], off
	s_mov_b32 s12, 0
	s_mov_b32 s14, -1
	s_wait_loadcnt 0x0
	v_lshlrev_b32_e32 v3, 16, v3
	s_delay_alu instid0(VALU_DEP_1) | instskip(NEXT) | instid1(VALU_DEP_1)
	v_trunc_f32_e32 v3, v3
	v_mul_f32_e64 v5, 0x2f800000, |v3|
	s_delay_alu instid0(VALU_DEP_1) | instskip(NEXT) | instid1(VALU_DEP_1)
	v_floor_f32_e32 v5, v5
	v_fma_f32 v5, 0xcf800000, v5, |v3|
	v_ashrrev_i32_e32 v3, 31, v3
	s_delay_alu instid0(VALU_DEP_2) | instskip(NEXT) | instid1(VALU_DEP_1)
	v_cvt_u32_f32_e32 v5, v5
	v_xor_b32_e32 v5, v5, v3
	s_delay_alu instid0(VALU_DEP_1)
	v_sub_nc_u32_e32 v14, v5, v3
	s_branch .LBB175_1333
.LBB175_1321:
	s_mov_b32 s14, 0
                                        ; implicit-def: $vgpr14
	s_cbranch_execnz .LBB175_1394
.LBB175_1322:
	s_and_not1_b32 vcc_lo, exec_lo, s14
	s_cbranch_vccnz .LBB175_1719
	s_branch .LBB175_1441
.LBB175_1323:
	s_mov_b32 s13, -1
                                        ; implicit-def: $vgpr1
	s_branch .LBB175_1310
.LBB175_1324:
	s_mov_b32 s14, 0
	s_mov_b32 s12, 0
                                        ; implicit-def: $vgpr14
	s_cbranch_execnz .LBB175_1360
	s_branch .LBB175_1390
.LBB175_1325:
	s_mov_b32 s15, -1
	s_mov_b32 s14, 0
	s_mov_b32 s12, 0
                                        ; implicit-def: $vgpr14
	s_branch .LBB175_1343
.LBB175_1326:
	s_mov_b32 s15, -1
	s_mov_b32 s14, 0
	s_mov_b32 s12, 0
                                        ; implicit-def: $vgpr14
	s_branch .LBB175_1338
.LBB175_1327:
	s_or_b32 s10, s8, exec_lo
	s_trap 2
	s_cbranch_execz .LBB175_1258
	s_branch .LBB175_1259
.LBB175_1328:
	s_mov_b32 s15, -1
	s_mov_b32 s14, 0
	s_mov_b32 s12, 0
	s_branch .LBB175_1332
.LBB175_1329:
	s_and_not1_saveexec_b32 s10, s10
	s_cbranch_execz .LBB175_1049
.LBB175_1330:
	v_add_f32_e32 v2, 0x42800000, v3
	s_and_not1_b32 s9, s9, exec_lo
	s_delay_alu instid0(VALU_DEP_1) | instskip(NEXT) | instid1(VALU_DEP_1)
	v_and_b32_e32 v2, 0xff, v2
	v_cmp_ne_u32_e32 vcc_lo, 0, v2
	s_and_b32 s11, vcc_lo, exec_lo
	s_delay_alu instid0(SALU_CYCLE_1)
	s_or_b32 s9, s9, s11
	s_or_b32 exec_lo, exec_lo, s10
	v_mov_b32_e32 v5, 0
	s_and_saveexec_b32 s10, s9
	s_cbranch_execnz .LBB175_1050
	s_branch .LBB175_1051
.LBB175_1331:
	s_mov_b32 s12, -1
	s_mov_b32 s14, 0
.LBB175_1332:
                                        ; implicit-def: $vgpr14
.LBB175_1333:
	s_and_b32 vcc_lo, exec_lo, s15
	s_cbranch_vccz .LBB175_1337
; %bb.1334:
	s_cmp_eq_u32 s11, 44
	s_cbranch_scc0 .LBB175_1336
; %bb.1335:
	global_load_u8 v3, v[12:13], off
	s_mov_b32 s12, 0
	s_mov_b32 s14, -1
	s_wait_loadcnt 0x0
	v_lshlrev_b32_e32 v5, 23, v3
	v_cmp_ne_u32_e32 vcc_lo, 0, v3
	s_delay_alu instid0(VALU_DEP_2) | instskip(NEXT) | instid1(VALU_DEP_1)
	v_trunc_f32_e32 v5, v5
	v_mul_f32_e64 v7, 0x2f800000, |v5|
	s_delay_alu instid0(VALU_DEP_1) | instskip(NEXT) | instid1(VALU_DEP_1)
	v_floor_f32_e32 v7, v7
	v_fma_f32 v7, 0xcf800000, v7, |v5|
	v_ashrrev_i32_e32 v5, 31, v5
	s_delay_alu instid0(VALU_DEP_2) | instskip(NEXT) | instid1(VALU_DEP_1)
	v_cvt_u32_f32_e32 v7, v7
	v_xor_b32_e32 v7, v7, v5
	s_delay_alu instid0(VALU_DEP_1) | instskip(NEXT) | instid1(VALU_DEP_1)
	v_sub_nc_u32_e32 v5, v7, v5
	v_cndmask_b32_e32 v14, 0, v5, vcc_lo
	s_branch .LBB175_1337
.LBB175_1336:
	s_mov_b32 s12, -1
                                        ; implicit-def: $vgpr14
.LBB175_1337:
	s_mov_b32 s15, 0
.LBB175_1338:
	s_delay_alu instid0(SALU_CYCLE_1)
	s_and_b32 vcc_lo, exec_lo, s15
	s_cbranch_vccz .LBB175_1342
; %bb.1339:
	s_cmp_eq_u32 s11, 29
	s_cbranch_scc0 .LBB175_1341
; %bb.1340:
	global_load_b64 v[14:15], v[12:13], off
	s_mov_b32 s12, 0
	s_mov_b32 s14, -1
	s_branch .LBB175_1342
.LBB175_1341:
	s_mov_b32 s12, -1
                                        ; implicit-def: $vgpr14
.LBB175_1342:
	s_mov_b32 s15, 0
.LBB175_1343:
	s_delay_alu instid0(SALU_CYCLE_1)
	s_and_b32 vcc_lo, exec_lo, s15
	s_cbranch_vccz .LBB175_1359
; %bb.1344:
	s_cmp_lt_i32 s11, 27
	s_cbranch_scc1 .LBB175_1347
; %bb.1345:
	s_cmp_gt_i32 s11, 27
	s_cbranch_scc0 .LBB175_1348
; %bb.1346:
	s_wait_loadcnt 0x0
	global_load_b32 v14, v[12:13], off
	s_mov_b32 s14, 0
	s_branch .LBB175_1349
.LBB175_1347:
	s_mov_b32 s14, -1
                                        ; implicit-def: $vgpr14
	s_branch .LBB175_1352
.LBB175_1348:
	s_mov_b32 s14, -1
                                        ; implicit-def: $vgpr14
.LBB175_1349:
	s_delay_alu instid0(SALU_CYCLE_1)
	s_and_not1_b32 vcc_lo, exec_lo, s14
	s_cbranch_vccnz .LBB175_1351
; %bb.1350:
	s_wait_loadcnt 0x0
	global_load_u16 v14, v[12:13], off
.LBB175_1351:
	s_mov_b32 s14, 0
.LBB175_1352:
	s_delay_alu instid0(SALU_CYCLE_1)
	s_and_not1_b32 vcc_lo, exec_lo, s14
	s_cbranch_vccnz .LBB175_1358
; %bb.1353:
	global_load_u8 v3, v[12:13], off
	s_mov_b32 s15, 0
	s_mov_b32 s14, exec_lo
	s_wait_loadcnt 0x0
	v_cmpx_lt_i16_e32 0x7f, v3
	s_xor_b32 s14, exec_lo, s14
	s_cbranch_execz .LBB175_1369
; %bb.1354:
	v_cmp_ne_u16_e32 vcc_lo, 0x80, v3
	s_and_b32 s15, vcc_lo, exec_lo
	s_and_not1_saveexec_b32 s14, s14
	s_cbranch_execnz .LBB175_1370
.LBB175_1355:
	s_or_b32 exec_lo, exec_lo, s14
	v_mov_b32_e32 v14, 0
	s_and_saveexec_b32 s14, s15
	s_cbranch_execz .LBB175_1357
.LBB175_1356:
	v_and_b32_e32 v5, 0xffff, v3
	s_delay_alu instid0(VALU_DEP_1) | instskip(SKIP_1) | instid1(VALU_DEP_2)
	v_dual_lshlrev_b32 v3, 24, v3 :: v_dual_bitop2_b32 v7, 7, v5 bitop3:0x40
	v_bfe_u32 v14, v5, 3, 4
	v_and_b32_e32 v3, 0x80000000, v3
	s_delay_alu instid0(VALU_DEP_3) | instskip(NEXT) | instid1(VALU_DEP_3)
	v_clz_i32_u32_e32 v9, v7
	v_cmp_eq_u32_e32 vcc_lo, 0, v14
	s_delay_alu instid0(VALU_DEP_2) | instskip(NEXT) | instid1(VALU_DEP_1)
	v_min_u32_e32 v9, 32, v9
	v_subrev_nc_u32_e32 v11, 28, v9
	v_sub_nc_u32_e32 v9, 29, v9
	s_delay_alu instid0(VALU_DEP_2) | instskip(NEXT) | instid1(VALU_DEP_2)
	v_lshlrev_b32_e32 v5, v11, v5
	v_cndmask_b32_e32 v9, v14, v9, vcc_lo
	s_delay_alu instid0(VALU_DEP_2) | instskip(NEXT) | instid1(VALU_DEP_1)
	v_and_b32_e32 v5, 7, v5
	v_cndmask_b32_e32 v5, v7, v5, vcc_lo
	s_delay_alu instid0(VALU_DEP_3) | instskip(NEXT) | instid1(VALU_DEP_2)
	v_lshl_add_u32 v7, v9, 23, 0x3b800000
	v_lshlrev_b32_e32 v5, 20, v5
	s_delay_alu instid0(VALU_DEP_1) | instskip(NEXT) | instid1(VALU_DEP_1)
	v_or3_b32 v3, v3, v7, v5
	v_trunc_f32_e32 v3, v3
	s_delay_alu instid0(VALU_DEP_1) | instskip(NEXT) | instid1(VALU_DEP_1)
	v_mul_f32_e64 v5, 0x2f800000, |v3|
	v_floor_f32_e32 v5, v5
	s_delay_alu instid0(VALU_DEP_1) | instskip(SKIP_1) | instid1(VALU_DEP_2)
	v_fma_f32 v5, 0xcf800000, v5, |v3|
	v_ashrrev_i32_e32 v3, 31, v3
	v_cvt_u32_f32_e32 v5, v5
	s_delay_alu instid0(VALU_DEP_1) | instskip(NEXT) | instid1(VALU_DEP_1)
	v_xor_b32_e32 v5, v5, v3
	v_sub_nc_u32_e32 v14, v5, v3
.LBB175_1357:
	s_or_b32 exec_lo, exec_lo, s14
.LBB175_1358:
	s_mov_b32 s14, -1
.LBB175_1359:
	s_branch .LBB175_1390
.LBB175_1360:
	s_cmp_gt_i32 s11, 22
	s_cbranch_scc0 .LBB175_1368
; %bb.1361:
	s_cmp_lt_i32 s11, 24
	s_cbranch_scc1 .LBB175_1371
; %bb.1362:
	s_cmp_gt_i32 s11, 24
	s_cbranch_scc0 .LBB175_1372
; %bb.1363:
	global_load_u8 v3, v[12:13], off
	s_mov_b32 s14, 0
	s_mov_b32 s13, exec_lo
	s_wait_loadcnt 0x0
	v_cmpx_lt_i16_e32 0x7f, v3
	s_xor_b32 s13, exec_lo, s13
	s_cbranch_execz .LBB175_1384
; %bb.1364:
	v_cmp_ne_u16_e32 vcc_lo, 0x80, v3
	s_and_b32 s14, vcc_lo, exec_lo
	s_and_not1_saveexec_b32 s13, s13
	s_cbranch_execnz .LBB175_1385
.LBB175_1365:
	s_or_b32 exec_lo, exec_lo, s13
	v_mov_b32_e32 v14, 0
	s_and_saveexec_b32 s13, s14
	s_cbranch_execz .LBB175_1367
.LBB175_1366:
	v_and_b32_e32 v5, 0xffff, v3
	s_delay_alu instid0(VALU_DEP_1) | instskip(SKIP_1) | instid1(VALU_DEP_2)
	v_dual_lshlrev_b32 v3, 24, v3 :: v_dual_bitop2_b32 v7, 3, v5 bitop3:0x40
	v_bfe_u32 v14, v5, 2, 5
	v_and_b32_e32 v3, 0x80000000, v3
	s_delay_alu instid0(VALU_DEP_3) | instskip(NEXT) | instid1(VALU_DEP_3)
	v_clz_i32_u32_e32 v9, v7
	v_cmp_eq_u32_e32 vcc_lo, 0, v14
	s_delay_alu instid0(VALU_DEP_2) | instskip(NEXT) | instid1(VALU_DEP_1)
	v_min_u32_e32 v9, 32, v9
	v_subrev_nc_u32_e32 v11, 29, v9
	v_sub_nc_u32_e32 v9, 30, v9
	s_delay_alu instid0(VALU_DEP_2) | instskip(NEXT) | instid1(VALU_DEP_2)
	v_lshlrev_b32_e32 v5, v11, v5
	v_cndmask_b32_e32 v9, v14, v9, vcc_lo
	s_delay_alu instid0(VALU_DEP_2) | instskip(NEXT) | instid1(VALU_DEP_1)
	v_and_b32_e32 v5, 3, v5
	v_cndmask_b32_e32 v5, v7, v5, vcc_lo
	s_delay_alu instid0(VALU_DEP_3) | instskip(NEXT) | instid1(VALU_DEP_2)
	v_lshl_add_u32 v7, v9, 23, 0x37800000
	v_lshlrev_b32_e32 v5, 21, v5
	s_delay_alu instid0(VALU_DEP_1) | instskip(NEXT) | instid1(VALU_DEP_1)
	v_or3_b32 v3, v3, v7, v5
	v_trunc_f32_e32 v3, v3
	s_delay_alu instid0(VALU_DEP_1) | instskip(NEXT) | instid1(VALU_DEP_1)
	v_mul_f32_e64 v5, 0x2f800000, |v3|
	v_floor_f32_e32 v5, v5
	s_delay_alu instid0(VALU_DEP_1) | instskip(SKIP_1) | instid1(VALU_DEP_2)
	v_fma_f32 v5, 0xcf800000, v5, |v3|
	v_ashrrev_i32_e32 v3, 31, v3
	v_cvt_u32_f32_e32 v5, v5
	s_delay_alu instid0(VALU_DEP_1) | instskip(NEXT) | instid1(VALU_DEP_1)
	v_xor_b32_e32 v5, v5, v3
	v_sub_nc_u32_e32 v14, v5, v3
.LBB175_1367:
	s_or_b32 exec_lo, exec_lo, s13
	s_mov_b32 s13, 0
	s_branch .LBB175_1373
.LBB175_1368:
	s_mov_b32 s13, -1
                                        ; implicit-def: $vgpr14
	s_branch .LBB175_1379
.LBB175_1369:
	s_and_not1_saveexec_b32 s14, s14
	s_cbranch_execz .LBB175_1355
.LBB175_1370:
	v_cmp_ne_u16_e32 vcc_lo, 0, v3
	s_and_not1_b32 s15, s15, exec_lo
	s_and_b32 s16, vcc_lo, exec_lo
	s_delay_alu instid0(SALU_CYCLE_1)
	s_or_b32 s15, s15, s16
	s_or_b32 exec_lo, exec_lo, s14
	v_mov_b32_e32 v14, 0
	s_and_saveexec_b32 s14, s15
	s_cbranch_execnz .LBB175_1356
	s_branch .LBB175_1357
.LBB175_1371:
	s_mov_b32 s13, -1
                                        ; implicit-def: $vgpr14
	s_branch .LBB175_1376
.LBB175_1372:
	s_mov_b32 s13, -1
                                        ; implicit-def: $vgpr14
.LBB175_1373:
	s_delay_alu instid0(SALU_CYCLE_1)
	s_and_b32 vcc_lo, exec_lo, s13
	s_cbranch_vccz .LBB175_1375
; %bb.1374:
	global_load_u8 v3, v[12:13], off
	s_wait_loadcnt 0x0
	v_lshlrev_b32_e32 v3, 24, v3
	s_delay_alu instid0(VALU_DEP_1) | instskip(NEXT) | instid1(VALU_DEP_1)
	v_and_b32_e32 v5, 0x7f000000, v3
	v_clz_i32_u32_e32 v7, v5
	v_add_nc_u32_e32 v11, 0x1000000, v5
	v_cmp_ne_u32_e32 vcc_lo, 0, v5
	s_delay_alu instid0(VALU_DEP_3) | instskip(NEXT) | instid1(VALU_DEP_1)
	v_min_u32_e32 v7, 32, v7
	v_sub_nc_u32_e64 v7, v7, 4 clamp
	s_delay_alu instid0(VALU_DEP_1) | instskip(NEXT) | instid1(VALU_DEP_1)
	v_dual_lshlrev_b32 v9, v7, v5 :: v_dual_lshlrev_b32 v7, 23, v7
	v_lshrrev_b32_e32 v9, 4, v9
	s_delay_alu instid0(VALU_DEP_1) | instskip(SKIP_1) | instid1(VALU_DEP_2)
	v_sub_nc_u32_e32 v7, v9, v7
	v_ashrrev_i32_e32 v9, 8, v11
	v_add_nc_u32_e32 v7, 0x3c000000, v7
	s_delay_alu instid0(VALU_DEP_1) | instskip(NEXT) | instid1(VALU_DEP_1)
	v_and_or_b32 v7, 0x7f800000, v9, v7
	v_cndmask_b32_e32 v5, 0, v7, vcc_lo
	s_delay_alu instid0(VALU_DEP_1) | instskip(NEXT) | instid1(VALU_DEP_1)
	v_and_or_b32 v3, 0x80000000, v3, v5
	v_trunc_f32_e32 v3, v3
	s_delay_alu instid0(VALU_DEP_1) | instskip(NEXT) | instid1(VALU_DEP_1)
	v_mul_f32_e64 v5, 0x2f800000, |v3|
	v_floor_f32_e32 v5, v5
	s_delay_alu instid0(VALU_DEP_1) | instskip(SKIP_1) | instid1(VALU_DEP_2)
	v_fma_f32 v5, 0xcf800000, v5, |v3|
	v_ashrrev_i32_e32 v3, 31, v3
	v_cvt_u32_f32_e32 v5, v5
	s_delay_alu instid0(VALU_DEP_1) | instskip(NEXT) | instid1(VALU_DEP_1)
	v_xor_b32_e32 v5, v5, v3
	v_sub_nc_u32_e32 v14, v5, v3
.LBB175_1375:
	s_mov_b32 s13, 0
.LBB175_1376:
	s_delay_alu instid0(SALU_CYCLE_1)
	s_and_not1_b32 vcc_lo, exec_lo, s13
	s_cbranch_vccnz .LBB175_1378
; %bb.1377:
	global_load_u8 v3, v[12:13], off
	s_wait_loadcnt 0x0
	v_lshlrev_b32_e32 v5, 25, v3
	v_lshlrev_b16 v3, 8, v3
	s_delay_alu instid0(VALU_DEP_1) | instskip(SKIP_1) | instid1(VALU_DEP_2)
	v_and_or_b32 v9, 0x7f00, v3, 0.5
	v_bfe_i32 v3, v3, 0, 16
	v_add_f32_e32 v9, -0.5, v9
	v_lshrrev_b32_e32 v7, 4, v5
	v_cmp_gt_u32_e32 vcc_lo, 0x8000000, v5
	s_delay_alu instid0(VALU_DEP_2) | instskip(NEXT) | instid1(VALU_DEP_1)
	v_or_b32_e32 v7, 0x70000000, v7
	v_mul_f32_e32 v7, 0x7800000, v7
	s_delay_alu instid0(VALU_DEP_1) | instskip(NEXT) | instid1(VALU_DEP_1)
	v_cndmask_b32_e32 v5, v7, v9, vcc_lo
	v_and_or_b32 v3, 0x80000000, v3, v5
	s_delay_alu instid0(VALU_DEP_1) | instskip(NEXT) | instid1(VALU_DEP_1)
	v_trunc_f32_e32 v3, v3
	v_mul_f32_e64 v5, 0x2f800000, |v3|
	s_delay_alu instid0(VALU_DEP_1) | instskip(NEXT) | instid1(VALU_DEP_1)
	v_floor_f32_e32 v5, v5
	v_fma_f32 v5, 0xcf800000, v5, |v3|
	v_ashrrev_i32_e32 v3, 31, v3
	s_delay_alu instid0(VALU_DEP_2) | instskip(NEXT) | instid1(VALU_DEP_1)
	v_cvt_u32_f32_e32 v5, v5
	v_xor_b32_e32 v5, v5, v3
	s_delay_alu instid0(VALU_DEP_1)
	v_sub_nc_u32_e32 v14, v5, v3
.LBB175_1378:
	s_mov_b32 s13, 0
	s_mov_b32 s14, -1
.LBB175_1379:
	s_and_not1_b32 vcc_lo, exec_lo, s13
	s_mov_b32 s13, 0
	s_cbranch_vccnz .LBB175_1390
; %bb.1380:
	s_cmp_gt_i32 s11, 14
	s_cbranch_scc0 .LBB175_1383
; %bb.1381:
	s_cmp_eq_u32 s11, 15
	s_cbranch_scc0 .LBB175_1386
; %bb.1382:
	global_load_u16 v3, v[12:13], off
	s_mov_b32 s12, 0
	s_mov_b32 s14, -1
	s_wait_loadcnt 0x0
	v_lshlrev_b32_e32 v3, 16, v3
	s_delay_alu instid0(VALU_DEP_1) | instskip(NEXT) | instid1(VALU_DEP_1)
	v_trunc_f32_e32 v3, v3
	v_mul_f32_e64 v5, 0x2f800000, |v3|
	s_delay_alu instid0(VALU_DEP_1) | instskip(NEXT) | instid1(VALU_DEP_1)
	v_floor_f32_e32 v5, v5
	v_fma_f32 v5, 0xcf800000, v5, |v3|
	v_ashrrev_i32_e32 v3, 31, v3
	s_delay_alu instid0(VALU_DEP_2) | instskip(NEXT) | instid1(VALU_DEP_1)
	v_cvt_u32_f32_e32 v5, v5
	v_xor_b32_e32 v5, v5, v3
	s_delay_alu instid0(VALU_DEP_1)
	v_sub_nc_u32_e32 v14, v5, v3
	s_branch .LBB175_1388
.LBB175_1383:
	s_mov_b32 s13, -1
	s_branch .LBB175_1387
.LBB175_1384:
	s_and_not1_saveexec_b32 s13, s13
	s_cbranch_execz .LBB175_1365
.LBB175_1385:
	v_cmp_ne_u16_e32 vcc_lo, 0, v3
	s_and_not1_b32 s14, s14, exec_lo
	s_and_b32 s15, vcc_lo, exec_lo
	s_delay_alu instid0(SALU_CYCLE_1)
	s_or_b32 s14, s14, s15
	s_or_b32 exec_lo, exec_lo, s13
	v_mov_b32_e32 v14, 0
	s_and_saveexec_b32 s13, s14
	s_cbranch_execnz .LBB175_1366
	s_branch .LBB175_1367
.LBB175_1386:
	s_mov_b32 s12, -1
.LBB175_1387:
                                        ; implicit-def: $vgpr14
.LBB175_1388:
	s_and_b32 vcc_lo, exec_lo, s13
	s_mov_b32 s13, 0
	s_cbranch_vccz .LBB175_1390
; %bb.1389:
	s_cmp_lg_u32 s11, 11
	s_mov_b32 s13, -1
	s_cselect_b32 s12, -1, 0
.LBB175_1390:
	s_delay_alu instid0(SALU_CYCLE_1)
	s_and_b32 vcc_lo, exec_lo, s12
	s_cbranch_vccnz .LBB175_1464
; %bb.1391:
	s_and_not1_b32 vcc_lo, exec_lo, s13
	s_cbranch_vccnz .LBB175_1393
.LBB175_1392:
	global_load_u8 v3, v[12:13], off
	s_mov_b32 s14, -1
	s_wait_loadcnt 0x0
	v_cmp_ne_u16_e32 vcc_lo, 0, v3
	v_cndmask_b32_e64 v14, 0, 1, vcc_lo
.LBB175_1393:
	s_branch .LBB175_1322
.LBB175_1394:
	s_cmp_lt_i32 s11, 5
	s_cbranch_scc1 .LBB175_1399
; %bb.1395:
	s_cmp_lt_i32 s11, 8
	s_cbranch_scc1 .LBB175_1400
; %bb.1396:
	s_cmp_lt_i32 s11, 9
	s_cbranch_scc1 .LBB175_1401
; %bb.1397:
	s_cmp_gt_i32 s11, 9
	s_cbranch_scc0 .LBB175_1402
; %bb.1398:
	s_wait_loadcnt 0x0
	global_load_b64 v[14:15], v[12:13], off
	s_mov_b32 s12, 0
	s_wait_loadcnt 0x0
	v_trunc_f64_e32 v[14:15], v[14:15]
	s_delay_alu instid0(VALU_DEP_1) | instskip(NEXT) | instid1(VALU_DEP_1)
	v_ldexp_f64 v[16:17], v[14:15], 0xffffffe0
	v_floor_f64_e32 v[16:17], v[16:17]
	s_delay_alu instid0(VALU_DEP_1) | instskip(NEXT) | instid1(VALU_DEP_1)
	v_fmamk_f64 v[14:15], v[16:17], 0xc1f00000, v[14:15]
	v_cvt_u32_f64_e32 v14, v[14:15]
	s_branch .LBB175_1403
.LBB175_1399:
                                        ; implicit-def: $vgpr14
	s_branch .LBB175_1421
.LBB175_1400:
	s_mov_b32 s12, -1
                                        ; implicit-def: $vgpr14
	s_branch .LBB175_1409
.LBB175_1401:
	s_mov_b32 s12, -1
                                        ; implicit-def: $vgpr14
	s_branch .LBB175_1406
.LBB175_1402:
	s_mov_b32 s12, -1
                                        ; implicit-def: $vgpr14
.LBB175_1403:
	s_delay_alu instid0(SALU_CYCLE_1)
	s_and_not1_b32 vcc_lo, exec_lo, s12
	s_cbranch_vccnz .LBB175_1405
; %bb.1404:
	global_load_b32 v3, v[12:13], off
	s_wait_loadcnt 0x0
	v_trunc_f32_e32 v3, v3
	s_delay_alu instid0(VALU_DEP_1) | instskip(NEXT) | instid1(VALU_DEP_1)
	v_mul_f32_e64 v5, 0x2f800000, |v3|
	v_floor_f32_e32 v5, v5
	s_delay_alu instid0(VALU_DEP_1) | instskip(SKIP_1) | instid1(VALU_DEP_2)
	v_fma_f32 v5, 0xcf800000, v5, |v3|
	v_ashrrev_i32_e32 v3, 31, v3
	v_cvt_u32_f32_e32 v5, v5
	s_delay_alu instid0(VALU_DEP_1) | instskip(NEXT) | instid1(VALU_DEP_1)
	v_xor_b32_e32 v5, v5, v3
	v_sub_nc_u32_e32 v14, v5, v3
.LBB175_1405:
	s_mov_b32 s12, 0
.LBB175_1406:
	s_delay_alu instid0(SALU_CYCLE_1)
	s_and_not1_b32 vcc_lo, exec_lo, s12
	s_cbranch_vccnz .LBB175_1408
; %bb.1407:
	global_load_b32 v3, v[12:13], off
	s_wait_loadcnt 0x0
	v_cvt_f32_f16_e32 v3, v3
	s_delay_alu instid0(VALU_DEP_1)
	v_cvt_i32_f32_e32 v14, v3
.LBB175_1408:
	s_mov_b32 s12, 0
.LBB175_1409:
	s_delay_alu instid0(SALU_CYCLE_1)
	s_and_not1_b32 vcc_lo, exec_lo, s12
	s_cbranch_vccnz .LBB175_1420
; %bb.1410:
	s_cmp_lt_i32 s11, 6
	s_cbranch_scc1 .LBB175_1413
; %bb.1411:
	s_cmp_gt_i32 s11, 6
	s_cbranch_scc0 .LBB175_1414
; %bb.1412:
	s_wait_loadcnt 0x0
	global_load_b64 v[14:15], v[12:13], off
	s_mov_b32 s12, 0
	s_wait_loadcnt 0x0
	v_trunc_f64_e32 v[14:15], v[14:15]
	s_delay_alu instid0(VALU_DEP_1) | instskip(NEXT) | instid1(VALU_DEP_1)
	v_ldexp_f64 v[16:17], v[14:15], 0xffffffe0
	v_floor_f64_e32 v[16:17], v[16:17]
	s_delay_alu instid0(VALU_DEP_1) | instskip(NEXT) | instid1(VALU_DEP_1)
	v_fmamk_f64 v[14:15], v[16:17], 0xc1f00000, v[14:15]
	v_cvt_u32_f64_e32 v14, v[14:15]
	s_branch .LBB175_1415
.LBB175_1413:
	s_mov_b32 s12, -1
                                        ; implicit-def: $vgpr14
	s_branch .LBB175_1418
.LBB175_1414:
	s_mov_b32 s12, -1
                                        ; implicit-def: $vgpr14
.LBB175_1415:
	s_delay_alu instid0(SALU_CYCLE_1)
	s_and_not1_b32 vcc_lo, exec_lo, s12
	s_cbranch_vccnz .LBB175_1417
; %bb.1416:
	global_load_b32 v3, v[12:13], off
	s_wait_loadcnt 0x0
	v_trunc_f32_e32 v3, v3
	s_delay_alu instid0(VALU_DEP_1) | instskip(NEXT) | instid1(VALU_DEP_1)
	v_mul_f32_e64 v5, 0x2f800000, |v3|
	v_floor_f32_e32 v5, v5
	s_delay_alu instid0(VALU_DEP_1) | instskip(SKIP_1) | instid1(VALU_DEP_2)
	v_fma_f32 v5, 0xcf800000, v5, |v3|
	v_ashrrev_i32_e32 v3, 31, v3
	v_cvt_u32_f32_e32 v5, v5
	s_delay_alu instid0(VALU_DEP_1) | instskip(NEXT) | instid1(VALU_DEP_1)
	v_xor_b32_e32 v5, v5, v3
	v_sub_nc_u32_e32 v14, v5, v3
.LBB175_1417:
	s_mov_b32 s12, 0
.LBB175_1418:
	s_delay_alu instid0(SALU_CYCLE_1)
	s_and_not1_b32 vcc_lo, exec_lo, s12
	s_cbranch_vccnz .LBB175_1420
; %bb.1419:
	global_load_u16 v3, v[12:13], off
	s_wait_loadcnt 0x0
	v_cvt_f32_f16_e32 v3, v3
	s_delay_alu instid0(VALU_DEP_1)
	v_cvt_i32_f32_e32 v14, v3
.LBB175_1420:
	s_cbranch_execnz .LBB175_1440
.LBB175_1421:
	s_cmp_lt_i32 s11, 2
	s_cbranch_scc1 .LBB175_1425
; %bb.1422:
	s_cmp_lt_i32 s11, 3
	s_cbranch_scc1 .LBB175_1426
; %bb.1423:
	s_cmp_gt_i32 s11, 3
	s_cbranch_scc0 .LBB175_1427
; %bb.1424:
	s_wait_loadcnt 0x0
	global_load_b64 v[14:15], v[12:13], off
	s_mov_b32 s12, 0
	s_branch .LBB175_1428
.LBB175_1425:
	s_mov_b32 s12, -1
                                        ; implicit-def: $vgpr14
	s_branch .LBB175_1434
.LBB175_1426:
	s_mov_b32 s12, -1
                                        ; implicit-def: $vgpr14
	s_branch .LBB175_1431
.LBB175_1427:
	s_mov_b32 s12, -1
                                        ; implicit-def: $vgpr14
.LBB175_1428:
	s_delay_alu instid0(SALU_CYCLE_1)
	s_and_not1_b32 vcc_lo, exec_lo, s12
	s_cbranch_vccnz .LBB175_1430
; %bb.1429:
	s_wait_loadcnt 0x0
	global_load_b32 v14, v[12:13], off
.LBB175_1430:
	s_mov_b32 s12, 0
.LBB175_1431:
	s_delay_alu instid0(SALU_CYCLE_1)
	s_and_not1_b32 vcc_lo, exec_lo, s12
	s_cbranch_vccnz .LBB175_1433
; %bb.1432:
	s_wait_loadcnt 0x0
	global_load_u16 v14, v[12:13], off
.LBB175_1433:
	s_mov_b32 s12, 0
.LBB175_1434:
	s_delay_alu instid0(SALU_CYCLE_1)
	s_and_not1_b32 vcc_lo, exec_lo, s12
	s_cbranch_vccnz .LBB175_1440
; %bb.1435:
	s_cmp_gt_i32 s11, 0
	s_mov_b32 s12, 0
	s_cbranch_scc0 .LBB175_1437
; %bb.1436:
	s_wait_loadcnt 0x0
	global_load_u8 v14, v[12:13], off
	s_branch .LBB175_1438
.LBB175_1437:
	s_mov_b32 s12, -1
                                        ; implicit-def: $vgpr14
.LBB175_1438:
	s_delay_alu instid0(SALU_CYCLE_1)
	s_and_not1_b32 vcc_lo, exec_lo, s12
	s_cbranch_vccnz .LBB175_1440
; %bb.1439:
	s_wait_loadcnt 0x0
	global_load_u8 v14, v[12:13], off
.LBB175_1440:
.LBB175_1441:
	s_cmp_lt_i32 s0, 1
	s_mov_b32 s12, 0
	s_cbranch_scc1 .LBB175_1444
; %bb.1442:
	s_cmp_eq_u32 s0, 1
	s_cbranch_scc0 .LBB175_1445
; %bb.1443:
	s_wait_loadcnt 0x0
	s_delay_alu instid0(VALU_DEP_1)
	v_and_b32_e32 v3, 0xff, v14
	s_and_b32 s13, s1, 0xff
	s_delay_alu instid0(VALU_DEP_1) | instid1(SALU_CYCLE_1)
	v_min_u16 v3, v3, s13
	s_mov_b32 s13, 0
	s_branch .LBB175_1446
.LBB175_1444:
	s_mov_b32 s13, 0
                                        ; implicit-def: $vgpr3
	s_cbranch_execnz .LBB175_1447
	s_branch .LBB175_1448
.LBB175_1445:
	s_mov_b32 s13, -1
                                        ; implicit-def: $vgpr3
.LBB175_1446:
	s_branch .LBB175_1448
.LBB175_1447:
	s_cmp_lg_u32 s0, 0
	s_mov_b32 s12, -1
	s_cselect_b32 s13, -1, 0
.LBB175_1448:
	s_delay_alu instid0(SALU_CYCLE_1)
	s_and_not1_b32 vcc_lo, exec_lo, s13
	s_cbranch_vccnz .LBB175_1457
; %bb.1449:
	v_mov_b32_e32 v3, 0
	s_wait_loadcnt 0x0
	s_delay_alu instid0(VALU_DEP_2) | instskip(SKIP_4) | instid1(VALU_DEP_1)
	v_and_b32_e32 v5, 0xff, v14
	s_and_b32 s12, s1, 0xff
	global_load_u8 v3, v3, s[2:3] offset:349
	v_max_u16 v5, v5, s12
	s_wait_loadcnt 0x0
	v_min_u16 v3, v5, v3
	s_cbranch_execz .LBB175_1458
.LBB175_1450:
	v_mov_b32_e32 v11, 0
	s_cmp_lt_i32 s11, 11
	s_delay_alu instid0(VALU_DEP_1)
	v_add_nc_u64_e32 v[10:11], s[6:7], v[10:11]
	s_cbranch_scc1 .LBB175_1459
.LBB175_1451:
	s_cmp_gt_i32 s11, 25
	s_mov_b32 s13, 0
	s_cbranch_scc0 .LBB175_1461
; %bb.1452:
	s_cmp_gt_i32 s11, 28
	s_cbranch_scc0 .LBB175_1462
; %bb.1453:
	s_cmp_gt_i32 s11, 43
	;; [unrolled: 3-line block ×3, first 2 shown]
	s_cbranch_scc0 .LBB175_1465
; %bb.1455:
	s_cmp_eq_u32 s11, 46
	s_mov_b32 s15, 0
	s_cbranch_scc0 .LBB175_1466
; %bb.1456:
	global_load_b32 v5, v[10:11], off
	s_mov_b32 s12, 0
	s_mov_b32 s14, -1
	s_wait_loadcnt 0x0
	v_lshlrev_b32_e32 v5, 16, v5
	s_delay_alu instid0(VALU_DEP_1) | instskip(NEXT) | instid1(VALU_DEP_1)
	v_trunc_f32_e32 v5, v5
	v_mul_f32_e64 v7, 0x2f800000, |v5|
	s_delay_alu instid0(VALU_DEP_1) | instskip(NEXT) | instid1(VALU_DEP_1)
	v_floor_f32_e32 v7, v7
	v_fma_f32 v7, 0xcf800000, v7, |v5|
	v_ashrrev_i32_e32 v5, 31, v5
	s_delay_alu instid0(VALU_DEP_2) | instskip(NEXT) | instid1(VALU_DEP_1)
	v_cvt_u32_f32_e32 v7, v7
	v_xor_b32_e32 v7, v7, v5
	s_wait_xcnt 0x1
	s_delay_alu instid0(VALU_DEP_1)
	v_sub_nc_u32_e32 v12, v7, v5
	s_branch .LBB175_1468
.LBB175_1457:
	s_and_not1_b32 vcc_lo, exec_lo, s12
	s_cbranch_vccnz .LBB175_1450
.LBB175_1458:
	s_wait_loadcnt 0x0
	s_delay_alu instid0(VALU_DEP_1)
	v_and_b32_e32 v3, 0xff, v14
	s_and_b32 s12, s1, 0xff
	s_delay_alu instid0(VALU_DEP_1) | instid1(SALU_CYCLE_1)
	v_max_u16 v3, v3, s12
	v_mov_b32_e32 v11, 0
	s_cmp_lt_i32 s11, 11
	s_delay_alu instid0(VALU_DEP_1)
	v_add_nc_u64_e32 v[10:11], s[6:7], v[10:11]
	s_cbranch_scc0 .LBB175_1451
.LBB175_1459:
	s_mov_b32 s14, 0
                                        ; implicit-def: $vgpr12
	s_cbranch_execnz .LBB175_1530
.LBB175_1460:
	s_and_not1_b32 vcc_lo, exec_lo, s14
	s_cbranch_vccnz .LBB175_1719
	s_branch .LBB175_1578
.LBB175_1461:
	s_mov_b32 s15, -1
	s_mov_b32 s14, 0
	s_mov_b32 s12, 0
                                        ; implicit-def: $vgpr12
	s_branch .LBB175_1495
.LBB175_1462:
	s_mov_b32 s15, -1
	s_mov_b32 s14, 0
	s_mov_b32 s12, 0
                                        ; implicit-def: $vgpr12
	s_branch .LBB175_1478
.LBB175_1463:
	s_mov_b32 s15, -1
	s_mov_b32 s14, 0
	s_mov_b32 s12, 0
                                        ; implicit-def: $vgpr12
	s_branch .LBB175_1473
.LBB175_1464:
	s_or_b32 s10, s10, exec_lo
	s_trap 2
	s_cbranch_execz .LBB175_1392
	s_branch .LBB175_1393
.LBB175_1465:
	s_mov_b32 s15, -1
	s_mov_b32 s14, 0
	s_mov_b32 s12, 0
	s_branch .LBB175_1467
.LBB175_1466:
	s_mov_b32 s12, -1
	s_mov_b32 s14, 0
.LBB175_1467:
                                        ; implicit-def: $vgpr12
.LBB175_1468:
	s_and_b32 vcc_lo, exec_lo, s15
	s_cbranch_vccz .LBB175_1472
; %bb.1469:
	s_cmp_eq_u32 s11, 44
	s_cbranch_scc0 .LBB175_1471
; %bb.1470:
	global_load_u8 v5, v[10:11], off
	s_mov_b32 s12, 0
	s_mov_b32 s14, -1
	s_wait_loadcnt 0x0
	v_lshlrev_b32_e32 v7, 23, v5
	v_cmp_ne_u32_e32 vcc_lo, 0, v5
	s_delay_alu instid0(VALU_DEP_2) | instskip(NEXT) | instid1(VALU_DEP_1)
	v_trunc_f32_e32 v7, v7
	v_mul_f32_e64 v9, 0x2f800000, |v7|
	s_delay_alu instid0(VALU_DEP_1) | instskip(NEXT) | instid1(VALU_DEP_1)
	v_floor_f32_e32 v9, v9
	v_fma_f32 v9, 0xcf800000, v9, |v7|
	v_ashrrev_i32_e32 v7, 31, v7
	s_delay_alu instid0(VALU_DEP_2) | instskip(NEXT) | instid1(VALU_DEP_1)
	v_cvt_u32_f32_e32 v9, v9
	v_xor_b32_e32 v9, v9, v7
	s_delay_alu instid0(VALU_DEP_1) | instskip(SKIP_1) | instid1(VALU_DEP_1)
	v_sub_nc_u32_e32 v7, v9, v7
	s_wait_xcnt 0x1
	v_cndmask_b32_e32 v12, 0, v7, vcc_lo
	s_branch .LBB175_1472
.LBB175_1471:
	s_mov_b32 s12, -1
                                        ; implicit-def: $vgpr12
.LBB175_1472:
	s_mov_b32 s15, 0
.LBB175_1473:
	s_delay_alu instid0(SALU_CYCLE_1)
	s_and_b32 vcc_lo, exec_lo, s15
	s_cbranch_vccz .LBB175_1477
; %bb.1474:
	s_cmp_eq_u32 s11, 29
	s_cbranch_scc0 .LBB175_1476
; %bb.1475:
	global_load_b64 v[12:13], v[10:11], off
	s_mov_b32 s12, 0
	s_mov_b32 s14, -1
	s_branch .LBB175_1477
.LBB175_1476:
	s_mov_b32 s12, -1
                                        ; implicit-def: $vgpr12
.LBB175_1477:
	s_mov_b32 s15, 0
.LBB175_1478:
	s_delay_alu instid0(SALU_CYCLE_1)
	s_and_b32 vcc_lo, exec_lo, s15
	s_cbranch_vccz .LBB175_1494
; %bb.1479:
	s_cmp_lt_i32 s11, 27
	s_cbranch_scc1 .LBB175_1482
; %bb.1480:
	s_cmp_gt_i32 s11, 27
	s_cbranch_scc0 .LBB175_1483
; %bb.1481:
	s_wait_loadcnt 0x0
	global_load_b32 v12, v[10:11], off
	s_mov_b32 s14, 0
	s_branch .LBB175_1484
.LBB175_1482:
	s_mov_b32 s14, -1
                                        ; implicit-def: $vgpr12
	s_branch .LBB175_1487
.LBB175_1483:
	s_mov_b32 s14, -1
                                        ; implicit-def: $vgpr12
.LBB175_1484:
	s_delay_alu instid0(SALU_CYCLE_1)
	s_and_not1_b32 vcc_lo, exec_lo, s14
	s_cbranch_vccnz .LBB175_1486
; %bb.1485:
	s_wait_loadcnt 0x0
	global_load_u16 v12, v[10:11], off
.LBB175_1486:
	s_mov_b32 s14, 0
.LBB175_1487:
	s_delay_alu instid0(SALU_CYCLE_1)
	s_and_not1_b32 vcc_lo, exec_lo, s14
	s_cbranch_vccnz .LBB175_1493
; %bb.1488:
	global_load_u8 v5, v[10:11], off
	s_mov_b32 s15, 0
	s_mov_b32 s14, exec_lo
	s_wait_loadcnt 0x0
	v_cmpx_lt_i16_e32 0x7f, v5
	s_xor_b32 s14, exec_lo, s14
	s_cbranch_execz .LBB175_1505
; %bb.1489:
	v_cmp_ne_u16_e32 vcc_lo, 0x80, v5
	s_and_b32 s15, vcc_lo, exec_lo
	s_and_not1_saveexec_b32 s14, s14
	s_cbranch_execnz .LBB175_1506
.LBB175_1490:
	s_or_b32 exec_lo, exec_lo, s14
	v_mov_b32_e32 v12, 0
	s_and_saveexec_b32 s14, s15
	s_cbranch_execz .LBB175_1492
.LBB175_1491:
	v_and_b32_e32 v7, 0xffff, v5
	s_delay_alu instid0(VALU_DEP_1) | instskip(SKIP_1) | instid1(VALU_DEP_2)
	v_and_b32_e32 v9, 7, v7
	v_bfe_u32 v14, v7, 3, 4
	v_clz_i32_u32_e32 v12, v9
	s_delay_alu instid0(VALU_DEP_2) | instskip(NEXT) | instid1(VALU_DEP_2)
	v_cmp_eq_u32_e32 vcc_lo, 0, v14
	v_min_u32_e32 v12, 32, v12
	s_delay_alu instid0(VALU_DEP_1) | instskip(NEXT) | instid1(VALU_DEP_1)
	v_subrev_nc_u32_e32 v13, 28, v12
	v_dual_lshlrev_b32 v7, v13, v7 :: v_dual_sub_nc_u32 v12, 29, v12
	s_delay_alu instid0(VALU_DEP_1) | instskip(NEXT) | instid1(VALU_DEP_1)
	v_dual_lshlrev_b32 v5, 24, v5 :: v_dual_bitop2_b32 v7, 7, v7 bitop3:0x40
	v_dual_cndmask_b32 v12, v14, v12 :: v_dual_cndmask_b32 v7, v9, v7
	s_delay_alu instid0(VALU_DEP_2) | instskip(NEXT) | instid1(VALU_DEP_2)
	v_and_b32_e32 v5, 0x80000000, v5
	v_lshl_add_u32 v9, v12, 23, 0x3b800000
	s_delay_alu instid0(VALU_DEP_3) | instskip(NEXT) | instid1(VALU_DEP_1)
	v_lshlrev_b32_e32 v7, 20, v7
	v_or3_b32 v5, v5, v9, v7
	s_delay_alu instid0(VALU_DEP_1) | instskip(NEXT) | instid1(VALU_DEP_1)
	v_trunc_f32_e32 v5, v5
	v_mul_f32_e64 v7, 0x2f800000, |v5|
	s_delay_alu instid0(VALU_DEP_1) | instskip(NEXT) | instid1(VALU_DEP_1)
	v_floor_f32_e32 v7, v7
	v_fma_f32 v7, 0xcf800000, v7, |v5|
	v_ashrrev_i32_e32 v5, 31, v5
	s_delay_alu instid0(VALU_DEP_2) | instskip(NEXT) | instid1(VALU_DEP_1)
	v_cvt_u32_f32_e32 v7, v7
	v_xor_b32_e32 v7, v7, v5
	s_delay_alu instid0(VALU_DEP_1)
	v_sub_nc_u32_e32 v12, v7, v5
.LBB175_1492:
	s_or_b32 exec_lo, exec_lo, s14
.LBB175_1493:
	s_mov_b32 s14, -1
.LBB175_1494:
	s_mov_b32 s15, 0
.LBB175_1495:
	s_delay_alu instid0(SALU_CYCLE_1)
	s_and_b32 vcc_lo, exec_lo, s15
	s_cbranch_vccz .LBB175_1526
; %bb.1496:
	s_cmp_gt_i32 s11, 22
	s_cbranch_scc0 .LBB175_1504
; %bb.1497:
	s_cmp_lt_i32 s11, 24
	s_cbranch_scc1 .LBB175_1507
; %bb.1498:
	s_cmp_gt_i32 s11, 24
	s_cbranch_scc0 .LBB175_1508
; %bb.1499:
	global_load_u8 v5, v[10:11], off
	s_mov_b32 s14, 0
	s_mov_b32 s13, exec_lo
	s_wait_loadcnt 0x0
	v_cmpx_lt_i16_e32 0x7f, v5
	s_xor_b32 s13, exec_lo, s13
	s_cbranch_execz .LBB175_1520
; %bb.1500:
	v_cmp_ne_u16_e32 vcc_lo, 0x80, v5
	s_and_b32 s14, vcc_lo, exec_lo
	s_and_not1_saveexec_b32 s13, s13
	s_cbranch_execnz .LBB175_1521
.LBB175_1501:
	s_or_b32 exec_lo, exec_lo, s13
	v_mov_b32_e32 v12, 0
	s_and_saveexec_b32 s13, s14
	s_cbranch_execz .LBB175_1503
.LBB175_1502:
	v_and_b32_e32 v7, 0xffff, v5
	s_delay_alu instid0(VALU_DEP_1) | instskip(SKIP_1) | instid1(VALU_DEP_2)
	v_and_b32_e32 v9, 3, v7
	v_bfe_u32 v14, v7, 2, 5
	v_clz_i32_u32_e32 v12, v9
	s_delay_alu instid0(VALU_DEP_2) | instskip(NEXT) | instid1(VALU_DEP_2)
	v_cmp_eq_u32_e32 vcc_lo, 0, v14
	v_min_u32_e32 v12, 32, v12
	s_delay_alu instid0(VALU_DEP_1) | instskip(NEXT) | instid1(VALU_DEP_1)
	v_subrev_nc_u32_e32 v13, 29, v12
	v_dual_lshlrev_b32 v7, v13, v7 :: v_dual_sub_nc_u32 v12, 30, v12
	s_delay_alu instid0(VALU_DEP_1) | instskip(NEXT) | instid1(VALU_DEP_1)
	v_dual_lshlrev_b32 v5, 24, v5 :: v_dual_bitop2_b32 v7, 3, v7 bitop3:0x40
	v_dual_cndmask_b32 v12, v14, v12 :: v_dual_cndmask_b32 v7, v9, v7
	s_delay_alu instid0(VALU_DEP_2) | instskip(NEXT) | instid1(VALU_DEP_2)
	v_and_b32_e32 v5, 0x80000000, v5
	v_lshl_add_u32 v9, v12, 23, 0x37800000
	s_delay_alu instid0(VALU_DEP_3) | instskip(NEXT) | instid1(VALU_DEP_1)
	v_lshlrev_b32_e32 v7, 21, v7
	v_or3_b32 v5, v5, v9, v7
	s_delay_alu instid0(VALU_DEP_1) | instskip(NEXT) | instid1(VALU_DEP_1)
	v_trunc_f32_e32 v5, v5
	v_mul_f32_e64 v7, 0x2f800000, |v5|
	s_delay_alu instid0(VALU_DEP_1) | instskip(NEXT) | instid1(VALU_DEP_1)
	v_floor_f32_e32 v7, v7
	v_fma_f32 v7, 0xcf800000, v7, |v5|
	v_ashrrev_i32_e32 v5, 31, v5
	s_delay_alu instid0(VALU_DEP_2) | instskip(NEXT) | instid1(VALU_DEP_1)
	v_cvt_u32_f32_e32 v7, v7
	v_xor_b32_e32 v7, v7, v5
	s_delay_alu instid0(VALU_DEP_1)
	v_sub_nc_u32_e32 v12, v7, v5
.LBB175_1503:
	s_or_b32 exec_lo, exec_lo, s13
	s_mov_b32 s13, 0
	s_branch .LBB175_1509
.LBB175_1504:
	s_mov_b32 s13, -1
                                        ; implicit-def: $vgpr12
	s_branch .LBB175_1515
.LBB175_1505:
	s_and_not1_saveexec_b32 s14, s14
	s_cbranch_execz .LBB175_1490
.LBB175_1506:
	v_cmp_ne_u16_e32 vcc_lo, 0, v5
	s_and_not1_b32 s15, s15, exec_lo
	s_and_b32 s16, vcc_lo, exec_lo
	s_delay_alu instid0(SALU_CYCLE_1)
	s_or_b32 s15, s15, s16
	s_or_b32 exec_lo, exec_lo, s14
	v_mov_b32_e32 v12, 0
	s_and_saveexec_b32 s14, s15
	s_cbranch_execnz .LBB175_1491
	s_branch .LBB175_1492
.LBB175_1507:
	s_mov_b32 s13, -1
                                        ; implicit-def: $vgpr12
	s_branch .LBB175_1512
.LBB175_1508:
	s_mov_b32 s13, -1
                                        ; implicit-def: $vgpr12
.LBB175_1509:
	s_delay_alu instid0(SALU_CYCLE_1)
	s_and_b32 vcc_lo, exec_lo, s13
	s_cbranch_vccz .LBB175_1511
; %bb.1510:
	global_load_u8 v5, v[10:11], off
	s_wait_loadcnt 0x0
	v_lshlrev_b32_e32 v5, 24, v5
	s_delay_alu instid0(VALU_DEP_1) | instskip(NEXT) | instid1(VALU_DEP_1)
	v_and_b32_e32 v7, 0x7f000000, v5
	v_clz_i32_u32_e32 v9, v7
	s_wait_xcnt 0x1
	v_add_nc_u32_e32 v13, 0x1000000, v7
	v_cmp_ne_u32_e32 vcc_lo, 0, v7
	s_delay_alu instid0(VALU_DEP_3) | instskip(NEXT) | instid1(VALU_DEP_1)
	v_min_u32_e32 v9, 32, v9
	v_sub_nc_u32_e64 v9, v9, 4 clamp
	s_delay_alu instid0(VALU_DEP_1) | instskip(NEXT) | instid1(VALU_DEP_1)
	v_dual_lshlrev_b32 v12, v9, v7 :: v_dual_lshlrev_b32 v9, 23, v9
	v_lshrrev_b32_e32 v12, 4, v12
	s_delay_alu instid0(VALU_DEP_1) | instskip(SKIP_1) | instid1(VALU_DEP_2)
	v_sub_nc_u32_e32 v9, v12, v9
	v_ashrrev_i32_e32 v12, 8, v13
	v_add_nc_u32_e32 v9, 0x3c000000, v9
	s_delay_alu instid0(VALU_DEP_1) | instskip(NEXT) | instid1(VALU_DEP_1)
	v_and_or_b32 v9, 0x7f800000, v12, v9
	v_cndmask_b32_e32 v7, 0, v9, vcc_lo
	s_delay_alu instid0(VALU_DEP_1) | instskip(NEXT) | instid1(VALU_DEP_1)
	v_and_or_b32 v5, 0x80000000, v5, v7
	v_trunc_f32_e32 v5, v5
	s_delay_alu instid0(VALU_DEP_1) | instskip(NEXT) | instid1(VALU_DEP_1)
	v_mul_f32_e64 v7, 0x2f800000, |v5|
	v_floor_f32_e32 v7, v7
	s_delay_alu instid0(VALU_DEP_1) | instskip(SKIP_1) | instid1(VALU_DEP_2)
	v_fma_f32 v7, 0xcf800000, v7, |v5|
	v_ashrrev_i32_e32 v5, 31, v5
	v_cvt_u32_f32_e32 v7, v7
	s_delay_alu instid0(VALU_DEP_1) | instskip(NEXT) | instid1(VALU_DEP_1)
	v_xor_b32_e32 v7, v7, v5
	v_sub_nc_u32_e32 v12, v7, v5
.LBB175_1511:
	s_mov_b32 s13, 0
.LBB175_1512:
	s_delay_alu instid0(SALU_CYCLE_1)
	s_and_not1_b32 vcc_lo, exec_lo, s13
	s_cbranch_vccnz .LBB175_1514
; %bb.1513:
	global_load_u8 v5, v[10:11], off
	s_wait_loadcnt 0x0
	v_lshlrev_b32_e32 v7, 25, v5
	v_lshlrev_b16 v5, 8, v5
	s_wait_xcnt 0x1
	s_delay_alu instid0(VALU_DEP_1) | instskip(SKIP_1) | instid1(VALU_DEP_2)
	v_and_or_b32 v12, 0x7f00, v5, 0.5
	v_bfe_i32 v5, v5, 0, 16
	v_dual_add_f32 v12, -0.5, v12 :: v_dual_lshrrev_b32 v9, 4, v7
	v_cmp_gt_u32_e32 vcc_lo, 0x8000000, v7
	s_delay_alu instid0(VALU_DEP_2) | instskip(NEXT) | instid1(VALU_DEP_1)
	v_or_b32_e32 v9, 0x70000000, v9
	v_mul_f32_e32 v9, 0x7800000, v9
	s_delay_alu instid0(VALU_DEP_1) | instskip(NEXT) | instid1(VALU_DEP_1)
	v_cndmask_b32_e32 v7, v9, v12, vcc_lo
	v_and_or_b32 v5, 0x80000000, v5, v7
	s_delay_alu instid0(VALU_DEP_1) | instskip(NEXT) | instid1(VALU_DEP_1)
	v_trunc_f32_e32 v5, v5
	v_mul_f32_e64 v7, 0x2f800000, |v5|
	s_delay_alu instid0(VALU_DEP_1) | instskip(NEXT) | instid1(VALU_DEP_1)
	v_floor_f32_e32 v7, v7
	v_fma_f32 v7, 0xcf800000, v7, |v5|
	v_ashrrev_i32_e32 v5, 31, v5
	s_delay_alu instid0(VALU_DEP_2) | instskip(NEXT) | instid1(VALU_DEP_1)
	v_cvt_u32_f32_e32 v7, v7
	v_xor_b32_e32 v7, v7, v5
	s_delay_alu instid0(VALU_DEP_1)
	v_sub_nc_u32_e32 v12, v7, v5
.LBB175_1514:
	s_mov_b32 s13, 0
	s_mov_b32 s14, -1
.LBB175_1515:
	s_and_not1_b32 vcc_lo, exec_lo, s13
	s_mov_b32 s13, 0
	s_cbranch_vccnz .LBB175_1526
; %bb.1516:
	s_cmp_gt_i32 s11, 14
	s_cbranch_scc0 .LBB175_1519
; %bb.1517:
	s_cmp_eq_u32 s11, 15
	s_cbranch_scc0 .LBB175_1522
; %bb.1518:
	global_load_u16 v5, v[10:11], off
	s_mov_b32 s12, 0
	s_mov_b32 s14, -1
	s_wait_loadcnt 0x0
	v_lshlrev_b32_e32 v5, 16, v5
	s_delay_alu instid0(VALU_DEP_1) | instskip(NEXT) | instid1(VALU_DEP_1)
	v_trunc_f32_e32 v5, v5
	v_mul_f32_e64 v7, 0x2f800000, |v5|
	s_delay_alu instid0(VALU_DEP_1) | instskip(NEXT) | instid1(VALU_DEP_1)
	v_floor_f32_e32 v7, v7
	v_fma_f32 v7, 0xcf800000, v7, |v5|
	v_ashrrev_i32_e32 v5, 31, v5
	s_delay_alu instid0(VALU_DEP_2) | instskip(NEXT) | instid1(VALU_DEP_1)
	v_cvt_u32_f32_e32 v7, v7
	v_xor_b32_e32 v7, v7, v5
	s_wait_xcnt 0x1
	s_delay_alu instid0(VALU_DEP_1)
	v_sub_nc_u32_e32 v12, v7, v5
	s_branch .LBB175_1524
.LBB175_1519:
	s_mov_b32 s13, -1
	s_branch .LBB175_1523
.LBB175_1520:
	s_and_not1_saveexec_b32 s13, s13
	s_cbranch_execz .LBB175_1501
.LBB175_1521:
	v_cmp_ne_u16_e32 vcc_lo, 0, v5
	s_and_not1_b32 s14, s14, exec_lo
	s_and_b32 s15, vcc_lo, exec_lo
	s_delay_alu instid0(SALU_CYCLE_1)
	s_or_b32 s14, s14, s15
	s_or_b32 exec_lo, exec_lo, s13
	v_mov_b32_e32 v12, 0
	s_and_saveexec_b32 s13, s14
	s_cbranch_execnz .LBB175_1502
	s_branch .LBB175_1503
.LBB175_1522:
	s_mov_b32 s12, -1
.LBB175_1523:
                                        ; implicit-def: $vgpr12
.LBB175_1524:
	s_and_b32 vcc_lo, exec_lo, s13
	s_mov_b32 s13, 0
	s_cbranch_vccz .LBB175_1526
; %bb.1525:
	s_cmp_lg_u32 s11, 11
	s_mov_b32 s13, -1
	s_cselect_b32 s12, -1, 0
.LBB175_1526:
	s_delay_alu instid0(SALU_CYCLE_1)
	s_and_b32 vcc_lo, exec_lo, s12
	s_cbranch_vccnz .LBB175_1600
; %bb.1527:
	s_and_not1_b32 vcc_lo, exec_lo, s13
	s_cbranch_vccnz .LBB175_1529
.LBB175_1528:
	global_load_u8 v5, v[10:11], off
	s_mov_b32 s14, -1
	s_wait_loadcnt 0x0
	v_cmp_ne_u16_e32 vcc_lo, 0, v5
	s_wait_xcnt 0x1
	v_cndmask_b32_e64 v12, 0, 1, vcc_lo
.LBB175_1529:
	s_branch .LBB175_1460
.LBB175_1530:
	s_cmp_lt_i32 s11, 5
	s_cbranch_scc1 .LBB175_1535
; %bb.1531:
	s_cmp_lt_i32 s11, 8
	s_cbranch_scc1 .LBB175_1536
; %bb.1532:
	;; [unrolled: 3-line block ×3, first 2 shown]
	s_cmp_gt_i32 s11, 9
	s_cbranch_scc0 .LBB175_1538
; %bb.1534:
	s_wait_loadcnt 0x0
	global_load_b64 v[12:13], v[10:11], off
	s_mov_b32 s12, 0
	s_wait_loadcnt 0x0
	v_trunc_f64_e32 v[12:13], v[12:13]
	s_delay_alu instid0(VALU_DEP_1) | instskip(NEXT) | instid1(VALU_DEP_1)
	v_ldexp_f64 v[14:15], v[12:13], 0xffffffe0
	v_floor_f64_e32 v[14:15], v[14:15]
	s_delay_alu instid0(VALU_DEP_1) | instskip(NEXT) | instid1(VALU_DEP_1)
	v_fmamk_f64 v[12:13], v[14:15], 0xc1f00000, v[12:13]
	v_cvt_u32_f64_e32 v12, v[12:13]
	s_branch .LBB175_1539
.LBB175_1535:
	s_mov_b32 s12, -1
                                        ; implicit-def: $vgpr12
	s_branch .LBB175_1557
.LBB175_1536:
	s_mov_b32 s12, -1
                                        ; implicit-def: $vgpr12
	s_branch .LBB175_1545
.LBB175_1537:
	s_mov_b32 s12, -1
                                        ; implicit-def: $vgpr12
	s_branch .LBB175_1542
.LBB175_1538:
	s_mov_b32 s12, -1
                                        ; implicit-def: $vgpr12
.LBB175_1539:
	s_delay_alu instid0(SALU_CYCLE_1)
	s_and_not1_b32 vcc_lo, exec_lo, s12
	s_cbranch_vccnz .LBB175_1541
; %bb.1540:
	global_load_b32 v5, v[10:11], off
	s_wait_loadcnt 0x0
	v_trunc_f32_e32 v5, v5
	s_delay_alu instid0(VALU_DEP_1) | instskip(NEXT) | instid1(VALU_DEP_1)
	v_mul_f32_e64 v7, 0x2f800000, |v5|
	v_floor_f32_e32 v7, v7
	s_delay_alu instid0(VALU_DEP_1) | instskip(SKIP_1) | instid1(VALU_DEP_2)
	v_fma_f32 v7, 0xcf800000, v7, |v5|
	v_ashrrev_i32_e32 v5, 31, v5
	v_cvt_u32_f32_e32 v7, v7
	s_delay_alu instid0(VALU_DEP_1) | instskip(SKIP_1) | instid1(VALU_DEP_1)
	v_xor_b32_e32 v7, v7, v5
	s_wait_xcnt 0x1
	v_sub_nc_u32_e32 v12, v7, v5
.LBB175_1541:
	s_mov_b32 s12, 0
.LBB175_1542:
	s_delay_alu instid0(SALU_CYCLE_1)
	s_and_not1_b32 vcc_lo, exec_lo, s12
	s_cbranch_vccnz .LBB175_1544
; %bb.1543:
	global_load_b32 v5, v[10:11], off
	s_wait_loadcnt 0x0
	v_cvt_f32_f16_e32 v5, v5
	s_wait_xcnt 0x1
	s_delay_alu instid0(VALU_DEP_1)
	v_cvt_i32_f32_e32 v12, v5
.LBB175_1544:
	s_mov_b32 s12, 0
.LBB175_1545:
	s_delay_alu instid0(SALU_CYCLE_1)
	s_and_not1_b32 vcc_lo, exec_lo, s12
	s_cbranch_vccnz .LBB175_1556
; %bb.1546:
	s_cmp_lt_i32 s11, 6
	s_cbranch_scc1 .LBB175_1549
; %bb.1547:
	s_cmp_gt_i32 s11, 6
	s_cbranch_scc0 .LBB175_1550
; %bb.1548:
	s_wait_loadcnt 0x0
	global_load_b64 v[12:13], v[10:11], off
	s_mov_b32 s12, 0
	s_wait_loadcnt 0x0
	v_trunc_f64_e32 v[12:13], v[12:13]
	s_delay_alu instid0(VALU_DEP_1) | instskip(NEXT) | instid1(VALU_DEP_1)
	v_ldexp_f64 v[14:15], v[12:13], 0xffffffe0
	v_floor_f64_e32 v[14:15], v[14:15]
	s_delay_alu instid0(VALU_DEP_1) | instskip(NEXT) | instid1(VALU_DEP_1)
	v_fmamk_f64 v[12:13], v[14:15], 0xc1f00000, v[12:13]
	v_cvt_u32_f64_e32 v12, v[12:13]
	s_branch .LBB175_1551
.LBB175_1549:
	s_mov_b32 s12, -1
                                        ; implicit-def: $vgpr12
	s_branch .LBB175_1554
.LBB175_1550:
	s_mov_b32 s12, -1
                                        ; implicit-def: $vgpr12
.LBB175_1551:
	s_delay_alu instid0(SALU_CYCLE_1)
	s_and_not1_b32 vcc_lo, exec_lo, s12
	s_cbranch_vccnz .LBB175_1553
; %bb.1552:
	global_load_b32 v5, v[10:11], off
	s_wait_loadcnt 0x0
	v_trunc_f32_e32 v5, v5
	s_delay_alu instid0(VALU_DEP_1) | instskip(NEXT) | instid1(VALU_DEP_1)
	v_mul_f32_e64 v7, 0x2f800000, |v5|
	v_floor_f32_e32 v7, v7
	s_delay_alu instid0(VALU_DEP_1) | instskip(SKIP_1) | instid1(VALU_DEP_2)
	v_fma_f32 v7, 0xcf800000, v7, |v5|
	v_ashrrev_i32_e32 v5, 31, v5
	v_cvt_u32_f32_e32 v7, v7
	s_delay_alu instid0(VALU_DEP_1) | instskip(SKIP_1) | instid1(VALU_DEP_1)
	v_xor_b32_e32 v7, v7, v5
	s_wait_xcnt 0x1
	v_sub_nc_u32_e32 v12, v7, v5
.LBB175_1553:
	s_mov_b32 s12, 0
.LBB175_1554:
	s_delay_alu instid0(SALU_CYCLE_1)
	s_and_not1_b32 vcc_lo, exec_lo, s12
	s_cbranch_vccnz .LBB175_1556
; %bb.1555:
	global_load_u16 v5, v[10:11], off
	s_wait_loadcnt 0x0
	v_cvt_f32_f16_e32 v5, v5
	s_wait_xcnt 0x1
	s_delay_alu instid0(VALU_DEP_1)
	v_cvt_i32_f32_e32 v12, v5
.LBB175_1556:
	s_mov_b32 s12, 0
.LBB175_1557:
	s_delay_alu instid0(SALU_CYCLE_1)
	s_and_not1_b32 vcc_lo, exec_lo, s12
	s_cbranch_vccnz .LBB175_1577
; %bb.1558:
	s_cmp_lt_i32 s11, 2
	s_cbranch_scc1 .LBB175_1562
; %bb.1559:
	s_cmp_lt_i32 s11, 3
	s_cbranch_scc1 .LBB175_1563
; %bb.1560:
	s_cmp_gt_i32 s11, 3
	s_cbranch_scc0 .LBB175_1564
; %bb.1561:
	s_wait_loadcnt 0x0
	global_load_b64 v[12:13], v[10:11], off
	s_mov_b32 s12, 0
	s_branch .LBB175_1565
.LBB175_1562:
	s_mov_b32 s12, -1
                                        ; implicit-def: $vgpr12
	s_branch .LBB175_1571
.LBB175_1563:
	s_mov_b32 s12, -1
                                        ; implicit-def: $vgpr12
	s_branch .LBB175_1568
.LBB175_1564:
	s_mov_b32 s12, -1
                                        ; implicit-def: $vgpr12
.LBB175_1565:
	s_delay_alu instid0(SALU_CYCLE_1)
	s_and_not1_b32 vcc_lo, exec_lo, s12
	s_cbranch_vccnz .LBB175_1567
; %bb.1566:
	s_wait_loadcnt 0x0
	global_load_b32 v12, v[10:11], off
.LBB175_1567:
	s_mov_b32 s12, 0
.LBB175_1568:
	s_delay_alu instid0(SALU_CYCLE_1)
	s_and_not1_b32 vcc_lo, exec_lo, s12
	s_cbranch_vccnz .LBB175_1570
; %bb.1569:
	s_wait_loadcnt 0x0
	global_load_u16 v12, v[10:11], off
.LBB175_1570:
	s_mov_b32 s12, 0
.LBB175_1571:
	s_delay_alu instid0(SALU_CYCLE_1)
	s_and_not1_b32 vcc_lo, exec_lo, s12
	s_cbranch_vccnz .LBB175_1577
; %bb.1572:
	s_cmp_gt_i32 s11, 0
	s_mov_b32 s12, 0
	s_cbranch_scc0 .LBB175_1574
; %bb.1573:
	s_wait_loadcnt 0x0
	global_load_u8 v12, v[10:11], off
	s_branch .LBB175_1575
.LBB175_1574:
	s_mov_b32 s12, -1
                                        ; implicit-def: $vgpr12
.LBB175_1575:
	s_delay_alu instid0(SALU_CYCLE_1)
	s_and_not1_b32 vcc_lo, exec_lo, s12
	s_cbranch_vccnz .LBB175_1577
; %bb.1576:
	s_wait_loadcnt 0x0
	global_load_u8 v12, v[10:11], off
.LBB175_1577:
.LBB175_1578:
	s_cmp_lt_i32 s0, 1
	s_mov_b32 s12, 0
	s_cbranch_scc1 .LBB175_1581
; %bb.1579:
	s_cmp_eq_u32 s0, 1
	s_cbranch_scc0 .LBB175_1591
; %bb.1580:
	s_wait_loadcnt 0x0
	s_delay_alu instid0(VALU_DEP_1) | instskip(SKIP_2) | instid1(VALU_DEP_1)
	v_and_b32_e32 v5, 0xff, v12
	s_and_b32 s13, s1, 0xff
	s_wait_xcnt 0x0
	v_min_u16 v13, v5, s13
	s_mov_b32 s13, 0
	s_branch .LBB175_1592
.LBB175_1581:
	s_mov_b32 s13, 0
                                        ; implicit-def: $vgpr13
	s_cbranch_execnz .LBB175_1593
.LBB175_1582:
	s_and_not1_b32 vcc_lo, exec_lo, s13
	s_cbranch_vccnz .LBB175_1594
.LBB175_1583:
	v_mov_b32_e32 v5, 0
	s_wait_loadcnt 0x0
	s_delay_alu instid0(VALU_DEP_2)
	v_and_b32_e32 v7, 0xff, v12
	s_and_b32 s12, s1, 0xff
	global_load_u8 v5, v5, s[2:3] offset:349
	v_max_u16 v7, v7, s12
	s_wait_loadcnt 0x0
	s_wait_xcnt 0x1
	s_delay_alu instid0(VALU_DEP_1)
	v_min_u16 v13, v7, v5
	s_cbranch_execz .LBB175_1595
.LBB175_1584:
	v_mov_b32_e32 v9, 0
	s_cmp_lt_i32 s11, 11
	s_delay_alu instid0(VALU_DEP_1)
	v_add_nc_u64_e32 v[8:9], s[6:7], v[8:9]
	s_cbranch_scc1 .LBB175_1596
.LBB175_1585:
	s_cmp_gt_i32 s11, 25
	s_mov_b32 s7, 0
	s_cbranch_scc0 .LBB175_1597
; %bb.1586:
	s_cmp_gt_i32 s11, 28
	s_cbranch_scc0 .LBB175_1598
; %bb.1587:
	s_cmp_gt_i32 s11, 43
	;; [unrolled: 3-line block ×3, first 2 shown]
	s_cbranch_scc0 .LBB175_1601
; %bb.1589:
	s_cmp_eq_u32 s11, 46
	s_mov_b32 s13, 0
	s_cbranch_scc0 .LBB175_1602
; %bb.1590:
	global_load_b32 v5, v[8:9], off
	s_mov_b32 s6, 0
	s_mov_b32 s12, -1
	s_wait_loadcnt 0x0
	v_lshlrev_b32_e32 v5, 16, v5
	s_delay_alu instid0(VALU_DEP_1) | instskip(NEXT) | instid1(VALU_DEP_1)
	v_trunc_f32_e32 v5, v5
	v_mul_f32_e64 v7, 0x2f800000, |v5|
	s_delay_alu instid0(VALU_DEP_1) | instskip(NEXT) | instid1(VALU_DEP_1)
	v_floor_f32_e32 v7, v7
	v_fma_f32 v7, 0xcf800000, v7, |v5|
	v_ashrrev_i32_e32 v5, 31, v5
	s_delay_alu instid0(VALU_DEP_2) | instskip(NEXT) | instid1(VALU_DEP_1)
	v_cvt_u32_f32_e32 v7, v7
	v_xor_b32_e32 v7, v7, v5
	s_delay_alu instid0(VALU_DEP_1)
	v_sub_nc_u32_e32 v10, v7, v5
	s_branch .LBB175_1604
.LBB175_1591:
	s_mov_b32 s13, -1
                                        ; implicit-def: $vgpr13
.LBB175_1592:
	s_branch .LBB175_1582
.LBB175_1593:
	s_cmp_lg_u32 s0, 0
	s_mov_b32 s12, -1
	s_cselect_b32 s13, -1, 0
	s_delay_alu instid0(SALU_CYCLE_1)
	s_and_not1_b32 vcc_lo, exec_lo, s13
	s_cbranch_vccz .LBB175_1583
.LBB175_1594:
	s_and_not1_b32 vcc_lo, exec_lo, s12
	s_cbranch_vccnz .LBB175_1584
.LBB175_1595:
	s_wait_loadcnt 0x0
	s_delay_alu instid0(VALU_DEP_1)
	v_and_b32_e32 v5, 0xff, v12
	s_and_b32 s12, s1, 0xff
	s_delay_alu instid0(VALU_DEP_1) | instid1(SALU_CYCLE_1)
	v_max_u16 v13, v5, s12
	v_mov_b32_e32 v9, 0
	s_cmp_lt_i32 s11, 11
	s_delay_alu instid0(VALU_DEP_1)
	v_add_nc_u64_e32 v[8:9], s[6:7], v[8:9]
	s_cbranch_scc0 .LBB175_1585
.LBB175_1596:
	s_mov_b32 s6, -1
	s_mov_b32 s12, 0
                                        ; implicit-def: $vgpr10
	s_branch .LBB175_1666
.LBB175_1597:
	s_mov_b32 s13, -1
	s_mov_b32 s12, 0
	s_mov_b32 s6, 0
                                        ; implicit-def: $vgpr10
	s_branch .LBB175_1631
.LBB175_1598:
	s_mov_b32 s13, -1
	s_mov_b32 s12, 0
	s_mov_b32 s6, 0
                                        ; implicit-def: $vgpr10
	s_branch .LBB175_1614
.LBB175_1599:
	s_mov_b32 s13, -1
	s_mov_b32 s12, 0
	s_mov_b32 s6, 0
                                        ; implicit-def: $vgpr10
	s_branch .LBB175_1609
.LBB175_1600:
	s_or_b32 s10, s10, exec_lo
	s_trap 2
	s_cbranch_execz .LBB175_1528
	s_branch .LBB175_1529
.LBB175_1601:
	s_mov_b32 s13, -1
	s_mov_b32 s12, 0
	s_mov_b32 s6, 0
	s_branch .LBB175_1603
.LBB175_1602:
	s_mov_b32 s6, -1
	s_mov_b32 s12, 0
.LBB175_1603:
                                        ; implicit-def: $vgpr10
.LBB175_1604:
	s_and_b32 vcc_lo, exec_lo, s13
	s_cbranch_vccz .LBB175_1608
; %bb.1605:
	s_cmp_eq_u32 s11, 44
	s_cbranch_scc0 .LBB175_1607
; %bb.1606:
	global_load_u8 v5, v[8:9], off
	s_mov_b32 s6, 0
	s_mov_b32 s12, -1
	s_wait_loadcnt 0x0
	v_lshlrev_b32_e32 v7, 23, v5
	v_cmp_ne_u32_e32 vcc_lo, 0, v5
	s_delay_alu instid0(VALU_DEP_2) | instskip(NEXT) | instid1(VALU_DEP_1)
	v_trunc_f32_e32 v7, v7
	v_mul_f32_e64 v10, 0x2f800000, |v7|
	s_delay_alu instid0(VALU_DEP_1) | instskip(NEXT) | instid1(VALU_DEP_1)
	v_floor_f32_e32 v10, v10
	v_fma_f32 v10, 0xcf800000, v10, |v7|
	v_ashrrev_i32_e32 v7, 31, v7
	s_delay_alu instid0(VALU_DEP_2) | instskip(NEXT) | instid1(VALU_DEP_1)
	v_cvt_u32_f32_e32 v10, v10
	v_xor_b32_e32 v10, v10, v7
	s_delay_alu instid0(VALU_DEP_1) | instskip(NEXT) | instid1(VALU_DEP_1)
	v_sub_nc_u32_e32 v7, v10, v7
	v_cndmask_b32_e32 v10, 0, v7, vcc_lo
	s_branch .LBB175_1608
.LBB175_1607:
	s_mov_b32 s6, -1
                                        ; implicit-def: $vgpr10
.LBB175_1608:
	s_mov_b32 s13, 0
.LBB175_1609:
	s_delay_alu instid0(SALU_CYCLE_1)
	s_and_b32 vcc_lo, exec_lo, s13
	s_cbranch_vccz .LBB175_1613
; %bb.1610:
	s_cmp_eq_u32 s11, 29
	s_cbranch_scc0 .LBB175_1612
; %bb.1611:
	global_load_b64 v[10:11], v[8:9], off
	s_mov_b32 s6, 0
	s_mov_b32 s12, -1
	s_branch .LBB175_1613
.LBB175_1612:
	s_mov_b32 s6, -1
                                        ; implicit-def: $vgpr10
.LBB175_1613:
	s_mov_b32 s13, 0
.LBB175_1614:
	s_delay_alu instid0(SALU_CYCLE_1)
	s_and_b32 vcc_lo, exec_lo, s13
	s_cbranch_vccz .LBB175_1630
; %bb.1615:
	s_cmp_lt_i32 s11, 27
	s_cbranch_scc1 .LBB175_1618
; %bb.1616:
	s_cmp_gt_i32 s11, 27
	s_cbranch_scc0 .LBB175_1619
; %bb.1617:
	s_wait_loadcnt 0x0
	global_load_b32 v10, v[8:9], off
	s_mov_b32 s12, 0
	s_branch .LBB175_1620
.LBB175_1618:
	s_mov_b32 s12, -1
                                        ; implicit-def: $vgpr10
	s_branch .LBB175_1623
.LBB175_1619:
	s_mov_b32 s12, -1
                                        ; implicit-def: $vgpr10
.LBB175_1620:
	s_delay_alu instid0(SALU_CYCLE_1)
	s_and_not1_b32 vcc_lo, exec_lo, s12
	s_cbranch_vccnz .LBB175_1622
; %bb.1621:
	s_wait_loadcnt 0x0
	global_load_u16 v10, v[8:9], off
.LBB175_1622:
	s_mov_b32 s12, 0
.LBB175_1623:
	s_delay_alu instid0(SALU_CYCLE_1)
	s_and_not1_b32 vcc_lo, exec_lo, s12
	s_cbranch_vccnz .LBB175_1629
; %bb.1624:
	global_load_u8 v5, v[8:9], off
	s_mov_b32 s13, 0
	s_mov_b32 s12, exec_lo
	s_wait_loadcnt 0x0
	v_cmpx_lt_i16_e32 0x7f, v5
	s_xor_b32 s12, exec_lo, s12
	s_cbranch_execz .LBB175_1641
; %bb.1625:
	v_cmp_ne_u16_e32 vcc_lo, 0x80, v5
	s_and_b32 s13, vcc_lo, exec_lo
	s_and_not1_saveexec_b32 s12, s12
	s_cbranch_execnz .LBB175_1642
.LBB175_1626:
	s_or_b32 exec_lo, exec_lo, s12
	v_mov_b32_e32 v10, 0
	s_and_saveexec_b32 s12, s13
	s_cbranch_execz .LBB175_1628
.LBB175_1627:
	v_and_b32_e32 v7, 0xffff, v5
	s_delay_alu instid0(VALU_DEP_1) | instskip(SKIP_1) | instid1(VALU_DEP_2)
	v_dual_lshlrev_b32 v5, 24, v5 :: v_dual_bitop2_b32 v10, 7, v7 bitop3:0x40
	v_bfe_u32 v14, v7, 3, 4
	v_and_b32_e32 v5, 0x80000000, v5
	s_delay_alu instid0(VALU_DEP_3) | instskip(NEXT) | instid1(VALU_DEP_3)
	v_clz_i32_u32_e32 v11, v10
	v_cmp_eq_u32_e32 vcc_lo, 0, v14
	s_delay_alu instid0(VALU_DEP_2) | instskip(NEXT) | instid1(VALU_DEP_1)
	v_min_u32_e32 v11, 32, v11
	v_subrev_nc_u32_e32 v12, 28, v11
	v_sub_nc_u32_e32 v11, 29, v11
	s_delay_alu instid0(VALU_DEP_2) | instskip(NEXT) | instid1(VALU_DEP_2)
	v_lshlrev_b32_e32 v7, v12, v7
	v_cndmask_b32_e32 v11, v14, v11, vcc_lo
	s_delay_alu instid0(VALU_DEP_2) | instskip(NEXT) | instid1(VALU_DEP_1)
	v_and_b32_e32 v7, 7, v7
	v_cndmask_b32_e32 v7, v10, v7, vcc_lo
	s_delay_alu instid0(VALU_DEP_3) | instskip(NEXT) | instid1(VALU_DEP_2)
	v_lshl_add_u32 v10, v11, 23, 0x3b800000
	v_lshlrev_b32_e32 v7, 20, v7
	s_delay_alu instid0(VALU_DEP_1) | instskip(NEXT) | instid1(VALU_DEP_1)
	v_or3_b32 v5, v5, v10, v7
	v_trunc_f32_e32 v5, v5
	s_delay_alu instid0(VALU_DEP_1) | instskip(NEXT) | instid1(VALU_DEP_1)
	v_mul_f32_e64 v7, 0x2f800000, |v5|
	v_floor_f32_e32 v7, v7
	s_delay_alu instid0(VALU_DEP_1) | instskip(SKIP_1) | instid1(VALU_DEP_2)
	v_fma_f32 v7, 0xcf800000, v7, |v5|
	v_ashrrev_i32_e32 v5, 31, v5
	v_cvt_u32_f32_e32 v7, v7
	s_delay_alu instid0(VALU_DEP_1) | instskip(NEXT) | instid1(VALU_DEP_1)
	v_xor_b32_e32 v7, v7, v5
	v_sub_nc_u32_e32 v10, v7, v5
.LBB175_1628:
	s_or_b32 exec_lo, exec_lo, s12
.LBB175_1629:
	s_mov_b32 s12, -1
.LBB175_1630:
	s_mov_b32 s13, 0
.LBB175_1631:
	s_delay_alu instid0(SALU_CYCLE_1)
	s_and_b32 vcc_lo, exec_lo, s13
	s_cbranch_vccz .LBB175_1662
; %bb.1632:
	s_cmp_gt_i32 s11, 22
	s_cbranch_scc0 .LBB175_1640
; %bb.1633:
	s_cmp_lt_i32 s11, 24
	s_cbranch_scc1 .LBB175_1643
; %bb.1634:
	s_cmp_gt_i32 s11, 24
	s_cbranch_scc0 .LBB175_1644
; %bb.1635:
	global_load_u8 v5, v[8:9], off
	s_mov_b32 s12, 0
	s_mov_b32 s7, exec_lo
	s_wait_loadcnt 0x0
	v_cmpx_lt_i16_e32 0x7f, v5
	s_xor_b32 s7, exec_lo, s7
	s_cbranch_execz .LBB175_1656
; %bb.1636:
	v_cmp_ne_u16_e32 vcc_lo, 0x80, v5
	s_and_b32 s12, vcc_lo, exec_lo
	s_and_not1_saveexec_b32 s7, s7
	s_cbranch_execnz .LBB175_1657
.LBB175_1637:
	s_or_b32 exec_lo, exec_lo, s7
	v_mov_b32_e32 v10, 0
	s_and_saveexec_b32 s7, s12
	s_cbranch_execz .LBB175_1639
.LBB175_1638:
	v_and_b32_e32 v7, 0xffff, v5
	s_delay_alu instid0(VALU_DEP_1) | instskip(SKIP_1) | instid1(VALU_DEP_2)
	v_dual_lshlrev_b32 v5, 24, v5 :: v_dual_bitop2_b32 v10, 3, v7 bitop3:0x40
	v_bfe_u32 v14, v7, 2, 5
	v_and_b32_e32 v5, 0x80000000, v5
	s_delay_alu instid0(VALU_DEP_3) | instskip(NEXT) | instid1(VALU_DEP_3)
	v_clz_i32_u32_e32 v11, v10
	v_cmp_eq_u32_e32 vcc_lo, 0, v14
	s_delay_alu instid0(VALU_DEP_2) | instskip(NEXT) | instid1(VALU_DEP_1)
	v_min_u32_e32 v11, 32, v11
	v_subrev_nc_u32_e32 v12, 29, v11
	v_sub_nc_u32_e32 v11, 30, v11
	s_delay_alu instid0(VALU_DEP_2) | instskip(NEXT) | instid1(VALU_DEP_2)
	v_lshlrev_b32_e32 v7, v12, v7
	v_cndmask_b32_e32 v11, v14, v11, vcc_lo
	s_delay_alu instid0(VALU_DEP_2) | instskip(NEXT) | instid1(VALU_DEP_1)
	v_and_b32_e32 v7, 3, v7
	v_cndmask_b32_e32 v7, v10, v7, vcc_lo
	s_delay_alu instid0(VALU_DEP_3) | instskip(NEXT) | instid1(VALU_DEP_2)
	v_lshl_add_u32 v10, v11, 23, 0x37800000
	v_lshlrev_b32_e32 v7, 21, v7
	s_delay_alu instid0(VALU_DEP_1) | instskip(NEXT) | instid1(VALU_DEP_1)
	v_or3_b32 v5, v5, v10, v7
	v_trunc_f32_e32 v5, v5
	s_delay_alu instid0(VALU_DEP_1) | instskip(NEXT) | instid1(VALU_DEP_1)
	v_mul_f32_e64 v7, 0x2f800000, |v5|
	v_floor_f32_e32 v7, v7
	s_delay_alu instid0(VALU_DEP_1) | instskip(SKIP_1) | instid1(VALU_DEP_2)
	v_fma_f32 v7, 0xcf800000, v7, |v5|
	v_ashrrev_i32_e32 v5, 31, v5
	v_cvt_u32_f32_e32 v7, v7
	s_delay_alu instid0(VALU_DEP_1) | instskip(NEXT) | instid1(VALU_DEP_1)
	v_xor_b32_e32 v7, v7, v5
	v_sub_nc_u32_e32 v10, v7, v5
.LBB175_1639:
	s_or_b32 exec_lo, exec_lo, s7
	s_mov_b32 s7, 0
	s_branch .LBB175_1645
.LBB175_1640:
	s_mov_b32 s7, -1
                                        ; implicit-def: $vgpr10
	s_branch .LBB175_1651
.LBB175_1641:
	s_and_not1_saveexec_b32 s12, s12
	s_cbranch_execz .LBB175_1626
.LBB175_1642:
	v_cmp_ne_u16_e32 vcc_lo, 0, v5
	s_and_not1_b32 s13, s13, exec_lo
	s_and_b32 s14, vcc_lo, exec_lo
	s_delay_alu instid0(SALU_CYCLE_1)
	s_or_b32 s13, s13, s14
	s_or_b32 exec_lo, exec_lo, s12
	v_mov_b32_e32 v10, 0
	s_and_saveexec_b32 s12, s13
	s_cbranch_execnz .LBB175_1627
	s_branch .LBB175_1628
.LBB175_1643:
	s_mov_b32 s7, -1
                                        ; implicit-def: $vgpr10
	s_branch .LBB175_1648
.LBB175_1644:
	s_mov_b32 s7, -1
                                        ; implicit-def: $vgpr10
.LBB175_1645:
	s_delay_alu instid0(SALU_CYCLE_1)
	s_and_b32 vcc_lo, exec_lo, s7
	s_cbranch_vccz .LBB175_1647
; %bb.1646:
	global_load_u8 v5, v[8:9], off
	s_wait_loadcnt 0x0
	v_lshlrev_b32_e32 v5, 24, v5
	s_delay_alu instid0(VALU_DEP_1) | instskip(NEXT) | instid1(VALU_DEP_1)
	v_and_b32_e32 v7, 0x7f000000, v5
	v_clz_i32_u32_e32 v10, v7
	v_cmp_ne_u32_e32 vcc_lo, 0, v7
	v_add_nc_u32_e32 v12, 0x1000000, v7
	s_delay_alu instid0(VALU_DEP_3) | instskip(NEXT) | instid1(VALU_DEP_1)
	v_min_u32_e32 v10, 32, v10
	v_sub_nc_u32_e64 v10, v10, 4 clamp
	s_delay_alu instid0(VALU_DEP_1) | instskip(NEXT) | instid1(VALU_DEP_1)
	v_dual_lshlrev_b32 v11, v10, v7 :: v_dual_lshlrev_b32 v10, 23, v10
	v_lshrrev_b32_e32 v11, 4, v11
	s_delay_alu instid0(VALU_DEP_1) | instskip(NEXT) | instid1(VALU_DEP_1)
	v_dual_sub_nc_u32 v10, v11, v10 :: v_dual_ashrrev_i32 v11, 8, v12
	v_add_nc_u32_e32 v10, 0x3c000000, v10
	s_delay_alu instid0(VALU_DEP_1) | instskip(NEXT) | instid1(VALU_DEP_1)
	v_and_or_b32 v10, 0x7f800000, v11, v10
	v_cndmask_b32_e32 v7, 0, v10, vcc_lo
	s_delay_alu instid0(VALU_DEP_1) | instskip(NEXT) | instid1(VALU_DEP_1)
	v_and_or_b32 v5, 0x80000000, v5, v7
	v_trunc_f32_e32 v5, v5
	s_delay_alu instid0(VALU_DEP_1) | instskip(NEXT) | instid1(VALU_DEP_1)
	v_mul_f32_e64 v7, 0x2f800000, |v5|
	v_floor_f32_e32 v7, v7
	s_delay_alu instid0(VALU_DEP_1) | instskip(SKIP_1) | instid1(VALU_DEP_2)
	v_fma_f32 v7, 0xcf800000, v7, |v5|
	v_ashrrev_i32_e32 v5, 31, v5
	v_cvt_u32_f32_e32 v7, v7
	s_delay_alu instid0(VALU_DEP_1) | instskip(NEXT) | instid1(VALU_DEP_1)
	v_xor_b32_e32 v7, v7, v5
	v_sub_nc_u32_e32 v10, v7, v5
.LBB175_1647:
	s_mov_b32 s7, 0
.LBB175_1648:
	s_delay_alu instid0(SALU_CYCLE_1)
	s_and_not1_b32 vcc_lo, exec_lo, s7
	s_cbranch_vccnz .LBB175_1650
; %bb.1649:
	global_load_u8 v5, v[8:9], off
	s_wait_loadcnt 0x0
	v_lshlrev_b32_e32 v7, 25, v5
	v_lshlrev_b16 v5, 8, v5
	s_delay_alu instid0(VALU_DEP_1) | instskip(SKIP_1) | instid1(VALU_DEP_2)
	v_and_or_b32 v11, 0x7f00, v5, 0.5
	v_bfe_i32 v5, v5, 0, 16
	v_add_f32_e32 v11, -0.5, v11
	v_lshrrev_b32_e32 v10, 4, v7
	v_cmp_gt_u32_e32 vcc_lo, 0x8000000, v7
	s_delay_alu instid0(VALU_DEP_2) | instskip(NEXT) | instid1(VALU_DEP_1)
	v_or_b32_e32 v10, 0x70000000, v10
	v_mul_f32_e32 v10, 0x7800000, v10
	s_delay_alu instid0(VALU_DEP_1) | instskip(NEXT) | instid1(VALU_DEP_1)
	v_cndmask_b32_e32 v7, v10, v11, vcc_lo
	v_and_or_b32 v5, 0x80000000, v5, v7
	s_delay_alu instid0(VALU_DEP_1) | instskip(NEXT) | instid1(VALU_DEP_1)
	v_trunc_f32_e32 v5, v5
	v_mul_f32_e64 v7, 0x2f800000, |v5|
	s_delay_alu instid0(VALU_DEP_1) | instskip(NEXT) | instid1(VALU_DEP_1)
	v_floor_f32_e32 v7, v7
	v_fma_f32 v7, 0xcf800000, v7, |v5|
	v_ashrrev_i32_e32 v5, 31, v5
	s_delay_alu instid0(VALU_DEP_2) | instskip(NEXT) | instid1(VALU_DEP_1)
	v_cvt_u32_f32_e32 v7, v7
	v_xor_b32_e32 v7, v7, v5
	s_delay_alu instid0(VALU_DEP_1)
	v_sub_nc_u32_e32 v10, v7, v5
.LBB175_1650:
	s_mov_b32 s7, 0
	s_mov_b32 s12, -1
.LBB175_1651:
	s_and_not1_b32 vcc_lo, exec_lo, s7
	s_mov_b32 s7, 0
	s_cbranch_vccnz .LBB175_1662
; %bb.1652:
	s_cmp_gt_i32 s11, 14
	s_cbranch_scc0 .LBB175_1655
; %bb.1653:
	s_cmp_eq_u32 s11, 15
	s_cbranch_scc0 .LBB175_1658
; %bb.1654:
	global_load_u16 v5, v[8:9], off
	s_mov_b32 s6, 0
	s_mov_b32 s12, -1
	s_wait_loadcnt 0x0
	v_lshlrev_b32_e32 v5, 16, v5
	s_delay_alu instid0(VALU_DEP_1) | instskip(NEXT) | instid1(VALU_DEP_1)
	v_trunc_f32_e32 v5, v5
	v_mul_f32_e64 v7, 0x2f800000, |v5|
	s_delay_alu instid0(VALU_DEP_1) | instskip(NEXT) | instid1(VALU_DEP_1)
	v_floor_f32_e32 v7, v7
	v_fma_f32 v7, 0xcf800000, v7, |v5|
	v_ashrrev_i32_e32 v5, 31, v5
	s_delay_alu instid0(VALU_DEP_2) | instskip(NEXT) | instid1(VALU_DEP_1)
	v_cvt_u32_f32_e32 v7, v7
	v_xor_b32_e32 v7, v7, v5
	s_delay_alu instid0(VALU_DEP_1)
	v_sub_nc_u32_e32 v10, v7, v5
	s_branch .LBB175_1660
.LBB175_1655:
	s_mov_b32 s7, -1
	s_branch .LBB175_1659
.LBB175_1656:
	s_and_not1_saveexec_b32 s7, s7
	s_cbranch_execz .LBB175_1637
.LBB175_1657:
	v_cmp_ne_u16_e32 vcc_lo, 0, v5
	s_and_not1_b32 s12, s12, exec_lo
	s_and_b32 s13, vcc_lo, exec_lo
	s_delay_alu instid0(SALU_CYCLE_1)
	s_or_b32 s12, s12, s13
	s_or_b32 exec_lo, exec_lo, s7
	v_mov_b32_e32 v10, 0
	s_and_saveexec_b32 s7, s12
	s_cbranch_execnz .LBB175_1638
	s_branch .LBB175_1639
.LBB175_1658:
	s_mov_b32 s6, -1
.LBB175_1659:
                                        ; implicit-def: $vgpr10
.LBB175_1660:
	s_and_b32 vcc_lo, exec_lo, s7
	s_mov_b32 s7, 0
	s_cbranch_vccz .LBB175_1662
; %bb.1661:
	s_cmp_lg_u32 s11, 11
	s_mov_b32 s7, -1
	s_cselect_b32 s6, -1, 0
.LBB175_1662:
	s_delay_alu instid0(SALU_CYCLE_1)
	s_and_b32 vcc_lo, exec_lo, s6
	s_cbranch_vccnz .LBB175_2208
; %bb.1663:
	s_and_not1_b32 vcc_lo, exec_lo, s7
	s_cbranch_vccnz .LBB175_1665
.LBB175_1664:
	global_load_u8 v5, v[8:9], off
	s_mov_b32 s12, -1
	s_wait_loadcnt 0x0
	v_cmp_ne_u16_e32 vcc_lo, 0, v5
	v_cndmask_b32_e64 v10, 0, 1, vcc_lo
.LBB175_1665:
	s_mov_b32 s6, 0
.LBB175_1666:
	s_delay_alu instid0(SALU_CYCLE_1)
	s_and_b32 vcc_lo, exec_lo, s6
	s_cbranch_vccz .LBB175_1715
; %bb.1667:
	s_cmp_lt_i32 s11, 5
	s_cbranch_scc1 .LBB175_1672
; %bb.1668:
	s_cmp_lt_i32 s11, 8
	s_cbranch_scc1 .LBB175_1673
	;; [unrolled: 3-line block ×3, first 2 shown]
; %bb.1670:
	s_cmp_gt_i32 s11, 9
	s_cbranch_scc0 .LBB175_1675
; %bb.1671:
	s_wait_loadcnt 0x0
	global_load_b64 v[10:11], v[8:9], off
	s_mov_b32 s6, 0
	s_wait_loadcnt 0x0
	v_trunc_f64_e32 v[10:11], v[10:11]
	s_delay_alu instid0(VALU_DEP_1) | instskip(NEXT) | instid1(VALU_DEP_1)
	v_ldexp_f64 v[14:15], v[10:11], 0xffffffe0
	v_floor_f64_e32 v[14:15], v[14:15]
	s_delay_alu instid0(VALU_DEP_1) | instskip(NEXT) | instid1(VALU_DEP_1)
	v_fmamk_f64 v[10:11], v[14:15], 0xc1f00000, v[10:11]
	v_cvt_u32_f64_e32 v10, v[10:11]
	s_branch .LBB175_1676
.LBB175_1672:
	s_mov_b32 s6, -1
                                        ; implicit-def: $vgpr10
	s_branch .LBB175_1694
.LBB175_1673:
	s_mov_b32 s6, -1
                                        ; implicit-def: $vgpr10
	s_branch .LBB175_1682
.LBB175_1674:
	s_mov_b32 s6, -1
                                        ; implicit-def: $vgpr10
	s_branch .LBB175_1679
.LBB175_1675:
	s_mov_b32 s6, -1
                                        ; implicit-def: $vgpr10
.LBB175_1676:
	s_delay_alu instid0(SALU_CYCLE_1)
	s_and_not1_b32 vcc_lo, exec_lo, s6
	s_cbranch_vccnz .LBB175_1678
; %bb.1677:
	global_load_b32 v5, v[8:9], off
	s_wait_loadcnt 0x0
	v_trunc_f32_e32 v5, v5
	s_delay_alu instid0(VALU_DEP_1) | instskip(NEXT) | instid1(VALU_DEP_1)
	v_mul_f32_e64 v7, 0x2f800000, |v5|
	v_floor_f32_e32 v7, v7
	s_delay_alu instid0(VALU_DEP_1) | instskip(SKIP_1) | instid1(VALU_DEP_2)
	v_fma_f32 v7, 0xcf800000, v7, |v5|
	v_ashrrev_i32_e32 v5, 31, v5
	v_cvt_u32_f32_e32 v7, v7
	s_delay_alu instid0(VALU_DEP_1) | instskip(NEXT) | instid1(VALU_DEP_1)
	v_xor_b32_e32 v7, v7, v5
	v_sub_nc_u32_e32 v10, v7, v5
.LBB175_1678:
	s_mov_b32 s6, 0
.LBB175_1679:
	s_delay_alu instid0(SALU_CYCLE_1)
	s_and_not1_b32 vcc_lo, exec_lo, s6
	s_cbranch_vccnz .LBB175_1681
; %bb.1680:
	global_load_b32 v5, v[8:9], off
	s_wait_loadcnt 0x0
	v_cvt_f32_f16_e32 v5, v5
	s_delay_alu instid0(VALU_DEP_1)
	v_cvt_i32_f32_e32 v10, v5
.LBB175_1681:
	s_mov_b32 s6, 0
.LBB175_1682:
	s_delay_alu instid0(SALU_CYCLE_1)
	s_and_not1_b32 vcc_lo, exec_lo, s6
	s_cbranch_vccnz .LBB175_1693
; %bb.1683:
	s_cmp_lt_i32 s11, 6
	s_cbranch_scc1 .LBB175_1686
; %bb.1684:
	s_cmp_gt_i32 s11, 6
	s_cbranch_scc0 .LBB175_1687
; %bb.1685:
	s_wait_loadcnt 0x0
	global_load_b64 v[10:11], v[8:9], off
	s_mov_b32 s6, 0
	s_wait_loadcnt 0x0
	v_trunc_f64_e32 v[10:11], v[10:11]
	s_delay_alu instid0(VALU_DEP_1) | instskip(NEXT) | instid1(VALU_DEP_1)
	v_ldexp_f64 v[14:15], v[10:11], 0xffffffe0
	v_floor_f64_e32 v[14:15], v[14:15]
	s_delay_alu instid0(VALU_DEP_1) | instskip(NEXT) | instid1(VALU_DEP_1)
	v_fmamk_f64 v[10:11], v[14:15], 0xc1f00000, v[10:11]
	v_cvt_u32_f64_e32 v10, v[10:11]
	s_branch .LBB175_1688
.LBB175_1686:
	s_mov_b32 s6, -1
                                        ; implicit-def: $vgpr10
	s_branch .LBB175_1691
.LBB175_1687:
	s_mov_b32 s6, -1
                                        ; implicit-def: $vgpr10
.LBB175_1688:
	s_delay_alu instid0(SALU_CYCLE_1)
	s_and_not1_b32 vcc_lo, exec_lo, s6
	s_cbranch_vccnz .LBB175_1690
; %bb.1689:
	global_load_b32 v5, v[8:9], off
	s_wait_loadcnt 0x0
	v_trunc_f32_e32 v5, v5
	s_delay_alu instid0(VALU_DEP_1) | instskip(NEXT) | instid1(VALU_DEP_1)
	v_mul_f32_e64 v7, 0x2f800000, |v5|
	v_floor_f32_e32 v7, v7
	s_delay_alu instid0(VALU_DEP_1) | instskip(SKIP_1) | instid1(VALU_DEP_2)
	v_fma_f32 v7, 0xcf800000, v7, |v5|
	v_ashrrev_i32_e32 v5, 31, v5
	v_cvt_u32_f32_e32 v7, v7
	s_delay_alu instid0(VALU_DEP_1) | instskip(NEXT) | instid1(VALU_DEP_1)
	v_xor_b32_e32 v7, v7, v5
	v_sub_nc_u32_e32 v10, v7, v5
.LBB175_1690:
	s_mov_b32 s6, 0
.LBB175_1691:
	s_delay_alu instid0(SALU_CYCLE_1)
	s_and_not1_b32 vcc_lo, exec_lo, s6
	s_cbranch_vccnz .LBB175_1693
; %bb.1692:
	global_load_u16 v5, v[8:9], off
	s_wait_loadcnt 0x0
	v_cvt_f32_f16_e32 v5, v5
	s_delay_alu instid0(VALU_DEP_1)
	v_cvt_i32_f32_e32 v10, v5
.LBB175_1693:
	s_mov_b32 s6, 0
.LBB175_1694:
	s_delay_alu instid0(SALU_CYCLE_1)
	s_and_not1_b32 vcc_lo, exec_lo, s6
	s_cbranch_vccnz .LBB175_1714
; %bb.1695:
	s_cmp_lt_i32 s11, 2
	s_cbranch_scc1 .LBB175_1699
; %bb.1696:
	s_cmp_lt_i32 s11, 3
	s_cbranch_scc1 .LBB175_1700
; %bb.1697:
	s_cmp_gt_i32 s11, 3
	s_cbranch_scc0 .LBB175_1701
; %bb.1698:
	s_wait_loadcnt 0x0
	global_load_b64 v[10:11], v[8:9], off
	s_mov_b32 s6, 0
	s_branch .LBB175_1702
.LBB175_1699:
	s_mov_b32 s6, -1
                                        ; implicit-def: $vgpr10
	s_branch .LBB175_1708
.LBB175_1700:
	s_mov_b32 s6, -1
                                        ; implicit-def: $vgpr10
	s_branch .LBB175_1705
.LBB175_1701:
	s_mov_b32 s6, -1
                                        ; implicit-def: $vgpr10
.LBB175_1702:
	s_delay_alu instid0(SALU_CYCLE_1)
	s_and_not1_b32 vcc_lo, exec_lo, s6
	s_cbranch_vccnz .LBB175_1704
; %bb.1703:
	s_wait_loadcnt 0x0
	global_load_b32 v10, v[8:9], off
.LBB175_1704:
	s_mov_b32 s6, 0
.LBB175_1705:
	s_delay_alu instid0(SALU_CYCLE_1)
	s_and_not1_b32 vcc_lo, exec_lo, s6
	s_cbranch_vccnz .LBB175_1707
; %bb.1706:
	s_wait_loadcnt 0x0
	global_load_u16 v10, v[8:9], off
.LBB175_1707:
	s_mov_b32 s6, 0
.LBB175_1708:
	s_delay_alu instid0(SALU_CYCLE_1)
	s_and_not1_b32 vcc_lo, exec_lo, s6
	s_cbranch_vccnz .LBB175_1714
; %bb.1709:
	s_cmp_gt_i32 s11, 0
	s_mov_b32 s6, 0
	s_cbranch_scc0 .LBB175_1711
; %bb.1710:
	s_wait_loadcnt 0x0
	global_load_u8 v10, v[8:9], off
	s_branch .LBB175_1712
.LBB175_1711:
	s_mov_b32 s6, -1
                                        ; implicit-def: $vgpr10
.LBB175_1712:
	s_delay_alu instid0(SALU_CYCLE_1)
	s_and_not1_b32 vcc_lo, exec_lo, s6
	s_cbranch_vccnz .LBB175_1714
; %bb.1713:
	s_wait_loadcnt 0x0
	global_load_u8 v10, v[8:9], off
.LBB175_1714:
	s_mov_b32 s12, -1
.LBB175_1715:
	s_delay_alu instid0(SALU_CYCLE_1)
	s_and_not1_b32 vcc_lo, exec_lo, s12
	s_cbranch_vccnz .LBB175_1719
; %bb.1716:
	s_cmp_lt_i32 s0, 1
	s_mov_b32 s6, 0
	s_cbranch_scc1 .LBB175_1764
; %bb.1717:
	s_cmp_eq_u32 s0, 1
	s_cbranch_scc0 .LBB175_1765
; %bb.1718:
	s_wait_loadcnt 0x0
	s_delay_alu instid0(VALU_DEP_1)
	v_and_b32_e32 v5, 0xff, v10
	s_and_b32 s7, s1, 0xff
	s_delay_alu instid0(VALU_DEP_1) | instid1(SALU_CYCLE_1)
	v_min_u16 v8, v5, s7
	s_mov_b32 s7, 0
	s_branch .LBB175_1766
.LBB175_1719:
	s_mov_b32 s0, 0
	s_wait_xcnt 0x0
	s_mov_b32 s3, 0
                                        ; implicit-def: $vgpr2_vgpr3
                                        ; implicit-def: $sgpr1
                                        ; implicit-def: $vgpr8
.LBB175_1720:
	s_and_not1_b32 s2, s8, exec_lo
	s_and_b32 s4, s10, exec_lo
	s_and_b32 s0, s0, exec_lo
	;; [unrolled: 1-line block ×3, first 2 shown]
	s_or_b32 s8, s2, s4
.LBB175_1721:
	s_wait_xcnt 0x0
	s_or_b32 exec_lo, exec_lo, s9
	s_and_saveexec_b32 s2, s8
	s_cbranch_execz .LBB175_1724
; %bb.1722:
	; divergent unreachable
	s_or_b32 exec_lo, exec_lo, s2
	s_and_saveexec_b32 s2, s34
	s_delay_alu instid0(SALU_CYCLE_1)
	s_xor_b32 s2, exec_lo, s2
	s_cbranch_execnz .LBB175_1725
.LBB175_1723:
	s_or_b32 exec_lo, exec_lo, s2
	s_and_saveexec_b32 s2, s0
	s_cbranch_execnz .LBB175_1726
	s_branch .LBB175_1763
.LBB175_1724:
	s_or_b32 exec_lo, exec_lo, s2
	s_and_saveexec_b32 s2, s34
	s_delay_alu instid0(SALU_CYCLE_1)
	s_xor_b32 s2, exec_lo, s2
	s_cbranch_execz .LBB175_1723
.LBB175_1725:
	v_and_b32_e32 v0, 0xff, v8
	s_delay_alu instid0(VALU_DEP_1)
	v_cmp_ne_u16_e32 vcc_lo, 0, v0
	v_cndmask_b32_e64 v0, 0, 1, vcc_lo
	global_store_b8 v[2:3], v0, off
	s_wait_xcnt 0x0
	s_or_b32 exec_lo, exec_lo, s2
	s_and_saveexec_b32 s2, s0
	s_cbranch_execz .LBB175_1763
.LBB175_1726:
	s_sext_i32_i16 s2, s1
	s_mov_b32 s0, -1
	s_cmp_lt_i32 s2, 5
	s_cbranch_scc1 .LBB175_1747
; %bb.1727:
	s_cmp_lt_i32 s2, 8
	s_cbranch_scc1 .LBB175_1737
; %bb.1728:
	;; [unrolled: 3-line block ×3, first 2 shown]
	s_cmp_gt_i32 s2, 9
	s_cbranch_scc0 .LBB175_1731
; %bb.1730:
	v_and_b32_e32 v0, 0xff, v8
	s_wait_loadcnt 0x0
	v_mov_b32_e32 v6, 0
	s_mov_b32 s0, 0
	s_delay_alu instid0(VALU_DEP_2) | instskip(NEXT) | instid1(VALU_DEP_2)
	v_and_b32_e32 v0, 0xffff, v0
	v_mov_b32_e32 v7, v6
	s_delay_alu instid0(VALU_DEP_2)
	v_cvt_f64_u32_e32 v[4:5], v0
	global_store_b128 v[2:3], v[4:7], off
.LBB175_1731:
	s_and_not1_b32 vcc_lo, exec_lo, s0
	s_cbranch_vccnz .LBB175_1733
; %bb.1732:
	v_cvt_f32_ubyte0_e32 v0, v8
	v_mov_b32_e32 v1, 0
	global_store_b64 v[2:3], v[0:1], off
.LBB175_1733:
	s_mov_b32 s0, 0
.LBB175_1734:
	s_delay_alu instid0(SALU_CYCLE_1)
	s_and_not1_b32 vcc_lo, exec_lo, s0
	s_cbranch_vccnz .LBB175_1736
; %bb.1735:
	s_wait_xcnt 0x0
	v_and_b32_e32 v0, 0xff, v8
	s_delay_alu instid0(VALU_DEP_1) | instskip(NEXT) | instid1(VALU_DEP_1)
	v_cvt_f16_u16_e32 v0, v0
	v_and_b32_e32 v0, 0xffff, v0
	global_store_b32 v[2:3], v0, off
.LBB175_1736:
	s_mov_b32 s0, 0
.LBB175_1737:
	s_delay_alu instid0(SALU_CYCLE_1)
	s_and_not1_b32 vcc_lo, exec_lo, s0
	s_cbranch_vccnz .LBB175_1746
; %bb.1738:
	s_sext_i32_i16 s2, s1
	s_mov_b32 s0, -1
	s_cmp_lt_i32 s2, 6
	s_cbranch_scc1 .LBB175_1744
; %bb.1739:
	s_cmp_gt_i32 s2, 6
	s_cbranch_scc0 .LBB175_1741
; %bb.1740:
	s_wait_xcnt 0x0
	v_and_b32_e32 v0, 0xff, v8
	s_mov_b32 s0, 0
	s_delay_alu instid0(VALU_DEP_1) | instskip(NEXT) | instid1(VALU_DEP_1)
	v_and_b32_e32 v0, 0xffff, v0
	v_cvt_f64_u32_e32 v[0:1], v0
	global_store_b64 v[2:3], v[0:1], off
.LBB175_1741:
	s_and_not1_b32 vcc_lo, exec_lo, s0
	s_cbranch_vccnz .LBB175_1743
; %bb.1742:
	s_wait_xcnt 0x0
	v_cvt_f32_ubyte0_e32 v0, v8
	global_store_b32 v[2:3], v0, off
.LBB175_1743:
	s_mov_b32 s0, 0
.LBB175_1744:
	s_delay_alu instid0(SALU_CYCLE_1)
	s_and_not1_b32 vcc_lo, exec_lo, s0
	s_cbranch_vccnz .LBB175_1746
; %bb.1745:
	s_wait_xcnt 0x0
	v_and_b32_e32 v0, 0xff, v8
	s_delay_alu instid0(VALU_DEP_1)
	v_cvt_f16_u16_e32 v0, v0
	global_store_b16 v[2:3], v0, off
.LBB175_1746:
	s_mov_b32 s0, 0
.LBB175_1747:
	s_delay_alu instid0(SALU_CYCLE_1)
	s_and_not1_b32 vcc_lo, exec_lo, s0
	s_cbranch_vccnz .LBB175_1763
; %bb.1748:
	s_sext_i32_i16 s2, s1
	s_mov_b32 s0, -1
	s_cmp_lt_i32 s2, 2
	s_cbranch_scc1 .LBB175_1758
; %bb.1749:
	s_cmp_lt_i32 s2, 3
	s_cbranch_scc1 .LBB175_1755
; %bb.1750:
	s_cmp_gt_i32 s2, 3
	s_cbranch_scc0 .LBB175_1752
; %bb.1751:
	s_wait_xcnt 0x0
	v_and_b32_e32 v0, 0xff, v8
	v_mov_b32_e32 v1, 0
	s_mov_b32 s0, 0
	global_store_b64 v[2:3], v[0:1], off
.LBB175_1752:
	s_and_not1_b32 vcc_lo, exec_lo, s0
	s_cbranch_vccnz .LBB175_1754
; %bb.1753:
	s_wait_xcnt 0x0
	v_and_b32_e32 v0, 0xff, v8
	global_store_b32 v[2:3], v0, off
.LBB175_1754:
	s_mov_b32 s0, 0
.LBB175_1755:
	s_delay_alu instid0(SALU_CYCLE_1)
	s_and_not1_b32 vcc_lo, exec_lo, s0
	s_cbranch_vccnz .LBB175_1757
; %bb.1756:
	s_wait_xcnt 0x0
	v_and_b32_e32 v0, 0xff, v8
	global_store_b16 v[2:3], v0, off
.LBB175_1757:
	s_mov_b32 s0, 0
.LBB175_1758:
	s_delay_alu instid0(SALU_CYCLE_1)
	s_and_not1_b32 vcc_lo, exec_lo, s0
	s_cbranch_vccnz .LBB175_1763
; %bb.1759:
	s_sext_i32_i16 s0, s1
	s_delay_alu instid0(SALU_CYCLE_1)
	s_cmp_gt_i32 s0, 0
	s_mov_b32 s0, -1
	s_cbranch_scc0 .LBB175_1761
; %bb.1760:
	s_mov_b32 s0, 0
	global_store_b8 v[2:3], v8, off
.LBB175_1761:
	s_and_not1_b32 vcc_lo, exec_lo, s0
	s_cbranch_vccnz .LBB175_1763
; %bb.1762:
	global_store_b8 v[2:3], v8, off
	s_endpgm
.LBB175_1763:
	s_endpgm
.LBB175_1764:
	s_mov_b32 s11, -1
	s_mov_b32 s7, 0
                                        ; implicit-def: $vgpr8
	s_branch .LBB175_1767
.LBB175_1765:
	s_mov_b32 s7, -1
                                        ; implicit-def: $vgpr8
.LBB175_1766:
	s_mov_b32 s11, 0
.LBB175_1767:
	s_delay_alu instid0(SALU_CYCLE_1)
	s_and_b32 vcc_lo, exec_lo, s11
	s_cbranch_vccz .LBB175_1849
; %bb.1768:
	s_cmp_lg_u32 s0, 0
	s_mov_b32 s6, -1
	s_cselect_b32 s7, -1, 0
	s_delay_alu instid0(SALU_CYCLE_1)
	s_and_not1_b32 vcc_lo, exec_lo, s7
	s_cbranch_vccz .LBB175_1850
.LBB175_1769:
	s_and_not1_b32 vcc_lo, exec_lo, s6
	s_cbranch_vccnz .LBB175_1771
.LBB175_1770:
	s_wait_loadcnt 0x0
	s_delay_alu instid0(VALU_DEP_1)
	v_and_b32_e32 v5, 0xff, v10
	s_and_b32 s0, s1, 0xff
	s_delay_alu instid0(VALU_DEP_1) | instid1(SALU_CYCLE_1)
	v_max_u16 v8, v5, s0
.LBB175_1771:
	s_load_b32 s0, s[2:3], 0x160
	v_mov_b32_e32 v7, 0
	s_delay_alu instid0(VALU_DEP_1) | instskip(SKIP_2) | instid1(SALU_CYCLE_1)
	v_add_nc_u64_e32 v[6:7], s[4:5], v[6:7]
	s_wait_kmcnt 0x0
	s_and_b32 s1, s0, 0xff
	s_cmp_lt_i32 s1, 11
	s_cbranch_scc1 .LBB175_1851
; %bb.1772:
	s_and_b32 s2, 0xffff, s1
	s_mov_b32 s7, -1
	s_mov_b32 s3, 0
	s_cmp_gt_i32 s2, 25
	s_mov_b32 s6, 0
	s_mov_b32 s0, 0
	s_cbranch_scc0 .LBB175_1805
; %bb.1773:
	s_cmp_gt_i32 s2, 28
	s_cbranch_scc0 .LBB175_1788
; %bb.1774:
	s_cmp_gt_i32 s2, 43
	s_cbranch_scc0 .LBB175_1784
; %bb.1775:
	s_cmp_gt_i32 s2, 45
	s_cbranch_scc0 .LBB175_1778
; %bb.1776:
	s_mov_b32 s0, -1
	s_mov_b32 s7, 0
	s_cmp_eq_u32 s2, 46
	s_cbranch_scc0 .LBB175_1778
; %bb.1777:
	v_cvt_f32_ubyte0_e32 v5, v1
	s_mov_b32 s0, 0
	s_mov_b32 s6, -1
	s_delay_alu instid0(VALU_DEP_1) | instskip(NEXT) | instid1(VALU_DEP_1)
	v_bfe_u32 v9, v5, 16, 1
	v_add3_u32 v5, v5, v9, 0x7fff
	s_delay_alu instid0(VALU_DEP_1)
	v_lshrrev_b32_e32 v5, 16, v5
	global_store_b32 v[6:7], v5, off
.LBB175_1778:
	s_and_b32 vcc_lo, exec_lo, s7
	s_cbranch_vccz .LBB175_1783
; %bb.1779:
	s_cmp_eq_u32 s2, 44
	s_mov_b32 s0, -1
	s_cbranch_scc0 .LBB175_1783
; %bb.1780:
	s_wait_loadcnt 0x0
	v_cvt_f32_ubyte0_e32 v10, v1
	v_mov_b32_e32 v9, 0xff
	s_mov_b32 s6, exec_lo
	s_wait_xcnt 0x0
	s_delay_alu instid0(VALU_DEP_2) | instskip(NEXT) | instid1(VALU_DEP_1)
	v_lshrrev_b32_e32 v5, 23, v10
	v_cmpx_ne_u32_e32 0xff, v5
; %bb.1781:
	v_and_b32_e32 v9, 0x400000, v10
	v_and_or_b32 v10, 0x3fffff, v10, v5
	s_delay_alu instid0(VALU_DEP_2) | instskip(NEXT) | instid1(VALU_DEP_2)
	v_cmp_ne_u32_e32 vcc_lo, 0, v9
	v_cmp_ne_u32_e64 s0, 0, v10
	s_and_b32 s0, vcc_lo, s0
	s_delay_alu instid0(SALU_CYCLE_1) | instskip(NEXT) | instid1(VALU_DEP_1)
	v_cndmask_b32_e64 v9, 0, 1, s0
	v_add_nc_u32_e32 v9, v5, v9
; %bb.1782:
	s_or_b32 exec_lo, exec_lo, s6
	s_mov_b32 s0, 0
	s_mov_b32 s6, -1
	global_store_b8 v[6:7], v9, off
.LBB175_1783:
	s_mov_b32 s7, 0
.LBB175_1784:
	s_delay_alu instid0(SALU_CYCLE_1)
	s_and_b32 vcc_lo, exec_lo, s7
	s_cbranch_vccz .LBB175_1787
; %bb.1785:
	s_cmp_eq_u32 s2, 29
	s_mov_b32 s0, -1
	s_cbranch_scc0 .LBB175_1787
; %bb.1786:
	s_wait_loadcnt 0x0
	v_and_b32_e32 v10, 0xff, v1
	v_mov_b32_e32 v11, 0
	s_mov_b32 s0, 0
	s_mov_b32 s6, -1
	global_store_b64 v[6:7], v[10:11], off
.LBB175_1787:
	s_mov_b32 s7, 0
.LBB175_1788:
	s_delay_alu instid0(SALU_CYCLE_1)
	s_and_b32 vcc_lo, exec_lo, s7
	s_cbranch_vccz .LBB175_1804
; %bb.1789:
	s_cmp_lt_i32 s2, 27
	s_mov_b32 s6, -1
	s_cbranch_scc1 .LBB175_1795
; %bb.1790:
	s_cmp_gt_i32 s2, 27
	s_cbranch_scc0 .LBB175_1792
; %bb.1791:
	s_wait_xcnt 0x0
	v_and_b32_e32 v5, 0xff, v1
	s_mov_b32 s6, 0
	global_store_b32 v[6:7], v5, off
.LBB175_1792:
	s_and_not1_b32 vcc_lo, exec_lo, s6
	s_cbranch_vccnz .LBB175_1794
; %bb.1793:
	s_wait_xcnt 0x0
	v_and_b32_e32 v5, 0xff, v1
	global_store_b16 v[6:7], v5, off
.LBB175_1794:
	s_mov_b32 s6, 0
.LBB175_1795:
	s_delay_alu instid0(SALU_CYCLE_1)
	s_and_not1_b32 vcc_lo, exec_lo, s6
	s_cbranch_vccnz .LBB175_1803
; %bb.1796:
	s_wait_xcnt 0x0
	v_cvt_f32_ubyte0_e32 v9, v1
	s_wait_loadcnt 0x0
	v_mov_b32_e32 v10, 0x80
	s_mov_b32 s6, exec_lo
	s_delay_alu instid0(VALU_DEP_2)
	v_cmpx_gt_u32_e32 0x43800000, v9
	s_cbranch_execz .LBB175_1802
; %bb.1797:
	s_mov_b32 s7, 0
	s_mov_b32 s11, exec_lo
                                        ; implicit-def: $vgpr5
	v_cmpx_lt_u32_e32 0x3bffffff, v9
	s_xor_b32 s11, exec_lo, s11
	s_cbranch_execz .LBB175_2209
; %bb.1798:
	v_bfe_u32 v5, v9, 20, 1
	s_mov_b32 s7, exec_lo
	s_delay_alu instid0(VALU_DEP_1) | instskip(NEXT) | instid1(VALU_DEP_1)
	v_add3_u32 v5, v9, v5, 0x487ffff
                                        ; implicit-def: $vgpr9
	v_lshrrev_b32_e32 v5, 20, v5
	s_and_not1_saveexec_b32 s11, s11
	s_cbranch_execnz .LBB175_2210
.LBB175_1799:
	s_or_b32 exec_lo, exec_lo, s11
	v_mov_b32_e32 v10, 0
	s_and_saveexec_b32 s11, s7
.LBB175_1800:
	v_mov_b32_e32 v10, v5
.LBB175_1801:
	s_or_b32 exec_lo, exec_lo, s11
.LBB175_1802:
	s_delay_alu instid0(SALU_CYCLE_1)
	s_or_b32 exec_lo, exec_lo, s6
	global_store_b8 v[6:7], v10, off
.LBB175_1803:
	s_mov_b32 s6, -1
.LBB175_1804:
	s_mov_b32 s7, 0
.LBB175_1805:
	s_delay_alu instid0(SALU_CYCLE_1)
	s_and_b32 vcc_lo, exec_lo, s7
	s_cbranch_vccz .LBB175_1845
; %bb.1806:
	s_cmp_gt_i32 s2, 22
	s_mov_b32 s3, -1
	s_cbranch_scc0 .LBB175_1838
; %bb.1807:
	s_cmp_lt_i32 s2, 24
	s_cbranch_scc1 .LBB175_1827
; %bb.1808:
	s_cmp_gt_i32 s2, 24
	s_cbranch_scc0 .LBB175_1816
; %bb.1809:
	s_wait_xcnt 0x0
	v_cvt_f32_ubyte0_e32 v9, v1
	s_wait_loadcnt 0x0
	v_mov_b32_e32 v10, 0x80
	s_mov_b32 s3, exec_lo
	s_delay_alu instid0(VALU_DEP_2)
	v_cmpx_gt_u32_e32 0x47800000, v9
	s_cbranch_execz .LBB175_1815
; %bb.1810:
	s_mov_b32 s6, 0
	s_mov_b32 s7, exec_lo
                                        ; implicit-def: $vgpr5
	v_cmpx_lt_u32_e32 0x37ffffff, v9
	s_xor_b32 s7, exec_lo, s7
	s_cbranch_execz .LBB175_2212
; %bb.1811:
	v_bfe_u32 v5, v9, 21, 1
	s_mov_b32 s6, exec_lo
	s_delay_alu instid0(VALU_DEP_1) | instskip(NEXT) | instid1(VALU_DEP_1)
	v_add3_u32 v5, v9, v5, 0x88fffff
                                        ; implicit-def: $vgpr9
	v_lshrrev_b32_e32 v5, 21, v5
	s_and_not1_saveexec_b32 s7, s7
	s_cbranch_execnz .LBB175_2213
.LBB175_1812:
	s_or_b32 exec_lo, exec_lo, s7
	v_mov_b32_e32 v10, 0
	s_and_saveexec_b32 s7, s6
.LBB175_1813:
	v_mov_b32_e32 v10, v5
.LBB175_1814:
	s_or_b32 exec_lo, exec_lo, s7
.LBB175_1815:
	s_delay_alu instid0(SALU_CYCLE_1)
	s_or_b32 exec_lo, exec_lo, s3
	s_mov_b32 s3, 0
	global_store_b8 v[6:7], v10, off
.LBB175_1816:
	s_and_b32 vcc_lo, exec_lo, s3
	s_cbranch_vccz .LBB175_1826
; %bb.1817:
	s_wait_xcnt 0x0
	v_cvt_f32_ubyte0_e32 v9, v1
	s_mov_b32 s3, exec_lo
                                        ; implicit-def: $vgpr5
	s_delay_alu instid0(VALU_DEP_1)
	v_cmpx_gt_u32_e32 0x43f00000, v9
	s_xor_b32 s3, exec_lo, s3
	s_cbranch_execz .LBB175_1823
; %bb.1818:
	s_mov_b32 s6, exec_lo
                                        ; implicit-def: $vgpr5
	v_cmpx_lt_u32_e32 0x3c7fffff, v9
	s_xor_b32 s6, exec_lo, s6
; %bb.1819:
	v_bfe_u32 v5, v9, 20, 1
	s_delay_alu instid0(VALU_DEP_1) | instskip(NEXT) | instid1(VALU_DEP_1)
	v_add3_u32 v5, v9, v5, 0x407ffff
	v_and_b32_e32 v9, 0xff00000, v5
	v_lshrrev_b32_e32 v5, 20, v5
	s_delay_alu instid0(VALU_DEP_2) | instskip(NEXT) | instid1(VALU_DEP_2)
	v_cmp_ne_u32_e32 vcc_lo, 0x7f00000, v9
                                        ; implicit-def: $vgpr9
	v_cndmask_b32_e32 v5, 0x7e, v5, vcc_lo
; %bb.1820:
	s_and_not1_saveexec_b32 s6, s6
; %bb.1821:
	v_add_f32_e32 v5, 0x46800000, v9
; %bb.1822:
	s_or_b32 exec_lo, exec_lo, s6
                                        ; implicit-def: $vgpr9
.LBB175_1823:
	s_and_not1_saveexec_b32 s3, s3
; %bb.1824:
	v_mov_b32_e32 v5, 0x7f
	v_cmp_lt_u32_e32 vcc_lo, 0x7f800000, v9
	s_delay_alu instid0(VALU_DEP_2)
	v_cndmask_b32_e32 v5, 0x7e, v5, vcc_lo
; %bb.1825:
	s_or_b32 exec_lo, exec_lo, s3
	global_store_b8 v[6:7], v5, off
.LBB175_1826:
	s_mov_b32 s3, 0
.LBB175_1827:
	s_delay_alu instid0(SALU_CYCLE_1)
	s_and_not1_b32 vcc_lo, exec_lo, s3
	s_cbranch_vccnz .LBB175_1837
; %bb.1828:
	s_wait_xcnt 0x0
	v_cvt_f32_ubyte0_e32 v9, v1
	s_mov_b32 s3, exec_lo
                                        ; implicit-def: $vgpr5
	s_delay_alu instid0(VALU_DEP_1)
	v_cmpx_gt_u32_e32 0x47800000, v9
	s_xor_b32 s3, exec_lo, s3
	s_cbranch_execz .LBB175_1834
; %bb.1829:
	s_mov_b32 s6, exec_lo
                                        ; implicit-def: $vgpr5
	v_cmpx_lt_u32_e32 0x387fffff, v9
	s_xor_b32 s6, exec_lo, s6
; %bb.1830:
	v_bfe_u32 v5, v9, 21, 1
	s_delay_alu instid0(VALU_DEP_1) | instskip(NEXT) | instid1(VALU_DEP_1)
	v_add3_u32 v5, v9, v5, 0x80fffff
                                        ; implicit-def: $vgpr9
	v_lshrrev_b32_e32 v5, 21, v5
; %bb.1831:
	s_and_not1_saveexec_b32 s6, s6
; %bb.1832:
	v_add_f32_e32 v5, 0x43000000, v9
; %bb.1833:
	s_or_b32 exec_lo, exec_lo, s6
                                        ; implicit-def: $vgpr9
.LBB175_1834:
	s_and_not1_saveexec_b32 s3, s3
; %bb.1835:
	v_mov_b32_e32 v5, 0x7f
	v_cmp_lt_u32_e32 vcc_lo, 0x7f800000, v9
	s_delay_alu instid0(VALU_DEP_2)
	v_cndmask_b32_e32 v5, 0x7c, v5, vcc_lo
; %bb.1836:
	s_or_b32 exec_lo, exec_lo, s3
	global_store_b8 v[6:7], v5, off
.LBB175_1837:
	s_mov_b32 s3, 0
	s_mov_b32 s6, -1
.LBB175_1838:
	s_and_not1_b32 vcc_lo, exec_lo, s3
	s_mov_b32 s3, 0
	s_cbranch_vccnz .LBB175_1845
; %bb.1839:
	s_cmp_gt_i32 s2, 14
	s_mov_b32 s3, -1
	s_cbranch_scc0 .LBB175_1843
; %bb.1840:
	s_cmp_eq_u32 s2, 15
	s_mov_b32 s0, -1
	s_cbranch_scc0 .LBB175_1842
; %bb.1841:
	s_wait_xcnt 0x0
	v_cvt_f32_ubyte0_e32 v5, v1
	s_mov_b32 s0, 0
	s_mov_b32 s6, -1
	s_delay_alu instid0(VALU_DEP_1) | instskip(NEXT) | instid1(VALU_DEP_1)
	v_bfe_u32 v9, v5, 16, 1
	v_add3_u32 v5, v5, v9, 0x7fff
	global_store_d16_hi_b16 v[6:7], v5, off
.LBB175_1842:
	s_mov_b32 s3, 0
.LBB175_1843:
	s_delay_alu instid0(SALU_CYCLE_1)
	s_and_b32 vcc_lo, exec_lo, s3
	s_mov_b32 s3, 0
	s_cbranch_vccz .LBB175_1845
; %bb.1844:
	s_cmp_lg_u32 s2, 11
	s_mov_b32 s3, -1
	s_cselect_b32 s0, -1, 0
.LBB175_1845:
	s_delay_alu instid0(SALU_CYCLE_1)
	s_and_b32 vcc_lo, exec_lo, s0
	s_cbranch_vccnz .LBB175_2211
; %bb.1846:
	s_and_not1_b32 vcc_lo, exec_lo, s3
	s_cbranch_vccnz .LBB175_1848
.LBB175_1847:
	s_wait_xcnt 0x0
	v_and_b32_e32 v5, 0xff, v1
	s_mov_b32 s6, -1
	s_delay_alu instid0(VALU_DEP_1)
	v_cmp_ne_u16_e32 vcc_lo, 0, v5
	v_cndmask_b32_e64 v5, 0, 1, vcc_lo
	global_store_b8 v[6:7], v5, off
.LBB175_1848:
	s_mov_b32 s0, 0
	s_branch .LBB175_1852
.LBB175_1849:
	s_and_not1_b32 vcc_lo, exec_lo, s7
	s_cbranch_vccnz .LBB175_1769
.LBB175_1850:
	s_wait_xcnt 0x0
	v_mov_b32_e32 v5, 0
	s_wait_loadcnt 0x0
	s_delay_alu instid0(VALU_DEP_2) | instskip(SKIP_4) | instid1(VALU_DEP_1)
	v_and_b32_e32 v7, 0xff, v10
	s_and_b32 s0, s1, 0xff
	global_load_u8 v5, v5, s[2:3] offset:349
	v_max_u16 v7, v7, s0
	s_wait_loadcnt 0x0
	v_min_u16 v8, v7, v5
	s_cbranch_execz .LBB175_1770
	s_branch .LBB175_1771
.LBB175_1851:
	s_mov_b32 s0, -1
	s_mov_b32 s6, 0
.LBB175_1852:
	s_and_b32 vcc_lo, exec_lo, s0
	s_cbranch_vccz .LBB175_1891
; %bb.1853:
	s_and_b32 s0, 0xffff, s1
	s_mov_b32 s2, -1
	s_cmp_lt_i32 s0, 5
	s_cbranch_scc1 .LBB175_1874
; %bb.1854:
	s_cmp_lt_i32 s0, 8
	s_cbranch_scc1 .LBB175_1864
; %bb.1855:
	;; [unrolled: 3-line block ×3, first 2 shown]
	s_cmp_gt_i32 s0, 9
	s_cbranch_scc0 .LBB175_1858
; %bb.1857:
	s_wait_xcnt 0x0
	v_and_b32_e32 v5, 0xff, v1
	v_mov_b32_e32 v16, 0
	s_mov_b32 s2, 0
	s_delay_alu instid0(VALU_DEP_2) | instskip(NEXT) | instid1(VALU_DEP_2)
	v_and_b32_e32 v5, 0xffff, v5
	v_mov_b32_e32 v17, v16
	s_wait_loadcnt 0x0
	s_delay_alu instid0(VALU_DEP_2)
	v_cvt_f64_u32_e32 v[14:15], v5
	global_store_b128 v[6:7], v[14:17], off
.LBB175_1858:
	s_and_not1_b32 vcc_lo, exec_lo, s2
	s_cbranch_vccnz .LBB175_1860
; %bb.1859:
	s_wait_loadcnt 0x0
	v_cvt_f32_ubyte0_e32 v10, v1
	v_mov_b32_e32 v11, 0
	global_store_b64 v[6:7], v[10:11], off
.LBB175_1860:
	s_mov_b32 s2, 0
.LBB175_1861:
	s_delay_alu instid0(SALU_CYCLE_1)
	s_and_not1_b32 vcc_lo, exec_lo, s2
	s_cbranch_vccnz .LBB175_1863
; %bb.1862:
	s_wait_xcnt 0x0
	v_and_b32_e32 v5, 0xff, v1
	s_delay_alu instid0(VALU_DEP_1) | instskip(NEXT) | instid1(VALU_DEP_1)
	v_cvt_f16_u16_e32 v5, v5
	v_and_b32_e32 v5, 0xffff, v5
	global_store_b32 v[6:7], v5, off
.LBB175_1863:
	s_mov_b32 s2, 0
.LBB175_1864:
	s_delay_alu instid0(SALU_CYCLE_1)
	s_and_not1_b32 vcc_lo, exec_lo, s2
	s_cbranch_vccnz .LBB175_1873
; %bb.1865:
	s_cmp_lt_i32 s0, 6
	s_mov_b32 s2, -1
	s_cbranch_scc1 .LBB175_1871
; %bb.1866:
	s_cmp_gt_i32 s0, 6
	s_cbranch_scc0 .LBB175_1868
; %bb.1867:
	s_wait_xcnt 0x0
	v_and_b32_e32 v5, 0xff, v1
	s_mov_b32 s2, 0
	s_delay_alu instid0(VALU_DEP_1) | instskip(SKIP_1) | instid1(VALU_DEP_1)
	v_and_b32_e32 v5, 0xffff, v5
	s_wait_loadcnt 0x0
	v_cvt_f64_u32_e32 v[10:11], v5
	global_store_b64 v[6:7], v[10:11], off
.LBB175_1868:
	s_and_not1_b32 vcc_lo, exec_lo, s2
	s_cbranch_vccnz .LBB175_1870
; %bb.1869:
	s_wait_xcnt 0x0
	v_cvt_f32_ubyte0_e32 v5, v1
	global_store_b32 v[6:7], v5, off
.LBB175_1870:
	s_mov_b32 s2, 0
.LBB175_1871:
	s_delay_alu instid0(SALU_CYCLE_1)
	s_and_not1_b32 vcc_lo, exec_lo, s2
	s_cbranch_vccnz .LBB175_1873
; %bb.1872:
	s_wait_xcnt 0x0
	v_and_b32_e32 v5, 0xff, v1
	s_delay_alu instid0(VALU_DEP_1)
	v_cvt_f16_u16_e32 v5, v5
	global_store_b16 v[6:7], v5, off
.LBB175_1873:
	s_mov_b32 s2, 0
.LBB175_1874:
	s_delay_alu instid0(SALU_CYCLE_1)
	s_and_not1_b32 vcc_lo, exec_lo, s2
	s_cbranch_vccnz .LBB175_1890
; %bb.1875:
	s_cmp_lt_i32 s0, 2
	s_mov_b32 s2, -1
	s_cbranch_scc1 .LBB175_1885
; %bb.1876:
	s_cmp_lt_i32 s0, 3
	s_cbranch_scc1 .LBB175_1882
; %bb.1877:
	s_cmp_gt_i32 s0, 3
	s_cbranch_scc0 .LBB175_1879
; %bb.1878:
	s_wait_loadcnt 0x0
	v_and_b32_e32 v10, 0xff, v1
	v_mov_b32_e32 v11, 0
	s_mov_b32 s2, 0
	global_store_b64 v[6:7], v[10:11], off
.LBB175_1879:
	s_and_not1_b32 vcc_lo, exec_lo, s2
	s_cbranch_vccnz .LBB175_1881
; %bb.1880:
	s_wait_xcnt 0x0
	v_and_b32_e32 v5, 0xff, v1
	global_store_b32 v[6:7], v5, off
.LBB175_1881:
	s_mov_b32 s2, 0
.LBB175_1882:
	s_delay_alu instid0(SALU_CYCLE_1)
	s_and_not1_b32 vcc_lo, exec_lo, s2
	s_cbranch_vccnz .LBB175_1884
; %bb.1883:
	s_wait_xcnt 0x0
	v_and_b32_e32 v5, 0xff, v1
	global_store_b16 v[6:7], v5, off
.LBB175_1884:
	s_mov_b32 s2, 0
.LBB175_1885:
	s_delay_alu instid0(SALU_CYCLE_1)
	s_and_not1_b32 vcc_lo, exec_lo, s2
	s_cbranch_vccnz .LBB175_1890
; %bb.1886:
	s_cmp_gt_i32 s0, 0
	s_mov_b32 s0, -1
	s_cbranch_scc0 .LBB175_1888
; %bb.1887:
	s_mov_b32 s0, 0
	global_store_b8 v[6:7], v1, off
.LBB175_1888:
	s_and_not1_b32 vcc_lo, exec_lo, s0
	s_cbranch_vccnz .LBB175_1890
; %bb.1889:
	global_store_b8 v[6:7], v1, off
.LBB175_1890:
	s_mov_b32 s6, -1
.LBB175_1891:
	s_delay_alu instid0(SALU_CYCLE_1)
	s_and_not1_b32 vcc_lo, exec_lo, s6
	s_cbranch_vccnz .LBB175_2206
; %bb.1892:
	s_wait_xcnt 0x0
	v_mov_b32_e32 v5, 0
	s_and_b32 s2, 0xffff, s1
	s_delay_alu instid0(SALU_CYCLE_1) | instskip(NEXT) | instid1(VALU_DEP_1)
	s_cmp_lt_i32 s2, 11
	v_add_nc_u64_e32 v[4:5], s[4:5], v[4:5]
	s_cbranch_scc1 .LBB175_1970
; %bb.1893:
	s_mov_b32 s7, -1
	s_mov_b32 s3, 0
	s_cmp_gt_i32 s2, 25
	s_mov_b32 s6, 0
	s_mov_b32 s0, 0
	s_cbranch_scc0 .LBB175_1926
; %bb.1894:
	s_cmp_gt_i32 s2, 28
	s_cbranch_scc0 .LBB175_1909
; %bb.1895:
	s_cmp_gt_i32 s2, 43
	;; [unrolled: 3-line block ×3, first 2 shown]
	s_cbranch_scc0 .LBB175_1899
; %bb.1897:
	s_mov_b32 s0, -1
	s_mov_b32 s7, 0
	s_cmp_eq_u32 s2, 46
	s_cbranch_scc0 .LBB175_1899
; %bb.1898:
	v_cvt_f32_ubyte0_e32 v1, v3
	s_mov_b32 s0, 0
	s_mov_b32 s6, -1
	s_delay_alu instid0(VALU_DEP_1) | instskip(NEXT) | instid1(VALU_DEP_1)
	v_bfe_u32 v6, v1, 16, 1
	v_add3_u32 v1, v1, v6, 0x7fff
	s_delay_alu instid0(VALU_DEP_1)
	v_lshrrev_b32_e32 v1, 16, v1
	global_store_b32 v[4:5], v1, off
.LBB175_1899:
	s_and_b32 vcc_lo, exec_lo, s7
	s_cbranch_vccz .LBB175_1904
; %bb.1900:
	s_cmp_eq_u32 s2, 44
	s_mov_b32 s0, -1
	s_cbranch_scc0 .LBB175_1904
; %bb.1901:
	v_cvt_f32_ubyte0_e32 v7, v3
	s_mov_b32 s6, exec_lo
	s_wait_xcnt 0x0
	s_delay_alu instid0(VALU_DEP_1) | instskip(NEXT) | instid1(VALU_DEP_1)
	v_dual_mov_b32 v6, 0xff :: v_dual_lshrrev_b32 v1, 23, v7
	v_cmpx_ne_u32_e32 0xff, v1
; %bb.1902:
	v_and_b32_e32 v6, 0x400000, v7
	v_and_or_b32 v7, 0x3fffff, v7, v1
	s_delay_alu instid0(VALU_DEP_2) | instskip(NEXT) | instid1(VALU_DEP_2)
	v_cmp_ne_u32_e32 vcc_lo, 0, v6
	v_cmp_ne_u32_e64 s0, 0, v7
	s_and_b32 s0, vcc_lo, s0
	s_delay_alu instid0(SALU_CYCLE_1) | instskip(NEXT) | instid1(VALU_DEP_1)
	v_cndmask_b32_e64 v6, 0, 1, s0
	v_add_nc_u32_e32 v6, v1, v6
; %bb.1903:
	s_or_b32 exec_lo, exec_lo, s6
	s_mov_b32 s0, 0
	s_mov_b32 s6, -1
	global_store_b8 v[4:5], v6, off
.LBB175_1904:
	s_mov_b32 s7, 0
.LBB175_1905:
	s_delay_alu instid0(SALU_CYCLE_1)
	s_and_b32 vcc_lo, exec_lo, s7
	s_cbranch_vccz .LBB175_1908
; %bb.1906:
	s_cmp_eq_u32 s2, 29
	s_mov_b32 s0, -1
	s_cbranch_scc0 .LBB175_1908
; %bb.1907:
	s_wait_xcnt 0x0
	v_and_b32_e32 v6, 0xff, v3
	v_mov_b32_e32 v7, 0
	s_mov_b32 s0, 0
	s_mov_b32 s6, -1
	global_store_b64 v[4:5], v[6:7], off
.LBB175_1908:
	s_mov_b32 s7, 0
.LBB175_1909:
	s_delay_alu instid0(SALU_CYCLE_1)
	s_and_b32 vcc_lo, exec_lo, s7
	s_cbranch_vccz .LBB175_1925
; %bb.1910:
	s_cmp_lt_i32 s2, 27
	s_mov_b32 s6, -1
	s_cbranch_scc1 .LBB175_1916
; %bb.1911:
	s_cmp_gt_i32 s2, 27
	s_cbranch_scc0 .LBB175_1913
; %bb.1912:
	s_wait_xcnt 0x0
	v_and_b32_e32 v1, 0xff, v3
	s_mov_b32 s6, 0
	global_store_b32 v[4:5], v1, off
.LBB175_1913:
	s_and_not1_b32 vcc_lo, exec_lo, s6
	s_cbranch_vccnz .LBB175_1915
; %bb.1914:
	s_wait_xcnt 0x0
	v_and_b32_e32 v1, 0xff, v3
	global_store_b16 v[4:5], v1, off
.LBB175_1915:
	s_mov_b32 s6, 0
.LBB175_1916:
	s_delay_alu instid0(SALU_CYCLE_1)
	s_and_not1_b32 vcc_lo, exec_lo, s6
	s_cbranch_vccnz .LBB175_1924
; %bb.1917:
	s_wait_xcnt 0x0
	v_cvt_f32_ubyte0_e32 v6, v3
	v_mov_b32_e32 v7, 0x80
	s_mov_b32 s6, exec_lo
	s_delay_alu instid0(VALU_DEP_2)
	v_cmpx_gt_u32_e32 0x43800000, v6
	s_cbranch_execz .LBB175_1923
; %bb.1918:
	s_mov_b32 s7, 0
	s_mov_b32 s11, exec_lo
                                        ; implicit-def: $vgpr1
	v_cmpx_lt_u32_e32 0x3bffffff, v6
	s_xor_b32 s11, exec_lo, s11
	s_cbranch_execz .LBB175_2214
; %bb.1919:
	v_bfe_u32 v1, v6, 20, 1
	s_mov_b32 s7, exec_lo
	s_delay_alu instid0(VALU_DEP_1) | instskip(NEXT) | instid1(VALU_DEP_1)
	v_add3_u32 v1, v6, v1, 0x487ffff
                                        ; implicit-def: $vgpr6
	v_lshrrev_b32_e32 v1, 20, v1
	s_and_not1_saveexec_b32 s11, s11
	s_cbranch_execnz .LBB175_2215
.LBB175_1920:
	s_or_b32 exec_lo, exec_lo, s11
	v_mov_b32_e32 v7, 0
	s_and_saveexec_b32 s11, s7
.LBB175_1921:
	v_mov_b32_e32 v7, v1
.LBB175_1922:
	s_or_b32 exec_lo, exec_lo, s11
.LBB175_1923:
	s_delay_alu instid0(SALU_CYCLE_1)
	s_or_b32 exec_lo, exec_lo, s6
	global_store_b8 v[4:5], v7, off
.LBB175_1924:
	s_mov_b32 s6, -1
.LBB175_1925:
	s_mov_b32 s7, 0
.LBB175_1926:
	s_delay_alu instid0(SALU_CYCLE_1)
	s_and_b32 vcc_lo, exec_lo, s7
	s_cbranch_vccz .LBB175_1966
; %bb.1927:
	s_cmp_gt_i32 s2, 22
	s_mov_b32 s3, -1
	s_cbranch_scc0 .LBB175_1959
; %bb.1928:
	s_cmp_lt_i32 s2, 24
	s_cbranch_scc1 .LBB175_1948
; %bb.1929:
	s_cmp_gt_i32 s2, 24
	s_cbranch_scc0 .LBB175_1937
; %bb.1930:
	s_wait_xcnt 0x0
	v_cvt_f32_ubyte0_e32 v6, v3
	v_mov_b32_e32 v7, 0x80
	s_mov_b32 s3, exec_lo
	s_delay_alu instid0(VALU_DEP_2)
	v_cmpx_gt_u32_e32 0x47800000, v6
	s_cbranch_execz .LBB175_1936
; %bb.1931:
	s_mov_b32 s6, 0
	s_mov_b32 s7, exec_lo
                                        ; implicit-def: $vgpr1
	v_cmpx_lt_u32_e32 0x37ffffff, v6
	s_xor_b32 s7, exec_lo, s7
	s_cbranch_execz .LBB175_2217
; %bb.1932:
	v_bfe_u32 v1, v6, 21, 1
	s_mov_b32 s6, exec_lo
	s_delay_alu instid0(VALU_DEP_1) | instskip(NEXT) | instid1(VALU_DEP_1)
	v_add3_u32 v1, v6, v1, 0x88fffff
                                        ; implicit-def: $vgpr6
	v_lshrrev_b32_e32 v1, 21, v1
	s_and_not1_saveexec_b32 s7, s7
	s_cbranch_execnz .LBB175_2218
.LBB175_1933:
	s_or_b32 exec_lo, exec_lo, s7
	v_mov_b32_e32 v7, 0
	s_and_saveexec_b32 s7, s6
.LBB175_1934:
	v_mov_b32_e32 v7, v1
.LBB175_1935:
	s_or_b32 exec_lo, exec_lo, s7
.LBB175_1936:
	s_delay_alu instid0(SALU_CYCLE_1)
	s_or_b32 exec_lo, exec_lo, s3
	s_mov_b32 s3, 0
	global_store_b8 v[4:5], v7, off
.LBB175_1937:
	s_and_b32 vcc_lo, exec_lo, s3
	s_cbranch_vccz .LBB175_1947
; %bb.1938:
	s_wait_xcnt 0x0
	v_cvt_f32_ubyte0_e32 v6, v3
	s_mov_b32 s3, exec_lo
                                        ; implicit-def: $vgpr1
	s_delay_alu instid0(VALU_DEP_1)
	v_cmpx_gt_u32_e32 0x43f00000, v6
	s_xor_b32 s3, exec_lo, s3
	s_cbranch_execz .LBB175_1944
; %bb.1939:
	s_mov_b32 s6, exec_lo
                                        ; implicit-def: $vgpr1
	v_cmpx_lt_u32_e32 0x3c7fffff, v6
	s_xor_b32 s6, exec_lo, s6
; %bb.1940:
	v_bfe_u32 v1, v6, 20, 1
	s_delay_alu instid0(VALU_DEP_1) | instskip(NEXT) | instid1(VALU_DEP_1)
	v_add3_u32 v1, v6, v1, 0x407ffff
	v_and_b32_e32 v6, 0xff00000, v1
	v_lshrrev_b32_e32 v1, 20, v1
	s_delay_alu instid0(VALU_DEP_2) | instskip(NEXT) | instid1(VALU_DEP_2)
	v_cmp_ne_u32_e32 vcc_lo, 0x7f00000, v6
                                        ; implicit-def: $vgpr6
	v_cndmask_b32_e32 v1, 0x7e, v1, vcc_lo
; %bb.1941:
	s_and_not1_saveexec_b32 s6, s6
; %bb.1942:
	v_add_f32_e32 v1, 0x46800000, v6
; %bb.1943:
	s_or_b32 exec_lo, exec_lo, s6
                                        ; implicit-def: $vgpr6
.LBB175_1944:
	s_and_not1_saveexec_b32 s3, s3
; %bb.1945:
	v_mov_b32_e32 v1, 0x7f
	v_cmp_lt_u32_e32 vcc_lo, 0x7f800000, v6
	s_delay_alu instid0(VALU_DEP_2)
	v_cndmask_b32_e32 v1, 0x7e, v1, vcc_lo
; %bb.1946:
	s_or_b32 exec_lo, exec_lo, s3
	global_store_b8 v[4:5], v1, off
.LBB175_1947:
	s_mov_b32 s3, 0
.LBB175_1948:
	s_delay_alu instid0(SALU_CYCLE_1)
	s_and_not1_b32 vcc_lo, exec_lo, s3
	s_cbranch_vccnz .LBB175_1958
; %bb.1949:
	s_wait_xcnt 0x0
	v_cvt_f32_ubyte0_e32 v6, v3
	s_mov_b32 s3, exec_lo
                                        ; implicit-def: $vgpr1
	s_delay_alu instid0(VALU_DEP_1)
	v_cmpx_gt_u32_e32 0x47800000, v6
	s_xor_b32 s3, exec_lo, s3
	s_cbranch_execz .LBB175_1955
; %bb.1950:
	s_mov_b32 s6, exec_lo
                                        ; implicit-def: $vgpr1
	v_cmpx_lt_u32_e32 0x387fffff, v6
	s_xor_b32 s6, exec_lo, s6
; %bb.1951:
	v_bfe_u32 v1, v6, 21, 1
	s_delay_alu instid0(VALU_DEP_1) | instskip(NEXT) | instid1(VALU_DEP_1)
	v_add3_u32 v1, v6, v1, 0x80fffff
                                        ; implicit-def: $vgpr6
	v_lshrrev_b32_e32 v1, 21, v1
; %bb.1952:
	s_and_not1_saveexec_b32 s6, s6
; %bb.1953:
	v_add_f32_e32 v1, 0x43000000, v6
; %bb.1954:
	s_or_b32 exec_lo, exec_lo, s6
                                        ; implicit-def: $vgpr6
.LBB175_1955:
	s_and_not1_saveexec_b32 s3, s3
; %bb.1956:
	v_mov_b32_e32 v1, 0x7f
	v_cmp_lt_u32_e32 vcc_lo, 0x7f800000, v6
	s_delay_alu instid0(VALU_DEP_2)
	v_cndmask_b32_e32 v1, 0x7c, v1, vcc_lo
; %bb.1957:
	s_or_b32 exec_lo, exec_lo, s3
	global_store_b8 v[4:5], v1, off
.LBB175_1958:
	s_mov_b32 s3, 0
	s_mov_b32 s6, -1
.LBB175_1959:
	s_and_not1_b32 vcc_lo, exec_lo, s3
	s_mov_b32 s3, 0
	s_cbranch_vccnz .LBB175_1966
; %bb.1960:
	s_cmp_gt_i32 s2, 14
	s_mov_b32 s3, -1
	s_cbranch_scc0 .LBB175_1964
; %bb.1961:
	s_cmp_eq_u32 s2, 15
	s_mov_b32 s0, -1
	s_cbranch_scc0 .LBB175_1963
; %bb.1962:
	s_wait_xcnt 0x0
	v_cvt_f32_ubyte0_e32 v1, v3
	s_mov_b32 s0, 0
	s_mov_b32 s6, -1
	s_delay_alu instid0(VALU_DEP_1) | instskip(NEXT) | instid1(VALU_DEP_1)
	v_bfe_u32 v6, v1, 16, 1
	v_add3_u32 v1, v1, v6, 0x7fff
	global_store_d16_hi_b16 v[4:5], v1, off
.LBB175_1963:
	s_mov_b32 s3, 0
.LBB175_1964:
	s_delay_alu instid0(SALU_CYCLE_1)
	s_and_b32 vcc_lo, exec_lo, s3
	s_mov_b32 s3, 0
	s_cbranch_vccz .LBB175_1966
; %bb.1965:
	s_cmp_lg_u32 s2, 11
	s_mov_b32 s3, -1
	s_cselect_b32 s0, -1, 0
.LBB175_1966:
	s_delay_alu instid0(SALU_CYCLE_1)
	s_and_b32 vcc_lo, exec_lo, s0
	s_cbranch_vccnz .LBB175_2216
; %bb.1967:
	s_and_not1_b32 vcc_lo, exec_lo, s3
	s_cbranch_vccnz .LBB175_1969
.LBB175_1968:
	s_wait_xcnt 0x0
	v_and_b32_e32 v1, 0xff, v3
	s_mov_b32 s6, -1
	s_delay_alu instid0(VALU_DEP_1)
	v_cmp_ne_u16_e32 vcc_lo, 0, v1
	v_cndmask_b32_e64 v1, 0, 1, vcc_lo
	global_store_b8 v[4:5], v1, off
.LBB175_1969:
	s_mov_b32 s0, 0
	s_branch .LBB175_1971
.LBB175_1970:
	s_mov_b32 s0, -1
	s_mov_b32 s6, 0
.LBB175_1971:
	s_and_b32 vcc_lo, exec_lo, s0
	s_cbranch_vccz .LBB175_2010
; %bb.1972:
	s_cmp_lt_i32 s2, 5
	s_mov_b32 s0, -1
	s_cbranch_scc1 .LBB175_1993
; %bb.1973:
	s_cmp_lt_i32 s2, 8
	s_cbranch_scc1 .LBB175_1983
; %bb.1974:
	s_cmp_lt_i32 s2, 9
	s_cbranch_scc1 .LBB175_1980
; %bb.1975:
	s_cmp_gt_i32 s2, 9
	s_cbranch_scc0 .LBB175_1977
; %bb.1976:
	s_wait_xcnt 0x0
	v_and_b32_e32 v1, 0xff, v3
	v_mov_b32_e32 v16, 0
	s_mov_b32 s0, 0
	s_delay_alu instid0(VALU_DEP_2) | instskip(NEXT) | instid1(VALU_DEP_2)
	v_and_b32_e32 v1, 0xffff, v1
	v_mov_b32_e32 v17, v16
	s_wait_loadcnt 0x0
	s_delay_alu instid0(VALU_DEP_2)
	v_cvt_f64_u32_e32 v[14:15], v1
	global_store_b128 v[4:5], v[14:17], off
.LBB175_1977:
	s_and_not1_b32 vcc_lo, exec_lo, s0
	s_cbranch_vccnz .LBB175_1979
; %bb.1978:
	s_wait_xcnt 0x0
	v_cvt_f32_ubyte0_e32 v6, v3
	v_mov_b32_e32 v7, 0
	global_store_b64 v[4:5], v[6:7], off
.LBB175_1979:
	s_mov_b32 s0, 0
.LBB175_1980:
	s_delay_alu instid0(SALU_CYCLE_1)
	s_and_not1_b32 vcc_lo, exec_lo, s0
	s_cbranch_vccnz .LBB175_1982
; %bb.1981:
	s_wait_xcnt 0x0
	v_and_b32_e32 v1, 0xff, v3
	s_delay_alu instid0(VALU_DEP_1) | instskip(NEXT) | instid1(VALU_DEP_1)
	v_cvt_f16_u16_e32 v1, v1
	v_and_b32_e32 v1, 0xffff, v1
	global_store_b32 v[4:5], v1, off
.LBB175_1982:
	s_mov_b32 s0, 0
.LBB175_1983:
	s_delay_alu instid0(SALU_CYCLE_1)
	s_and_not1_b32 vcc_lo, exec_lo, s0
	s_cbranch_vccnz .LBB175_1992
; %bb.1984:
	s_cmp_lt_i32 s2, 6
	s_mov_b32 s0, -1
	s_cbranch_scc1 .LBB175_1990
; %bb.1985:
	s_cmp_gt_i32 s2, 6
	s_cbranch_scc0 .LBB175_1987
; %bb.1986:
	s_wait_xcnt 0x0
	v_and_b32_e32 v1, 0xff, v3
	s_mov_b32 s0, 0
	s_delay_alu instid0(VALU_DEP_1) | instskip(NEXT) | instid1(VALU_DEP_1)
	v_and_b32_e32 v1, 0xffff, v1
	v_cvt_f64_u32_e32 v[6:7], v1
	global_store_b64 v[4:5], v[6:7], off
.LBB175_1987:
	s_and_not1_b32 vcc_lo, exec_lo, s0
	s_cbranch_vccnz .LBB175_1989
; %bb.1988:
	s_wait_xcnt 0x0
	v_cvt_f32_ubyte0_e32 v1, v3
	global_store_b32 v[4:5], v1, off
.LBB175_1989:
	s_mov_b32 s0, 0
.LBB175_1990:
	s_delay_alu instid0(SALU_CYCLE_1)
	s_and_not1_b32 vcc_lo, exec_lo, s0
	s_cbranch_vccnz .LBB175_1992
; %bb.1991:
	s_wait_xcnt 0x0
	v_and_b32_e32 v1, 0xff, v3
	s_delay_alu instid0(VALU_DEP_1)
	v_cvt_f16_u16_e32 v1, v1
	global_store_b16 v[4:5], v1, off
.LBB175_1992:
	s_mov_b32 s0, 0
.LBB175_1993:
	s_delay_alu instid0(SALU_CYCLE_1)
	s_and_not1_b32 vcc_lo, exec_lo, s0
	s_cbranch_vccnz .LBB175_2009
; %bb.1994:
	s_cmp_lt_i32 s2, 2
	s_mov_b32 s0, -1
	s_cbranch_scc1 .LBB175_2004
; %bb.1995:
	s_cmp_lt_i32 s2, 3
	s_cbranch_scc1 .LBB175_2001
; %bb.1996:
	s_cmp_gt_i32 s2, 3
	s_cbranch_scc0 .LBB175_1998
; %bb.1997:
	s_wait_xcnt 0x0
	v_and_b32_e32 v6, 0xff, v3
	v_mov_b32_e32 v7, 0
	s_mov_b32 s0, 0
	global_store_b64 v[4:5], v[6:7], off
.LBB175_1998:
	s_and_not1_b32 vcc_lo, exec_lo, s0
	s_cbranch_vccnz .LBB175_2000
; %bb.1999:
	s_wait_xcnt 0x0
	v_and_b32_e32 v1, 0xff, v3
	global_store_b32 v[4:5], v1, off
.LBB175_2000:
	s_mov_b32 s0, 0
.LBB175_2001:
	s_delay_alu instid0(SALU_CYCLE_1)
	s_and_not1_b32 vcc_lo, exec_lo, s0
	s_cbranch_vccnz .LBB175_2003
; %bb.2002:
	s_wait_xcnt 0x0
	v_and_b32_e32 v1, 0xff, v3
	global_store_b16 v[4:5], v1, off
.LBB175_2003:
	s_mov_b32 s0, 0
.LBB175_2004:
	s_delay_alu instid0(SALU_CYCLE_1)
	s_and_not1_b32 vcc_lo, exec_lo, s0
	s_cbranch_vccnz .LBB175_2009
; %bb.2005:
	s_cmp_gt_i32 s2, 0
	s_mov_b32 s0, -1
	s_cbranch_scc0 .LBB175_2007
; %bb.2006:
	s_mov_b32 s0, 0
	global_store_b8 v[4:5], v3, off
.LBB175_2007:
	s_and_not1_b32 vcc_lo, exec_lo, s0
	s_cbranch_vccnz .LBB175_2009
; %bb.2008:
	global_store_b8 v[4:5], v3, off
.LBB175_2009:
	s_mov_b32 s6, -1
.LBB175_2010:
	s_delay_alu instid0(SALU_CYCLE_1)
	s_and_not1_b32 vcc_lo, exec_lo, s6
	s_cbranch_vccnz .LBB175_2206
; %bb.2011:
	s_wait_xcnt 0x0
	v_mov_b32_e32 v3, 0
	s_cmp_lt_i32 s2, 11
	s_delay_alu instid0(VALU_DEP_1)
	v_add_nc_u64_e32 v[2:3], s[4:5], v[2:3]
	s_cbranch_scc1 .LBB175_2089
; %bb.2012:
	s_mov_b32 s7, -1
	s_mov_b32 s3, 0
	s_cmp_gt_i32 s2, 25
	s_mov_b32 s6, 0
	s_mov_b32 s0, 0
	s_cbranch_scc0 .LBB175_2045
; %bb.2013:
	s_cmp_gt_i32 s2, 28
	s_cbranch_scc0 .LBB175_2028
; %bb.2014:
	s_cmp_gt_i32 s2, 43
	;; [unrolled: 3-line block ×3, first 2 shown]
	s_cbranch_scc0 .LBB175_2018
; %bb.2016:
	s_mov_b32 s0, -1
	s_mov_b32 s7, 0
	s_cmp_eq_u32 s2, 46
	s_cbranch_scc0 .LBB175_2018
; %bb.2017:
	s_wait_loadcnt 0x0
	v_cvt_f32_ubyte0_e32 v1, v13
	s_mov_b32 s0, 0
	s_mov_b32 s6, -1
	s_delay_alu instid0(VALU_DEP_1) | instskip(NEXT) | instid1(VALU_DEP_1)
	v_bfe_u32 v4, v1, 16, 1
	v_add3_u32 v1, v1, v4, 0x7fff
	s_delay_alu instid0(VALU_DEP_1)
	v_lshrrev_b32_e32 v1, 16, v1
	global_store_b32 v[2:3], v1, off
.LBB175_2018:
	s_and_b32 vcc_lo, exec_lo, s7
	s_cbranch_vccz .LBB175_2023
; %bb.2019:
	s_cmp_eq_u32 s2, 44
	s_mov_b32 s0, -1
	s_cbranch_scc0 .LBB175_2023
; %bb.2020:
	s_wait_loadcnt 0x0
	v_cvt_f32_ubyte0_e32 v5, v13
	s_mov_b32 s6, exec_lo
	s_wait_xcnt 0x0
	s_delay_alu instid0(VALU_DEP_1) | instskip(NEXT) | instid1(VALU_DEP_1)
	v_dual_mov_b32 v4, 0xff :: v_dual_lshrrev_b32 v1, 23, v5
	v_cmpx_ne_u32_e32 0xff, v1
; %bb.2021:
	v_and_b32_e32 v4, 0x400000, v5
	v_and_or_b32 v5, 0x3fffff, v5, v1
	s_delay_alu instid0(VALU_DEP_2) | instskip(NEXT) | instid1(VALU_DEP_2)
	v_cmp_ne_u32_e32 vcc_lo, 0, v4
	v_cmp_ne_u32_e64 s0, 0, v5
	s_and_b32 s0, vcc_lo, s0
	s_delay_alu instid0(SALU_CYCLE_1) | instskip(NEXT) | instid1(VALU_DEP_1)
	v_cndmask_b32_e64 v4, 0, 1, s0
	v_add_nc_u32_e32 v4, v1, v4
; %bb.2022:
	s_or_b32 exec_lo, exec_lo, s6
	s_mov_b32 s0, 0
	s_mov_b32 s6, -1
	global_store_b8 v[2:3], v4, off
.LBB175_2023:
	s_mov_b32 s7, 0
.LBB175_2024:
	s_delay_alu instid0(SALU_CYCLE_1)
	s_and_b32 vcc_lo, exec_lo, s7
	s_cbranch_vccz .LBB175_2027
; %bb.2025:
	s_cmp_eq_u32 s2, 29
	s_mov_b32 s0, -1
	s_cbranch_scc0 .LBB175_2027
; %bb.2026:
	s_wait_loadcnt 0x0
	v_and_b32_e32 v4, 0xff, v13
	v_mov_b32_e32 v5, 0
	s_mov_b32 s0, 0
	s_mov_b32 s6, -1
	global_store_b64 v[2:3], v[4:5], off
.LBB175_2027:
	s_mov_b32 s7, 0
.LBB175_2028:
	s_delay_alu instid0(SALU_CYCLE_1)
	s_and_b32 vcc_lo, exec_lo, s7
	s_cbranch_vccz .LBB175_2044
; %bb.2029:
	s_cmp_lt_i32 s2, 27
	s_mov_b32 s6, -1
	s_cbranch_scc1 .LBB175_2035
; %bb.2030:
	s_cmp_gt_i32 s2, 27
	s_cbranch_scc0 .LBB175_2032
; %bb.2031:
	s_wait_loadcnt 0x0
	v_and_b32_e32 v1, 0xff, v13
	s_mov_b32 s6, 0
	global_store_b32 v[2:3], v1, off
.LBB175_2032:
	s_and_not1_b32 vcc_lo, exec_lo, s6
	s_cbranch_vccnz .LBB175_2034
; %bb.2033:
	s_wait_loadcnt 0x0
	v_and_b32_e32 v1, 0xff, v13
	global_store_b16 v[2:3], v1, off
.LBB175_2034:
	s_mov_b32 s6, 0
.LBB175_2035:
	s_delay_alu instid0(SALU_CYCLE_1)
	s_and_not1_b32 vcc_lo, exec_lo, s6
	s_cbranch_vccnz .LBB175_2043
; %bb.2036:
	s_wait_loadcnt 0x0
	v_cvt_f32_ubyte0_e32 v4, v13
	v_mov_b32_e32 v5, 0x80
	s_mov_b32 s6, exec_lo
	s_delay_alu instid0(VALU_DEP_2)
	v_cmpx_gt_u32_e32 0x43800000, v4
	s_cbranch_execz .LBB175_2042
; %bb.2037:
	s_mov_b32 s7, 0
	s_mov_b32 s11, exec_lo
                                        ; implicit-def: $vgpr1
	v_cmpx_lt_u32_e32 0x3bffffff, v4
	s_xor_b32 s11, exec_lo, s11
	s_cbranch_execz .LBB175_2219
; %bb.2038:
	v_bfe_u32 v1, v4, 20, 1
	s_mov_b32 s7, exec_lo
	s_delay_alu instid0(VALU_DEP_1) | instskip(NEXT) | instid1(VALU_DEP_1)
	v_add3_u32 v1, v4, v1, 0x487ffff
                                        ; implicit-def: $vgpr4
	v_lshrrev_b32_e32 v1, 20, v1
	s_and_not1_saveexec_b32 s11, s11
	s_cbranch_execnz .LBB175_2220
.LBB175_2039:
	s_or_b32 exec_lo, exec_lo, s11
	v_mov_b32_e32 v5, 0
	s_and_saveexec_b32 s11, s7
.LBB175_2040:
	v_mov_b32_e32 v5, v1
.LBB175_2041:
	s_or_b32 exec_lo, exec_lo, s11
.LBB175_2042:
	s_delay_alu instid0(SALU_CYCLE_1)
	s_or_b32 exec_lo, exec_lo, s6
	global_store_b8 v[2:3], v5, off
.LBB175_2043:
	s_mov_b32 s6, -1
.LBB175_2044:
	s_mov_b32 s7, 0
.LBB175_2045:
	s_delay_alu instid0(SALU_CYCLE_1)
	s_and_b32 vcc_lo, exec_lo, s7
	s_cbranch_vccz .LBB175_2085
; %bb.2046:
	s_cmp_gt_i32 s2, 22
	s_mov_b32 s3, -1
	s_cbranch_scc0 .LBB175_2078
; %bb.2047:
	s_cmp_lt_i32 s2, 24
	s_cbranch_scc1 .LBB175_2067
; %bb.2048:
	s_cmp_gt_i32 s2, 24
	s_cbranch_scc0 .LBB175_2056
; %bb.2049:
	s_wait_loadcnt 0x0
	v_cvt_f32_ubyte0_e32 v4, v13
	v_mov_b32_e32 v5, 0x80
	s_mov_b32 s3, exec_lo
	s_delay_alu instid0(VALU_DEP_2)
	v_cmpx_gt_u32_e32 0x47800000, v4
	s_cbranch_execz .LBB175_2055
; %bb.2050:
	s_mov_b32 s6, 0
	s_mov_b32 s7, exec_lo
                                        ; implicit-def: $vgpr1
	v_cmpx_lt_u32_e32 0x37ffffff, v4
	s_xor_b32 s7, exec_lo, s7
	s_cbranch_execz .LBB175_2222
; %bb.2051:
	v_bfe_u32 v1, v4, 21, 1
	s_mov_b32 s6, exec_lo
	s_delay_alu instid0(VALU_DEP_1) | instskip(NEXT) | instid1(VALU_DEP_1)
	v_add3_u32 v1, v4, v1, 0x88fffff
                                        ; implicit-def: $vgpr4
	v_lshrrev_b32_e32 v1, 21, v1
	s_and_not1_saveexec_b32 s7, s7
	s_cbranch_execnz .LBB175_2223
.LBB175_2052:
	s_or_b32 exec_lo, exec_lo, s7
	v_mov_b32_e32 v5, 0
	s_and_saveexec_b32 s7, s6
.LBB175_2053:
	v_mov_b32_e32 v5, v1
.LBB175_2054:
	s_or_b32 exec_lo, exec_lo, s7
.LBB175_2055:
	s_delay_alu instid0(SALU_CYCLE_1)
	s_or_b32 exec_lo, exec_lo, s3
	s_mov_b32 s3, 0
	global_store_b8 v[2:3], v5, off
.LBB175_2056:
	s_and_b32 vcc_lo, exec_lo, s3
	s_cbranch_vccz .LBB175_2066
; %bb.2057:
	s_wait_loadcnt 0x0
	v_cvt_f32_ubyte0_e32 v4, v13
	s_mov_b32 s3, exec_lo
                                        ; implicit-def: $vgpr1
	s_delay_alu instid0(VALU_DEP_1)
	v_cmpx_gt_u32_e32 0x43f00000, v4
	s_xor_b32 s3, exec_lo, s3
	s_cbranch_execz .LBB175_2063
; %bb.2058:
	s_mov_b32 s6, exec_lo
                                        ; implicit-def: $vgpr1
	v_cmpx_lt_u32_e32 0x3c7fffff, v4
	s_xor_b32 s6, exec_lo, s6
; %bb.2059:
	v_bfe_u32 v1, v4, 20, 1
	s_delay_alu instid0(VALU_DEP_1) | instskip(NEXT) | instid1(VALU_DEP_1)
	v_add3_u32 v1, v4, v1, 0x407ffff
	v_and_b32_e32 v4, 0xff00000, v1
	v_lshrrev_b32_e32 v1, 20, v1
	s_delay_alu instid0(VALU_DEP_2) | instskip(NEXT) | instid1(VALU_DEP_2)
	v_cmp_ne_u32_e32 vcc_lo, 0x7f00000, v4
                                        ; implicit-def: $vgpr4
	v_cndmask_b32_e32 v1, 0x7e, v1, vcc_lo
; %bb.2060:
	s_and_not1_saveexec_b32 s6, s6
; %bb.2061:
	v_add_f32_e32 v1, 0x46800000, v4
; %bb.2062:
	s_or_b32 exec_lo, exec_lo, s6
                                        ; implicit-def: $vgpr4
.LBB175_2063:
	s_and_not1_saveexec_b32 s3, s3
; %bb.2064:
	v_mov_b32_e32 v1, 0x7f
	v_cmp_lt_u32_e32 vcc_lo, 0x7f800000, v4
	s_delay_alu instid0(VALU_DEP_2)
	v_cndmask_b32_e32 v1, 0x7e, v1, vcc_lo
; %bb.2065:
	s_or_b32 exec_lo, exec_lo, s3
	global_store_b8 v[2:3], v1, off
.LBB175_2066:
	s_mov_b32 s3, 0
.LBB175_2067:
	s_delay_alu instid0(SALU_CYCLE_1)
	s_and_not1_b32 vcc_lo, exec_lo, s3
	s_cbranch_vccnz .LBB175_2077
; %bb.2068:
	s_wait_loadcnt 0x0
	v_cvt_f32_ubyte0_e32 v4, v13
	s_mov_b32 s3, exec_lo
                                        ; implicit-def: $vgpr1
	s_delay_alu instid0(VALU_DEP_1)
	v_cmpx_gt_u32_e32 0x47800000, v4
	s_xor_b32 s3, exec_lo, s3
	s_cbranch_execz .LBB175_2074
; %bb.2069:
	s_mov_b32 s6, exec_lo
                                        ; implicit-def: $vgpr1
	v_cmpx_lt_u32_e32 0x387fffff, v4
	s_xor_b32 s6, exec_lo, s6
; %bb.2070:
	v_bfe_u32 v1, v4, 21, 1
	s_delay_alu instid0(VALU_DEP_1) | instskip(NEXT) | instid1(VALU_DEP_1)
	v_add3_u32 v1, v4, v1, 0x80fffff
                                        ; implicit-def: $vgpr4
	v_lshrrev_b32_e32 v1, 21, v1
; %bb.2071:
	s_and_not1_saveexec_b32 s6, s6
; %bb.2072:
	v_add_f32_e32 v1, 0x43000000, v4
; %bb.2073:
	s_or_b32 exec_lo, exec_lo, s6
                                        ; implicit-def: $vgpr4
.LBB175_2074:
	s_and_not1_saveexec_b32 s3, s3
; %bb.2075:
	v_mov_b32_e32 v1, 0x7f
	v_cmp_lt_u32_e32 vcc_lo, 0x7f800000, v4
	s_delay_alu instid0(VALU_DEP_2)
	v_cndmask_b32_e32 v1, 0x7c, v1, vcc_lo
; %bb.2076:
	s_or_b32 exec_lo, exec_lo, s3
	global_store_b8 v[2:3], v1, off
.LBB175_2077:
	s_mov_b32 s3, 0
	s_mov_b32 s6, -1
.LBB175_2078:
	s_and_not1_b32 vcc_lo, exec_lo, s3
	s_mov_b32 s3, 0
	s_cbranch_vccnz .LBB175_2085
; %bb.2079:
	s_cmp_gt_i32 s2, 14
	s_mov_b32 s3, -1
	s_cbranch_scc0 .LBB175_2083
; %bb.2080:
	s_cmp_eq_u32 s2, 15
	s_mov_b32 s0, -1
	s_cbranch_scc0 .LBB175_2082
; %bb.2081:
	s_wait_loadcnt 0x0
	v_cvt_f32_ubyte0_e32 v1, v13
	s_mov_b32 s0, 0
	s_mov_b32 s6, -1
	s_delay_alu instid0(VALU_DEP_1) | instskip(NEXT) | instid1(VALU_DEP_1)
	v_bfe_u32 v4, v1, 16, 1
	v_add3_u32 v1, v1, v4, 0x7fff
	global_store_d16_hi_b16 v[2:3], v1, off
.LBB175_2082:
	s_mov_b32 s3, 0
.LBB175_2083:
	s_delay_alu instid0(SALU_CYCLE_1)
	s_and_b32 vcc_lo, exec_lo, s3
	s_mov_b32 s3, 0
	s_cbranch_vccz .LBB175_2085
; %bb.2084:
	s_cmp_lg_u32 s2, 11
	s_mov_b32 s3, -1
	s_cselect_b32 s0, -1, 0
.LBB175_2085:
	s_delay_alu instid0(SALU_CYCLE_1)
	s_and_b32 vcc_lo, exec_lo, s0
	s_cbranch_vccnz .LBB175_2221
; %bb.2086:
	s_and_not1_b32 vcc_lo, exec_lo, s3
	s_cbranch_vccnz .LBB175_2088
.LBB175_2087:
	s_wait_loadcnt 0x0
	v_and_b32_e32 v1, 0xff, v13
	s_mov_b32 s6, -1
	s_delay_alu instid0(VALU_DEP_1)
	v_cmp_ne_u16_e32 vcc_lo, 0, v1
	v_cndmask_b32_e64 v1, 0, 1, vcc_lo
	global_store_b8 v[2:3], v1, off
.LBB175_2088:
	s_mov_b32 s0, 0
	s_branch .LBB175_2090
.LBB175_2089:
	s_mov_b32 s0, -1
	s_mov_b32 s6, 0
.LBB175_2090:
	s_and_b32 vcc_lo, exec_lo, s0
	s_cbranch_vccz .LBB175_2129
; %bb.2091:
	s_cmp_lt_i32 s2, 5
	s_mov_b32 s0, -1
	s_cbranch_scc1 .LBB175_2112
; %bb.2092:
	s_cmp_lt_i32 s2, 8
	s_cbranch_scc1 .LBB175_2102
; %bb.2093:
	s_cmp_lt_i32 s2, 9
	s_cbranch_scc1 .LBB175_2099
; %bb.2094:
	s_cmp_gt_i32 s2, 9
	s_cbranch_scc0 .LBB175_2096
; %bb.2095:
	s_wait_loadcnt 0x0
	v_and_b32_e32 v1, 0xff, v13
	v_mov_b32_e32 v6, 0
	s_mov_b32 s0, 0
	s_delay_alu instid0(VALU_DEP_2) | instskip(NEXT) | instid1(VALU_DEP_2)
	v_and_b32_e32 v1, 0xffff, v1
	v_mov_b32_e32 v7, v6
	s_delay_alu instid0(VALU_DEP_2)
	v_cvt_f64_u32_e32 v[4:5], v1
	global_store_b128 v[2:3], v[4:7], off
.LBB175_2096:
	s_and_not1_b32 vcc_lo, exec_lo, s0
	s_cbranch_vccnz .LBB175_2098
; %bb.2097:
	s_wait_loadcnt 0x0
	v_cvt_f32_ubyte0_e32 v4, v13
	v_mov_b32_e32 v5, 0
	global_store_b64 v[2:3], v[4:5], off
.LBB175_2098:
	s_mov_b32 s0, 0
.LBB175_2099:
	s_delay_alu instid0(SALU_CYCLE_1)
	s_and_not1_b32 vcc_lo, exec_lo, s0
	s_cbranch_vccnz .LBB175_2101
; %bb.2100:
	s_wait_loadcnt 0x0
	v_and_b32_e32 v1, 0xff, v13
	s_delay_alu instid0(VALU_DEP_1) | instskip(NEXT) | instid1(VALU_DEP_1)
	v_cvt_f16_u16_e32 v1, v1
	v_and_b32_e32 v1, 0xffff, v1
	global_store_b32 v[2:3], v1, off
.LBB175_2101:
	s_mov_b32 s0, 0
.LBB175_2102:
	s_delay_alu instid0(SALU_CYCLE_1)
	s_and_not1_b32 vcc_lo, exec_lo, s0
	s_cbranch_vccnz .LBB175_2111
; %bb.2103:
	s_cmp_lt_i32 s2, 6
	s_mov_b32 s0, -1
	s_cbranch_scc1 .LBB175_2109
; %bb.2104:
	s_cmp_gt_i32 s2, 6
	s_cbranch_scc0 .LBB175_2106
; %bb.2105:
	s_wait_loadcnt 0x0
	v_and_b32_e32 v1, 0xff, v13
	s_mov_b32 s0, 0
	s_delay_alu instid0(VALU_DEP_1) | instskip(NEXT) | instid1(VALU_DEP_1)
	v_and_b32_e32 v1, 0xffff, v1
	v_cvt_f64_u32_e32 v[4:5], v1
	global_store_b64 v[2:3], v[4:5], off
.LBB175_2106:
	s_and_not1_b32 vcc_lo, exec_lo, s0
	s_cbranch_vccnz .LBB175_2108
; %bb.2107:
	s_wait_loadcnt 0x0
	v_cvt_f32_ubyte0_e32 v1, v13
	global_store_b32 v[2:3], v1, off
.LBB175_2108:
	s_mov_b32 s0, 0
.LBB175_2109:
	s_delay_alu instid0(SALU_CYCLE_1)
	s_and_not1_b32 vcc_lo, exec_lo, s0
	s_cbranch_vccnz .LBB175_2111
; %bb.2110:
	s_wait_loadcnt 0x0
	v_and_b32_e32 v1, 0xff, v13
	s_delay_alu instid0(VALU_DEP_1)
	v_cvt_f16_u16_e32 v1, v1
	global_store_b16 v[2:3], v1, off
.LBB175_2111:
	s_mov_b32 s0, 0
.LBB175_2112:
	s_delay_alu instid0(SALU_CYCLE_1)
	s_and_not1_b32 vcc_lo, exec_lo, s0
	s_cbranch_vccnz .LBB175_2128
; %bb.2113:
	s_cmp_lt_i32 s2, 2
	s_mov_b32 s0, -1
	s_cbranch_scc1 .LBB175_2123
; %bb.2114:
	s_cmp_lt_i32 s2, 3
	s_cbranch_scc1 .LBB175_2120
; %bb.2115:
	s_cmp_gt_i32 s2, 3
	s_cbranch_scc0 .LBB175_2117
; %bb.2116:
	s_wait_loadcnt 0x0
	v_and_b32_e32 v4, 0xff, v13
	v_mov_b32_e32 v5, 0
	s_mov_b32 s0, 0
	global_store_b64 v[2:3], v[4:5], off
.LBB175_2117:
	s_and_not1_b32 vcc_lo, exec_lo, s0
	s_cbranch_vccnz .LBB175_2119
; %bb.2118:
	s_wait_loadcnt 0x0
	v_and_b32_e32 v1, 0xff, v13
	global_store_b32 v[2:3], v1, off
.LBB175_2119:
	s_mov_b32 s0, 0
.LBB175_2120:
	s_delay_alu instid0(SALU_CYCLE_1)
	s_and_not1_b32 vcc_lo, exec_lo, s0
	s_cbranch_vccnz .LBB175_2122
; %bb.2121:
	s_wait_loadcnt 0x0
	v_and_b32_e32 v1, 0xff, v13
	global_store_b16 v[2:3], v1, off
.LBB175_2122:
	s_mov_b32 s0, 0
.LBB175_2123:
	s_delay_alu instid0(SALU_CYCLE_1)
	s_and_not1_b32 vcc_lo, exec_lo, s0
	s_cbranch_vccnz .LBB175_2128
; %bb.2124:
	s_cmp_gt_i32 s2, 0
	s_mov_b32 s0, -1
	s_cbranch_scc0 .LBB175_2126
; %bb.2125:
	s_mov_b32 s0, 0
	s_wait_loadcnt 0x0
	global_store_b8 v[2:3], v13, off
.LBB175_2126:
	s_and_not1_b32 vcc_lo, exec_lo, s0
	s_cbranch_vccnz .LBB175_2128
; %bb.2127:
	s_wait_loadcnt 0x0
	global_store_b8 v[2:3], v13, off
.LBB175_2128:
	s_mov_b32 s6, -1
.LBB175_2129:
	s_delay_alu instid0(SALU_CYCLE_1)
	s_and_not1_b32 vcc_lo, exec_lo, s6
	s_cbranch_vccnz .LBB175_2206
; %bb.2130:
	s_wait_xcnt 0x0
	v_mov_b32_e32 v1, 0
	s_cmp_lt_i32 s2, 11
	s_delay_alu instid0(VALU_DEP_1)
	v_add_nc_u64_e32 v[2:3], s[4:5], v[0:1]
	s_cbranch_scc1 .LBB175_2207
; %bb.2131:
	s_mov_b32 s4, -1
	s_mov_b32 s3, 0
	s_cmp_gt_i32 s2, 25
	s_mov_b32 s0, 0
	s_cbranch_scc0 .LBB175_2164
; %bb.2132:
	s_cmp_gt_i32 s2, 28
	s_cbranch_scc0 .LBB175_2148
; %bb.2133:
	s_cmp_gt_i32 s2, 43
	;; [unrolled: 3-line block ×3, first 2 shown]
	s_cbranch_scc0 .LBB175_2138
; %bb.2135:
	s_cmp_eq_u32 s2, 46
	s_mov_b32 s0, -1
	s_cbranch_scc0 .LBB175_2137
; %bb.2136:
	v_cvt_f32_ubyte0_e32 v0, v8
	s_mov_b32 s0, 0
	s_delay_alu instid0(VALU_DEP_1) | instskip(NEXT) | instid1(VALU_DEP_1)
	v_bfe_u32 v1, v0, 16, 1
	v_add3_u32 v0, v0, v1, 0x7fff
	s_delay_alu instid0(VALU_DEP_1)
	v_lshrrev_b32_e32 v0, 16, v0
	global_store_b32 v[2:3], v0, off
.LBB175_2137:
	s_mov_b32 s4, 0
.LBB175_2138:
	s_delay_alu instid0(SALU_CYCLE_1)
	s_and_b32 vcc_lo, exec_lo, s4
	s_cbranch_vccz .LBB175_2143
; %bb.2139:
	s_cmp_eq_u32 s2, 44
	s_mov_b32 s0, -1
	s_cbranch_scc0 .LBB175_2143
; %bb.2140:
	v_cvt_f32_ubyte0_e32 v4, v8
	s_mov_b32 s4, exec_lo
	s_wait_xcnt 0x0
	s_delay_alu instid0(VALU_DEP_1) | instskip(NEXT) | instid1(VALU_DEP_1)
	v_dual_mov_b32 v1, 0xff :: v_dual_lshrrev_b32 v0, 23, v4
	v_cmpx_ne_u32_e32 0xff, v0
; %bb.2141:
	v_and_b32_e32 v1, 0x400000, v4
	v_and_or_b32 v4, 0x3fffff, v4, v0
	s_delay_alu instid0(VALU_DEP_2) | instskip(NEXT) | instid1(VALU_DEP_2)
	v_cmp_ne_u32_e32 vcc_lo, 0, v1
	v_cmp_ne_u32_e64 s0, 0, v4
	s_and_b32 s0, vcc_lo, s0
	s_delay_alu instid0(SALU_CYCLE_1) | instskip(NEXT) | instid1(VALU_DEP_1)
	v_cndmask_b32_e64 v1, 0, 1, s0
	v_add_nc_u32_e32 v1, v0, v1
; %bb.2142:
	s_or_b32 exec_lo, exec_lo, s4
	s_mov_b32 s0, 0
	global_store_b8 v[2:3], v1, off
.LBB175_2143:
	s_mov_b32 s4, 0
.LBB175_2144:
	s_delay_alu instid0(SALU_CYCLE_1)
	s_and_b32 vcc_lo, exec_lo, s4
	s_cbranch_vccz .LBB175_2147
; %bb.2145:
	s_cmp_eq_u32 s2, 29
	s_mov_b32 s0, -1
	s_cbranch_scc0 .LBB175_2147
; %bb.2146:
	s_wait_xcnt 0x0
	v_and_b32_e32 v0, 0xff, v8
	v_mov_b32_e32 v1, 0
	s_mov_b32 s0, 0
	global_store_b64 v[2:3], v[0:1], off
.LBB175_2147:
	s_mov_b32 s4, 0
.LBB175_2148:
	s_delay_alu instid0(SALU_CYCLE_1)
	s_and_b32 vcc_lo, exec_lo, s4
	s_cbranch_vccz .LBB175_2163
; %bb.2149:
	s_cmp_lt_i32 s2, 27
	s_mov_b32 s4, -1
	s_cbranch_scc1 .LBB175_2155
; %bb.2150:
	s_cmp_gt_i32 s2, 27
	s_cbranch_scc0 .LBB175_2152
; %bb.2151:
	s_wait_xcnt 0x0
	v_and_b32_e32 v0, 0xff, v8
	s_mov_b32 s4, 0
	global_store_b32 v[2:3], v0, off
.LBB175_2152:
	s_and_not1_b32 vcc_lo, exec_lo, s4
	s_cbranch_vccnz .LBB175_2154
; %bb.2153:
	s_wait_xcnt 0x0
	v_and_b32_e32 v0, 0xff, v8
	global_store_b16 v[2:3], v0, off
.LBB175_2154:
	s_mov_b32 s4, 0
.LBB175_2155:
	s_delay_alu instid0(SALU_CYCLE_1)
	s_and_not1_b32 vcc_lo, exec_lo, s4
	s_cbranch_vccnz .LBB175_2163
; %bb.2156:
	s_wait_xcnt 0x0
	v_cvt_f32_ubyte0_e32 v1, v8
	v_mov_b32_e32 v4, 0x80
	s_mov_b32 s4, exec_lo
	s_delay_alu instid0(VALU_DEP_2)
	v_cmpx_gt_u32_e32 0x43800000, v1
	s_cbranch_execz .LBB175_2162
; %bb.2157:
	s_mov_b32 s5, 0
	s_mov_b32 s6, exec_lo
                                        ; implicit-def: $vgpr0
	v_cmpx_lt_u32_e32 0x3bffffff, v1
	s_xor_b32 s6, exec_lo, s6
	s_cbranch_execz .LBB175_2224
; %bb.2158:
	v_bfe_u32 v0, v1, 20, 1
	s_mov_b32 s5, exec_lo
	s_delay_alu instid0(VALU_DEP_1) | instskip(NEXT) | instid1(VALU_DEP_1)
	v_add3_u32 v0, v1, v0, 0x487ffff
                                        ; implicit-def: $vgpr1
	v_lshrrev_b32_e32 v0, 20, v0
	s_and_not1_saveexec_b32 s6, s6
	s_cbranch_execnz .LBB175_2225
.LBB175_2159:
	s_or_b32 exec_lo, exec_lo, s6
	v_mov_b32_e32 v4, 0
	s_and_saveexec_b32 s6, s5
.LBB175_2160:
	v_mov_b32_e32 v4, v0
.LBB175_2161:
	s_or_b32 exec_lo, exec_lo, s6
.LBB175_2162:
	s_delay_alu instid0(SALU_CYCLE_1)
	s_or_b32 exec_lo, exec_lo, s4
	global_store_b8 v[2:3], v4, off
.LBB175_2163:
	s_mov_b32 s4, 0
.LBB175_2164:
	s_delay_alu instid0(SALU_CYCLE_1)
	s_and_b32 vcc_lo, exec_lo, s4
	s_cbranch_vccz .LBB175_2204
; %bb.2165:
	s_cmp_gt_i32 s2, 22
	s_mov_b32 s3, -1
	s_cbranch_scc0 .LBB175_2197
; %bb.2166:
	s_cmp_lt_i32 s2, 24
	s_cbranch_scc1 .LBB175_2186
; %bb.2167:
	s_cmp_gt_i32 s2, 24
	s_cbranch_scc0 .LBB175_2175
; %bb.2168:
	s_wait_xcnt 0x0
	v_cvt_f32_ubyte0_e32 v1, v8
	v_mov_b32_e32 v4, 0x80
	s_mov_b32 s3, exec_lo
	s_delay_alu instid0(VALU_DEP_2)
	v_cmpx_gt_u32_e32 0x47800000, v1
	s_cbranch_execz .LBB175_2174
; %bb.2169:
	s_mov_b32 s4, 0
	s_mov_b32 s5, exec_lo
                                        ; implicit-def: $vgpr0
	v_cmpx_lt_u32_e32 0x37ffffff, v1
	s_xor_b32 s5, exec_lo, s5
	s_cbranch_execz .LBB175_2227
; %bb.2170:
	v_bfe_u32 v0, v1, 21, 1
	s_mov_b32 s4, exec_lo
	s_delay_alu instid0(VALU_DEP_1) | instskip(NEXT) | instid1(VALU_DEP_1)
	v_add3_u32 v0, v1, v0, 0x88fffff
                                        ; implicit-def: $vgpr1
	v_lshrrev_b32_e32 v0, 21, v0
	s_and_not1_saveexec_b32 s5, s5
	s_cbranch_execnz .LBB175_2228
.LBB175_2171:
	s_or_b32 exec_lo, exec_lo, s5
	v_mov_b32_e32 v4, 0
	s_and_saveexec_b32 s5, s4
.LBB175_2172:
	v_mov_b32_e32 v4, v0
.LBB175_2173:
	s_or_b32 exec_lo, exec_lo, s5
.LBB175_2174:
	s_delay_alu instid0(SALU_CYCLE_1)
	s_or_b32 exec_lo, exec_lo, s3
	s_mov_b32 s3, 0
	global_store_b8 v[2:3], v4, off
.LBB175_2175:
	s_and_b32 vcc_lo, exec_lo, s3
	s_cbranch_vccz .LBB175_2185
; %bb.2176:
	s_wait_xcnt 0x0
	v_cvt_f32_ubyte0_e32 v1, v8
	s_mov_b32 s3, exec_lo
                                        ; implicit-def: $vgpr0
	s_delay_alu instid0(VALU_DEP_1)
	v_cmpx_gt_u32_e32 0x43f00000, v1
	s_xor_b32 s3, exec_lo, s3
	s_cbranch_execz .LBB175_2182
; %bb.2177:
	s_mov_b32 s4, exec_lo
                                        ; implicit-def: $vgpr0
	v_cmpx_lt_u32_e32 0x3c7fffff, v1
	s_xor_b32 s4, exec_lo, s4
; %bb.2178:
	v_bfe_u32 v0, v1, 20, 1
	s_delay_alu instid0(VALU_DEP_1) | instskip(NEXT) | instid1(VALU_DEP_1)
	v_add3_u32 v0, v1, v0, 0x407ffff
	v_and_b32_e32 v1, 0xff00000, v0
	v_lshrrev_b32_e32 v0, 20, v0
	s_delay_alu instid0(VALU_DEP_2) | instskip(NEXT) | instid1(VALU_DEP_2)
	v_cmp_ne_u32_e32 vcc_lo, 0x7f00000, v1
                                        ; implicit-def: $vgpr1
	v_cndmask_b32_e32 v0, 0x7e, v0, vcc_lo
; %bb.2179:
	s_and_not1_saveexec_b32 s4, s4
; %bb.2180:
	v_add_f32_e32 v0, 0x46800000, v1
; %bb.2181:
	s_or_b32 exec_lo, exec_lo, s4
                                        ; implicit-def: $vgpr1
.LBB175_2182:
	s_and_not1_saveexec_b32 s3, s3
; %bb.2183:
	v_mov_b32_e32 v0, 0x7f
	v_cmp_lt_u32_e32 vcc_lo, 0x7f800000, v1
	s_delay_alu instid0(VALU_DEP_2)
	v_cndmask_b32_e32 v0, 0x7e, v0, vcc_lo
; %bb.2184:
	s_or_b32 exec_lo, exec_lo, s3
	global_store_b8 v[2:3], v0, off
.LBB175_2185:
	s_mov_b32 s3, 0
.LBB175_2186:
	s_delay_alu instid0(SALU_CYCLE_1)
	s_and_not1_b32 vcc_lo, exec_lo, s3
	s_cbranch_vccnz .LBB175_2196
; %bb.2187:
	s_wait_xcnt 0x0
	v_cvt_f32_ubyte0_e32 v1, v8
	s_mov_b32 s3, exec_lo
                                        ; implicit-def: $vgpr0
	s_delay_alu instid0(VALU_DEP_1)
	v_cmpx_gt_u32_e32 0x47800000, v1
	s_xor_b32 s3, exec_lo, s3
	s_cbranch_execz .LBB175_2193
; %bb.2188:
	s_mov_b32 s4, exec_lo
                                        ; implicit-def: $vgpr0
	v_cmpx_lt_u32_e32 0x387fffff, v1
	s_xor_b32 s4, exec_lo, s4
; %bb.2189:
	v_bfe_u32 v0, v1, 21, 1
	s_delay_alu instid0(VALU_DEP_1) | instskip(NEXT) | instid1(VALU_DEP_1)
	v_add3_u32 v0, v1, v0, 0x80fffff
                                        ; implicit-def: $vgpr1
	v_lshrrev_b32_e32 v0, 21, v0
; %bb.2190:
	s_and_not1_saveexec_b32 s4, s4
; %bb.2191:
	v_add_f32_e32 v0, 0x43000000, v1
; %bb.2192:
	s_or_b32 exec_lo, exec_lo, s4
                                        ; implicit-def: $vgpr1
.LBB175_2193:
	s_and_not1_saveexec_b32 s3, s3
; %bb.2194:
	v_mov_b32_e32 v0, 0x7f
	v_cmp_lt_u32_e32 vcc_lo, 0x7f800000, v1
	s_delay_alu instid0(VALU_DEP_2)
	v_cndmask_b32_e32 v0, 0x7c, v0, vcc_lo
; %bb.2195:
	s_or_b32 exec_lo, exec_lo, s3
	global_store_b8 v[2:3], v0, off
.LBB175_2196:
	s_mov_b32 s3, 0
.LBB175_2197:
	s_delay_alu instid0(SALU_CYCLE_1)
	s_and_not1_b32 vcc_lo, exec_lo, s3
	s_mov_b32 s3, 0
	s_cbranch_vccnz .LBB175_2204
; %bb.2198:
	s_cmp_gt_i32 s2, 14
	s_mov_b32 s3, -1
	s_cbranch_scc0 .LBB175_2202
; %bb.2199:
	s_cmp_eq_u32 s2, 15
	s_mov_b32 s0, -1
	s_cbranch_scc0 .LBB175_2201
; %bb.2200:
	s_wait_xcnt 0x0
	v_cvt_f32_ubyte0_e32 v0, v8
	s_mov_b32 s0, 0
	s_delay_alu instid0(VALU_DEP_1) | instskip(NEXT) | instid1(VALU_DEP_1)
	v_bfe_u32 v1, v0, 16, 1
	v_add3_u32 v0, v0, v1, 0x7fff
	global_store_d16_hi_b16 v[2:3], v0, off
.LBB175_2201:
	s_mov_b32 s3, 0
.LBB175_2202:
	s_delay_alu instid0(SALU_CYCLE_1)
	s_and_b32 vcc_lo, exec_lo, s3
	s_mov_b32 s3, 0
	s_cbranch_vccz .LBB175_2204
; %bb.2203:
	s_cmp_lg_u32 s2, 11
	s_mov_b32 s3, -1
	s_cselect_b32 s0, -1, 0
.LBB175_2204:
	s_delay_alu instid0(SALU_CYCLE_1)
	s_and_b32 vcc_lo, exec_lo, s0
	s_cbranch_vccnz .LBB175_2226
.LBB175_2205:
	s_mov_b32 s0, 0
	s_branch .LBB175_1720
.LBB175_2206:
	s_mov_b32 s0, 0
	s_mov_b32 s3, 0
                                        ; implicit-def: $vgpr2_vgpr3
                                        ; implicit-def: $sgpr1
	s_branch .LBB175_1720
.LBB175_2207:
	s_mov_b32 s3, 0
	s_mov_b32 s0, -1
	s_branch .LBB175_1720
.LBB175_2208:
	s_or_b32 s10, s10, exec_lo
	s_trap 2
	s_cbranch_execz .LBB175_1664
	s_branch .LBB175_1665
.LBB175_2209:
	s_and_not1_saveexec_b32 s11, s11
	s_cbranch_execz .LBB175_1799
.LBB175_2210:
	v_add_f32_e32 v5, 0x46000000, v9
	s_and_not1_b32 s7, s7, exec_lo
	s_delay_alu instid0(VALU_DEP_1) | instskip(NEXT) | instid1(VALU_DEP_1)
	v_and_b32_e32 v5, 0xff, v5
	v_cmp_ne_u32_e32 vcc_lo, 0, v5
	s_and_b32 s12, vcc_lo, exec_lo
	s_delay_alu instid0(SALU_CYCLE_1)
	s_or_b32 s7, s7, s12
	s_or_b32 exec_lo, exec_lo, s11
	v_mov_b32_e32 v10, 0
	s_and_saveexec_b32 s11, s7
	s_cbranch_execnz .LBB175_1800
	s_branch .LBB175_1801
.LBB175_2211:
	s_or_b32 s10, s10, exec_lo
	s_trap 2
	s_cbranch_execz .LBB175_1847
	s_branch .LBB175_1848
.LBB175_2212:
	s_and_not1_saveexec_b32 s7, s7
	s_cbranch_execz .LBB175_1812
.LBB175_2213:
	v_add_f32_e32 v5, 0x42800000, v9
	s_and_not1_b32 s6, s6, exec_lo
	s_delay_alu instid0(VALU_DEP_1) | instskip(NEXT) | instid1(VALU_DEP_1)
	v_and_b32_e32 v5, 0xff, v5
	v_cmp_ne_u32_e32 vcc_lo, 0, v5
	s_and_b32 s11, vcc_lo, exec_lo
	s_delay_alu instid0(SALU_CYCLE_1)
	s_or_b32 s6, s6, s11
	s_or_b32 exec_lo, exec_lo, s7
	v_mov_b32_e32 v10, 0
	s_and_saveexec_b32 s7, s6
	s_cbranch_execnz .LBB175_1813
	s_branch .LBB175_1814
.LBB175_2214:
	s_and_not1_saveexec_b32 s11, s11
	s_cbranch_execz .LBB175_1920
.LBB175_2215:
	v_add_f32_e32 v1, 0x46000000, v6
	s_and_not1_b32 s7, s7, exec_lo
	s_delay_alu instid0(VALU_DEP_1) | instskip(NEXT) | instid1(VALU_DEP_1)
	v_and_b32_e32 v1, 0xff, v1
	v_cmp_ne_u32_e32 vcc_lo, 0, v1
	s_and_b32 s12, vcc_lo, exec_lo
	s_delay_alu instid0(SALU_CYCLE_1)
	s_or_b32 s7, s7, s12
	s_or_b32 exec_lo, exec_lo, s11
	v_mov_b32_e32 v7, 0
	s_and_saveexec_b32 s11, s7
	s_cbranch_execnz .LBB175_1921
	s_branch .LBB175_1922
.LBB175_2216:
	s_or_b32 s10, s10, exec_lo
	s_trap 2
	s_cbranch_execz .LBB175_1968
	s_branch .LBB175_1969
.LBB175_2217:
	s_and_not1_saveexec_b32 s7, s7
	s_cbranch_execz .LBB175_1933
.LBB175_2218:
	v_add_f32_e32 v1, 0x42800000, v6
	s_and_not1_b32 s6, s6, exec_lo
	s_delay_alu instid0(VALU_DEP_1) | instskip(NEXT) | instid1(VALU_DEP_1)
	v_and_b32_e32 v1, 0xff, v1
	v_cmp_ne_u32_e32 vcc_lo, 0, v1
	s_and_b32 s11, vcc_lo, exec_lo
	s_delay_alu instid0(SALU_CYCLE_1)
	s_or_b32 s6, s6, s11
	s_or_b32 exec_lo, exec_lo, s7
	v_mov_b32_e32 v7, 0
	s_and_saveexec_b32 s7, s6
	s_cbranch_execnz .LBB175_1934
	s_branch .LBB175_1935
.LBB175_2219:
	s_and_not1_saveexec_b32 s11, s11
	s_cbranch_execz .LBB175_2039
.LBB175_2220:
	v_add_f32_e32 v1, 0x46000000, v4
	s_and_not1_b32 s7, s7, exec_lo
	s_delay_alu instid0(VALU_DEP_1) | instskip(NEXT) | instid1(VALU_DEP_1)
	v_and_b32_e32 v1, 0xff, v1
	v_cmp_ne_u32_e32 vcc_lo, 0, v1
	s_and_b32 s12, vcc_lo, exec_lo
	s_delay_alu instid0(SALU_CYCLE_1)
	s_or_b32 s7, s7, s12
	s_or_b32 exec_lo, exec_lo, s11
	v_mov_b32_e32 v5, 0
	s_and_saveexec_b32 s11, s7
	s_cbranch_execnz .LBB175_2040
	s_branch .LBB175_2041
.LBB175_2221:
	s_or_b32 s10, s10, exec_lo
	s_trap 2
	s_cbranch_execz .LBB175_2087
	s_branch .LBB175_2088
.LBB175_2222:
	s_and_not1_saveexec_b32 s7, s7
	s_cbranch_execz .LBB175_2052
.LBB175_2223:
	v_add_f32_e32 v1, 0x42800000, v4
	s_and_not1_b32 s6, s6, exec_lo
	s_delay_alu instid0(VALU_DEP_1) | instskip(NEXT) | instid1(VALU_DEP_1)
	v_and_b32_e32 v1, 0xff, v1
	v_cmp_ne_u32_e32 vcc_lo, 0, v1
	s_and_b32 s11, vcc_lo, exec_lo
	s_delay_alu instid0(SALU_CYCLE_1)
	s_or_b32 s6, s6, s11
	s_or_b32 exec_lo, exec_lo, s7
	v_mov_b32_e32 v5, 0
	s_and_saveexec_b32 s7, s6
	s_cbranch_execnz .LBB175_2053
	s_branch .LBB175_2054
.LBB175_2224:
	s_and_not1_saveexec_b32 s6, s6
	s_cbranch_execz .LBB175_2159
.LBB175_2225:
	v_add_f32_e32 v0, 0x46000000, v1
	s_and_not1_b32 s5, s5, exec_lo
	s_delay_alu instid0(VALU_DEP_1) | instskip(NEXT) | instid1(VALU_DEP_1)
	v_and_b32_e32 v0, 0xff, v0
	v_cmp_ne_u32_e32 vcc_lo, 0, v0
	s_and_b32 s7, vcc_lo, exec_lo
	s_delay_alu instid0(SALU_CYCLE_1)
	s_or_b32 s5, s5, s7
	s_or_b32 exec_lo, exec_lo, s6
	v_mov_b32_e32 v4, 0
	s_and_saveexec_b32 s6, s5
	s_cbranch_execnz .LBB175_2160
	s_branch .LBB175_2161
.LBB175_2226:
	s_mov_b32 s3, 0
	s_or_b32 s10, s10, exec_lo
	s_trap 2
	s_branch .LBB175_2205
.LBB175_2227:
	s_and_not1_saveexec_b32 s5, s5
	s_cbranch_execz .LBB175_2171
.LBB175_2228:
	v_add_f32_e32 v0, 0x42800000, v1
	s_and_not1_b32 s4, s4, exec_lo
	s_delay_alu instid0(VALU_DEP_1) | instskip(NEXT) | instid1(VALU_DEP_1)
	v_and_b32_e32 v0, 0xff, v0
	v_cmp_ne_u32_e32 vcc_lo, 0, v0
	s_and_b32 s6, vcc_lo, exec_lo
	s_delay_alu instid0(SALU_CYCLE_1)
	s_or_b32 s4, s4, s6
	s_or_b32 exec_lo, exec_lo, s5
	v_mov_b32_e32 v4, 0
	s_and_saveexec_b32 s5, s4
	s_cbranch_execnz .LBB175_2172
	s_branch .LBB175_2173
	.section	.rodata,"a",@progbits
	.p2align	6, 0x0
	.amdhsa_kernel _ZN2at6native32elementwise_kernel_manual_unrollILi128ELi4EZNS0_15gpu_kernel_implIZZZNS0_12_GLOBAL__N_119launch_clamp_scalarERNS_18TensorIteratorBaseEN3c106ScalarES7_NS0_6detail11ClampLimitsEENKUlvE_clEvENKUlvE_clEvEUlhE_EEvS5_RKT_EUlibE0_EEviT1_
		.amdhsa_group_segment_fixed_size 0
		.amdhsa_private_segment_fixed_size 0
		.amdhsa_kernarg_size 368
		.amdhsa_user_sgpr_count 2
		.amdhsa_user_sgpr_dispatch_ptr 0
		.amdhsa_user_sgpr_queue_ptr 0
		.amdhsa_user_sgpr_kernarg_segment_ptr 1
		.amdhsa_user_sgpr_dispatch_id 0
		.amdhsa_user_sgpr_kernarg_preload_length 0
		.amdhsa_user_sgpr_kernarg_preload_offset 0
		.amdhsa_user_sgpr_private_segment_size 0
		.amdhsa_wavefront_size32 1
		.amdhsa_uses_dynamic_stack 0
		.amdhsa_enable_private_segment 0
		.amdhsa_system_sgpr_workgroup_id_x 1
		.amdhsa_system_sgpr_workgroup_id_y 0
		.amdhsa_system_sgpr_workgroup_id_z 0
		.amdhsa_system_sgpr_workgroup_info 0
		.amdhsa_system_vgpr_workitem_id 0
		.amdhsa_next_free_vgpr 20
		.amdhsa_next_free_sgpr 72
		.amdhsa_named_barrier_count 0
		.amdhsa_reserve_vcc 1
		.amdhsa_float_round_mode_32 0
		.amdhsa_float_round_mode_16_64 0
		.amdhsa_float_denorm_mode_32 3
		.amdhsa_float_denorm_mode_16_64 3
		.amdhsa_fp16_overflow 0
		.amdhsa_memory_ordered 1
		.amdhsa_forward_progress 1
		.amdhsa_inst_pref_size 255
		.amdhsa_round_robin_scheduling 0
		.amdhsa_exception_fp_ieee_invalid_op 0
		.amdhsa_exception_fp_denorm_src 0
		.amdhsa_exception_fp_ieee_div_zero 0
		.amdhsa_exception_fp_ieee_overflow 0
		.amdhsa_exception_fp_ieee_underflow 0
		.amdhsa_exception_fp_ieee_inexact 0
		.amdhsa_exception_int_div_zero 0
	.end_amdhsa_kernel
	.section	.text._ZN2at6native32elementwise_kernel_manual_unrollILi128ELi4EZNS0_15gpu_kernel_implIZZZNS0_12_GLOBAL__N_119launch_clamp_scalarERNS_18TensorIteratorBaseEN3c106ScalarES7_NS0_6detail11ClampLimitsEENKUlvE_clEvENKUlvE_clEvEUlhE_EEvS5_RKT_EUlibE0_EEviT1_,"axG",@progbits,_ZN2at6native32elementwise_kernel_manual_unrollILi128ELi4EZNS0_15gpu_kernel_implIZZZNS0_12_GLOBAL__N_119launch_clamp_scalarERNS_18TensorIteratorBaseEN3c106ScalarES7_NS0_6detail11ClampLimitsEENKUlvE_clEvENKUlvE_clEvEUlhE_EEvS5_RKT_EUlibE0_EEviT1_,comdat
.Lfunc_end175:
	.size	_ZN2at6native32elementwise_kernel_manual_unrollILi128ELi4EZNS0_15gpu_kernel_implIZZZNS0_12_GLOBAL__N_119launch_clamp_scalarERNS_18TensorIteratorBaseEN3c106ScalarES7_NS0_6detail11ClampLimitsEENKUlvE_clEvENKUlvE_clEvEUlhE_EEvS5_RKT_EUlibE0_EEviT1_, .Lfunc_end175-_ZN2at6native32elementwise_kernel_manual_unrollILi128ELi4EZNS0_15gpu_kernel_implIZZZNS0_12_GLOBAL__N_119launch_clamp_scalarERNS_18TensorIteratorBaseEN3c106ScalarES7_NS0_6detail11ClampLimitsEENKUlvE_clEvENKUlvE_clEvEUlhE_EEvS5_RKT_EUlibE0_EEviT1_
                                        ; -- End function
	.set _ZN2at6native32elementwise_kernel_manual_unrollILi128ELi4EZNS0_15gpu_kernel_implIZZZNS0_12_GLOBAL__N_119launch_clamp_scalarERNS_18TensorIteratorBaseEN3c106ScalarES7_NS0_6detail11ClampLimitsEENKUlvE_clEvENKUlvE_clEvEUlhE_EEvS5_RKT_EUlibE0_EEviT1_.num_vgpr, 20
	.set _ZN2at6native32elementwise_kernel_manual_unrollILi128ELi4EZNS0_15gpu_kernel_implIZZZNS0_12_GLOBAL__N_119launch_clamp_scalarERNS_18TensorIteratorBaseEN3c106ScalarES7_NS0_6detail11ClampLimitsEENKUlvE_clEvENKUlvE_clEvEUlhE_EEvS5_RKT_EUlibE0_EEviT1_.num_agpr, 0
	.set _ZN2at6native32elementwise_kernel_manual_unrollILi128ELi4EZNS0_15gpu_kernel_implIZZZNS0_12_GLOBAL__N_119launch_clamp_scalarERNS_18TensorIteratorBaseEN3c106ScalarES7_NS0_6detail11ClampLimitsEENKUlvE_clEvENKUlvE_clEvEUlhE_EEvS5_RKT_EUlibE0_EEviT1_.numbered_sgpr, 72
	.set _ZN2at6native32elementwise_kernel_manual_unrollILi128ELi4EZNS0_15gpu_kernel_implIZZZNS0_12_GLOBAL__N_119launch_clamp_scalarERNS_18TensorIteratorBaseEN3c106ScalarES7_NS0_6detail11ClampLimitsEENKUlvE_clEvENKUlvE_clEvEUlhE_EEvS5_RKT_EUlibE0_EEviT1_.num_named_barrier, 0
	.set _ZN2at6native32elementwise_kernel_manual_unrollILi128ELi4EZNS0_15gpu_kernel_implIZZZNS0_12_GLOBAL__N_119launch_clamp_scalarERNS_18TensorIteratorBaseEN3c106ScalarES7_NS0_6detail11ClampLimitsEENKUlvE_clEvENKUlvE_clEvEUlhE_EEvS5_RKT_EUlibE0_EEviT1_.private_seg_size, 0
	.set _ZN2at6native32elementwise_kernel_manual_unrollILi128ELi4EZNS0_15gpu_kernel_implIZZZNS0_12_GLOBAL__N_119launch_clamp_scalarERNS_18TensorIteratorBaseEN3c106ScalarES7_NS0_6detail11ClampLimitsEENKUlvE_clEvENKUlvE_clEvEUlhE_EEvS5_RKT_EUlibE0_EEviT1_.uses_vcc, 1
	.set _ZN2at6native32elementwise_kernel_manual_unrollILi128ELi4EZNS0_15gpu_kernel_implIZZZNS0_12_GLOBAL__N_119launch_clamp_scalarERNS_18TensorIteratorBaseEN3c106ScalarES7_NS0_6detail11ClampLimitsEENKUlvE_clEvENKUlvE_clEvEUlhE_EEvS5_RKT_EUlibE0_EEviT1_.uses_flat_scratch, 0
	.set _ZN2at6native32elementwise_kernel_manual_unrollILi128ELi4EZNS0_15gpu_kernel_implIZZZNS0_12_GLOBAL__N_119launch_clamp_scalarERNS_18TensorIteratorBaseEN3c106ScalarES7_NS0_6detail11ClampLimitsEENKUlvE_clEvENKUlvE_clEvEUlhE_EEvS5_RKT_EUlibE0_EEviT1_.has_dyn_sized_stack, 0
	.set _ZN2at6native32elementwise_kernel_manual_unrollILi128ELi4EZNS0_15gpu_kernel_implIZZZNS0_12_GLOBAL__N_119launch_clamp_scalarERNS_18TensorIteratorBaseEN3c106ScalarES7_NS0_6detail11ClampLimitsEENKUlvE_clEvENKUlvE_clEvEUlhE_EEvS5_RKT_EUlibE0_EEviT1_.has_recursion, 0
	.set _ZN2at6native32elementwise_kernel_manual_unrollILi128ELi4EZNS0_15gpu_kernel_implIZZZNS0_12_GLOBAL__N_119launch_clamp_scalarERNS_18TensorIteratorBaseEN3c106ScalarES7_NS0_6detail11ClampLimitsEENKUlvE_clEvENKUlvE_clEvEUlhE_EEvS5_RKT_EUlibE0_EEviT1_.has_indirect_call, 0
	.section	.AMDGPU.csdata,"",@progbits
; Kernel info:
; codeLenInByte = 46336
; TotalNumSgprs: 74
; NumVgprs: 20
; ScratchSize: 0
; MemoryBound: 1
; FloatMode: 240
; IeeeMode: 1
; LDSByteSize: 0 bytes/workgroup (compile time only)
; SGPRBlocks: 0
; VGPRBlocks: 1
; NumSGPRsForWavesPerEU: 74
; NumVGPRsForWavesPerEU: 20
; NamedBarCnt: 0
; Occupancy: 16
; WaveLimiterHint : 1
; COMPUTE_PGM_RSRC2:SCRATCH_EN: 0
; COMPUTE_PGM_RSRC2:USER_SGPR: 2
; COMPUTE_PGM_RSRC2:TRAP_HANDLER: 0
; COMPUTE_PGM_RSRC2:TGID_X_EN: 1
; COMPUTE_PGM_RSRC2:TGID_Y_EN: 0
; COMPUTE_PGM_RSRC2:TGID_Z_EN: 0
; COMPUTE_PGM_RSRC2:TIDIG_COMP_CNT: 0
	.section	.text._ZN2at6native29vectorized_elementwise_kernelILi16EZZZNS0_12_GLOBAL__N_119launch_clamp_scalarERNS_18TensorIteratorBaseEN3c106ScalarES6_NS0_6detail11ClampLimitsEENKUlvE_clEvENKUlvE0_clEvEUlaE_St5arrayIPcLm2EEEEviT0_T1_,"axG",@progbits,_ZN2at6native29vectorized_elementwise_kernelILi16EZZZNS0_12_GLOBAL__N_119launch_clamp_scalarERNS_18TensorIteratorBaseEN3c106ScalarES6_NS0_6detail11ClampLimitsEENKUlvE_clEvENKUlvE0_clEvEUlaE_St5arrayIPcLm2EEEEviT0_T1_,comdat
	.globl	_ZN2at6native29vectorized_elementwise_kernelILi16EZZZNS0_12_GLOBAL__N_119launch_clamp_scalarERNS_18TensorIteratorBaseEN3c106ScalarES6_NS0_6detail11ClampLimitsEENKUlvE_clEvENKUlvE0_clEvEUlaE_St5arrayIPcLm2EEEEviT0_T1_ ; -- Begin function _ZN2at6native29vectorized_elementwise_kernelILi16EZZZNS0_12_GLOBAL__N_119launch_clamp_scalarERNS_18TensorIteratorBaseEN3c106ScalarES6_NS0_6detail11ClampLimitsEENKUlvE_clEvENKUlvE0_clEvEUlaE_St5arrayIPcLm2EEEEviT0_T1_
	.p2align	8
	.type	_ZN2at6native29vectorized_elementwise_kernelILi16EZZZNS0_12_GLOBAL__N_119launch_clamp_scalarERNS_18TensorIteratorBaseEN3c106ScalarES6_NS0_6detail11ClampLimitsEENKUlvE_clEvENKUlvE0_clEvEUlaE_St5arrayIPcLm2EEEEviT0_T1_,@function
_ZN2at6native29vectorized_elementwise_kernelILi16EZZZNS0_12_GLOBAL__N_119launch_clamp_scalarERNS_18TensorIteratorBaseEN3c106ScalarES6_NS0_6detail11ClampLimitsEENKUlvE_clEvENKUlvE0_clEvEUlaE_St5arrayIPcLm2EEEEviT0_T1_: ; @_ZN2at6native29vectorized_elementwise_kernelILi16EZZZNS0_12_GLOBAL__N_119launch_clamp_scalarERNS_18TensorIteratorBaseEN3c106ScalarES6_NS0_6detail11ClampLimitsEENKUlvE_clEvENKUlvE0_clEvEUlaE_St5arrayIPcLm2EEEEviT0_T1_
; %bb.0:
	s_clause 0x1
	s_load_b96 s[8:10], s[0:1], 0x0
	s_load_b128 s[4:7], s[0:1], 0x10
	s_wait_xcnt 0x0
	s_bfe_u32 s0, ttmp6, 0x4000c
	s_and_b32 s1, ttmp6, 15
	s_add_co_i32 s0, s0, 1
	s_getreg_b32 s2, hwreg(HW_REG_IB_STS2, 6, 4)
	s_mul_i32 s0, ttmp9, s0
	s_mov_b32 s3, -1
	s_add_co_i32 s1, s1, s0
	s_cmp_eq_u32 s2, 0
	s_cselect_b32 s0, ttmp9, s1
	s_delay_alu instid0(SALU_CYCLE_1) | instskip(SKIP_3) | instid1(SALU_CYCLE_1)
	s_lshl_b32 s2, s0, 12
	s_mov_b32 s0, 0
	s_wait_kmcnt 0x0
	s_sub_co_i32 s1, s8, s2
	s_cmp_gt_i32 s1, 0xfff
	s_cbranch_scc0 .LBB176_177
; %bb.1:
	s_ashr_i32 s3, s2, 31
	s_cmp_lt_i32 s9, 1
	s_add_nc_u64 s[12:13], s[6:7], s[2:3]
	global_load_b128 v[2:5], v0, s[12:13] scale_offset
	s_cbranch_scc1 .LBB176_4
; %bb.2:
	s_cmp_eq_u32 s9, 1
	s_cbranch_scc0 .LBB176_5
; %bb.3:
	s_wait_loadcnt 0x0
	v_bfe_i32 v1, v2, 0, 8
	s_bfe_i32 s0, s10, 0x80000
	s_delay_alu instid0(VALU_DEP_1) | instid1(SALU_CYCLE_1)
	v_min_i16 v1, v1, s0
	s_mov_b32 s0, 0
	s_branch .LBB176_6
.LBB176_4:
                                        ; implicit-def: $vgpr1
	s_mov_b32 s8, 0
	s_cbranch_execnz .LBB176_7
	s_branch .LBB176_8
.LBB176_5:
	s_mov_b32 s0, -1
                                        ; implicit-def: $vgpr1
.LBB176_6:
	s_mov_b32 s8, 0
	s_branch .LBB176_8
.LBB176_7:
	s_cmp_lg_u32 s9, 0
	s_mov_b32 s8, -1
	s_cselect_b32 s0, -1, 0
.LBB176_8:
	s_wait_loadcnt 0x0
	v_bfe_i32 v6, v2, 0, 8
	s_and_not1_b32 vcc_lo, exec_lo, s0
	s_lshr_b32 s0, s10, 8
	s_cbranch_vccz .LBB176_13
; %bb.9:
	s_and_not1_b32 vcc_lo, exec_lo, s8
	s_cbranch_vccz .LBB176_14
.LBB176_10:
	v_lshrrev_b32_e32 v6, 8, v2
	s_cmp_lt_i32 s9, 1
	s_mov_b32 s8, 0
	s_cbranch_scc1 .LBB176_15
.LBB176_11:
	s_cmp_eq_u32 s9, 1
	s_cbranch_scc0 .LBB176_16
; %bb.12:
	v_bfe_i32 v7, v6, 0, 8
	s_bfe_i32 s11, s10, 0x80000
	s_delay_alu instid0(VALU_DEP_1) | instid1(SALU_CYCLE_1)
	v_min_i16 v8, v7, s11
	s_mov_b32 s11, 0
	s_branch .LBB176_17
.LBB176_13:
	s_bfe_i32 s8, s10, 0x80000
	s_delay_alu instid0(SALU_CYCLE_1)
	v_max_i16 v1, v6, s8
	s_bfe_i32 s8, s0, 0x80000
	s_delay_alu instid0(VALU_DEP_1) | instid1(SALU_CYCLE_1)
	v_min_i16 v1, v1, s8
	s_cbranch_execnz .LBB176_10
.LBB176_14:
	s_bfe_i32 s8, s10, 0x80000
	s_delay_alu instid0(SALU_CYCLE_1)
	v_max_i16 v1, v6, s8
	v_lshrrev_b32_e32 v6, 8, v2
	s_cmp_lt_i32 s9, 1
	s_mov_b32 s8, 0
	s_cbranch_scc0 .LBB176_11
.LBB176_15:
	s_mov_b32 s11, 0
                                        ; implicit-def: $vgpr8
	s_cbranch_execnz .LBB176_18
	s_branch .LBB176_19
.LBB176_16:
	s_mov_b32 s11, -1
                                        ; implicit-def: $vgpr8
.LBB176_17:
	s_branch .LBB176_19
.LBB176_18:
	s_cmp_lg_u32 s9, 0
	s_mov_b32 s8, -1
	s_cselect_b32 s11, -1, 0
.LBB176_19:
	v_bfe_i32 v6, v6, 0, 8
	s_and_not1_b32 vcc_lo, exec_lo, s11
	s_cbranch_vccz .LBB176_24
; %bb.20:
	s_and_not1_b32 vcc_lo, exec_lo, s8
	s_cbranch_vccz .LBB176_25
.LBB176_21:
	v_lshrrev_b32_e32 v6, 16, v2
	s_cmp_lt_i32 s9, 1
	s_mov_b32 s8, 0
	s_cbranch_scc1 .LBB176_26
.LBB176_22:
	s_cmp_eq_u32 s9, 1
	s_cbranch_scc0 .LBB176_27
; %bb.23:
	v_bfe_i32 v7, v6, 0, 8
	s_bfe_i32 s11, s10, 0x80000
	s_delay_alu instid0(VALU_DEP_1) | instid1(SALU_CYCLE_1)
	v_min_i16 v9, v7, s11
	s_mov_b32 s11, 0
	s_branch .LBB176_28
.LBB176_24:
	s_bfe_i32 s8, s10, 0x80000
	s_delay_alu instid0(VALU_DEP_1) | instid1(SALU_CYCLE_1)
	v_max_i16 v7, v6, s8
	s_bfe_i32 s8, s0, 0x80000
	s_delay_alu instid0(VALU_DEP_1) | instid1(SALU_CYCLE_1)
	v_min_i16 v8, v7, s8
	s_cbranch_execnz .LBB176_21
.LBB176_25:
	s_bfe_i32 s8, s10, 0x80000
	s_delay_alu instid0(SALU_CYCLE_1)
	v_max_i16 v8, v6, s8
	v_lshrrev_b32_e32 v6, 16, v2
	s_cmp_lt_i32 s9, 1
	s_mov_b32 s8, 0
	s_cbranch_scc0 .LBB176_22
.LBB176_26:
	s_mov_b32 s11, 0
                                        ; implicit-def: $vgpr9
	s_cbranch_execnz .LBB176_29
	s_branch .LBB176_30
.LBB176_27:
	s_mov_b32 s11, -1
                                        ; implicit-def: $vgpr9
.LBB176_28:
	s_branch .LBB176_30
.LBB176_29:
	s_cmp_lg_u32 s9, 0
	s_mov_b32 s8, -1
	s_cselect_b32 s11, -1, 0
.LBB176_30:
	v_bfe_i32 v6, v6, 0, 8
	s_and_not1_b32 vcc_lo, exec_lo, s11
	s_cbranch_vccz .LBB176_35
; %bb.31:
	s_and_not1_b32 vcc_lo, exec_lo, s8
	s_cbranch_vccz .LBB176_36
.LBB176_32:
	v_lshrrev_b64 v[6:7], 24, v[2:3]
	s_cmp_lt_i32 s9, 1
	s_mov_b32 s8, 0
	s_cbranch_scc1 .LBB176_37
.LBB176_33:
	s_cmp_eq_u32 s9, 1
	s_cbranch_scc0 .LBB176_38
; %bb.34:
	s_delay_alu instid0(VALU_DEP_1)
	v_bfe_i32 v2, v6, 0, 8
	s_bfe_i32 s11, s10, 0x80000
	s_delay_alu instid0(VALU_DEP_1) | instid1(SALU_CYCLE_1)
	v_min_i16 v7, v2, s11
	s_mov_b32 s11, 0
	s_branch .LBB176_39
.LBB176_35:
	s_bfe_i32 s8, s10, 0x80000
	s_delay_alu instid0(VALU_DEP_1) | instid1(SALU_CYCLE_1)
	v_max_i16 v7, v6, s8
	s_bfe_i32 s8, s0, 0x80000
	s_delay_alu instid0(VALU_DEP_1) | instid1(SALU_CYCLE_1)
	v_min_i16 v9, v7, s8
	s_cbranch_execnz .LBB176_32
.LBB176_36:
	s_bfe_i32 s8, s10, 0x80000
	s_delay_alu instid0(SALU_CYCLE_1)
	v_max_i16 v9, v6, s8
	v_lshrrev_b64 v[6:7], 24, v[2:3]
	s_cmp_lt_i32 s9, 1
	s_mov_b32 s8, 0
	s_cbranch_scc0 .LBB176_33
.LBB176_37:
	s_mov_b32 s11, 0
                                        ; implicit-def: $vgpr7
	s_cbranch_execnz .LBB176_40
	s_branch .LBB176_41
.LBB176_38:
	s_mov_b32 s11, -1
                                        ; implicit-def: $vgpr7
.LBB176_39:
	s_branch .LBB176_41
.LBB176_40:
	s_cmp_lg_u32 s9, 0
	s_mov_b32 s8, -1
	s_cselect_b32 s11, -1, 0
.LBB176_41:
	v_bfe_i32 v2, v6, 0, 8
	s_and_not1_b32 vcc_lo, exec_lo, s11
	s_cbranch_vccz .LBB176_46
; %bb.42:
	s_and_not1_b32 vcc_lo, exec_lo, s8
	s_cbranch_vccz .LBB176_47
.LBB176_43:
	s_cmp_lt_i32 s9, 1
	s_mov_b32 s8, 0
	s_cbranch_scc1 .LBB176_48
.LBB176_44:
	s_cmp_eq_u32 s9, 1
	s_cbranch_scc0 .LBB176_49
; %bb.45:
	v_bfe_i32 v2, v3, 0, 8
	s_bfe_i32 s11, s10, 0x80000
	s_delay_alu instid0(VALU_DEP_1) | instid1(SALU_CYCLE_1)
	v_min_i16 v6, v2, s11
	s_mov_b32 s11, 0
	s_branch .LBB176_50
.LBB176_46:
	s_bfe_i32 s8, s10, 0x80000
	s_delay_alu instid0(VALU_DEP_1) | instid1(SALU_CYCLE_1)
	v_max_i16 v6, v2, s8
	s_bfe_i32 s8, s0, 0x80000
	s_delay_alu instid0(VALU_DEP_1) | instid1(SALU_CYCLE_1)
	v_min_i16 v7, v6, s8
	s_cbranch_execnz .LBB176_43
.LBB176_47:
	s_bfe_i32 s8, s10, 0x80000
	s_delay_alu instid0(SALU_CYCLE_1)
	v_max_i16 v7, v2, s8
	s_cmp_lt_i32 s9, 1
	s_mov_b32 s8, 0
	s_cbranch_scc0 .LBB176_44
.LBB176_48:
	s_mov_b32 s11, 0
                                        ; implicit-def: $vgpr6
	s_cbranch_execnz .LBB176_51
	s_branch .LBB176_52
.LBB176_49:
	s_mov_b32 s11, -1
                                        ; implicit-def: $vgpr6
.LBB176_50:
	s_branch .LBB176_52
.LBB176_51:
	s_cmp_lg_u32 s9, 0
	s_mov_b32 s8, -1
	s_cselect_b32 s11, -1, 0
.LBB176_52:
	v_bfe_i32 v2, v3, 0, 8
	s_and_not1_b32 vcc_lo, exec_lo, s11
	s_cbranch_vccz .LBB176_57
; %bb.53:
	s_and_not1_b32 vcc_lo, exec_lo, s8
	s_cbranch_vccz .LBB176_58
.LBB176_54:
	v_lshrrev_b32_e32 v2, 8, v3
	s_cmp_lt_i32 s9, 1
	s_mov_b32 s8, 0
	s_cbranch_scc1 .LBB176_59
.LBB176_55:
	s_cmp_eq_u32 s9, 1
	s_cbranch_scc0 .LBB176_60
; %bb.56:
	v_bfe_i32 v10, v2, 0, 8
	s_bfe_i32 s11, s10, 0x80000
	s_delay_alu instid0(VALU_DEP_1) | instid1(SALU_CYCLE_1)
	v_min_i16 v10, v10, s11
	s_mov_b32 s11, 0
	s_branch .LBB176_61
.LBB176_57:
	s_bfe_i32 s8, s10, 0x80000
	s_delay_alu instid0(VALU_DEP_1) | instid1(SALU_CYCLE_1)
	v_max_i16 v6, v2, s8
	s_bfe_i32 s8, s0, 0x80000
	s_delay_alu instid0(VALU_DEP_1) | instid1(SALU_CYCLE_1)
	v_min_i16 v6, v6, s8
	s_cbranch_execnz .LBB176_54
.LBB176_58:
	s_bfe_i32 s8, s10, 0x80000
	s_delay_alu instid0(SALU_CYCLE_1)
	v_max_i16 v6, v2, s8
	v_lshrrev_b32_e32 v2, 8, v3
	s_cmp_lt_i32 s9, 1
	s_mov_b32 s8, 0
	s_cbranch_scc0 .LBB176_55
.LBB176_59:
	s_mov_b32 s11, 0
                                        ; implicit-def: $vgpr10
	s_cbranch_execnz .LBB176_62
	s_branch .LBB176_63
.LBB176_60:
	s_mov_b32 s11, -1
                                        ; implicit-def: $vgpr10
.LBB176_61:
	s_branch .LBB176_63
.LBB176_62:
	s_cmp_lg_u32 s9, 0
	s_mov_b32 s8, -1
	s_cselect_b32 s11, -1, 0
.LBB176_63:
	v_bfe_i32 v2, v2, 0, 8
	s_and_not1_b32 vcc_lo, exec_lo, s11
	s_cbranch_vccz .LBB176_68
; %bb.64:
	s_and_not1_b32 vcc_lo, exec_lo, s8
	s_cbranch_vccz .LBB176_69
.LBB176_65:
	v_lshrrev_b32_e32 v2, 16, v3
	s_cmp_lt_i32 s9, 1
	s_mov_b32 s8, 0
	s_cbranch_scc1 .LBB176_70
.LBB176_66:
	s_cmp_eq_u32 s9, 1
	s_cbranch_scc0 .LBB176_71
; %bb.67:
	v_bfe_i32 v11, v2, 0, 8
	s_bfe_i32 s11, s10, 0x80000
	s_delay_alu instid0(VALU_DEP_1) | instid1(SALU_CYCLE_1)
	v_min_i16 v11, v11, s11
	s_mov_b32 s11, 0
	s_branch .LBB176_72
.LBB176_68:
	s_bfe_i32 s8, s10, 0x80000
	s_delay_alu instid0(VALU_DEP_1) | instid1(SALU_CYCLE_1)
	v_max_i16 v10, v2, s8
	s_bfe_i32 s8, s0, 0x80000
	s_delay_alu instid0(VALU_DEP_1) | instid1(SALU_CYCLE_1)
	v_min_i16 v10, v10, s8
	s_cbranch_execnz .LBB176_65
.LBB176_69:
	s_bfe_i32 s8, s10, 0x80000
	s_delay_alu instid0(SALU_CYCLE_1)
	v_max_i16 v10, v2, s8
	v_lshrrev_b32_e32 v2, 16, v3
	s_cmp_lt_i32 s9, 1
	s_mov_b32 s8, 0
	s_cbranch_scc0 .LBB176_66
.LBB176_70:
	s_mov_b32 s11, 0
                                        ; implicit-def: $vgpr11
	s_cbranch_execnz .LBB176_73
	s_branch .LBB176_74
.LBB176_71:
	s_mov_b32 s11, -1
                                        ; implicit-def: $vgpr11
.LBB176_72:
	s_branch .LBB176_74
.LBB176_73:
	s_cmp_lg_u32 s9, 0
	s_mov_b32 s8, -1
	s_cselect_b32 s11, -1, 0
.LBB176_74:
	v_bfe_i32 v2, v2, 0, 8
	s_and_not1_b32 vcc_lo, exec_lo, s11
	s_cbranch_vccz .LBB176_79
; %bb.75:
	s_and_not1_b32 vcc_lo, exec_lo, s8
	s_cbranch_vccz .LBB176_80
.LBB176_76:
	v_lshrrev_b32_e32 v2, 24, v3
	s_cmp_lt_i32 s9, 1
	s_mov_b32 s8, 0
	s_cbranch_scc1 .LBB176_81
.LBB176_77:
	s_cmp_eq_u32 s9, 1
	s_cbranch_scc0 .LBB176_82
; %bb.78:
	v_bfe_i32 v3, v2, 0, 8
	s_bfe_i32 s11, s10, 0x80000
	s_delay_alu instid0(VALU_DEP_1) | instid1(SALU_CYCLE_1)
	v_min_i16 v12, v3, s11
	s_mov_b32 s11, 0
	s_branch .LBB176_83
.LBB176_79:
	s_bfe_i32 s8, s10, 0x80000
	s_delay_alu instid0(VALU_DEP_1) | instid1(SALU_CYCLE_1)
	v_max_i16 v11, v2, s8
	s_bfe_i32 s8, s0, 0x80000
	s_delay_alu instid0(VALU_DEP_1) | instid1(SALU_CYCLE_1)
	v_min_i16 v11, v11, s8
	s_cbranch_execnz .LBB176_76
.LBB176_80:
	s_bfe_i32 s8, s10, 0x80000
	s_delay_alu instid0(SALU_CYCLE_1)
	v_max_i16 v11, v2, s8
	v_lshrrev_b32_e32 v2, 24, v3
	s_cmp_lt_i32 s9, 1
	s_mov_b32 s8, 0
	s_cbranch_scc0 .LBB176_77
.LBB176_81:
	s_mov_b32 s11, 0
                                        ; implicit-def: $vgpr12
	s_cbranch_execnz .LBB176_84
	s_branch .LBB176_85
.LBB176_82:
	s_mov_b32 s11, -1
                                        ; implicit-def: $vgpr12
.LBB176_83:
	s_branch .LBB176_85
.LBB176_84:
	s_cmp_lg_u32 s9, 0
	s_mov_b32 s8, -1
	s_cselect_b32 s11, -1, 0
.LBB176_85:
	v_bfe_i32 v2, v2, 0, 8
	s_and_not1_b32 vcc_lo, exec_lo, s11
	s_cbranch_vccz .LBB176_90
; %bb.86:
	s_and_not1_b32 vcc_lo, exec_lo, s8
	s_cbranch_vccz .LBB176_91
.LBB176_87:
	s_cmp_lt_i32 s9, 1
	s_mov_b32 s8, 0
	s_cbranch_scc1 .LBB176_92
.LBB176_88:
	s_cmp_eq_u32 s9, 1
	s_cbranch_scc0 .LBB176_93
; %bb.89:
	v_bfe_i32 v2, v4, 0, 8
	s_bfe_i32 s11, s10, 0x80000
	s_delay_alu instid0(VALU_DEP_1) | instid1(SALU_CYCLE_1)
	v_min_i16 v13, v2, s11
	s_mov_b32 s11, 0
	s_branch .LBB176_94
.LBB176_90:
	s_bfe_i32 s8, s10, 0x80000
	s_delay_alu instid0(VALU_DEP_1) | instid1(SALU_CYCLE_1)
	v_max_i16 v3, v2, s8
	s_bfe_i32 s8, s0, 0x80000
	s_delay_alu instid0(VALU_DEP_1) | instid1(SALU_CYCLE_1)
	v_min_i16 v12, v3, s8
	s_cbranch_execnz .LBB176_87
.LBB176_91:
	s_bfe_i32 s8, s10, 0x80000
	s_delay_alu instid0(SALU_CYCLE_1)
	v_max_i16 v12, v2, s8
	s_cmp_lt_i32 s9, 1
	s_mov_b32 s8, 0
	s_cbranch_scc0 .LBB176_88
.LBB176_92:
	s_mov_b32 s11, 0
                                        ; implicit-def: $vgpr13
	s_cbranch_execnz .LBB176_95
	s_branch .LBB176_96
.LBB176_93:
	s_mov_b32 s11, -1
                                        ; implicit-def: $vgpr13
.LBB176_94:
	s_branch .LBB176_96
.LBB176_95:
	s_cmp_lg_u32 s9, 0
	s_mov_b32 s8, -1
	s_cselect_b32 s11, -1, 0
.LBB176_96:
	v_bfe_i32 v2, v4, 0, 8
	s_and_not1_b32 vcc_lo, exec_lo, s11
	s_cbranch_vccz .LBB176_101
; %bb.97:
	s_and_not1_b32 vcc_lo, exec_lo, s8
	s_cbranch_vccz .LBB176_102
.LBB176_98:
	v_lshrrev_b32_e32 v2, 8, v4
	s_cmp_lt_i32 s9, 1
	s_mov_b32 s8, 0
	s_cbranch_scc1 .LBB176_103
.LBB176_99:
	s_cmp_eq_u32 s9, 1
	s_cbranch_scc0 .LBB176_104
; %bb.100:
	v_bfe_i32 v3, v2, 0, 8
	s_bfe_i32 s11, s10, 0x80000
	s_delay_alu instid0(VALU_DEP_1) | instid1(SALU_CYCLE_1)
	v_min_i16 v14, v3, s11
	s_mov_b32 s11, 0
	s_branch .LBB176_105
.LBB176_101:
	s_bfe_i32 s8, s10, 0x80000
	s_delay_alu instid0(VALU_DEP_1) | instid1(SALU_CYCLE_1)
	v_max_i16 v3, v2, s8
	s_bfe_i32 s8, s0, 0x80000
	s_delay_alu instid0(VALU_DEP_1) | instid1(SALU_CYCLE_1)
	v_min_i16 v13, v3, s8
	s_cbranch_execnz .LBB176_98
.LBB176_102:
	s_bfe_i32 s8, s10, 0x80000
	s_delay_alu instid0(SALU_CYCLE_1)
	v_max_i16 v13, v2, s8
	v_lshrrev_b32_e32 v2, 8, v4
	s_cmp_lt_i32 s9, 1
	s_mov_b32 s8, 0
	s_cbranch_scc0 .LBB176_99
.LBB176_103:
	s_mov_b32 s11, 0
                                        ; implicit-def: $vgpr14
	s_cbranch_execnz .LBB176_106
	s_branch .LBB176_107
.LBB176_104:
	s_mov_b32 s11, -1
                                        ; implicit-def: $vgpr14
.LBB176_105:
	s_branch .LBB176_107
.LBB176_106:
	s_cmp_lg_u32 s9, 0
	s_mov_b32 s8, -1
	s_cselect_b32 s11, -1, 0
.LBB176_107:
	v_bfe_i32 v2, v2, 0, 8
	s_and_not1_b32 vcc_lo, exec_lo, s11
	s_cbranch_vccz .LBB176_112
; %bb.108:
	s_and_not1_b32 vcc_lo, exec_lo, s8
	s_cbranch_vccz .LBB176_113
.LBB176_109:
	v_lshrrev_b32_e32 v2, 16, v4
	s_cmp_lt_i32 s9, 1
	s_mov_b32 s8, 0
	s_cbranch_scc1 .LBB176_114
.LBB176_110:
	s_cmp_eq_u32 s9, 1
	s_cbranch_scc0 .LBB176_115
; %bb.111:
	v_bfe_i32 v3, v2, 0, 8
	s_bfe_i32 s11, s10, 0x80000
	s_delay_alu instid0(VALU_DEP_1) | instid1(SALU_CYCLE_1)
	v_min_i16 v15, v3, s11
	s_mov_b32 s11, 0
	s_branch .LBB176_116
.LBB176_112:
	s_bfe_i32 s8, s10, 0x80000
	s_delay_alu instid0(VALU_DEP_1) | instid1(SALU_CYCLE_1)
	v_max_i16 v3, v2, s8
	s_bfe_i32 s8, s0, 0x80000
	s_delay_alu instid0(VALU_DEP_1) | instid1(SALU_CYCLE_1)
	v_min_i16 v14, v3, s8
	s_cbranch_execnz .LBB176_109
.LBB176_113:
	s_bfe_i32 s8, s10, 0x80000
	s_delay_alu instid0(SALU_CYCLE_1)
	v_max_i16 v14, v2, s8
	v_lshrrev_b32_e32 v2, 16, v4
	s_cmp_lt_i32 s9, 1
	s_mov_b32 s8, 0
	s_cbranch_scc0 .LBB176_110
.LBB176_114:
	s_mov_b32 s11, 0
                                        ; implicit-def: $vgpr15
	s_cbranch_execnz .LBB176_117
	s_branch .LBB176_118
.LBB176_115:
	s_mov_b32 s11, -1
                                        ; implicit-def: $vgpr15
.LBB176_116:
	s_branch .LBB176_118
.LBB176_117:
	s_cmp_lg_u32 s9, 0
	s_mov_b32 s8, -1
	s_cselect_b32 s11, -1, 0
.LBB176_118:
	v_bfe_i32 v2, v2, 0, 8
	s_and_not1_b32 vcc_lo, exec_lo, s11
	s_cbranch_vccz .LBB176_123
; %bb.119:
	s_and_not1_b32 vcc_lo, exec_lo, s8
	s_cbranch_vccz .LBB176_124
.LBB176_120:
	v_lshrrev_b64 v[2:3], 24, v[4:5]
	s_cmp_lt_i32 s9, 1
	s_mov_b32 s8, 0
	s_cbranch_scc1 .LBB176_125
.LBB176_121:
	s_cmp_eq_u32 s9, 1
	s_cbranch_scc0 .LBB176_126
; %bb.122:
	s_delay_alu instid0(VALU_DEP_1)
	v_bfe_i32 v3, v2, 0, 8
	s_bfe_i32 s11, s10, 0x80000
	s_delay_alu instid0(VALU_DEP_1) | instid1(SALU_CYCLE_1)
	v_min_i16 v3, v3, s11
	s_mov_b32 s11, 0
	s_branch .LBB176_127
.LBB176_123:
	s_bfe_i32 s8, s10, 0x80000
	s_delay_alu instid0(VALU_DEP_1) | instid1(SALU_CYCLE_1)
	v_max_i16 v3, v2, s8
	s_bfe_i32 s8, s0, 0x80000
	s_delay_alu instid0(VALU_DEP_1) | instid1(SALU_CYCLE_1)
	v_min_i16 v15, v3, s8
	s_cbranch_execnz .LBB176_120
.LBB176_124:
	s_bfe_i32 s8, s10, 0x80000
	s_delay_alu instid0(SALU_CYCLE_1)
	v_max_i16 v15, v2, s8
	v_lshrrev_b64 v[2:3], 24, v[4:5]
	s_cmp_lt_i32 s9, 1
	s_mov_b32 s8, 0
	s_cbranch_scc0 .LBB176_121
.LBB176_125:
	s_mov_b32 s11, 0
                                        ; implicit-def: $vgpr3
	s_cbranch_execnz .LBB176_128
	s_branch .LBB176_129
.LBB176_126:
	s_mov_b32 s11, -1
                                        ; implicit-def: $vgpr3
.LBB176_127:
	s_branch .LBB176_129
.LBB176_128:
	s_cmp_lg_u32 s9, 0
	s_mov_b32 s8, -1
	s_cselect_b32 s11, -1, 0
.LBB176_129:
	v_bfe_i32 v2, v2, 0, 8
	s_and_not1_b32 vcc_lo, exec_lo, s11
	s_cbranch_vccz .LBB176_134
; %bb.130:
	s_and_not1_b32 vcc_lo, exec_lo, s8
	s_cbranch_vccz .LBB176_135
.LBB176_131:
	s_cmp_lt_i32 s9, 1
	s_mov_b32 s8, 0
	s_cbranch_scc1 .LBB176_136
.LBB176_132:
	s_cmp_eq_u32 s9, 1
	s_cbranch_scc0 .LBB176_137
; %bb.133:
	v_bfe_i32 v2, v5, 0, 8
	s_bfe_i32 s11, s10, 0x80000
	s_delay_alu instid0(VALU_DEP_1) | instid1(SALU_CYCLE_1)
	v_min_i16 v2, v2, s11
	s_mov_b32 s11, 0
	s_branch .LBB176_138
.LBB176_134:
	s_bfe_i32 s8, s10, 0x80000
	s_delay_alu instid0(VALU_DEP_1) | instid1(SALU_CYCLE_1)
	v_max_i16 v3, v2, s8
	s_bfe_i32 s8, s0, 0x80000
	s_delay_alu instid0(VALU_DEP_1) | instid1(SALU_CYCLE_1)
	v_min_i16 v3, v3, s8
	s_cbranch_execnz .LBB176_131
.LBB176_135:
	s_bfe_i32 s8, s10, 0x80000
	s_delay_alu instid0(SALU_CYCLE_1)
	v_max_i16 v3, v2, s8
	s_cmp_lt_i32 s9, 1
	s_mov_b32 s8, 0
	s_cbranch_scc0 .LBB176_132
.LBB176_136:
	s_mov_b32 s11, 0
                                        ; implicit-def: $vgpr2
	s_cbranch_execnz .LBB176_139
	s_branch .LBB176_140
.LBB176_137:
	s_mov_b32 s11, -1
                                        ; implicit-def: $vgpr2
.LBB176_138:
	s_branch .LBB176_140
.LBB176_139:
	s_cmp_lg_u32 s9, 0
	s_mov_b32 s8, -1
	s_cselect_b32 s11, -1, 0
.LBB176_140:
	v_bfe_i32 v4, v5, 0, 8
	s_and_not1_b32 vcc_lo, exec_lo, s11
	s_cbranch_vccz .LBB176_145
; %bb.141:
	s_and_not1_b32 vcc_lo, exec_lo, s8
	s_cbranch_vccz .LBB176_146
.LBB176_142:
	v_lshrrev_b32_e32 v16, 8, v5
	s_cmp_lt_i32 s9, 1
	s_mov_b32 s8, 0
	s_cbranch_scc1 .LBB176_147
.LBB176_143:
	s_cmp_eq_u32 s9, 1
	s_cbranch_scc0 .LBB176_148
; %bb.144:
	v_bfe_i32 v4, v16, 0, 8
	s_bfe_i32 s11, s10, 0x80000
	s_delay_alu instid0(VALU_DEP_1) | instid1(SALU_CYCLE_1)
	v_min_i16 v4, v4, s11
	s_mov_b32 s11, 0
	s_branch .LBB176_149
.LBB176_145:
	s_bfe_i32 s8, s10, 0x80000
	s_delay_alu instid0(VALU_DEP_1) | instid1(SALU_CYCLE_1)
	v_max_i16 v2, v4, s8
	s_bfe_i32 s8, s0, 0x80000
	s_delay_alu instid0(VALU_DEP_1) | instid1(SALU_CYCLE_1)
	v_min_i16 v2, v2, s8
	s_cbranch_execnz .LBB176_142
.LBB176_146:
	s_bfe_i32 s8, s10, 0x80000
	s_delay_alu instid0(SALU_CYCLE_1)
	v_max_i16 v2, v4, s8
	v_lshrrev_b32_e32 v16, 8, v5
	s_cmp_lt_i32 s9, 1
	s_mov_b32 s8, 0
	s_cbranch_scc0 .LBB176_143
.LBB176_147:
	s_mov_b32 s11, 0
                                        ; implicit-def: $vgpr4
	s_cbranch_execnz .LBB176_150
	s_branch .LBB176_151
.LBB176_148:
	s_mov_b32 s11, -1
                                        ; implicit-def: $vgpr4
.LBB176_149:
	s_branch .LBB176_151
.LBB176_150:
	s_cmp_lg_u32 s9, 0
	s_mov_b32 s8, -1
	s_cselect_b32 s11, -1, 0
.LBB176_151:
	v_bfe_i32 v16, v16, 0, 8
	s_and_not1_b32 vcc_lo, exec_lo, s11
	s_cbranch_vccz .LBB176_156
; %bb.152:
	s_and_not1_b32 vcc_lo, exec_lo, s8
	s_cbranch_vccz .LBB176_157
.LBB176_153:
	v_lshrrev_b32_e32 v17, 16, v5
	s_cmp_lt_i32 s9, 1
	s_mov_b32 s8, 0
	s_cbranch_scc1 .LBB176_158
.LBB176_154:
	s_cmp_eq_u32 s9, 1
	s_cbranch_scc0 .LBB176_159
; %bb.155:
	v_bfe_i32 v16, v17, 0, 8
	s_bfe_i32 s11, s10, 0x80000
	s_delay_alu instid0(VALU_DEP_1) | instid1(SALU_CYCLE_1)
	v_min_i16 v16, v16, s11
	s_mov_b32 s11, 0
	s_branch .LBB176_160
.LBB176_156:
	s_bfe_i32 s8, s10, 0x80000
	s_delay_alu instid0(VALU_DEP_1) | instid1(SALU_CYCLE_1)
	v_max_i16 v4, v16, s8
	s_bfe_i32 s8, s0, 0x80000
	s_delay_alu instid0(VALU_DEP_1) | instid1(SALU_CYCLE_1)
	v_min_i16 v4, v4, s8
	s_cbranch_execnz .LBB176_153
.LBB176_157:
	s_bfe_i32 s8, s10, 0x80000
	s_delay_alu instid0(SALU_CYCLE_1)
	v_max_i16 v4, v16, s8
	v_lshrrev_b32_e32 v17, 16, v5
	s_cmp_lt_i32 s9, 1
	s_mov_b32 s8, 0
	s_cbranch_scc0 .LBB176_154
.LBB176_158:
	s_mov_b32 s11, 0
                                        ; implicit-def: $vgpr16
	s_cbranch_execnz .LBB176_161
	s_branch .LBB176_162
.LBB176_159:
	s_mov_b32 s11, -1
                                        ; implicit-def: $vgpr16
.LBB176_160:
	s_branch .LBB176_162
.LBB176_161:
	s_cmp_lg_u32 s9, 0
	s_mov_b32 s8, -1
	s_cselect_b32 s11, -1, 0
.LBB176_162:
	v_bfe_i32 v17, v17, 0, 8
	s_and_not1_b32 vcc_lo, exec_lo, s11
	s_cbranch_vccz .LBB176_167
; %bb.163:
	s_and_not1_b32 vcc_lo, exec_lo, s8
	s_cbranch_vccz .LBB176_168
.LBB176_164:
	v_lshrrev_b32_e32 v17, 24, v5
	s_cmp_lt_i32 s9, 1
	s_mov_b32 s8, 0
	s_cbranch_scc1 .LBB176_169
.LBB176_165:
	s_cmp_eq_u32 s9, 1
	s_cbranch_scc0 .LBB176_170
; %bb.166:
	v_bfe_i32 v5, v17, 0, 8
	s_bfe_i32 s11, s10, 0x80000
	s_delay_alu instid0(VALU_DEP_1) | instid1(SALU_CYCLE_1)
	v_min_i16 v5, v5, s11
	s_mov_b32 s11, 0
	s_branch .LBB176_171
.LBB176_167:
	s_bfe_i32 s8, s10, 0x80000
	s_delay_alu instid0(VALU_DEP_1) | instid1(SALU_CYCLE_1)
	v_max_i16 v16, v17, s8
	s_bfe_i32 s8, s0, 0x80000
	s_delay_alu instid0(VALU_DEP_1) | instid1(SALU_CYCLE_1)
	v_min_i16 v16, v16, s8
	s_cbranch_execnz .LBB176_164
.LBB176_168:
	s_bfe_i32 s8, s10, 0x80000
	s_delay_alu instid0(SALU_CYCLE_1)
	v_max_i16 v16, v17, s8
	v_lshrrev_b32_e32 v17, 24, v5
	s_cmp_lt_i32 s9, 1
	s_mov_b32 s8, 0
	s_cbranch_scc0 .LBB176_165
.LBB176_169:
	s_mov_b32 s11, 0
                                        ; implicit-def: $vgpr5
	s_cbranch_execnz .LBB176_172
	s_branch .LBB176_173
.LBB176_170:
	s_mov_b32 s11, -1
                                        ; implicit-def: $vgpr5
.LBB176_171:
	s_branch .LBB176_173
.LBB176_172:
	s_cmp_lg_u32 s9, 0
	s_mov_b32 s8, -1
	s_cselect_b32 s11, -1, 0
.LBB176_173:
	v_bfe_i32 v17, v17, 0, 8
	s_and_not1_b32 vcc_lo, exec_lo, s11
	s_cbranch_vccz .LBB176_214
; %bb.174:
	s_and_not1_b32 vcc_lo, exec_lo, s8
	s_cbranch_vccnz .LBB176_176
.LBB176_175:
	s_bfe_i32 s0, s10, 0x80000
	s_delay_alu instid0(SALU_CYCLE_1)
	v_max_i16 v5, v17, s0
.LBB176_176:
	v_perm_b32 v2, v2, v4, 0xc0c0004
	s_delay_alu instid0(VALU_DEP_2)
	v_perm_b32 v4, v16, v5, 0xc0c0004
	v_perm_b32 v13, v13, v14, 0xc0c0004
	v_perm_b32 v3, v15, v3, 0xc0c0004
	v_perm_b32 v6, v6, v10, 0xc0c0004
	v_perm_b32 v10, v11, v12, 0xc0c0004
	v_perm_b32 v1, v1, v8, 0xc0c0004
	v_perm_b32 v7, v9, v7, 0xc0c0004
	v_lshl_or_b32 v5, v4, 16, v2
	v_lshl_or_b32 v4, v3, 16, v13
	v_lshl_or_b32 v3, v10, 16, v6
	s_add_nc_u64 s[12:13], s[4:5], s[2:3]
	v_lshl_or_b32 v2, v7, 16, v1
	s_mov_b32 s3, 0
	global_store_b128 v0, v[2:5], s[12:13] scale_offset
.LBB176_177:
	s_and_b32 vcc_lo, exec_lo, s3
	s_cbranch_vccz .LBB176_436
; %bb.178:
	v_cmp_gt_i32_e64 s0, s1, v0
	s_wait_xcnt 0x0
	v_dual_mov_b32 v2, 0 :: v_dual_bitop2_b32 v8, s2, v0 bitop3:0x54
	v_or_b32_e32 v9, 0x100, v0
	v_dual_mov_b32 v10, 0 :: v_dual_mov_b32 v11, 0
	v_dual_mov_b32 v12, 0 :: v_dual_mov_b32 v13, 0
	;; [unrolled: 1-line block ×8, first 2 shown]
	s_and_saveexec_b32 s3, s0
	s_cbranch_execz .LBB176_210
; %bb.179:
	global_load_u8 v23, v8, s[6:7]
	v_or_b32_e32 v1, 0x100, v0
	v_dual_mov_b32 v22, 0 :: v_dual_mov_b32 v5, 0
	v_dual_mov_b32 v6, 0 :: v_dual_mov_b32 v21, 0
	;; [unrolled: 1-line block ×7, first 2 shown]
	v_mov_b32_e32 v10, 0
	s_mov_b32 s8, exec_lo
	s_wait_xcnt 0x0
	v_cmpx_gt_u32_e64 s1, v1
	s_cbranch_execz .LBB176_209
; %bb.180:
	v_dual_mov_b32 v5, 0 :: v_dual_add_nc_u32 v4, s2, v0
	v_or_b32_e32 v1, 0x200, v0
	v_dual_mov_b32 v6, 0 :: v_dual_mov_b32 v21, 0
	global_load_u8 v22, v4, s[6:7] offset:256
	v_dual_mov_b32 v20, 0 :: v_dual_mov_b32 v19, 0
	v_dual_mov_b32 v18, 0 :: v_dual_mov_b32 v17, 0
	;; [unrolled: 1-line block ×5, first 2 shown]
	v_mov_b32_e32 v10, 0
	s_mov_b32 s11, exec_lo
	s_wait_xcnt 0x0
	v_cmpx_gt_u32_e64 s1, v1
	s_cbranch_execz .LBB176_208
; %bb.181:
	v_add_nc_u64_e32 v[6:7], s[6:7], v[4:5]
	v_or_b32_e32 v3, 0x300, v0
	v_dual_mov_b32 v21, 0 :: v_dual_mov_b32 v20, 0
	v_dual_mov_b32 v19, 0 :: v_dual_mov_b32 v18, 0
	;; [unrolled: 1-line block ×3, first 2 shown]
	global_load_u8 v1, v[6:7], off offset:512
	v_dual_mov_b32 v15, 0 :: v_dual_mov_b32 v14, 0
	v_dual_mov_b32 v13, 0 :: v_dual_mov_b32 v12, 0
	;; [unrolled: 1-line block ×3, first 2 shown]
	s_mov_b32 s6, exec_lo
	s_wait_xcnt 0x0
	v_cmpx_gt_u32_e64 s1, v3
	s_cbranch_execz .LBB176_207
; %bb.182:
	global_load_u8 v5, v[6:7], off offset:768
	v_or_b32_e32 v3, 0x400, v0
	v_dual_mov_b32 v21, 0 :: v_dual_mov_b32 v20, 0
	v_dual_mov_b32 v19, 0 :: v_dual_mov_b32 v18, 0
	v_dual_mov_b32 v17, 0 :: v_dual_mov_b32 v16, 0
	v_dual_mov_b32 v15, 0 :: v_dual_mov_b32 v14, 0
	v_dual_mov_b32 v13, 0 :: v_dual_mov_b32 v12, 0
	v_dual_mov_b32 v11, 0 :: v_dual_mov_b32 v10, 0
	s_mov_b32 s7, exec_lo
	s_wait_xcnt 0x0
	v_cmpx_gt_u32_e64 s1, v3
	s_cbranch_execz .LBB176_206
; %bb.183:
	global_load_u8 v21, v[6:7], off offset:1024
	v_or_b32_e32 v3, 0x500, v0
	v_dual_mov_b32 v20, 0 :: v_dual_mov_b32 v19, 0
	v_dual_mov_b32 v18, 0 :: v_dual_mov_b32 v17, 0
	;; [unrolled: 1-line block ×5, first 2 shown]
	v_mov_b32_e32 v10, 0
	s_mov_b32 s12, exec_lo
	s_wait_xcnt 0x0
	v_cmpx_gt_u32_e64 s1, v3
	s_cbranch_execz .LBB176_205
; %bb.184:
	global_load_u8 v20, v[6:7], off offset:1280
	v_or_b32_e32 v3, 0x600, v0
	v_dual_mov_b32 v19, 0 :: v_dual_mov_b32 v18, 0
	v_dual_mov_b32 v17, 0 :: v_dual_mov_b32 v16, 0
	;; [unrolled: 1-line block ×5, first 2 shown]
	s_mov_b32 s13, exec_lo
	s_wait_xcnt 0x0
	v_cmpx_gt_u32_e64 s1, v3
	s_cbranch_execz .LBB176_204
; %bb.185:
	global_load_u8 v19, v[6:7], off offset:1536
	v_or_b32_e32 v3, 0x700, v0
	v_dual_mov_b32 v18, 0 :: v_dual_mov_b32 v17, 0
	v_dual_mov_b32 v16, 0 :: v_dual_mov_b32 v15, 0
	;; [unrolled: 1-line block ×4, first 2 shown]
	v_mov_b32_e32 v10, 0
	s_mov_b32 s14, exec_lo
	s_wait_xcnt 0x0
	v_cmpx_gt_u32_e64 s1, v3
	s_cbranch_execz .LBB176_203
; %bb.186:
	global_load_u8 v18, v[6:7], off offset:1792
	v_or_b32_e32 v3, 0x800, v0
	v_dual_mov_b32 v17, 0 :: v_dual_mov_b32 v16, 0
	v_dual_mov_b32 v15, 0 :: v_dual_mov_b32 v14, 0
	;; [unrolled: 1-line block ×4, first 2 shown]
	s_mov_b32 s15, exec_lo
	s_wait_xcnt 0x0
	v_cmpx_gt_u32_e64 s1, v3
	s_cbranch_execz .LBB176_202
; %bb.187:
	global_load_u8 v17, v[6:7], off offset:2048
	v_or_b32_e32 v3, 0x900, v0
	v_dual_mov_b32 v16, 0 :: v_dual_mov_b32 v15, 0
	v_dual_mov_b32 v14, 0 :: v_dual_mov_b32 v13, 0
	;; [unrolled: 1-line block ×3, first 2 shown]
	v_mov_b32_e32 v10, 0
	s_mov_b32 s16, exec_lo
	s_wait_xcnt 0x0
	v_cmpx_gt_u32_e64 s1, v3
	s_cbranch_execz .LBB176_201
; %bb.188:
	global_load_u8 v16, v[6:7], off offset:2304
	v_or_b32_e32 v3, 0xa00, v0
	v_dual_mov_b32 v15, 0 :: v_dual_mov_b32 v14, 0
	v_dual_mov_b32 v13, 0 :: v_dual_mov_b32 v12, 0
	;; [unrolled: 1-line block ×3, first 2 shown]
	s_mov_b32 s17, exec_lo
	s_wait_xcnt 0x0
	v_cmpx_gt_u32_e64 s1, v3
	s_cbranch_execz .LBB176_200
; %bb.189:
	global_load_u8 v15, v[6:7], off offset:2560
	v_or_b32_e32 v3, 0xb00, v0
	v_dual_mov_b32 v14, 0 :: v_dual_mov_b32 v13, 0
	v_dual_mov_b32 v12, 0 :: v_dual_mov_b32 v11, 0
	v_mov_b32_e32 v10, 0
	s_mov_b32 s18, exec_lo
	s_wait_xcnt 0x0
	v_cmpx_gt_u32_e64 s1, v3
	s_cbranch_execz .LBB176_199
; %bb.190:
	global_load_u8 v14, v[6:7], off offset:2816
	v_or_b32_e32 v3, 0xc00, v0
	v_dual_mov_b32 v13, 0 :: v_dual_mov_b32 v12, 0
	v_dual_mov_b32 v11, 0 :: v_dual_mov_b32 v10, 0
	s_mov_b32 s19, exec_lo
	s_wait_xcnt 0x0
	v_cmpx_gt_u32_e64 s1, v3
	s_cbranch_execz .LBB176_198
; %bb.191:
	global_load_u8 v13, v[6:7], off offset:3072
	v_or_b32_e32 v3, 0xd00, v0
	v_dual_mov_b32 v12, 0 :: v_dual_mov_b32 v11, 0
	v_mov_b32_e32 v10, 0
	s_mov_b32 s20, exec_lo
	s_wait_xcnt 0x0
	v_cmpx_gt_u32_e64 s1, v3
	s_cbranch_execz .LBB176_197
; %bb.192:
	global_load_u8 v12, v[6:7], off offset:3328
	v_or_b32_e32 v3, 0xe00, v0
	v_dual_mov_b32 v11, 0 :: v_dual_mov_b32 v10, 0
	s_mov_b32 s21, exec_lo
	s_wait_xcnt 0x0
	s_delay_alu instid0(VALU_DEP_2)
	v_cmpx_gt_u32_e64 s1, v3
	s_cbranch_execz .LBB176_196
; %bb.193:
	global_load_u8 v11, v[6:7], off offset:3584
	v_or_b32_e32 v3, 0xf00, v0
	v_mov_b32_e32 v10, 0
	s_mov_b32 s22, exec_lo
	s_wait_xcnt 0x0
	s_delay_alu instid0(VALU_DEP_2)
	v_cmpx_gt_u32_e64 s1, v3
	s_cbranch_execz .LBB176_195
; %bb.194:
	global_load_u8 v10, v[6:7], off offset:3840
.LBB176_195:
	s_wait_xcnt 0x0
	s_or_b32 exec_lo, exec_lo, s22
.LBB176_196:
	s_delay_alu instid0(SALU_CYCLE_1)
	s_or_b32 exec_lo, exec_lo, s21
.LBB176_197:
	s_delay_alu instid0(SALU_CYCLE_1)
	s_or_b32 exec_lo, exec_lo, s20
.LBB176_198:
	s_delay_alu instid0(SALU_CYCLE_1)
	s_or_b32 exec_lo, exec_lo, s19
.LBB176_199:
	s_delay_alu instid0(SALU_CYCLE_1)
	s_or_b32 exec_lo, exec_lo, s18
.LBB176_200:
	s_delay_alu instid0(SALU_CYCLE_1)
	s_or_b32 exec_lo, exec_lo, s17
.LBB176_201:
	s_delay_alu instid0(SALU_CYCLE_1)
	s_or_b32 exec_lo, exec_lo, s16
.LBB176_202:
	s_delay_alu instid0(SALU_CYCLE_1)
	s_or_b32 exec_lo, exec_lo, s15
.LBB176_203:
	s_delay_alu instid0(SALU_CYCLE_1)
	s_or_b32 exec_lo, exec_lo, s14
.LBB176_204:
	s_delay_alu instid0(SALU_CYCLE_1)
	s_or_b32 exec_lo, exec_lo, s13
.LBB176_205:
	s_delay_alu instid0(SALU_CYCLE_1)
	s_or_b32 exec_lo, exec_lo, s12
.LBB176_206:
	s_delay_alu instid0(SALU_CYCLE_1)
	s_or_b32 exec_lo, exec_lo, s7
.LBB176_207:
	s_delay_alu instid0(SALU_CYCLE_1)
	s_or_b32 exec_lo, exec_lo, s6
	s_wait_loadcnt 0x0
	v_dual_mov_b32 v6, v5 :: v_dual_mov_b32 v5, v1
.LBB176_208:
	s_or_b32 exec_lo, exec_lo, s11
.LBB176_209:
	s_delay_alu instid0(SALU_CYCLE_1)
	s_or_b32 exec_lo, exec_lo, s8
.LBB176_210:
	s_delay_alu instid0(SALU_CYCLE_1)
	s_or_b32 exec_lo, exec_lo, s3
	v_dual_mov_b32 v1, v2 :: v_dual_mov_b32 v4, v2
	v_mov_b32_e32 v3, v2
	s_lshr_b32 s3, s10, 8
	s_and_saveexec_b32 s6, s0
	s_cbranch_execz .LBB176_223
; %bb.211:
	s_cmp_lt_i32 s9, 1
	s_mov_b32 s7, 0
	s_cbranch_scc1 .LBB176_215
; %bb.212:
	s_cmp_eq_u32 s9, 1
	s_cbranch_scc0 .LBB176_216
; %bb.213:
	s_wait_loadcnt 0x0
	v_bfe_i32 v1, v23, 0, 8
	s_bfe_i32 s8, s10, 0x80000
	s_delay_alu instid0(VALU_DEP_1) | instid1(SALU_CYCLE_1)
	v_min_i16 v1, v1, s8
	s_mov_b32 s8, 0
	s_branch .LBB176_217
.LBB176_214:
	s_bfe_i32 s8, s10, 0x80000
	s_bfe_i32 s0, s0, 0x80000
	v_max_i16 v5, v17, s8
	s_delay_alu instid0(VALU_DEP_1)
	v_min_i16 v5, v5, s0
	s_cbranch_execz .LBB176_175
	s_branch .LBB176_176
.LBB176_215:
	s_mov_b32 s8, 0
                                        ; implicit-def: $vgpr1
	s_cbranch_execnz .LBB176_218
	s_branch .LBB176_219
.LBB176_216:
	s_mov_b32 s8, -1
                                        ; implicit-def: $vgpr1
.LBB176_217:
	s_branch .LBB176_219
.LBB176_218:
	s_cmp_lg_u32 s9, 0
	s_mov_b32 s7, -1
	s_cselect_b32 s8, -1, 0
.LBB176_219:
	s_wait_loadcnt 0x0
	v_bfe_i32 v2, v23, 0, 8
	s_and_not1_b32 vcc_lo, exec_lo, s8
	s_cbranch_vccz .LBB176_227
; %bb.220:
	s_and_not1_b32 vcc_lo, exec_lo, s7
	s_cbranch_vccnz .LBB176_222
.LBB176_221:
	s_bfe_i32 s7, s10, 0x80000
	s_delay_alu instid0(SALU_CYCLE_1)
	v_max_i16 v1, v2, s7
.LBB176_222:
	s_delay_alu instid0(VALU_DEP_1) | instskip(SKIP_1) | instid1(VALU_DEP_2)
	v_and_b32_e32 v2, 0xff, v1
	v_mov_b32_e32 v1, 0
	v_and_b32_e32 v2, 0xffff, v2
	s_delay_alu instid0(VALU_DEP_2)
	v_dual_mov_b32 v4, v1 :: v_dual_mov_b32 v3, v1
.LBB176_223:
	s_or_b32 exec_lo, exec_lo, s6
	s_delay_alu instid0(SALU_CYCLE_1)
	s_mov_b32 s6, exec_lo
	v_cmpx_gt_i32_e64 s1, v9
	s_cbranch_execz .LBB176_236
; %bb.224:
	s_cmp_lt_i32 s9, 1
	s_mov_b32 s7, 0
	s_cbranch_scc1 .LBB176_228
; %bb.225:
	s_cmp_eq_u32 s9, 1
	s_cbranch_scc0 .LBB176_229
; %bb.226:
	s_wait_loadcnt 0x0
	v_bfe_i32 v7, v22, 0, 8
	s_bfe_i32 s8, s10, 0x80000
	s_delay_alu instid0(VALU_DEP_1) | instid1(SALU_CYCLE_1)
	v_min_i16 v7, v7, s8
	s_mov_b32 s8, 0
	s_branch .LBB176_230
.LBB176_227:
	s_bfe_i32 s7, s10, 0x80000
	s_delay_alu instid0(VALU_DEP_1) | instid1(SALU_CYCLE_1)
	v_max_i16 v1, v2, s7
	s_bfe_i32 s7, s3, 0x80000
	s_delay_alu instid0(VALU_DEP_1) | instid1(SALU_CYCLE_1)
	v_min_i16 v1, v1, s7
	s_cbranch_execz .LBB176_221
	s_branch .LBB176_222
.LBB176_228:
	s_mov_b32 s8, 0
                                        ; implicit-def: $vgpr7
	s_cbranch_execnz .LBB176_231
	s_branch .LBB176_232
.LBB176_229:
	s_mov_b32 s8, -1
                                        ; implicit-def: $vgpr7
.LBB176_230:
	s_branch .LBB176_232
.LBB176_231:
	s_cmp_lg_u32 s9, 0
	s_mov_b32 s7, -1
	s_cselect_b32 s8, -1, 0
.LBB176_232:
	s_wait_loadcnt 0x0
	v_bfe_i32 v22, v22, 0, 8
	s_and_not1_b32 vcc_lo, exec_lo, s8
	s_cbranch_vccz .LBB176_240
; %bb.233:
	s_and_not1_b32 vcc_lo, exec_lo, s7
	s_cbranch_vccnz .LBB176_235
.LBB176_234:
	s_bfe_i32 s7, s10, 0x80000
	s_delay_alu instid0(SALU_CYCLE_1)
	v_max_i16 v7, v22, s7
.LBB176_235:
	s_delay_alu instid0(VALU_DEP_1)
	v_perm_b32 v2, v2, v7, 0x7060004
.LBB176_236:
	s_or_b32 exec_lo, exec_lo, s6
	v_or_b32_e32 v7, 0x200, v0
	s_mov_b32 s6, exec_lo
	s_delay_alu instid0(VALU_DEP_1)
	v_cmpx_gt_i32_e64 s1, v7
	s_cbranch_execz .LBB176_249
; %bb.237:
	s_cmp_lt_i32 s9, 1
	s_mov_b32 s7, 0
	s_cbranch_scc1 .LBB176_241
; %bb.238:
	s_cmp_eq_u32 s9, 1
	s_cbranch_scc0 .LBB176_242
; %bb.239:
	v_bfe_i32 v7, v5, 0, 8
	s_bfe_i32 s8, s10, 0x80000
	s_delay_alu instid0(VALU_DEP_1) | instid1(SALU_CYCLE_1)
	v_min_i16 v7, v7, s8
	s_mov_b32 s8, 0
	s_branch .LBB176_243
.LBB176_240:
	s_bfe_i32 s7, s10, 0x80000
	s_delay_alu instid0(VALU_DEP_1) | instid1(SALU_CYCLE_1)
	v_max_i16 v7, v22, s7
	s_bfe_i32 s7, s3, 0x80000
	s_delay_alu instid0(VALU_DEP_1) | instid1(SALU_CYCLE_1)
	v_min_i16 v7, v7, s7
	s_cbranch_execz .LBB176_234
	s_branch .LBB176_235
.LBB176_241:
	s_mov_b32 s8, 0
                                        ; implicit-def: $vgpr7
	s_cbranch_execnz .LBB176_244
	s_branch .LBB176_245
.LBB176_242:
	s_mov_b32 s8, -1
                                        ; implicit-def: $vgpr7
.LBB176_243:
	s_branch .LBB176_245
.LBB176_244:
	s_cmp_lg_u32 s9, 0
	s_mov_b32 s7, -1
	s_cselect_b32 s8, -1, 0
.LBB176_245:
	v_bfe_i32 v5, v5, 0, 8
	s_and_not1_b32 vcc_lo, exec_lo, s8
	s_cbranch_vccz .LBB176_253
; %bb.246:
	s_and_not1_b32 vcc_lo, exec_lo, s7
	s_cbranch_vccnz .LBB176_248
.LBB176_247:
	s_bfe_i32 s7, s10, 0x80000
	s_delay_alu instid0(SALU_CYCLE_1)
	v_max_i16 v7, v5, s7
.LBB176_248:
	s_delay_alu instid0(VALU_DEP_1)
	v_perm_b32 v2, v2, v7, 0x7000504
.LBB176_249:
	s_or_b32 exec_lo, exec_lo, s6
	v_or_b32_e32 v5, 0x300, v0
	s_mov_b32 s6, exec_lo
	s_delay_alu instid0(VALU_DEP_1)
	v_cmpx_gt_i32_e64 s1, v5
	s_cbranch_execz .LBB176_262
; %bb.250:
	s_cmp_lt_i32 s9, 1
	s_mov_b32 s7, 0
	s_cbranch_scc1 .LBB176_254
; %bb.251:
	s_cmp_eq_u32 s9, 1
	s_cbranch_scc0 .LBB176_255
; %bb.252:
	v_bfe_i32 v5, v6, 0, 8
	s_bfe_i32 s8, s10, 0x80000
	s_delay_alu instid0(VALU_DEP_1) | instid1(SALU_CYCLE_1)
	v_min_i16 v5, v5, s8
	s_mov_b32 s8, 0
	s_branch .LBB176_256
.LBB176_253:
	s_bfe_i32 s7, s10, 0x80000
	s_delay_alu instid0(VALU_DEP_1) | instid1(SALU_CYCLE_1)
	v_max_i16 v7, v5, s7
	s_bfe_i32 s7, s3, 0x80000
	s_delay_alu instid0(VALU_DEP_1) | instid1(SALU_CYCLE_1)
	v_min_i16 v7, v7, s7
	s_cbranch_execz .LBB176_247
	s_branch .LBB176_248
.LBB176_254:
	s_mov_b32 s8, 0
                                        ; implicit-def: $vgpr5
	s_cbranch_execnz .LBB176_257
	s_branch .LBB176_258
.LBB176_255:
	s_mov_b32 s8, -1
                                        ; implicit-def: $vgpr5
.LBB176_256:
	s_branch .LBB176_258
.LBB176_257:
	s_cmp_lg_u32 s9, 0
	s_mov_b32 s7, -1
	s_cselect_b32 s8, -1, 0
.LBB176_258:
	v_bfe_i32 v6, v6, 0, 8
	s_and_not1_b32 vcc_lo, exec_lo, s8
	s_cbranch_vccz .LBB176_266
; %bb.259:
	s_and_not1_b32 vcc_lo, exec_lo, s7
	s_cbranch_vccnz .LBB176_261
.LBB176_260:
	s_bfe_i32 s7, s10, 0x80000
	s_delay_alu instid0(SALU_CYCLE_1)
	v_max_i16 v5, v6, s7
.LBB176_261:
	s_delay_alu instid0(VALU_DEP_1)
	v_perm_b32 v2, v2, v5, 0x60504
.LBB176_262:
	s_or_b32 exec_lo, exec_lo, s6
	v_or_b32_e32 v5, 0x400, v0
	s_mov_b32 s6, exec_lo
	s_delay_alu instid0(VALU_DEP_1)
	v_cmpx_gt_i32_e64 s1, v5
	s_cbranch_execz .LBB176_275
; %bb.263:
	s_cmp_lt_i32 s9, 1
	s_mov_b32 s7, 0
	s_cbranch_scc1 .LBB176_267
; %bb.264:
	s_cmp_eq_u32 s9, 1
	s_cbranch_scc0 .LBB176_268
; %bb.265:
	v_bfe_i32 v5, v21, 0, 8
	s_bfe_i32 s8, s10, 0x80000
	s_delay_alu instid0(VALU_DEP_1) | instid1(SALU_CYCLE_1)
	v_min_i16 v5, v5, s8
	s_mov_b32 s8, 0
	s_branch .LBB176_269
.LBB176_266:
	s_bfe_i32 s7, s10, 0x80000
	s_delay_alu instid0(VALU_DEP_1) | instid1(SALU_CYCLE_1)
	v_max_i16 v5, v6, s7
	s_bfe_i32 s7, s3, 0x80000
	s_delay_alu instid0(VALU_DEP_1) | instid1(SALU_CYCLE_1)
	v_min_i16 v5, v5, s7
	s_cbranch_execz .LBB176_260
	s_branch .LBB176_261
.LBB176_267:
	s_mov_b32 s8, 0
                                        ; implicit-def: $vgpr5
	s_cbranch_execnz .LBB176_270
	s_branch .LBB176_271
.LBB176_268:
	s_mov_b32 s8, -1
                                        ; implicit-def: $vgpr5
.LBB176_269:
	s_branch .LBB176_271
.LBB176_270:
	s_cmp_lg_u32 s9, 0
	s_mov_b32 s7, -1
	s_cselect_b32 s8, -1, 0
.LBB176_271:
	v_bfe_i32 v6, v21, 0, 8
	s_and_not1_b32 vcc_lo, exec_lo, s8
	s_cbranch_vccz .LBB176_279
; %bb.272:
	s_and_not1_b32 vcc_lo, exec_lo, s7
	s_cbranch_vccnz .LBB176_274
.LBB176_273:
	s_bfe_i32 s7, s10, 0x80000
	s_delay_alu instid0(SALU_CYCLE_1)
	v_max_i16 v5, v6, s7
.LBB176_274:
	s_delay_alu instid0(VALU_DEP_1)
	v_perm_b32 v1, v5, v1, 0x3020104
.LBB176_275:
	s_or_b32 exec_lo, exec_lo, s6
	v_or_b32_e32 v5, 0x500, v0
	s_mov_b32 s6, exec_lo
	s_delay_alu instid0(VALU_DEP_1)
	v_cmpx_gt_i32_e64 s1, v5
	s_cbranch_execz .LBB176_288
; %bb.276:
	s_cmp_lt_i32 s9, 1
	s_mov_b32 s7, 0
	s_cbranch_scc1 .LBB176_280
; %bb.277:
	s_cmp_eq_u32 s9, 1
	s_cbranch_scc0 .LBB176_281
; %bb.278:
	v_bfe_i32 v5, v20, 0, 8
	s_bfe_i32 s8, s10, 0x80000
	s_delay_alu instid0(VALU_DEP_1) | instid1(SALU_CYCLE_1)
	v_min_i16 v5, v5, s8
	s_mov_b32 s8, 0
	s_branch .LBB176_282
.LBB176_279:
	s_bfe_i32 s7, s10, 0x80000
	s_delay_alu instid0(VALU_DEP_1) | instid1(SALU_CYCLE_1)
	v_max_i16 v5, v6, s7
	s_bfe_i32 s7, s3, 0x80000
	s_delay_alu instid0(VALU_DEP_1) | instid1(SALU_CYCLE_1)
	v_min_i16 v5, v5, s7
	s_cbranch_execz .LBB176_273
	s_branch .LBB176_274
.LBB176_280:
	s_mov_b32 s8, 0
                                        ; implicit-def: $vgpr5
	s_cbranch_execnz .LBB176_283
	s_branch .LBB176_284
.LBB176_281:
	s_mov_b32 s8, -1
                                        ; implicit-def: $vgpr5
.LBB176_282:
	s_branch .LBB176_284
.LBB176_283:
	s_cmp_lg_u32 s9, 0
	s_mov_b32 s7, -1
	s_cselect_b32 s8, -1, 0
.LBB176_284:
	v_bfe_i32 v6, v20, 0, 8
	s_and_not1_b32 vcc_lo, exec_lo, s8
	s_cbranch_vccz .LBB176_292
; %bb.285:
	s_and_not1_b32 vcc_lo, exec_lo, s7
	s_cbranch_vccnz .LBB176_287
.LBB176_286:
	s_bfe_i32 s7, s10, 0x80000
	s_delay_alu instid0(SALU_CYCLE_1)
	v_max_i16 v5, v6, s7
.LBB176_287:
	s_delay_alu instid0(VALU_DEP_1)
	v_perm_b32 v1, v1, v5, 0x7060004
.LBB176_288:
	s_or_b32 exec_lo, exec_lo, s6
	v_or_b32_e32 v5, 0x600, v0
	s_mov_b32 s6, exec_lo
	s_delay_alu instid0(VALU_DEP_1)
	v_cmpx_gt_i32_e64 s1, v5
	s_cbranch_execz .LBB176_301
; %bb.289:
	s_cmp_lt_i32 s9, 1
	s_mov_b32 s7, 0
	s_cbranch_scc1 .LBB176_293
; %bb.290:
	s_cmp_eq_u32 s9, 1
	s_cbranch_scc0 .LBB176_294
; %bb.291:
	v_bfe_i32 v5, v19, 0, 8
	s_bfe_i32 s8, s10, 0x80000
	s_delay_alu instid0(VALU_DEP_1) | instid1(SALU_CYCLE_1)
	v_min_i16 v5, v5, s8
	s_mov_b32 s8, 0
	s_branch .LBB176_295
.LBB176_292:
	s_bfe_i32 s7, s10, 0x80000
	s_delay_alu instid0(VALU_DEP_1) | instid1(SALU_CYCLE_1)
	v_max_i16 v5, v6, s7
	s_bfe_i32 s7, s3, 0x80000
	s_delay_alu instid0(VALU_DEP_1) | instid1(SALU_CYCLE_1)
	v_min_i16 v5, v5, s7
	s_cbranch_execz .LBB176_286
	s_branch .LBB176_287
.LBB176_293:
	s_mov_b32 s8, 0
                                        ; implicit-def: $vgpr5
	s_cbranch_execnz .LBB176_296
	s_branch .LBB176_297
.LBB176_294:
	s_mov_b32 s8, -1
                                        ; implicit-def: $vgpr5
.LBB176_295:
	s_branch .LBB176_297
.LBB176_296:
	s_cmp_lg_u32 s9, 0
	s_mov_b32 s7, -1
	s_cselect_b32 s8, -1, 0
.LBB176_297:
	v_bfe_i32 v6, v19, 0, 8
	s_and_not1_b32 vcc_lo, exec_lo, s8
	s_cbranch_vccz .LBB176_305
; %bb.298:
	s_and_not1_b32 vcc_lo, exec_lo, s7
	s_cbranch_vccnz .LBB176_300
.LBB176_299:
	s_bfe_i32 s7, s10, 0x80000
	s_delay_alu instid0(SALU_CYCLE_1)
	v_max_i16 v5, v6, s7
.LBB176_300:
	s_delay_alu instid0(VALU_DEP_1)
	v_perm_b32 v1, v1, v5, 0x7000504
.LBB176_301:
	s_or_b32 exec_lo, exec_lo, s6
	v_or_b32_e32 v5, 0x700, v0
	s_mov_b32 s6, exec_lo
	s_delay_alu instid0(VALU_DEP_1)
	v_cmpx_gt_i32_e64 s1, v5
	s_cbranch_execz .LBB176_314
; %bb.302:
	s_cmp_lt_i32 s9, 1
	s_mov_b32 s7, 0
	s_cbranch_scc1 .LBB176_306
; %bb.303:
	s_cmp_eq_u32 s9, 1
	s_cbranch_scc0 .LBB176_307
; %bb.304:
	v_bfe_i32 v5, v18, 0, 8
	s_bfe_i32 s8, s10, 0x80000
	s_delay_alu instid0(VALU_DEP_1) | instid1(SALU_CYCLE_1)
	v_min_i16 v5, v5, s8
	s_mov_b32 s8, 0
	s_branch .LBB176_308
.LBB176_305:
	s_bfe_i32 s7, s10, 0x80000
	s_delay_alu instid0(VALU_DEP_1) | instid1(SALU_CYCLE_1)
	v_max_i16 v5, v6, s7
	s_bfe_i32 s7, s3, 0x80000
	s_delay_alu instid0(VALU_DEP_1) | instid1(SALU_CYCLE_1)
	v_min_i16 v5, v5, s7
	s_cbranch_execz .LBB176_299
	s_branch .LBB176_300
.LBB176_306:
	s_mov_b32 s8, 0
                                        ; implicit-def: $vgpr5
	s_cbranch_execnz .LBB176_309
	s_branch .LBB176_310
.LBB176_307:
	s_mov_b32 s8, -1
                                        ; implicit-def: $vgpr5
.LBB176_308:
	s_branch .LBB176_310
.LBB176_309:
	s_cmp_lg_u32 s9, 0
	s_mov_b32 s7, -1
	s_cselect_b32 s8, -1, 0
.LBB176_310:
	v_bfe_i32 v6, v18, 0, 8
	s_and_not1_b32 vcc_lo, exec_lo, s8
	s_cbranch_vccz .LBB176_318
; %bb.311:
	s_and_not1_b32 vcc_lo, exec_lo, s7
	s_cbranch_vccnz .LBB176_313
.LBB176_312:
	s_bfe_i32 s7, s10, 0x80000
	s_delay_alu instid0(SALU_CYCLE_1)
	v_max_i16 v5, v6, s7
.LBB176_313:
	s_delay_alu instid0(VALU_DEP_1)
	v_perm_b32 v1, v1, v5, 0x60504
.LBB176_314:
	s_or_b32 exec_lo, exec_lo, s6
	v_or_b32_e32 v5, 0x800, v0
	s_mov_b32 s6, exec_lo
	s_delay_alu instid0(VALU_DEP_1)
	v_cmpx_gt_i32_e64 s1, v5
	s_cbranch_execz .LBB176_327
; %bb.315:
	s_cmp_lt_i32 s9, 1
	s_mov_b32 s7, 0
	s_cbranch_scc1 .LBB176_319
; %bb.316:
	s_cmp_eq_u32 s9, 1
	s_cbranch_scc0 .LBB176_320
; %bb.317:
	v_bfe_i32 v5, v17, 0, 8
	s_bfe_i32 s8, s10, 0x80000
	s_delay_alu instid0(VALU_DEP_1) | instid1(SALU_CYCLE_1)
	v_min_i16 v5, v5, s8
	s_mov_b32 s8, 0
	s_branch .LBB176_321
.LBB176_318:
	s_bfe_i32 s7, s10, 0x80000
	s_delay_alu instid0(VALU_DEP_1) | instid1(SALU_CYCLE_1)
	v_max_i16 v5, v6, s7
	s_bfe_i32 s7, s3, 0x80000
	s_delay_alu instid0(VALU_DEP_1) | instid1(SALU_CYCLE_1)
	v_min_i16 v5, v5, s7
	s_cbranch_execz .LBB176_312
	s_branch .LBB176_313
.LBB176_319:
	s_mov_b32 s8, 0
                                        ; implicit-def: $vgpr5
	s_cbranch_execnz .LBB176_322
	s_branch .LBB176_323
.LBB176_320:
	s_mov_b32 s8, -1
                                        ; implicit-def: $vgpr5
.LBB176_321:
	s_branch .LBB176_323
.LBB176_322:
	s_cmp_lg_u32 s9, 0
	s_mov_b32 s7, -1
	s_cselect_b32 s8, -1, 0
.LBB176_323:
	v_bfe_i32 v6, v17, 0, 8
	s_and_not1_b32 vcc_lo, exec_lo, s8
	s_cbranch_vccz .LBB176_331
; %bb.324:
	s_and_not1_b32 vcc_lo, exec_lo, s7
	s_cbranch_vccnz .LBB176_326
.LBB176_325:
	s_bfe_i32 s7, s10, 0x80000
	s_delay_alu instid0(SALU_CYCLE_1)
	v_max_i16 v5, v6, s7
.LBB176_326:
	s_delay_alu instid0(VALU_DEP_1)
	v_perm_b32 v4, v5, v4, 0x3020104
.LBB176_327:
	s_or_b32 exec_lo, exec_lo, s6
	v_or_b32_e32 v5, 0x900, v0
	s_mov_b32 s6, exec_lo
	s_delay_alu instid0(VALU_DEP_1)
	v_cmpx_gt_i32_e64 s1, v5
	s_cbranch_execz .LBB176_340
; %bb.328:
	s_cmp_lt_i32 s9, 1
	s_mov_b32 s7, 0
	s_cbranch_scc1 .LBB176_332
; %bb.329:
	s_cmp_eq_u32 s9, 1
	s_cbranch_scc0 .LBB176_333
; %bb.330:
	v_bfe_i32 v5, v16, 0, 8
	s_bfe_i32 s8, s10, 0x80000
	s_delay_alu instid0(VALU_DEP_1) | instid1(SALU_CYCLE_1)
	v_min_i16 v5, v5, s8
	s_mov_b32 s8, 0
	s_branch .LBB176_334
.LBB176_331:
	s_bfe_i32 s7, s10, 0x80000
	s_delay_alu instid0(VALU_DEP_1) | instid1(SALU_CYCLE_1)
	v_max_i16 v5, v6, s7
	s_bfe_i32 s7, s3, 0x80000
	s_delay_alu instid0(VALU_DEP_1) | instid1(SALU_CYCLE_1)
	v_min_i16 v5, v5, s7
	s_cbranch_execz .LBB176_325
	s_branch .LBB176_326
.LBB176_332:
	s_mov_b32 s8, 0
                                        ; implicit-def: $vgpr5
	s_cbranch_execnz .LBB176_335
	s_branch .LBB176_336
.LBB176_333:
	s_mov_b32 s8, -1
                                        ; implicit-def: $vgpr5
.LBB176_334:
	s_branch .LBB176_336
.LBB176_335:
	s_cmp_lg_u32 s9, 0
	s_mov_b32 s7, -1
	s_cselect_b32 s8, -1, 0
.LBB176_336:
	v_bfe_i32 v6, v16, 0, 8
	s_and_not1_b32 vcc_lo, exec_lo, s8
	s_cbranch_vccz .LBB176_344
; %bb.337:
	s_and_not1_b32 vcc_lo, exec_lo, s7
	s_cbranch_vccnz .LBB176_339
.LBB176_338:
	s_bfe_i32 s7, s10, 0x80000
	s_delay_alu instid0(SALU_CYCLE_1)
	v_max_i16 v5, v6, s7
.LBB176_339:
	s_delay_alu instid0(VALU_DEP_1)
	v_perm_b32 v4, v4, v5, 0x7060004
.LBB176_340:
	s_or_b32 exec_lo, exec_lo, s6
	v_or_b32_e32 v5, 0xa00, v0
	s_mov_b32 s6, exec_lo
	s_delay_alu instid0(VALU_DEP_1)
	v_cmpx_gt_i32_e64 s1, v5
	s_cbranch_execz .LBB176_353
; %bb.341:
	s_cmp_lt_i32 s9, 1
	s_mov_b32 s7, 0
	s_cbranch_scc1 .LBB176_345
; %bb.342:
	s_cmp_eq_u32 s9, 1
	s_cbranch_scc0 .LBB176_346
; %bb.343:
	v_bfe_i32 v5, v15, 0, 8
	s_bfe_i32 s8, s10, 0x80000
	s_delay_alu instid0(VALU_DEP_1) | instid1(SALU_CYCLE_1)
	v_min_i16 v5, v5, s8
	s_mov_b32 s8, 0
	s_branch .LBB176_347
.LBB176_344:
	s_bfe_i32 s7, s10, 0x80000
	s_delay_alu instid0(VALU_DEP_1) | instid1(SALU_CYCLE_1)
	v_max_i16 v5, v6, s7
	s_bfe_i32 s7, s3, 0x80000
	s_delay_alu instid0(VALU_DEP_1) | instid1(SALU_CYCLE_1)
	v_min_i16 v5, v5, s7
	s_cbranch_execz .LBB176_338
	s_branch .LBB176_339
.LBB176_345:
	s_mov_b32 s8, 0
                                        ; implicit-def: $vgpr5
	s_cbranch_execnz .LBB176_348
	s_branch .LBB176_349
.LBB176_346:
	s_mov_b32 s8, -1
                                        ; implicit-def: $vgpr5
.LBB176_347:
	s_branch .LBB176_349
.LBB176_348:
	s_cmp_lg_u32 s9, 0
	s_mov_b32 s7, -1
	s_cselect_b32 s8, -1, 0
.LBB176_349:
	v_bfe_i32 v6, v15, 0, 8
	s_and_not1_b32 vcc_lo, exec_lo, s8
	s_cbranch_vccz .LBB176_357
; %bb.350:
	s_and_not1_b32 vcc_lo, exec_lo, s7
	s_cbranch_vccnz .LBB176_352
.LBB176_351:
	s_bfe_i32 s7, s10, 0x80000
	s_delay_alu instid0(SALU_CYCLE_1)
	v_max_i16 v5, v6, s7
.LBB176_352:
	s_delay_alu instid0(VALU_DEP_1)
	v_perm_b32 v4, v4, v5, 0x7000504
.LBB176_353:
	s_or_b32 exec_lo, exec_lo, s6
	v_or_b32_e32 v5, 0xb00, v0
	s_mov_b32 s6, exec_lo
	s_delay_alu instid0(VALU_DEP_1)
	v_cmpx_gt_i32_e64 s1, v5
	s_cbranch_execz .LBB176_366
; %bb.354:
	s_cmp_lt_i32 s9, 1
	s_mov_b32 s7, 0
	s_cbranch_scc1 .LBB176_358
; %bb.355:
	s_cmp_eq_u32 s9, 1
	s_cbranch_scc0 .LBB176_359
; %bb.356:
	v_bfe_i32 v5, v14, 0, 8
	s_bfe_i32 s8, s10, 0x80000
	s_delay_alu instid0(VALU_DEP_1) | instid1(SALU_CYCLE_1)
	v_min_i16 v5, v5, s8
	s_mov_b32 s8, 0
	s_branch .LBB176_360
.LBB176_357:
	s_bfe_i32 s7, s10, 0x80000
	s_delay_alu instid0(VALU_DEP_1) | instid1(SALU_CYCLE_1)
	v_max_i16 v5, v6, s7
	s_bfe_i32 s7, s3, 0x80000
	s_delay_alu instid0(VALU_DEP_1) | instid1(SALU_CYCLE_1)
	v_min_i16 v5, v5, s7
	s_cbranch_execz .LBB176_351
	s_branch .LBB176_352
.LBB176_358:
	s_mov_b32 s8, 0
                                        ; implicit-def: $vgpr5
	s_cbranch_execnz .LBB176_361
	s_branch .LBB176_362
.LBB176_359:
	s_mov_b32 s8, -1
                                        ; implicit-def: $vgpr5
.LBB176_360:
	s_branch .LBB176_362
.LBB176_361:
	s_cmp_lg_u32 s9, 0
	s_mov_b32 s7, -1
	s_cselect_b32 s8, -1, 0
.LBB176_362:
	v_bfe_i32 v6, v14, 0, 8
	s_and_not1_b32 vcc_lo, exec_lo, s8
	s_cbranch_vccz .LBB176_370
; %bb.363:
	s_and_not1_b32 vcc_lo, exec_lo, s7
	s_cbranch_vccnz .LBB176_365
.LBB176_364:
	s_bfe_i32 s7, s10, 0x80000
	s_delay_alu instid0(SALU_CYCLE_1)
	v_max_i16 v5, v6, s7
.LBB176_365:
	s_delay_alu instid0(VALU_DEP_1)
	v_perm_b32 v4, v4, v5, 0x60504
.LBB176_366:
	s_or_b32 exec_lo, exec_lo, s6
	v_or_b32_e32 v5, 0xc00, v0
	s_mov_b32 s6, exec_lo
	s_delay_alu instid0(VALU_DEP_1)
	v_cmpx_gt_i32_e64 s1, v5
	s_cbranch_execz .LBB176_379
; %bb.367:
	s_cmp_lt_i32 s9, 1
	s_mov_b32 s7, 0
	s_cbranch_scc1 .LBB176_371
; %bb.368:
	s_cmp_eq_u32 s9, 1
	s_cbranch_scc0 .LBB176_372
; %bb.369:
	v_bfe_i32 v5, v13, 0, 8
	s_bfe_i32 s8, s10, 0x80000
	s_delay_alu instid0(VALU_DEP_1) | instid1(SALU_CYCLE_1)
	v_min_i16 v5, v5, s8
	s_mov_b32 s8, 0
	s_branch .LBB176_373
.LBB176_370:
	s_bfe_i32 s7, s10, 0x80000
	s_delay_alu instid0(VALU_DEP_1) | instid1(SALU_CYCLE_1)
	v_max_i16 v5, v6, s7
	s_bfe_i32 s7, s3, 0x80000
	s_delay_alu instid0(VALU_DEP_1) | instid1(SALU_CYCLE_1)
	v_min_i16 v5, v5, s7
	s_cbranch_execz .LBB176_364
	s_branch .LBB176_365
.LBB176_371:
	s_mov_b32 s8, 0
                                        ; implicit-def: $vgpr5
	s_cbranch_execnz .LBB176_374
	s_branch .LBB176_375
.LBB176_372:
	s_mov_b32 s8, -1
                                        ; implicit-def: $vgpr5
.LBB176_373:
	s_branch .LBB176_375
.LBB176_374:
	s_cmp_lg_u32 s9, 0
	s_mov_b32 s7, -1
	s_cselect_b32 s8, -1, 0
.LBB176_375:
	v_bfe_i32 v6, v13, 0, 8
	s_and_not1_b32 vcc_lo, exec_lo, s8
	s_cbranch_vccz .LBB176_383
; %bb.376:
	s_and_not1_b32 vcc_lo, exec_lo, s7
	s_cbranch_vccnz .LBB176_378
.LBB176_377:
	s_bfe_i32 s7, s10, 0x80000
	s_delay_alu instid0(SALU_CYCLE_1)
	v_max_i16 v5, v6, s7
.LBB176_378:
	s_delay_alu instid0(VALU_DEP_1)
	v_perm_b32 v3, v5, v3, 0x3020104
.LBB176_379:
	s_or_b32 exec_lo, exec_lo, s6
	v_or_b32_e32 v5, 0xd00, v0
	s_mov_b32 s6, exec_lo
	s_delay_alu instid0(VALU_DEP_1)
	v_cmpx_gt_i32_e64 s1, v5
	s_cbranch_execz .LBB176_392
; %bb.380:
	s_cmp_lt_i32 s9, 1
	s_mov_b32 s7, 0
	s_cbranch_scc1 .LBB176_384
; %bb.381:
	s_cmp_eq_u32 s9, 1
	s_cbranch_scc0 .LBB176_385
; %bb.382:
	v_bfe_i32 v5, v12, 0, 8
	s_bfe_i32 s8, s10, 0x80000
	s_delay_alu instid0(VALU_DEP_1) | instid1(SALU_CYCLE_1)
	v_min_i16 v5, v5, s8
	s_mov_b32 s8, 0
	s_branch .LBB176_386
.LBB176_383:
	s_bfe_i32 s7, s10, 0x80000
	s_delay_alu instid0(VALU_DEP_1) | instid1(SALU_CYCLE_1)
	v_max_i16 v5, v6, s7
	s_bfe_i32 s7, s3, 0x80000
	s_delay_alu instid0(VALU_DEP_1) | instid1(SALU_CYCLE_1)
	v_min_i16 v5, v5, s7
	s_cbranch_execz .LBB176_377
	s_branch .LBB176_378
.LBB176_384:
	s_mov_b32 s8, 0
                                        ; implicit-def: $vgpr5
	s_cbranch_execnz .LBB176_387
	s_branch .LBB176_388
.LBB176_385:
	s_mov_b32 s8, -1
                                        ; implicit-def: $vgpr5
.LBB176_386:
	s_branch .LBB176_388
.LBB176_387:
	s_cmp_lg_u32 s9, 0
	s_mov_b32 s7, -1
	s_cselect_b32 s8, -1, 0
.LBB176_388:
	v_bfe_i32 v6, v12, 0, 8
	s_and_not1_b32 vcc_lo, exec_lo, s8
	s_cbranch_vccz .LBB176_396
; %bb.389:
	s_and_not1_b32 vcc_lo, exec_lo, s7
	s_cbranch_vccnz .LBB176_391
.LBB176_390:
	s_bfe_i32 s7, s10, 0x80000
	s_delay_alu instid0(SALU_CYCLE_1)
	v_max_i16 v5, v6, s7
.LBB176_391:
	s_delay_alu instid0(VALU_DEP_1)
	v_perm_b32 v3, v3, v5, 0x7060004
.LBB176_392:
	s_or_b32 exec_lo, exec_lo, s6
	v_or_b32_e32 v5, 0xe00, v0
	s_mov_b32 s6, exec_lo
	s_delay_alu instid0(VALU_DEP_1)
	v_cmpx_gt_i32_e64 s1, v5
	s_cbranch_execz .LBB176_405
; %bb.393:
	s_cmp_lt_i32 s9, 1
	s_mov_b32 s7, 0
	s_cbranch_scc1 .LBB176_397
; %bb.394:
	s_cmp_eq_u32 s9, 1
	s_cbranch_scc0 .LBB176_398
; %bb.395:
	v_bfe_i32 v5, v11, 0, 8
	s_bfe_i32 s8, s10, 0x80000
	s_delay_alu instid0(VALU_DEP_1) | instid1(SALU_CYCLE_1)
	v_min_i16 v5, v5, s8
	s_mov_b32 s8, 0
	s_branch .LBB176_399
.LBB176_396:
	s_bfe_i32 s7, s10, 0x80000
	s_delay_alu instid0(VALU_DEP_1) | instid1(SALU_CYCLE_1)
	v_max_i16 v5, v6, s7
	s_bfe_i32 s7, s3, 0x80000
	s_delay_alu instid0(VALU_DEP_1) | instid1(SALU_CYCLE_1)
	v_min_i16 v5, v5, s7
	s_cbranch_execz .LBB176_390
	s_branch .LBB176_391
.LBB176_397:
	s_mov_b32 s8, 0
                                        ; implicit-def: $vgpr5
	s_cbranch_execnz .LBB176_400
	s_branch .LBB176_401
.LBB176_398:
	s_mov_b32 s8, -1
                                        ; implicit-def: $vgpr5
.LBB176_399:
	s_branch .LBB176_401
.LBB176_400:
	s_cmp_lg_u32 s9, 0
	s_mov_b32 s7, -1
	s_cselect_b32 s8, -1, 0
.LBB176_401:
	v_bfe_i32 v6, v11, 0, 8
	s_and_not1_b32 vcc_lo, exec_lo, s8
	s_cbranch_vccz .LBB176_409
; %bb.402:
	s_and_not1_b32 vcc_lo, exec_lo, s7
	s_cbranch_vccnz .LBB176_404
.LBB176_403:
	s_bfe_i32 s7, s10, 0x80000
	s_delay_alu instid0(SALU_CYCLE_1)
	v_max_i16 v5, v6, s7
.LBB176_404:
	s_delay_alu instid0(VALU_DEP_1)
	v_perm_b32 v3, v3, v5, 0x7000504
.LBB176_405:
	s_or_b32 exec_lo, exec_lo, s6
	v_or_b32_e32 v5, 0xf00, v0
	s_mov_b32 s6, exec_lo
	s_delay_alu instid0(VALU_DEP_1)
	v_cmpx_gt_i32_e64 s1, v5
	s_cbranch_execz .LBB176_418
; %bb.406:
	s_cmp_lt_i32 s9, 1
	s_mov_b32 s7, 0
	s_cbranch_scc1 .LBB176_410
; %bb.407:
	s_cmp_eq_u32 s9, 1
	s_cbranch_scc0 .LBB176_411
; %bb.408:
	v_bfe_i32 v5, v10, 0, 8
	s_bfe_i32 s8, s10, 0x80000
	s_delay_alu instid0(VALU_DEP_1) | instid1(SALU_CYCLE_1)
	v_min_i16 v5, v5, s8
	s_mov_b32 s8, 0
	s_branch .LBB176_412
.LBB176_409:
	s_bfe_i32 s7, s10, 0x80000
	s_delay_alu instid0(VALU_DEP_1) | instid1(SALU_CYCLE_1)
	v_max_i16 v5, v6, s7
	s_bfe_i32 s7, s3, 0x80000
	s_delay_alu instid0(VALU_DEP_1) | instid1(SALU_CYCLE_1)
	v_min_i16 v5, v5, s7
	s_cbranch_execz .LBB176_403
	s_branch .LBB176_404
.LBB176_410:
	s_mov_b32 s8, 0
                                        ; implicit-def: $vgpr5
	s_cbranch_execnz .LBB176_413
	s_branch .LBB176_414
.LBB176_411:
	s_mov_b32 s8, -1
                                        ; implicit-def: $vgpr5
.LBB176_412:
	s_branch .LBB176_414
.LBB176_413:
	s_cmp_lg_u32 s9, 0
	s_mov_b32 s7, -1
	s_cselect_b32 s8, -1, 0
.LBB176_414:
	v_bfe_i32 v6, v10, 0, 8
	s_and_not1_b32 vcc_lo, exec_lo, s8
	s_cbranch_vccz .LBB176_451
; %bb.415:
	s_and_not1_b32 vcc_lo, exec_lo, s7
	s_cbranch_vccnz .LBB176_417
.LBB176_416:
	s_bfe_i32 s3, s10, 0x80000
	s_delay_alu instid0(SALU_CYCLE_1)
	v_max_i16 v5, v6, s3
.LBB176_417:
	s_delay_alu instid0(VALU_DEP_1)
	v_perm_b32 v3, v3, v5, 0x60504
.LBB176_418:
	s_or_b32 exec_lo, exec_lo, s6
	s_and_saveexec_b32 s3, s0
	s_delay_alu instid0(SALU_CYCLE_1)
	s_xor_b32 s0, exec_lo, s3
	s_cbranch_execz .LBB176_420
; %bb.419:
	v_mov_b32_e32 v0, v9
	global_store_b8 v8, v2, s[4:5]
.LBB176_420:
	s_wait_xcnt 0x0
	s_or_b32 exec_lo, exec_lo, s0
	s_delay_alu instid0(SALU_CYCLE_1)
	s_mov_b32 s0, exec_lo
	v_cmpx_gt_i32_e64 s1, v0
	s_cbranch_execnz .LBB176_437
; %bb.421:
	s_or_b32 exec_lo, exec_lo, s0
	s_delay_alu instid0(SALU_CYCLE_1)
	s_mov_b32 s0, exec_lo
	v_cmpx_gt_i32_e64 s1, v0
	s_cbranch_execnz .LBB176_438
.LBB176_422:
	s_or_b32 exec_lo, exec_lo, s0
	s_delay_alu instid0(SALU_CYCLE_1)
	s_mov_b32 s0, exec_lo
	v_cmpx_gt_i32_e64 s1, v0
	s_cbranch_execnz .LBB176_439
.LBB176_423:
	s_or_b32 exec_lo, exec_lo, s0
	s_delay_alu instid0(SALU_CYCLE_1)
	s_mov_b32 s0, exec_lo
	v_cmpx_gt_i32_e64 s1, v0
	s_cbranch_execnz .LBB176_440
.LBB176_424:
	s_or_b32 exec_lo, exec_lo, s0
	s_delay_alu instid0(SALU_CYCLE_1)
	s_mov_b32 s0, exec_lo
	v_cmpx_gt_i32_e64 s1, v0
	s_cbranch_execnz .LBB176_441
.LBB176_425:
	s_or_b32 exec_lo, exec_lo, s0
	s_delay_alu instid0(SALU_CYCLE_1)
	s_mov_b32 s0, exec_lo
	v_cmpx_gt_i32_e64 s1, v0
	s_cbranch_execnz .LBB176_442
.LBB176_426:
	s_or_b32 exec_lo, exec_lo, s0
	s_delay_alu instid0(SALU_CYCLE_1)
	s_mov_b32 s0, exec_lo
	v_cmpx_gt_i32_e64 s1, v0
	s_cbranch_execnz .LBB176_443
.LBB176_427:
	s_or_b32 exec_lo, exec_lo, s0
	s_delay_alu instid0(SALU_CYCLE_1)
	s_mov_b32 s0, exec_lo
	v_cmpx_gt_i32_e64 s1, v0
	s_cbranch_execnz .LBB176_444
.LBB176_428:
	s_or_b32 exec_lo, exec_lo, s0
	s_delay_alu instid0(SALU_CYCLE_1)
	s_mov_b32 s0, exec_lo
	v_cmpx_gt_i32_e64 s1, v0
	s_cbranch_execnz .LBB176_445
.LBB176_429:
	s_or_b32 exec_lo, exec_lo, s0
	s_delay_alu instid0(SALU_CYCLE_1)
	s_mov_b32 s0, exec_lo
	v_cmpx_gt_i32_e64 s1, v0
	s_cbranch_execnz .LBB176_446
.LBB176_430:
	s_or_b32 exec_lo, exec_lo, s0
	s_delay_alu instid0(SALU_CYCLE_1)
	s_mov_b32 s0, exec_lo
	v_cmpx_gt_i32_e64 s1, v0
	s_cbranch_execnz .LBB176_447
.LBB176_431:
	s_or_b32 exec_lo, exec_lo, s0
	s_delay_alu instid0(SALU_CYCLE_1)
	s_mov_b32 s0, exec_lo
	v_cmpx_gt_i32_e64 s1, v0
	s_cbranch_execnz .LBB176_448
.LBB176_432:
	s_or_b32 exec_lo, exec_lo, s0
	s_delay_alu instid0(SALU_CYCLE_1)
	s_mov_b32 s0, exec_lo
	v_cmpx_gt_i32_e64 s1, v0
	s_cbranch_execnz .LBB176_449
.LBB176_433:
	s_or_b32 exec_lo, exec_lo, s0
	s_delay_alu instid0(SALU_CYCLE_1)
	s_mov_b32 s0, exec_lo
	v_cmpx_gt_i32_e64 s1, v0
	s_cbranch_execnz .LBB176_450
.LBB176_434:
	s_or_b32 exec_lo, exec_lo, s0
	s_delay_alu instid0(SALU_CYCLE_1)
	s_mov_b32 s0, exec_lo
	v_cmpx_gt_i32_e64 s1, v0
	s_cbranch_execz .LBB176_436
.LBB176_435:
	v_dual_lshrrev_b32 v1, 24, v3 :: v_dual_add_nc_u32 v0, s2, v0
	global_store_b8 v0, v1, s[4:5]
.LBB176_436:
	s_endpgm
.LBB176_437:
	v_dual_lshrrev_b32 v5, 8, v2 :: v_dual_add_nc_u32 v6, s2, v0
	v_add_nc_u32_e32 v0, 0x100, v0
	global_store_b8 v6, v5, s[4:5]
	s_wait_xcnt 0x0
	s_or_b32 exec_lo, exec_lo, s0
	s_delay_alu instid0(SALU_CYCLE_1)
	s_mov_b32 s0, exec_lo
	v_cmpx_gt_i32_e64 s1, v0
	s_cbranch_execz .LBB176_422
.LBB176_438:
	v_add_nc_u32_e32 v5, s2, v0
	v_add_nc_u32_e32 v0, 0x100, v0
	global_store_d16_hi_b8 v5, v2, s[4:5]
	s_wait_xcnt 0x0
	s_or_b32 exec_lo, exec_lo, s0
	s_delay_alu instid0(SALU_CYCLE_1)
	s_mov_b32 s0, exec_lo
	v_cmpx_gt_i32_e64 s1, v0
	s_cbranch_execz .LBB176_423
.LBB176_439:
	v_dual_lshrrev_b32 v2, 24, v2 :: v_dual_add_nc_u32 v5, s2, v0
	v_add_nc_u32_e32 v0, 0x100, v0
	global_store_b8 v5, v2, s[4:5]
	s_wait_xcnt 0x0
	s_or_b32 exec_lo, exec_lo, s0
	s_delay_alu instid0(SALU_CYCLE_1)
	s_mov_b32 s0, exec_lo
	v_cmpx_gt_i32_e64 s1, v0
	s_cbranch_execz .LBB176_424
.LBB176_440:
	v_add_nc_u32_e32 v2, s2, v0
	v_add_nc_u32_e32 v0, 0x100, v0
	global_store_b8 v2, v1, s[4:5]
	s_wait_xcnt 0x0
	s_or_b32 exec_lo, exec_lo, s0
	s_delay_alu instid0(SALU_CYCLE_1)
	s_mov_b32 s0, exec_lo
	v_cmpx_gt_i32_e64 s1, v0
	s_cbranch_execz .LBB176_425
.LBB176_441:
	v_dual_lshrrev_b32 v2, 8, v1 :: v_dual_add_nc_u32 v5, s2, v0
	v_add_nc_u32_e32 v0, 0x100, v0
	global_store_b8 v5, v2, s[4:5]
	s_wait_xcnt 0x0
	s_or_b32 exec_lo, exec_lo, s0
	s_delay_alu instid0(SALU_CYCLE_1)
	s_mov_b32 s0, exec_lo
	v_cmpx_gt_i32_e64 s1, v0
	s_cbranch_execz .LBB176_426
.LBB176_442:
	v_add_nc_u32_e32 v2, s2, v0
	v_add_nc_u32_e32 v0, 0x100, v0
	global_store_d16_hi_b8 v2, v1, s[4:5]
	s_wait_xcnt 0x0
	s_or_b32 exec_lo, exec_lo, s0
	s_delay_alu instid0(SALU_CYCLE_1)
	s_mov_b32 s0, exec_lo
	v_cmpx_gt_i32_e64 s1, v0
	s_cbranch_execz .LBB176_427
.LBB176_443:
	v_dual_lshrrev_b32 v1, 24, v1 :: v_dual_add_nc_u32 v2, s2, v0
	v_add_nc_u32_e32 v0, 0x100, v0
	global_store_b8 v2, v1, s[4:5]
	s_wait_xcnt 0x0
	s_or_b32 exec_lo, exec_lo, s0
	s_delay_alu instid0(SALU_CYCLE_1)
	s_mov_b32 s0, exec_lo
	v_cmpx_gt_i32_e64 s1, v0
	s_cbranch_execz .LBB176_428
.LBB176_444:
	v_add_nc_u32_e32 v1, s2, v0
	v_add_nc_u32_e32 v0, 0x100, v0
	global_store_b8 v1, v4, s[4:5]
	s_wait_xcnt 0x0
	s_or_b32 exec_lo, exec_lo, s0
	s_delay_alu instid0(SALU_CYCLE_1)
	s_mov_b32 s0, exec_lo
	v_cmpx_gt_i32_e64 s1, v0
	s_cbranch_execz .LBB176_429
.LBB176_445:
	v_lshrrev_b32_e32 v1, 8, v4
	v_add_nc_u32_e32 v2, s2, v0
	v_add_nc_u32_e32 v0, 0x100, v0
	global_store_b8 v2, v1, s[4:5]
	s_wait_xcnt 0x0
	s_or_b32 exec_lo, exec_lo, s0
	s_delay_alu instid0(SALU_CYCLE_1)
	s_mov_b32 s0, exec_lo
	v_cmpx_gt_i32_e64 s1, v0
	s_cbranch_execz .LBB176_430
.LBB176_446:
	v_add_nc_u32_e32 v1, s2, v0
	v_add_nc_u32_e32 v0, 0x100, v0
	global_store_d16_hi_b8 v1, v4, s[4:5]
	s_wait_xcnt 0x0
	s_or_b32 exec_lo, exec_lo, s0
	s_delay_alu instid0(SALU_CYCLE_1)
	s_mov_b32 s0, exec_lo
	v_cmpx_gt_i32_e64 s1, v0
	s_cbranch_execz .LBB176_431
.LBB176_447:
	v_lshrrev_b32_e32 v1, 24, v4
	v_add_nc_u32_e32 v2, s2, v0
	v_add_nc_u32_e32 v0, 0x100, v0
	global_store_b8 v2, v1, s[4:5]
	s_wait_xcnt 0x0
	s_or_b32 exec_lo, exec_lo, s0
	s_delay_alu instid0(SALU_CYCLE_1)
	s_mov_b32 s0, exec_lo
	v_cmpx_gt_i32_e64 s1, v0
	s_cbranch_execz .LBB176_432
.LBB176_448:
	v_add_nc_u32_e32 v1, s2, v0
	v_add_nc_u32_e32 v0, 0x100, v0
	global_store_b8 v1, v3, s[4:5]
	s_wait_xcnt 0x0
	s_or_b32 exec_lo, exec_lo, s0
	s_delay_alu instid0(SALU_CYCLE_1)
	s_mov_b32 s0, exec_lo
	v_cmpx_gt_i32_e64 s1, v0
	s_cbranch_execz .LBB176_433
.LBB176_449:
	v_dual_lshrrev_b32 v1, 8, v3 :: v_dual_add_nc_u32 v2, s2, v0
	v_add_nc_u32_e32 v0, 0x100, v0
	global_store_b8 v2, v1, s[4:5]
	s_wait_xcnt 0x0
	s_or_b32 exec_lo, exec_lo, s0
	s_delay_alu instid0(SALU_CYCLE_1)
	s_mov_b32 s0, exec_lo
	v_cmpx_gt_i32_e64 s1, v0
	s_cbranch_execz .LBB176_434
.LBB176_450:
	v_add_nc_u32_e32 v1, s2, v0
	v_add_nc_u32_e32 v0, 0x100, v0
	global_store_d16_hi_b8 v1, v3, s[4:5]
	s_wait_xcnt 0x0
	s_or_b32 exec_lo, exec_lo, s0
	s_delay_alu instid0(SALU_CYCLE_1)
	s_mov_b32 s0, exec_lo
	v_cmpx_gt_i32_e64 s1, v0
	s_cbranch_execnz .LBB176_435
	s_branch .LBB176_436
.LBB176_451:
	s_bfe_i32 s7, s10, 0x80000
	s_bfe_i32 s3, s3, 0x80000
	v_max_i16 v5, v6, s7
	s_delay_alu instid0(VALU_DEP_1)
	v_min_i16 v5, v5, s3
	s_cbranch_execz .LBB176_416
	s_branch .LBB176_417
	.section	.rodata,"a",@progbits
	.p2align	6, 0x0
	.amdhsa_kernel _ZN2at6native29vectorized_elementwise_kernelILi16EZZZNS0_12_GLOBAL__N_119launch_clamp_scalarERNS_18TensorIteratorBaseEN3c106ScalarES6_NS0_6detail11ClampLimitsEENKUlvE_clEvENKUlvE0_clEvEUlaE_St5arrayIPcLm2EEEEviT0_T1_
		.amdhsa_group_segment_fixed_size 0
		.amdhsa_private_segment_fixed_size 0
		.amdhsa_kernarg_size 32
		.amdhsa_user_sgpr_count 2
		.amdhsa_user_sgpr_dispatch_ptr 0
		.amdhsa_user_sgpr_queue_ptr 0
		.amdhsa_user_sgpr_kernarg_segment_ptr 1
		.amdhsa_user_sgpr_dispatch_id 0
		.amdhsa_user_sgpr_kernarg_preload_length 0
		.amdhsa_user_sgpr_kernarg_preload_offset 0
		.amdhsa_user_sgpr_private_segment_size 0
		.amdhsa_wavefront_size32 1
		.amdhsa_uses_dynamic_stack 0
		.amdhsa_enable_private_segment 0
		.amdhsa_system_sgpr_workgroup_id_x 1
		.amdhsa_system_sgpr_workgroup_id_y 0
		.amdhsa_system_sgpr_workgroup_id_z 0
		.amdhsa_system_sgpr_workgroup_info 0
		.amdhsa_system_vgpr_workitem_id 0
		.amdhsa_next_free_vgpr 24
		.amdhsa_next_free_sgpr 23
		.amdhsa_named_barrier_count 0
		.amdhsa_reserve_vcc 1
		.amdhsa_float_round_mode_32 0
		.amdhsa_float_round_mode_16_64 0
		.amdhsa_float_denorm_mode_32 3
		.amdhsa_float_denorm_mode_16_64 3
		.amdhsa_fp16_overflow 0
		.amdhsa_memory_ordered 1
		.amdhsa_forward_progress 1
		.amdhsa_inst_pref_size 76
		.amdhsa_round_robin_scheduling 0
		.amdhsa_exception_fp_ieee_invalid_op 0
		.amdhsa_exception_fp_denorm_src 0
		.amdhsa_exception_fp_ieee_div_zero 0
		.amdhsa_exception_fp_ieee_overflow 0
		.amdhsa_exception_fp_ieee_underflow 0
		.amdhsa_exception_fp_ieee_inexact 0
		.amdhsa_exception_int_div_zero 0
	.end_amdhsa_kernel
	.section	.text._ZN2at6native29vectorized_elementwise_kernelILi16EZZZNS0_12_GLOBAL__N_119launch_clamp_scalarERNS_18TensorIteratorBaseEN3c106ScalarES6_NS0_6detail11ClampLimitsEENKUlvE_clEvENKUlvE0_clEvEUlaE_St5arrayIPcLm2EEEEviT0_T1_,"axG",@progbits,_ZN2at6native29vectorized_elementwise_kernelILi16EZZZNS0_12_GLOBAL__N_119launch_clamp_scalarERNS_18TensorIteratorBaseEN3c106ScalarES6_NS0_6detail11ClampLimitsEENKUlvE_clEvENKUlvE0_clEvEUlaE_St5arrayIPcLm2EEEEviT0_T1_,comdat
.Lfunc_end176:
	.size	_ZN2at6native29vectorized_elementwise_kernelILi16EZZZNS0_12_GLOBAL__N_119launch_clamp_scalarERNS_18TensorIteratorBaseEN3c106ScalarES6_NS0_6detail11ClampLimitsEENKUlvE_clEvENKUlvE0_clEvEUlaE_St5arrayIPcLm2EEEEviT0_T1_, .Lfunc_end176-_ZN2at6native29vectorized_elementwise_kernelILi16EZZZNS0_12_GLOBAL__N_119launch_clamp_scalarERNS_18TensorIteratorBaseEN3c106ScalarES6_NS0_6detail11ClampLimitsEENKUlvE_clEvENKUlvE0_clEvEUlaE_St5arrayIPcLm2EEEEviT0_T1_
                                        ; -- End function
	.set _ZN2at6native29vectorized_elementwise_kernelILi16EZZZNS0_12_GLOBAL__N_119launch_clamp_scalarERNS_18TensorIteratorBaseEN3c106ScalarES6_NS0_6detail11ClampLimitsEENKUlvE_clEvENKUlvE0_clEvEUlaE_St5arrayIPcLm2EEEEviT0_T1_.num_vgpr, 24
	.set _ZN2at6native29vectorized_elementwise_kernelILi16EZZZNS0_12_GLOBAL__N_119launch_clamp_scalarERNS_18TensorIteratorBaseEN3c106ScalarES6_NS0_6detail11ClampLimitsEENKUlvE_clEvENKUlvE0_clEvEUlaE_St5arrayIPcLm2EEEEviT0_T1_.num_agpr, 0
	.set _ZN2at6native29vectorized_elementwise_kernelILi16EZZZNS0_12_GLOBAL__N_119launch_clamp_scalarERNS_18TensorIteratorBaseEN3c106ScalarES6_NS0_6detail11ClampLimitsEENKUlvE_clEvENKUlvE0_clEvEUlaE_St5arrayIPcLm2EEEEviT0_T1_.numbered_sgpr, 23
	.set _ZN2at6native29vectorized_elementwise_kernelILi16EZZZNS0_12_GLOBAL__N_119launch_clamp_scalarERNS_18TensorIteratorBaseEN3c106ScalarES6_NS0_6detail11ClampLimitsEENKUlvE_clEvENKUlvE0_clEvEUlaE_St5arrayIPcLm2EEEEviT0_T1_.num_named_barrier, 0
	.set _ZN2at6native29vectorized_elementwise_kernelILi16EZZZNS0_12_GLOBAL__N_119launch_clamp_scalarERNS_18TensorIteratorBaseEN3c106ScalarES6_NS0_6detail11ClampLimitsEENKUlvE_clEvENKUlvE0_clEvEUlaE_St5arrayIPcLm2EEEEviT0_T1_.private_seg_size, 0
	.set _ZN2at6native29vectorized_elementwise_kernelILi16EZZZNS0_12_GLOBAL__N_119launch_clamp_scalarERNS_18TensorIteratorBaseEN3c106ScalarES6_NS0_6detail11ClampLimitsEENKUlvE_clEvENKUlvE0_clEvEUlaE_St5arrayIPcLm2EEEEviT0_T1_.uses_vcc, 1
	.set _ZN2at6native29vectorized_elementwise_kernelILi16EZZZNS0_12_GLOBAL__N_119launch_clamp_scalarERNS_18TensorIteratorBaseEN3c106ScalarES6_NS0_6detail11ClampLimitsEENKUlvE_clEvENKUlvE0_clEvEUlaE_St5arrayIPcLm2EEEEviT0_T1_.uses_flat_scratch, 0
	.set _ZN2at6native29vectorized_elementwise_kernelILi16EZZZNS0_12_GLOBAL__N_119launch_clamp_scalarERNS_18TensorIteratorBaseEN3c106ScalarES6_NS0_6detail11ClampLimitsEENKUlvE_clEvENKUlvE0_clEvEUlaE_St5arrayIPcLm2EEEEviT0_T1_.has_dyn_sized_stack, 0
	.set _ZN2at6native29vectorized_elementwise_kernelILi16EZZZNS0_12_GLOBAL__N_119launch_clamp_scalarERNS_18TensorIteratorBaseEN3c106ScalarES6_NS0_6detail11ClampLimitsEENKUlvE_clEvENKUlvE0_clEvEUlaE_St5arrayIPcLm2EEEEviT0_T1_.has_recursion, 0
	.set _ZN2at6native29vectorized_elementwise_kernelILi16EZZZNS0_12_GLOBAL__N_119launch_clamp_scalarERNS_18TensorIteratorBaseEN3c106ScalarES6_NS0_6detail11ClampLimitsEENKUlvE_clEvENKUlvE0_clEvEUlaE_St5arrayIPcLm2EEEEviT0_T1_.has_indirect_call, 0
	.section	.AMDGPU.csdata,"",@progbits
; Kernel info:
; codeLenInByte = 9620
; TotalNumSgprs: 25
; NumVgprs: 24
; ScratchSize: 0
; MemoryBound: 0
; FloatMode: 240
; IeeeMode: 1
; LDSByteSize: 0 bytes/workgroup (compile time only)
; SGPRBlocks: 0
; VGPRBlocks: 1
; NumSGPRsForWavesPerEU: 25
; NumVGPRsForWavesPerEU: 24
; NamedBarCnt: 0
; Occupancy: 16
; WaveLimiterHint : 0
; COMPUTE_PGM_RSRC2:SCRATCH_EN: 0
; COMPUTE_PGM_RSRC2:USER_SGPR: 2
; COMPUTE_PGM_RSRC2:TRAP_HANDLER: 0
; COMPUTE_PGM_RSRC2:TGID_X_EN: 1
; COMPUTE_PGM_RSRC2:TGID_Y_EN: 0
; COMPUTE_PGM_RSRC2:TGID_Z_EN: 0
; COMPUTE_PGM_RSRC2:TIDIG_COMP_CNT: 0
	.section	.text._ZN2at6native29vectorized_elementwise_kernelILi8EZZZNS0_12_GLOBAL__N_119launch_clamp_scalarERNS_18TensorIteratorBaseEN3c106ScalarES6_NS0_6detail11ClampLimitsEENKUlvE_clEvENKUlvE0_clEvEUlaE_St5arrayIPcLm2EEEEviT0_T1_,"axG",@progbits,_ZN2at6native29vectorized_elementwise_kernelILi8EZZZNS0_12_GLOBAL__N_119launch_clamp_scalarERNS_18TensorIteratorBaseEN3c106ScalarES6_NS0_6detail11ClampLimitsEENKUlvE_clEvENKUlvE0_clEvEUlaE_St5arrayIPcLm2EEEEviT0_T1_,comdat
	.globl	_ZN2at6native29vectorized_elementwise_kernelILi8EZZZNS0_12_GLOBAL__N_119launch_clamp_scalarERNS_18TensorIteratorBaseEN3c106ScalarES6_NS0_6detail11ClampLimitsEENKUlvE_clEvENKUlvE0_clEvEUlaE_St5arrayIPcLm2EEEEviT0_T1_ ; -- Begin function _ZN2at6native29vectorized_elementwise_kernelILi8EZZZNS0_12_GLOBAL__N_119launch_clamp_scalarERNS_18TensorIteratorBaseEN3c106ScalarES6_NS0_6detail11ClampLimitsEENKUlvE_clEvENKUlvE0_clEvEUlaE_St5arrayIPcLm2EEEEviT0_T1_
	.p2align	8
	.type	_ZN2at6native29vectorized_elementwise_kernelILi8EZZZNS0_12_GLOBAL__N_119launch_clamp_scalarERNS_18TensorIteratorBaseEN3c106ScalarES6_NS0_6detail11ClampLimitsEENKUlvE_clEvENKUlvE0_clEvEUlaE_St5arrayIPcLm2EEEEviT0_T1_,@function
_ZN2at6native29vectorized_elementwise_kernelILi8EZZZNS0_12_GLOBAL__N_119launch_clamp_scalarERNS_18TensorIteratorBaseEN3c106ScalarES6_NS0_6detail11ClampLimitsEENKUlvE_clEvENKUlvE0_clEvEUlaE_St5arrayIPcLm2EEEEviT0_T1_: ; @_ZN2at6native29vectorized_elementwise_kernelILi8EZZZNS0_12_GLOBAL__N_119launch_clamp_scalarERNS_18TensorIteratorBaseEN3c106ScalarES6_NS0_6detail11ClampLimitsEENKUlvE_clEvENKUlvE0_clEvEUlaE_St5arrayIPcLm2EEEEviT0_T1_
; %bb.0:
	s_clause 0x1
	s_load_b96 s[8:10], s[0:1], 0x0
	s_load_b128 s[4:7], s[0:1], 0x10
	s_wait_xcnt 0x0
	s_bfe_u32 s0, ttmp6, 0x4000c
	s_and_b32 s1, ttmp6, 15
	s_add_co_i32 s0, s0, 1
	s_getreg_b32 s2, hwreg(HW_REG_IB_STS2, 6, 4)
	s_mul_i32 s0, ttmp9, s0
	s_mov_b32 s3, -1
	s_add_co_i32 s1, s1, s0
	s_cmp_eq_u32 s2, 0
	s_cselect_b32 s0, ttmp9, s1
	s_delay_alu instid0(SALU_CYCLE_1) | instskip(SKIP_3) | instid1(SALU_CYCLE_1)
	s_lshl_b32 s2, s0, 12
	s_mov_b32 s0, 0
	s_wait_kmcnt 0x0
	s_sub_co_i32 s1, s8, s2
	s_cmp_gt_i32 s1, 0xfff
	s_cbranch_scc0 .LBB177_177
; %bb.1:
	s_ashr_i32 s3, s2, 31
	s_cmp_lt_i32 s9, 1
	s_add_nc_u64 s[12:13], s[6:7], s[2:3]
	s_clause 0x1
	global_load_b64 v[4:5], v0, s[12:13] scale_offset
	global_load_b64 v[2:3], v0, s[12:13] offset:2048 scale_offset
	s_cbranch_scc1 .LBB177_4
; %bb.2:
	s_cmp_eq_u32 s9, 1
	s_cbranch_scc0 .LBB177_5
; %bb.3:
	s_wait_loadcnt 0x1
	v_bfe_i32 v1, v4, 0, 8
	s_bfe_i32 s0, s10, 0x80000
	s_delay_alu instid0(VALU_DEP_1) | instid1(SALU_CYCLE_1)
	v_min_i16 v1, v1, s0
	s_mov_b32 s0, 0
	s_branch .LBB177_6
.LBB177_4:
                                        ; implicit-def: $vgpr1
	s_mov_b32 s8, 0
	s_cbranch_execnz .LBB177_7
	s_branch .LBB177_8
.LBB177_5:
	s_mov_b32 s0, -1
                                        ; implicit-def: $vgpr1
.LBB177_6:
	s_mov_b32 s8, 0
	s_branch .LBB177_8
.LBB177_7:
	s_cmp_lg_u32 s9, 0
	s_mov_b32 s8, -1
	s_cselect_b32 s0, -1, 0
.LBB177_8:
	s_wait_loadcnt 0x1
	v_bfe_i32 v6, v4, 0, 8
	s_and_not1_b32 vcc_lo, exec_lo, s0
	s_lshr_b32 s0, s10, 8
	s_cbranch_vccz .LBB177_13
; %bb.9:
	s_and_not1_b32 vcc_lo, exec_lo, s8
	s_cbranch_vccz .LBB177_14
.LBB177_10:
	v_lshrrev_b32_e32 v7, 8, v4
	s_cmp_lt_i32 s9, 1
	s_mov_b32 s8, 0
	s_cbranch_scc1 .LBB177_15
.LBB177_11:
	s_cmp_eq_u32 s9, 1
	s_cbranch_scc0 .LBB177_16
; %bb.12:
	v_bfe_i32 v6, v7, 0, 8
	s_bfe_i32 s11, s10, 0x80000
	s_delay_alu instid0(VALU_DEP_1) | instid1(SALU_CYCLE_1)
	v_min_i16 v6, v6, s11
	s_mov_b32 s11, 0
	s_branch .LBB177_17
.LBB177_13:
	s_bfe_i32 s8, s10, 0x80000
	s_delay_alu instid0(SALU_CYCLE_1)
	v_max_i16 v1, v6, s8
	s_bfe_i32 s8, s0, 0x80000
	s_delay_alu instid0(VALU_DEP_1) | instid1(SALU_CYCLE_1)
	v_min_i16 v1, v1, s8
	s_cbranch_execnz .LBB177_10
.LBB177_14:
	s_bfe_i32 s8, s10, 0x80000
	s_delay_alu instid0(SALU_CYCLE_1)
	v_max_i16 v1, v6, s8
	v_lshrrev_b32_e32 v7, 8, v4
	s_cmp_lt_i32 s9, 1
	s_mov_b32 s8, 0
	s_cbranch_scc0 .LBB177_11
.LBB177_15:
	s_wait_xcnt 0x0
	s_mov_b32 s11, 0
                                        ; implicit-def: $vgpr6
	s_cbranch_execnz .LBB177_18
	s_branch .LBB177_19
.LBB177_16:
	s_mov_b32 s11, -1
                                        ; implicit-def: $vgpr6
.LBB177_17:
	s_wait_xcnt 0x0
	s_branch .LBB177_19
.LBB177_18:
	s_cmp_lg_u32 s9, 0
	s_mov_b32 s8, -1
	s_cselect_b32 s11, -1, 0
.LBB177_19:
	v_bfe_i32 v7, v7, 0, 8
	s_and_not1_b32 vcc_lo, exec_lo, s11
	s_cbranch_vccz .LBB177_24
; %bb.20:
	s_and_not1_b32 vcc_lo, exec_lo, s8
	s_cbranch_vccz .LBB177_25
.LBB177_21:
	v_lshrrev_b32_e32 v8, 16, v4
	s_cmp_lt_i32 s9, 1
	s_mov_b32 s8, 0
	s_cbranch_scc1 .LBB177_26
.LBB177_22:
	s_cmp_eq_u32 s9, 1
	s_cbranch_scc0 .LBB177_27
; %bb.23:
	v_bfe_i32 v7, v8, 0, 8
	s_bfe_i32 s11, s10, 0x80000
	s_delay_alu instid0(VALU_DEP_1) | instid1(SALU_CYCLE_1)
	v_min_i16 v7, v7, s11
	s_mov_b32 s11, 0
	s_branch .LBB177_28
.LBB177_24:
	s_bfe_i32 s8, s10, 0x80000
	s_delay_alu instid0(VALU_DEP_1) | instid1(SALU_CYCLE_1)
	v_max_i16 v6, v7, s8
	s_bfe_i32 s8, s0, 0x80000
	s_delay_alu instid0(VALU_DEP_1) | instid1(SALU_CYCLE_1)
	v_min_i16 v6, v6, s8
	s_cbranch_execnz .LBB177_21
.LBB177_25:
	s_bfe_i32 s8, s10, 0x80000
	s_delay_alu instid0(SALU_CYCLE_1)
	v_max_i16 v6, v7, s8
	v_lshrrev_b32_e32 v8, 16, v4
	s_cmp_lt_i32 s9, 1
	s_mov_b32 s8, 0
	s_cbranch_scc0 .LBB177_22
.LBB177_26:
	s_mov_b32 s11, 0
                                        ; implicit-def: $vgpr7
	s_cbranch_execnz .LBB177_29
	s_branch .LBB177_30
.LBB177_27:
	s_mov_b32 s11, -1
                                        ; implicit-def: $vgpr7
.LBB177_28:
	s_branch .LBB177_30
.LBB177_29:
	s_cmp_lg_u32 s9, 0
	s_mov_b32 s8, -1
	s_cselect_b32 s11, -1, 0
.LBB177_30:
	v_bfe_i32 v8, v8, 0, 8
	s_and_not1_b32 vcc_lo, exec_lo, s11
	s_cbranch_vccz .LBB177_35
; %bb.31:
	s_and_not1_b32 vcc_lo, exec_lo, s8
	s_cbranch_vccz .LBB177_36
.LBB177_32:
	v_lshrrev_b32_e32 v8, 24, v4
	s_cmp_lt_i32 s9, 1
	s_mov_b32 s8, 0
	s_cbranch_scc1 .LBB177_37
.LBB177_33:
	s_cmp_eq_u32 s9, 1
	s_cbranch_scc0 .LBB177_38
; %bb.34:
	v_bfe_i32 v4, v8, 0, 8
	s_bfe_i32 s11, s10, 0x80000
	s_delay_alu instid0(VALU_DEP_1) | instid1(SALU_CYCLE_1)
	v_min_i16 v4, v4, s11
	s_mov_b32 s11, 0
	s_branch .LBB177_39
.LBB177_35:
	s_bfe_i32 s8, s10, 0x80000
	s_delay_alu instid0(VALU_DEP_1) | instid1(SALU_CYCLE_1)
	v_max_i16 v7, v8, s8
	s_bfe_i32 s8, s0, 0x80000
	s_delay_alu instid0(VALU_DEP_1) | instid1(SALU_CYCLE_1)
	v_min_i16 v7, v7, s8
	s_cbranch_execnz .LBB177_32
.LBB177_36:
	s_bfe_i32 s8, s10, 0x80000
	s_delay_alu instid0(SALU_CYCLE_1)
	v_max_i16 v7, v8, s8
	v_lshrrev_b32_e32 v8, 24, v4
	s_cmp_lt_i32 s9, 1
	s_mov_b32 s8, 0
	s_cbranch_scc0 .LBB177_33
.LBB177_37:
	s_mov_b32 s11, 0
                                        ; implicit-def: $vgpr4
	s_cbranch_execnz .LBB177_40
	s_branch .LBB177_41
.LBB177_38:
	s_mov_b32 s11, -1
                                        ; implicit-def: $vgpr4
.LBB177_39:
	s_branch .LBB177_41
.LBB177_40:
	s_cmp_lg_u32 s9, 0
	s_mov_b32 s8, -1
	s_cselect_b32 s11, -1, 0
.LBB177_41:
	v_bfe_i32 v8, v8, 0, 8
	s_and_not1_b32 vcc_lo, exec_lo, s11
	s_cbranch_vccz .LBB177_46
; %bb.42:
	s_and_not1_b32 vcc_lo, exec_lo, s8
	s_cbranch_vccz .LBB177_47
.LBB177_43:
	s_cmp_lt_i32 s9, 1
	s_mov_b32 s8, 0
	s_cbranch_scc1 .LBB177_48
.LBB177_44:
	s_cmp_eq_u32 s9, 1
	s_cbranch_scc0 .LBB177_49
; %bb.45:
	v_bfe_i32 v8, v5, 0, 8
	s_bfe_i32 s11, s10, 0x80000
	s_delay_alu instid0(VALU_DEP_1) | instid1(SALU_CYCLE_1)
	v_min_i16 v8, v8, s11
	s_mov_b32 s11, 0
	s_branch .LBB177_50
.LBB177_46:
	s_bfe_i32 s8, s10, 0x80000
	s_delay_alu instid0(VALU_DEP_1) | instid1(SALU_CYCLE_1)
	v_max_i16 v4, v8, s8
	s_bfe_i32 s8, s0, 0x80000
	s_delay_alu instid0(VALU_DEP_1) | instid1(SALU_CYCLE_1)
	v_min_i16 v4, v4, s8
	s_cbranch_execnz .LBB177_43
.LBB177_47:
	s_bfe_i32 s8, s10, 0x80000
	s_delay_alu instid0(SALU_CYCLE_1)
	v_max_i16 v4, v8, s8
	s_cmp_lt_i32 s9, 1
	s_mov_b32 s8, 0
	s_cbranch_scc0 .LBB177_44
.LBB177_48:
	s_mov_b32 s11, 0
                                        ; implicit-def: $vgpr8
	s_cbranch_execnz .LBB177_51
	s_branch .LBB177_52
.LBB177_49:
	s_mov_b32 s11, -1
                                        ; implicit-def: $vgpr8
.LBB177_50:
	s_branch .LBB177_52
.LBB177_51:
	s_cmp_lg_u32 s9, 0
	s_mov_b32 s8, -1
	s_cselect_b32 s11, -1, 0
.LBB177_52:
	v_bfe_i32 v9, v5, 0, 8
	s_and_not1_b32 vcc_lo, exec_lo, s11
	s_cbranch_vccz .LBB177_57
; %bb.53:
	s_and_not1_b32 vcc_lo, exec_lo, s8
	s_cbranch_vccz .LBB177_58
.LBB177_54:
	v_lshrrev_b32_e32 v10, 8, v5
	s_cmp_lt_i32 s9, 1
	s_mov_b32 s8, 0
	s_cbranch_scc1 .LBB177_59
.LBB177_55:
	s_cmp_eq_u32 s9, 1
	s_cbranch_scc0 .LBB177_60
; %bb.56:
	v_bfe_i32 v9, v10, 0, 8
	s_bfe_i32 s11, s10, 0x80000
	s_delay_alu instid0(VALU_DEP_1) | instid1(SALU_CYCLE_1)
	v_min_i16 v9, v9, s11
	s_mov_b32 s11, 0
	s_branch .LBB177_61
.LBB177_57:
	s_bfe_i32 s8, s10, 0x80000
	s_delay_alu instid0(VALU_DEP_1) | instid1(SALU_CYCLE_1)
	v_max_i16 v8, v9, s8
	s_bfe_i32 s8, s0, 0x80000
	s_delay_alu instid0(VALU_DEP_1) | instid1(SALU_CYCLE_1)
	v_min_i16 v8, v8, s8
	s_cbranch_execnz .LBB177_54
.LBB177_58:
	s_bfe_i32 s8, s10, 0x80000
	s_delay_alu instid0(SALU_CYCLE_1)
	v_max_i16 v8, v9, s8
	v_lshrrev_b32_e32 v10, 8, v5
	s_cmp_lt_i32 s9, 1
	s_mov_b32 s8, 0
	s_cbranch_scc0 .LBB177_55
.LBB177_59:
	s_mov_b32 s11, 0
                                        ; implicit-def: $vgpr9
	s_cbranch_execnz .LBB177_62
	s_branch .LBB177_63
.LBB177_60:
	s_mov_b32 s11, -1
                                        ; implicit-def: $vgpr9
.LBB177_61:
	s_branch .LBB177_63
.LBB177_62:
	s_cmp_lg_u32 s9, 0
	s_mov_b32 s8, -1
	s_cselect_b32 s11, -1, 0
.LBB177_63:
	v_bfe_i32 v10, v10, 0, 8
	s_and_not1_b32 vcc_lo, exec_lo, s11
	s_cbranch_vccz .LBB177_68
; %bb.64:
	s_and_not1_b32 vcc_lo, exec_lo, s8
	s_cbranch_vccz .LBB177_69
.LBB177_65:
	v_lshrrev_b32_e32 v11, 16, v5
	s_cmp_lt_i32 s9, 1
	s_mov_b32 s8, 0
	s_cbranch_scc1 .LBB177_70
.LBB177_66:
	s_cmp_eq_u32 s9, 1
	s_cbranch_scc0 .LBB177_71
; %bb.67:
	v_bfe_i32 v10, v11, 0, 8
	s_bfe_i32 s11, s10, 0x80000
	s_delay_alu instid0(VALU_DEP_1) | instid1(SALU_CYCLE_1)
	v_min_i16 v10, v10, s11
	s_mov_b32 s11, 0
	s_branch .LBB177_72
.LBB177_68:
	s_bfe_i32 s8, s10, 0x80000
	s_delay_alu instid0(VALU_DEP_1) | instid1(SALU_CYCLE_1)
	v_max_i16 v9, v10, s8
	s_bfe_i32 s8, s0, 0x80000
	s_delay_alu instid0(VALU_DEP_1) | instid1(SALU_CYCLE_1)
	v_min_i16 v9, v9, s8
	s_cbranch_execnz .LBB177_65
.LBB177_69:
	s_bfe_i32 s8, s10, 0x80000
	s_delay_alu instid0(SALU_CYCLE_1)
	v_max_i16 v9, v10, s8
	v_lshrrev_b32_e32 v11, 16, v5
	s_cmp_lt_i32 s9, 1
	s_mov_b32 s8, 0
	s_cbranch_scc0 .LBB177_66
.LBB177_70:
	s_mov_b32 s11, 0
                                        ; implicit-def: $vgpr10
	s_cbranch_execnz .LBB177_73
	s_branch .LBB177_74
.LBB177_71:
	s_mov_b32 s11, -1
                                        ; implicit-def: $vgpr10
.LBB177_72:
	s_branch .LBB177_74
.LBB177_73:
	s_cmp_lg_u32 s9, 0
	s_mov_b32 s8, -1
	s_cselect_b32 s11, -1, 0
.LBB177_74:
	v_bfe_i32 v11, v11, 0, 8
	s_and_not1_b32 vcc_lo, exec_lo, s11
	s_cbranch_vccz .LBB177_79
; %bb.75:
	s_and_not1_b32 vcc_lo, exec_lo, s8
	s_cbranch_vccz .LBB177_80
.LBB177_76:
	v_lshrrev_b32_e32 v11, 24, v5
	s_cmp_lt_i32 s9, 1
	s_mov_b32 s8, 0
	s_cbranch_scc1 .LBB177_81
.LBB177_77:
	s_cmp_eq_u32 s9, 1
	s_cbranch_scc0 .LBB177_82
; %bb.78:
	v_bfe_i32 v5, v11, 0, 8
	s_bfe_i32 s11, s10, 0x80000
	s_delay_alu instid0(VALU_DEP_1) | instid1(SALU_CYCLE_1)
	v_min_i16 v5, v5, s11
	s_mov_b32 s11, 0
	s_branch .LBB177_83
.LBB177_79:
	s_bfe_i32 s8, s10, 0x80000
	s_delay_alu instid0(VALU_DEP_1) | instid1(SALU_CYCLE_1)
	v_max_i16 v10, v11, s8
	s_bfe_i32 s8, s0, 0x80000
	s_delay_alu instid0(VALU_DEP_1) | instid1(SALU_CYCLE_1)
	v_min_i16 v10, v10, s8
	s_cbranch_execnz .LBB177_76
.LBB177_80:
	s_bfe_i32 s8, s10, 0x80000
	s_delay_alu instid0(SALU_CYCLE_1)
	v_max_i16 v10, v11, s8
	v_lshrrev_b32_e32 v11, 24, v5
	s_cmp_lt_i32 s9, 1
	s_mov_b32 s8, 0
	s_cbranch_scc0 .LBB177_77
.LBB177_81:
	s_mov_b32 s11, 0
                                        ; implicit-def: $vgpr5
	s_cbranch_execnz .LBB177_84
	s_branch .LBB177_85
.LBB177_82:
	s_mov_b32 s11, -1
                                        ; implicit-def: $vgpr5
.LBB177_83:
	s_branch .LBB177_85
.LBB177_84:
	s_cmp_lg_u32 s9, 0
	s_mov_b32 s8, -1
	s_cselect_b32 s11, -1, 0
.LBB177_85:
	v_bfe_i32 v11, v11, 0, 8
	s_and_not1_b32 vcc_lo, exec_lo, s11
	s_cbranch_vccz .LBB177_90
; %bb.86:
	s_and_not1_b32 vcc_lo, exec_lo, s8
	s_cbranch_vccz .LBB177_91
.LBB177_87:
	s_cmp_lt_i32 s9, 1
	s_mov_b32 s8, 0
	s_cbranch_scc1 .LBB177_92
.LBB177_88:
	s_cmp_eq_u32 s9, 1
	s_cbranch_scc0 .LBB177_93
; %bb.89:
	s_wait_loadcnt 0x0
	v_bfe_i32 v11, v2, 0, 8
	s_bfe_i32 s11, s10, 0x80000
	s_delay_alu instid0(VALU_DEP_1) | instid1(SALU_CYCLE_1)
	v_min_i16 v11, v11, s11
	s_mov_b32 s11, 0
	s_branch .LBB177_94
.LBB177_90:
	s_bfe_i32 s8, s10, 0x80000
	s_delay_alu instid0(VALU_DEP_1) | instid1(SALU_CYCLE_1)
	v_max_i16 v5, v11, s8
	s_bfe_i32 s8, s0, 0x80000
	s_delay_alu instid0(VALU_DEP_1) | instid1(SALU_CYCLE_1)
	v_min_i16 v5, v5, s8
	s_cbranch_execnz .LBB177_87
.LBB177_91:
	s_bfe_i32 s8, s10, 0x80000
	s_delay_alu instid0(SALU_CYCLE_1)
	v_max_i16 v5, v11, s8
	s_cmp_lt_i32 s9, 1
	s_mov_b32 s8, 0
	s_cbranch_scc0 .LBB177_88
.LBB177_92:
	s_mov_b32 s11, 0
                                        ; implicit-def: $vgpr11
	s_cbranch_execnz .LBB177_95
	s_branch .LBB177_96
.LBB177_93:
	s_mov_b32 s11, -1
                                        ; implicit-def: $vgpr11
.LBB177_94:
	s_branch .LBB177_96
.LBB177_95:
	s_cmp_lg_u32 s9, 0
	s_mov_b32 s8, -1
	s_cselect_b32 s11, -1, 0
.LBB177_96:
	s_wait_loadcnt 0x0
	v_bfe_i32 v12, v2, 0, 8
	s_and_not1_b32 vcc_lo, exec_lo, s11
	s_cbranch_vccz .LBB177_101
; %bb.97:
	s_and_not1_b32 vcc_lo, exec_lo, s8
	s_cbranch_vccz .LBB177_102
.LBB177_98:
	v_lshrrev_b32_e32 v13, 8, v2
	s_cmp_lt_i32 s9, 1
	s_mov_b32 s8, 0
	s_cbranch_scc1 .LBB177_103
.LBB177_99:
	s_cmp_eq_u32 s9, 1
	s_cbranch_scc0 .LBB177_104
; %bb.100:
	v_bfe_i32 v12, v13, 0, 8
	s_bfe_i32 s11, s10, 0x80000
	s_delay_alu instid0(VALU_DEP_1) | instid1(SALU_CYCLE_1)
	v_min_i16 v12, v12, s11
	s_mov_b32 s11, 0
	s_branch .LBB177_105
.LBB177_101:
	s_bfe_i32 s8, s10, 0x80000
	s_delay_alu instid0(VALU_DEP_1) | instid1(SALU_CYCLE_1)
	v_max_i16 v11, v12, s8
	s_bfe_i32 s8, s0, 0x80000
	s_delay_alu instid0(VALU_DEP_1) | instid1(SALU_CYCLE_1)
	v_min_i16 v11, v11, s8
	s_cbranch_execnz .LBB177_98
.LBB177_102:
	s_bfe_i32 s8, s10, 0x80000
	s_delay_alu instid0(SALU_CYCLE_1)
	v_max_i16 v11, v12, s8
	v_lshrrev_b32_e32 v13, 8, v2
	s_cmp_lt_i32 s9, 1
	s_mov_b32 s8, 0
	s_cbranch_scc0 .LBB177_99
.LBB177_103:
	s_mov_b32 s11, 0
                                        ; implicit-def: $vgpr12
	s_cbranch_execnz .LBB177_106
	s_branch .LBB177_107
.LBB177_104:
	s_mov_b32 s11, -1
                                        ; implicit-def: $vgpr12
.LBB177_105:
	s_branch .LBB177_107
.LBB177_106:
	s_cmp_lg_u32 s9, 0
	s_mov_b32 s8, -1
	s_cselect_b32 s11, -1, 0
.LBB177_107:
	v_bfe_i32 v13, v13, 0, 8
	s_and_not1_b32 vcc_lo, exec_lo, s11
	s_cbranch_vccz .LBB177_112
; %bb.108:
	s_and_not1_b32 vcc_lo, exec_lo, s8
	s_cbranch_vccz .LBB177_113
.LBB177_109:
	v_lshrrev_b32_e32 v14, 16, v2
	s_cmp_lt_i32 s9, 1
	s_mov_b32 s8, 0
	s_cbranch_scc1 .LBB177_114
.LBB177_110:
	s_cmp_eq_u32 s9, 1
	s_cbranch_scc0 .LBB177_115
; %bb.111:
	v_bfe_i32 v13, v14, 0, 8
	s_bfe_i32 s11, s10, 0x80000
	s_delay_alu instid0(VALU_DEP_1) | instid1(SALU_CYCLE_1)
	v_min_i16 v13, v13, s11
	s_mov_b32 s11, 0
	s_branch .LBB177_116
.LBB177_112:
	s_bfe_i32 s8, s10, 0x80000
	s_delay_alu instid0(VALU_DEP_1) | instid1(SALU_CYCLE_1)
	v_max_i16 v12, v13, s8
	s_bfe_i32 s8, s0, 0x80000
	s_delay_alu instid0(VALU_DEP_1) | instid1(SALU_CYCLE_1)
	v_min_i16 v12, v12, s8
	s_cbranch_execnz .LBB177_109
.LBB177_113:
	s_bfe_i32 s8, s10, 0x80000
	s_delay_alu instid0(SALU_CYCLE_1)
	v_max_i16 v12, v13, s8
	v_lshrrev_b32_e32 v14, 16, v2
	s_cmp_lt_i32 s9, 1
	s_mov_b32 s8, 0
	s_cbranch_scc0 .LBB177_110
.LBB177_114:
	s_mov_b32 s11, 0
                                        ; implicit-def: $vgpr13
	s_cbranch_execnz .LBB177_117
	s_branch .LBB177_118
.LBB177_115:
	s_mov_b32 s11, -1
                                        ; implicit-def: $vgpr13
.LBB177_116:
	s_branch .LBB177_118
.LBB177_117:
	s_cmp_lg_u32 s9, 0
	s_mov_b32 s8, -1
	s_cselect_b32 s11, -1, 0
.LBB177_118:
	v_bfe_i32 v14, v14, 0, 8
	s_and_not1_b32 vcc_lo, exec_lo, s11
	s_cbranch_vccz .LBB177_123
; %bb.119:
	s_and_not1_b32 vcc_lo, exec_lo, s8
	s_cbranch_vccz .LBB177_124
.LBB177_120:
	v_lshrrev_b32_e32 v14, 24, v2
	s_cmp_lt_i32 s9, 1
	s_mov_b32 s8, 0
	s_cbranch_scc1 .LBB177_125
.LBB177_121:
	s_cmp_eq_u32 s9, 1
	s_cbranch_scc0 .LBB177_126
; %bb.122:
	v_bfe_i32 v2, v14, 0, 8
	s_bfe_i32 s11, s10, 0x80000
	s_delay_alu instid0(VALU_DEP_1) | instid1(SALU_CYCLE_1)
	v_min_i16 v2, v2, s11
	s_mov_b32 s11, 0
	s_branch .LBB177_127
.LBB177_123:
	s_bfe_i32 s8, s10, 0x80000
	s_delay_alu instid0(VALU_DEP_1) | instid1(SALU_CYCLE_1)
	v_max_i16 v13, v14, s8
	s_bfe_i32 s8, s0, 0x80000
	s_delay_alu instid0(VALU_DEP_1) | instid1(SALU_CYCLE_1)
	v_min_i16 v13, v13, s8
	s_cbranch_execnz .LBB177_120
.LBB177_124:
	s_bfe_i32 s8, s10, 0x80000
	s_delay_alu instid0(SALU_CYCLE_1)
	v_max_i16 v13, v14, s8
	v_lshrrev_b32_e32 v14, 24, v2
	s_cmp_lt_i32 s9, 1
	s_mov_b32 s8, 0
	s_cbranch_scc0 .LBB177_121
.LBB177_125:
	s_mov_b32 s11, 0
                                        ; implicit-def: $vgpr2
	s_cbranch_execnz .LBB177_128
	s_branch .LBB177_129
.LBB177_126:
	s_mov_b32 s11, -1
                                        ; implicit-def: $vgpr2
.LBB177_127:
	s_branch .LBB177_129
.LBB177_128:
	s_cmp_lg_u32 s9, 0
	s_mov_b32 s8, -1
	s_cselect_b32 s11, -1, 0
.LBB177_129:
	v_bfe_i32 v14, v14, 0, 8
	s_and_not1_b32 vcc_lo, exec_lo, s11
	s_cbranch_vccz .LBB177_134
; %bb.130:
	s_and_not1_b32 vcc_lo, exec_lo, s8
	s_cbranch_vccz .LBB177_135
.LBB177_131:
	s_cmp_lt_i32 s9, 1
	s_mov_b32 s8, 0
	s_cbranch_scc1 .LBB177_136
.LBB177_132:
	s_cmp_eq_u32 s9, 1
	s_cbranch_scc0 .LBB177_137
; %bb.133:
	v_bfe_i32 v14, v3, 0, 8
	s_bfe_i32 s11, s10, 0x80000
	s_delay_alu instid0(VALU_DEP_1) | instid1(SALU_CYCLE_1)
	v_min_i16 v14, v14, s11
	s_mov_b32 s11, 0
	s_branch .LBB177_138
.LBB177_134:
	s_bfe_i32 s8, s10, 0x80000
	s_delay_alu instid0(VALU_DEP_1) | instid1(SALU_CYCLE_1)
	v_max_i16 v2, v14, s8
	s_bfe_i32 s8, s0, 0x80000
	s_delay_alu instid0(VALU_DEP_1) | instid1(SALU_CYCLE_1)
	v_min_i16 v2, v2, s8
	s_cbranch_execnz .LBB177_131
.LBB177_135:
	s_bfe_i32 s8, s10, 0x80000
	s_delay_alu instid0(SALU_CYCLE_1)
	v_max_i16 v2, v14, s8
	s_cmp_lt_i32 s9, 1
	s_mov_b32 s8, 0
	s_cbranch_scc0 .LBB177_132
.LBB177_136:
	s_mov_b32 s11, 0
                                        ; implicit-def: $vgpr14
	s_cbranch_execnz .LBB177_139
	s_branch .LBB177_140
.LBB177_137:
	s_mov_b32 s11, -1
                                        ; implicit-def: $vgpr14
.LBB177_138:
	s_branch .LBB177_140
.LBB177_139:
	s_cmp_lg_u32 s9, 0
	s_mov_b32 s8, -1
	s_cselect_b32 s11, -1, 0
.LBB177_140:
	v_bfe_i32 v15, v3, 0, 8
	s_and_not1_b32 vcc_lo, exec_lo, s11
	s_cbranch_vccz .LBB177_145
; %bb.141:
	s_and_not1_b32 vcc_lo, exec_lo, s8
	s_cbranch_vccz .LBB177_146
.LBB177_142:
	v_lshrrev_b32_e32 v16, 8, v3
	s_cmp_lt_i32 s9, 1
	s_mov_b32 s8, 0
	s_cbranch_scc1 .LBB177_147
.LBB177_143:
	s_cmp_eq_u32 s9, 1
	s_cbranch_scc0 .LBB177_148
; %bb.144:
	v_bfe_i32 v15, v16, 0, 8
	s_bfe_i32 s11, s10, 0x80000
	s_delay_alu instid0(VALU_DEP_1) | instid1(SALU_CYCLE_1)
	v_min_i16 v15, v15, s11
	s_mov_b32 s11, 0
	s_branch .LBB177_149
.LBB177_145:
	s_bfe_i32 s8, s10, 0x80000
	s_delay_alu instid0(VALU_DEP_1) | instid1(SALU_CYCLE_1)
	v_max_i16 v14, v15, s8
	s_bfe_i32 s8, s0, 0x80000
	s_delay_alu instid0(VALU_DEP_1) | instid1(SALU_CYCLE_1)
	v_min_i16 v14, v14, s8
	s_cbranch_execnz .LBB177_142
.LBB177_146:
	s_bfe_i32 s8, s10, 0x80000
	s_delay_alu instid0(SALU_CYCLE_1)
	v_max_i16 v14, v15, s8
	v_lshrrev_b32_e32 v16, 8, v3
	s_cmp_lt_i32 s9, 1
	s_mov_b32 s8, 0
	s_cbranch_scc0 .LBB177_143
.LBB177_147:
	s_mov_b32 s11, 0
                                        ; implicit-def: $vgpr15
	s_cbranch_execnz .LBB177_150
	s_branch .LBB177_151
.LBB177_148:
	s_mov_b32 s11, -1
                                        ; implicit-def: $vgpr15
.LBB177_149:
	s_branch .LBB177_151
.LBB177_150:
	s_cmp_lg_u32 s9, 0
	s_mov_b32 s8, -1
	s_cselect_b32 s11, -1, 0
.LBB177_151:
	v_bfe_i32 v16, v16, 0, 8
	s_and_not1_b32 vcc_lo, exec_lo, s11
	s_cbranch_vccz .LBB177_156
; %bb.152:
	s_and_not1_b32 vcc_lo, exec_lo, s8
	s_cbranch_vccz .LBB177_157
.LBB177_153:
	v_lshrrev_b32_e32 v17, 16, v3
	s_cmp_lt_i32 s9, 1
	s_mov_b32 s8, 0
	s_cbranch_scc1 .LBB177_158
.LBB177_154:
	s_cmp_eq_u32 s9, 1
	s_cbranch_scc0 .LBB177_159
; %bb.155:
	v_bfe_i32 v16, v17, 0, 8
	s_bfe_i32 s11, s10, 0x80000
	s_delay_alu instid0(VALU_DEP_1) | instid1(SALU_CYCLE_1)
	v_min_i16 v16, v16, s11
	s_mov_b32 s11, 0
	s_branch .LBB177_160
.LBB177_156:
	s_bfe_i32 s8, s10, 0x80000
	s_delay_alu instid0(VALU_DEP_1) | instid1(SALU_CYCLE_1)
	v_max_i16 v15, v16, s8
	s_bfe_i32 s8, s0, 0x80000
	s_delay_alu instid0(VALU_DEP_1) | instid1(SALU_CYCLE_1)
	v_min_i16 v15, v15, s8
	s_cbranch_execnz .LBB177_153
.LBB177_157:
	s_bfe_i32 s8, s10, 0x80000
	s_delay_alu instid0(SALU_CYCLE_1)
	v_max_i16 v15, v16, s8
	v_lshrrev_b32_e32 v17, 16, v3
	s_cmp_lt_i32 s9, 1
	s_mov_b32 s8, 0
	s_cbranch_scc0 .LBB177_154
.LBB177_158:
	s_mov_b32 s11, 0
                                        ; implicit-def: $vgpr16
	s_cbranch_execnz .LBB177_161
	s_branch .LBB177_162
.LBB177_159:
	s_mov_b32 s11, -1
                                        ; implicit-def: $vgpr16
.LBB177_160:
	s_branch .LBB177_162
.LBB177_161:
	s_cmp_lg_u32 s9, 0
	s_mov_b32 s8, -1
	s_cselect_b32 s11, -1, 0
.LBB177_162:
	v_bfe_i32 v17, v17, 0, 8
	s_and_not1_b32 vcc_lo, exec_lo, s11
	s_cbranch_vccz .LBB177_167
; %bb.163:
	s_and_not1_b32 vcc_lo, exec_lo, s8
	s_cbranch_vccz .LBB177_168
.LBB177_164:
	v_lshrrev_b32_e32 v17, 24, v3
	s_cmp_lt_i32 s9, 1
	s_mov_b32 s8, 0
	s_cbranch_scc1 .LBB177_169
.LBB177_165:
	s_cmp_eq_u32 s9, 1
	s_cbranch_scc0 .LBB177_170
; %bb.166:
	v_bfe_i32 v3, v17, 0, 8
	s_bfe_i32 s11, s10, 0x80000
	s_delay_alu instid0(VALU_DEP_1) | instid1(SALU_CYCLE_1)
	v_min_i16 v3, v3, s11
	s_mov_b32 s11, 0
	s_branch .LBB177_171
.LBB177_167:
	s_bfe_i32 s8, s10, 0x80000
	s_delay_alu instid0(VALU_DEP_1) | instid1(SALU_CYCLE_1)
	v_max_i16 v16, v17, s8
	s_bfe_i32 s8, s0, 0x80000
	s_delay_alu instid0(VALU_DEP_1) | instid1(SALU_CYCLE_1)
	v_min_i16 v16, v16, s8
	s_cbranch_execnz .LBB177_164
.LBB177_168:
	s_bfe_i32 s8, s10, 0x80000
	s_delay_alu instid0(SALU_CYCLE_1)
	v_max_i16 v16, v17, s8
	v_lshrrev_b32_e32 v17, 24, v3
	s_cmp_lt_i32 s9, 1
	s_mov_b32 s8, 0
	s_cbranch_scc0 .LBB177_165
.LBB177_169:
	s_mov_b32 s11, 0
                                        ; implicit-def: $vgpr3
	s_cbranch_execnz .LBB177_172
	s_branch .LBB177_173
.LBB177_170:
	s_mov_b32 s11, -1
                                        ; implicit-def: $vgpr3
.LBB177_171:
	s_branch .LBB177_173
.LBB177_172:
	s_cmp_lg_u32 s9, 0
	s_mov_b32 s8, -1
	s_cselect_b32 s11, -1, 0
.LBB177_173:
	v_bfe_i32 v17, v17, 0, 8
	s_and_not1_b32 vcc_lo, exec_lo, s11
	s_cbranch_vccz .LBB177_214
; %bb.174:
	s_and_not1_b32 vcc_lo, exec_lo, s8
	s_cbranch_vccnz .LBB177_176
.LBB177_175:
	s_bfe_i32 s0, s10, 0x80000
	s_delay_alu instid0(SALU_CYCLE_1)
	v_max_i16 v3, v17, s0
.LBB177_176:
	v_perm_b32 v8, v8, v9, 0xc0c0004
	v_perm_b32 v5, v10, v5, 0xc0c0004
	;; [unrolled: 1-line block ×8, first 2 shown]
	v_lshl_or_b32 v5, v5, 16, v8
	v_lshl_or_b32 v4, v4, 16, v1
	v_lshl_or_b32 v3, v3, 16, v14
	s_add_nc_u64 s[12:13], s[4:5], s[2:3]
	v_lshl_or_b32 v2, v2, 16, v11
	s_mov_b32 s3, 0
	s_clause 0x1
	global_store_b64 v0, v[4:5], s[12:13] scale_offset
	global_store_b64 v0, v[2:3], s[12:13] offset:2048 scale_offset
.LBB177_177:
	s_and_b32 vcc_lo, exec_lo, s3
	s_cbranch_vccz .LBB177_436
; %bb.178:
	v_cmp_gt_i32_e64 s0, s1, v0
	s_wait_xcnt 0x0
	v_dual_mov_b32 v2, 0 :: v_dual_bitop2_b32 v8, s2, v0 bitop3:0x54
	v_or_b32_e32 v9, 0x100, v0
	v_dual_mov_b32 v10, 0 :: v_dual_mov_b32 v11, 0
	v_dual_mov_b32 v12, 0 :: v_dual_mov_b32 v13, 0
	;; [unrolled: 1-line block ×8, first 2 shown]
	s_and_saveexec_b32 s3, s0
	s_cbranch_execz .LBB177_210
; %bb.179:
	global_load_u8 v23, v8, s[6:7]
	v_or_b32_e32 v1, 0x100, v0
	v_dual_mov_b32 v22, 0 :: v_dual_mov_b32 v5, 0
	v_dual_mov_b32 v6, 0 :: v_dual_mov_b32 v21, 0
	;; [unrolled: 1-line block ×7, first 2 shown]
	v_mov_b32_e32 v10, 0
	s_mov_b32 s8, exec_lo
	s_wait_xcnt 0x0
	v_cmpx_gt_u32_e64 s1, v1
	s_cbranch_execz .LBB177_209
; %bb.180:
	v_dual_mov_b32 v5, 0 :: v_dual_add_nc_u32 v4, s2, v0
	v_or_b32_e32 v1, 0x200, v0
	v_dual_mov_b32 v6, 0 :: v_dual_mov_b32 v21, 0
	global_load_u8 v22, v4, s[6:7] offset:256
	v_dual_mov_b32 v20, 0 :: v_dual_mov_b32 v19, 0
	v_dual_mov_b32 v18, 0 :: v_dual_mov_b32 v17, 0
	;; [unrolled: 1-line block ×5, first 2 shown]
	v_mov_b32_e32 v10, 0
	s_mov_b32 s11, exec_lo
	s_wait_xcnt 0x0
	v_cmpx_gt_u32_e64 s1, v1
	s_cbranch_execz .LBB177_208
; %bb.181:
	v_add_nc_u64_e32 v[6:7], s[6:7], v[4:5]
	v_or_b32_e32 v3, 0x300, v0
	v_dual_mov_b32 v21, 0 :: v_dual_mov_b32 v20, 0
	v_dual_mov_b32 v19, 0 :: v_dual_mov_b32 v18, 0
	;; [unrolled: 1-line block ×3, first 2 shown]
	global_load_u8 v1, v[6:7], off offset:512
	v_dual_mov_b32 v15, 0 :: v_dual_mov_b32 v14, 0
	v_dual_mov_b32 v13, 0 :: v_dual_mov_b32 v12, 0
	;; [unrolled: 1-line block ×3, first 2 shown]
	s_mov_b32 s6, exec_lo
	s_wait_xcnt 0x0
	v_cmpx_gt_u32_e64 s1, v3
	s_cbranch_execz .LBB177_207
; %bb.182:
	global_load_u8 v5, v[6:7], off offset:768
	v_or_b32_e32 v3, 0x400, v0
	v_dual_mov_b32 v21, 0 :: v_dual_mov_b32 v20, 0
	v_dual_mov_b32 v19, 0 :: v_dual_mov_b32 v18, 0
	;; [unrolled: 1-line block ×6, first 2 shown]
	s_mov_b32 s7, exec_lo
	s_wait_xcnt 0x0
	v_cmpx_gt_u32_e64 s1, v3
	s_cbranch_execz .LBB177_206
; %bb.183:
	global_load_u8 v21, v[6:7], off offset:1024
	v_or_b32_e32 v3, 0x500, v0
	v_dual_mov_b32 v20, 0 :: v_dual_mov_b32 v19, 0
	v_dual_mov_b32 v18, 0 :: v_dual_mov_b32 v17, 0
	;; [unrolled: 1-line block ×5, first 2 shown]
	v_mov_b32_e32 v10, 0
	s_mov_b32 s12, exec_lo
	s_wait_xcnt 0x0
	v_cmpx_gt_u32_e64 s1, v3
	s_cbranch_execz .LBB177_205
; %bb.184:
	global_load_u8 v20, v[6:7], off offset:1280
	v_or_b32_e32 v3, 0x600, v0
	v_dual_mov_b32 v19, 0 :: v_dual_mov_b32 v18, 0
	v_dual_mov_b32 v17, 0 :: v_dual_mov_b32 v16, 0
	v_dual_mov_b32 v15, 0 :: v_dual_mov_b32 v14, 0
	v_dual_mov_b32 v13, 0 :: v_dual_mov_b32 v12, 0
	v_dual_mov_b32 v11, 0 :: v_dual_mov_b32 v10, 0
	s_mov_b32 s13, exec_lo
	s_wait_xcnt 0x0
	v_cmpx_gt_u32_e64 s1, v3
	s_cbranch_execz .LBB177_204
; %bb.185:
	global_load_u8 v19, v[6:7], off offset:1536
	v_or_b32_e32 v3, 0x700, v0
	v_dual_mov_b32 v18, 0 :: v_dual_mov_b32 v17, 0
	v_dual_mov_b32 v16, 0 :: v_dual_mov_b32 v15, 0
	;; [unrolled: 1-line block ×4, first 2 shown]
	v_mov_b32_e32 v10, 0
	s_mov_b32 s14, exec_lo
	s_wait_xcnt 0x0
	v_cmpx_gt_u32_e64 s1, v3
	s_cbranch_execz .LBB177_203
; %bb.186:
	global_load_u8 v18, v[6:7], off offset:1792
	v_or_b32_e32 v3, 0x800, v0
	v_dual_mov_b32 v17, 0 :: v_dual_mov_b32 v16, 0
	v_dual_mov_b32 v15, 0 :: v_dual_mov_b32 v14, 0
	;; [unrolled: 1-line block ×4, first 2 shown]
	s_mov_b32 s15, exec_lo
	s_wait_xcnt 0x0
	v_cmpx_gt_u32_e64 s1, v3
	s_cbranch_execz .LBB177_202
; %bb.187:
	global_load_u8 v17, v[6:7], off offset:2048
	v_or_b32_e32 v3, 0x900, v0
	v_dual_mov_b32 v16, 0 :: v_dual_mov_b32 v15, 0
	v_dual_mov_b32 v14, 0 :: v_dual_mov_b32 v13, 0
	;; [unrolled: 1-line block ×3, first 2 shown]
	v_mov_b32_e32 v10, 0
	s_mov_b32 s16, exec_lo
	s_wait_xcnt 0x0
	v_cmpx_gt_u32_e64 s1, v3
	s_cbranch_execz .LBB177_201
; %bb.188:
	global_load_u8 v16, v[6:7], off offset:2304
	v_or_b32_e32 v3, 0xa00, v0
	v_dual_mov_b32 v15, 0 :: v_dual_mov_b32 v14, 0
	v_dual_mov_b32 v13, 0 :: v_dual_mov_b32 v12, 0
	;; [unrolled: 1-line block ×3, first 2 shown]
	s_mov_b32 s17, exec_lo
	s_wait_xcnt 0x0
	v_cmpx_gt_u32_e64 s1, v3
	s_cbranch_execz .LBB177_200
; %bb.189:
	global_load_u8 v15, v[6:7], off offset:2560
	v_or_b32_e32 v3, 0xb00, v0
	v_dual_mov_b32 v14, 0 :: v_dual_mov_b32 v13, 0
	v_dual_mov_b32 v12, 0 :: v_dual_mov_b32 v11, 0
	v_mov_b32_e32 v10, 0
	s_mov_b32 s18, exec_lo
	s_wait_xcnt 0x0
	v_cmpx_gt_u32_e64 s1, v3
	s_cbranch_execz .LBB177_199
; %bb.190:
	global_load_u8 v14, v[6:7], off offset:2816
	v_or_b32_e32 v3, 0xc00, v0
	v_dual_mov_b32 v13, 0 :: v_dual_mov_b32 v12, 0
	v_dual_mov_b32 v11, 0 :: v_dual_mov_b32 v10, 0
	s_mov_b32 s19, exec_lo
	s_wait_xcnt 0x0
	v_cmpx_gt_u32_e64 s1, v3
	s_cbranch_execz .LBB177_198
; %bb.191:
	global_load_u8 v13, v[6:7], off offset:3072
	v_or_b32_e32 v3, 0xd00, v0
	v_dual_mov_b32 v12, 0 :: v_dual_mov_b32 v11, 0
	v_mov_b32_e32 v10, 0
	s_mov_b32 s20, exec_lo
	s_wait_xcnt 0x0
	v_cmpx_gt_u32_e64 s1, v3
	s_cbranch_execz .LBB177_197
; %bb.192:
	global_load_u8 v12, v[6:7], off offset:3328
	v_or_b32_e32 v3, 0xe00, v0
	v_dual_mov_b32 v11, 0 :: v_dual_mov_b32 v10, 0
	s_mov_b32 s21, exec_lo
	s_wait_xcnt 0x0
	s_delay_alu instid0(VALU_DEP_2)
	v_cmpx_gt_u32_e64 s1, v3
	s_cbranch_execz .LBB177_196
; %bb.193:
	global_load_u8 v11, v[6:7], off offset:3584
	v_or_b32_e32 v3, 0xf00, v0
	v_mov_b32_e32 v10, 0
	s_mov_b32 s22, exec_lo
	s_wait_xcnt 0x0
	s_delay_alu instid0(VALU_DEP_2)
	v_cmpx_gt_u32_e64 s1, v3
	s_cbranch_execz .LBB177_195
; %bb.194:
	global_load_u8 v10, v[6:7], off offset:3840
.LBB177_195:
	s_wait_xcnt 0x0
	s_or_b32 exec_lo, exec_lo, s22
.LBB177_196:
	s_delay_alu instid0(SALU_CYCLE_1)
	s_or_b32 exec_lo, exec_lo, s21
.LBB177_197:
	s_delay_alu instid0(SALU_CYCLE_1)
	s_or_b32 exec_lo, exec_lo, s20
.LBB177_198:
	s_delay_alu instid0(SALU_CYCLE_1)
	s_or_b32 exec_lo, exec_lo, s19
.LBB177_199:
	s_delay_alu instid0(SALU_CYCLE_1)
	s_or_b32 exec_lo, exec_lo, s18
.LBB177_200:
	s_delay_alu instid0(SALU_CYCLE_1)
	s_or_b32 exec_lo, exec_lo, s17
.LBB177_201:
	s_delay_alu instid0(SALU_CYCLE_1)
	s_or_b32 exec_lo, exec_lo, s16
.LBB177_202:
	s_delay_alu instid0(SALU_CYCLE_1)
	s_or_b32 exec_lo, exec_lo, s15
.LBB177_203:
	s_delay_alu instid0(SALU_CYCLE_1)
	s_or_b32 exec_lo, exec_lo, s14
.LBB177_204:
	s_delay_alu instid0(SALU_CYCLE_1)
	s_or_b32 exec_lo, exec_lo, s13
.LBB177_205:
	s_delay_alu instid0(SALU_CYCLE_1)
	s_or_b32 exec_lo, exec_lo, s12
.LBB177_206:
	s_delay_alu instid0(SALU_CYCLE_1)
	s_or_b32 exec_lo, exec_lo, s7
.LBB177_207:
	s_delay_alu instid0(SALU_CYCLE_1)
	s_or_b32 exec_lo, exec_lo, s6
	s_wait_loadcnt 0x0
	v_dual_mov_b32 v6, v5 :: v_dual_mov_b32 v5, v1
.LBB177_208:
	s_or_b32 exec_lo, exec_lo, s11
.LBB177_209:
	s_delay_alu instid0(SALU_CYCLE_1)
	s_or_b32 exec_lo, exec_lo, s8
.LBB177_210:
	s_delay_alu instid0(SALU_CYCLE_1)
	s_or_b32 exec_lo, exec_lo, s3
	v_dual_mov_b32 v1, v2 :: v_dual_mov_b32 v4, v2
	v_mov_b32_e32 v3, v2
	s_lshr_b32 s3, s10, 8
	s_and_saveexec_b32 s6, s0
	s_cbranch_execz .LBB177_223
; %bb.211:
	s_cmp_lt_i32 s9, 1
	s_mov_b32 s7, 0
	s_cbranch_scc1 .LBB177_215
; %bb.212:
	s_cmp_eq_u32 s9, 1
	s_cbranch_scc0 .LBB177_216
; %bb.213:
	s_wait_loadcnt 0x0
	v_bfe_i32 v1, v23, 0, 8
	s_bfe_i32 s8, s10, 0x80000
	s_delay_alu instid0(VALU_DEP_1) | instid1(SALU_CYCLE_1)
	v_min_i16 v1, v1, s8
	s_mov_b32 s8, 0
	s_branch .LBB177_217
.LBB177_214:
	s_bfe_i32 s8, s10, 0x80000
	s_bfe_i32 s0, s0, 0x80000
	v_max_i16 v3, v17, s8
	s_delay_alu instid0(VALU_DEP_1)
	v_min_i16 v3, v3, s0
	s_cbranch_execz .LBB177_175
	s_branch .LBB177_176
.LBB177_215:
	s_mov_b32 s8, 0
                                        ; implicit-def: $vgpr1
	s_cbranch_execnz .LBB177_218
	s_branch .LBB177_219
.LBB177_216:
	s_mov_b32 s8, -1
                                        ; implicit-def: $vgpr1
.LBB177_217:
	s_branch .LBB177_219
.LBB177_218:
	s_cmp_lg_u32 s9, 0
	s_mov_b32 s7, -1
	s_cselect_b32 s8, -1, 0
.LBB177_219:
	s_wait_loadcnt 0x0
	v_bfe_i32 v2, v23, 0, 8
	s_and_not1_b32 vcc_lo, exec_lo, s8
	s_cbranch_vccz .LBB177_227
; %bb.220:
	s_and_not1_b32 vcc_lo, exec_lo, s7
	s_cbranch_vccnz .LBB177_222
.LBB177_221:
	s_bfe_i32 s7, s10, 0x80000
	s_delay_alu instid0(SALU_CYCLE_1)
	v_max_i16 v1, v2, s7
.LBB177_222:
	s_delay_alu instid0(VALU_DEP_1) | instskip(SKIP_1) | instid1(VALU_DEP_2)
	v_and_b32_e32 v2, 0xff, v1
	v_mov_b32_e32 v1, 0
	v_and_b32_e32 v2, 0xffff, v2
	s_delay_alu instid0(VALU_DEP_2)
	v_dual_mov_b32 v4, v1 :: v_dual_mov_b32 v3, v1
.LBB177_223:
	s_or_b32 exec_lo, exec_lo, s6
	s_delay_alu instid0(SALU_CYCLE_1)
	s_mov_b32 s6, exec_lo
	v_cmpx_gt_i32_e64 s1, v9
	s_cbranch_execz .LBB177_236
; %bb.224:
	s_cmp_lt_i32 s9, 1
	s_mov_b32 s7, 0
	s_cbranch_scc1 .LBB177_228
; %bb.225:
	s_cmp_eq_u32 s9, 1
	s_cbranch_scc0 .LBB177_229
; %bb.226:
	s_wait_loadcnt 0x0
	v_bfe_i32 v7, v22, 0, 8
	s_bfe_i32 s8, s10, 0x80000
	s_delay_alu instid0(VALU_DEP_1) | instid1(SALU_CYCLE_1)
	v_min_i16 v7, v7, s8
	s_mov_b32 s8, 0
	s_branch .LBB177_230
.LBB177_227:
	s_bfe_i32 s7, s10, 0x80000
	s_delay_alu instid0(VALU_DEP_1) | instid1(SALU_CYCLE_1)
	v_max_i16 v1, v2, s7
	s_bfe_i32 s7, s3, 0x80000
	s_delay_alu instid0(VALU_DEP_1) | instid1(SALU_CYCLE_1)
	v_min_i16 v1, v1, s7
	s_cbranch_execz .LBB177_221
	s_branch .LBB177_222
.LBB177_228:
	s_mov_b32 s8, 0
                                        ; implicit-def: $vgpr7
	s_cbranch_execnz .LBB177_231
	s_branch .LBB177_232
.LBB177_229:
	s_mov_b32 s8, -1
                                        ; implicit-def: $vgpr7
.LBB177_230:
	s_branch .LBB177_232
.LBB177_231:
	s_cmp_lg_u32 s9, 0
	s_mov_b32 s7, -1
	s_cselect_b32 s8, -1, 0
.LBB177_232:
	s_wait_loadcnt 0x0
	v_bfe_i32 v22, v22, 0, 8
	s_and_not1_b32 vcc_lo, exec_lo, s8
	s_cbranch_vccz .LBB177_240
; %bb.233:
	s_and_not1_b32 vcc_lo, exec_lo, s7
	s_cbranch_vccnz .LBB177_235
.LBB177_234:
	s_bfe_i32 s7, s10, 0x80000
	s_delay_alu instid0(SALU_CYCLE_1)
	v_max_i16 v7, v22, s7
.LBB177_235:
	s_delay_alu instid0(VALU_DEP_1)
	v_perm_b32 v2, v2, v7, 0x7060004
.LBB177_236:
	s_or_b32 exec_lo, exec_lo, s6
	v_or_b32_e32 v7, 0x200, v0
	s_mov_b32 s6, exec_lo
	s_delay_alu instid0(VALU_DEP_1)
	v_cmpx_gt_i32_e64 s1, v7
	s_cbranch_execz .LBB177_249
; %bb.237:
	s_cmp_lt_i32 s9, 1
	s_mov_b32 s7, 0
	s_cbranch_scc1 .LBB177_241
; %bb.238:
	s_cmp_eq_u32 s9, 1
	s_cbranch_scc0 .LBB177_242
; %bb.239:
	v_bfe_i32 v7, v5, 0, 8
	s_bfe_i32 s8, s10, 0x80000
	s_delay_alu instid0(VALU_DEP_1) | instid1(SALU_CYCLE_1)
	v_min_i16 v7, v7, s8
	s_mov_b32 s8, 0
	s_branch .LBB177_243
.LBB177_240:
	s_bfe_i32 s7, s10, 0x80000
	s_delay_alu instid0(VALU_DEP_1) | instid1(SALU_CYCLE_1)
	v_max_i16 v7, v22, s7
	s_bfe_i32 s7, s3, 0x80000
	s_delay_alu instid0(VALU_DEP_1) | instid1(SALU_CYCLE_1)
	v_min_i16 v7, v7, s7
	s_cbranch_execz .LBB177_234
	s_branch .LBB177_235
.LBB177_241:
	s_mov_b32 s8, 0
                                        ; implicit-def: $vgpr7
	s_cbranch_execnz .LBB177_244
	s_branch .LBB177_245
.LBB177_242:
	s_mov_b32 s8, -1
                                        ; implicit-def: $vgpr7
.LBB177_243:
	s_branch .LBB177_245
.LBB177_244:
	s_cmp_lg_u32 s9, 0
	s_mov_b32 s7, -1
	s_cselect_b32 s8, -1, 0
.LBB177_245:
	v_bfe_i32 v5, v5, 0, 8
	s_and_not1_b32 vcc_lo, exec_lo, s8
	s_cbranch_vccz .LBB177_253
; %bb.246:
	s_and_not1_b32 vcc_lo, exec_lo, s7
	s_cbranch_vccnz .LBB177_248
.LBB177_247:
	s_bfe_i32 s7, s10, 0x80000
	s_delay_alu instid0(SALU_CYCLE_1)
	v_max_i16 v7, v5, s7
.LBB177_248:
	s_delay_alu instid0(VALU_DEP_1)
	v_perm_b32 v2, v2, v7, 0x7000504
.LBB177_249:
	s_or_b32 exec_lo, exec_lo, s6
	v_or_b32_e32 v5, 0x300, v0
	s_mov_b32 s6, exec_lo
	s_delay_alu instid0(VALU_DEP_1)
	v_cmpx_gt_i32_e64 s1, v5
	s_cbranch_execz .LBB177_262
; %bb.250:
	s_cmp_lt_i32 s9, 1
	s_mov_b32 s7, 0
	s_cbranch_scc1 .LBB177_254
; %bb.251:
	s_cmp_eq_u32 s9, 1
	s_cbranch_scc0 .LBB177_255
; %bb.252:
	v_bfe_i32 v5, v6, 0, 8
	s_bfe_i32 s8, s10, 0x80000
	s_delay_alu instid0(VALU_DEP_1) | instid1(SALU_CYCLE_1)
	v_min_i16 v5, v5, s8
	s_mov_b32 s8, 0
	s_branch .LBB177_256
.LBB177_253:
	s_bfe_i32 s7, s10, 0x80000
	s_delay_alu instid0(VALU_DEP_1) | instid1(SALU_CYCLE_1)
	v_max_i16 v7, v5, s7
	s_bfe_i32 s7, s3, 0x80000
	s_delay_alu instid0(VALU_DEP_1) | instid1(SALU_CYCLE_1)
	v_min_i16 v7, v7, s7
	s_cbranch_execz .LBB177_247
	s_branch .LBB177_248
.LBB177_254:
	s_mov_b32 s8, 0
                                        ; implicit-def: $vgpr5
	s_cbranch_execnz .LBB177_257
	s_branch .LBB177_258
.LBB177_255:
	s_mov_b32 s8, -1
                                        ; implicit-def: $vgpr5
.LBB177_256:
	s_branch .LBB177_258
.LBB177_257:
	s_cmp_lg_u32 s9, 0
	s_mov_b32 s7, -1
	s_cselect_b32 s8, -1, 0
.LBB177_258:
	v_bfe_i32 v6, v6, 0, 8
	s_and_not1_b32 vcc_lo, exec_lo, s8
	s_cbranch_vccz .LBB177_266
; %bb.259:
	s_and_not1_b32 vcc_lo, exec_lo, s7
	s_cbranch_vccnz .LBB177_261
.LBB177_260:
	s_bfe_i32 s7, s10, 0x80000
	s_delay_alu instid0(SALU_CYCLE_1)
	v_max_i16 v5, v6, s7
.LBB177_261:
	s_delay_alu instid0(VALU_DEP_1)
	v_perm_b32 v2, v2, v5, 0x60504
.LBB177_262:
	s_or_b32 exec_lo, exec_lo, s6
	v_or_b32_e32 v5, 0x400, v0
	s_mov_b32 s6, exec_lo
	s_delay_alu instid0(VALU_DEP_1)
	v_cmpx_gt_i32_e64 s1, v5
	s_cbranch_execz .LBB177_275
; %bb.263:
	s_cmp_lt_i32 s9, 1
	s_mov_b32 s7, 0
	s_cbranch_scc1 .LBB177_267
; %bb.264:
	s_cmp_eq_u32 s9, 1
	s_cbranch_scc0 .LBB177_268
; %bb.265:
	v_bfe_i32 v5, v21, 0, 8
	s_bfe_i32 s8, s10, 0x80000
	s_delay_alu instid0(VALU_DEP_1) | instid1(SALU_CYCLE_1)
	v_min_i16 v5, v5, s8
	s_mov_b32 s8, 0
	s_branch .LBB177_269
.LBB177_266:
	s_bfe_i32 s7, s10, 0x80000
	s_delay_alu instid0(VALU_DEP_1) | instid1(SALU_CYCLE_1)
	v_max_i16 v5, v6, s7
	s_bfe_i32 s7, s3, 0x80000
	s_delay_alu instid0(VALU_DEP_1) | instid1(SALU_CYCLE_1)
	v_min_i16 v5, v5, s7
	s_cbranch_execz .LBB177_260
	s_branch .LBB177_261
.LBB177_267:
	s_mov_b32 s8, 0
                                        ; implicit-def: $vgpr5
	s_cbranch_execnz .LBB177_270
	s_branch .LBB177_271
.LBB177_268:
	s_mov_b32 s8, -1
                                        ; implicit-def: $vgpr5
.LBB177_269:
	s_branch .LBB177_271
.LBB177_270:
	s_cmp_lg_u32 s9, 0
	s_mov_b32 s7, -1
	s_cselect_b32 s8, -1, 0
.LBB177_271:
	v_bfe_i32 v6, v21, 0, 8
	s_and_not1_b32 vcc_lo, exec_lo, s8
	s_cbranch_vccz .LBB177_279
; %bb.272:
	s_and_not1_b32 vcc_lo, exec_lo, s7
	s_cbranch_vccnz .LBB177_274
.LBB177_273:
	s_bfe_i32 s7, s10, 0x80000
	s_delay_alu instid0(SALU_CYCLE_1)
	v_max_i16 v5, v6, s7
.LBB177_274:
	s_delay_alu instid0(VALU_DEP_1)
	v_perm_b32 v1, v5, v1, 0x3020104
.LBB177_275:
	s_or_b32 exec_lo, exec_lo, s6
	v_or_b32_e32 v5, 0x500, v0
	s_mov_b32 s6, exec_lo
	s_delay_alu instid0(VALU_DEP_1)
	v_cmpx_gt_i32_e64 s1, v5
	s_cbranch_execz .LBB177_288
; %bb.276:
	s_cmp_lt_i32 s9, 1
	s_mov_b32 s7, 0
	s_cbranch_scc1 .LBB177_280
; %bb.277:
	s_cmp_eq_u32 s9, 1
	s_cbranch_scc0 .LBB177_281
; %bb.278:
	v_bfe_i32 v5, v20, 0, 8
	s_bfe_i32 s8, s10, 0x80000
	s_delay_alu instid0(VALU_DEP_1) | instid1(SALU_CYCLE_1)
	v_min_i16 v5, v5, s8
	s_mov_b32 s8, 0
	s_branch .LBB177_282
.LBB177_279:
	s_bfe_i32 s7, s10, 0x80000
	s_delay_alu instid0(VALU_DEP_1) | instid1(SALU_CYCLE_1)
	v_max_i16 v5, v6, s7
	s_bfe_i32 s7, s3, 0x80000
	s_delay_alu instid0(VALU_DEP_1) | instid1(SALU_CYCLE_1)
	v_min_i16 v5, v5, s7
	s_cbranch_execz .LBB177_273
	s_branch .LBB177_274
.LBB177_280:
	s_mov_b32 s8, 0
                                        ; implicit-def: $vgpr5
	s_cbranch_execnz .LBB177_283
	s_branch .LBB177_284
.LBB177_281:
	s_mov_b32 s8, -1
                                        ; implicit-def: $vgpr5
.LBB177_282:
	s_branch .LBB177_284
.LBB177_283:
	s_cmp_lg_u32 s9, 0
	s_mov_b32 s7, -1
	s_cselect_b32 s8, -1, 0
.LBB177_284:
	v_bfe_i32 v6, v20, 0, 8
	s_and_not1_b32 vcc_lo, exec_lo, s8
	s_cbranch_vccz .LBB177_292
; %bb.285:
	s_and_not1_b32 vcc_lo, exec_lo, s7
	s_cbranch_vccnz .LBB177_287
.LBB177_286:
	s_bfe_i32 s7, s10, 0x80000
	s_delay_alu instid0(SALU_CYCLE_1)
	v_max_i16 v5, v6, s7
.LBB177_287:
	s_delay_alu instid0(VALU_DEP_1)
	v_perm_b32 v1, v1, v5, 0x7060004
.LBB177_288:
	s_or_b32 exec_lo, exec_lo, s6
	v_or_b32_e32 v5, 0x600, v0
	s_mov_b32 s6, exec_lo
	s_delay_alu instid0(VALU_DEP_1)
	v_cmpx_gt_i32_e64 s1, v5
	s_cbranch_execz .LBB177_301
; %bb.289:
	s_cmp_lt_i32 s9, 1
	s_mov_b32 s7, 0
	s_cbranch_scc1 .LBB177_293
; %bb.290:
	s_cmp_eq_u32 s9, 1
	s_cbranch_scc0 .LBB177_294
; %bb.291:
	v_bfe_i32 v5, v19, 0, 8
	s_bfe_i32 s8, s10, 0x80000
	s_delay_alu instid0(VALU_DEP_1) | instid1(SALU_CYCLE_1)
	v_min_i16 v5, v5, s8
	s_mov_b32 s8, 0
	s_branch .LBB177_295
.LBB177_292:
	s_bfe_i32 s7, s10, 0x80000
	s_delay_alu instid0(VALU_DEP_1) | instid1(SALU_CYCLE_1)
	v_max_i16 v5, v6, s7
	s_bfe_i32 s7, s3, 0x80000
	s_delay_alu instid0(VALU_DEP_1) | instid1(SALU_CYCLE_1)
	v_min_i16 v5, v5, s7
	s_cbranch_execz .LBB177_286
	s_branch .LBB177_287
.LBB177_293:
	s_mov_b32 s8, 0
                                        ; implicit-def: $vgpr5
	s_cbranch_execnz .LBB177_296
	s_branch .LBB177_297
.LBB177_294:
	s_mov_b32 s8, -1
                                        ; implicit-def: $vgpr5
.LBB177_295:
	s_branch .LBB177_297
.LBB177_296:
	s_cmp_lg_u32 s9, 0
	s_mov_b32 s7, -1
	s_cselect_b32 s8, -1, 0
.LBB177_297:
	v_bfe_i32 v6, v19, 0, 8
	s_and_not1_b32 vcc_lo, exec_lo, s8
	s_cbranch_vccz .LBB177_305
; %bb.298:
	s_and_not1_b32 vcc_lo, exec_lo, s7
	s_cbranch_vccnz .LBB177_300
.LBB177_299:
	s_bfe_i32 s7, s10, 0x80000
	s_delay_alu instid0(SALU_CYCLE_1)
	v_max_i16 v5, v6, s7
.LBB177_300:
	s_delay_alu instid0(VALU_DEP_1)
	v_perm_b32 v1, v1, v5, 0x7000504
.LBB177_301:
	s_or_b32 exec_lo, exec_lo, s6
	v_or_b32_e32 v5, 0x700, v0
	s_mov_b32 s6, exec_lo
	s_delay_alu instid0(VALU_DEP_1)
	v_cmpx_gt_i32_e64 s1, v5
	s_cbranch_execz .LBB177_314
; %bb.302:
	s_cmp_lt_i32 s9, 1
	s_mov_b32 s7, 0
	s_cbranch_scc1 .LBB177_306
; %bb.303:
	s_cmp_eq_u32 s9, 1
	s_cbranch_scc0 .LBB177_307
; %bb.304:
	v_bfe_i32 v5, v18, 0, 8
	s_bfe_i32 s8, s10, 0x80000
	s_delay_alu instid0(VALU_DEP_1) | instid1(SALU_CYCLE_1)
	v_min_i16 v5, v5, s8
	s_mov_b32 s8, 0
	s_branch .LBB177_308
.LBB177_305:
	s_bfe_i32 s7, s10, 0x80000
	s_delay_alu instid0(VALU_DEP_1) | instid1(SALU_CYCLE_1)
	v_max_i16 v5, v6, s7
	s_bfe_i32 s7, s3, 0x80000
	s_delay_alu instid0(VALU_DEP_1) | instid1(SALU_CYCLE_1)
	v_min_i16 v5, v5, s7
	s_cbranch_execz .LBB177_299
	s_branch .LBB177_300
.LBB177_306:
	s_mov_b32 s8, 0
                                        ; implicit-def: $vgpr5
	s_cbranch_execnz .LBB177_309
	s_branch .LBB177_310
.LBB177_307:
	s_mov_b32 s8, -1
                                        ; implicit-def: $vgpr5
.LBB177_308:
	s_branch .LBB177_310
.LBB177_309:
	s_cmp_lg_u32 s9, 0
	s_mov_b32 s7, -1
	s_cselect_b32 s8, -1, 0
.LBB177_310:
	v_bfe_i32 v6, v18, 0, 8
	s_and_not1_b32 vcc_lo, exec_lo, s8
	s_cbranch_vccz .LBB177_318
; %bb.311:
	s_and_not1_b32 vcc_lo, exec_lo, s7
	s_cbranch_vccnz .LBB177_313
.LBB177_312:
	s_bfe_i32 s7, s10, 0x80000
	s_delay_alu instid0(SALU_CYCLE_1)
	v_max_i16 v5, v6, s7
.LBB177_313:
	s_delay_alu instid0(VALU_DEP_1)
	v_perm_b32 v1, v1, v5, 0x60504
.LBB177_314:
	s_or_b32 exec_lo, exec_lo, s6
	v_or_b32_e32 v5, 0x800, v0
	s_mov_b32 s6, exec_lo
	s_delay_alu instid0(VALU_DEP_1)
	v_cmpx_gt_i32_e64 s1, v5
	s_cbranch_execz .LBB177_327
; %bb.315:
	s_cmp_lt_i32 s9, 1
	s_mov_b32 s7, 0
	s_cbranch_scc1 .LBB177_319
; %bb.316:
	s_cmp_eq_u32 s9, 1
	s_cbranch_scc0 .LBB177_320
; %bb.317:
	v_bfe_i32 v5, v17, 0, 8
	s_bfe_i32 s8, s10, 0x80000
	s_delay_alu instid0(VALU_DEP_1) | instid1(SALU_CYCLE_1)
	v_min_i16 v5, v5, s8
	s_mov_b32 s8, 0
	s_branch .LBB177_321
.LBB177_318:
	s_bfe_i32 s7, s10, 0x80000
	s_delay_alu instid0(VALU_DEP_1) | instid1(SALU_CYCLE_1)
	v_max_i16 v5, v6, s7
	s_bfe_i32 s7, s3, 0x80000
	s_delay_alu instid0(VALU_DEP_1) | instid1(SALU_CYCLE_1)
	v_min_i16 v5, v5, s7
	s_cbranch_execz .LBB177_312
	s_branch .LBB177_313
.LBB177_319:
	s_mov_b32 s8, 0
                                        ; implicit-def: $vgpr5
	s_cbranch_execnz .LBB177_322
	s_branch .LBB177_323
.LBB177_320:
	s_mov_b32 s8, -1
                                        ; implicit-def: $vgpr5
.LBB177_321:
	s_branch .LBB177_323
.LBB177_322:
	s_cmp_lg_u32 s9, 0
	s_mov_b32 s7, -1
	s_cselect_b32 s8, -1, 0
.LBB177_323:
	v_bfe_i32 v6, v17, 0, 8
	s_and_not1_b32 vcc_lo, exec_lo, s8
	s_cbranch_vccz .LBB177_331
; %bb.324:
	s_and_not1_b32 vcc_lo, exec_lo, s7
	s_cbranch_vccnz .LBB177_326
.LBB177_325:
	s_bfe_i32 s7, s10, 0x80000
	s_delay_alu instid0(SALU_CYCLE_1)
	v_max_i16 v5, v6, s7
.LBB177_326:
	s_delay_alu instid0(VALU_DEP_1)
	v_perm_b32 v4, v5, v4, 0x3020104
.LBB177_327:
	s_or_b32 exec_lo, exec_lo, s6
	v_or_b32_e32 v5, 0x900, v0
	s_mov_b32 s6, exec_lo
	s_delay_alu instid0(VALU_DEP_1)
	v_cmpx_gt_i32_e64 s1, v5
	s_cbranch_execz .LBB177_340
; %bb.328:
	s_cmp_lt_i32 s9, 1
	s_mov_b32 s7, 0
	s_cbranch_scc1 .LBB177_332
; %bb.329:
	s_cmp_eq_u32 s9, 1
	s_cbranch_scc0 .LBB177_333
; %bb.330:
	v_bfe_i32 v5, v16, 0, 8
	s_bfe_i32 s8, s10, 0x80000
	s_delay_alu instid0(VALU_DEP_1) | instid1(SALU_CYCLE_1)
	v_min_i16 v5, v5, s8
	s_mov_b32 s8, 0
	s_branch .LBB177_334
.LBB177_331:
	s_bfe_i32 s7, s10, 0x80000
	s_delay_alu instid0(VALU_DEP_1) | instid1(SALU_CYCLE_1)
	v_max_i16 v5, v6, s7
	s_bfe_i32 s7, s3, 0x80000
	s_delay_alu instid0(VALU_DEP_1) | instid1(SALU_CYCLE_1)
	v_min_i16 v5, v5, s7
	s_cbranch_execz .LBB177_325
	s_branch .LBB177_326
.LBB177_332:
	s_mov_b32 s8, 0
                                        ; implicit-def: $vgpr5
	s_cbranch_execnz .LBB177_335
	s_branch .LBB177_336
.LBB177_333:
	s_mov_b32 s8, -1
                                        ; implicit-def: $vgpr5
.LBB177_334:
	s_branch .LBB177_336
.LBB177_335:
	s_cmp_lg_u32 s9, 0
	s_mov_b32 s7, -1
	s_cselect_b32 s8, -1, 0
.LBB177_336:
	v_bfe_i32 v6, v16, 0, 8
	s_and_not1_b32 vcc_lo, exec_lo, s8
	s_cbranch_vccz .LBB177_344
; %bb.337:
	s_and_not1_b32 vcc_lo, exec_lo, s7
	s_cbranch_vccnz .LBB177_339
.LBB177_338:
	s_bfe_i32 s7, s10, 0x80000
	s_delay_alu instid0(SALU_CYCLE_1)
	v_max_i16 v5, v6, s7
.LBB177_339:
	s_delay_alu instid0(VALU_DEP_1)
	v_perm_b32 v4, v4, v5, 0x7060004
.LBB177_340:
	s_or_b32 exec_lo, exec_lo, s6
	v_or_b32_e32 v5, 0xa00, v0
	s_mov_b32 s6, exec_lo
	s_delay_alu instid0(VALU_DEP_1)
	v_cmpx_gt_i32_e64 s1, v5
	s_cbranch_execz .LBB177_353
; %bb.341:
	s_cmp_lt_i32 s9, 1
	s_mov_b32 s7, 0
	s_cbranch_scc1 .LBB177_345
; %bb.342:
	s_cmp_eq_u32 s9, 1
	s_cbranch_scc0 .LBB177_346
; %bb.343:
	v_bfe_i32 v5, v15, 0, 8
	s_bfe_i32 s8, s10, 0x80000
	s_delay_alu instid0(VALU_DEP_1) | instid1(SALU_CYCLE_1)
	v_min_i16 v5, v5, s8
	s_mov_b32 s8, 0
	s_branch .LBB177_347
.LBB177_344:
	s_bfe_i32 s7, s10, 0x80000
	s_delay_alu instid0(VALU_DEP_1) | instid1(SALU_CYCLE_1)
	v_max_i16 v5, v6, s7
	s_bfe_i32 s7, s3, 0x80000
	s_delay_alu instid0(VALU_DEP_1) | instid1(SALU_CYCLE_1)
	v_min_i16 v5, v5, s7
	s_cbranch_execz .LBB177_338
	s_branch .LBB177_339
.LBB177_345:
	s_mov_b32 s8, 0
                                        ; implicit-def: $vgpr5
	s_cbranch_execnz .LBB177_348
	s_branch .LBB177_349
.LBB177_346:
	s_mov_b32 s8, -1
                                        ; implicit-def: $vgpr5
.LBB177_347:
	s_branch .LBB177_349
.LBB177_348:
	s_cmp_lg_u32 s9, 0
	s_mov_b32 s7, -1
	s_cselect_b32 s8, -1, 0
.LBB177_349:
	v_bfe_i32 v6, v15, 0, 8
	s_and_not1_b32 vcc_lo, exec_lo, s8
	s_cbranch_vccz .LBB177_357
; %bb.350:
	s_and_not1_b32 vcc_lo, exec_lo, s7
	s_cbranch_vccnz .LBB177_352
.LBB177_351:
	s_bfe_i32 s7, s10, 0x80000
	s_delay_alu instid0(SALU_CYCLE_1)
	v_max_i16 v5, v6, s7
.LBB177_352:
	s_delay_alu instid0(VALU_DEP_1)
	v_perm_b32 v4, v4, v5, 0x7000504
.LBB177_353:
	s_or_b32 exec_lo, exec_lo, s6
	v_or_b32_e32 v5, 0xb00, v0
	s_mov_b32 s6, exec_lo
	s_delay_alu instid0(VALU_DEP_1)
	v_cmpx_gt_i32_e64 s1, v5
	s_cbranch_execz .LBB177_366
; %bb.354:
	s_cmp_lt_i32 s9, 1
	s_mov_b32 s7, 0
	s_cbranch_scc1 .LBB177_358
; %bb.355:
	s_cmp_eq_u32 s9, 1
	s_cbranch_scc0 .LBB177_359
; %bb.356:
	v_bfe_i32 v5, v14, 0, 8
	s_bfe_i32 s8, s10, 0x80000
	s_delay_alu instid0(VALU_DEP_1) | instid1(SALU_CYCLE_1)
	v_min_i16 v5, v5, s8
	s_mov_b32 s8, 0
	s_branch .LBB177_360
.LBB177_357:
	s_bfe_i32 s7, s10, 0x80000
	s_delay_alu instid0(VALU_DEP_1) | instid1(SALU_CYCLE_1)
	v_max_i16 v5, v6, s7
	s_bfe_i32 s7, s3, 0x80000
	s_delay_alu instid0(VALU_DEP_1) | instid1(SALU_CYCLE_1)
	v_min_i16 v5, v5, s7
	s_cbranch_execz .LBB177_351
	s_branch .LBB177_352
.LBB177_358:
	s_mov_b32 s8, 0
                                        ; implicit-def: $vgpr5
	s_cbranch_execnz .LBB177_361
	s_branch .LBB177_362
.LBB177_359:
	s_mov_b32 s8, -1
                                        ; implicit-def: $vgpr5
.LBB177_360:
	s_branch .LBB177_362
.LBB177_361:
	s_cmp_lg_u32 s9, 0
	s_mov_b32 s7, -1
	s_cselect_b32 s8, -1, 0
.LBB177_362:
	v_bfe_i32 v6, v14, 0, 8
	s_and_not1_b32 vcc_lo, exec_lo, s8
	s_cbranch_vccz .LBB177_370
; %bb.363:
	s_and_not1_b32 vcc_lo, exec_lo, s7
	s_cbranch_vccnz .LBB177_365
.LBB177_364:
	s_bfe_i32 s7, s10, 0x80000
	s_delay_alu instid0(SALU_CYCLE_1)
	v_max_i16 v5, v6, s7
.LBB177_365:
	s_delay_alu instid0(VALU_DEP_1)
	v_perm_b32 v4, v4, v5, 0x60504
.LBB177_366:
	s_or_b32 exec_lo, exec_lo, s6
	v_or_b32_e32 v5, 0xc00, v0
	s_mov_b32 s6, exec_lo
	s_delay_alu instid0(VALU_DEP_1)
	v_cmpx_gt_i32_e64 s1, v5
	s_cbranch_execz .LBB177_379
; %bb.367:
	s_cmp_lt_i32 s9, 1
	s_mov_b32 s7, 0
	s_cbranch_scc1 .LBB177_371
; %bb.368:
	s_cmp_eq_u32 s9, 1
	s_cbranch_scc0 .LBB177_372
; %bb.369:
	v_bfe_i32 v5, v13, 0, 8
	s_bfe_i32 s8, s10, 0x80000
	s_delay_alu instid0(VALU_DEP_1) | instid1(SALU_CYCLE_1)
	v_min_i16 v5, v5, s8
	s_mov_b32 s8, 0
	s_branch .LBB177_373
.LBB177_370:
	s_bfe_i32 s7, s10, 0x80000
	s_delay_alu instid0(VALU_DEP_1) | instid1(SALU_CYCLE_1)
	v_max_i16 v5, v6, s7
	s_bfe_i32 s7, s3, 0x80000
	s_delay_alu instid0(VALU_DEP_1) | instid1(SALU_CYCLE_1)
	v_min_i16 v5, v5, s7
	s_cbranch_execz .LBB177_364
	s_branch .LBB177_365
.LBB177_371:
	s_mov_b32 s8, 0
                                        ; implicit-def: $vgpr5
	s_cbranch_execnz .LBB177_374
	s_branch .LBB177_375
.LBB177_372:
	s_mov_b32 s8, -1
                                        ; implicit-def: $vgpr5
.LBB177_373:
	s_branch .LBB177_375
.LBB177_374:
	s_cmp_lg_u32 s9, 0
	s_mov_b32 s7, -1
	s_cselect_b32 s8, -1, 0
.LBB177_375:
	v_bfe_i32 v6, v13, 0, 8
	s_and_not1_b32 vcc_lo, exec_lo, s8
	s_cbranch_vccz .LBB177_383
; %bb.376:
	s_and_not1_b32 vcc_lo, exec_lo, s7
	s_cbranch_vccnz .LBB177_378
.LBB177_377:
	s_bfe_i32 s7, s10, 0x80000
	s_delay_alu instid0(SALU_CYCLE_1)
	v_max_i16 v5, v6, s7
.LBB177_378:
	s_delay_alu instid0(VALU_DEP_1)
	v_perm_b32 v3, v5, v3, 0x3020104
.LBB177_379:
	s_or_b32 exec_lo, exec_lo, s6
	v_or_b32_e32 v5, 0xd00, v0
	s_mov_b32 s6, exec_lo
	s_delay_alu instid0(VALU_DEP_1)
	v_cmpx_gt_i32_e64 s1, v5
	s_cbranch_execz .LBB177_392
; %bb.380:
	s_cmp_lt_i32 s9, 1
	s_mov_b32 s7, 0
	s_cbranch_scc1 .LBB177_384
; %bb.381:
	s_cmp_eq_u32 s9, 1
	s_cbranch_scc0 .LBB177_385
; %bb.382:
	v_bfe_i32 v5, v12, 0, 8
	s_bfe_i32 s8, s10, 0x80000
	s_delay_alu instid0(VALU_DEP_1) | instid1(SALU_CYCLE_1)
	v_min_i16 v5, v5, s8
	s_mov_b32 s8, 0
	s_branch .LBB177_386
.LBB177_383:
	s_bfe_i32 s7, s10, 0x80000
	s_delay_alu instid0(VALU_DEP_1) | instid1(SALU_CYCLE_1)
	v_max_i16 v5, v6, s7
	s_bfe_i32 s7, s3, 0x80000
	s_delay_alu instid0(VALU_DEP_1) | instid1(SALU_CYCLE_1)
	v_min_i16 v5, v5, s7
	s_cbranch_execz .LBB177_377
	s_branch .LBB177_378
.LBB177_384:
	s_mov_b32 s8, 0
                                        ; implicit-def: $vgpr5
	s_cbranch_execnz .LBB177_387
	s_branch .LBB177_388
.LBB177_385:
	s_mov_b32 s8, -1
                                        ; implicit-def: $vgpr5
.LBB177_386:
	s_branch .LBB177_388
.LBB177_387:
	s_cmp_lg_u32 s9, 0
	s_mov_b32 s7, -1
	s_cselect_b32 s8, -1, 0
.LBB177_388:
	v_bfe_i32 v6, v12, 0, 8
	s_and_not1_b32 vcc_lo, exec_lo, s8
	s_cbranch_vccz .LBB177_396
; %bb.389:
	s_and_not1_b32 vcc_lo, exec_lo, s7
	s_cbranch_vccnz .LBB177_391
.LBB177_390:
	s_bfe_i32 s7, s10, 0x80000
	s_delay_alu instid0(SALU_CYCLE_1)
	v_max_i16 v5, v6, s7
.LBB177_391:
	s_delay_alu instid0(VALU_DEP_1)
	v_perm_b32 v3, v3, v5, 0x7060004
.LBB177_392:
	s_or_b32 exec_lo, exec_lo, s6
	v_or_b32_e32 v5, 0xe00, v0
	s_mov_b32 s6, exec_lo
	s_delay_alu instid0(VALU_DEP_1)
	v_cmpx_gt_i32_e64 s1, v5
	s_cbranch_execz .LBB177_405
; %bb.393:
	s_cmp_lt_i32 s9, 1
	s_mov_b32 s7, 0
	s_cbranch_scc1 .LBB177_397
; %bb.394:
	s_cmp_eq_u32 s9, 1
	s_cbranch_scc0 .LBB177_398
; %bb.395:
	v_bfe_i32 v5, v11, 0, 8
	s_bfe_i32 s8, s10, 0x80000
	s_delay_alu instid0(VALU_DEP_1) | instid1(SALU_CYCLE_1)
	v_min_i16 v5, v5, s8
	s_mov_b32 s8, 0
	s_branch .LBB177_399
.LBB177_396:
	s_bfe_i32 s7, s10, 0x80000
	s_delay_alu instid0(VALU_DEP_1) | instid1(SALU_CYCLE_1)
	v_max_i16 v5, v6, s7
	s_bfe_i32 s7, s3, 0x80000
	s_delay_alu instid0(VALU_DEP_1) | instid1(SALU_CYCLE_1)
	v_min_i16 v5, v5, s7
	s_cbranch_execz .LBB177_390
	s_branch .LBB177_391
.LBB177_397:
	s_mov_b32 s8, 0
                                        ; implicit-def: $vgpr5
	s_cbranch_execnz .LBB177_400
	s_branch .LBB177_401
.LBB177_398:
	s_mov_b32 s8, -1
                                        ; implicit-def: $vgpr5
.LBB177_399:
	s_branch .LBB177_401
.LBB177_400:
	s_cmp_lg_u32 s9, 0
	s_mov_b32 s7, -1
	s_cselect_b32 s8, -1, 0
.LBB177_401:
	v_bfe_i32 v6, v11, 0, 8
	s_and_not1_b32 vcc_lo, exec_lo, s8
	s_cbranch_vccz .LBB177_409
; %bb.402:
	s_and_not1_b32 vcc_lo, exec_lo, s7
	s_cbranch_vccnz .LBB177_404
.LBB177_403:
	s_bfe_i32 s7, s10, 0x80000
	s_delay_alu instid0(SALU_CYCLE_1)
	v_max_i16 v5, v6, s7
.LBB177_404:
	s_delay_alu instid0(VALU_DEP_1)
	v_perm_b32 v3, v3, v5, 0x7000504
.LBB177_405:
	s_or_b32 exec_lo, exec_lo, s6
	v_or_b32_e32 v5, 0xf00, v0
	s_mov_b32 s6, exec_lo
	s_delay_alu instid0(VALU_DEP_1)
	v_cmpx_gt_i32_e64 s1, v5
	s_cbranch_execz .LBB177_418
; %bb.406:
	s_cmp_lt_i32 s9, 1
	s_mov_b32 s7, 0
	s_cbranch_scc1 .LBB177_410
; %bb.407:
	s_cmp_eq_u32 s9, 1
	s_cbranch_scc0 .LBB177_411
; %bb.408:
	v_bfe_i32 v5, v10, 0, 8
	s_bfe_i32 s8, s10, 0x80000
	s_delay_alu instid0(VALU_DEP_1) | instid1(SALU_CYCLE_1)
	v_min_i16 v5, v5, s8
	s_mov_b32 s8, 0
	s_branch .LBB177_412
.LBB177_409:
	s_bfe_i32 s7, s10, 0x80000
	s_delay_alu instid0(VALU_DEP_1) | instid1(SALU_CYCLE_1)
	v_max_i16 v5, v6, s7
	s_bfe_i32 s7, s3, 0x80000
	s_delay_alu instid0(VALU_DEP_1) | instid1(SALU_CYCLE_1)
	v_min_i16 v5, v5, s7
	s_cbranch_execz .LBB177_403
	s_branch .LBB177_404
.LBB177_410:
	s_mov_b32 s8, 0
                                        ; implicit-def: $vgpr5
	s_cbranch_execnz .LBB177_413
	s_branch .LBB177_414
.LBB177_411:
	s_mov_b32 s8, -1
                                        ; implicit-def: $vgpr5
.LBB177_412:
	s_branch .LBB177_414
.LBB177_413:
	s_cmp_lg_u32 s9, 0
	s_mov_b32 s7, -1
	s_cselect_b32 s8, -1, 0
.LBB177_414:
	v_bfe_i32 v6, v10, 0, 8
	s_and_not1_b32 vcc_lo, exec_lo, s8
	s_cbranch_vccz .LBB177_451
; %bb.415:
	s_and_not1_b32 vcc_lo, exec_lo, s7
	s_cbranch_vccnz .LBB177_417
.LBB177_416:
	s_bfe_i32 s3, s10, 0x80000
	s_delay_alu instid0(SALU_CYCLE_1)
	v_max_i16 v5, v6, s3
.LBB177_417:
	s_delay_alu instid0(VALU_DEP_1)
	v_perm_b32 v3, v3, v5, 0x60504
.LBB177_418:
	s_or_b32 exec_lo, exec_lo, s6
	s_and_saveexec_b32 s3, s0
	s_delay_alu instid0(SALU_CYCLE_1)
	s_xor_b32 s0, exec_lo, s3
	s_cbranch_execz .LBB177_420
; %bb.419:
	v_mov_b32_e32 v0, v9
	global_store_b8 v8, v2, s[4:5]
.LBB177_420:
	s_wait_xcnt 0x0
	s_or_b32 exec_lo, exec_lo, s0
	s_delay_alu instid0(SALU_CYCLE_1)
	s_mov_b32 s0, exec_lo
	v_cmpx_gt_i32_e64 s1, v0
	s_cbranch_execnz .LBB177_437
; %bb.421:
	s_or_b32 exec_lo, exec_lo, s0
	s_delay_alu instid0(SALU_CYCLE_1)
	s_mov_b32 s0, exec_lo
	v_cmpx_gt_i32_e64 s1, v0
	s_cbranch_execnz .LBB177_438
.LBB177_422:
	s_or_b32 exec_lo, exec_lo, s0
	s_delay_alu instid0(SALU_CYCLE_1)
	s_mov_b32 s0, exec_lo
	v_cmpx_gt_i32_e64 s1, v0
	s_cbranch_execnz .LBB177_439
.LBB177_423:
	s_or_b32 exec_lo, exec_lo, s0
	s_delay_alu instid0(SALU_CYCLE_1)
	s_mov_b32 s0, exec_lo
	v_cmpx_gt_i32_e64 s1, v0
	s_cbranch_execnz .LBB177_440
.LBB177_424:
	s_or_b32 exec_lo, exec_lo, s0
	s_delay_alu instid0(SALU_CYCLE_1)
	s_mov_b32 s0, exec_lo
	v_cmpx_gt_i32_e64 s1, v0
	s_cbranch_execnz .LBB177_441
.LBB177_425:
	s_or_b32 exec_lo, exec_lo, s0
	s_delay_alu instid0(SALU_CYCLE_1)
	s_mov_b32 s0, exec_lo
	v_cmpx_gt_i32_e64 s1, v0
	s_cbranch_execnz .LBB177_442
.LBB177_426:
	s_or_b32 exec_lo, exec_lo, s0
	s_delay_alu instid0(SALU_CYCLE_1)
	s_mov_b32 s0, exec_lo
	v_cmpx_gt_i32_e64 s1, v0
	s_cbranch_execnz .LBB177_443
.LBB177_427:
	s_or_b32 exec_lo, exec_lo, s0
	s_delay_alu instid0(SALU_CYCLE_1)
	s_mov_b32 s0, exec_lo
	v_cmpx_gt_i32_e64 s1, v0
	s_cbranch_execnz .LBB177_444
.LBB177_428:
	s_or_b32 exec_lo, exec_lo, s0
	s_delay_alu instid0(SALU_CYCLE_1)
	s_mov_b32 s0, exec_lo
	v_cmpx_gt_i32_e64 s1, v0
	s_cbranch_execnz .LBB177_445
.LBB177_429:
	s_or_b32 exec_lo, exec_lo, s0
	s_delay_alu instid0(SALU_CYCLE_1)
	s_mov_b32 s0, exec_lo
	v_cmpx_gt_i32_e64 s1, v0
	s_cbranch_execnz .LBB177_446
.LBB177_430:
	s_or_b32 exec_lo, exec_lo, s0
	s_delay_alu instid0(SALU_CYCLE_1)
	s_mov_b32 s0, exec_lo
	v_cmpx_gt_i32_e64 s1, v0
	s_cbranch_execnz .LBB177_447
.LBB177_431:
	s_or_b32 exec_lo, exec_lo, s0
	s_delay_alu instid0(SALU_CYCLE_1)
	s_mov_b32 s0, exec_lo
	v_cmpx_gt_i32_e64 s1, v0
	s_cbranch_execnz .LBB177_448
.LBB177_432:
	s_or_b32 exec_lo, exec_lo, s0
	s_delay_alu instid0(SALU_CYCLE_1)
	s_mov_b32 s0, exec_lo
	v_cmpx_gt_i32_e64 s1, v0
	s_cbranch_execnz .LBB177_449
.LBB177_433:
	s_or_b32 exec_lo, exec_lo, s0
	s_delay_alu instid0(SALU_CYCLE_1)
	s_mov_b32 s0, exec_lo
	v_cmpx_gt_i32_e64 s1, v0
	s_cbranch_execnz .LBB177_450
.LBB177_434:
	s_or_b32 exec_lo, exec_lo, s0
	s_delay_alu instid0(SALU_CYCLE_1)
	s_mov_b32 s0, exec_lo
	v_cmpx_gt_i32_e64 s1, v0
	s_cbranch_execz .LBB177_436
.LBB177_435:
	v_dual_lshrrev_b32 v1, 24, v3 :: v_dual_add_nc_u32 v0, s2, v0
	global_store_b8 v0, v1, s[4:5]
.LBB177_436:
	s_endpgm
.LBB177_437:
	v_dual_lshrrev_b32 v5, 8, v2 :: v_dual_add_nc_u32 v6, s2, v0
	v_add_nc_u32_e32 v0, 0x100, v0
	global_store_b8 v6, v5, s[4:5]
	s_wait_xcnt 0x0
	s_or_b32 exec_lo, exec_lo, s0
	s_delay_alu instid0(SALU_CYCLE_1)
	s_mov_b32 s0, exec_lo
	v_cmpx_gt_i32_e64 s1, v0
	s_cbranch_execz .LBB177_422
.LBB177_438:
	v_add_nc_u32_e32 v5, s2, v0
	v_add_nc_u32_e32 v0, 0x100, v0
	global_store_d16_hi_b8 v5, v2, s[4:5]
	s_wait_xcnt 0x0
	s_or_b32 exec_lo, exec_lo, s0
	s_delay_alu instid0(SALU_CYCLE_1)
	s_mov_b32 s0, exec_lo
	v_cmpx_gt_i32_e64 s1, v0
	s_cbranch_execz .LBB177_423
.LBB177_439:
	v_dual_lshrrev_b32 v2, 24, v2 :: v_dual_add_nc_u32 v5, s2, v0
	v_add_nc_u32_e32 v0, 0x100, v0
	global_store_b8 v5, v2, s[4:5]
	s_wait_xcnt 0x0
	s_or_b32 exec_lo, exec_lo, s0
	s_delay_alu instid0(SALU_CYCLE_1)
	s_mov_b32 s0, exec_lo
	v_cmpx_gt_i32_e64 s1, v0
	s_cbranch_execz .LBB177_424
.LBB177_440:
	v_add_nc_u32_e32 v2, s2, v0
	v_add_nc_u32_e32 v0, 0x100, v0
	global_store_b8 v2, v1, s[4:5]
	s_wait_xcnt 0x0
	s_or_b32 exec_lo, exec_lo, s0
	s_delay_alu instid0(SALU_CYCLE_1)
	s_mov_b32 s0, exec_lo
	v_cmpx_gt_i32_e64 s1, v0
	s_cbranch_execz .LBB177_425
.LBB177_441:
	v_dual_lshrrev_b32 v2, 8, v1 :: v_dual_add_nc_u32 v5, s2, v0
	v_add_nc_u32_e32 v0, 0x100, v0
	global_store_b8 v5, v2, s[4:5]
	s_wait_xcnt 0x0
	s_or_b32 exec_lo, exec_lo, s0
	s_delay_alu instid0(SALU_CYCLE_1)
	s_mov_b32 s0, exec_lo
	v_cmpx_gt_i32_e64 s1, v0
	s_cbranch_execz .LBB177_426
.LBB177_442:
	v_add_nc_u32_e32 v2, s2, v0
	v_add_nc_u32_e32 v0, 0x100, v0
	global_store_d16_hi_b8 v2, v1, s[4:5]
	s_wait_xcnt 0x0
	s_or_b32 exec_lo, exec_lo, s0
	s_delay_alu instid0(SALU_CYCLE_1)
	s_mov_b32 s0, exec_lo
	v_cmpx_gt_i32_e64 s1, v0
	s_cbranch_execz .LBB177_427
.LBB177_443:
	v_dual_lshrrev_b32 v1, 24, v1 :: v_dual_add_nc_u32 v2, s2, v0
	v_add_nc_u32_e32 v0, 0x100, v0
	global_store_b8 v2, v1, s[4:5]
	s_wait_xcnt 0x0
	s_or_b32 exec_lo, exec_lo, s0
	s_delay_alu instid0(SALU_CYCLE_1)
	s_mov_b32 s0, exec_lo
	v_cmpx_gt_i32_e64 s1, v0
	s_cbranch_execz .LBB177_428
.LBB177_444:
	v_add_nc_u32_e32 v1, s2, v0
	v_add_nc_u32_e32 v0, 0x100, v0
	global_store_b8 v1, v4, s[4:5]
	s_wait_xcnt 0x0
	s_or_b32 exec_lo, exec_lo, s0
	s_delay_alu instid0(SALU_CYCLE_1)
	s_mov_b32 s0, exec_lo
	v_cmpx_gt_i32_e64 s1, v0
	s_cbranch_execz .LBB177_429
.LBB177_445:
	v_lshrrev_b32_e32 v1, 8, v4
	v_add_nc_u32_e32 v2, s2, v0
	v_add_nc_u32_e32 v0, 0x100, v0
	global_store_b8 v2, v1, s[4:5]
	s_wait_xcnt 0x0
	s_or_b32 exec_lo, exec_lo, s0
	s_delay_alu instid0(SALU_CYCLE_1)
	s_mov_b32 s0, exec_lo
	v_cmpx_gt_i32_e64 s1, v0
	s_cbranch_execz .LBB177_430
.LBB177_446:
	v_add_nc_u32_e32 v1, s2, v0
	v_add_nc_u32_e32 v0, 0x100, v0
	global_store_d16_hi_b8 v1, v4, s[4:5]
	s_wait_xcnt 0x0
	s_or_b32 exec_lo, exec_lo, s0
	s_delay_alu instid0(SALU_CYCLE_1)
	s_mov_b32 s0, exec_lo
	v_cmpx_gt_i32_e64 s1, v0
	s_cbranch_execz .LBB177_431
.LBB177_447:
	v_lshrrev_b32_e32 v1, 24, v4
	v_add_nc_u32_e32 v2, s2, v0
	v_add_nc_u32_e32 v0, 0x100, v0
	global_store_b8 v2, v1, s[4:5]
	s_wait_xcnt 0x0
	s_or_b32 exec_lo, exec_lo, s0
	s_delay_alu instid0(SALU_CYCLE_1)
	s_mov_b32 s0, exec_lo
	v_cmpx_gt_i32_e64 s1, v0
	s_cbranch_execz .LBB177_432
.LBB177_448:
	v_add_nc_u32_e32 v1, s2, v0
	v_add_nc_u32_e32 v0, 0x100, v0
	global_store_b8 v1, v3, s[4:5]
	s_wait_xcnt 0x0
	s_or_b32 exec_lo, exec_lo, s0
	s_delay_alu instid0(SALU_CYCLE_1)
	s_mov_b32 s0, exec_lo
	v_cmpx_gt_i32_e64 s1, v0
	s_cbranch_execz .LBB177_433
.LBB177_449:
	v_dual_lshrrev_b32 v1, 8, v3 :: v_dual_add_nc_u32 v2, s2, v0
	v_add_nc_u32_e32 v0, 0x100, v0
	global_store_b8 v2, v1, s[4:5]
	s_wait_xcnt 0x0
	s_or_b32 exec_lo, exec_lo, s0
	s_delay_alu instid0(SALU_CYCLE_1)
	s_mov_b32 s0, exec_lo
	v_cmpx_gt_i32_e64 s1, v0
	s_cbranch_execz .LBB177_434
.LBB177_450:
	v_add_nc_u32_e32 v1, s2, v0
	v_add_nc_u32_e32 v0, 0x100, v0
	global_store_d16_hi_b8 v1, v3, s[4:5]
	s_wait_xcnt 0x0
	s_or_b32 exec_lo, exec_lo, s0
	s_delay_alu instid0(SALU_CYCLE_1)
	s_mov_b32 s0, exec_lo
	v_cmpx_gt_i32_e64 s1, v0
	s_cbranch_execnz .LBB177_435
	s_branch .LBB177_436
.LBB177_451:
	s_bfe_i32 s7, s10, 0x80000
	s_bfe_i32 s3, s3, 0x80000
	v_max_i16 v5, v6, s7
	s_delay_alu instid0(VALU_DEP_1)
	v_min_i16 v5, v5, s3
	s_cbranch_execz .LBB177_416
	s_branch .LBB177_417
	.section	.rodata,"a",@progbits
	.p2align	6, 0x0
	.amdhsa_kernel _ZN2at6native29vectorized_elementwise_kernelILi8EZZZNS0_12_GLOBAL__N_119launch_clamp_scalarERNS_18TensorIteratorBaseEN3c106ScalarES6_NS0_6detail11ClampLimitsEENKUlvE_clEvENKUlvE0_clEvEUlaE_St5arrayIPcLm2EEEEviT0_T1_
		.amdhsa_group_segment_fixed_size 0
		.amdhsa_private_segment_fixed_size 0
		.amdhsa_kernarg_size 32
		.amdhsa_user_sgpr_count 2
		.amdhsa_user_sgpr_dispatch_ptr 0
		.amdhsa_user_sgpr_queue_ptr 0
		.amdhsa_user_sgpr_kernarg_segment_ptr 1
		.amdhsa_user_sgpr_dispatch_id 0
		.amdhsa_user_sgpr_kernarg_preload_length 0
		.amdhsa_user_sgpr_kernarg_preload_offset 0
		.amdhsa_user_sgpr_private_segment_size 0
		.amdhsa_wavefront_size32 1
		.amdhsa_uses_dynamic_stack 0
		.amdhsa_enable_private_segment 0
		.amdhsa_system_sgpr_workgroup_id_x 1
		.amdhsa_system_sgpr_workgroup_id_y 0
		.amdhsa_system_sgpr_workgroup_id_z 0
		.amdhsa_system_sgpr_workgroup_info 0
		.amdhsa_system_vgpr_workitem_id 0
		.amdhsa_next_free_vgpr 24
		.amdhsa_next_free_sgpr 23
		.amdhsa_named_barrier_count 0
		.amdhsa_reserve_vcc 1
		.amdhsa_float_round_mode_32 0
		.amdhsa_float_round_mode_16_64 0
		.amdhsa_float_denorm_mode_32 3
		.amdhsa_float_denorm_mode_16_64 3
		.amdhsa_fp16_overflow 0
		.amdhsa_memory_ordered 1
		.amdhsa_forward_progress 1
		.amdhsa_inst_pref_size 76
		.amdhsa_round_robin_scheduling 0
		.amdhsa_exception_fp_ieee_invalid_op 0
		.amdhsa_exception_fp_denorm_src 0
		.amdhsa_exception_fp_ieee_div_zero 0
		.amdhsa_exception_fp_ieee_overflow 0
		.amdhsa_exception_fp_ieee_underflow 0
		.amdhsa_exception_fp_ieee_inexact 0
		.amdhsa_exception_int_div_zero 0
	.end_amdhsa_kernel
	.section	.text._ZN2at6native29vectorized_elementwise_kernelILi8EZZZNS0_12_GLOBAL__N_119launch_clamp_scalarERNS_18TensorIteratorBaseEN3c106ScalarES6_NS0_6detail11ClampLimitsEENKUlvE_clEvENKUlvE0_clEvEUlaE_St5arrayIPcLm2EEEEviT0_T1_,"axG",@progbits,_ZN2at6native29vectorized_elementwise_kernelILi8EZZZNS0_12_GLOBAL__N_119launch_clamp_scalarERNS_18TensorIteratorBaseEN3c106ScalarES6_NS0_6detail11ClampLimitsEENKUlvE_clEvENKUlvE0_clEvEUlaE_St5arrayIPcLm2EEEEviT0_T1_,comdat
.Lfunc_end177:
	.size	_ZN2at6native29vectorized_elementwise_kernelILi8EZZZNS0_12_GLOBAL__N_119launch_clamp_scalarERNS_18TensorIteratorBaseEN3c106ScalarES6_NS0_6detail11ClampLimitsEENKUlvE_clEvENKUlvE0_clEvEUlaE_St5arrayIPcLm2EEEEviT0_T1_, .Lfunc_end177-_ZN2at6native29vectorized_elementwise_kernelILi8EZZZNS0_12_GLOBAL__N_119launch_clamp_scalarERNS_18TensorIteratorBaseEN3c106ScalarES6_NS0_6detail11ClampLimitsEENKUlvE_clEvENKUlvE0_clEvEUlaE_St5arrayIPcLm2EEEEviT0_T1_
                                        ; -- End function
	.set _ZN2at6native29vectorized_elementwise_kernelILi8EZZZNS0_12_GLOBAL__N_119launch_clamp_scalarERNS_18TensorIteratorBaseEN3c106ScalarES6_NS0_6detail11ClampLimitsEENKUlvE_clEvENKUlvE0_clEvEUlaE_St5arrayIPcLm2EEEEviT0_T1_.num_vgpr, 24
	.set _ZN2at6native29vectorized_elementwise_kernelILi8EZZZNS0_12_GLOBAL__N_119launch_clamp_scalarERNS_18TensorIteratorBaseEN3c106ScalarES6_NS0_6detail11ClampLimitsEENKUlvE_clEvENKUlvE0_clEvEUlaE_St5arrayIPcLm2EEEEviT0_T1_.num_agpr, 0
	.set _ZN2at6native29vectorized_elementwise_kernelILi8EZZZNS0_12_GLOBAL__N_119launch_clamp_scalarERNS_18TensorIteratorBaseEN3c106ScalarES6_NS0_6detail11ClampLimitsEENKUlvE_clEvENKUlvE0_clEvEUlaE_St5arrayIPcLm2EEEEviT0_T1_.numbered_sgpr, 23
	.set _ZN2at6native29vectorized_elementwise_kernelILi8EZZZNS0_12_GLOBAL__N_119launch_clamp_scalarERNS_18TensorIteratorBaseEN3c106ScalarES6_NS0_6detail11ClampLimitsEENKUlvE_clEvENKUlvE0_clEvEUlaE_St5arrayIPcLm2EEEEviT0_T1_.num_named_barrier, 0
	.set _ZN2at6native29vectorized_elementwise_kernelILi8EZZZNS0_12_GLOBAL__N_119launch_clamp_scalarERNS_18TensorIteratorBaseEN3c106ScalarES6_NS0_6detail11ClampLimitsEENKUlvE_clEvENKUlvE0_clEvEUlaE_St5arrayIPcLm2EEEEviT0_T1_.private_seg_size, 0
	.set _ZN2at6native29vectorized_elementwise_kernelILi8EZZZNS0_12_GLOBAL__N_119launch_clamp_scalarERNS_18TensorIteratorBaseEN3c106ScalarES6_NS0_6detail11ClampLimitsEENKUlvE_clEvENKUlvE0_clEvEUlaE_St5arrayIPcLm2EEEEviT0_T1_.uses_vcc, 1
	.set _ZN2at6native29vectorized_elementwise_kernelILi8EZZZNS0_12_GLOBAL__N_119launch_clamp_scalarERNS_18TensorIteratorBaseEN3c106ScalarES6_NS0_6detail11ClampLimitsEENKUlvE_clEvENKUlvE0_clEvEUlaE_St5arrayIPcLm2EEEEviT0_T1_.uses_flat_scratch, 0
	.set _ZN2at6native29vectorized_elementwise_kernelILi8EZZZNS0_12_GLOBAL__N_119launch_clamp_scalarERNS_18TensorIteratorBaseEN3c106ScalarES6_NS0_6detail11ClampLimitsEENKUlvE_clEvENKUlvE0_clEvEUlaE_St5arrayIPcLm2EEEEviT0_T1_.has_dyn_sized_stack, 0
	.set _ZN2at6native29vectorized_elementwise_kernelILi8EZZZNS0_12_GLOBAL__N_119launch_clamp_scalarERNS_18TensorIteratorBaseEN3c106ScalarES6_NS0_6detail11ClampLimitsEENKUlvE_clEvENKUlvE0_clEvEUlaE_St5arrayIPcLm2EEEEviT0_T1_.has_recursion, 0
	.set _ZN2at6native29vectorized_elementwise_kernelILi8EZZZNS0_12_GLOBAL__N_119launch_clamp_scalarERNS_18TensorIteratorBaseEN3c106ScalarES6_NS0_6detail11ClampLimitsEENKUlvE_clEvENKUlvE0_clEvEUlaE_St5arrayIPcLm2EEEEviT0_T1_.has_indirect_call, 0
	.section	.AMDGPU.csdata,"",@progbits
; Kernel info:
; codeLenInByte = 9640
; TotalNumSgprs: 25
; NumVgprs: 24
; ScratchSize: 0
; MemoryBound: 0
; FloatMode: 240
; IeeeMode: 1
; LDSByteSize: 0 bytes/workgroup (compile time only)
; SGPRBlocks: 0
; VGPRBlocks: 1
; NumSGPRsForWavesPerEU: 25
; NumVGPRsForWavesPerEU: 24
; NamedBarCnt: 0
; Occupancy: 16
; WaveLimiterHint : 1
; COMPUTE_PGM_RSRC2:SCRATCH_EN: 0
; COMPUTE_PGM_RSRC2:USER_SGPR: 2
; COMPUTE_PGM_RSRC2:TRAP_HANDLER: 0
; COMPUTE_PGM_RSRC2:TGID_X_EN: 1
; COMPUTE_PGM_RSRC2:TGID_Y_EN: 0
; COMPUTE_PGM_RSRC2:TGID_Z_EN: 0
; COMPUTE_PGM_RSRC2:TIDIG_COMP_CNT: 0
	.section	.text._ZN2at6native29vectorized_elementwise_kernelILi4EZZZNS0_12_GLOBAL__N_119launch_clamp_scalarERNS_18TensorIteratorBaseEN3c106ScalarES6_NS0_6detail11ClampLimitsEENKUlvE_clEvENKUlvE0_clEvEUlaE_St5arrayIPcLm2EEEEviT0_T1_,"axG",@progbits,_ZN2at6native29vectorized_elementwise_kernelILi4EZZZNS0_12_GLOBAL__N_119launch_clamp_scalarERNS_18TensorIteratorBaseEN3c106ScalarES6_NS0_6detail11ClampLimitsEENKUlvE_clEvENKUlvE0_clEvEUlaE_St5arrayIPcLm2EEEEviT0_T1_,comdat
	.globl	_ZN2at6native29vectorized_elementwise_kernelILi4EZZZNS0_12_GLOBAL__N_119launch_clamp_scalarERNS_18TensorIteratorBaseEN3c106ScalarES6_NS0_6detail11ClampLimitsEENKUlvE_clEvENKUlvE0_clEvEUlaE_St5arrayIPcLm2EEEEviT0_T1_ ; -- Begin function _ZN2at6native29vectorized_elementwise_kernelILi4EZZZNS0_12_GLOBAL__N_119launch_clamp_scalarERNS_18TensorIteratorBaseEN3c106ScalarES6_NS0_6detail11ClampLimitsEENKUlvE_clEvENKUlvE0_clEvEUlaE_St5arrayIPcLm2EEEEviT0_T1_
	.p2align	8
	.type	_ZN2at6native29vectorized_elementwise_kernelILi4EZZZNS0_12_GLOBAL__N_119launch_clamp_scalarERNS_18TensorIteratorBaseEN3c106ScalarES6_NS0_6detail11ClampLimitsEENKUlvE_clEvENKUlvE0_clEvEUlaE_St5arrayIPcLm2EEEEviT0_T1_,@function
_ZN2at6native29vectorized_elementwise_kernelILi4EZZZNS0_12_GLOBAL__N_119launch_clamp_scalarERNS_18TensorIteratorBaseEN3c106ScalarES6_NS0_6detail11ClampLimitsEENKUlvE_clEvENKUlvE0_clEvEUlaE_St5arrayIPcLm2EEEEviT0_T1_: ; @_ZN2at6native29vectorized_elementwise_kernelILi4EZZZNS0_12_GLOBAL__N_119launch_clamp_scalarERNS_18TensorIteratorBaseEN3c106ScalarES6_NS0_6detail11ClampLimitsEENKUlvE_clEvENKUlvE0_clEvEUlaE_St5arrayIPcLm2EEEEviT0_T1_
; %bb.0:
	s_clause 0x1
	s_load_b96 s[8:10], s[0:1], 0x0
	s_load_b128 s[4:7], s[0:1], 0x10
	s_wait_xcnt 0x0
	s_bfe_u32 s0, ttmp6, 0x4000c
	s_and_b32 s1, ttmp6, 15
	s_add_co_i32 s0, s0, 1
	s_getreg_b32 s2, hwreg(HW_REG_IB_STS2, 6, 4)
	s_mul_i32 s0, ttmp9, s0
	s_mov_b32 s3, -1
	s_add_co_i32 s1, s1, s0
	s_cmp_eq_u32 s2, 0
	s_cselect_b32 s0, ttmp9, s1
	s_delay_alu instid0(SALU_CYCLE_1) | instskip(SKIP_3) | instid1(SALU_CYCLE_1)
	s_lshl_b32 s2, s0, 12
	s_mov_b32 s0, 0
	s_wait_kmcnt 0x0
	s_sub_co_i32 s1, s8, s2
	s_cmp_gt_i32 s1, 0xfff
	s_cbranch_scc0 .LBB178_177
; %bb.1:
	s_ashr_i32 s3, s2, 31
	s_cmp_lt_i32 s9, 1
	s_add_nc_u64 s[12:13], s[6:7], s[2:3]
	s_clause 0x3
	global_load_b32 v5, v0, s[12:13] scale_offset
	global_load_b32 v10, v0, s[12:13] offset:1024 scale_offset
	global_load_b32 v7, v0, s[12:13] offset:2048 scale_offset
	;; [unrolled: 1-line block ×3, first 2 shown]
	s_cbranch_scc1 .LBB178_4
; %bb.2:
	s_cmp_eq_u32 s9, 1
	s_cbranch_scc0 .LBB178_5
; %bb.3:
	s_wait_loadcnt 0x3
	v_bfe_i32 v1, v5, 0, 8
	s_bfe_i32 s0, s10, 0x80000
	s_delay_alu instid0(VALU_DEP_1) | instid1(SALU_CYCLE_1)
	v_min_i16 v1, v1, s0
	s_mov_b32 s0, 0
	s_branch .LBB178_6
.LBB178_4:
                                        ; implicit-def: $vgpr1
	s_mov_b32 s8, 0
	s_cbranch_execnz .LBB178_7
	s_branch .LBB178_8
.LBB178_5:
	s_mov_b32 s0, -1
                                        ; implicit-def: $vgpr1
.LBB178_6:
	s_mov_b32 s8, 0
	s_branch .LBB178_8
.LBB178_7:
	s_cmp_lg_u32 s9, 0
	s_mov_b32 s8, -1
	s_cselect_b32 s0, -1, 0
.LBB178_8:
	s_wait_loadcnt 0x3
	v_bfe_i32 v3, v5, 0, 8
	s_and_not1_b32 vcc_lo, exec_lo, s0
	s_lshr_b32 s0, s10, 8
	s_cbranch_vccz .LBB178_13
; %bb.9:
	s_and_not1_b32 vcc_lo, exec_lo, s8
	s_cbranch_vccz .LBB178_14
.LBB178_10:
	v_lshrrev_b32_e32 v4, 8, v5
	s_cmp_lt_i32 s9, 1
	s_mov_b32 s8, 0
	s_cbranch_scc1 .LBB178_15
.LBB178_11:
	s_cmp_eq_u32 s9, 1
	s_cbranch_scc0 .LBB178_16
; %bb.12:
	v_bfe_i32 v3, v4, 0, 8
	s_bfe_i32 s11, s10, 0x80000
	s_delay_alu instid0(VALU_DEP_1) | instid1(SALU_CYCLE_1)
	v_min_i16 v3, v3, s11
	s_mov_b32 s11, 0
	s_branch .LBB178_17
.LBB178_13:
	s_bfe_i32 s8, s10, 0x80000
	s_delay_alu instid0(SALU_CYCLE_1)
	v_max_i16 v1, v3, s8
	s_bfe_i32 s8, s0, 0x80000
	s_delay_alu instid0(VALU_DEP_1) | instid1(SALU_CYCLE_1)
	v_min_i16 v1, v1, s8
	s_cbranch_execnz .LBB178_10
.LBB178_14:
	s_bfe_i32 s8, s10, 0x80000
	s_delay_alu instid0(SALU_CYCLE_1)
	v_max_i16 v1, v3, s8
	v_lshrrev_b32_e32 v4, 8, v5
	s_cmp_lt_i32 s9, 1
	s_mov_b32 s8, 0
	s_cbranch_scc0 .LBB178_11
.LBB178_15:
	s_wait_xcnt 0x0
	s_mov_b32 s11, 0
                                        ; implicit-def: $vgpr3
	s_cbranch_execnz .LBB178_18
	s_branch .LBB178_19
.LBB178_16:
	s_mov_b32 s11, -1
                                        ; implicit-def: $vgpr3
.LBB178_17:
	s_wait_xcnt 0x0
	s_branch .LBB178_19
.LBB178_18:
	s_cmp_lg_u32 s9, 0
	s_mov_b32 s8, -1
	s_cselect_b32 s11, -1, 0
.LBB178_19:
	v_bfe_i32 v4, v4, 0, 8
	s_and_not1_b32 vcc_lo, exec_lo, s11
	s_cbranch_vccz .LBB178_24
; %bb.20:
	s_and_not1_b32 vcc_lo, exec_lo, s8
	s_cbranch_vccz .LBB178_25
.LBB178_21:
	v_lshrrev_b32_e32 v6, 16, v5
	s_cmp_lt_i32 s9, 1
	s_mov_b32 s8, 0
	s_cbranch_scc1 .LBB178_26
.LBB178_22:
	s_cmp_eq_u32 s9, 1
	s_cbranch_scc0 .LBB178_27
; %bb.23:
	v_bfe_i32 v4, v6, 0, 8
	s_bfe_i32 s11, s10, 0x80000
	s_delay_alu instid0(VALU_DEP_1) | instid1(SALU_CYCLE_1)
	v_min_i16 v4, v4, s11
	s_mov_b32 s11, 0
	s_branch .LBB178_28
.LBB178_24:
	s_bfe_i32 s8, s10, 0x80000
	s_delay_alu instid0(VALU_DEP_1) | instid1(SALU_CYCLE_1)
	v_max_i16 v3, v4, s8
	s_bfe_i32 s8, s0, 0x80000
	s_delay_alu instid0(VALU_DEP_1) | instid1(SALU_CYCLE_1)
	v_min_i16 v3, v3, s8
	s_cbranch_execnz .LBB178_21
.LBB178_25:
	s_bfe_i32 s8, s10, 0x80000
	s_delay_alu instid0(SALU_CYCLE_1)
	v_max_i16 v3, v4, s8
	v_lshrrev_b32_e32 v6, 16, v5
	s_cmp_lt_i32 s9, 1
	s_mov_b32 s8, 0
	s_cbranch_scc0 .LBB178_22
.LBB178_26:
	s_mov_b32 s11, 0
                                        ; implicit-def: $vgpr4
	s_cbranch_execnz .LBB178_29
	s_branch .LBB178_30
.LBB178_27:
	s_mov_b32 s11, -1
                                        ; implicit-def: $vgpr4
.LBB178_28:
	s_branch .LBB178_30
.LBB178_29:
	s_cmp_lg_u32 s9, 0
	s_mov_b32 s8, -1
	s_cselect_b32 s11, -1, 0
.LBB178_30:
	v_bfe_i32 v6, v6, 0, 8
	s_and_not1_b32 vcc_lo, exec_lo, s11
	s_cbranch_vccz .LBB178_35
; %bb.31:
	s_and_not1_b32 vcc_lo, exec_lo, s8
	s_cbranch_vccz .LBB178_36
.LBB178_32:
	v_lshrrev_b32_e32 v6, 24, v5
	s_cmp_lt_i32 s9, 1
	s_mov_b32 s8, 0
	s_cbranch_scc1 .LBB178_37
.LBB178_33:
	s_cmp_eq_u32 s9, 1
	s_cbranch_scc0 .LBB178_38
; %bb.34:
	v_bfe_i32 v5, v6, 0, 8
	s_bfe_i32 s11, s10, 0x80000
	s_delay_alu instid0(VALU_DEP_1) | instid1(SALU_CYCLE_1)
	v_min_i16 v5, v5, s11
	s_mov_b32 s11, 0
	s_branch .LBB178_39
.LBB178_35:
	s_bfe_i32 s8, s10, 0x80000
	s_delay_alu instid0(VALU_DEP_1) | instid1(SALU_CYCLE_1)
	v_max_i16 v4, v6, s8
	s_bfe_i32 s8, s0, 0x80000
	s_delay_alu instid0(VALU_DEP_1) | instid1(SALU_CYCLE_1)
	v_min_i16 v4, v4, s8
	s_cbranch_execnz .LBB178_32
.LBB178_36:
	s_bfe_i32 s8, s10, 0x80000
	s_delay_alu instid0(SALU_CYCLE_1)
	v_max_i16 v4, v6, s8
	v_lshrrev_b32_e32 v6, 24, v5
	s_cmp_lt_i32 s9, 1
	s_mov_b32 s8, 0
	s_cbranch_scc0 .LBB178_33
.LBB178_37:
	s_mov_b32 s11, 0
                                        ; implicit-def: $vgpr5
	s_cbranch_execnz .LBB178_40
	s_branch .LBB178_41
.LBB178_38:
	s_mov_b32 s11, -1
                                        ; implicit-def: $vgpr5
.LBB178_39:
	s_branch .LBB178_41
.LBB178_40:
	s_cmp_lg_u32 s9, 0
	s_mov_b32 s8, -1
	s_cselect_b32 s11, -1, 0
.LBB178_41:
	v_bfe_i32 v6, v6, 0, 8
	s_and_not1_b32 vcc_lo, exec_lo, s11
	s_cbranch_vccz .LBB178_46
; %bb.42:
	s_and_not1_b32 vcc_lo, exec_lo, s8
	s_cbranch_vccz .LBB178_47
.LBB178_43:
	s_cmp_lt_i32 s9, 1
	s_mov_b32 s8, 0
	s_cbranch_scc1 .LBB178_48
.LBB178_44:
	s_cmp_eq_u32 s9, 1
	s_cbranch_scc0 .LBB178_49
; %bb.45:
	s_wait_loadcnt 0x2
	v_bfe_i32 v6, v10, 0, 8
	s_bfe_i32 s11, s10, 0x80000
	s_delay_alu instid0(VALU_DEP_1) | instid1(SALU_CYCLE_1)
	v_min_i16 v6, v6, s11
	s_mov_b32 s11, 0
	s_branch .LBB178_50
.LBB178_46:
	s_bfe_i32 s8, s10, 0x80000
	s_delay_alu instid0(VALU_DEP_1) | instid1(SALU_CYCLE_1)
	v_max_i16 v5, v6, s8
	s_bfe_i32 s8, s0, 0x80000
	s_delay_alu instid0(VALU_DEP_1) | instid1(SALU_CYCLE_1)
	v_min_i16 v5, v5, s8
	s_cbranch_execnz .LBB178_43
.LBB178_47:
	s_bfe_i32 s8, s10, 0x80000
	s_delay_alu instid0(SALU_CYCLE_1)
	v_max_i16 v5, v6, s8
	s_cmp_lt_i32 s9, 1
	s_mov_b32 s8, 0
	s_cbranch_scc0 .LBB178_44
.LBB178_48:
	s_mov_b32 s11, 0
                                        ; implicit-def: $vgpr6
	s_cbranch_execnz .LBB178_51
	s_branch .LBB178_52
.LBB178_49:
	s_mov_b32 s11, -1
                                        ; implicit-def: $vgpr6
.LBB178_50:
	s_branch .LBB178_52
.LBB178_51:
	s_cmp_lg_u32 s9, 0
	s_mov_b32 s8, -1
	s_cselect_b32 s11, -1, 0
.LBB178_52:
	s_wait_loadcnt 0x2
	v_bfe_i32 v8, v10, 0, 8
	s_and_not1_b32 vcc_lo, exec_lo, s11
	s_cbranch_vccz .LBB178_57
; %bb.53:
	s_and_not1_b32 vcc_lo, exec_lo, s8
	s_cbranch_vccz .LBB178_58
.LBB178_54:
	v_lshrrev_b32_e32 v9, 8, v10
	s_cmp_lt_i32 s9, 1
	s_mov_b32 s8, 0
	s_cbranch_scc1 .LBB178_59
.LBB178_55:
	s_cmp_eq_u32 s9, 1
	s_cbranch_scc0 .LBB178_60
; %bb.56:
	v_bfe_i32 v8, v9, 0, 8
	s_bfe_i32 s11, s10, 0x80000
	s_delay_alu instid0(VALU_DEP_1) | instid1(SALU_CYCLE_1)
	v_min_i16 v8, v8, s11
	s_mov_b32 s11, 0
	s_branch .LBB178_61
.LBB178_57:
	s_bfe_i32 s8, s10, 0x80000
	s_delay_alu instid0(VALU_DEP_1) | instid1(SALU_CYCLE_1)
	v_max_i16 v6, v8, s8
	s_bfe_i32 s8, s0, 0x80000
	s_delay_alu instid0(VALU_DEP_1) | instid1(SALU_CYCLE_1)
	v_min_i16 v6, v6, s8
	s_cbranch_execnz .LBB178_54
.LBB178_58:
	s_bfe_i32 s8, s10, 0x80000
	s_delay_alu instid0(SALU_CYCLE_1)
	v_max_i16 v6, v8, s8
	v_lshrrev_b32_e32 v9, 8, v10
	s_cmp_lt_i32 s9, 1
	s_mov_b32 s8, 0
	s_cbranch_scc0 .LBB178_55
.LBB178_59:
	s_mov_b32 s11, 0
                                        ; implicit-def: $vgpr8
	s_cbranch_execnz .LBB178_62
	s_branch .LBB178_63
.LBB178_60:
	s_mov_b32 s11, -1
                                        ; implicit-def: $vgpr8
.LBB178_61:
	s_branch .LBB178_63
.LBB178_62:
	s_cmp_lg_u32 s9, 0
	s_mov_b32 s8, -1
	s_cselect_b32 s11, -1, 0
.LBB178_63:
	v_bfe_i32 v9, v9, 0, 8
	s_and_not1_b32 vcc_lo, exec_lo, s11
	s_cbranch_vccz .LBB178_68
; %bb.64:
	s_and_not1_b32 vcc_lo, exec_lo, s8
	s_cbranch_vccz .LBB178_69
.LBB178_65:
	v_lshrrev_b32_e32 v11, 16, v10
	s_cmp_lt_i32 s9, 1
	s_mov_b32 s8, 0
	s_cbranch_scc1 .LBB178_70
.LBB178_66:
	s_cmp_eq_u32 s9, 1
	s_cbranch_scc0 .LBB178_71
; %bb.67:
	v_bfe_i32 v9, v11, 0, 8
	s_bfe_i32 s11, s10, 0x80000
	s_delay_alu instid0(VALU_DEP_1) | instid1(SALU_CYCLE_1)
	v_min_i16 v9, v9, s11
	s_mov_b32 s11, 0
	s_branch .LBB178_72
.LBB178_68:
	s_bfe_i32 s8, s10, 0x80000
	s_delay_alu instid0(VALU_DEP_1) | instid1(SALU_CYCLE_1)
	v_max_i16 v8, v9, s8
	s_bfe_i32 s8, s0, 0x80000
	s_delay_alu instid0(VALU_DEP_1) | instid1(SALU_CYCLE_1)
	v_min_i16 v8, v8, s8
	s_cbranch_execnz .LBB178_65
.LBB178_69:
	s_bfe_i32 s8, s10, 0x80000
	s_delay_alu instid0(SALU_CYCLE_1)
	v_max_i16 v8, v9, s8
	v_lshrrev_b32_e32 v11, 16, v10
	s_cmp_lt_i32 s9, 1
	s_mov_b32 s8, 0
	s_cbranch_scc0 .LBB178_66
.LBB178_70:
	s_mov_b32 s11, 0
                                        ; implicit-def: $vgpr9
	s_cbranch_execnz .LBB178_73
	s_branch .LBB178_74
.LBB178_71:
	s_mov_b32 s11, -1
                                        ; implicit-def: $vgpr9
.LBB178_72:
	s_branch .LBB178_74
.LBB178_73:
	s_cmp_lg_u32 s9, 0
	s_mov_b32 s8, -1
	s_cselect_b32 s11, -1, 0
.LBB178_74:
	v_bfe_i32 v11, v11, 0, 8
	s_and_not1_b32 vcc_lo, exec_lo, s11
	s_cbranch_vccz .LBB178_79
; %bb.75:
	s_and_not1_b32 vcc_lo, exec_lo, s8
	s_cbranch_vccz .LBB178_80
.LBB178_76:
	v_lshrrev_b32_e32 v11, 24, v10
	s_cmp_lt_i32 s9, 1
	s_mov_b32 s8, 0
	s_cbranch_scc1 .LBB178_81
.LBB178_77:
	s_cmp_eq_u32 s9, 1
	s_cbranch_scc0 .LBB178_82
; %bb.78:
	v_bfe_i32 v10, v11, 0, 8
	s_bfe_i32 s11, s10, 0x80000
	s_delay_alu instid0(VALU_DEP_1) | instid1(SALU_CYCLE_1)
	v_min_i16 v10, v10, s11
	s_mov_b32 s11, 0
	s_branch .LBB178_83
.LBB178_79:
	s_bfe_i32 s8, s10, 0x80000
	s_delay_alu instid0(VALU_DEP_1) | instid1(SALU_CYCLE_1)
	v_max_i16 v9, v11, s8
	s_bfe_i32 s8, s0, 0x80000
	s_delay_alu instid0(VALU_DEP_1) | instid1(SALU_CYCLE_1)
	v_min_i16 v9, v9, s8
	s_cbranch_execnz .LBB178_76
.LBB178_80:
	s_bfe_i32 s8, s10, 0x80000
	s_delay_alu instid0(SALU_CYCLE_1)
	v_max_i16 v9, v11, s8
	v_lshrrev_b32_e32 v11, 24, v10
	s_cmp_lt_i32 s9, 1
	s_mov_b32 s8, 0
	s_cbranch_scc0 .LBB178_77
.LBB178_81:
	s_mov_b32 s11, 0
                                        ; implicit-def: $vgpr10
	s_cbranch_execnz .LBB178_84
	s_branch .LBB178_85
.LBB178_82:
	s_mov_b32 s11, -1
                                        ; implicit-def: $vgpr10
.LBB178_83:
	s_branch .LBB178_85
.LBB178_84:
	s_cmp_lg_u32 s9, 0
	s_mov_b32 s8, -1
	s_cselect_b32 s11, -1, 0
.LBB178_85:
	v_bfe_i32 v11, v11, 0, 8
	s_and_not1_b32 vcc_lo, exec_lo, s11
	s_cbranch_vccz .LBB178_90
; %bb.86:
	s_and_not1_b32 vcc_lo, exec_lo, s8
	s_cbranch_vccz .LBB178_91
.LBB178_87:
	s_cmp_lt_i32 s9, 1
	s_mov_b32 s8, 0
	s_cbranch_scc1 .LBB178_92
.LBB178_88:
	s_cmp_eq_u32 s9, 1
	s_cbranch_scc0 .LBB178_93
; %bb.89:
	s_wait_loadcnt 0x1
	v_bfe_i32 v11, v7, 0, 8
	s_bfe_i32 s11, s10, 0x80000
	s_delay_alu instid0(VALU_DEP_1) | instid1(SALU_CYCLE_1)
	v_min_i16 v11, v11, s11
	s_mov_b32 s11, 0
	s_branch .LBB178_94
.LBB178_90:
	s_bfe_i32 s8, s10, 0x80000
	s_delay_alu instid0(VALU_DEP_1) | instid1(SALU_CYCLE_1)
	v_max_i16 v10, v11, s8
	s_bfe_i32 s8, s0, 0x80000
	s_delay_alu instid0(VALU_DEP_1) | instid1(SALU_CYCLE_1)
	v_min_i16 v10, v10, s8
	s_cbranch_execnz .LBB178_87
.LBB178_91:
	s_bfe_i32 s8, s10, 0x80000
	s_delay_alu instid0(SALU_CYCLE_1)
	v_max_i16 v10, v11, s8
	s_cmp_lt_i32 s9, 1
	s_mov_b32 s8, 0
	s_cbranch_scc0 .LBB178_88
.LBB178_92:
	s_mov_b32 s11, 0
                                        ; implicit-def: $vgpr11
	s_cbranch_execnz .LBB178_95
	s_branch .LBB178_96
.LBB178_93:
	s_mov_b32 s11, -1
                                        ; implicit-def: $vgpr11
.LBB178_94:
	s_branch .LBB178_96
.LBB178_95:
	s_cmp_lg_u32 s9, 0
	s_mov_b32 s8, -1
	s_cselect_b32 s11, -1, 0
.LBB178_96:
	s_wait_loadcnt 0x1
	v_bfe_i32 v12, v7, 0, 8
	s_and_not1_b32 vcc_lo, exec_lo, s11
	s_cbranch_vccz .LBB178_101
; %bb.97:
	s_and_not1_b32 vcc_lo, exec_lo, s8
	s_cbranch_vccz .LBB178_102
.LBB178_98:
	v_lshrrev_b32_e32 v13, 8, v7
	s_cmp_lt_i32 s9, 1
	s_mov_b32 s8, 0
	s_cbranch_scc1 .LBB178_103
.LBB178_99:
	s_cmp_eq_u32 s9, 1
	s_cbranch_scc0 .LBB178_104
; %bb.100:
	v_bfe_i32 v12, v13, 0, 8
	s_bfe_i32 s11, s10, 0x80000
	s_delay_alu instid0(VALU_DEP_1) | instid1(SALU_CYCLE_1)
	v_min_i16 v12, v12, s11
	s_mov_b32 s11, 0
	s_branch .LBB178_105
.LBB178_101:
	s_bfe_i32 s8, s10, 0x80000
	s_delay_alu instid0(VALU_DEP_1) | instid1(SALU_CYCLE_1)
	v_max_i16 v11, v12, s8
	s_bfe_i32 s8, s0, 0x80000
	s_delay_alu instid0(VALU_DEP_1) | instid1(SALU_CYCLE_1)
	v_min_i16 v11, v11, s8
	s_cbranch_execnz .LBB178_98
.LBB178_102:
	s_bfe_i32 s8, s10, 0x80000
	s_delay_alu instid0(SALU_CYCLE_1)
	v_max_i16 v11, v12, s8
	v_lshrrev_b32_e32 v13, 8, v7
	s_cmp_lt_i32 s9, 1
	s_mov_b32 s8, 0
	s_cbranch_scc0 .LBB178_99
.LBB178_103:
	s_mov_b32 s11, 0
                                        ; implicit-def: $vgpr12
	s_cbranch_execnz .LBB178_106
	s_branch .LBB178_107
.LBB178_104:
	s_mov_b32 s11, -1
                                        ; implicit-def: $vgpr12
.LBB178_105:
	s_branch .LBB178_107
.LBB178_106:
	s_cmp_lg_u32 s9, 0
	s_mov_b32 s8, -1
	s_cselect_b32 s11, -1, 0
.LBB178_107:
	v_bfe_i32 v13, v13, 0, 8
	s_and_not1_b32 vcc_lo, exec_lo, s11
	s_cbranch_vccz .LBB178_112
; %bb.108:
	s_and_not1_b32 vcc_lo, exec_lo, s8
	s_cbranch_vccz .LBB178_113
.LBB178_109:
	v_lshrrev_b32_e32 v14, 16, v7
	s_cmp_lt_i32 s9, 1
	s_mov_b32 s8, 0
	s_cbranch_scc1 .LBB178_114
.LBB178_110:
	s_cmp_eq_u32 s9, 1
	s_cbranch_scc0 .LBB178_115
; %bb.111:
	v_bfe_i32 v13, v14, 0, 8
	s_bfe_i32 s11, s10, 0x80000
	s_delay_alu instid0(VALU_DEP_1) | instid1(SALU_CYCLE_1)
	v_min_i16 v13, v13, s11
	s_mov_b32 s11, 0
	s_branch .LBB178_116
.LBB178_112:
	s_bfe_i32 s8, s10, 0x80000
	s_delay_alu instid0(VALU_DEP_1) | instid1(SALU_CYCLE_1)
	v_max_i16 v12, v13, s8
	s_bfe_i32 s8, s0, 0x80000
	s_delay_alu instid0(VALU_DEP_1) | instid1(SALU_CYCLE_1)
	v_min_i16 v12, v12, s8
	s_cbranch_execnz .LBB178_109
.LBB178_113:
	s_bfe_i32 s8, s10, 0x80000
	s_delay_alu instid0(SALU_CYCLE_1)
	v_max_i16 v12, v13, s8
	v_lshrrev_b32_e32 v14, 16, v7
	s_cmp_lt_i32 s9, 1
	s_mov_b32 s8, 0
	s_cbranch_scc0 .LBB178_110
.LBB178_114:
	s_mov_b32 s11, 0
                                        ; implicit-def: $vgpr13
	s_cbranch_execnz .LBB178_117
	s_branch .LBB178_118
.LBB178_115:
	s_mov_b32 s11, -1
                                        ; implicit-def: $vgpr13
.LBB178_116:
	s_branch .LBB178_118
.LBB178_117:
	s_cmp_lg_u32 s9, 0
	s_mov_b32 s8, -1
	s_cselect_b32 s11, -1, 0
.LBB178_118:
	v_bfe_i32 v14, v14, 0, 8
	s_and_not1_b32 vcc_lo, exec_lo, s11
	s_cbranch_vccz .LBB178_123
; %bb.119:
	s_and_not1_b32 vcc_lo, exec_lo, s8
	s_cbranch_vccz .LBB178_124
.LBB178_120:
	v_lshrrev_b32_e32 v14, 24, v7
	s_cmp_lt_i32 s9, 1
	s_mov_b32 s8, 0
	s_cbranch_scc1 .LBB178_125
.LBB178_121:
	s_cmp_eq_u32 s9, 1
	s_cbranch_scc0 .LBB178_126
; %bb.122:
	v_bfe_i32 v7, v14, 0, 8
	s_bfe_i32 s11, s10, 0x80000
	s_delay_alu instid0(VALU_DEP_1) | instid1(SALU_CYCLE_1)
	v_min_i16 v7, v7, s11
	s_mov_b32 s11, 0
	s_branch .LBB178_127
.LBB178_123:
	s_bfe_i32 s8, s10, 0x80000
	s_delay_alu instid0(VALU_DEP_1) | instid1(SALU_CYCLE_1)
	v_max_i16 v13, v14, s8
	s_bfe_i32 s8, s0, 0x80000
	s_delay_alu instid0(VALU_DEP_1) | instid1(SALU_CYCLE_1)
	v_min_i16 v13, v13, s8
	s_cbranch_execnz .LBB178_120
.LBB178_124:
	s_bfe_i32 s8, s10, 0x80000
	s_delay_alu instid0(SALU_CYCLE_1)
	v_max_i16 v13, v14, s8
	v_lshrrev_b32_e32 v14, 24, v7
	s_cmp_lt_i32 s9, 1
	s_mov_b32 s8, 0
	s_cbranch_scc0 .LBB178_121
.LBB178_125:
	s_mov_b32 s11, 0
                                        ; implicit-def: $vgpr7
	s_cbranch_execnz .LBB178_128
	s_branch .LBB178_129
.LBB178_126:
	s_mov_b32 s11, -1
                                        ; implicit-def: $vgpr7
.LBB178_127:
	s_branch .LBB178_129
.LBB178_128:
	s_cmp_lg_u32 s9, 0
	s_mov_b32 s8, -1
	s_cselect_b32 s11, -1, 0
.LBB178_129:
	v_bfe_i32 v14, v14, 0, 8
	s_and_not1_b32 vcc_lo, exec_lo, s11
	s_cbranch_vccz .LBB178_134
; %bb.130:
	s_and_not1_b32 vcc_lo, exec_lo, s8
	s_cbranch_vccz .LBB178_135
.LBB178_131:
	s_cmp_lt_i32 s9, 1
	s_mov_b32 s8, 0
	s_cbranch_scc1 .LBB178_136
.LBB178_132:
	s_cmp_eq_u32 s9, 1
	s_cbranch_scc0 .LBB178_137
; %bb.133:
	s_wait_loadcnt 0x0
	v_bfe_i32 v14, v2, 0, 8
	s_bfe_i32 s11, s10, 0x80000
	s_delay_alu instid0(VALU_DEP_1) | instid1(SALU_CYCLE_1)
	v_min_i16 v14, v14, s11
	s_mov_b32 s11, 0
	s_branch .LBB178_138
.LBB178_134:
	s_bfe_i32 s8, s10, 0x80000
	s_delay_alu instid0(VALU_DEP_1) | instid1(SALU_CYCLE_1)
	v_max_i16 v7, v14, s8
	s_bfe_i32 s8, s0, 0x80000
	s_delay_alu instid0(VALU_DEP_1) | instid1(SALU_CYCLE_1)
	v_min_i16 v7, v7, s8
	s_cbranch_execnz .LBB178_131
.LBB178_135:
	s_bfe_i32 s8, s10, 0x80000
	s_delay_alu instid0(SALU_CYCLE_1)
	v_max_i16 v7, v14, s8
	s_cmp_lt_i32 s9, 1
	s_mov_b32 s8, 0
	s_cbranch_scc0 .LBB178_132
.LBB178_136:
	s_mov_b32 s11, 0
                                        ; implicit-def: $vgpr14
	s_cbranch_execnz .LBB178_139
	s_branch .LBB178_140
.LBB178_137:
	s_mov_b32 s11, -1
                                        ; implicit-def: $vgpr14
.LBB178_138:
	s_branch .LBB178_140
.LBB178_139:
	s_cmp_lg_u32 s9, 0
	s_mov_b32 s8, -1
	s_cselect_b32 s11, -1, 0
.LBB178_140:
	s_wait_loadcnt 0x0
	v_bfe_i32 v15, v2, 0, 8
	s_and_not1_b32 vcc_lo, exec_lo, s11
	s_cbranch_vccz .LBB178_145
; %bb.141:
	s_and_not1_b32 vcc_lo, exec_lo, s8
	s_cbranch_vccz .LBB178_146
.LBB178_142:
	v_lshrrev_b32_e32 v16, 8, v2
	s_cmp_lt_i32 s9, 1
	s_mov_b32 s8, 0
	s_cbranch_scc1 .LBB178_147
.LBB178_143:
	s_cmp_eq_u32 s9, 1
	s_cbranch_scc0 .LBB178_148
; %bb.144:
	v_bfe_i32 v15, v16, 0, 8
	s_bfe_i32 s11, s10, 0x80000
	s_delay_alu instid0(VALU_DEP_1) | instid1(SALU_CYCLE_1)
	v_min_i16 v15, v15, s11
	s_mov_b32 s11, 0
	s_branch .LBB178_149
.LBB178_145:
	s_bfe_i32 s8, s10, 0x80000
	s_delay_alu instid0(VALU_DEP_1) | instid1(SALU_CYCLE_1)
	v_max_i16 v14, v15, s8
	s_bfe_i32 s8, s0, 0x80000
	s_delay_alu instid0(VALU_DEP_1) | instid1(SALU_CYCLE_1)
	v_min_i16 v14, v14, s8
	s_cbranch_execnz .LBB178_142
.LBB178_146:
	s_bfe_i32 s8, s10, 0x80000
	s_delay_alu instid0(SALU_CYCLE_1)
	v_max_i16 v14, v15, s8
	v_lshrrev_b32_e32 v16, 8, v2
	s_cmp_lt_i32 s9, 1
	s_mov_b32 s8, 0
	s_cbranch_scc0 .LBB178_143
.LBB178_147:
	s_mov_b32 s11, 0
                                        ; implicit-def: $vgpr15
	s_cbranch_execnz .LBB178_150
	s_branch .LBB178_151
.LBB178_148:
	s_mov_b32 s11, -1
                                        ; implicit-def: $vgpr15
.LBB178_149:
	s_branch .LBB178_151
.LBB178_150:
	s_cmp_lg_u32 s9, 0
	s_mov_b32 s8, -1
	s_cselect_b32 s11, -1, 0
.LBB178_151:
	v_bfe_i32 v16, v16, 0, 8
	s_and_not1_b32 vcc_lo, exec_lo, s11
	s_cbranch_vccz .LBB178_156
; %bb.152:
	s_and_not1_b32 vcc_lo, exec_lo, s8
	s_cbranch_vccz .LBB178_157
.LBB178_153:
	v_lshrrev_b32_e32 v17, 16, v2
	s_cmp_lt_i32 s9, 1
	s_mov_b32 s8, 0
	s_cbranch_scc1 .LBB178_158
.LBB178_154:
	s_cmp_eq_u32 s9, 1
	s_cbranch_scc0 .LBB178_159
; %bb.155:
	v_bfe_i32 v16, v17, 0, 8
	s_bfe_i32 s11, s10, 0x80000
	s_delay_alu instid0(VALU_DEP_1) | instid1(SALU_CYCLE_1)
	v_min_i16 v16, v16, s11
	s_mov_b32 s11, 0
	s_branch .LBB178_160
.LBB178_156:
	s_bfe_i32 s8, s10, 0x80000
	s_delay_alu instid0(VALU_DEP_1) | instid1(SALU_CYCLE_1)
	v_max_i16 v15, v16, s8
	s_bfe_i32 s8, s0, 0x80000
	s_delay_alu instid0(VALU_DEP_1) | instid1(SALU_CYCLE_1)
	v_min_i16 v15, v15, s8
	s_cbranch_execnz .LBB178_153
.LBB178_157:
	s_bfe_i32 s8, s10, 0x80000
	s_delay_alu instid0(SALU_CYCLE_1)
	v_max_i16 v15, v16, s8
	v_lshrrev_b32_e32 v17, 16, v2
	s_cmp_lt_i32 s9, 1
	s_mov_b32 s8, 0
	s_cbranch_scc0 .LBB178_154
.LBB178_158:
	s_mov_b32 s11, 0
                                        ; implicit-def: $vgpr16
	s_cbranch_execnz .LBB178_161
	s_branch .LBB178_162
.LBB178_159:
	s_mov_b32 s11, -1
                                        ; implicit-def: $vgpr16
.LBB178_160:
	s_branch .LBB178_162
.LBB178_161:
	s_cmp_lg_u32 s9, 0
	s_mov_b32 s8, -1
	s_cselect_b32 s11, -1, 0
.LBB178_162:
	v_bfe_i32 v17, v17, 0, 8
	s_and_not1_b32 vcc_lo, exec_lo, s11
	s_cbranch_vccz .LBB178_167
; %bb.163:
	s_and_not1_b32 vcc_lo, exec_lo, s8
	s_cbranch_vccz .LBB178_168
.LBB178_164:
	v_lshrrev_b32_e32 v17, 24, v2
	s_cmp_lt_i32 s9, 1
	s_mov_b32 s8, 0
	s_cbranch_scc1 .LBB178_169
.LBB178_165:
	s_cmp_eq_u32 s9, 1
	s_cbranch_scc0 .LBB178_170
; %bb.166:
	v_bfe_i32 v2, v17, 0, 8
	s_bfe_i32 s11, s10, 0x80000
	s_delay_alu instid0(VALU_DEP_1) | instid1(SALU_CYCLE_1)
	v_min_i16 v2, v2, s11
	s_mov_b32 s11, 0
	s_branch .LBB178_171
.LBB178_167:
	s_bfe_i32 s8, s10, 0x80000
	s_delay_alu instid0(VALU_DEP_1) | instid1(SALU_CYCLE_1)
	v_max_i16 v16, v17, s8
	s_bfe_i32 s8, s0, 0x80000
	s_delay_alu instid0(VALU_DEP_1) | instid1(SALU_CYCLE_1)
	v_min_i16 v16, v16, s8
	s_cbranch_execnz .LBB178_164
.LBB178_168:
	s_bfe_i32 s8, s10, 0x80000
	s_delay_alu instid0(SALU_CYCLE_1)
	v_max_i16 v16, v17, s8
	v_lshrrev_b32_e32 v17, 24, v2
	s_cmp_lt_i32 s9, 1
	s_mov_b32 s8, 0
	s_cbranch_scc0 .LBB178_165
.LBB178_169:
	s_mov_b32 s11, 0
                                        ; implicit-def: $vgpr2
	s_cbranch_execnz .LBB178_172
	s_branch .LBB178_173
.LBB178_170:
	s_mov_b32 s11, -1
                                        ; implicit-def: $vgpr2
.LBB178_171:
	s_branch .LBB178_173
.LBB178_172:
	s_cmp_lg_u32 s9, 0
	s_mov_b32 s8, -1
	s_cselect_b32 s11, -1, 0
.LBB178_173:
	v_bfe_i32 v17, v17, 0, 8
	s_and_not1_b32 vcc_lo, exec_lo, s11
	s_cbranch_vccz .LBB178_214
; %bb.174:
	s_and_not1_b32 vcc_lo, exec_lo, s8
	s_cbranch_vccnz .LBB178_176
.LBB178_175:
	s_bfe_i32 s0, s10, 0x80000
	s_delay_alu instid0(SALU_CYCLE_1)
	v_max_i16 v2, v17, s0
.LBB178_176:
	v_perm_b32 v1, v1, v3, 0xc0c0004
	v_perm_b32 v3, v4, v5, 0xc0c0004
	;; [unrolled: 1-line block ×8, first 2 shown]
	v_lshl_or_b32 v1, v3, 16, v1
	v_lshl_or_b32 v3, v4, 16, v6
	;; [unrolled: 1-line block ×3, first 2 shown]
	s_add_nc_u64 s[12:13], s[4:5], s[2:3]
	v_lshl_or_b32 v2, v2, 16, v14
	s_mov_b32 s3, 0
	s_clause 0x3
	global_store_b32 v0, v1, s[12:13] scale_offset
	global_store_b32 v0, v3, s[12:13] offset:1024 scale_offset
	global_store_b32 v0, v4, s[12:13] offset:2048 scale_offset
	;; [unrolled: 1-line block ×3, first 2 shown]
.LBB178_177:
	s_and_b32 vcc_lo, exec_lo, s3
	s_cbranch_vccz .LBB178_436
; %bb.178:
	v_cmp_gt_i32_e64 s0, s1, v0
	s_wait_xcnt 0x0
	v_dual_mov_b32 v2, 0 :: v_dual_bitop2_b32 v8, s2, v0 bitop3:0x54
	v_or_b32_e32 v9, 0x100, v0
	v_dual_mov_b32 v10, 0 :: v_dual_mov_b32 v11, 0
	v_dual_mov_b32 v12, 0 :: v_dual_mov_b32 v13, 0
	v_dual_mov_b32 v14, 0 :: v_dual_mov_b32 v15, 0
	v_dual_mov_b32 v16, 0 :: v_dual_mov_b32 v17, 0
	v_dual_mov_b32 v18, 0 :: v_dual_mov_b32 v19, 0
	v_dual_mov_b32 v20, 0 :: v_dual_mov_b32 v21, 0
	v_dual_mov_b32 v6, 0 :: v_dual_mov_b32 v5, 0
	v_dual_mov_b32 v22, 0 :: v_dual_mov_b32 v23, 0
	s_and_saveexec_b32 s3, s0
	s_cbranch_execz .LBB178_210
; %bb.179:
	global_load_u8 v23, v8, s[6:7]
	v_or_b32_e32 v1, 0x100, v0
	v_dual_mov_b32 v22, 0 :: v_dual_mov_b32 v5, 0
	v_dual_mov_b32 v6, 0 :: v_dual_mov_b32 v21, 0
	;; [unrolled: 1-line block ×7, first 2 shown]
	v_mov_b32_e32 v10, 0
	s_mov_b32 s8, exec_lo
	s_wait_xcnt 0x0
	v_cmpx_gt_u32_e64 s1, v1
	s_cbranch_execz .LBB178_209
; %bb.180:
	v_dual_mov_b32 v5, 0 :: v_dual_add_nc_u32 v4, s2, v0
	v_or_b32_e32 v1, 0x200, v0
	v_dual_mov_b32 v6, 0 :: v_dual_mov_b32 v21, 0
	global_load_u8 v22, v4, s[6:7] offset:256
	v_dual_mov_b32 v20, 0 :: v_dual_mov_b32 v19, 0
	v_dual_mov_b32 v18, 0 :: v_dual_mov_b32 v17, 0
	;; [unrolled: 1-line block ×5, first 2 shown]
	v_mov_b32_e32 v10, 0
	s_mov_b32 s11, exec_lo
	s_wait_xcnt 0x0
	v_cmpx_gt_u32_e64 s1, v1
	s_cbranch_execz .LBB178_208
; %bb.181:
	v_add_nc_u64_e32 v[6:7], s[6:7], v[4:5]
	v_or_b32_e32 v3, 0x300, v0
	v_dual_mov_b32 v21, 0 :: v_dual_mov_b32 v20, 0
	v_dual_mov_b32 v19, 0 :: v_dual_mov_b32 v18, 0
	;; [unrolled: 1-line block ×3, first 2 shown]
	global_load_u8 v1, v[6:7], off offset:512
	v_dual_mov_b32 v15, 0 :: v_dual_mov_b32 v14, 0
	v_dual_mov_b32 v13, 0 :: v_dual_mov_b32 v12, 0
	v_dual_mov_b32 v11, 0 :: v_dual_mov_b32 v10, 0
	s_mov_b32 s6, exec_lo
	s_wait_xcnt 0x0
	v_cmpx_gt_u32_e64 s1, v3
	s_cbranch_execz .LBB178_207
; %bb.182:
	global_load_u8 v5, v[6:7], off offset:768
	v_or_b32_e32 v3, 0x400, v0
	v_dual_mov_b32 v21, 0 :: v_dual_mov_b32 v20, 0
	v_dual_mov_b32 v19, 0 :: v_dual_mov_b32 v18, 0
	;; [unrolled: 1-line block ×6, first 2 shown]
	s_mov_b32 s7, exec_lo
	s_wait_xcnt 0x0
	v_cmpx_gt_u32_e64 s1, v3
	s_cbranch_execz .LBB178_206
; %bb.183:
	global_load_u8 v21, v[6:7], off offset:1024
	v_or_b32_e32 v3, 0x500, v0
	v_dual_mov_b32 v20, 0 :: v_dual_mov_b32 v19, 0
	v_dual_mov_b32 v18, 0 :: v_dual_mov_b32 v17, 0
	;; [unrolled: 1-line block ×5, first 2 shown]
	v_mov_b32_e32 v10, 0
	s_mov_b32 s12, exec_lo
	s_wait_xcnt 0x0
	v_cmpx_gt_u32_e64 s1, v3
	s_cbranch_execz .LBB178_205
; %bb.184:
	global_load_u8 v20, v[6:7], off offset:1280
	v_or_b32_e32 v3, 0x600, v0
	v_dual_mov_b32 v19, 0 :: v_dual_mov_b32 v18, 0
	v_dual_mov_b32 v17, 0 :: v_dual_mov_b32 v16, 0
	;; [unrolled: 1-line block ×5, first 2 shown]
	s_mov_b32 s13, exec_lo
	s_wait_xcnt 0x0
	v_cmpx_gt_u32_e64 s1, v3
	s_cbranch_execz .LBB178_204
; %bb.185:
	global_load_u8 v19, v[6:7], off offset:1536
	v_or_b32_e32 v3, 0x700, v0
	v_dual_mov_b32 v18, 0 :: v_dual_mov_b32 v17, 0
	v_dual_mov_b32 v16, 0 :: v_dual_mov_b32 v15, 0
	;; [unrolled: 1-line block ×4, first 2 shown]
	v_mov_b32_e32 v10, 0
	s_mov_b32 s14, exec_lo
	s_wait_xcnt 0x0
	v_cmpx_gt_u32_e64 s1, v3
	s_cbranch_execz .LBB178_203
; %bb.186:
	global_load_u8 v18, v[6:7], off offset:1792
	v_or_b32_e32 v3, 0x800, v0
	v_dual_mov_b32 v17, 0 :: v_dual_mov_b32 v16, 0
	v_dual_mov_b32 v15, 0 :: v_dual_mov_b32 v14, 0
	;; [unrolled: 1-line block ×4, first 2 shown]
	s_mov_b32 s15, exec_lo
	s_wait_xcnt 0x0
	v_cmpx_gt_u32_e64 s1, v3
	s_cbranch_execz .LBB178_202
; %bb.187:
	global_load_u8 v17, v[6:7], off offset:2048
	v_or_b32_e32 v3, 0x900, v0
	v_dual_mov_b32 v16, 0 :: v_dual_mov_b32 v15, 0
	v_dual_mov_b32 v14, 0 :: v_dual_mov_b32 v13, 0
	;; [unrolled: 1-line block ×3, first 2 shown]
	v_mov_b32_e32 v10, 0
	s_mov_b32 s16, exec_lo
	s_wait_xcnt 0x0
	v_cmpx_gt_u32_e64 s1, v3
	s_cbranch_execz .LBB178_201
; %bb.188:
	global_load_u8 v16, v[6:7], off offset:2304
	v_or_b32_e32 v3, 0xa00, v0
	v_dual_mov_b32 v15, 0 :: v_dual_mov_b32 v14, 0
	v_dual_mov_b32 v13, 0 :: v_dual_mov_b32 v12, 0
	;; [unrolled: 1-line block ×3, first 2 shown]
	s_mov_b32 s17, exec_lo
	s_wait_xcnt 0x0
	v_cmpx_gt_u32_e64 s1, v3
	s_cbranch_execz .LBB178_200
; %bb.189:
	global_load_u8 v15, v[6:7], off offset:2560
	v_or_b32_e32 v3, 0xb00, v0
	v_dual_mov_b32 v14, 0 :: v_dual_mov_b32 v13, 0
	v_dual_mov_b32 v12, 0 :: v_dual_mov_b32 v11, 0
	v_mov_b32_e32 v10, 0
	s_mov_b32 s18, exec_lo
	s_wait_xcnt 0x0
	v_cmpx_gt_u32_e64 s1, v3
	s_cbranch_execz .LBB178_199
; %bb.190:
	global_load_u8 v14, v[6:7], off offset:2816
	v_or_b32_e32 v3, 0xc00, v0
	v_dual_mov_b32 v13, 0 :: v_dual_mov_b32 v12, 0
	v_dual_mov_b32 v11, 0 :: v_dual_mov_b32 v10, 0
	s_mov_b32 s19, exec_lo
	s_wait_xcnt 0x0
	v_cmpx_gt_u32_e64 s1, v3
	s_cbranch_execz .LBB178_198
; %bb.191:
	global_load_u8 v13, v[6:7], off offset:3072
	v_or_b32_e32 v3, 0xd00, v0
	v_dual_mov_b32 v12, 0 :: v_dual_mov_b32 v11, 0
	v_mov_b32_e32 v10, 0
	s_mov_b32 s20, exec_lo
	s_wait_xcnt 0x0
	v_cmpx_gt_u32_e64 s1, v3
	s_cbranch_execz .LBB178_197
; %bb.192:
	global_load_u8 v12, v[6:7], off offset:3328
	v_or_b32_e32 v3, 0xe00, v0
	v_dual_mov_b32 v11, 0 :: v_dual_mov_b32 v10, 0
	s_mov_b32 s21, exec_lo
	s_wait_xcnt 0x0
	s_delay_alu instid0(VALU_DEP_2)
	v_cmpx_gt_u32_e64 s1, v3
	s_cbranch_execz .LBB178_196
; %bb.193:
	global_load_u8 v11, v[6:7], off offset:3584
	v_or_b32_e32 v3, 0xf00, v0
	v_mov_b32_e32 v10, 0
	s_mov_b32 s22, exec_lo
	s_wait_xcnt 0x0
	s_delay_alu instid0(VALU_DEP_2)
	v_cmpx_gt_u32_e64 s1, v3
	s_cbranch_execz .LBB178_195
; %bb.194:
	global_load_u8 v10, v[6:7], off offset:3840
.LBB178_195:
	s_wait_xcnt 0x0
	s_or_b32 exec_lo, exec_lo, s22
.LBB178_196:
	s_delay_alu instid0(SALU_CYCLE_1)
	s_or_b32 exec_lo, exec_lo, s21
.LBB178_197:
	s_delay_alu instid0(SALU_CYCLE_1)
	s_or_b32 exec_lo, exec_lo, s20
.LBB178_198:
	s_delay_alu instid0(SALU_CYCLE_1)
	s_or_b32 exec_lo, exec_lo, s19
.LBB178_199:
	s_delay_alu instid0(SALU_CYCLE_1)
	s_or_b32 exec_lo, exec_lo, s18
.LBB178_200:
	s_delay_alu instid0(SALU_CYCLE_1)
	s_or_b32 exec_lo, exec_lo, s17
.LBB178_201:
	s_delay_alu instid0(SALU_CYCLE_1)
	s_or_b32 exec_lo, exec_lo, s16
.LBB178_202:
	s_delay_alu instid0(SALU_CYCLE_1)
	s_or_b32 exec_lo, exec_lo, s15
.LBB178_203:
	s_delay_alu instid0(SALU_CYCLE_1)
	s_or_b32 exec_lo, exec_lo, s14
.LBB178_204:
	s_delay_alu instid0(SALU_CYCLE_1)
	s_or_b32 exec_lo, exec_lo, s13
.LBB178_205:
	s_delay_alu instid0(SALU_CYCLE_1)
	s_or_b32 exec_lo, exec_lo, s12
.LBB178_206:
	s_delay_alu instid0(SALU_CYCLE_1)
	s_or_b32 exec_lo, exec_lo, s7
.LBB178_207:
	s_delay_alu instid0(SALU_CYCLE_1)
	s_or_b32 exec_lo, exec_lo, s6
	s_wait_loadcnt 0x0
	v_dual_mov_b32 v6, v5 :: v_dual_mov_b32 v5, v1
.LBB178_208:
	s_or_b32 exec_lo, exec_lo, s11
.LBB178_209:
	s_delay_alu instid0(SALU_CYCLE_1)
	s_or_b32 exec_lo, exec_lo, s8
.LBB178_210:
	s_delay_alu instid0(SALU_CYCLE_1)
	s_or_b32 exec_lo, exec_lo, s3
	v_dual_mov_b32 v1, v2 :: v_dual_mov_b32 v4, v2
	v_mov_b32_e32 v3, v2
	s_lshr_b32 s3, s10, 8
	s_and_saveexec_b32 s6, s0
	s_cbranch_execz .LBB178_223
; %bb.211:
	s_cmp_lt_i32 s9, 1
	s_mov_b32 s7, 0
	s_cbranch_scc1 .LBB178_215
; %bb.212:
	s_cmp_eq_u32 s9, 1
	s_cbranch_scc0 .LBB178_216
; %bb.213:
	s_wait_loadcnt 0x0
	v_bfe_i32 v1, v23, 0, 8
	s_bfe_i32 s8, s10, 0x80000
	s_delay_alu instid0(VALU_DEP_1) | instid1(SALU_CYCLE_1)
	v_min_i16 v1, v1, s8
	s_mov_b32 s8, 0
	s_branch .LBB178_217
.LBB178_214:
	s_bfe_i32 s8, s10, 0x80000
	s_bfe_i32 s0, s0, 0x80000
	v_max_i16 v2, v17, s8
	s_delay_alu instid0(VALU_DEP_1)
	v_min_i16 v2, v2, s0
	s_cbranch_execz .LBB178_175
	s_branch .LBB178_176
.LBB178_215:
	s_mov_b32 s8, 0
                                        ; implicit-def: $vgpr1
	s_cbranch_execnz .LBB178_218
	s_branch .LBB178_219
.LBB178_216:
	s_mov_b32 s8, -1
                                        ; implicit-def: $vgpr1
.LBB178_217:
	s_branch .LBB178_219
.LBB178_218:
	s_cmp_lg_u32 s9, 0
	s_mov_b32 s7, -1
	s_cselect_b32 s8, -1, 0
.LBB178_219:
	s_wait_loadcnt 0x0
	v_bfe_i32 v2, v23, 0, 8
	s_and_not1_b32 vcc_lo, exec_lo, s8
	s_cbranch_vccz .LBB178_227
; %bb.220:
	s_and_not1_b32 vcc_lo, exec_lo, s7
	s_cbranch_vccnz .LBB178_222
.LBB178_221:
	s_bfe_i32 s7, s10, 0x80000
	s_delay_alu instid0(SALU_CYCLE_1)
	v_max_i16 v1, v2, s7
.LBB178_222:
	s_delay_alu instid0(VALU_DEP_1) | instskip(SKIP_1) | instid1(VALU_DEP_2)
	v_and_b32_e32 v2, 0xff, v1
	v_mov_b32_e32 v1, 0
	v_and_b32_e32 v2, 0xffff, v2
	s_delay_alu instid0(VALU_DEP_2)
	v_dual_mov_b32 v4, v1 :: v_dual_mov_b32 v3, v1
.LBB178_223:
	s_or_b32 exec_lo, exec_lo, s6
	s_delay_alu instid0(SALU_CYCLE_1)
	s_mov_b32 s6, exec_lo
	v_cmpx_gt_i32_e64 s1, v9
	s_cbranch_execz .LBB178_236
; %bb.224:
	s_cmp_lt_i32 s9, 1
	s_mov_b32 s7, 0
	s_cbranch_scc1 .LBB178_228
; %bb.225:
	s_cmp_eq_u32 s9, 1
	s_cbranch_scc0 .LBB178_229
; %bb.226:
	s_wait_loadcnt 0x0
	v_bfe_i32 v7, v22, 0, 8
	s_bfe_i32 s8, s10, 0x80000
	s_delay_alu instid0(VALU_DEP_1) | instid1(SALU_CYCLE_1)
	v_min_i16 v7, v7, s8
	s_mov_b32 s8, 0
	s_branch .LBB178_230
.LBB178_227:
	s_bfe_i32 s7, s10, 0x80000
	s_delay_alu instid0(VALU_DEP_1) | instid1(SALU_CYCLE_1)
	v_max_i16 v1, v2, s7
	s_bfe_i32 s7, s3, 0x80000
	s_delay_alu instid0(VALU_DEP_1) | instid1(SALU_CYCLE_1)
	v_min_i16 v1, v1, s7
	s_cbranch_execz .LBB178_221
	s_branch .LBB178_222
.LBB178_228:
	s_mov_b32 s8, 0
                                        ; implicit-def: $vgpr7
	s_cbranch_execnz .LBB178_231
	s_branch .LBB178_232
.LBB178_229:
	s_mov_b32 s8, -1
                                        ; implicit-def: $vgpr7
.LBB178_230:
	s_branch .LBB178_232
.LBB178_231:
	s_cmp_lg_u32 s9, 0
	s_mov_b32 s7, -1
	s_cselect_b32 s8, -1, 0
.LBB178_232:
	s_wait_loadcnt 0x0
	v_bfe_i32 v22, v22, 0, 8
	s_and_not1_b32 vcc_lo, exec_lo, s8
	s_cbranch_vccz .LBB178_240
; %bb.233:
	s_and_not1_b32 vcc_lo, exec_lo, s7
	s_cbranch_vccnz .LBB178_235
.LBB178_234:
	s_bfe_i32 s7, s10, 0x80000
	s_delay_alu instid0(SALU_CYCLE_1)
	v_max_i16 v7, v22, s7
.LBB178_235:
	s_delay_alu instid0(VALU_DEP_1)
	v_perm_b32 v2, v2, v7, 0x7060004
.LBB178_236:
	s_or_b32 exec_lo, exec_lo, s6
	v_or_b32_e32 v7, 0x200, v0
	s_mov_b32 s6, exec_lo
	s_delay_alu instid0(VALU_DEP_1)
	v_cmpx_gt_i32_e64 s1, v7
	s_cbranch_execz .LBB178_249
; %bb.237:
	s_cmp_lt_i32 s9, 1
	s_mov_b32 s7, 0
	s_cbranch_scc1 .LBB178_241
; %bb.238:
	s_cmp_eq_u32 s9, 1
	s_cbranch_scc0 .LBB178_242
; %bb.239:
	v_bfe_i32 v7, v5, 0, 8
	s_bfe_i32 s8, s10, 0x80000
	s_delay_alu instid0(VALU_DEP_1) | instid1(SALU_CYCLE_1)
	v_min_i16 v7, v7, s8
	s_mov_b32 s8, 0
	s_branch .LBB178_243
.LBB178_240:
	s_bfe_i32 s7, s10, 0x80000
	s_delay_alu instid0(VALU_DEP_1) | instid1(SALU_CYCLE_1)
	v_max_i16 v7, v22, s7
	s_bfe_i32 s7, s3, 0x80000
	s_delay_alu instid0(VALU_DEP_1) | instid1(SALU_CYCLE_1)
	v_min_i16 v7, v7, s7
	s_cbranch_execz .LBB178_234
	s_branch .LBB178_235
.LBB178_241:
	s_mov_b32 s8, 0
                                        ; implicit-def: $vgpr7
	s_cbranch_execnz .LBB178_244
	s_branch .LBB178_245
.LBB178_242:
	s_mov_b32 s8, -1
                                        ; implicit-def: $vgpr7
.LBB178_243:
	s_branch .LBB178_245
.LBB178_244:
	s_cmp_lg_u32 s9, 0
	s_mov_b32 s7, -1
	s_cselect_b32 s8, -1, 0
.LBB178_245:
	v_bfe_i32 v5, v5, 0, 8
	s_and_not1_b32 vcc_lo, exec_lo, s8
	s_cbranch_vccz .LBB178_253
; %bb.246:
	s_and_not1_b32 vcc_lo, exec_lo, s7
	s_cbranch_vccnz .LBB178_248
.LBB178_247:
	s_bfe_i32 s7, s10, 0x80000
	s_delay_alu instid0(SALU_CYCLE_1)
	v_max_i16 v7, v5, s7
.LBB178_248:
	s_delay_alu instid0(VALU_DEP_1)
	v_perm_b32 v2, v2, v7, 0x7000504
.LBB178_249:
	s_or_b32 exec_lo, exec_lo, s6
	v_or_b32_e32 v5, 0x300, v0
	s_mov_b32 s6, exec_lo
	s_delay_alu instid0(VALU_DEP_1)
	v_cmpx_gt_i32_e64 s1, v5
	s_cbranch_execz .LBB178_262
; %bb.250:
	s_cmp_lt_i32 s9, 1
	s_mov_b32 s7, 0
	s_cbranch_scc1 .LBB178_254
; %bb.251:
	s_cmp_eq_u32 s9, 1
	s_cbranch_scc0 .LBB178_255
; %bb.252:
	v_bfe_i32 v5, v6, 0, 8
	s_bfe_i32 s8, s10, 0x80000
	s_delay_alu instid0(VALU_DEP_1) | instid1(SALU_CYCLE_1)
	v_min_i16 v5, v5, s8
	s_mov_b32 s8, 0
	s_branch .LBB178_256
.LBB178_253:
	s_bfe_i32 s7, s10, 0x80000
	s_delay_alu instid0(VALU_DEP_1) | instid1(SALU_CYCLE_1)
	v_max_i16 v7, v5, s7
	s_bfe_i32 s7, s3, 0x80000
	s_delay_alu instid0(VALU_DEP_1) | instid1(SALU_CYCLE_1)
	v_min_i16 v7, v7, s7
	s_cbranch_execz .LBB178_247
	s_branch .LBB178_248
.LBB178_254:
	s_mov_b32 s8, 0
                                        ; implicit-def: $vgpr5
	s_cbranch_execnz .LBB178_257
	s_branch .LBB178_258
.LBB178_255:
	s_mov_b32 s8, -1
                                        ; implicit-def: $vgpr5
.LBB178_256:
	s_branch .LBB178_258
.LBB178_257:
	s_cmp_lg_u32 s9, 0
	s_mov_b32 s7, -1
	s_cselect_b32 s8, -1, 0
.LBB178_258:
	v_bfe_i32 v6, v6, 0, 8
	s_and_not1_b32 vcc_lo, exec_lo, s8
	s_cbranch_vccz .LBB178_266
; %bb.259:
	s_and_not1_b32 vcc_lo, exec_lo, s7
	s_cbranch_vccnz .LBB178_261
.LBB178_260:
	s_bfe_i32 s7, s10, 0x80000
	s_delay_alu instid0(SALU_CYCLE_1)
	v_max_i16 v5, v6, s7
.LBB178_261:
	s_delay_alu instid0(VALU_DEP_1)
	v_perm_b32 v2, v2, v5, 0x60504
.LBB178_262:
	s_or_b32 exec_lo, exec_lo, s6
	v_or_b32_e32 v5, 0x400, v0
	s_mov_b32 s6, exec_lo
	s_delay_alu instid0(VALU_DEP_1)
	v_cmpx_gt_i32_e64 s1, v5
	s_cbranch_execz .LBB178_275
; %bb.263:
	s_cmp_lt_i32 s9, 1
	s_mov_b32 s7, 0
	s_cbranch_scc1 .LBB178_267
; %bb.264:
	s_cmp_eq_u32 s9, 1
	s_cbranch_scc0 .LBB178_268
; %bb.265:
	v_bfe_i32 v5, v21, 0, 8
	s_bfe_i32 s8, s10, 0x80000
	s_delay_alu instid0(VALU_DEP_1) | instid1(SALU_CYCLE_1)
	v_min_i16 v5, v5, s8
	s_mov_b32 s8, 0
	s_branch .LBB178_269
.LBB178_266:
	s_bfe_i32 s7, s10, 0x80000
	s_delay_alu instid0(VALU_DEP_1) | instid1(SALU_CYCLE_1)
	v_max_i16 v5, v6, s7
	s_bfe_i32 s7, s3, 0x80000
	s_delay_alu instid0(VALU_DEP_1) | instid1(SALU_CYCLE_1)
	v_min_i16 v5, v5, s7
	s_cbranch_execz .LBB178_260
	s_branch .LBB178_261
.LBB178_267:
	s_mov_b32 s8, 0
                                        ; implicit-def: $vgpr5
	s_cbranch_execnz .LBB178_270
	s_branch .LBB178_271
.LBB178_268:
	s_mov_b32 s8, -1
                                        ; implicit-def: $vgpr5
.LBB178_269:
	s_branch .LBB178_271
.LBB178_270:
	s_cmp_lg_u32 s9, 0
	s_mov_b32 s7, -1
	s_cselect_b32 s8, -1, 0
.LBB178_271:
	v_bfe_i32 v6, v21, 0, 8
	s_and_not1_b32 vcc_lo, exec_lo, s8
	s_cbranch_vccz .LBB178_279
; %bb.272:
	s_and_not1_b32 vcc_lo, exec_lo, s7
	s_cbranch_vccnz .LBB178_274
.LBB178_273:
	s_bfe_i32 s7, s10, 0x80000
	s_delay_alu instid0(SALU_CYCLE_1)
	v_max_i16 v5, v6, s7
.LBB178_274:
	s_delay_alu instid0(VALU_DEP_1)
	v_perm_b32 v1, v5, v1, 0x3020104
.LBB178_275:
	s_or_b32 exec_lo, exec_lo, s6
	v_or_b32_e32 v5, 0x500, v0
	s_mov_b32 s6, exec_lo
	s_delay_alu instid0(VALU_DEP_1)
	v_cmpx_gt_i32_e64 s1, v5
	s_cbranch_execz .LBB178_288
; %bb.276:
	s_cmp_lt_i32 s9, 1
	s_mov_b32 s7, 0
	s_cbranch_scc1 .LBB178_280
; %bb.277:
	s_cmp_eq_u32 s9, 1
	s_cbranch_scc0 .LBB178_281
; %bb.278:
	v_bfe_i32 v5, v20, 0, 8
	s_bfe_i32 s8, s10, 0x80000
	s_delay_alu instid0(VALU_DEP_1) | instid1(SALU_CYCLE_1)
	v_min_i16 v5, v5, s8
	s_mov_b32 s8, 0
	s_branch .LBB178_282
.LBB178_279:
	s_bfe_i32 s7, s10, 0x80000
	s_delay_alu instid0(VALU_DEP_1) | instid1(SALU_CYCLE_1)
	v_max_i16 v5, v6, s7
	s_bfe_i32 s7, s3, 0x80000
	s_delay_alu instid0(VALU_DEP_1) | instid1(SALU_CYCLE_1)
	v_min_i16 v5, v5, s7
	s_cbranch_execz .LBB178_273
	s_branch .LBB178_274
.LBB178_280:
	s_mov_b32 s8, 0
                                        ; implicit-def: $vgpr5
	s_cbranch_execnz .LBB178_283
	s_branch .LBB178_284
.LBB178_281:
	s_mov_b32 s8, -1
                                        ; implicit-def: $vgpr5
.LBB178_282:
	s_branch .LBB178_284
.LBB178_283:
	s_cmp_lg_u32 s9, 0
	s_mov_b32 s7, -1
	s_cselect_b32 s8, -1, 0
.LBB178_284:
	v_bfe_i32 v6, v20, 0, 8
	s_and_not1_b32 vcc_lo, exec_lo, s8
	s_cbranch_vccz .LBB178_292
; %bb.285:
	s_and_not1_b32 vcc_lo, exec_lo, s7
	s_cbranch_vccnz .LBB178_287
.LBB178_286:
	s_bfe_i32 s7, s10, 0x80000
	s_delay_alu instid0(SALU_CYCLE_1)
	v_max_i16 v5, v6, s7
.LBB178_287:
	s_delay_alu instid0(VALU_DEP_1)
	v_perm_b32 v1, v1, v5, 0x7060004
.LBB178_288:
	s_or_b32 exec_lo, exec_lo, s6
	v_or_b32_e32 v5, 0x600, v0
	s_mov_b32 s6, exec_lo
	s_delay_alu instid0(VALU_DEP_1)
	v_cmpx_gt_i32_e64 s1, v5
	s_cbranch_execz .LBB178_301
; %bb.289:
	s_cmp_lt_i32 s9, 1
	s_mov_b32 s7, 0
	s_cbranch_scc1 .LBB178_293
; %bb.290:
	s_cmp_eq_u32 s9, 1
	s_cbranch_scc0 .LBB178_294
; %bb.291:
	v_bfe_i32 v5, v19, 0, 8
	s_bfe_i32 s8, s10, 0x80000
	s_delay_alu instid0(VALU_DEP_1) | instid1(SALU_CYCLE_1)
	v_min_i16 v5, v5, s8
	s_mov_b32 s8, 0
	s_branch .LBB178_295
.LBB178_292:
	s_bfe_i32 s7, s10, 0x80000
	s_delay_alu instid0(VALU_DEP_1) | instid1(SALU_CYCLE_1)
	v_max_i16 v5, v6, s7
	s_bfe_i32 s7, s3, 0x80000
	s_delay_alu instid0(VALU_DEP_1) | instid1(SALU_CYCLE_1)
	v_min_i16 v5, v5, s7
	s_cbranch_execz .LBB178_286
	s_branch .LBB178_287
.LBB178_293:
	s_mov_b32 s8, 0
                                        ; implicit-def: $vgpr5
	s_cbranch_execnz .LBB178_296
	s_branch .LBB178_297
.LBB178_294:
	s_mov_b32 s8, -1
                                        ; implicit-def: $vgpr5
.LBB178_295:
	s_branch .LBB178_297
.LBB178_296:
	s_cmp_lg_u32 s9, 0
	s_mov_b32 s7, -1
	s_cselect_b32 s8, -1, 0
.LBB178_297:
	v_bfe_i32 v6, v19, 0, 8
	s_and_not1_b32 vcc_lo, exec_lo, s8
	s_cbranch_vccz .LBB178_305
; %bb.298:
	s_and_not1_b32 vcc_lo, exec_lo, s7
	s_cbranch_vccnz .LBB178_300
.LBB178_299:
	s_bfe_i32 s7, s10, 0x80000
	s_delay_alu instid0(SALU_CYCLE_1)
	v_max_i16 v5, v6, s7
.LBB178_300:
	s_delay_alu instid0(VALU_DEP_1)
	v_perm_b32 v1, v1, v5, 0x7000504
.LBB178_301:
	s_or_b32 exec_lo, exec_lo, s6
	v_or_b32_e32 v5, 0x700, v0
	s_mov_b32 s6, exec_lo
	s_delay_alu instid0(VALU_DEP_1)
	v_cmpx_gt_i32_e64 s1, v5
	s_cbranch_execz .LBB178_314
; %bb.302:
	s_cmp_lt_i32 s9, 1
	s_mov_b32 s7, 0
	s_cbranch_scc1 .LBB178_306
; %bb.303:
	s_cmp_eq_u32 s9, 1
	s_cbranch_scc0 .LBB178_307
; %bb.304:
	v_bfe_i32 v5, v18, 0, 8
	s_bfe_i32 s8, s10, 0x80000
	s_delay_alu instid0(VALU_DEP_1) | instid1(SALU_CYCLE_1)
	v_min_i16 v5, v5, s8
	s_mov_b32 s8, 0
	s_branch .LBB178_308
.LBB178_305:
	s_bfe_i32 s7, s10, 0x80000
	s_delay_alu instid0(VALU_DEP_1) | instid1(SALU_CYCLE_1)
	v_max_i16 v5, v6, s7
	s_bfe_i32 s7, s3, 0x80000
	s_delay_alu instid0(VALU_DEP_1) | instid1(SALU_CYCLE_1)
	v_min_i16 v5, v5, s7
	s_cbranch_execz .LBB178_299
	s_branch .LBB178_300
.LBB178_306:
	s_mov_b32 s8, 0
                                        ; implicit-def: $vgpr5
	s_cbranch_execnz .LBB178_309
	s_branch .LBB178_310
.LBB178_307:
	s_mov_b32 s8, -1
                                        ; implicit-def: $vgpr5
.LBB178_308:
	s_branch .LBB178_310
.LBB178_309:
	s_cmp_lg_u32 s9, 0
	s_mov_b32 s7, -1
	s_cselect_b32 s8, -1, 0
.LBB178_310:
	v_bfe_i32 v6, v18, 0, 8
	s_and_not1_b32 vcc_lo, exec_lo, s8
	s_cbranch_vccz .LBB178_318
; %bb.311:
	s_and_not1_b32 vcc_lo, exec_lo, s7
	s_cbranch_vccnz .LBB178_313
.LBB178_312:
	s_bfe_i32 s7, s10, 0x80000
	s_delay_alu instid0(SALU_CYCLE_1)
	v_max_i16 v5, v6, s7
.LBB178_313:
	s_delay_alu instid0(VALU_DEP_1)
	v_perm_b32 v1, v1, v5, 0x60504
.LBB178_314:
	s_or_b32 exec_lo, exec_lo, s6
	v_or_b32_e32 v5, 0x800, v0
	s_mov_b32 s6, exec_lo
	s_delay_alu instid0(VALU_DEP_1)
	v_cmpx_gt_i32_e64 s1, v5
	s_cbranch_execz .LBB178_327
; %bb.315:
	s_cmp_lt_i32 s9, 1
	s_mov_b32 s7, 0
	s_cbranch_scc1 .LBB178_319
; %bb.316:
	s_cmp_eq_u32 s9, 1
	s_cbranch_scc0 .LBB178_320
; %bb.317:
	v_bfe_i32 v5, v17, 0, 8
	s_bfe_i32 s8, s10, 0x80000
	s_delay_alu instid0(VALU_DEP_1) | instid1(SALU_CYCLE_1)
	v_min_i16 v5, v5, s8
	s_mov_b32 s8, 0
	s_branch .LBB178_321
.LBB178_318:
	s_bfe_i32 s7, s10, 0x80000
	s_delay_alu instid0(VALU_DEP_1) | instid1(SALU_CYCLE_1)
	v_max_i16 v5, v6, s7
	s_bfe_i32 s7, s3, 0x80000
	s_delay_alu instid0(VALU_DEP_1) | instid1(SALU_CYCLE_1)
	v_min_i16 v5, v5, s7
	s_cbranch_execz .LBB178_312
	s_branch .LBB178_313
.LBB178_319:
	s_mov_b32 s8, 0
                                        ; implicit-def: $vgpr5
	s_cbranch_execnz .LBB178_322
	s_branch .LBB178_323
.LBB178_320:
	s_mov_b32 s8, -1
                                        ; implicit-def: $vgpr5
.LBB178_321:
	s_branch .LBB178_323
.LBB178_322:
	s_cmp_lg_u32 s9, 0
	s_mov_b32 s7, -1
	s_cselect_b32 s8, -1, 0
.LBB178_323:
	v_bfe_i32 v6, v17, 0, 8
	s_and_not1_b32 vcc_lo, exec_lo, s8
	s_cbranch_vccz .LBB178_331
; %bb.324:
	s_and_not1_b32 vcc_lo, exec_lo, s7
	s_cbranch_vccnz .LBB178_326
.LBB178_325:
	s_bfe_i32 s7, s10, 0x80000
	s_delay_alu instid0(SALU_CYCLE_1)
	v_max_i16 v5, v6, s7
.LBB178_326:
	s_delay_alu instid0(VALU_DEP_1)
	v_perm_b32 v4, v5, v4, 0x3020104
.LBB178_327:
	s_or_b32 exec_lo, exec_lo, s6
	v_or_b32_e32 v5, 0x900, v0
	s_mov_b32 s6, exec_lo
	s_delay_alu instid0(VALU_DEP_1)
	v_cmpx_gt_i32_e64 s1, v5
	s_cbranch_execz .LBB178_340
; %bb.328:
	s_cmp_lt_i32 s9, 1
	s_mov_b32 s7, 0
	s_cbranch_scc1 .LBB178_332
; %bb.329:
	s_cmp_eq_u32 s9, 1
	s_cbranch_scc0 .LBB178_333
; %bb.330:
	v_bfe_i32 v5, v16, 0, 8
	s_bfe_i32 s8, s10, 0x80000
	s_delay_alu instid0(VALU_DEP_1) | instid1(SALU_CYCLE_1)
	v_min_i16 v5, v5, s8
	s_mov_b32 s8, 0
	s_branch .LBB178_334
.LBB178_331:
	s_bfe_i32 s7, s10, 0x80000
	s_delay_alu instid0(VALU_DEP_1) | instid1(SALU_CYCLE_1)
	v_max_i16 v5, v6, s7
	s_bfe_i32 s7, s3, 0x80000
	s_delay_alu instid0(VALU_DEP_1) | instid1(SALU_CYCLE_1)
	v_min_i16 v5, v5, s7
	s_cbranch_execz .LBB178_325
	s_branch .LBB178_326
.LBB178_332:
	s_mov_b32 s8, 0
                                        ; implicit-def: $vgpr5
	s_cbranch_execnz .LBB178_335
	s_branch .LBB178_336
.LBB178_333:
	s_mov_b32 s8, -1
                                        ; implicit-def: $vgpr5
.LBB178_334:
	s_branch .LBB178_336
.LBB178_335:
	s_cmp_lg_u32 s9, 0
	s_mov_b32 s7, -1
	s_cselect_b32 s8, -1, 0
.LBB178_336:
	v_bfe_i32 v6, v16, 0, 8
	s_and_not1_b32 vcc_lo, exec_lo, s8
	s_cbranch_vccz .LBB178_344
; %bb.337:
	s_and_not1_b32 vcc_lo, exec_lo, s7
	s_cbranch_vccnz .LBB178_339
.LBB178_338:
	s_bfe_i32 s7, s10, 0x80000
	s_delay_alu instid0(SALU_CYCLE_1)
	v_max_i16 v5, v6, s7
.LBB178_339:
	s_delay_alu instid0(VALU_DEP_1)
	v_perm_b32 v4, v4, v5, 0x7060004
.LBB178_340:
	s_or_b32 exec_lo, exec_lo, s6
	v_or_b32_e32 v5, 0xa00, v0
	s_mov_b32 s6, exec_lo
	s_delay_alu instid0(VALU_DEP_1)
	v_cmpx_gt_i32_e64 s1, v5
	s_cbranch_execz .LBB178_353
; %bb.341:
	s_cmp_lt_i32 s9, 1
	s_mov_b32 s7, 0
	s_cbranch_scc1 .LBB178_345
; %bb.342:
	s_cmp_eq_u32 s9, 1
	s_cbranch_scc0 .LBB178_346
; %bb.343:
	v_bfe_i32 v5, v15, 0, 8
	s_bfe_i32 s8, s10, 0x80000
	s_delay_alu instid0(VALU_DEP_1) | instid1(SALU_CYCLE_1)
	v_min_i16 v5, v5, s8
	s_mov_b32 s8, 0
	s_branch .LBB178_347
.LBB178_344:
	s_bfe_i32 s7, s10, 0x80000
	s_delay_alu instid0(VALU_DEP_1) | instid1(SALU_CYCLE_1)
	v_max_i16 v5, v6, s7
	s_bfe_i32 s7, s3, 0x80000
	s_delay_alu instid0(VALU_DEP_1) | instid1(SALU_CYCLE_1)
	v_min_i16 v5, v5, s7
	s_cbranch_execz .LBB178_338
	s_branch .LBB178_339
.LBB178_345:
	s_mov_b32 s8, 0
                                        ; implicit-def: $vgpr5
	s_cbranch_execnz .LBB178_348
	s_branch .LBB178_349
.LBB178_346:
	s_mov_b32 s8, -1
                                        ; implicit-def: $vgpr5
.LBB178_347:
	s_branch .LBB178_349
.LBB178_348:
	s_cmp_lg_u32 s9, 0
	s_mov_b32 s7, -1
	s_cselect_b32 s8, -1, 0
.LBB178_349:
	v_bfe_i32 v6, v15, 0, 8
	s_and_not1_b32 vcc_lo, exec_lo, s8
	s_cbranch_vccz .LBB178_357
; %bb.350:
	s_and_not1_b32 vcc_lo, exec_lo, s7
	s_cbranch_vccnz .LBB178_352
.LBB178_351:
	s_bfe_i32 s7, s10, 0x80000
	s_delay_alu instid0(SALU_CYCLE_1)
	v_max_i16 v5, v6, s7
.LBB178_352:
	s_delay_alu instid0(VALU_DEP_1)
	v_perm_b32 v4, v4, v5, 0x7000504
.LBB178_353:
	s_or_b32 exec_lo, exec_lo, s6
	v_or_b32_e32 v5, 0xb00, v0
	s_mov_b32 s6, exec_lo
	s_delay_alu instid0(VALU_DEP_1)
	v_cmpx_gt_i32_e64 s1, v5
	s_cbranch_execz .LBB178_366
; %bb.354:
	s_cmp_lt_i32 s9, 1
	s_mov_b32 s7, 0
	s_cbranch_scc1 .LBB178_358
; %bb.355:
	s_cmp_eq_u32 s9, 1
	s_cbranch_scc0 .LBB178_359
; %bb.356:
	v_bfe_i32 v5, v14, 0, 8
	s_bfe_i32 s8, s10, 0x80000
	s_delay_alu instid0(VALU_DEP_1) | instid1(SALU_CYCLE_1)
	v_min_i16 v5, v5, s8
	s_mov_b32 s8, 0
	s_branch .LBB178_360
.LBB178_357:
	s_bfe_i32 s7, s10, 0x80000
	s_delay_alu instid0(VALU_DEP_1) | instid1(SALU_CYCLE_1)
	v_max_i16 v5, v6, s7
	s_bfe_i32 s7, s3, 0x80000
	s_delay_alu instid0(VALU_DEP_1) | instid1(SALU_CYCLE_1)
	v_min_i16 v5, v5, s7
	s_cbranch_execz .LBB178_351
	s_branch .LBB178_352
.LBB178_358:
	s_mov_b32 s8, 0
                                        ; implicit-def: $vgpr5
	s_cbranch_execnz .LBB178_361
	s_branch .LBB178_362
.LBB178_359:
	s_mov_b32 s8, -1
                                        ; implicit-def: $vgpr5
.LBB178_360:
	s_branch .LBB178_362
.LBB178_361:
	s_cmp_lg_u32 s9, 0
	s_mov_b32 s7, -1
	s_cselect_b32 s8, -1, 0
.LBB178_362:
	v_bfe_i32 v6, v14, 0, 8
	s_and_not1_b32 vcc_lo, exec_lo, s8
	s_cbranch_vccz .LBB178_370
; %bb.363:
	s_and_not1_b32 vcc_lo, exec_lo, s7
	s_cbranch_vccnz .LBB178_365
.LBB178_364:
	s_bfe_i32 s7, s10, 0x80000
	s_delay_alu instid0(SALU_CYCLE_1)
	v_max_i16 v5, v6, s7
.LBB178_365:
	s_delay_alu instid0(VALU_DEP_1)
	v_perm_b32 v4, v4, v5, 0x60504
.LBB178_366:
	s_or_b32 exec_lo, exec_lo, s6
	v_or_b32_e32 v5, 0xc00, v0
	s_mov_b32 s6, exec_lo
	s_delay_alu instid0(VALU_DEP_1)
	v_cmpx_gt_i32_e64 s1, v5
	s_cbranch_execz .LBB178_379
; %bb.367:
	s_cmp_lt_i32 s9, 1
	s_mov_b32 s7, 0
	s_cbranch_scc1 .LBB178_371
; %bb.368:
	s_cmp_eq_u32 s9, 1
	s_cbranch_scc0 .LBB178_372
; %bb.369:
	v_bfe_i32 v5, v13, 0, 8
	s_bfe_i32 s8, s10, 0x80000
	s_delay_alu instid0(VALU_DEP_1) | instid1(SALU_CYCLE_1)
	v_min_i16 v5, v5, s8
	s_mov_b32 s8, 0
	s_branch .LBB178_373
.LBB178_370:
	s_bfe_i32 s7, s10, 0x80000
	s_delay_alu instid0(VALU_DEP_1) | instid1(SALU_CYCLE_1)
	v_max_i16 v5, v6, s7
	s_bfe_i32 s7, s3, 0x80000
	s_delay_alu instid0(VALU_DEP_1) | instid1(SALU_CYCLE_1)
	v_min_i16 v5, v5, s7
	s_cbranch_execz .LBB178_364
	s_branch .LBB178_365
.LBB178_371:
	s_mov_b32 s8, 0
                                        ; implicit-def: $vgpr5
	s_cbranch_execnz .LBB178_374
	s_branch .LBB178_375
.LBB178_372:
	s_mov_b32 s8, -1
                                        ; implicit-def: $vgpr5
.LBB178_373:
	s_branch .LBB178_375
.LBB178_374:
	s_cmp_lg_u32 s9, 0
	s_mov_b32 s7, -1
	s_cselect_b32 s8, -1, 0
.LBB178_375:
	v_bfe_i32 v6, v13, 0, 8
	s_and_not1_b32 vcc_lo, exec_lo, s8
	s_cbranch_vccz .LBB178_383
; %bb.376:
	s_and_not1_b32 vcc_lo, exec_lo, s7
	s_cbranch_vccnz .LBB178_378
.LBB178_377:
	s_bfe_i32 s7, s10, 0x80000
	s_delay_alu instid0(SALU_CYCLE_1)
	v_max_i16 v5, v6, s7
.LBB178_378:
	s_delay_alu instid0(VALU_DEP_1)
	v_perm_b32 v3, v5, v3, 0x3020104
.LBB178_379:
	s_or_b32 exec_lo, exec_lo, s6
	v_or_b32_e32 v5, 0xd00, v0
	s_mov_b32 s6, exec_lo
	s_delay_alu instid0(VALU_DEP_1)
	v_cmpx_gt_i32_e64 s1, v5
	s_cbranch_execz .LBB178_392
; %bb.380:
	s_cmp_lt_i32 s9, 1
	s_mov_b32 s7, 0
	s_cbranch_scc1 .LBB178_384
; %bb.381:
	s_cmp_eq_u32 s9, 1
	s_cbranch_scc0 .LBB178_385
; %bb.382:
	v_bfe_i32 v5, v12, 0, 8
	s_bfe_i32 s8, s10, 0x80000
	s_delay_alu instid0(VALU_DEP_1) | instid1(SALU_CYCLE_1)
	v_min_i16 v5, v5, s8
	s_mov_b32 s8, 0
	s_branch .LBB178_386
.LBB178_383:
	s_bfe_i32 s7, s10, 0x80000
	s_delay_alu instid0(VALU_DEP_1) | instid1(SALU_CYCLE_1)
	v_max_i16 v5, v6, s7
	s_bfe_i32 s7, s3, 0x80000
	s_delay_alu instid0(VALU_DEP_1) | instid1(SALU_CYCLE_1)
	v_min_i16 v5, v5, s7
	s_cbranch_execz .LBB178_377
	s_branch .LBB178_378
.LBB178_384:
	s_mov_b32 s8, 0
                                        ; implicit-def: $vgpr5
	s_cbranch_execnz .LBB178_387
	s_branch .LBB178_388
.LBB178_385:
	s_mov_b32 s8, -1
                                        ; implicit-def: $vgpr5
.LBB178_386:
	s_branch .LBB178_388
.LBB178_387:
	s_cmp_lg_u32 s9, 0
	s_mov_b32 s7, -1
	s_cselect_b32 s8, -1, 0
.LBB178_388:
	v_bfe_i32 v6, v12, 0, 8
	s_and_not1_b32 vcc_lo, exec_lo, s8
	s_cbranch_vccz .LBB178_396
; %bb.389:
	s_and_not1_b32 vcc_lo, exec_lo, s7
	s_cbranch_vccnz .LBB178_391
.LBB178_390:
	s_bfe_i32 s7, s10, 0x80000
	s_delay_alu instid0(SALU_CYCLE_1)
	v_max_i16 v5, v6, s7
.LBB178_391:
	s_delay_alu instid0(VALU_DEP_1)
	v_perm_b32 v3, v3, v5, 0x7060004
.LBB178_392:
	s_or_b32 exec_lo, exec_lo, s6
	v_or_b32_e32 v5, 0xe00, v0
	s_mov_b32 s6, exec_lo
	s_delay_alu instid0(VALU_DEP_1)
	v_cmpx_gt_i32_e64 s1, v5
	s_cbranch_execz .LBB178_405
; %bb.393:
	s_cmp_lt_i32 s9, 1
	s_mov_b32 s7, 0
	s_cbranch_scc1 .LBB178_397
; %bb.394:
	s_cmp_eq_u32 s9, 1
	s_cbranch_scc0 .LBB178_398
; %bb.395:
	v_bfe_i32 v5, v11, 0, 8
	s_bfe_i32 s8, s10, 0x80000
	s_delay_alu instid0(VALU_DEP_1) | instid1(SALU_CYCLE_1)
	v_min_i16 v5, v5, s8
	s_mov_b32 s8, 0
	s_branch .LBB178_399
.LBB178_396:
	s_bfe_i32 s7, s10, 0x80000
	s_delay_alu instid0(VALU_DEP_1) | instid1(SALU_CYCLE_1)
	v_max_i16 v5, v6, s7
	s_bfe_i32 s7, s3, 0x80000
	s_delay_alu instid0(VALU_DEP_1) | instid1(SALU_CYCLE_1)
	v_min_i16 v5, v5, s7
	s_cbranch_execz .LBB178_390
	s_branch .LBB178_391
.LBB178_397:
	s_mov_b32 s8, 0
                                        ; implicit-def: $vgpr5
	s_cbranch_execnz .LBB178_400
	s_branch .LBB178_401
.LBB178_398:
	s_mov_b32 s8, -1
                                        ; implicit-def: $vgpr5
.LBB178_399:
	s_branch .LBB178_401
.LBB178_400:
	s_cmp_lg_u32 s9, 0
	s_mov_b32 s7, -1
	s_cselect_b32 s8, -1, 0
.LBB178_401:
	v_bfe_i32 v6, v11, 0, 8
	s_and_not1_b32 vcc_lo, exec_lo, s8
	s_cbranch_vccz .LBB178_409
; %bb.402:
	s_and_not1_b32 vcc_lo, exec_lo, s7
	s_cbranch_vccnz .LBB178_404
.LBB178_403:
	s_bfe_i32 s7, s10, 0x80000
	s_delay_alu instid0(SALU_CYCLE_1)
	v_max_i16 v5, v6, s7
.LBB178_404:
	s_delay_alu instid0(VALU_DEP_1)
	v_perm_b32 v3, v3, v5, 0x7000504
.LBB178_405:
	s_or_b32 exec_lo, exec_lo, s6
	v_or_b32_e32 v5, 0xf00, v0
	s_mov_b32 s6, exec_lo
	s_delay_alu instid0(VALU_DEP_1)
	v_cmpx_gt_i32_e64 s1, v5
	s_cbranch_execz .LBB178_418
; %bb.406:
	s_cmp_lt_i32 s9, 1
	s_mov_b32 s7, 0
	s_cbranch_scc1 .LBB178_410
; %bb.407:
	s_cmp_eq_u32 s9, 1
	s_cbranch_scc0 .LBB178_411
; %bb.408:
	v_bfe_i32 v5, v10, 0, 8
	s_bfe_i32 s8, s10, 0x80000
	s_delay_alu instid0(VALU_DEP_1) | instid1(SALU_CYCLE_1)
	v_min_i16 v5, v5, s8
	s_mov_b32 s8, 0
	s_branch .LBB178_412
.LBB178_409:
	s_bfe_i32 s7, s10, 0x80000
	s_delay_alu instid0(VALU_DEP_1) | instid1(SALU_CYCLE_1)
	v_max_i16 v5, v6, s7
	s_bfe_i32 s7, s3, 0x80000
	s_delay_alu instid0(VALU_DEP_1) | instid1(SALU_CYCLE_1)
	v_min_i16 v5, v5, s7
	s_cbranch_execz .LBB178_403
	s_branch .LBB178_404
.LBB178_410:
	s_mov_b32 s8, 0
                                        ; implicit-def: $vgpr5
	s_cbranch_execnz .LBB178_413
	s_branch .LBB178_414
.LBB178_411:
	s_mov_b32 s8, -1
                                        ; implicit-def: $vgpr5
.LBB178_412:
	s_branch .LBB178_414
.LBB178_413:
	s_cmp_lg_u32 s9, 0
	s_mov_b32 s7, -1
	s_cselect_b32 s8, -1, 0
.LBB178_414:
	v_bfe_i32 v6, v10, 0, 8
	s_and_not1_b32 vcc_lo, exec_lo, s8
	s_cbranch_vccz .LBB178_451
; %bb.415:
	s_and_not1_b32 vcc_lo, exec_lo, s7
	s_cbranch_vccnz .LBB178_417
.LBB178_416:
	s_bfe_i32 s3, s10, 0x80000
	s_delay_alu instid0(SALU_CYCLE_1)
	v_max_i16 v5, v6, s3
.LBB178_417:
	s_delay_alu instid0(VALU_DEP_1)
	v_perm_b32 v3, v3, v5, 0x60504
.LBB178_418:
	s_or_b32 exec_lo, exec_lo, s6
	s_and_saveexec_b32 s3, s0
	s_delay_alu instid0(SALU_CYCLE_1)
	s_xor_b32 s0, exec_lo, s3
	s_cbranch_execz .LBB178_420
; %bb.419:
	v_mov_b32_e32 v0, v9
	global_store_b8 v8, v2, s[4:5]
.LBB178_420:
	s_wait_xcnt 0x0
	s_or_b32 exec_lo, exec_lo, s0
	s_delay_alu instid0(SALU_CYCLE_1)
	s_mov_b32 s0, exec_lo
	v_cmpx_gt_i32_e64 s1, v0
	s_cbranch_execnz .LBB178_437
; %bb.421:
	s_or_b32 exec_lo, exec_lo, s0
	s_delay_alu instid0(SALU_CYCLE_1)
	s_mov_b32 s0, exec_lo
	v_cmpx_gt_i32_e64 s1, v0
	s_cbranch_execnz .LBB178_438
.LBB178_422:
	s_or_b32 exec_lo, exec_lo, s0
	s_delay_alu instid0(SALU_CYCLE_1)
	s_mov_b32 s0, exec_lo
	v_cmpx_gt_i32_e64 s1, v0
	s_cbranch_execnz .LBB178_439
.LBB178_423:
	s_or_b32 exec_lo, exec_lo, s0
	s_delay_alu instid0(SALU_CYCLE_1)
	s_mov_b32 s0, exec_lo
	v_cmpx_gt_i32_e64 s1, v0
	s_cbranch_execnz .LBB178_440
.LBB178_424:
	s_or_b32 exec_lo, exec_lo, s0
	s_delay_alu instid0(SALU_CYCLE_1)
	s_mov_b32 s0, exec_lo
	v_cmpx_gt_i32_e64 s1, v0
	s_cbranch_execnz .LBB178_441
.LBB178_425:
	s_or_b32 exec_lo, exec_lo, s0
	s_delay_alu instid0(SALU_CYCLE_1)
	s_mov_b32 s0, exec_lo
	v_cmpx_gt_i32_e64 s1, v0
	s_cbranch_execnz .LBB178_442
.LBB178_426:
	s_or_b32 exec_lo, exec_lo, s0
	s_delay_alu instid0(SALU_CYCLE_1)
	s_mov_b32 s0, exec_lo
	v_cmpx_gt_i32_e64 s1, v0
	s_cbranch_execnz .LBB178_443
.LBB178_427:
	s_or_b32 exec_lo, exec_lo, s0
	s_delay_alu instid0(SALU_CYCLE_1)
	s_mov_b32 s0, exec_lo
	v_cmpx_gt_i32_e64 s1, v0
	s_cbranch_execnz .LBB178_444
.LBB178_428:
	s_or_b32 exec_lo, exec_lo, s0
	s_delay_alu instid0(SALU_CYCLE_1)
	s_mov_b32 s0, exec_lo
	v_cmpx_gt_i32_e64 s1, v0
	s_cbranch_execnz .LBB178_445
.LBB178_429:
	s_or_b32 exec_lo, exec_lo, s0
	s_delay_alu instid0(SALU_CYCLE_1)
	s_mov_b32 s0, exec_lo
	v_cmpx_gt_i32_e64 s1, v0
	s_cbranch_execnz .LBB178_446
.LBB178_430:
	s_or_b32 exec_lo, exec_lo, s0
	s_delay_alu instid0(SALU_CYCLE_1)
	s_mov_b32 s0, exec_lo
	v_cmpx_gt_i32_e64 s1, v0
	s_cbranch_execnz .LBB178_447
.LBB178_431:
	s_or_b32 exec_lo, exec_lo, s0
	s_delay_alu instid0(SALU_CYCLE_1)
	s_mov_b32 s0, exec_lo
	v_cmpx_gt_i32_e64 s1, v0
	s_cbranch_execnz .LBB178_448
.LBB178_432:
	s_or_b32 exec_lo, exec_lo, s0
	s_delay_alu instid0(SALU_CYCLE_1)
	s_mov_b32 s0, exec_lo
	v_cmpx_gt_i32_e64 s1, v0
	s_cbranch_execnz .LBB178_449
.LBB178_433:
	s_or_b32 exec_lo, exec_lo, s0
	s_delay_alu instid0(SALU_CYCLE_1)
	s_mov_b32 s0, exec_lo
	v_cmpx_gt_i32_e64 s1, v0
	s_cbranch_execnz .LBB178_450
.LBB178_434:
	s_or_b32 exec_lo, exec_lo, s0
	s_delay_alu instid0(SALU_CYCLE_1)
	s_mov_b32 s0, exec_lo
	v_cmpx_gt_i32_e64 s1, v0
	s_cbranch_execz .LBB178_436
.LBB178_435:
	v_dual_lshrrev_b32 v1, 24, v3 :: v_dual_add_nc_u32 v0, s2, v0
	global_store_b8 v0, v1, s[4:5]
.LBB178_436:
	s_endpgm
.LBB178_437:
	v_dual_lshrrev_b32 v5, 8, v2 :: v_dual_add_nc_u32 v6, s2, v0
	v_add_nc_u32_e32 v0, 0x100, v0
	global_store_b8 v6, v5, s[4:5]
	s_wait_xcnt 0x0
	s_or_b32 exec_lo, exec_lo, s0
	s_delay_alu instid0(SALU_CYCLE_1)
	s_mov_b32 s0, exec_lo
	v_cmpx_gt_i32_e64 s1, v0
	s_cbranch_execz .LBB178_422
.LBB178_438:
	v_add_nc_u32_e32 v5, s2, v0
	v_add_nc_u32_e32 v0, 0x100, v0
	global_store_d16_hi_b8 v5, v2, s[4:5]
	s_wait_xcnt 0x0
	s_or_b32 exec_lo, exec_lo, s0
	s_delay_alu instid0(SALU_CYCLE_1)
	s_mov_b32 s0, exec_lo
	v_cmpx_gt_i32_e64 s1, v0
	s_cbranch_execz .LBB178_423
.LBB178_439:
	v_dual_lshrrev_b32 v2, 24, v2 :: v_dual_add_nc_u32 v5, s2, v0
	v_add_nc_u32_e32 v0, 0x100, v0
	global_store_b8 v5, v2, s[4:5]
	s_wait_xcnt 0x0
	s_or_b32 exec_lo, exec_lo, s0
	s_delay_alu instid0(SALU_CYCLE_1)
	s_mov_b32 s0, exec_lo
	v_cmpx_gt_i32_e64 s1, v0
	s_cbranch_execz .LBB178_424
.LBB178_440:
	v_add_nc_u32_e32 v2, s2, v0
	v_add_nc_u32_e32 v0, 0x100, v0
	global_store_b8 v2, v1, s[4:5]
	s_wait_xcnt 0x0
	s_or_b32 exec_lo, exec_lo, s0
	s_delay_alu instid0(SALU_CYCLE_1)
	s_mov_b32 s0, exec_lo
	v_cmpx_gt_i32_e64 s1, v0
	s_cbranch_execz .LBB178_425
.LBB178_441:
	v_dual_lshrrev_b32 v2, 8, v1 :: v_dual_add_nc_u32 v5, s2, v0
	v_add_nc_u32_e32 v0, 0x100, v0
	global_store_b8 v5, v2, s[4:5]
	s_wait_xcnt 0x0
	s_or_b32 exec_lo, exec_lo, s0
	s_delay_alu instid0(SALU_CYCLE_1)
	s_mov_b32 s0, exec_lo
	v_cmpx_gt_i32_e64 s1, v0
	s_cbranch_execz .LBB178_426
.LBB178_442:
	v_add_nc_u32_e32 v2, s2, v0
	v_add_nc_u32_e32 v0, 0x100, v0
	global_store_d16_hi_b8 v2, v1, s[4:5]
	s_wait_xcnt 0x0
	s_or_b32 exec_lo, exec_lo, s0
	s_delay_alu instid0(SALU_CYCLE_1)
	s_mov_b32 s0, exec_lo
	v_cmpx_gt_i32_e64 s1, v0
	s_cbranch_execz .LBB178_427
.LBB178_443:
	v_dual_lshrrev_b32 v1, 24, v1 :: v_dual_add_nc_u32 v2, s2, v0
	v_add_nc_u32_e32 v0, 0x100, v0
	global_store_b8 v2, v1, s[4:5]
	s_wait_xcnt 0x0
	s_or_b32 exec_lo, exec_lo, s0
	s_delay_alu instid0(SALU_CYCLE_1)
	s_mov_b32 s0, exec_lo
	v_cmpx_gt_i32_e64 s1, v0
	s_cbranch_execz .LBB178_428
.LBB178_444:
	v_add_nc_u32_e32 v1, s2, v0
	v_add_nc_u32_e32 v0, 0x100, v0
	global_store_b8 v1, v4, s[4:5]
	s_wait_xcnt 0x0
	s_or_b32 exec_lo, exec_lo, s0
	s_delay_alu instid0(SALU_CYCLE_1)
	s_mov_b32 s0, exec_lo
	v_cmpx_gt_i32_e64 s1, v0
	s_cbranch_execz .LBB178_429
.LBB178_445:
	v_lshrrev_b32_e32 v1, 8, v4
	v_add_nc_u32_e32 v2, s2, v0
	v_add_nc_u32_e32 v0, 0x100, v0
	global_store_b8 v2, v1, s[4:5]
	s_wait_xcnt 0x0
	s_or_b32 exec_lo, exec_lo, s0
	s_delay_alu instid0(SALU_CYCLE_1)
	s_mov_b32 s0, exec_lo
	v_cmpx_gt_i32_e64 s1, v0
	s_cbranch_execz .LBB178_430
.LBB178_446:
	v_add_nc_u32_e32 v1, s2, v0
	v_add_nc_u32_e32 v0, 0x100, v0
	global_store_d16_hi_b8 v1, v4, s[4:5]
	s_wait_xcnt 0x0
	s_or_b32 exec_lo, exec_lo, s0
	s_delay_alu instid0(SALU_CYCLE_1)
	s_mov_b32 s0, exec_lo
	v_cmpx_gt_i32_e64 s1, v0
	s_cbranch_execz .LBB178_431
.LBB178_447:
	v_lshrrev_b32_e32 v1, 24, v4
	v_add_nc_u32_e32 v2, s2, v0
	v_add_nc_u32_e32 v0, 0x100, v0
	global_store_b8 v2, v1, s[4:5]
	s_wait_xcnt 0x0
	s_or_b32 exec_lo, exec_lo, s0
	s_delay_alu instid0(SALU_CYCLE_1)
	s_mov_b32 s0, exec_lo
	v_cmpx_gt_i32_e64 s1, v0
	s_cbranch_execz .LBB178_432
.LBB178_448:
	v_add_nc_u32_e32 v1, s2, v0
	v_add_nc_u32_e32 v0, 0x100, v0
	global_store_b8 v1, v3, s[4:5]
	s_wait_xcnt 0x0
	s_or_b32 exec_lo, exec_lo, s0
	s_delay_alu instid0(SALU_CYCLE_1)
	s_mov_b32 s0, exec_lo
	v_cmpx_gt_i32_e64 s1, v0
	s_cbranch_execz .LBB178_433
.LBB178_449:
	v_dual_lshrrev_b32 v1, 8, v3 :: v_dual_add_nc_u32 v2, s2, v0
	v_add_nc_u32_e32 v0, 0x100, v0
	global_store_b8 v2, v1, s[4:5]
	s_wait_xcnt 0x0
	s_or_b32 exec_lo, exec_lo, s0
	s_delay_alu instid0(SALU_CYCLE_1)
	s_mov_b32 s0, exec_lo
	v_cmpx_gt_i32_e64 s1, v0
	s_cbranch_execz .LBB178_434
.LBB178_450:
	v_add_nc_u32_e32 v1, s2, v0
	v_add_nc_u32_e32 v0, 0x100, v0
	global_store_d16_hi_b8 v1, v3, s[4:5]
	s_wait_xcnt 0x0
	s_or_b32 exec_lo, exec_lo, s0
	s_delay_alu instid0(SALU_CYCLE_1)
	s_mov_b32 s0, exec_lo
	v_cmpx_gt_i32_e64 s1, v0
	s_cbranch_execnz .LBB178_435
	s_branch .LBB178_436
.LBB178_451:
	s_bfe_i32 s7, s10, 0x80000
	s_bfe_i32 s3, s3, 0x80000
	v_max_i16 v5, v6, s7
	s_delay_alu instid0(VALU_DEP_1)
	v_min_i16 v5, v5, s3
	s_cbranch_execz .LBB178_416
	s_branch .LBB178_417
	.section	.rodata,"a",@progbits
	.p2align	6, 0x0
	.amdhsa_kernel _ZN2at6native29vectorized_elementwise_kernelILi4EZZZNS0_12_GLOBAL__N_119launch_clamp_scalarERNS_18TensorIteratorBaseEN3c106ScalarES6_NS0_6detail11ClampLimitsEENKUlvE_clEvENKUlvE0_clEvEUlaE_St5arrayIPcLm2EEEEviT0_T1_
		.amdhsa_group_segment_fixed_size 0
		.amdhsa_private_segment_fixed_size 0
		.amdhsa_kernarg_size 32
		.amdhsa_user_sgpr_count 2
		.amdhsa_user_sgpr_dispatch_ptr 0
		.amdhsa_user_sgpr_queue_ptr 0
		.amdhsa_user_sgpr_kernarg_segment_ptr 1
		.amdhsa_user_sgpr_dispatch_id 0
		.amdhsa_user_sgpr_kernarg_preload_length 0
		.amdhsa_user_sgpr_kernarg_preload_offset 0
		.amdhsa_user_sgpr_private_segment_size 0
		.amdhsa_wavefront_size32 1
		.amdhsa_uses_dynamic_stack 0
		.amdhsa_enable_private_segment 0
		.amdhsa_system_sgpr_workgroup_id_x 1
		.amdhsa_system_sgpr_workgroup_id_y 0
		.amdhsa_system_sgpr_workgroup_id_z 0
		.amdhsa_system_sgpr_workgroup_info 0
		.amdhsa_system_vgpr_workitem_id 0
		.amdhsa_next_free_vgpr 24
		.amdhsa_next_free_sgpr 23
		.amdhsa_named_barrier_count 0
		.amdhsa_reserve_vcc 1
		.amdhsa_float_round_mode_32 0
		.amdhsa_float_round_mode_16_64 0
		.amdhsa_float_denorm_mode_32 3
		.amdhsa_float_denorm_mode_16_64 3
		.amdhsa_fp16_overflow 0
		.amdhsa_memory_ordered 1
		.amdhsa_forward_progress 1
		.amdhsa_inst_pref_size 76
		.amdhsa_round_robin_scheduling 0
		.amdhsa_exception_fp_ieee_invalid_op 0
		.amdhsa_exception_fp_denorm_src 0
		.amdhsa_exception_fp_ieee_div_zero 0
		.amdhsa_exception_fp_ieee_overflow 0
		.amdhsa_exception_fp_ieee_underflow 0
		.amdhsa_exception_fp_ieee_inexact 0
		.amdhsa_exception_int_div_zero 0
	.end_amdhsa_kernel
	.section	.text._ZN2at6native29vectorized_elementwise_kernelILi4EZZZNS0_12_GLOBAL__N_119launch_clamp_scalarERNS_18TensorIteratorBaseEN3c106ScalarES6_NS0_6detail11ClampLimitsEENKUlvE_clEvENKUlvE0_clEvEUlaE_St5arrayIPcLm2EEEEviT0_T1_,"axG",@progbits,_ZN2at6native29vectorized_elementwise_kernelILi4EZZZNS0_12_GLOBAL__N_119launch_clamp_scalarERNS_18TensorIteratorBaseEN3c106ScalarES6_NS0_6detail11ClampLimitsEENKUlvE_clEvENKUlvE0_clEvEUlaE_St5arrayIPcLm2EEEEviT0_T1_,comdat
.Lfunc_end178:
	.size	_ZN2at6native29vectorized_elementwise_kernelILi4EZZZNS0_12_GLOBAL__N_119launch_clamp_scalarERNS_18TensorIteratorBaseEN3c106ScalarES6_NS0_6detail11ClampLimitsEENKUlvE_clEvENKUlvE0_clEvEUlaE_St5arrayIPcLm2EEEEviT0_T1_, .Lfunc_end178-_ZN2at6native29vectorized_elementwise_kernelILi4EZZZNS0_12_GLOBAL__N_119launch_clamp_scalarERNS_18TensorIteratorBaseEN3c106ScalarES6_NS0_6detail11ClampLimitsEENKUlvE_clEvENKUlvE0_clEvEUlaE_St5arrayIPcLm2EEEEviT0_T1_
                                        ; -- End function
	.set _ZN2at6native29vectorized_elementwise_kernelILi4EZZZNS0_12_GLOBAL__N_119launch_clamp_scalarERNS_18TensorIteratorBaseEN3c106ScalarES6_NS0_6detail11ClampLimitsEENKUlvE_clEvENKUlvE0_clEvEUlaE_St5arrayIPcLm2EEEEviT0_T1_.num_vgpr, 24
	.set _ZN2at6native29vectorized_elementwise_kernelILi4EZZZNS0_12_GLOBAL__N_119launch_clamp_scalarERNS_18TensorIteratorBaseEN3c106ScalarES6_NS0_6detail11ClampLimitsEENKUlvE_clEvENKUlvE0_clEvEUlaE_St5arrayIPcLm2EEEEviT0_T1_.num_agpr, 0
	.set _ZN2at6native29vectorized_elementwise_kernelILi4EZZZNS0_12_GLOBAL__N_119launch_clamp_scalarERNS_18TensorIteratorBaseEN3c106ScalarES6_NS0_6detail11ClampLimitsEENKUlvE_clEvENKUlvE0_clEvEUlaE_St5arrayIPcLm2EEEEviT0_T1_.numbered_sgpr, 23
	.set _ZN2at6native29vectorized_elementwise_kernelILi4EZZZNS0_12_GLOBAL__N_119launch_clamp_scalarERNS_18TensorIteratorBaseEN3c106ScalarES6_NS0_6detail11ClampLimitsEENKUlvE_clEvENKUlvE0_clEvEUlaE_St5arrayIPcLm2EEEEviT0_T1_.num_named_barrier, 0
	.set _ZN2at6native29vectorized_elementwise_kernelILi4EZZZNS0_12_GLOBAL__N_119launch_clamp_scalarERNS_18TensorIteratorBaseEN3c106ScalarES6_NS0_6detail11ClampLimitsEENKUlvE_clEvENKUlvE0_clEvEUlaE_St5arrayIPcLm2EEEEviT0_T1_.private_seg_size, 0
	.set _ZN2at6native29vectorized_elementwise_kernelILi4EZZZNS0_12_GLOBAL__N_119launch_clamp_scalarERNS_18TensorIteratorBaseEN3c106ScalarES6_NS0_6detail11ClampLimitsEENKUlvE_clEvENKUlvE0_clEvEUlaE_St5arrayIPcLm2EEEEviT0_T1_.uses_vcc, 1
	.set _ZN2at6native29vectorized_elementwise_kernelILi4EZZZNS0_12_GLOBAL__N_119launch_clamp_scalarERNS_18TensorIteratorBaseEN3c106ScalarES6_NS0_6detail11ClampLimitsEENKUlvE_clEvENKUlvE0_clEvEUlaE_St5arrayIPcLm2EEEEviT0_T1_.uses_flat_scratch, 0
	.set _ZN2at6native29vectorized_elementwise_kernelILi4EZZZNS0_12_GLOBAL__N_119launch_clamp_scalarERNS_18TensorIteratorBaseEN3c106ScalarES6_NS0_6detail11ClampLimitsEENKUlvE_clEvENKUlvE0_clEvEUlaE_St5arrayIPcLm2EEEEviT0_T1_.has_dyn_sized_stack, 0
	.set _ZN2at6native29vectorized_elementwise_kernelILi4EZZZNS0_12_GLOBAL__N_119launch_clamp_scalarERNS_18TensorIteratorBaseEN3c106ScalarES6_NS0_6detail11ClampLimitsEENKUlvE_clEvENKUlvE0_clEvEUlaE_St5arrayIPcLm2EEEEviT0_T1_.has_recursion, 0
	.set _ZN2at6native29vectorized_elementwise_kernelILi4EZZZNS0_12_GLOBAL__N_119launch_clamp_scalarERNS_18TensorIteratorBaseEN3c106ScalarES6_NS0_6detail11ClampLimitsEENKUlvE_clEvENKUlvE0_clEvEUlaE_St5arrayIPcLm2EEEEviT0_T1_.has_indirect_call, 0
	.section	.AMDGPU.csdata,"",@progbits
; Kernel info:
; codeLenInByte = 9704
; TotalNumSgprs: 25
; NumVgprs: 24
; ScratchSize: 0
; MemoryBound: 0
; FloatMode: 240
; IeeeMode: 1
; LDSByteSize: 0 bytes/workgroup (compile time only)
; SGPRBlocks: 0
; VGPRBlocks: 1
; NumSGPRsForWavesPerEU: 25
; NumVGPRsForWavesPerEU: 24
; NamedBarCnt: 0
; Occupancy: 16
; WaveLimiterHint : 1
; COMPUTE_PGM_RSRC2:SCRATCH_EN: 0
; COMPUTE_PGM_RSRC2:USER_SGPR: 2
; COMPUTE_PGM_RSRC2:TRAP_HANDLER: 0
; COMPUTE_PGM_RSRC2:TGID_X_EN: 1
; COMPUTE_PGM_RSRC2:TGID_Y_EN: 0
; COMPUTE_PGM_RSRC2:TGID_Z_EN: 0
; COMPUTE_PGM_RSRC2:TIDIG_COMP_CNT: 0
	.section	.text._ZN2at6native29vectorized_elementwise_kernelILi2EZZZNS0_12_GLOBAL__N_119launch_clamp_scalarERNS_18TensorIteratorBaseEN3c106ScalarES6_NS0_6detail11ClampLimitsEENKUlvE_clEvENKUlvE0_clEvEUlaE_St5arrayIPcLm2EEEEviT0_T1_,"axG",@progbits,_ZN2at6native29vectorized_elementwise_kernelILi2EZZZNS0_12_GLOBAL__N_119launch_clamp_scalarERNS_18TensorIteratorBaseEN3c106ScalarES6_NS0_6detail11ClampLimitsEENKUlvE_clEvENKUlvE0_clEvEUlaE_St5arrayIPcLm2EEEEviT0_T1_,comdat
	.globl	_ZN2at6native29vectorized_elementwise_kernelILi2EZZZNS0_12_GLOBAL__N_119launch_clamp_scalarERNS_18TensorIteratorBaseEN3c106ScalarES6_NS0_6detail11ClampLimitsEENKUlvE_clEvENKUlvE0_clEvEUlaE_St5arrayIPcLm2EEEEviT0_T1_ ; -- Begin function _ZN2at6native29vectorized_elementwise_kernelILi2EZZZNS0_12_GLOBAL__N_119launch_clamp_scalarERNS_18TensorIteratorBaseEN3c106ScalarES6_NS0_6detail11ClampLimitsEENKUlvE_clEvENKUlvE0_clEvEUlaE_St5arrayIPcLm2EEEEviT0_T1_
	.p2align	8
	.type	_ZN2at6native29vectorized_elementwise_kernelILi2EZZZNS0_12_GLOBAL__N_119launch_clamp_scalarERNS_18TensorIteratorBaseEN3c106ScalarES6_NS0_6detail11ClampLimitsEENKUlvE_clEvENKUlvE0_clEvEUlaE_St5arrayIPcLm2EEEEviT0_T1_,@function
_ZN2at6native29vectorized_elementwise_kernelILi2EZZZNS0_12_GLOBAL__N_119launch_clamp_scalarERNS_18TensorIteratorBaseEN3c106ScalarES6_NS0_6detail11ClampLimitsEENKUlvE_clEvENKUlvE0_clEvEUlaE_St5arrayIPcLm2EEEEviT0_T1_: ; @_ZN2at6native29vectorized_elementwise_kernelILi2EZZZNS0_12_GLOBAL__N_119launch_clamp_scalarERNS_18TensorIteratorBaseEN3c106ScalarES6_NS0_6detail11ClampLimitsEENKUlvE_clEvENKUlvE0_clEvEUlaE_St5arrayIPcLm2EEEEviT0_T1_
; %bb.0:
	s_clause 0x1
	s_load_b96 s[8:10], s[0:1], 0x0
	s_load_b128 s[4:7], s[0:1], 0x10
	s_wait_xcnt 0x0
	s_bfe_u32 s0, ttmp6, 0x4000c
	s_and_b32 s1, ttmp6, 15
	s_add_co_i32 s0, s0, 1
	s_getreg_b32 s2, hwreg(HW_REG_IB_STS2, 6, 4)
	s_mul_i32 s0, ttmp9, s0
	s_mov_b32 s3, -1
	s_add_co_i32 s1, s1, s0
	s_cmp_eq_u32 s2, 0
	s_cselect_b32 s0, ttmp9, s1
	s_delay_alu instid0(SALU_CYCLE_1) | instskip(SKIP_3) | instid1(SALU_CYCLE_1)
	s_lshl_b32 s2, s0, 12
	s_mov_b32 s0, 0
	s_wait_kmcnt 0x0
	s_sub_co_i32 s1, s8, s2
	s_cmp_gt_i32 s1, 0xfff
	s_cbranch_scc0 .LBB179_177
; %bb.1:
	s_ashr_i32 s3, s2, 31
	s_cmp_lt_i32 s9, 1
	s_add_nc_u64 s[12:13], s[6:7], s[2:3]
	s_clause 0x7
	global_load_u16 v4, v0, s[12:13] scale_offset
	global_load_u16 v7, v0, s[12:13] offset:512 scale_offset
	global_load_u16 v10, v0, s[12:13] offset:1024 scale_offset
	;; [unrolled: 1-line block ×7, first 2 shown]
	s_cbranch_scc1 .LBB179_4
; %bb.2:
	s_cmp_eq_u32 s9, 1
	s_cbranch_scc0 .LBB179_5
; %bb.3:
	s_wait_loadcnt 0x7
	v_bfe_i32 v1, v4, 0, 8
	s_bfe_i32 s0, s10, 0x80000
	s_delay_alu instid0(VALU_DEP_1) | instid1(SALU_CYCLE_1)
	v_min_i16 v1, v1, s0
	s_mov_b32 s0, 0
	s_branch .LBB179_6
.LBB179_4:
                                        ; implicit-def: $vgpr1
	s_mov_b32 s8, 0
	s_cbranch_execnz .LBB179_7
	s_branch .LBB179_8
.LBB179_5:
	s_mov_b32 s0, -1
                                        ; implicit-def: $vgpr1
.LBB179_6:
	s_mov_b32 s8, 0
	s_branch .LBB179_8
.LBB179_7:
	s_cmp_lg_u32 s9, 0
	s_mov_b32 s8, -1
	s_cselect_b32 s0, -1, 0
.LBB179_8:
	s_wait_loadcnt 0x7
	v_bfe_i32 v3, v4, 0, 8
	s_and_not1_b32 vcc_lo, exec_lo, s0
	s_lshr_b32 s0, s10, 8
	s_cbranch_vccz .LBB179_13
; %bb.9:
	s_and_not1_b32 vcc_lo, exec_lo, s8
	s_cbranch_vccz .LBB179_14
.LBB179_10:
	s_cmp_lt_i32 s9, 1
	s_mov_b32 s8, 0
	s_cbranch_scc1 .LBB179_15
.LBB179_11:
	s_cmp_eq_u32 s9, 1
	s_cbranch_scc0 .LBB179_16
; %bb.12:
	v_ashrrev_i16 v3, 8, v4
	s_bfe_i32 s11, s10, 0x80000
	s_delay_alu instid0(VALU_DEP_1) | instid1(SALU_CYCLE_1)
	v_min_i16 v3, v3, s11
	s_mov_b32 s11, 0
	s_branch .LBB179_17
.LBB179_13:
	s_bfe_i32 s8, s10, 0x80000
	s_delay_alu instid0(SALU_CYCLE_1)
	v_max_i16 v1, v3, s8
	s_bfe_i32 s8, s0, 0x80000
	s_delay_alu instid0(VALU_DEP_1) | instid1(SALU_CYCLE_1)
	v_min_i16 v1, v1, s8
	s_cbranch_execnz .LBB179_10
.LBB179_14:
	s_bfe_i32 s8, s10, 0x80000
	s_delay_alu instid0(SALU_CYCLE_1)
	v_max_i16 v1, v3, s8
	s_cmp_lt_i32 s9, 1
	s_mov_b32 s8, 0
	s_cbranch_scc0 .LBB179_11
.LBB179_15:
	s_wait_xcnt 0x0
	s_mov_b32 s11, 0
                                        ; implicit-def: $vgpr3
	s_cbranch_execnz .LBB179_18
	s_branch .LBB179_19
.LBB179_16:
	s_mov_b32 s11, -1
                                        ; implicit-def: $vgpr3
.LBB179_17:
	s_wait_xcnt 0x0
	s_branch .LBB179_19
.LBB179_18:
	s_cmp_lg_u32 s9, 0
	s_mov_b32 s8, -1
	s_cselect_b32 s11, -1, 0
.LBB179_19:
	v_ashrrev_i16 v4, 8, v4
	s_and_not1_b32 vcc_lo, exec_lo, s11
	s_cbranch_vccz .LBB179_24
; %bb.20:
	s_and_not1_b32 vcc_lo, exec_lo, s8
	s_cbranch_vccz .LBB179_25
.LBB179_21:
	s_cmp_lt_i32 s9, 1
	s_mov_b32 s8, 0
	s_cbranch_scc1 .LBB179_26
.LBB179_22:
	s_cmp_eq_u32 s9, 1
	s_cbranch_scc0 .LBB179_27
; %bb.23:
	s_wait_loadcnt 0x6
	v_bfe_i32 v4, v7, 0, 8
	s_bfe_i32 s11, s10, 0x80000
	s_delay_alu instid0(VALU_DEP_1) | instid1(SALU_CYCLE_1)
	v_min_i16 v4, v4, s11
	s_mov_b32 s11, 0
	s_branch .LBB179_28
.LBB179_24:
	s_bfe_i32 s8, s10, 0x80000
	s_delay_alu instid0(VALU_DEP_1) | instid1(SALU_CYCLE_1)
	v_max_i16 v3, v4, s8
	s_bfe_i32 s8, s0, 0x80000
	s_delay_alu instid0(VALU_DEP_1) | instid1(SALU_CYCLE_1)
	v_min_i16 v3, v3, s8
	s_cbranch_execnz .LBB179_21
.LBB179_25:
	s_bfe_i32 s8, s10, 0x80000
	s_delay_alu instid0(SALU_CYCLE_1)
	v_max_i16 v3, v4, s8
	s_cmp_lt_i32 s9, 1
	s_mov_b32 s8, 0
	s_cbranch_scc0 .LBB179_22
.LBB179_26:
	s_mov_b32 s11, 0
                                        ; implicit-def: $vgpr4
	s_cbranch_execnz .LBB179_29
	s_branch .LBB179_30
.LBB179_27:
	s_mov_b32 s11, -1
                                        ; implicit-def: $vgpr4
.LBB179_28:
	s_branch .LBB179_30
.LBB179_29:
	s_cmp_lg_u32 s9, 0
	s_mov_b32 s8, -1
	s_cselect_b32 s11, -1, 0
.LBB179_30:
	s_wait_loadcnt 0x6
	v_bfe_i32 v6, v7, 0, 8
	s_and_not1_b32 vcc_lo, exec_lo, s11
	s_cbranch_vccz .LBB179_35
; %bb.31:
	s_and_not1_b32 vcc_lo, exec_lo, s8
	s_cbranch_vccz .LBB179_36
.LBB179_32:
	s_cmp_lt_i32 s9, 1
	s_mov_b32 s8, 0
	s_cbranch_scc1 .LBB179_37
.LBB179_33:
	s_cmp_eq_u32 s9, 1
	s_cbranch_scc0 .LBB179_38
; %bb.34:
	v_ashrrev_i16 v6, 8, v7
	s_bfe_i32 s11, s10, 0x80000
	s_delay_alu instid0(VALU_DEP_1) | instid1(SALU_CYCLE_1)
	v_min_i16 v6, v6, s11
	s_mov_b32 s11, 0
	s_branch .LBB179_39
.LBB179_35:
	s_bfe_i32 s8, s10, 0x80000
	s_delay_alu instid0(VALU_DEP_1) | instid1(SALU_CYCLE_1)
	v_max_i16 v4, v6, s8
	s_bfe_i32 s8, s0, 0x80000
	s_delay_alu instid0(VALU_DEP_1) | instid1(SALU_CYCLE_1)
	v_min_i16 v4, v4, s8
	s_cbranch_execnz .LBB179_32
.LBB179_36:
	s_bfe_i32 s8, s10, 0x80000
	s_delay_alu instid0(SALU_CYCLE_1)
	v_max_i16 v4, v6, s8
	s_cmp_lt_i32 s9, 1
	s_mov_b32 s8, 0
	s_cbranch_scc0 .LBB179_33
.LBB179_37:
	s_mov_b32 s11, 0
                                        ; implicit-def: $vgpr6
	s_cbranch_execnz .LBB179_40
	s_branch .LBB179_41
.LBB179_38:
	s_mov_b32 s11, -1
                                        ; implicit-def: $vgpr6
.LBB179_39:
	s_branch .LBB179_41
.LBB179_40:
	s_cmp_lg_u32 s9, 0
	s_mov_b32 s8, -1
	s_cselect_b32 s11, -1, 0
.LBB179_41:
	v_ashrrev_i16 v7, 8, v7
	s_and_not1_b32 vcc_lo, exec_lo, s11
	s_cbranch_vccz .LBB179_46
; %bb.42:
	s_and_not1_b32 vcc_lo, exec_lo, s8
	s_cbranch_vccz .LBB179_47
.LBB179_43:
	s_cmp_lt_i32 s9, 1
	s_mov_b32 s8, 0
	s_cbranch_scc1 .LBB179_48
.LBB179_44:
	s_cmp_eq_u32 s9, 1
	s_cbranch_scc0 .LBB179_49
; %bb.45:
	s_wait_loadcnt 0x5
	v_bfe_i32 v7, v10, 0, 8
	s_bfe_i32 s11, s10, 0x80000
	s_delay_alu instid0(VALU_DEP_1) | instid1(SALU_CYCLE_1)
	v_min_i16 v7, v7, s11
	s_mov_b32 s11, 0
	s_branch .LBB179_50
.LBB179_46:
	s_bfe_i32 s8, s10, 0x80000
	s_delay_alu instid0(VALU_DEP_1) | instid1(SALU_CYCLE_1)
	v_max_i16 v6, v7, s8
	s_bfe_i32 s8, s0, 0x80000
	s_delay_alu instid0(VALU_DEP_1) | instid1(SALU_CYCLE_1)
	v_min_i16 v6, v6, s8
	s_cbranch_execnz .LBB179_43
.LBB179_47:
	s_bfe_i32 s8, s10, 0x80000
	s_delay_alu instid0(SALU_CYCLE_1)
	v_max_i16 v6, v7, s8
	s_cmp_lt_i32 s9, 1
	s_mov_b32 s8, 0
	s_cbranch_scc0 .LBB179_44
.LBB179_48:
	s_mov_b32 s11, 0
                                        ; implicit-def: $vgpr7
	s_cbranch_execnz .LBB179_51
	s_branch .LBB179_52
.LBB179_49:
	s_mov_b32 s11, -1
                                        ; implicit-def: $vgpr7
.LBB179_50:
	s_branch .LBB179_52
.LBB179_51:
	s_cmp_lg_u32 s9, 0
	s_mov_b32 s8, -1
	s_cselect_b32 s11, -1, 0
.LBB179_52:
	s_wait_loadcnt 0x5
	v_bfe_i32 v9, v10, 0, 8
	s_and_not1_b32 vcc_lo, exec_lo, s11
	s_cbranch_vccz .LBB179_57
; %bb.53:
	s_and_not1_b32 vcc_lo, exec_lo, s8
	s_cbranch_vccz .LBB179_58
.LBB179_54:
	s_cmp_lt_i32 s9, 1
	s_mov_b32 s8, 0
	s_cbranch_scc1 .LBB179_59
.LBB179_55:
	s_cmp_eq_u32 s9, 1
	s_cbranch_scc0 .LBB179_60
; %bb.56:
	v_ashrrev_i16 v9, 8, v10
	s_bfe_i32 s11, s10, 0x80000
	s_delay_alu instid0(VALU_DEP_1) | instid1(SALU_CYCLE_1)
	v_min_i16 v9, v9, s11
	s_mov_b32 s11, 0
	s_branch .LBB179_61
.LBB179_57:
	s_bfe_i32 s8, s10, 0x80000
	s_delay_alu instid0(VALU_DEP_1) | instid1(SALU_CYCLE_1)
	v_max_i16 v7, v9, s8
	s_bfe_i32 s8, s0, 0x80000
	s_delay_alu instid0(VALU_DEP_1) | instid1(SALU_CYCLE_1)
	v_min_i16 v7, v7, s8
	s_cbranch_execnz .LBB179_54
.LBB179_58:
	s_bfe_i32 s8, s10, 0x80000
	s_delay_alu instid0(SALU_CYCLE_1)
	v_max_i16 v7, v9, s8
	s_cmp_lt_i32 s9, 1
	s_mov_b32 s8, 0
	s_cbranch_scc0 .LBB179_55
.LBB179_59:
	s_mov_b32 s11, 0
                                        ; implicit-def: $vgpr9
	s_cbranch_execnz .LBB179_62
	s_branch .LBB179_63
.LBB179_60:
	s_mov_b32 s11, -1
                                        ; implicit-def: $vgpr9
.LBB179_61:
	s_branch .LBB179_63
.LBB179_62:
	s_cmp_lg_u32 s9, 0
	s_mov_b32 s8, -1
	s_cselect_b32 s11, -1, 0
.LBB179_63:
	v_ashrrev_i16 v10, 8, v10
	s_and_not1_b32 vcc_lo, exec_lo, s11
	s_cbranch_vccz .LBB179_68
; %bb.64:
	s_and_not1_b32 vcc_lo, exec_lo, s8
	s_cbranch_vccz .LBB179_69
.LBB179_65:
	s_cmp_lt_i32 s9, 1
	s_mov_b32 s8, 0
	s_cbranch_scc1 .LBB179_70
.LBB179_66:
	s_cmp_eq_u32 s9, 1
	s_cbranch_scc0 .LBB179_71
; %bb.67:
	s_wait_loadcnt 0x4
	v_bfe_i32 v10, v13, 0, 8
	s_bfe_i32 s11, s10, 0x80000
	s_delay_alu instid0(VALU_DEP_1) | instid1(SALU_CYCLE_1)
	v_min_i16 v10, v10, s11
	s_mov_b32 s11, 0
	s_branch .LBB179_72
.LBB179_68:
	s_bfe_i32 s8, s10, 0x80000
	s_delay_alu instid0(VALU_DEP_1) | instid1(SALU_CYCLE_1)
	v_max_i16 v9, v10, s8
	s_bfe_i32 s8, s0, 0x80000
	s_delay_alu instid0(VALU_DEP_1) | instid1(SALU_CYCLE_1)
	v_min_i16 v9, v9, s8
	s_cbranch_execnz .LBB179_65
.LBB179_69:
	s_bfe_i32 s8, s10, 0x80000
	s_delay_alu instid0(SALU_CYCLE_1)
	v_max_i16 v9, v10, s8
	s_cmp_lt_i32 s9, 1
	s_mov_b32 s8, 0
	s_cbranch_scc0 .LBB179_66
.LBB179_70:
	s_mov_b32 s11, 0
                                        ; implicit-def: $vgpr10
	s_cbranch_execnz .LBB179_73
	s_branch .LBB179_74
.LBB179_71:
	s_mov_b32 s11, -1
                                        ; implicit-def: $vgpr10
.LBB179_72:
	s_branch .LBB179_74
.LBB179_73:
	s_cmp_lg_u32 s9, 0
	s_mov_b32 s8, -1
	s_cselect_b32 s11, -1, 0
.LBB179_74:
	s_wait_loadcnt 0x4
	v_bfe_i32 v12, v13, 0, 8
	s_and_not1_b32 vcc_lo, exec_lo, s11
	s_cbranch_vccz .LBB179_79
; %bb.75:
	s_and_not1_b32 vcc_lo, exec_lo, s8
	s_cbranch_vccz .LBB179_80
.LBB179_76:
	s_cmp_lt_i32 s9, 1
	s_mov_b32 s8, 0
	s_cbranch_scc1 .LBB179_81
.LBB179_77:
	s_cmp_eq_u32 s9, 1
	s_cbranch_scc0 .LBB179_82
; %bb.78:
	v_ashrrev_i16 v12, 8, v13
	s_bfe_i32 s11, s10, 0x80000
	s_delay_alu instid0(VALU_DEP_1) | instid1(SALU_CYCLE_1)
	v_min_i16 v12, v12, s11
	s_mov_b32 s11, 0
	s_branch .LBB179_83
.LBB179_79:
	s_bfe_i32 s8, s10, 0x80000
	s_delay_alu instid0(VALU_DEP_1) | instid1(SALU_CYCLE_1)
	v_max_i16 v10, v12, s8
	s_bfe_i32 s8, s0, 0x80000
	s_delay_alu instid0(VALU_DEP_1) | instid1(SALU_CYCLE_1)
	v_min_i16 v10, v10, s8
	s_cbranch_execnz .LBB179_76
.LBB179_80:
	s_bfe_i32 s8, s10, 0x80000
	s_delay_alu instid0(SALU_CYCLE_1)
	v_max_i16 v10, v12, s8
	s_cmp_lt_i32 s9, 1
	s_mov_b32 s8, 0
	s_cbranch_scc0 .LBB179_77
.LBB179_81:
	s_mov_b32 s11, 0
                                        ; implicit-def: $vgpr12
	s_cbranch_execnz .LBB179_84
	s_branch .LBB179_85
.LBB179_82:
	s_mov_b32 s11, -1
                                        ; implicit-def: $vgpr12
.LBB179_83:
	s_branch .LBB179_85
.LBB179_84:
	s_cmp_lg_u32 s9, 0
	s_mov_b32 s8, -1
	s_cselect_b32 s11, -1, 0
.LBB179_85:
	v_ashrrev_i16 v13, 8, v13
	s_and_not1_b32 vcc_lo, exec_lo, s11
	s_cbranch_vccz .LBB179_90
; %bb.86:
	s_and_not1_b32 vcc_lo, exec_lo, s8
	s_cbranch_vccz .LBB179_91
.LBB179_87:
	s_cmp_lt_i32 s9, 1
	s_mov_b32 s8, 0
	s_cbranch_scc1 .LBB179_92
.LBB179_88:
	s_cmp_eq_u32 s9, 1
	s_cbranch_scc0 .LBB179_93
; %bb.89:
	s_wait_loadcnt 0x3
	v_bfe_i32 v13, v11, 0, 8
	s_bfe_i32 s11, s10, 0x80000
	s_delay_alu instid0(VALU_DEP_1) | instid1(SALU_CYCLE_1)
	v_min_i16 v13, v13, s11
	s_mov_b32 s11, 0
	s_branch .LBB179_94
.LBB179_90:
	s_bfe_i32 s8, s10, 0x80000
	s_delay_alu instid0(VALU_DEP_1) | instid1(SALU_CYCLE_1)
	v_max_i16 v12, v13, s8
	s_bfe_i32 s8, s0, 0x80000
	s_delay_alu instid0(VALU_DEP_1) | instid1(SALU_CYCLE_1)
	v_min_i16 v12, v12, s8
	s_cbranch_execnz .LBB179_87
.LBB179_91:
	s_bfe_i32 s8, s10, 0x80000
	s_delay_alu instid0(SALU_CYCLE_1)
	v_max_i16 v12, v13, s8
	s_cmp_lt_i32 s9, 1
	s_mov_b32 s8, 0
	s_cbranch_scc0 .LBB179_88
.LBB179_92:
	s_mov_b32 s11, 0
                                        ; implicit-def: $vgpr13
	s_cbranch_execnz .LBB179_95
	s_branch .LBB179_96
.LBB179_93:
	s_mov_b32 s11, -1
                                        ; implicit-def: $vgpr13
.LBB179_94:
	s_branch .LBB179_96
.LBB179_95:
	s_cmp_lg_u32 s9, 0
	s_mov_b32 s8, -1
	s_cselect_b32 s11, -1, 0
.LBB179_96:
	s_wait_loadcnt 0x3
	v_bfe_i32 v14, v11, 0, 8
	s_and_not1_b32 vcc_lo, exec_lo, s11
	s_cbranch_vccz .LBB179_101
; %bb.97:
	s_and_not1_b32 vcc_lo, exec_lo, s8
	s_cbranch_vccz .LBB179_102
.LBB179_98:
	s_cmp_lt_i32 s9, 1
	s_mov_b32 s8, 0
	s_cbranch_scc1 .LBB179_103
.LBB179_99:
	s_cmp_eq_u32 s9, 1
	s_cbranch_scc0 .LBB179_104
; %bb.100:
	v_ashrrev_i16 v14, 8, v11
	s_bfe_i32 s11, s10, 0x80000
	s_delay_alu instid0(VALU_DEP_1) | instid1(SALU_CYCLE_1)
	v_min_i16 v14, v14, s11
	s_mov_b32 s11, 0
	s_branch .LBB179_105
.LBB179_101:
	s_bfe_i32 s8, s10, 0x80000
	s_delay_alu instid0(VALU_DEP_1) | instid1(SALU_CYCLE_1)
	v_max_i16 v13, v14, s8
	s_bfe_i32 s8, s0, 0x80000
	s_delay_alu instid0(VALU_DEP_1) | instid1(SALU_CYCLE_1)
	v_min_i16 v13, v13, s8
	s_cbranch_execnz .LBB179_98
.LBB179_102:
	s_bfe_i32 s8, s10, 0x80000
	s_delay_alu instid0(SALU_CYCLE_1)
	v_max_i16 v13, v14, s8
	s_cmp_lt_i32 s9, 1
	s_mov_b32 s8, 0
	s_cbranch_scc0 .LBB179_99
.LBB179_103:
	s_mov_b32 s11, 0
                                        ; implicit-def: $vgpr14
	s_cbranch_execnz .LBB179_106
	s_branch .LBB179_107
.LBB179_104:
	s_mov_b32 s11, -1
                                        ; implicit-def: $vgpr14
.LBB179_105:
	s_branch .LBB179_107
.LBB179_106:
	s_cmp_lg_u32 s9, 0
	s_mov_b32 s8, -1
	s_cselect_b32 s11, -1, 0
.LBB179_107:
	v_ashrrev_i16 v11, 8, v11
	s_and_not1_b32 vcc_lo, exec_lo, s11
	s_cbranch_vccz .LBB179_112
; %bb.108:
	s_and_not1_b32 vcc_lo, exec_lo, s8
	s_cbranch_vccz .LBB179_113
.LBB179_109:
	s_cmp_lt_i32 s9, 1
	s_mov_b32 s8, 0
	s_cbranch_scc1 .LBB179_114
.LBB179_110:
	s_cmp_eq_u32 s9, 1
	s_cbranch_scc0 .LBB179_115
; %bb.111:
	s_wait_loadcnt 0x2
	v_bfe_i32 v11, v8, 0, 8
	s_bfe_i32 s11, s10, 0x80000
	s_delay_alu instid0(VALU_DEP_1) | instid1(SALU_CYCLE_1)
	v_min_i16 v11, v11, s11
	s_mov_b32 s11, 0
	s_branch .LBB179_116
.LBB179_112:
	s_bfe_i32 s8, s10, 0x80000
	s_delay_alu instid0(VALU_DEP_1) | instid1(SALU_CYCLE_1)
	v_max_i16 v14, v11, s8
	s_bfe_i32 s8, s0, 0x80000
	s_delay_alu instid0(VALU_DEP_1) | instid1(SALU_CYCLE_1)
	v_min_i16 v14, v14, s8
	s_cbranch_execnz .LBB179_109
.LBB179_113:
	s_bfe_i32 s8, s10, 0x80000
	s_delay_alu instid0(SALU_CYCLE_1)
	v_max_i16 v14, v11, s8
	s_cmp_lt_i32 s9, 1
	s_mov_b32 s8, 0
	s_cbranch_scc0 .LBB179_110
.LBB179_114:
	s_mov_b32 s11, 0
                                        ; implicit-def: $vgpr11
	s_cbranch_execnz .LBB179_117
	s_branch .LBB179_118
.LBB179_115:
	s_mov_b32 s11, -1
                                        ; implicit-def: $vgpr11
.LBB179_116:
	s_branch .LBB179_118
.LBB179_117:
	s_cmp_lg_u32 s9, 0
	s_mov_b32 s8, -1
	s_cselect_b32 s11, -1, 0
.LBB179_118:
	s_wait_loadcnt 0x2
	v_bfe_i32 v15, v8, 0, 8
	s_and_not1_b32 vcc_lo, exec_lo, s11
	s_cbranch_vccz .LBB179_123
; %bb.119:
	s_and_not1_b32 vcc_lo, exec_lo, s8
	s_cbranch_vccz .LBB179_124
.LBB179_120:
	s_cmp_lt_i32 s9, 1
	s_mov_b32 s8, 0
	s_cbranch_scc1 .LBB179_125
.LBB179_121:
	s_cmp_eq_u32 s9, 1
	s_cbranch_scc0 .LBB179_126
; %bb.122:
	v_ashrrev_i16 v15, 8, v8
	s_bfe_i32 s11, s10, 0x80000
	s_delay_alu instid0(VALU_DEP_1) | instid1(SALU_CYCLE_1)
	v_min_i16 v15, v15, s11
	s_mov_b32 s11, 0
	s_branch .LBB179_127
.LBB179_123:
	s_bfe_i32 s8, s10, 0x80000
	s_delay_alu instid0(VALU_DEP_1) | instid1(SALU_CYCLE_1)
	v_max_i16 v11, v15, s8
	s_bfe_i32 s8, s0, 0x80000
	s_delay_alu instid0(VALU_DEP_1) | instid1(SALU_CYCLE_1)
	v_min_i16 v11, v11, s8
	s_cbranch_execnz .LBB179_120
.LBB179_124:
	s_bfe_i32 s8, s10, 0x80000
	s_delay_alu instid0(SALU_CYCLE_1)
	v_max_i16 v11, v15, s8
	s_cmp_lt_i32 s9, 1
	s_mov_b32 s8, 0
	s_cbranch_scc0 .LBB179_121
.LBB179_125:
	s_mov_b32 s11, 0
                                        ; implicit-def: $vgpr15
	s_cbranch_execnz .LBB179_128
	s_branch .LBB179_129
.LBB179_126:
	s_mov_b32 s11, -1
                                        ; implicit-def: $vgpr15
.LBB179_127:
	s_branch .LBB179_129
.LBB179_128:
	s_cmp_lg_u32 s9, 0
	s_mov_b32 s8, -1
	s_cselect_b32 s11, -1, 0
.LBB179_129:
	v_ashrrev_i16 v8, 8, v8
	s_and_not1_b32 vcc_lo, exec_lo, s11
	s_cbranch_vccz .LBB179_134
; %bb.130:
	s_and_not1_b32 vcc_lo, exec_lo, s8
	s_cbranch_vccz .LBB179_135
.LBB179_131:
	s_cmp_lt_i32 s9, 1
	s_mov_b32 s8, 0
	s_cbranch_scc1 .LBB179_136
.LBB179_132:
	s_cmp_eq_u32 s9, 1
	s_cbranch_scc0 .LBB179_137
; %bb.133:
	s_wait_loadcnt 0x1
	v_bfe_i32 v8, v5, 0, 8
	s_bfe_i32 s11, s10, 0x80000
	s_delay_alu instid0(VALU_DEP_1) | instid1(SALU_CYCLE_1)
	v_min_i16 v8, v8, s11
	s_mov_b32 s11, 0
	s_branch .LBB179_138
.LBB179_134:
	s_bfe_i32 s8, s10, 0x80000
	s_delay_alu instid0(VALU_DEP_1) | instid1(SALU_CYCLE_1)
	v_max_i16 v15, v8, s8
	s_bfe_i32 s8, s0, 0x80000
	s_delay_alu instid0(VALU_DEP_1) | instid1(SALU_CYCLE_1)
	v_min_i16 v15, v15, s8
	s_cbranch_execnz .LBB179_131
.LBB179_135:
	s_bfe_i32 s8, s10, 0x80000
	s_delay_alu instid0(SALU_CYCLE_1)
	v_max_i16 v15, v8, s8
	s_cmp_lt_i32 s9, 1
	s_mov_b32 s8, 0
	s_cbranch_scc0 .LBB179_132
.LBB179_136:
	s_mov_b32 s11, 0
                                        ; implicit-def: $vgpr8
	s_cbranch_execnz .LBB179_139
	s_branch .LBB179_140
.LBB179_137:
	s_mov_b32 s11, -1
                                        ; implicit-def: $vgpr8
.LBB179_138:
	s_branch .LBB179_140
.LBB179_139:
	s_cmp_lg_u32 s9, 0
	s_mov_b32 s8, -1
	s_cselect_b32 s11, -1, 0
.LBB179_140:
	s_wait_loadcnt 0x1
	v_bfe_i32 v16, v5, 0, 8
	s_and_not1_b32 vcc_lo, exec_lo, s11
	s_cbranch_vccz .LBB179_145
; %bb.141:
	s_and_not1_b32 vcc_lo, exec_lo, s8
	s_cbranch_vccz .LBB179_146
.LBB179_142:
	s_cmp_lt_i32 s9, 1
	s_mov_b32 s8, 0
	s_cbranch_scc1 .LBB179_147
.LBB179_143:
	s_cmp_eq_u32 s9, 1
	s_cbranch_scc0 .LBB179_148
; %bb.144:
	v_ashrrev_i16 v16, 8, v5
	s_bfe_i32 s11, s10, 0x80000
	s_delay_alu instid0(VALU_DEP_1) | instid1(SALU_CYCLE_1)
	v_min_i16 v16, v16, s11
	s_mov_b32 s11, 0
	s_branch .LBB179_149
.LBB179_145:
	s_bfe_i32 s8, s10, 0x80000
	s_delay_alu instid0(VALU_DEP_1) | instid1(SALU_CYCLE_1)
	v_max_i16 v8, v16, s8
	s_bfe_i32 s8, s0, 0x80000
	s_delay_alu instid0(VALU_DEP_1) | instid1(SALU_CYCLE_1)
	v_min_i16 v8, v8, s8
	s_cbranch_execnz .LBB179_142
.LBB179_146:
	s_bfe_i32 s8, s10, 0x80000
	s_delay_alu instid0(SALU_CYCLE_1)
	v_max_i16 v8, v16, s8
	s_cmp_lt_i32 s9, 1
	s_mov_b32 s8, 0
	s_cbranch_scc0 .LBB179_143
.LBB179_147:
	s_mov_b32 s11, 0
                                        ; implicit-def: $vgpr16
	s_cbranch_execnz .LBB179_150
	s_branch .LBB179_151
.LBB179_148:
	s_mov_b32 s11, -1
                                        ; implicit-def: $vgpr16
.LBB179_149:
	s_branch .LBB179_151
.LBB179_150:
	s_cmp_lg_u32 s9, 0
	s_mov_b32 s8, -1
	s_cselect_b32 s11, -1, 0
.LBB179_151:
	v_ashrrev_i16 v5, 8, v5
	s_and_not1_b32 vcc_lo, exec_lo, s11
	s_cbranch_vccz .LBB179_156
; %bb.152:
	s_and_not1_b32 vcc_lo, exec_lo, s8
	s_cbranch_vccz .LBB179_157
.LBB179_153:
	s_cmp_lt_i32 s9, 1
	s_mov_b32 s8, 0
	s_cbranch_scc1 .LBB179_158
.LBB179_154:
	s_cmp_eq_u32 s9, 1
	s_cbranch_scc0 .LBB179_159
; %bb.155:
	s_wait_loadcnt 0x0
	v_bfe_i32 v5, v2, 0, 8
	s_bfe_i32 s11, s10, 0x80000
	s_delay_alu instid0(VALU_DEP_1) | instid1(SALU_CYCLE_1)
	v_min_i16 v5, v5, s11
	s_mov_b32 s11, 0
	s_branch .LBB179_160
.LBB179_156:
	s_bfe_i32 s8, s10, 0x80000
	s_delay_alu instid0(VALU_DEP_1) | instid1(SALU_CYCLE_1)
	v_max_i16 v16, v5, s8
	s_bfe_i32 s8, s0, 0x80000
	s_delay_alu instid0(VALU_DEP_1) | instid1(SALU_CYCLE_1)
	v_min_i16 v16, v16, s8
	s_cbranch_execnz .LBB179_153
.LBB179_157:
	s_bfe_i32 s8, s10, 0x80000
	s_delay_alu instid0(SALU_CYCLE_1)
	v_max_i16 v16, v5, s8
	s_cmp_lt_i32 s9, 1
	s_mov_b32 s8, 0
	s_cbranch_scc0 .LBB179_154
.LBB179_158:
	s_mov_b32 s11, 0
                                        ; implicit-def: $vgpr5
	s_cbranch_execnz .LBB179_161
	s_branch .LBB179_162
.LBB179_159:
	s_mov_b32 s11, -1
                                        ; implicit-def: $vgpr5
.LBB179_160:
	s_branch .LBB179_162
.LBB179_161:
	s_cmp_lg_u32 s9, 0
	s_mov_b32 s8, -1
	s_cselect_b32 s11, -1, 0
.LBB179_162:
	s_wait_loadcnt 0x0
	v_bfe_i32 v17, v2, 0, 8
	s_and_not1_b32 vcc_lo, exec_lo, s11
	s_cbranch_vccz .LBB179_167
; %bb.163:
	s_and_not1_b32 vcc_lo, exec_lo, s8
	s_cbranch_vccz .LBB179_168
.LBB179_164:
	s_cmp_lt_i32 s9, 1
	s_mov_b32 s8, 0
	s_cbranch_scc1 .LBB179_169
.LBB179_165:
	s_cmp_eq_u32 s9, 1
	s_cbranch_scc0 .LBB179_170
; %bb.166:
	v_ashrrev_i16 v17, 8, v2
	s_bfe_i32 s11, s10, 0x80000
	s_delay_alu instid0(VALU_DEP_1) | instid1(SALU_CYCLE_1)
	v_min_i16 v17, v17, s11
	s_mov_b32 s11, 0
	s_branch .LBB179_171
.LBB179_167:
	s_bfe_i32 s8, s10, 0x80000
	s_delay_alu instid0(VALU_DEP_1) | instid1(SALU_CYCLE_1)
	v_max_i16 v5, v17, s8
	s_bfe_i32 s8, s0, 0x80000
	s_delay_alu instid0(VALU_DEP_1) | instid1(SALU_CYCLE_1)
	v_min_i16 v5, v5, s8
	s_cbranch_execnz .LBB179_164
.LBB179_168:
	s_bfe_i32 s8, s10, 0x80000
	s_delay_alu instid0(SALU_CYCLE_1)
	v_max_i16 v5, v17, s8
	s_cmp_lt_i32 s9, 1
	s_mov_b32 s8, 0
	s_cbranch_scc0 .LBB179_165
.LBB179_169:
	s_mov_b32 s11, 0
                                        ; implicit-def: $vgpr17
	s_cbranch_execnz .LBB179_172
	s_branch .LBB179_173
.LBB179_170:
	s_mov_b32 s11, -1
                                        ; implicit-def: $vgpr17
.LBB179_171:
	s_branch .LBB179_173
.LBB179_172:
	s_cmp_lg_u32 s9, 0
	s_mov_b32 s8, -1
	s_cselect_b32 s11, -1, 0
.LBB179_173:
	v_ashrrev_i16 v2, 8, v2
	s_and_not1_b32 vcc_lo, exec_lo, s11
	s_cbranch_vccz .LBB179_214
; %bb.174:
	s_and_not1_b32 vcc_lo, exec_lo, s8
	s_cbranch_vccnz .LBB179_176
.LBB179_175:
	s_bfe_i32 s0, s10, 0x80000
	s_delay_alu instid0(SALU_CYCLE_1)
	v_max_i16 v17, v2, s0
.LBB179_176:
	v_perm_b32 v1, v1, v3, 0xc0c0004
	v_perm_b32 v3, v4, v6, 0xc0c0004
	;; [unrolled: 1-line block ×4, first 2 shown]
	s_add_nc_u64 s[12:13], s[4:5], s[2:3]
	v_perm_b32 v2, v5, v17, 0xc0c0004
	v_perm_b32 v5, v8, v16, 0xc0c0004
	;; [unrolled: 1-line block ×4, first 2 shown]
	s_mov_b32 s3, 0
	s_clause 0x7
	global_store_b16 v0, v1, s[12:13] scale_offset
	global_store_b16 v0, v3, s[12:13] offset:512 scale_offset
	global_store_b16 v0, v4, s[12:13] offset:1024 scale_offset
	;; [unrolled: 1-line block ×7, first 2 shown]
.LBB179_177:
	s_and_b32 vcc_lo, exec_lo, s3
	s_cbranch_vccz .LBB179_436
; %bb.178:
	v_cmp_gt_i32_e64 s0, s1, v0
	s_wait_xcnt 0x0
	v_dual_mov_b32 v2, 0 :: v_dual_bitop2_b32 v8, s2, v0 bitop3:0x54
	v_or_b32_e32 v9, 0x100, v0
	v_dual_mov_b32 v10, 0 :: v_dual_mov_b32 v11, 0
	v_dual_mov_b32 v12, 0 :: v_dual_mov_b32 v13, 0
	;; [unrolled: 1-line block ×8, first 2 shown]
	s_and_saveexec_b32 s3, s0
	s_cbranch_execz .LBB179_210
; %bb.179:
	global_load_u8 v23, v8, s[6:7]
	v_or_b32_e32 v1, 0x100, v0
	v_dual_mov_b32 v22, 0 :: v_dual_mov_b32 v5, 0
	v_dual_mov_b32 v6, 0 :: v_dual_mov_b32 v21, 0
	;; [unrolled: 1-line block ×7, first 2 shown]
	v_mov_b32_e32 v10, 0
	s_mov_b32 s8, exec_lo
	s_wait_xcnt 0x0
	v_cmpx_gt_u32_e64 s1, v1
	s_cbranch_execz .LBB179_209
; %bb.180:
	v_dual_mov_b32 v5, 0 :: v_dual_add_nc_u32 v4, s2, v0
	v_or_b32_e32 v1, 0x200, v0
	v_dual_mov_b32 v6, 0 :: v_dual_mov_b32 v21, 0
	global_load_u8 v22, v4, s[6:7] offset:256
	v_dual_mov_b32 v20, 0 :: v_dual_mov_b32 v19, 0
	v_dual_mov_b32 v18, 0 :: v_dual_mov_b32 v17, 0
	;; [unrolled: 1-line block ×5, first 2 shown]
	v_mov_b32_e32 v10, 0
	s_mov_b32 s11, exec_lo
	s_wait_xcnt 0x0
	v_cmpx_gt_u32_e64 s1, v1
	s_cbranch_execz .LBB179_208
; %bb.181:
	v_add_nc_u64_e32 v[6:7], s[6:7], v[4:5]
	v_or_b32_e32 v3, 0x300, v0
	v_dual_mov_b32 v21, 0 :: v_dual_mov_b32 v20, 0
	v_dual_mov_b32 v19, 0 :: v_dual_mov_b32 v18, 0
	;; [unrolled: 1-line block ×3, first 2 shown]
	global_load_u8 v1, v[6:7], off offset:512
	v_dual_mov_b32 v15, 0 :: v_dual_mov_b32 v14, 0
	v_dual_mov_b32 v13, 0 :: v_dual_mov_b32 v12, 0
	;; [unrolled: 1-line block ×3, first 2 shown]
	s_mov_b32 s6, exec_lo
	s_wait_xcnt 0x0
	v_cmpx_gt_u32_e64 s1, v3
	s_cbranch_execz .LBB179_207
; %bb.182:
	global_load_u8 v5, v[6:7], off offset:768
	v_or_b32_e32 v3, 0x400, v0
	v_dual_mov_b32 v21, 0 :: v_dual_mov_b32 v20, 0
	v_dual_mov_b32 v19, 0 :: v_dual_mov_b32 v18, 0
	;; [unrolled: 1-line block ×6, first 2 shown]
	s_mov_b32 s7, exec_lo
	s_wait_xcnt 0x0
	v_cmpx_gt_u32_e64 s1, v3
	s_cbranch_execz .LBB179_206
; %bb.183:
	global_load_u8 v21, v[6:7], off offset:1024
	v_or_b32_e32 v3, 0x500, v0
	v_dual_mov_b32 v20, 0 :: v_dual_mov_b32 v19, 0
	v_dual_mov_b32 v18, 0 :: v_dual_mov_b32 v17, 0
	;; [unrolled: 1-line block ×5, first 2 shown]
	v_mov_b32_e32 v10, 0
	s_mov_b32 s12, exec_lo
	s_wait_xcnt 0x0
	v_cmpx_gt_u32_e64 s1, v3
	s_cbranch_execz .LBB179_205
; %bb.184:
	global_load_u8 v20, v[6:7], off offset:1280
	v_or_b32_e32 v3, 0x600, v0
	v_dual_mov_b32 v19, 0 :: v_dual_mov_b32 v18, 0
	v_dual_mov_b32 v17, 0 :: v_dual_mov_b32 v16, 0
	;; [unrolled: 1-line block ×5, first 2 shown]
	s_mov_b32 s13, exec_lo
	s_wait_xcnt 0x0
	v_cmpx_gt_u32_e64 s1, v3
	s_cbranch_execz .LBB179_204
; %bb.185:
	global_load_u8 v19, v[6:7], off offset:1536
	v_or_b32_e32 v3, 0x700, v0
	v_dual_mov_b32 v18, 0 :: v_dual_mov_b32 v17, 0
	v_dual_mov_b32 v16, 0 :: v_dual_mov_b32 v15, 0
	;; [unrolled: 1-line block ×4, first 2 shown]
	v_mov_b32_e32 v10, 0
	s_mov_b32 s14, exec_lo
	s_wait_xcnt 0x0
	v_cmpx_gt_u32_e64 s1, v3
	s_cbranch_execz .LBB179_203
; %bb.186:
	global_load_u8 v18, v[6:7], off offset:1792
	v_or_b32_e32 v3, 0x800, v0
	v_dual_mov_b32 v17, 0 :: v_dual_mov_b32 v16, 0
	v_dual_mov_b32 v15, 0 :: v_dual_mov_b32 v14, 0
	v_dual_mov_b32 v13, 0 :: v_dual_mov_b32 v12, 0
	v_dual_mov_b32 v11, 0 :: v_dual_mov_b32 v10, 0
	s_mov_b32 s15, exec_lo
	s_wait_xcnt 0x0
	v_cmpx_gt_u32_e64 s1, v3
	s_cbranch_execz .LBB179_202
; %bb.187:
	global_load_u8 v17, v[6:7], off offset:2048
	v_or_b32_e32 v3, 0x900, v0
	v_dual_mov_b32 v16, 0 :: v_dual_mov_b32 v15, 0
	v_dual_mov_b32 v14, 0 :: v_dual_mov_b32 v13, 0
	;; [unrolled: 1-line block ×3, first 2 shown]
	v_mov_b32_e32 v10, 0
	s_mov_b32 s16, exec_lo
	s_wait_xcnt 0x0
	v_cmpx_gt_u32_e64 s1, v3
	s_cbranch_execz .LBB179_201
; %bb.188:
	global_load_u8 v16, v[6:7], off offset:2304
	v_or_b32_e32 v3, 0xa00, v0
	v_dual_mov_b32 v15, 0 :: v_dual_mov_b32 v14, 0
	v_dual_mov_b32 v13, 0 :: v_dual_mov_b32 v12, 0
	;; [unrolled: 1-line block ×3, first 2 shown]
	s_mov_b32 s17, exec_lo
	s_wait_xcnt 0x0
	v_cmpx_gt_u32_e64 s1, v3
	s_cbranch_execz .LBB179_200
; %bb.189:
	global_load_u8 v15, v[6:7], off offset:2560
	v_or_b32_e32 v3, 0xb00, v0
	v_dual_mov_b32 v14, 0 :: v_dual_mov_b32 v13, 0
	v_dual_mov_b32 v12, 0 :: v_dual_mov_b32 v11, 0
	v_mov_b32_e32 v10, 0
	s_mov_b32 s18, exec_lo
	s_wait_xcnt 0x0
	v_cmpx_gt_u32_e64 s1, v3
	s_cbranch_execz .LBB179_199
; %bb.190:
	global_load_u8 v14, v[6:7], off offset:2816
	v_or_b32_e32 v3, 0xc00, v0
	v_dual_mov_b32 v13, 0 :: v_dual_mov_b32 v12, 0
	v_dual_mov_b32 v11, 0 :: v_dual_mov_b32 v10, 0
	s_mov_b32 s19, exec_lo
	s_wait_xcnt 0x0
	v_cmpx_gt_u32_e64 s1, v3
	s_cbranch_execz .LBB179_198
; %bb.191:
	global_load_u8 v13, v[6:7], off offset:3072
	v_or_b32_e32 v3, 0xd00, v0
	v_dual_mov_b32 v12, 0 :: v_dual_mov_b32 v11, 0
	v_mov_b32_e32 v10, 0
	s_mov_b32 s20, exec_lo
	s_wait_xcnt 0x0
	v_cmpx_gt_u32_e64 s1, v3
	s_cbranch_execz .LBB179_197
; %bb.192:
	global_load_u8 v12, v[6:7], off offset:3328
	v_or_b32_e32 v3, 0xe00, v0
	v_dual_mov_b32 v11, 0 :: v_dual_mov_b32 v10, 0
	s_mov_b32 s21, exec_lo
	s_wait_xcnt 0x0
	s_delay_alu instid0(VALU_DEP_2)
	v_cmpx_gt_u32_e64 s1, v3
	s_cbranch_execz .LBB179_196
; %bb.193:
	global_load_u8 v11, v[6:7], off offset:3584
	v_or_b32_e32 v3, 0xf00, v0
	v_mov_b32_e32 v10, 0
	s_mov_b32 s22, exec_lo
	s_wait_xcnt 0x0
	s_delay_alu instid0(VALU_DEP_2)
	v_cmpx_gt_u32_e64 s1, v3
	s_cbranch_execz .LBB179_195
; %bb.194:
	global_load_u8 v10, v[6:7], off offset:3840
.LBB179_195:
	s_wait_xcnt 0x0
	s_or_b32 exec_lo, exec_lo, s22
.LBB179_196:
	s_delay_alu instid0(SALU_CYCLE_1)
	s_or_b32 exec_lo, exec_lo, s21
.LBB179_197:
	s_delay_alu instid0(SALU_CYCLE_1)
	s_or_b32 exec_lo, exec_lo, s20
.LBB179_198:
	s_delay_alu instid0(SALU_CYCLE_1)
	s_or_b32 exec_lo, exec_lo, s19
.LBB179_199:
	s_delay_alu instid0(SALU_CYCLE_1)
	s_or_b32 exec_lo, exec_lo, s18
.LBB179_200:
	s_delay_alu instid0(SALU_CYCLE_1)
	s_or_b32 exec_lo, exec_lo, s17
.LBB179_201:
	s_delay_alu instid0(SALU_CYCLE_1)
	s_or_b32 exec_lo, exec_lo, s16
.LBB179_202:
	s_delay_alu instid0(SALU_CYCLE_1)
	s_or_b32 exec_lo, exec_lo, s15
.LBB179_203:
	s_delay_alu instid0(SALU_CYCLE_1)
	s_or_b32 exec_lo, exec_lo, s14
.LBB179_204:
	s_delay_alu instid0(SALU_CYCLE_1)
	s_or_b32 exec_lo, exec_lo, s13
.LBB179_205:
	s_delay_alu instid0(SALU_CYCLE_1)
	s_or_b32 exec_lo, exec_lo, s12
.LBB179_206:
	s_delay_alu instid0(SALU_CYCLE_1)
	s_or_b32 exec_lo, exec_lo, s7
.LBB179_207:
	s_delay_alu instid0(SALU_CYCLE_1)
	s_or_b32 exec_lo, exec_lo, s6
	s_wait_loadcnt 0x0
	v_dual_mov_b32 v6, v5 :: v_dual_mov_b32 v5, v1
.LBB179_208:
	s_or_b32 exec_lo, exec_lo, s11
.LBB179_209:
	s_delay_alu instid0(SALU_CYCLE_1)
	s_or_b32 exec_lo, exec_lo, s8
.LBB179_210:
	s_delay_alu instid0(SALU_CYCLE_1)
	s_or_b32 exec_lo, exec_lo, s3
	v_dual_mov_b32 v1, v2 :: v_dual_mov_b32 v4, v2
	v_mov_b32_e32 v3, v2
	s_lshr_b32 s3, s10, 8
	s_and_saveexec_b32 s6, s0
	s_cbranch_execz .LBB179_223
; %bb.211:
	s_cmp_lt_i32 s9, 1
	s_mov_b32 s7, 0
	s_cbranch_scc1 .LBB179_215
; %bb.212:
	s_cmp_eq_u32 s9, 1
	s_cbranch_scc0 .LBB179_216
; %bb.213:
	s_wait_loadcnt 0x0
	v_bfe_i32 v1, v23, 0, 8
	s_bfe_i32 s8, s10, 0x80000
	s_delay_alu instid0(VALU_DEP_1) | instid1(SALU_CYCLE_1)
	v_min_i16 v1, v1, s8
	s_mov_b32 s8, 0
	s_branch .LBB179_217
.LBB179_214:
	s_bfe_i32 s8, s10, 0x80000
	s_bfe_i32 s0, s0, 0x80000
	v_max_i16 v17, v2, s8
	s_delay_alu instid0(VALU_DEP_1)
	v_min_i16 v17, v17, s0
	s_cbranch_execz .LBB179_175
	s_branch .LBB179_176
.LBB179_215:
	s_mov_b32 s8, 0
                                        ; implicit-def: $vgpr1
	s_cbranch_execnz .LBB179_218
	s_branch .LBB179_219
.LBB179_216:
	s_mov_b32 s8, -1
                                        ; implicit-def: $vgpr1
.LBB179_217:
	s_branch .LBB179_219
.LBB179_218:
	s_cmp_lg_u32 s9, 0
	s_mov_b32 s7, -1
	s_cselect_b32 s8, -1, 0
.LBB179_219:
	s_wait_loadcnt 0x0
	v_bfe_i32 v2, v23, 0, 8
	s_and_not1_b32 vcc_lo, exec_lo, s8
	s_cbranch_vccz .LBB179_227
; %bb.220:
	s_and_not1_b32 vcc_lo, exec_lo, s7
	s_cbranch_vccnz .LBB179_222
.LBB179_221:
	s_bfe_i32 s7, s10, 0x80000
	s_delay_alu instid0(SALU_CYCLE_1)
	v_max_i16 v1, v2, s7
.LBB179_222:
	s_delay_alu instid0(VALU_DEP_1) | instskip(SKIP_1) | instid1(VALU_DEP_2)
	v_and_b32_e32 v2, 0xff, v1
	v_mov_b32_e32 v1, 0
	v_and_b32_e32 v2, 0xffff, v2
	s_delay_alu instid0(VALU_DEP_2)
	v_dual_mov_b32 v4, v1 :: v_dual_mov_b32 v3, v1
.LBB179_223:
	s_or_b32 exec_lo, exec_lo, s6
	s_delay_alu instid0(SALU_CYCLE_1)
	s_mov_b32 s6, exec_lo
	v_cmpx_gt_i32_e64 s1, v9
	s_cbranch_execz .LBB179_236
; %bb.224:
	s_cmp_lt_i32 s9, 1
	s_mov_b32 s7, 0
	s_cbranch_scc1 .LBB179_228
; %bb.225:
	s_cmp_eq_u32 s9, 1
	s_cbranch_scc0 .LBB179_229
; %bb.226:
	s_wait_loadcnt 0x0
	v_bfe_i32 v7, v22, 0, 8
	s_bfe_i32 s8, s10, 0x80000
	s_delay_alu instid0(VALU_DEP_1) | instid1(SALU_CYCLE_1)
	v_min_i16 v7, v7, s8
	s_mov_b32 s8, 0
	s_branch .LBB179_230
.LBB179_227:
	s_bfe_i32 s7, s10, 0x80000
	s_delay_alu instid0(VALU_DEP_1) | instid1(SALU_CYCLE_1)
	v_max_i16 v1, v2, s7
	s_bfe_i32 s7, s3, 0x80000
	s_delay_alu instid0(VALU_DEP_1) | instid1(SALU_CYCLE_1)
	v_min_i16 v1, v1, s7
	s_cbranch_execz .LBB179_221
	s_branch .LBB179_222
.LBB179_228:
	s_mov_b32 s8, 0
                                        ; implicit-def: $vgpr7
	s_cbranch_execnz .LBB179_231
	s_branch .LBB179_232
.LBB179_229:
	s_mov_b32 s8, -1
                                        ; implicit-def: $vgpr7
.LBB179_230:
	s_branch .LBB179_232
.LBB179_231:
	s_cmp_lg_u32 s9, 0
	s_mov_b32 s7, -1
	s_cselect_b32 s8, -1, 0
.LBB179_232:
	s_wait_loadcnt 0x0
	v_bfe_i32 v22, v22, 0, 8
	s_and_not1_b32 vcc_lo, exec_lo, s8
	s_cbranch_vccz .LBB179_240
; %bb.233:
	s_and_not1_b32 vcc_lo, exec_lo, s7
	s_cbranch_vccnz .LBB179_235
.LBB179_234:
	s_bfe_i32 s7, s10, 0x80000
	s_delay_alu instid0(SALU_CYCLE_1)
	v_max_i16 v7, v22, s7
.LBB179_235:
	s_delay_alu instid0(VALU_DEP_1)
	v_perm_b32 v2, v2, v7, 0x7060004
.LBB179_236:
	s_or_b32 exec_lo, exec_lo, s6
	v_or_b32_e32 v7, 0x200, v0
	s_mov_b32 s6, exec_lo
	s_delay_alu instid0(VALU_DEP_1)
	v_cmpx_gt_i32_e64 s1, v7
	s_cbranch_execz .LBB179_249
; %bb.237:
	s_cmp_lt_i32 s9, 1
	s_mov_b32 s7, 0
	s_cbranch_scc1 .LBB179_241
; %bb.238:
	s_cmp_eq_u32 s9, 1
	s_cbranch_scc0 .LBB179_242
; %bb.239:
	v_bfe_i32 v7, v5, 0, 8
	s_bfe_i32 s8, s10, 0x80000
	s_delay_alu instid0(VALU_DEP_1) | instid1(SALU_CYCLE_1)
	v_min_i16 v7, v7, s8
	s_mov_b32 s8, 0
	s_branch .LBB179_243
.LBB179_240:
	s_bfe_i32 s7, s10, 0x80000
	s_delay_alu instid0(VALU_DEP_1) | instid1(SALU_CYCLE_1)
	v_max_i16 v7, v22, s7
	s_bfe_i32 s7, s3, 0x80000
	s_delay_alu instid0(VALU_DEP_1) | instid1(SALU_CYCLE_1)
	v_min_i16 v7, v7, s7
	s_cbranch_execz .LBB179_234
	s_branch .LBB179_235
.LBB179_241:
	s_mov_b32 s8, 0
                                        ; implicit-def: $vgpr7
	s_cbranch_execnz .LBB179_244
	s_branch .LBB179_245
.LBB179_242:
	s_mov_b32 s8, -1
                                        ; implicit-def: $vgpr7
.LBB179_243:
	s_branch .LBB179_245
.LBB179_244:
	s_cmp_lg_u32 s9, 0
	s_mov_b32 s7, -1
	s_cselect_b32 s8, -1, 0
.LBB179_245:
	v_bfe_i32 v5, v5, 0, 8
	s_and_not1_b32 vcc_lo, exec_lo, s8
	s_cbranch_vccz .LBB179_253
; %bb.246:
	s_and_not1_b32 vcc_lo, exec_lo, s7
	s_cbranch_vccnz .LBB179_248
.LBB179_247:
	s_bfe_i32 s7, s10, 0x80000
	s_delay_alu instid0(SALU_CYCLE_1)
	v_max_i16 v7, v5, s7
.LBB179_248:
	s_delay_alu instid0(VALU_DEP_1)
	v_perm_b32 v2, v2, v7, 0x7000504
.LBB179_249:
	s_or_b32 exec_lo, exec_lo, s6
	v_or_b32_e32 v5, 0x300, v0
	s_mov_b32 s6, exec_lo
	s_delay_alu instid0(VALU_DEP_1)
	v_cmpx_gt_i32_e64 s1, v5
	s_cbranch_execz .LBB179_262
; %bb.250:
	s_cmp_lt_i32 s9, 1
	s_mov_b32 s7, 0
	s_cbranch_scc1 .LBB179_254
; %bb.251:
	s_cmp_eq_u32 s9, 1
	s_cbranch_scc0 .LBB179_255
; %bb.252:
	v_bfe_i32 v5, v6, 0, 8
	s_bfe_i32 s8, s10, 0x80000
	s_delay_alu instid0(VALU_DEP_1) | instid1(SALU_CYCLE_1)
	v_min_i16 v5, v5, s8
	s_mov_b32 s8, 0
	s_branch .LBB179_256
.LBB179_253:
	s_bfe_i32 s7, s10, 0x80000
	s_delay_alu instid0(VALU_DEP_1) | instid1(SALU_CYCLE_1)
	v_max_i16 v7, v5, s7
	s_bfe_i32 s7, s3, 0x80000
	s_delay_alu instid0(VALU_DEP_1) | instid1(SALU_CYCLE_1)
	v_min_i16 v7, v7, s7
	s_cbranch_execz .LBB179_247
	s_branch .LBB179_248
.LBB179_254:
	s_mov_b32 s8, 0
                                        ; implicit-def: $vgpr5
	s_cbranch_execnz .LBB179_257
	s_branch .LBB179_258
.LBB179_255:
	s_mov_b32 s8, -1
                                        ; implicit-def: $vgpr5
.LBB179_256:
	s_branch .LBB179_258
.LBB179_257:
	s_cmp_lg_u32 s9, 0
	s_mov_b32 s7, -1
	s_cselect_b32 s8, -1, 0
.LBB179_258:
	v_bfe_i32 v6, v6, 0, 8
	s_and_not1_b32 vcc_lo, exec_lo, s8
	s_cbranch_vccz .LBB179_266
; %bb.259:
	s_and_not1_b32 vcc_lo, exec_lo, s7
	s_cbranch_vccnz .LBB179_261
.LBB179_260:
	s_bfe_i32 s7, s10, 0x80000
	s_delay_alu instid0(SALU_CYCLE_1)
	v_max_i16 v5, v6, s7
.LBB179_261:
	s_delay_alu instid0(VALU_DEP_1)
	v_perm_b32 v2, v2, v5, 0x60504
.LBB179_262:
	s_or_b32 exec_lo, exec_lo, s6
	v_or_b32_e32 v5, 0x400, v0
	s_mov_b32 s6, exec_lo
	s_delay_alu instid0(VALU_DEP_1)
	v_cmpx_gt_i32_e64 s1, v5
	s_cbranch_execz .LBB179_275
; %bb.263:
	s_cmp_lt_i32 s9, 1
	s_mov_b32 s7, 0
	s_cbranch_scc1 .LBB179_267
; %bb.264:
	s_cmp_eq_u32 s9, 1
	s_cbranch_scc0 .LBB179_268
; %bb.265:
	v_bfe_i32 v5, v21, 0, 8
	s_bfe_i32 s8, s10, 0x80000
	s_delay_alu instid0(VALU_DEP_1) | instid1(SALU_CYCLE_1)
	v_min_i16 v5, v5, s8
	s_mov_b32 s8, 0
	s_branch .LBB179_269
.LBB179_266:
	s_bfe_i32 s7, s10, 0x80000
	s_delay_alu instid0(VALU_DEP_1) | instid1(SALU_CYCLE_1)
	v_max_i16 v5, v6, s7
	s_bfe_i32 s7, s3, 0x80000
	s_delay_alu instid0(VALU_DEP_1) | instid1(SALU_CYCLE_1)
	v_min_i16 v5, v5, s7
	s_cbranch_execz .LBB179_260
	s_branch .LBB179_261
.LBB179_267:
	s_mov_b32 s8, 0
                                        ; implicit-def: $vgpr5
	s_cbranch_execnz .LBB179_270
	s_branch .LBB179_271
.LBB179_268:
	s_mov_b32 s8, -1
                                        ; implicit-def: $vgpr5
.LBB179_269:
	s_branch .LBB179_271
.LBB179_270:
	s_cmp_lg_u32 s9, 0
	s_mov_b32 s7, -1
	s_cselect_b32 s8, -1, 0
.LBB179_271:
	v_bfe_i32 v6, v21, 0, 8
	s_and_not1_b32 vcc_lo, exec_lo, s8
	s_cbranch_vccz .LBB179_279
; %bb.272:
	s_and_not1_b32 vcc_lo, exec_lo, s7
	s_cbranch_vccnz .LBB179_274
.LBB179_273:
	s_bfe_i32 s7, s10, 0x80000
	s_delay_alu instid0(SALU_CYCLE_1)
	v_max_i16 v5, v6, s7
.LBB179_274:
	s_delay_alu instid0(VALU_DEP_1)
	v_perm_b32 v1, v5, v1, 0x3020104
.LBB179_275:
	s_or_b32 exec_lo, exec_lo, s6
	v_or_b32_e32 v5, 0x500, v0
	s_mov_b32 s6, exec_lo
	s_delay_alu instid0(VALU_DEP_1)
	v_cmpx_gt_i32_e64 s1, v5
	s_cbranch_execz .LBB179_288
; %bb.276:
	s_cmp_lt_i32 s9, 1
	s_mov_b32 s7, 0
	s_cbranch_scc1 .LBB179_280
; %bb.277:
	s_cmp_eq_u32 s9, 1
	s_cbranch_scc0 .LBB179_281
; %bb.278:
	v_bfe_i32 v5, v20, 0, 8
	s_bfe_i32 s8, s10, 0x80000
	s_delay_alu instid0(VALU_DEP_1) | instid1(SALU_CYCLE_1)
	v_min_i16 v5, v5, s8
	s_mov_b32 s8, 0
	s_branch .LBB179_282
.LBB179_279:
	s_bfe_i32 s7, s10, 0x80000
	s_delay_alu instid0(VALU_DEP_1) | instid1(SALU_CYCLE_1)
	v_max_i16 v5, v6, s7
	s_bfe_i32 s7, s3, 0x80000
	s_delay_alu instid0(VALU_DEP_1) | instid1(SALU_CYCLE_1)
	v_min_i16 v5, v5, s7
	s_cbranch_execz .LBB179_273
	s_branch .LBB179_274
.LBB179_280:
	s_mov_b32 s8, 0
                                        ; implicit-def: $vgpr5
	s_cbranch_execnz .LBB179_283
	s_branch .LBB179_284
.LBB179_281:
	s_mov_b32 s8, -1
                                        ; implicit-def: $vgpr5
.LBB179_282:
	s_branch .LBB179_284
.LBB179_283:
	s_cmp_lg_u32 s9, 0
	s_mov_b32 s7, -1
	s_cselect_b32 s8, -1, 0
.LBB179_284:
	v_bfe_i32 v6, v20, 0, 8
	s_and_not1_b32 vcc_lo, exec_lo, s8
	s_cbranch_vccz .LBB179_292
; %bb.285:
	s_and_not1_b32 vcc_lo, exec_lo, s7
	s_cbranch_vccnz .LBB179_287
.LBB179_286:
	s_bfe_i32 s7, s10, 0x80000
	s_delay_alu instid0(SALU_CYCLE_1)
	v_max_i16 v5, v6, s7
.LBB179_287:
	s_delay_alu instid0(VALU_DEP_1)
	v_perm_b32 v1, v1, v5, 0x7060004
.LBB179_288:
	s_or_b32 exec_lo, exec_lo, s6
	v_or_b32_e32 v5, 0x600, v0
	s_mov_b32 s6, exec_lo
	s_delay_alu instid0(VALU_DEP_1)
	v_cmpx_gt_i32_e64 s1, v5
	s_cbranch_execz .LBB179_301
; %bb.289:
	s_cmp_lt_i32 s9, 1
	s_mov_b32 s7, 0
	s_cbranch_scc1 .LBB179_293
; %bb.290:
	s_cmp_eq_u32 s9, 1
	s_cbranch_scc0 .LBB179_294
; %bb.291:
	v_bfe_i32 v5, v19, 0, 8
	s_bfe_i32 s8, s10, 0x80000
	s_delay_alu instid0(VALU_DEP_1) | instid1(SALU_CYCLE_1)
	v_min_i16 v5, v5, s8
	s_mov_b32 s8, 0
	s_branch .LBB179_295
.LBB179_292:
	s_bfe_i32 s7, s10, 0x80000
	s_delay_alu instid0(VALU_DEP_1) | instid1(SALU_CYCLE_1)
	v_max_i16 v5, v6, s7
	s_bfe_i32 s7, s3, 0x80000
	s_delay_alu instid0(VALU_DEP_1) | instid1(SALU_CYCLE_1)
	v_min_i16 v5, v5, s7
	s_cbranch_execz .LBB179_286
	s_branch .LBB179_287
.LBB179_293:
	s_mov_b32 s8, 0
                                        ; implicit-def: $vgpr5
	s_cbranch_execnz .LBB179_296
	s_branch .LBB179_297
.LBB179_294:
	s_mov_b32 s8, -1
                                        ; implicit-def: $vgpr5
.LBB179_295:
	s_branch .LBB179_297
.LBB179_296:
	s_cmp_lg_u32 s9, 0
	s_mov_b32 s7, -1
	s_cselect_b32 s8, -1, 0
.LBB179_297:
	v_bfe_i32 v6, v19, 0, 8
	s_and_not1_b32 vcc_lo, exec_lo, s8
	s_cbranch_vccz .LBB179_305
; %bb.298:
	s_and_not1_b32 vcc_lo, exec_lo, s7
	s_cbranch_vccnz .LBB179_300
.LBB179_299:
	s_bfe_i32 s7, s10, 0x80000
	s_delay_alu instid0(SALU_CYCLE_1)
	v_max_i16 v5, v6, s7
.LBB179_300:
	s_delay_alu instid0(VALU_DEP_1)
	v_perm_b32 v1, v1, v5, 0x7000504
.LBB179_301:
	s_or_b32 exec_lo, exec_lo, s6
	v_or_b32_e32 v5, 0x700, v0
	s_mov_b32 s6, exec_lo
	s_delay_alu instid0(VALU_DEP_1)
	v_cmpx_gt_i32_e64 s1, v5
	s_cbranch_execz .LBB179_314
; %bb.302:
	s_cmp_lt_i32 s9, 1
	s_mov_b32 s7, 0
	s_cbranch_scc1 .LBB179_306
; %bb.303:
	s_cmp_eq_u32 s9, 1
	s_cbranch_scc0 .LBB179_307
; %bb.304:
	v_bfe_i32 v5, v18, 0, 8
	s_bfe_i32 s8, s10, 0x80000
	s_delay_alu instid0(VALU_DEP_1) | instid1(SALU_CYCLE_1)
	v_min_i16 v5, v5, s8
	s_mov_b32 s8, 0
	s_branch .LBB179_308
.LBB179_305:
	s_bfe_i32 s7, s10, 0x80000
	s_delay_alu instid0(VALU_DEP_1) | instid1(SALU_CYCLE_1)
	v_max_i16 v5, v6, s7
	s_bfe_i32 s7, s3, 0x80000
	s_delay_alu instid0(VALU_DEP_1) | instid1(SALU_CYCLE_1)
	v_min_i16 v5, v5, s7
	s_cbranch_execz .LBB179_299
	s_branch .LBB179_300
.LBB179_306:
	s_mov_b32 s8, 0
                                        ; implicit-def: $vgpr5
	s_cbranch_execnz .LBB179_309
	s_branch .LBB179_310
.LBB179_307:
	s_mov_b32 s8, -1
                                        ; implicit-def: $vgpr5
.LBB179_308:
	s_branch .LBB179_310
.LBB179_309:
	s_cmp_lg_u32 s9, 0
	s_mov_b32 s7, -1
	s_cselect_b32 s8, -1, 0
.LBB179_310:
	v_bfe_i32 v6, v18, 0, 8
	s_and_not1_b32 vcc_lo, exec_lo, s8
	s_cbranch_vccz .LBB179_318
; %bb.311:
	s_and_not1_b32 vcc_lo, exec_lo, s7
	s_cbranch_vccnz .LBB179_313
.LBB179_312:
	s_bfe_i32 s7, s10, 0x80000
	s_delay_alu instid0(SALU_CYCLE_1)
	v_max_i16 v5, v6, s7
.LBB179_313:
	s_delay_alu instid0(VALU_DEP_1)
	v_perm_b32 v1, v1, v5, 0x60504
.LBB179_314:
	s_or_b32 exec_lo, exec_lo, s6
	v_or_b32_e32 v5, 0x800, v0
	s_mov_b32 s6, exec_lo
	s_delay_alu instid0(VALU_DEP_1)
	v_cmpx_gt_i32_e64 s1, v5
	s_cbranch_execz .LBB179_327
; %bb.315:
	s_cmp_lt_i32 s9, 1
	s_mov_b32 s7, 0
	s_cbranch_scc1 .LBB179_319
; %bb.316:
	s_cmp_eq_u32 s9, 1
	s_cbranch_scc0 .LBB179_320
; %bb.317:
	v_bfe_i32 v5, v17, 0, 8
	s_bfe_i32 s8, s10, 0x80000
	s_delay_alu instid0(VALU_DEP_1) | instid1(SALU_CYCLE_1)
	v_min_i16 v5, v5, s8
	s_mov_b32 s8, 0
	s_branch .LBB179_321
.LBB179_318:
	s_bfe_i32 s7, s10, 0x80000
	s_delay_alu instid0(VALU_DEP_1) | instid1(SALU_CYCLE_1)
	v_max_i16 v5, v6, s7
	s_bfe_i32 s7, s3, 0x80000
	s_delay_alu instid0(VALU_DEP_1) | instid1(SALU_CYCLE_1)
	v_min_i16 v5, v5, s7
	s_cbranch_execz .LBB179_312
	s_branch .LBB179_313
.LBB179_319:
	s_mov_b32 s8, 0
                                        ; implicit-def: $vgpr5
	s_cbranch_execnz .LBB179_322
	s_branch .LBB179_323
.LBB179_320:
	s_mov_b32 s8, -1
                                        ; implicit-def: $vgpr5
.LBB179_321:
	s_branch .LBB179_323
.LBB179_322:
	s_cmp_lg_u32 s9, 0
	s_mov_b32 s7, -1
	s_cselect_b32 s8, -1, 0
.LBB179_323:
	v_bfe_i32 v6, v17, 0, 8
	s_and_not1_b32 vcc_lo, exec_lo, s8
	s_cbranch_vccz .LBB179_331
; %bb.324:
	s_and_not1_b32 vcc_lo, exec_lo, s7
	s_cbranch_vccnz .LBB179_326
.LBB179_325:
	s_bfe_i32 s7, s10, 0x80000
	s_delay_alu instid0(SALU_CYCLE_1)
	v_max_i16 v5, v6, s7
.LBB179_326:
	s_delay_alu instid0(VALU_DEP_1)
	v_perm_b32 v4, v5, v4, 0x3020104
.LBB179_327:
	s_or_b32 exec_lo, exec_lo, s6
	v_or_b32_e32 v5, 0x900, v0
	s_mov_b32 s6, exec_lo
	s_delay_alu instid0(VALU_DEP_1)
	v_cmpx_gt_i32_e64 s1, v5
	s_cbranch_execz .LBB179_340
; %bb.328:
	s_cmp_lt_i32 s9, 1
	s_mov_b32 s7, 0
	s_cbranch_scc1 .LBB179_332
; %bb.329:
	s_cmp_eq_u32 s9, 1
	s_cbranch_scc0 .LBB179_333
; %bb.330:
	v_bfe_i32 v5, v16, 0, 8
	s_bfe_i32 s8, s10, 0x80000
	s_delay_alu instid0(VALU_DEP_1) | instid1(SALU_CYCLE_1)
	v_min_i16 v5, v5, s8
	s_mov_b32 s8, 0
	s_branch .LBB179_334
.LBB179_331:
	s_bfe_i32 s7, s10, 0x80000
	s_delay_alu instid0(VALU_DEP_1) | instid1(SALU_CYCLE_1)
	v_max_i16 v5, v6, s7
	s_bfe_i32 s7, s3, 0x80000
	s_delay_alu instid0(VALU_DEP_1) | instid1(SALU_CYCLE_1)
	v_min_i16 v5, v5, s7
	s_cbranch_execz .LBB179_325
	s_branch .LBB179_326
.LBB179_332:
	s_mov_b32 s8, 0
                                        ; implicit-def: $vgpr5
	s_cbranch_execnz .LBB179_335
	s_branch .LBB179_336
.LBB179_333:
	s_mov_b32 s8, -1
                                        ; implicit-def: $vgpr5
.LBB179_334:
	s_branch .LBB179_336
.LBB179_335:
	s_cmp_lg_u32 s9, 0
	s_mov_b32 s7, -1
	s_cselect_b32 s8, -1, 0
.LBB179_336:
	v_bfe_i32 v6, v16, 0, 8
	s_and_not1_b32 vcc_lo, exec_lo, s8
	s_cbranch_vccz .LBB179_344
; %bb.337:
	s_and_not1_b32 vcc_lo, exec_lo, s7
	s_cbranch_vccnz .LBB179_339
.LBB179_338:
	s_bfe_i32 s7, s10, 0x80000
	s_delay_alu instid0(SALU_CYCLE_1)
	v_max_i16 v5, v6, s7
.LBB179_339:
	s_delay_alu instid0(VALU_DEP_1)
	v_perm_b32 v4, v4, v5, 0x7060004
.LBB179_340:
	s_or_b32 exec_lo, exec_lo, s6
	v_or_b32_e32 v5, 0xa00, v0
	s_mov_b32 s6, exec_lo
	s_delay_alu instid0(VALU_DEP_1)
	v_cmpx_gt_i32_e64 s1, v5
	s_cbranch_execz .LBB179_353
; %bb.341:
	s_cmp_lt_i32 s9, 1
	s_mov_b32 s7, 0
	s_cbranch_scc1 .LBB179_345
; %bb.342:
	s_cmp_eq_u32 s9, 1
	s_cbranch_scc0 .LBB179_346
; %bb.343:
	v_bfe_i32 v5, v15, 0, 8
	s_bfe_i32 s8, s10, 0x80000
	s_delay_alu instid0(VALU_DEP_1) | instid1(SALU_CYCLE_1)
	v_min_i16 v5, v5, s8
	s_mov_b32 s8, 0
	s_branch .LBB179_347
.LBB179_344:
	s_bfe_i32 s7, s10, 0x80000
	s_delay_alu instid0(VALU_DEP_1) | instid1(SALU_CYCLE_1)
	v_max_i16 v5, v6, s7
	s_bfe_i32 s7, s3, 0x80000
	s_delay_alu instid0(VALU_DEP_1) | instid1(SALU_CYCLE_1)
	v_min_i16 v5, v5, s7
	s_cbranch_execz .LBB179_338
	s_branch .LBB179_339
.LBB179_345:
	s_mov_b32 s8, 0
                                        ; implicit-def: $vgpr5
	s_cbranch_execnz .LBB179_348
	s_branch .LBB179_349
.LBB179_346:
	s_mov_b32 s8, -1
                                        ; implicit-def: $vgpr5
.LBB179_347:
	s_branch .LBB179_349
.LBB179_348:
	s_cmp_lg_u32 s9, 0
	s_mov_b32 s7, -1
	s_cselect_b32 s8, -1, 0
.LBB179_349:
	v_bfe_i32 v6, v15, 0, 8
	s_and_not1_b32 vcc_lo, exec_lo, s8
	s_cbranch_vccz .LBB179_357
; %bb.350:
	s_and_not1_b32 vcc_lo, exec_lo, s7
	s_cbranch_vccnz .LBB179_352
.LBB179_351:
	s_bfe_i32 s7, s10, 0x80000
	s_delay_alu instid0(SALU_CYCLE_1)
	v_max_i16 v5, v6, s7
.LBB179_352:
	s_delay_alu instid0(VALU_DEP_1)
	v_perm_b32 v4, v4, v5, 0x7000504
.LBB179_353:
	s_or_b32 exec_lo, exec_lo, s6
	v_or_b32_e32 v5, 0xb00, v0
	s_mov_b32 s6, exec_lo
	s_delay_alu instid0(VALU_DEP_1)
	v_cmpx_gt_i32_e64 s1, v5
	s_cbranch_execz .LBB179_366
; %bb.354:
	s_cmp_lt_i32 s9, 1
	s_mov_b32 s7, 0
	s_cbranch_scc1 .LBB179_358
; %bb.355:
	s_cmp_eq_u32 s9, 1
	s_cbranch_scc0 .LBB179_359
; %bb.356:
	v_bfe_i32 v5, v14, 0, 8
	s_bfe_i32 s8, s10, 0x80000
	s_delay_alu instid0(VALU_DEP_1) | instid1(SALU_CYCLE_1)
	v_min_i16 v5, v5, s8
	s_mov_b32 s8, 0
	s_branch .LBB179_360
.LBB179_357:
	s_bfe_i32 s7, s10, 0x80000
	s_delay_alu instid0(VALU_DEP_1) | instid1(SALU_CYCLE_1)
	v_max_i16 v5, v6, s7
	s_bfe_i32 s7, s3, 0x80000
	s_delay_alu instid0(VALU_DEP_1) | instid1(SALU_CYCLE_1)
	v_min_i16 v5, v5, s7
	s_cbranch_execz .LBB179_351
	s_branch .LBB179_352
.LBB179_358:
	s_mov_b32 s8, 0
                                        ; implicit-def: $vgpr5
	s_cbranch_execnz .LBB179_361
	s_branch .LBB179_362
.LBB179_359:
	s_mov_b32 s8, -1
                                        ; implicit-def: $vgpr5
.LBB179_360:
	s_branch .LBB179_362
.LBB179_361:
	s_cmp_lg_u32 s9, 0
	s_mov_b32 s7, -1
	s_cselect_b32 s8, -1, 0
.LBB179_362:
	v_bfe_i32 v6, v14, 0, 8
	s_and_not1_b32 vcc_lo, exec_lo, s8
	s_cbranch_vccz .LBB179_370
; %bb.363:
	s_and_not1_b32 vcc_lo, exec_lo, s7
	s_cbranch_vccnz .LBB179_365
.LBB179_364:
	s_bfe_i32 s7, s10, 0x80000
	s_delay_alu instid0(SALU_CYCLE_1)
	v_max_i16 v5, v6, s7
.LBB179_365:
	s_delay_alu instid0(VALU_DEP_1)
	v_perm_b32 v4, v4, v5, 0x60504
.LBB179_366:
	s_or_b32 exec_lo, exec_lo, s6
	v_or_b32_e32 v5, 0xc00, v0
	s_mov_b32 s6, exec_lo
	s_delay_alu instid0(VALU_DEP_1)
	v_cmpx_gt_i32_e64 s1, v5
	s_cbranch_execz .LBB179_379
; %bb.367:
	s_cmp_lt_i32 s9, 1
	s_mov_b32 s7, 0
	s_cbranch_scc1 .LBB179_371
; %bb.368:
	s_cmp_eq_u32 s9, 1
	s_cbranch_scc0 .LBB179_372
; %bb.369:
	v_bfe_i32 v5, v13, 0, 8
	s_bfe_i32 s8, s10, 0x80000
	s_delay_alu instid0(VALU_DEP_1) | instid1(SALU_CYCLE_1)
	v_min_i16 v5, v5, s8
	s_mov_b32 s8, 0
	s_branch .LBB179_373
.LBB179_370:
	s_bfe_i32 s7, s10, 0x80000
	s_delay_alu instid0(VALU_DEP_1) | instid1(SALU_CYCLE_1)
	v_max_i16 v5, v6, s7
	s_bfe_i32 s7, s3, 0x80000
	s_delay_alu instid0(VALU_DEP_1) | instid1(SALU_CYCLE_1)
	v_min_i16 v5, v5, s7
	s_cbranch_execz .LBB179_364
	s_branch .LBB179_365
.LBB179_371:
	s_mov_b32 s8, 0
                                        ; implicit-def: $vgpr5
	s_cbranch_execnz .LBB179_374
	s_branch .LBB179_375
.LBB179_372:
	s_mov_b32 s8, -1
                                        ; implicit-def: $vgpr5
.LBB179_373:
	s_branch .LBB179_375
.LBB179_374:
	s_cmp_lg_u32 s9, 0
	s_mov_b32 s7, -1
	s_cselect_b32 s8, -1, 0
.LBB179_375:
	v_bfe_i32 v6, v13, 0, 8
	s_and_not1_b32 vcc_lo, exec_lo, s8
	s_cbranch_vccz .LBB179_383
; %bb.376:
	s_and_not1_b32 vcc_lo, exec_lo, s7
	s_cbranch_vccnz .LBB179_378
.LBB179_377:
	s_bfe_i32 s7, s10, 0x80000
	s_delay_alu instid0(SALU_CYCLE_1)
	v_max_i16 v5, v6, s7
.LBB179_378:
	s_delay_alu instid0(VALU_DEP_1)
	v_perm_b32 v3, v5, v3, 0x3020104
.LBB179_379:
	s_or_b32 exec_lo, exec_lo, s6
	v_or_b32_e32 v5, 0xd00, v0
	s_mov_b32 s6, exec_lo
	s_delay_alu instid0(VALU_DEP_1)
	v_cmpx_gt_i32_e64 s1, v5
	s_cbranch_execz .LBB179_392
; %bb.380:
	s_cmp_lt_i32 s9, 1
	s_mov_b32 s7, 0
	s_cbranch_scc1 .LBB179_384
; %bb.381:
	s_cmp_eq_u32 s9, 1
	s_cbranch_scc0 .LBB179_385
; %bb.382:
	v_bfe_i32 v5, v12, 0, 8
	s_bfe_i32 s8, s10, 0x80000
	s_delay_alu instid0(VALU_DEP_1) | instid1(SALU_CYCLE_1)
	v_min_i16 v5, v5, s8
	s_mov_b32 s8, 0
	s_branch .LBB179_386
.LBB179_383:
	s_bfe_i32 s7, s10, 0x80000
	s_delay_alu instid0(VALU_DEP_1) | instid1(SALU_CYCLE_1)
	v_max_i16 v5, v6, s7
	s_bfe_i32 s7, s3, 0x80000
	s_delay_alu instid0(VALU_DEP_1) | instid1(SALU_CYCLE_1)
	v_min_i16 v5, v5, s7
	s_cbranch_execz .LBB179_377
	s_branch .LBB179_378
.LBB179_384:
	s_mov_b32 s8, 0
                                        ; implicit-def: $vgpr5
	s_cbranch_execnz .LBB179_387
	s_branch .LBB179_388
.LBB179_385:
	s_mov_b32 s8, -1
                                        ; implicit-def: $vgpr5
.LBB179_386:
	s_branch .LBB179_388
.LBB179_387:
	s_cmp_lg_u32 s9, 0
	s_mov_b32 s7, -1
	s_cselect_b32 s8, -1, 0
.LBB179_388:
	v_bfe_i32 v6, v12, 0, 8
	s_and_not1_b32 vcc_lo, exec_lo, s8
	s_cbranch_vccz .LBB179_396
; %bb.389:
	s_and_not1_b32 vcc_lo, exec_lo, s7
	s_cbranch_vccnz .LBB179_391
.LBB179_390:
	s_bfe_i32 s7, s10, 0x80000
	s_delay_alu instid0(SALU_CYCLE_1)
	v_max_i16 v5, v6, s7
.LBB179_391:
	s_delay_alu instid0(VALU_DEP_1)
	v_perm_b32 v3, v3, v5, 0x7060004
.LBB179_392:
	s_or_b32 exec_lo, exec_lo, s6
	v_or_b32_e32 v5, 0xe00, v0
	s_mov_b32 s6, exec_lo
	s_delay_alu instid0(VALU_DEP_1)
	v_cmpx_gt_i32_e64 s1, v5
	s_cbranch_execz .LBB179_405
; %bb.393:
	s_cmp_lt_i32 s9, 1
	s_mov_b32 s7, 0
	s_cbranch_scc1 .LBB179_397
; %bb.394:
	s_cmp_eq_u32 s9, 1
	s_cbranch_scc0 .LBB179_398
; %bb.395:
	v_bfe_i32 v5, v11, 0, 8
	s_bfe_i32 s8, s10, 0x80000
	s_delay_alu instid0(VALU_DEP_1) | instid1(SALU_CYCLE_1)
	v_min_i16 v5, v5, s8
	s_mov_b32 s8, 0
	s_branch .LBB179_399
.LBB179_396:
	s_bfe_i32 s7, s10, 0x80000
	s_delay_alu instid0(VALU_DEP_1) | instid1(SALU_CYCLE_1)
	v_max_i16 v5, v6, s7
	s_bfe_i32 s7, s3, 0x80000
	s_delay_alu instid0(VALU_DEP_1) | instid1(SALU_CYCLE_1)
	v_min_i16 v5, v5, s7
	s_cbranch_execz .LBB179_390
	s_branch .LBB179_391
.LBB179_397:
	s_mov_b32 s8, 0
                                        ; implicit-def: $vgpr5
	s_cbranch_execnz .LBB179_400
	s_branch .LBB179_401
.LBB179_398:
	s_mov_b32 s8, -1
                                        ; implicit-def: $vgpr5
.LBB179_399:
	s_branch .LBB179_401
.LBB179_400:
	s_cmp_lg_u32 s9, 0
	s_mov_b32 s7, -1
	s_cselect_b32 s8, -1, 0
.LBB179_401:
	v_bfe_i32 v6, v11, 0, 8
	s_and_not1_b32 vcc_lo, exec_lo, s8
	s_cbranch_vccz .LBB179_409
; %bb.402:
	s_and_not1_b32 vcc_lo, exec_lo, s7
	s_cbranch_vccnz .LBB179_404
.LBB179_403:
	s_bfe_i32 s7, s10, 0x80000
	s_delay_alu instid0(SALU_CYCLE_1)
	v_max_i16 v5, v6, s7
.LBB179_404:
	s_delay_alu instid0(VALU_DEP_1)
	v_perm_b32 v3, v3, v5, 0x7000504
.LBB179_405:
	s_or_b32 exec_lo, exec_lo, s6
	v_or_b32_e32 v5, 0xf00, v0
	s_mov_b32 s6, exec_lo
	s_delay_alu instid0(VALU_DEP_1)
	v_cmpx_gt_i32_e64 s1, v5
	s_cbranch_execz .LBB179_418
; %bb.406:
	s_cmp_lt_i32 s9, 1
	s_mov_b32 s7, 0
	s_cbranch_scc1 .LBB179_410
; %bb.407:
	s_cmp_eq_u32 s9, 1
	s_cbranch_scc0 .LBB179_411
; %bb.408:
	v_bfe_i32 v5, v10, 0, 8
	s_bfe_i32 s8, s10, 0x80000
	s_delay_alu instid0(VALU_DEP_1) | instid1(SALU_CYCLE_1)
	v_min_i16 v5, v5, s8
	s_mov_b32 s8, 0
	s_branch .LBB179_412
.LBB179_409:
	s_bfe_i32 s7, s10, 0x80000
	s_delay_alu instid0(VALU_DEP_1) | instid1(SALU_CYCLE_1)
	v_max_i16 v5, v6, s7
	s_bfe_i32 s7, s3, 0x80000
	s_delay_alu instid0(VALU_DEP_1) | instid1(SALU_CYCLE_1)
	v_min_i16 v5, v5, s7
	s_cbranch_execz .LBB179_403
	s_branch .LBB179_404
.LBB179_410:
	s_mov_b32 s8, 0
                                        ; implicit-def: $vgpr5
	s_cbranch_execnz .LBB179_413
	s_branch .LBB179_414
.LBB179_411:
	s_mov_b32 s8, -1
                                        ; implicit-def: $vgpr5
.LBB179_412:
	s_branch .LBB179_414
.LBB179_413:
	s_cmp_lg_u32 s9, 0
	s_mov_b32 s7, -1
	s_cselect_b32 s8, -1, 0
.LBB179_414:
	v_bfe_i32 v6, v10, 0, 8
	s_and_not1_b32 vcc_lo, exec_lo, s8
	s_cbranch_vccz .LBB179_451
; %bb.415:
	s_and_not1_b32 vcc_lo, exec_lo, s7
	s_cbranch_vccnz .LBB179_417
.LBB179_416:
	s_bfe_i32 s3, s10, 0x80000
	s_delay_alu instid0(SALU_CYCLE_1)
	v_max_i16 v5, v6, s3
.LBB179_417:
	s_delay_alu instid0(VALU_DEP_1)
	v_perm_b32 v3, v3, v5, 0x60504
.LBB179_418:
	s_or_b32 exec_lo, exec_lo, s6
	s_and_saveexec_b32 s3, s0
	s_delay_alu instid0(SALU_CYCLE_1)
	s_xor_b32 s0, exec_lo, s3
	s_cbranch_execz .LBB179_420
; %bb.419:
	v_mov_b32_e32 v0, v9
	global_store_b8 v8, v2, s[4:5]
.LBB179_420:
	s_wait_xcnt 0x0
	s_or_b32 exec_lo, exec_lo, s0
	s_delay_alu instid0(SALU_CYCLE_1)
	s_mov_b32 s0, exec_lo
	v_cmpx_gt_i32_e64 s1, v0
	s_cbranch_execnz .LBB179_437
; %bb.421:
	s_or_b32 exec_lo, exec_lo, s0
	s_delay_alu instid0(SALU_CYCLE_1)
	s_mov_b32 s0, exec_lo
	v_cmpx_gt_i32_e64 s1, v0
	s_cbranch_execnz .LBB179_438
.LBB179_422:
	s_or_b32 exec_lo, exec_lo, s0
	s_delay_alu instid0(SALU_CYCLE_1)
	s_mov_b32 s0, exec_lo
	v_cmpx_gt_i32_e64 s1, v0
	s_cbranch_execnz .LBB179_439
.LBB179_423:
	s_or_b32 exec_lo, exec_lo, s0
	s_delay_alu instid0(SALU_CYCLE_1)
	s_mov_b32 s0, exec_lo
	v_cmpx_gt_i32_e64 s1, v0
	s_cbranch_execnz .LBB179_440
.LBB179_424:
	s_or_b32 exec_lo, exec_lo, s0
	s_delay_alu instid0(SALU_CYCLE_1)
	s_mov_b32 s0, exec_lo
	v_cmpx_gt_i32_e64 s1, v0
	s_cbranch_execnz .LBB179_441
.LBB179_425:
	s_or_b32 exec_lo, exec_lo, s0
	s_delay_alu instid0(SALU_CYCLE_1)
	s_mov_b32 s0, exec_lo
	v_cmpx_gt_i32_e64 s1, v0
	s_cbranch_execnz .LBB179_442
.LBB179_426:
	s_or_b32 exec_lo, exec_lo, s0
	s_delay_alu instid0(SALU_CYCLE_1)
	s_mov_b32 s0, exec_lo
	v_cmpx_gt_i32_e64 s1, v0
	s_cbranch_execnz .LBB179_443
.LBB179_427:
	s_or_b32 exec_lo, exec_lo, s0
	s_delay_alu instid0(SALU_CYCLE_1)
	s_mov_b32 s0, exec_lo
	v_cmpx_gt_i32_e64 s1, v0
	s_cbranch_execnz .LBB179_444
.LBB179_428:
	s_or_b32 exec_lo, exec_lo, s0
	s_delay_alu instid0(SALU_CYCLE_1)
	s_mov_b32 s0, exec_lo
	v_cmpx_gt_i32_e64 s1, v0
	s_cbranch_execnz .LBB179_445
.LBB179_429:
	s_or_b32 exec_lo, exec_lo, s0
	s_delay_alu instid0(SALU_CYCLE_1)
	s_mov_b32 s0, exec_lo
	v_cmpx_gt_i32_e64 s1, v0
	s_cbranch_execnz .LBB179_446
.LBB179_430:
	s_or_b32 exec_lo, exec_lo, s0
	s_delay_alu instid0(SALU_CYCLE_1)
	s_mov_b32 s0, exec_lo
	v_cmpx_gt_i32_e64 s1, v0
	s_cbranch_execnz .LBB179_447
.LBB179_431:
	s_or_b32 exec_lo, exec_lo, s0
	s_delay_alu instid0(SALU_CYCLE_1)
	s_mov_b32 s0, exec_lo
	v_cmpx_gt_i32_e64 s1, v0
	s_cbranch_execnz .LBB179_448
.LBB179_432:
	s_or_b32 exec_lo, exec_lo, s0
	s_delay_alu instid0(SALU_CYCLE_1)
	s_mov_b32 s0, exec_lo
	v_cmpx_gt_i32_e64 s1, v0
	s_cbranch_execnz .LBB179_449
.LBB179_433:
	s_or_b32 exec_lo, exec_lo, s0
	s_delay_alu instid0(SALU_CYCLE_1)
	s_mov_b32 s0, exec_lo
	v_cmpx_gt_i32_e64 s1, v0
	s_cbranch_execnz .LBB179_450
.LBB179_434:
	s_or_b32 exec_lo, exec_lo, s0
	s_delay_alu instid0(SALU_CYCLE_1)
	s_mov_b32 s0, exec_lo
	v_cmpx_gt_i32_e64 s1, v0
	s_cbranch_execz .LBB179_436
.LBB179_435:
	v_dual_lshrrev_b32 v1, 24, v3 :: v_dual_add_nc_u32 v0, s2, v0
	global_store_b8 v0, v1, s[4:5]
.LBB179_436:
	s_endpgm
.LBB179_437:
	v_dual_lshrrev_b32 v5, 8, v2 :: v_dual_add_nc_u32 v6, s2, v0
	v_add_nc_u32_e32 v0, 0x100, v0
	global_store_b8 v6, v5, s[4:5]
	s_wait_xcnt 0x0
	s_or_b32 exec_lo, exec_lo, s0
	s_delay_alu instid0(SALU_CYCLE_1)
	s_mov_b32 s0, exec_lo
	v_cmpx_gt_i32_e64 s1, v0
	s_cbranch_execz .LBB179_422
.LBB179_438:
	v_add_nc_u32_e32 v5, s2, v0
	v_add_nc_u32_e32 v0, 0x100, v0
	global_store_d16_hi_b8 v5, v2, s[4:5]
	s_wait_xcnt 0x0
	s_or_b32 exec_lo, exec_lo, s0
	s_delay_alu instid0(SALU_CYCLE_1)
	s_mov_b32 s0, exec_lo
	v_cmpx_gt_i32_e64 s1, v0
	s_cbranch_execz .LBB179_423
.LBB179_439:
	v_dual_lshrrev_b32 v2, 24, v2 :: v_dual_add_nc_u32 v5, s2, v0
	v_add_nc_u32_e32 v0, 0x100, v0
	global_store_b8 v5, v2, s[4:5]
	s_wait_xcnt 0x0
	s_or_b32 exec_lo, exec_lo, s0
	s_delay_alu instid0(SALU_CYCLE_1)
	s_mov_b32 s0, exec_lo
	v_cmpx_gt_i32_e64 s1, v0
	s_cbranch_execz .LBB179_424
.LBB179_440:
	v_add_nc_u32_e32 v2, s2, v0
	v_add_nc_u32_e32 v0, 0x100, v0
	global_store_b8 v2, v1, s[4:5]
	s_wait_xcnt 0x0
	s_or_b32 exec_lo, exec_lo, s0
	s_delay_alu instid0(SALU_CYCLE_1)
	s_mov_b32 s0, exec_lo
	v_cmpx_gt_i32_e64 s1, v0
	s_cbranch_execz .LBB179_425
.LBB179_441:
	v_dual_lshrrev_b32 v2, 8, v1 :: v_dual_add_nc_u32 v5, s2, v0
	v_add_nc_u32_e32 v0, 0x100, v0
	global_store_b8 v5, v2, s[4:5]
	s_wait_xcnt 0x0
	s_or_b32 exec_lo, exec_lo, s0
	s_delay_alu instid0(SALU_CYCLE_1)
	s_mov_b32 s0, exec_lo
	v_cmpx_gt_i32_e64 s1, v0
	s_cbranch_execz .LBB179_426
.LBB179_442:
	v_add_nc_u32_e32 v2, s2, v0
	v_add_nc_u32_e32 v0, 0x100, v0
	global_store_d16_hi_b8 v2, v1, s[4:5]
	s_wait_xcnt 0x0
	s_or_b32 exec_lo, exec_lo, s0
	s_delay_alu instid0(SALU_CYCLE_1)
	s_mov_b32 s0, exec_lo
	v_cmpx_gt_i32_e64 s1, v0
	s_cbranch_execz .LBB179_427
.LBB179_443:
	v_dual_lshrrev_b32 v1, 24, v1 :: v_dual_add_nc_u32 v2, s2, v0
	v_add_nc_u32_e32 v0, 0x100, v0
	global_store_b8 v2, v1, s[4:5]
	s_wait_xcnt 0x0
	s_or_b32 exec_lo, exec_lo, s0
	s_delay_alu instid0(SALU_CYCLE_1)
	s_mov_b32 s0, exec_lo
	v_cmpx_gt_i32_e64 s1, v0
	s_cbranch_execz .LBB179_428
.LBB179_444:
	v_add_nc_u32_e32 v1, s2, v0
	v_add_nc_u32_e32 v0, 0x100, v0
	global_store_b8 v1, v4, s[4:5]
	s_wait_xcnt 0x0
	s_or_b32 exec_lo, exec_lo, s0
	s_delay_alu instid0(SALU_CYCLE_1)
	s_mov_b32 s0, exec_lo
	v_cmpx_gt_i32_e64 s1, v0
	s_cbranch_execz .LBB179_429
.LBB179_445:
	v_lshrrev_b32_e32 v1, 8, v4
	v_add_nc_u32_e32 v2, s2, v0
	v_add_nc_u32_e32 v0, 0x100, v0
	global_store_b8 v2, v1, s[4:5]
	s_wait_xcnt 0x0
	s_or_b32 exec_lo, exec_lo, s0
	s_delay_alu instid0(SALU_CYCLE_1)
	s_mov_b32 s0, exec_lo
	v_cmpx_gt_i32_e64 s1, v0
	s_cbranch_execz .LBB179_430
.LBB179_446:
	v_add_nc_u32_e32 v1, s2, v0
	v_add_nc_u32_e32 v0, 0x100, v0
	global_store_d16_hi_b8 v1, v4, s[4:5]
	s_wait_xcnt 0x0
	s_or_b32 exec_lo, exec_lo, s0
	s_delay_alu instid0(SALU_CYCLE_1)
	s_mov_b32 s0, exec_lo
	v_cmpx_gt_i32_e64 s1, v0
	s_cbranch_execz .LBB179_431
.LBB179_447:
	v_lshrrev_b32_e32 v1, 24, v4
	v_add_nc_u32_e32 v2, s2, v0
	v_add_nc_u32_e32 v0, 0x100, v0
	global_store_b8 v2, v1, s[4:5]
	s_wait_xcnt 0x0
	s_or_b32 exec_lo, exec_lo, s0
	s_delay_alu instid0(SALU_CYCLE_1)
	s_mov_b32 s0, exec_lo
	v_cmpx_gt_i32_e64 s1, v0
	s_cbranch_execz .LBB179_432
.LBB179_448:
	v_add_nc_u32_e32 v1, s2, v0
	v_add_nc_u32_e32 v0, 0x100, v0
	global_store_b8 v1, v3, s[4:5]
	s_wait_xcnt 0x0
	s_or_b32 exec_lo, exec_lo, s0
	s_delay_alu instid0(SALU_CYCLE_1)
	s_mov_b32 s0, exec_lo
	v_cmpx_gt_i32_e64 s1, v0
	s_cbranch_execz .LBB179_433
.LBB179_449:
	v_dual_lshrrev_b32 v1, 8, v3 :: v_dual_add_nc_u32 v2, s2, v0
	v_add_nc_u32_e32 v0, 0x100, v0
	global_store_b8 v2, v1, s[4:5]
	s_wait_xcnt 0x0
	s_or_b32 exec_lo, exec_lo, s0
	s_delay_alu instid0(SALU_CYCLE_1)
	s_mov_b32 s0, exec_lo
	v_cmpx_gt_i32_e64 s1, v0
	s_cbranch_execz .LBB179_434
.LBB179_450:
	v_add_nc_u32_e32 v1, s2, v0
	v_add_nc_u32_e32 v0, 0x100, v0
	global_store_d16_hi_b8 v1, v3, s[4:5]
	s_wait_xcnt 0x0
	s_or_b32 exec_lo, exec_lo, s0
	s_delay_alu instid0(SALU_CYCLE_1)
	s_mov_b32 s0, exec_lo
	v_cmpx_gt_i32_e64 s1, v0
	s_cbranch_execnz .LBB179_435
	s_branch .LBB179_436
.LBB179_451:
	s_bfe_i32 s7, s10, 0x80000
	s_bfe_i32 s3, s3, 0x80000
	v_max_i16 v5, v6, s7
	s_delay_alu instid0(VALU_DEP_1)
	v_min_i16 v5, v5, s3
	s_cbranch_execz .LBB179_416
	s_branch .LBB179_417
	.section	.rodata,"a",@progbits
	.p2align	6, 0x0
	.amdhsa_kernel _ZN2at6native29vectorized_elementwise_kernelILi2EZZZNS0_12_GLOBAL__N_119launch_clamp_scalarERNS_18TensorIteratorBaseEN3c106ScalarES6_NS0_6detail11ClampLimitsEENKUlvE_clEvENKUlvE0_clEvEUlaE_St5arrayIPcLm2EEEEviT0_T1_
		.amdhsa_group_segment_fixed_size 0
		.amdhsa_private_segment_fixed_size 0
		.amdhsa_kernarg_size 32
		.amdhsa_user_sgpr_count 2
		.amdhsa_user_sgpr_dispatch_ptr 0
		.amdhsa_user_sgpr_queue_ptr 0
		.amdhsa_user_sgpr_kernarg_segment_ptr 1
		.amdhsa_user_sgpr_dispatch_id 0
		.amdhsa_user_sgpr_kernarg_preload_length 0
		.amdhsa_user_sgpr_kernarg_preload_offset 0
		.amdhsa_user_sgpr_private_segment_size 0
		.amdhsa_wavefront_size32 1
		.amdhsa_uses_dynamic_stack 0
		.amdhsa_enable_private_segment 0
		.amdhsa_system_sgpr_workgroup_id_x 1
		.amdhsa_system_sgpr_workgroup_id_y 0
		.amdhsa_system_sgpr_workgroup_id_z 0
		.amdhsa_system_sgpr_workgroup_info 0
		.amdhsa_system_vgpr_workitem_id 0
		.amdhsa_next_free_vgpr 24
		.amdhsa_next_free_sgpr 23
		.amdhsa_named_barrier_count 0
		.amdhsa_reserve_vcc 1
		.amdhsa_float_round_mode_32 0
		.amdhsa_float_round_mode_16_64 0
		.amdhsa_float_denorm_mode_32 3
		.amdhsa_float_denorm_mode_16_64 3
		.amdhsa_fp16_overflow 0
		.amdhsa_memory_ordered 1
		.amdhsa_forward_progress 1
		.amdhsa_inst_pref_size 76
		.amdhsa_round_robin_scheduling 0
		.amdhsa_exception_fp_ieee_invalid_op 0
		.amdhsa_exception_fp_denorm_src 0
		.amdhsa_exception_fp_ieee_div_zero 0
		.amdhsa_exception_fp_ieee_overflow 0
		.amdhsa_exception_fp_ieee_underflow 0
		.amdhsa_exception_fp_ieee_inexact 0
		.amdhsa_exception_int_div_zero 0
	.end_amdhsa_kernel
	.section	.text._ZN2at6native29vectorized_elementwise_kernelILi2EZZZNS0_12_GLOBAL__N_119launch_clamp_scalarERNS_18TensorIteratorBaseEN3c106ScalarES6_NS0_6detail11ClampLimitsEENKUlvE_clEvENKUlvE0_clEvEUlaE_St5arrayIPcLm2EEEEviT0_T1_,"axG",@progbits,_ZN2at6native29vectorized_elementwise_kernelILi2EZZZNS0_12_GLOBAL__N_119launch_clamp_scalarERNS_18TensorIteratorBaseEN3c106ScalarES6_NS0_6detail11ClampLimitsEENKUlvE_clEvENKUlvE0_clEvEUlaE_St5arrayIPcLm2EEEEviT0_T1_,comdat
.Lfunc_end179:
	.size	_ZN2at6native29vectorized_elementwise_kernelILi2EZZZNS0_12_GLOBAL__N_119launch_clamp_scalarERNS_18TensorIteratorBaseEN3c106ScalarES6_NS0_6detail11ClampLimitsEENKUlvE_clEvENKUlvE0_clEvEUlaE_St5arrayIPcLm2EEEEviT0_T1_, .Lfunc_end179-_ZN2at6native29vectorized_elementwise_kernelILi2EZZZNS0_12_GLOBAL__N_119launch_clamp_scalarERNS_18TensorIteratorBaseEN3c106ScalarES6_NS0_6detail11ClampLimitsEENKUlvE_clEvENKUlvE0_clEvEUlaE_St5arrayIPcLm2EEEEviT0_T1_
                                        ; -- End function
	.set _ZN2at6native29vectorized_elementwise_kernelILi2EZZZNS0_12_GLOBAL__N_119launch_clamp_scalarERNS_18TensorIteratorBaseEN3c106ScalarES6_NS0_6detail11ClampLimitsEENKUlvE_clEvENKUlvE0_clEvEUlaE_St5arrayIPcLm2EEEEviT0_T1_.num_vgpr, 24
	.set _ZN2at6native29vectorized_elementwise_kernelILi2EZZZNS0_12_GLOBAL__N_119launch_clamp_scalarERNS_18TensorIteratorBaseEN3c106ScalarES6_NS0_6detail11ClampLimitsEENKUlvE_clEvENKUlvE0_clEvEUlaE_St5arrayIPcLm2EEEEviT0_T1_.num_agpr, 0
	.set _ZN2at6native29vectorized_elementwise_kernelILi2EZZZNS0_12_GLOBAL__N_119launch_clamp_scalarERNS_18TensorIteratorBaseEN3c106ScalarES6_NS0_6detail11ClampLimitsEENKUlvE_clEvENKUlvE0_clEvEUlaE_St5arrayIPcLm2EEEEviT0_T1_.numbered_sgpr, 23
	.set _ZN2at6native29vectorized_elementwise_kernelILi2EZZZNS0_12_GLOBAL__N_119launch_clamp_scalarERNS_18TensorIteratorBaseEN3c106ScalarES6_NS0_6detail11ClampLimitsEENKUlvE_clEvENKUlvE0_clEvEUlaE_St5arrayIPcLm2EEEEviT0_T1_.num_named_barrier, 0
	.set _ZN2at6native29vectorized_elementwise_kernelILi2EZZZNS0_12_GLOBAL__N_119launch_clamp_scalarERNS_18TensorIteratorBaseEN3c106ScalarES6_NS0_6detail11ClampLimitsEENKUlvE_clEvENKUlvE0_clEvEUlaE_St5arrayIPcLm2EEEEviT0_T1_.private_seg_size, 0
	.set _ZN2at6native29vectorized_elementwise_kernelILi2EZZZNS0_12_GLOBAL__N_119launch_clamp_scalarERNS_18TensorIteratorBaseEN3c106ScalarES6_NS0_6detail11ClampLimitsEENKUlvE_clEvENKUlvE0_clEvEUlaE_St5arrayIPcLm2EEEEviT0_T1_.uses_vcc, 1
	.set _ZN2at6native29vectorized_elementwise_kernelILi2EZZZNS0_12_GLOBAL__N_119launch_clamp_scalarERNS_18TensorIteratorBaseEN3c106ScalarES6_NS0_6detail11ClampLimitsEENKUlvE_clEvENKUlvE0_clEvEUlaE_St5arrayIPcLm2EEEEviT0_T1_.uses_flat_scratch, 0
	.set _ZN2at6native29vectorized_elementwise_kernelILi2EZZZNS0_12_GLOBAL__N_119launch_clamp_scalarERNS_18TensorIteratorBaseEN3c106ScalarES6_NS0_6detail11ClampLimitsEENKUlvE_clEvENKUlvE0_clEvEUlaE_St5arrayIPcLm2EEEEviT0_T1_.has_dyn_sized_stack, 0
	.set _ZN2at6native29vectorized_elementwise_kernelILi2EZZZNS0_12_GLOBAL__N_119launch_clamp_scalarERNS_18TensorIteratorBaseEN3c106ScalarES6_NS0_6detail11ClampLimitsEENKUlvE_clEvENKUlvE0_clEvEUlaE_St5arrayIPcLm2EEEEviT0_T1_.has_recursion, 0
	.set _ZN2at6native29vectorized_elementwise_kernelILi2EZZZNS0_12_GLOBAL__N_119launch_clamp_scalarERNS_18TensorIteratorBaseEN3c106ScalarES6_NS0_6detail11ClampLimitsEENKUlvE_clEvENKUlvE0_clEvEUlaE_St5arrayIPcLm2EEEEviT0_T1_.has_indirect_call, 0
	.section	.AMDGPU.csdata,"",@progbits
; Kernel info:
; codeLenInByte = 9704
; TotalNumSgprs: 25
; NumVgprs: 24
; ScratchSize: 0
; MemoryBound: 0
; FloatMode: 240
; IeeeMode: 1
; LDSByteSize: 0 bytes/workgroup (compile time only)
; SGPRBlocks: 0
; VGPRBlocks: 1
; NumSGPRsForWavesPerEU: 25
; NumVGPRsForWavesPerEU: 24
; NamedBarCnt: 0
; Occupancy: 16
; WaveLimiterHint : 1
; COMPUTE_PGM_RSRC2:SCRATCH_EN: 0
; COMPUTE_PGM_RSRC2:USER_SGPR: 2
; COMPUTE_PGM_RSRC2:TRAP_HANDLER: 0
; COMPUTE_PGM_RSRC2:TGID_X_EN: 1
; COMPUTE_PGM_RSRC2:TGID_Y_EN: 0
; COMPUTE_PGM_RSRC2:TGID_Z_EN: 0
; COMPUTE_PGM_RSRC2:TIDIG_COMP_CNT: 0
	.section	.text._ZN2at6native27unrolled_elementwise_kernelIZZZNS0_12_GLOBAL__N_119launch_clamp_scalarERNS_18TensorIteratorBaseEN3c106ScalarES6_NS0_6detail11ClampLimitsEENKUlvE_clEvENKUlvE0_clEvEUlaE_St5arrayIPcLm2EELi4E23TrivialOffsetCalculatorILi1EjESG_NS0_6memory15LoadWithoutCastENSH_16StoreWithoutCastEEEviT_T0_T2_T3_T4_T5_,"axG",@progbits,_ZN2at6native27unrolled_elementwise_kernelIZZZNS0_12_GLOBAL__N_119launch_clamp_scalarERNS_18TensorIteratorBaseEN3c106ScalarES6_NS0_6detail11ClampLimitsEENKUlvE_clEvENKUlvE0_clEvEUlaE_St5arrayIPcLm2EELi4E23TrivialOffsetCalculatorILi1EjESG_NS0_6memory15LoadWithoutCastENSH_16StoreWithoutCastEEEviT_T0_T2_T3_T4_T5_,comdat
	.globl	_ZN2at6native27unrolled_elementwise_kernelIZZZNS0_12_GLOBAL__N_119launch_clamp_scalarERNS_18TensorIteratorBaseEN3c106ScalarES6_NS0_6detail11ClampLimitsEENKUlvE_clEvENKUlvE0_clEvEUlaE_St5arrayIPcLm2EELi4E23TrivialOffsetCalculatorILi1EjESG_NS0_6memory15LoadWithoutCastENSH_16StoreWithoutCastEEEviT_T0_T2_T3_T4_T5_ ; -- Begin function _ZN2at6native27unrolled_elementwise_kernelIZZZNS0_12_GLOBAL__N_119launch_clamp_scalarERNS_18TensorIteratorBaseEN3c106ScalarES6_NS0_6detail11ClampLimitsEENKUlvE_clEvENKUlvE0_clEvEUlaE_St5arrayIPcLm2EELi4E23TrivialOffsetCalculatorILi1EjESG_NS0_6memory15LoadWithoutCastENSH_16StoreWithoutCastEEEviT_T0_T2_T3_T4_T5_
	.p2align	8
	.type	_ZN2at6native27unrolled_elementwise_kernelIZZZNS0_12_GLOBAL__N_119launch_clamp_scalarERNS_18TensorIteratorBaseEN3c106ScalarES6_NS0_6detail11ClampLimitsEENKUlvE_clEvENKUlvE0_clEvEUlaE_St5arrayIPcLm2EELi4E23TrivialOffsetCalculatorILi1EjESG_NS0_6memory15LoadWithoutCastENSH_16StoreWithoutCastEEEviT_T0_T2_T3_T4_T5_,@function
_ZN2at6native27unrolled_elementwise_kernelIZZZNS0_12_GLOBAL__N_119launch_clamp_scalarERNS_18TensorIteratorBaseEN3c106ScalarES6_NS0_6detail11ClampLimitsEENKUlvE_clEvENKUlvE0_clEvEUlaE_St5arrayIPcLm2EELi4E23TrivialOffsetCalculatorILi1EjESG_NS0_6memory15LoadWithoutCastENSH_16StoreWithoutCastEEEviT_T0_T2_T3_T4_T5_: ; @_ZN2at6native27unrolled_elementwise_kernelIZZZNS0_12_GLOBAL__N_119launch_clamp_scalarERNS_18TensorIteratorBaseEN3c106ScalarES6_NS0_6detail11ClampLimitsEENKUlvE_clEvENKUlvE0_clEvEUlaE_St5arrayIPcLm2EELi4E23TrivialOffsetCalculatorILi1EjESG_NS0_6memory15LoadWithoutCastENSH_16StoreWithoutCastEEEviT_T0_T2_T3_T4_T5_
; %bb.0:
	s_clause 0x1
	s_load_b96 s[8:10], s[0:1], 0x0
	s_load_b128 s[4:7], s[0:1], 0x10
	s_bfe_u32 s3, ttmp6, 0x4000c
	s_and_b32 s2, ttmp6, 15
	s_add_co_i32 s3, s3, 1
	s_getreg_b32 s11, hwreg(HW_REG_IB_STS2, 6, 4)
	s_wait_xcnt 0x0
	s_mul_i32 s0, ttmp9, s3
	v_dual_mov_b32 v3, 0 :: v_dual_mov_b32 v4, 0
	s_add_co_i32 s2, s2, s0
	s_cmp_eq_u32 s11, 0
	v_dual_mov_b32 v5, 0 :: v_dual_mov_b32 v6, 0
	s_cselect_b32 s0, ttmp9, s2
	v_or_b32_e32 v1, 0x100, v0
	s_lshl_b32 s1, s0, 10
	s_delay_alu instid0(SALU_CYCLE_1) | instskip(SKIP_2) | instid1(SALU_CYCLE_1)
	v_dual_mov_b32 v7, 0 :: v_dual_bitop2_b32 v2, s1, v0 bitop3:0x54
	s_wait_kmcnt 0x0
	s_sub_co_i32 s2, s8, s1
	v_cmp_gt_i32_e64 s0, s2, v0
	s_and_saveexec_b32 s3, s0
	s_cbranch_execnz .LBB180_3
; %bb.1:
	s_or_b32 exec_lo, exec_lo, s3
	s_lshr_b32 s3, s10, 8
	s_and_saveexec_b32 s6, s0
	s_cbranch_execnz .LBB180_10
.LBB180_2:
	s_or_b32 exec_lo, exec_lo, s6
	s_delay_alu instid0(SALU_CYCLE_1)
	s_mov_b32 s6, exec_lo
	v_cmpx_gt_i32_e64 s2, v1
	s_cbranch_execnz .LBB180_21
	s_branch .LBB180_33
.LBB180_3:
	global_load_u8 v7, v2, s[6:7]
	v_or_b32_e32 v8, 0x100, v0
	v_dual_mov_b32 v6, 0 :: v_dual_mov_b32 v5, 0
	v_mov_b32_e32 v4, 0
	s_mov_b32 s8, exec_lo
	s_wait_xcnt 0x0
	v_cmpx_gt_u32_e64 s2, v8
	s_cbranch_execz .LBB180_9
; %bb.4:
	v_dual_mov_b32 v5, 0 :: v_dual_add_nc_u32 v4, s1, v8
	v_or_b32_e32 v8, 0x200, v0
	s_mov_b32 s11, exec_lo
	global_load_u8 v6, v4, s[6:7]
	s_wait_xcnt 0x0
	v_mov_b32_e32 v4, 0
	v_cmpx_gt_u32_e64 s2, v8
	s_cbranch_execz .LBB180_8
; %bb.5:
	v_add_nc_u32_e32 v4, s1, v8
	v_or_b32_e32 v8, 0x300, v0
	s_mov_b32 s12, exec_lo
	global_load_u8 v5, v4, s[6:7]
	s_wait_xcnt 0x0
	v_mov_b32_e32 v4, 0
	v_cmpx_gt_u32_e64 s2, v8
	s_cbranch_execz .LBB180_7
; %bb.6:
	v_add_nc_u32_e32 v4, s1, v8
	global_load_u8 v4, v4, s[6:7]
.LBB180_7:
	s_wait_xcnt 0x0
	s_or_b32 exec_lo, exec_lo, s12
.LBB180_8:
	s_delay_alu instid0(SALU_CYCLE_1)
	s_or_b32 exec_lo, exec_lo, s11
.LBB180_9:
	s_delay_alu instid0(SALU_CYCLE_1) | instskip(NEXT) | instid1(SALU_CYCLE_1)
	s_or_b32 exec_lo, exec_lo, s8
	s_or_b32 exec_lo, exec_lo, s3
	s_lshr_b32 s3, s10, 8
	s_and_saveexec_b32 s6, s0
	s_cbranch_execz .LBB180_2
.LBB180_10:
	s_cmp_lt_i32 s9, 1
	s_mov_b32 s7, 0
	s_cbranch_scc1 .LBB180_13
; %bb.11:
	s_cmp_eq_u32 s9, 1
	s_cbranch_scc0 .LBB180_14
; %bb.12:
	s_wait_loadcnt 0x0
	v_bfe_i32 v3, v7, 0, 8
	s_bfe_i32 s8, s10, 0x80000
	s_delay_alu instid0(VALU_DEP_1) | instid1(SALU_CYCLE_1)
	v_min_i16 v3, v3, s8
	s_mov_b32 s8, 0
	s_branch .LBB180_15
.LBB180_13:
	s_mov_b32 s8, 0
                                        ; implicit-def: $vgpr3
	s_cbranch_execnz .LBB180_16
	s_branch .LBB180_17
.LBB180_14:
	s_mov_b32 s8, -1
                                        ; implicit-def: $vgpr3
.LBB180_15:
	s_branch .LBB180_17
.LBB180_16:
	s_cmp_lg_u32 s9, 0
	s_mov_b32 s7, -1
	s_cselect_b32 s8, -1, 0
.LBB180_17:
	s_wait_loadcnt 0x0
	v_bfe_i32 v7, v7, 0, 8
	s_and_not1_b32 vcc_lo, exec_lo, s8
	s_cbranch_vccz .LBB180_24
; %bb.18:
	s_and_not1_b32 vcc_lo, exec_lo, s7
	s_cbranch_vccnz .LBB180_20
.LBB180_19:
	s_bfe_i32 s7, s10, 0x80000
	s_delay_alu instid0(SALU_CYCLE_1)
	v_max_i16 v3, v7, s7
.LBB180_20:
	s_delay_alu instid0(VALU_DEP_1) | instskip(NEXT) | instid1(VALU_DEP_1)
	v_and_b32_e32 v3, 0xff, v3
	v_and_b32_e32 v3, 0xffff, v3
	s_or_b32 exec_lo, exec_lo, s6
	s_delay_alu instid0(SALU_CYCLE_1)
	s_mov_b32 s6, exec_lo
	v_cmpx_gt_i32_e64 s2, v1
	s_cbranch_execz .LBB180_33
.LBB180_21:
	s_cmp_lt_i32 s9, 1
	s_mov_b32 s7, 0
	s_cbranch_scc1 .LBB180_25
; %bb.22:
	s_cmp_eq_u32 s9, 1
	s_cbranch_scc0 .LBB180_26
; %bb.23:
	s_wait_loadcnt 0x0
	v_bfe_i32 v7, v6, 0, 8
	s_bfe_i32 s8, s10, 0x80000
	s_delay_alu instid0(VALU_DEP_1) | instid1(SALU_CYCLE_1)
	v_min_i16 v7, v7, s8
	s_mov_b32 s8, 0
	s_branch .LBB180_27
.LBB180_24:
	s_bfe_i32 s7, s10, 0x80000
	s_delay_alu instid0(VALU_DEP_1) | instid1(SALU_CYCLE_1)
	v_max_i16 v3, v7, s7
	s_bfe_i32 s7, s3, 0x80000
	s_delay_alu instid0(VALU_DEP_1) | instid1(SALU_CYCLE_1)
	v_min_i16 v3, v3, s7
	s_cbranch_execz .LBB180_19
	s_branch .LBB180_20
.LBB180_25:
	s_mov_b32 s8, 0
                                        ; implicit-def: $vgpr7
	s_cbranch_execnz .LBB180_28
	s_branch .LBB180_29
.LBB180_26:
	s_mov_b32 s8, -1
                                        ; implicit-def: $vgpr7
.LBB180_27:
	s_branch .LBB180_29
.LBB180_28:
	s_cmp_lg_u32 s9, 0
	s_mov_b32 s7, -1
	s_cselect_b32 s8, -1, 0
.LBB180_29:
	s_wait_loadcnt 0x0
	v_bfe_i32 v6, v6, 0, 8
	s_and_not1_b32 vcc_lo, exec_lo, s8
	s_cbranch_vccz .LBB180_37
; %bb.30:
	s_and_not1_b32 vcc_lo, exec_lo, s7
	s_cbranch_vccnz .LBB180_32
.LBB180_31:
	s_bfe_i32 s7, s10, 0x80000
	s_delay_alu instid0(SALU_CYCLE_1)
	v_max_i16 v7, v6, s7
.LBB180_32:
	s_delay_alu instid0(VALU_DEP_1) | instskip(NEXT) | instid1(VALU_DEP_1)
	v_lshlrev_b16 v6, 8, v7
	v_or_b32_e32 v3, v3, v6
	s_delay_alu instid0(VALU_DEP_1)
	v_and_b32_e32 v3, 0xffff, v3
.LBB180_33:
	s_or_b32 exec_lo, exec_lo, s6
	s_wait_loadcnt 0x0
	v_or_b32_e32 v6, 0x200, v0
	s_mov_b32 s6, exec_lo
	s_delay_alu instid0(VALU_DEP_1)
	v_cmpx_gt_i32_e64 s2, v6
	s_cbranch_execz .LBB180_46
; %bb.34:
	s_cmp_lt_i32 s9, 1
	s_mov_b32 s7, 0
	s_cbranch_scc1 .LBB180_38
; %bb.35:
	s_cmp_eq_u32 s9, 1
	s_cbranch_scc0 .LBB180_39
; %bb.36:
	v_bfe_i32 v6, v5, 0, 8
	s_bfe_i32 s8, s10, 0x80000
	s_delay_alu instid0(VALU_DEP_1) | instid1(SALU_CYCLE_1)
	v_min_i16 v6, v6, s8
	s_mov_b32 s8, 0
	s_branch .LBB180_40
.LBB180_37:
	s_bfe_i32 s7, s10, 0x80000
	s_delay_alu instid0(VALU_DEP_1) | instid1(SALU_CYCLE_1)
	v_max_i16 v7, v6, s7
	s_bfe_i32 s7, s3, 0x80000
	s_delay_alu instid0(VALU_DEP_1) | instid1(SALU_CYCLE_1)
	v_min_i16 v7, v7, s7
	s_cbranch_execz .LBB180_31
	s_branch .LBB180_32
.LBB180_38:
	s_mov_b32 s8, 0
                                        ; implicit-def: $vgpr6
	s_cbranch_execnz .LBB180_41
	s_branch .LBB180_42
.LBB180_39:
	s_mov_b32 s8, -1
                                        ; implicit-def: $vgpr6
.LBB180_40:
	s_branch .LBB180_42
.LBB180_41:
	s_cmp_lg_u32 s9, 0
	s_mov_b32 s7, -1
	s_cselect_b32 s8, -1, 0
.LBB180_42:
	v_bfe_i32 v5, v5, 0, 8
	s_and_not1_b32 vcc_lo, exec_lo, s8
	s_cbranch_vccz .LBB180_50
; %bb.43:
	s_and_not1_b32 vcc_lo, exec_lo, s7
	s_cbranch_vccnz .LBB180_45
.LBB180_44:
	s_bfe_i32 s7, s10, 0x80000
	s_delay_alu instid0(SALU_CYCLE_1)
	v_max_i16 v6, v5, s7
.LBB180_45:
	s_delay_alu instid0(VALU_DEP_1) | instskip(NEXT) | instid1(VALU_DEP_1)
	v_and_b32_e32 v5, 0xff, v6
	v_lshlrev_b32_e32 v5, 16, v5
	s_delay_alu instid0(VALU_DEP_1)
	v_or_b32_e32 v3, v3, v5
.LBB180_46:
	s_or_b32 exec_lo, exec_lo, s6
	v_or_b32_e32 v5, 0x300, v0
	s_mov_b32 s6, exec_lo
	s_delay_alu instid0(VALU_DEP_1)
	v_cmpx_gt_i32_e64 s2, v5
	s_cbranch_execz .LBB180_59
; %bb.47:
	s_cmp_lt_i32 s9, 1
	s_mov_b32 s7, 0
	s_cbranch_scc1 .LBB180_51
; %bb.48:
	s_cmp_eq_u32 s9, 1
	s_cbranch_scc0 .LBB180_52
; %bb.49:
	v_bfe_i32 v5, v4, 0, 8
	s_bfe_i32 s8, s10, 0x80000
	s_delay_alu instid0(VALU_DEP_1) | instid1(SALU_CYCLE_1)
	v_min_i16 v5, v5, s8
	s_mov_b32 s8, 0
	s_branch .LBB180_53
.LBB180_50:
	s_bfe_i32 s7, s10, 0x80000
	s_delay_alu instid0(VALU_DEP_1) | instid1(SALU_CYCLE_1)
	v_max_i16 v6, v5, s7
	s_bfe_i32 s7, s3, 0x80000
	s_delay_alu instid0(VALU_DEP_1) | instid1(SALU_CYCLE_1)
	v_min_i16 v6, v6, s7
	s_cbranch_execz .LBB180_44
	s_branch .LBB180_45
.LBB180_51:
	s_mov_b32 s8, 0
                                        ; implicit-def: $vgpr5
	s_cbranch_execnz .LBB180_54
	s_branch .LBB180_55
.LBB180_52:
	s_mov_b32 s8, -1
                                        ; implicit-def: $vgpr5
.LBB180_53:
	s_branch .LBB180_55
.LBB180_54:
	s_cmp_lg_u32 s9, 0
	s_mov_b32 s7, -1
	s_cselect_b32 s8, -1, 0
.LBB180_55:
	v_bfe_i32 v4, v4, 0, 8
	s_and_not1_b32 vcc_lo, exec_lo, s8
	s_cbranch_vccz .LBB180_68
; %bb.56:
	s_and_not1_b32 vcc_lo, exec_lo, s7
	s_cbranch_vccnz .LBB180_58
.LBB180_57:
	s_bfe_i32 s3, s10, 0x80000
	s_delay_alu instid0(SALU_CYCLE_1)
	v_max_i16 v5, v4, s3
.LBB180_58:
	v_lshrrev_b32_e32 v4, 16, v3
	s_delay_alu instid0(VALU_DEP_2) | instskip(NEXT) | instid1(VALU_DEP_1)
	v_lshlrev_b16 v5, 8, v5
	v_or_b32_e32 v4, v4, v5
	s_delay_alu instid0(VALU_DEP_1) | instskip(NEXT) | instid1(VALU_DEP_1)
	v_lshlrev_b32_e32 v4, 16, v4
	v_and_or_b32 v3, 0xffff, v3, v4
.LBB180_59:
	s_or_b32 exec_lo, exec_lo, s6
	s_and_saveexec_b32 s3, s0
	s_delay_alu instid0(SALU_CYCLE_1)
	s_xor_b32 s0, exec_lo, s3
	s_cbranch_execz .LBB180_61
; %bb.60:
	v_mov_b32_e32 v0, v1
	global_store_b8 v2, v3, s[4:5]
.LBB180_61:
	s_wait_xcnt 0x0
	s_or_b32 exec_lo, exec_lo, s0
	s_delay_alu instid0(SALU_CYCLE_1)
	s_mov_b32 s0, exec_lo
	v_cmpx_gt_i32_e64 s2, v0
	s_cbranch_execnz .LBB180_65
; %bb.62:
	s_or_b32 exec_lo, exec_lo, s0
	s_delay_alu instid0(SALU_CYCLE_1)
	s_mov_b32 s0, exec_lo
	v_cmpx_gt_i32_e64 s2, v0
	s_cbranch_execnz .LBB180_66
.LBB180_63:
	s_or_b32 exec_lo, exec_lo, s0
	s_delay_alu instid0(SALU_CYCLE_1)
	s_mov_b32 s0, exec_lo
	v_cmpx_gt_i32_e64 s2, v0
	s_cbranch_execnz .LBB180_67
.LBB180_64:
	s_endpgm
.LBB180_65:
	v_add_nc_u32_e32 v1, 0x100, v0
	v_dual_add_nc_u32 v2, s1, v0 :: v_dual_lshrrev_b32 v4, 8, v3
	s_delay_alu instid0(VALU_DEP_2) | instskip(SKIP_3) | instid1(SALU_CYCLE_1)
	v_mov_b32_e32 v0, v1
	global_store_b8 v2, v4, s[4:5]
	s_wait_xcnt 0x0
	s_or_b32 exec_lo, exec_lo, s0
	s_mov_b32 s0, exec_lo
	v_cmpx_gt_i32_e64 s2, v0
	s_cbranch_execz .LBB180_63
.LBB180_66:
	v_add_nc_u32_e32 v1, 0x100, v0
	s_delay_alu instid0(VALU_DEP_1) | instskip(SKIP_3) | instid1(SALU_CYCLE_1)
	v_dual_add_nc_u32 v2, s1, v0 :: v_dual_mov_b32 v0, v1
	global_store_d16_hi_b8 v2, v3, s[4:5]
	s_wait_xcnt 0x0
	s_or_b32 exec_lo, exec_lo, s0
	s_mov_b32 s0, exec_lo
	v_cmpx_gt_i32_e64 s2, v0
	s_cbranch_execz .LBB180_64
.LBB180_67:
	v_dual_add_nc_u32 v0, s1, v0 :: v_dual_lshrrev_b32 v1, 24, v3
	global_store_b8 v0, v1, s[4:5]
	s_endpgm
.LBB180_68:
	s_bfe_i32 s7, s10, 0x80000
	s_bfe_i32 s3, s3, 0x80000
	v_max_i16 v5, v4, s7
	s_delay_alu instid0(VALU_DEP_1)
	v_min_i16 v5, v5, s3
	s_cbranch_execz .LBB180_57
	s_branch .LBB180_58
	.section	.rodata,"a",@progbits
	.p2align	6, 0x0
	.amdhsa_kernel _ZN2at6native27unrolled_elementwise_kernelIZZZNS0_12_GLOBAL__N_119launch_clamp_scalarERNS_18TensorIteratorBaseEN3c106ScalarES6_NS0_6detail11ClampLimitsEENKUlvE_clEvENKUlvE0_clEvEUlaE_St5arrayIPcLm2EELi4E23TrivialOffsetCalculatorILi1EjESG_NS0_6memory15LoadWithoutCastENSH_16StoreWithoutCastEEEviT_T0_T2_T3_T4_T5_
		.amdhsa_group_segment_fixed_size 0
		.amdhsa_private_segment_fixed_size 0
		.amdhsa_kernarg_size 36
		.amdhsa_user_sgpr_count 2
		.amdhsa_user_sgpr_dispatch_ptr 0
		.amdhsa_user_sgpr_queue_ptr 0
		.amdhsa_user_sgpr_kernarg_segment_ptr 1
		.amdhsa_user_sgpr_dispatch_id 0
		.amdhsa_user_sgpr_kernarg_preload_length 0
		.amdhsa_user_sgpr_kernarg_preload_offset 0
		.amdhsa_user_sgpr_private_segment_size 0
		.amdhsa_wavefront_size32 1
		.amdhsa_uses_dynamic_stack 0
		.amdhsa_enable_private_segment 0
		.amdhsa_system_sgpr_workgroup_id_x 1
		.amdhsa_system_sgpr_workgroup_id_y 0
		.amdhsa_system_sgpr_workgroup_id_z 0
		.amdhsa_system_sgpr_workgroup_info 0
		.amdhsa_system_vgpr_workitem_id 0
		.amdhsa_next_free_vgpr 9
		.amdhsa_next_free_sgpr 13
		.amdhsa_named_barrier_count 0
		.amdhsa_reserve_vcc 1
		.amdhsa_float_round_mode_32 0
		.amdhsa_float_round_mode_16_64 0
		.amdhsa_float_denorm_mode_32 3
		.amdhsa_float_denorm_mode_16_64 3
		.amdhsa_fp16_overflow 0
		.amdhsa_memory_ordered 1
		.amdhsa_forward_progress 1
		.amdhsa_inst_pref_size 13
		.amdhsa_round_robin_scheduling 0
		.amdhsa_exception_fp_ieee_invalid_op 0
		.amdhsa_exception_fp_denorm_src 0
		.amdhsa_exception_fp_ieee_div_zero 0
		.amdhsa_exception_fp_ieee_overflow 0
		.amdhsa_exception_fp_ieee_underflow 0
		.amdhsa_exception_fp_ieee_inexact 0
		.amdhsa_exception_int_div_zero 0
	.end_amdhsa_kernel
	.section	.text._ZN2at6native27unrolled_elementwise_kernelIZZZNS0_12_GLOBAL__N_119launch_clamp_scalarERNS_18TensorIteratorBaseEN3c106ScalarES6_NS0_6detail11ClampLimitsEENKUlvE_clEvENKUlvE0_clEvEUlaE_St5arrayIPcLm2EELi4E23TrivialOffsetCalculatorILi1EjESG_NS0_6memory15LoadWithoutCastENSH_16StoreWithoutCastEEEviT_T0_T2_T3_T4_T5_,"axG",@progbits,_ZN2at6native27unrolled_elementwise_kernelIZZZNS0_12_GLOBAL__N_119launch_clamp_scalarERNS_18TensorIteratorBaseEN3c106ScalarES6_NS0_6detail11ClampLimitsEENKUlvE_clEvENKUlvE0_clEvEUlaE_St5arrayIPcLm2EELi4E23TrivialOffsetCalculatorILi1EjESG_NS0_6memory15LoadWithoutCastENSH_16StoreWithoutCastEEEviT_T0_T2_T3_T4_T5_,comdat
.Lfunc_end180:
	.size	_ZN2at6native27unrolled_elementwise_kernelIZZZNS0_12_GLOBAL__N_119launch_clamp_scalarERNS_18TensorIteratorBaseEN3c106ScalarES6_NS0_6detail11ClampLimitsEENKUlvE_clEvENKUlvE0_clEvEUlaE_St5arrayIPcLm2EELi4E23TrivialOffsetCalculatorILi1EjESG_NS0_6memory15LoadWithoutCastENSH_16StoreWithoutCastEEEviT_T0_T2_T3_T4_T5_, .Lfunc_end180-_ZN2at6native27unrolled_elementwise_kernelIZZZNS0_12_GLOBAL__N_119launch_clamp_scalarERNS_18TensorIteratorBaseEN3c106ScalarES6_NS0_6detail11ClampLimitsEENKUlvE_clEvENKUlvE0_clEvEUlaE_St5arrayIPcLm2EELi4E23TrivialOffsetCalculatorILi1EjESG_NS0_6memory15LoadWithoutCastENSH_16StoreWithoutCastEEEviT_T0_T2_T3_T4_T5_
                                        ; -- End function
	.set _ZN2at6native27unrolled_elementwise_kernelIZZZNS0_12_GLOBAL__N_119launch_clamp_scalarERNS_18TensorIteratorBaseEN3c106ScalarES6_NS0_6detail11ClampLimitsEENKUlvE_clEvENKUlvE0_clEvEUlaE_St5arrayIPcLm2EELi4E23TrivialOffsetCalculatorILi1EjESG_NS0_6memory15LoadWithoutCastENSH_16StoreWithoutCastEEEviT_T0_T2_T3_T4_T5_.num_vgpr, 9
	.set _ZN2at6native27unrolled_elementwise_kernelIZZZNS0_12_GLOBAL__N_119launch_clamp_scalarERNS_18TensorIteratorBaseEN3c106ScalarES6_NS0_6detail11ClampLimitsEENKUlvE_clEvENKUlvE0_clEvEUlaE_St5arrayIPcLm2EELi4E23TrivialOffsetCalculatorILi1EjESG_NS0_6memory15LoadWithoutCastENSH_16StoreWithoutCastEEEviT_T0_T2_T3_T4_T5_.num_agpr, 0
	.set _ZN2at6native27unrolled_elementwise_kernelIZZZNS0_12_GLOBAL__N_119launch_clamp_scalarERNS_18TensorIteratorBaseEN3c106ScalarES6_NS0_6detail11ClampLimitsEENKUlvE_clEvENKUlvE0_clEvEUlaE_St5arrayIPcLm2EELi4E23TrivialOffsetCalculatorILi1EjESG_NS0_6memory15LoadWithoutCastENSH_16StoreWithoutCastEEEviT_T0_T2_T3_T4_T5_.numbered_sgpr, 13
	.set _ZN2at6native27unrolled_elementwise_kernelIZZZNS0_12_GLOBAL__N_119launch_clamp_scalarERNS_18TensorIteratorBaseEN3c106ScalarES6_NS0_6detail11ClampLimitsEENKUlvE_clEvENKUlvE0_clEvEUlaE_St5arrayIPcLm2EELi4E23TrivialOffsetCalculatorILi1EjESG_NS0_6memory15LoadWithoutCastENSH_16StoreWithoutCastEEEviT_T0_T2_T3_T4_T5_.num_named_barrier, 0
	.set _ZN2at6native27unrolled_elementwise_kernelIZZZNS0_12_GLOBAL__N_119launch_clamp_scalarERNS_18TensorIteratorBaseEN3c106ScalarES6_NS0_6detail11ClampLimitsEENKUlvE_clEvENKUlvE0_clEvEUlaE_St5arrayIPcLm2EELi4E23TrivialOffsetCalculatorILi1EjESG_NS0_6memory15LoadWithoutCastENSH_16StoreWithoutCastEEEviT_T0_T2_T3_T4_T5_.private_seg_size, 0
	.set _ZN2at6native27unrolled_elementwise_kernelIZZZNS0_12_GLOBAL__N_119launch_clamp_scalarERNS_18TensorIteratorBaseEN3c106ScalarES6_NS0_6detail11ClampLimitsEENKUlvE_clEvENKUlvE0_clEvEUlaE_St5arrayIPcLm2EELi4E23TrivialOffsetCalculatorILi1EjESG_NS0_6memory15LoadWithoutCastENSH_16StoreWithoutCastEEEviT_T0_T2_T3_T4_T5_.uses_vcc, 1
	.set _ZN2at6native27unrolled_elementwise_kernelIZZZNS0_12_GLOBAL__N_119launch_clamp_scalarERNS_18TensorIteratorBaseEN3c106ScalarES6_NS0_6detail11ClampLimitsEENKUlvE_clEvENKUlvE0_clEvEUlaE_St5arrayIPcLm2EELi4E23TrivialOffsetCalculatorILi1EjESG_NS0_6memory15LoadWithoutCastENSH_16StoreWithoutCastEEEviT_T0_T2_T3_T4_T5_.uses_flat_scratch, 0
	.set _ZN2at6native27unrolled_elementwise_kernelIZZZNS0_12_GLOBAL__N_119launch_clamp_scalarERNS_18TensorIteratorBaseEN3c106ScalarES6_NS0_6detail11ClampLimitsEENKUlvE_clEvENKUlvE0_clEvEUlaE_St5arrayIPcLm2EELi4E23TrivialOffsetCalculatorILi1EjESG_NS0_6memory15LoadWithoutCastENSH_16StoreWithoutCastEEEviT_T0_T2_T3_T4_T5_.has_dyn_sized_stack, 0
	.set _ZN2at6native27unrolled_elementwise_kernelIZZZNS0_12_GLOBAL__N_119launch_clamp_scalarERNS_18TensorIteratorBaseEN3c106ScalarES6_NS0_6detail11ClampLimitsEENKUlvE_clEvENKUlvE0_clEvEUlaE_St5arrayIPcLm2EELi4E23TrivialOffsetCalculatorILi1EjESG_NS0_6memory15LoadWithoutCastENSH_16StoreWithoutCastEEEviT_T0_T2_T3_T4_T5_.has_recursion, 0
	.set _ZN2at6native27unrolled_elementwise_kernelIZZZNS0_12_GLOBAL__N_119launch_clamp_scalarERNS_18TensorIteratorBaseEN3c106ScalarES6_NS0_6detail11ClampLimitsEENKUlvE_clEvENKUlvE0_clEvEUlaE_St5arrayIPcLm2EELi4E23TrivialOffsetCalculatorILi1EjESG_NS0_6memory15LoadWithoutCastENSH_16StoreWithoutCastEEEviT_T0_T2_T3_T4_T5_.has_indirect_call, 0
	.section	.AMDGPU.csdata,"",@progbits
; Kernel info:
; codeLenInByte = 1584
; TotalNumSgprs: 15
; NumVgprs: 9
; ScratchSize: 0
; MemoryBound: 0
; FloatMode: 240
; IeeeMode: 1
; LDSByteSize: 0 bytes/workgroup (compile time only)
; SGPRBlocks: 0
; VGPRBlocks: 0
; NumSGPRsForWavesPerEU: 15
; NumVGPRsForWavesPerEU: 9
; NamedBarCnt: 0
; Occupancy: 16
; WaveLimiterHint : 0
; COMPUTE_PGM_RSRC2:SCRATCH_EN: 0
; COMPUTE_PGM_RSRC2:USER_SGPR: 2
; COMPUTE_PGM_RSRC2:TRAP_HANDLER: 0
; COMPUTE_PGM_RSRC2:TGID_X_EN: 1
; COMPUTE_PGM_RSRC2:TGID_Y_EN: 0
; COMPUTE_PGM_RSRC2:TGID_Z_EN: 0
; COMPUTE_PGM_RSRC2:TIDIG_COMP_CNT: 0
	.section	.text._ZN2at6native32elementwise_kernel_manual_unrollILi128ELi8EZNS0_22gpu_kernel_impl_nocastIZZZNS0_12_GLOBAL__N_119launch_clamp_scalarERNS_18TensorIteratorBaseEN3c106ScalarES7_NS0_6detail11ClampLimitsEENKUlvE_clEvENKUlvE0_clEvEUlaE_EEvS5_RKT_EUlibE_EEviT1_,"axG",@progbits,_ZN2at6native32elementwise_kernel_manual_unrollILi128ELi8EZNS0_22gpu_kernel_impl_nocastIZZZNS0_12_GLOBAL__N_119launch_clamp_scalarERNS_18TensorIteratorBaseEN3c106ScalarES7_NS0_6detail11ClampLimitsEENKUlvE_clEvENKUlvE0_clEvEUlaE_EEvS5_RKT_EUlibE_EEviT1_,comdat
	.globl	_ZN2at6native32elementwise_kernel_manual_unrollILi128ELi8EZNS0_22gpu_kernel_impl_nocastIZZZNS0_12_GLOBAL__N_119launch_clamp_scalarERNS_18TensorIteratorBaseEN3c106ScalarES7_NS0_6detail11ClampLimitsEENKUlvE_clEvENKUlvE0_clEvEUlaE_EEvS5_RKT_EUlibE_EEviT1_ ; -- Begin function _ZN2at6native32elementwise_kernel_manual_unrollILi128ELi8EZNS0_22gpu_kernel_impl_nocastIZZZNS0_12_GLOBAL__N_119launch_clamp_scalarERNS_18TensorIteratorBaseEN3c106ScalarES7_NS0_6detail11ClampLimitsEENKUlvE_clEvENKUlvE0_clEvEUlaE_EEvS5_RKT_EUlibE_EEviT1_
	.p2align	8
	.type	_ZN2at6native32elementwise_kernel_manual_unrollILi128ELi8EZNS0_22gpu_kernel_impl_nocastIZZZNS0_12_GLOBAL__N_119launch_clamp_scalarERNS_18TensorIteratorBaseEN3c106ScalarES7_NS0_6detail11ClampLimitsEENKUlvE_clEvENKUlvE0_clEvEUlaE_EEvS5_RKT_EUlibE_EEviT1_,@function
_ZN2at6native32elementwise_kernel_manual_unrollILi128ELi8EZNS0_22gpu_kernel_impl_nocastIZZZNS0_12_GLOBAL__N_119launch_clamp_scalarERNS_18TensorIteratorBaseEN3c106ScalarES7_NS0_6detail11ClampLimitsEENKUlvE_clEvENKUlvE0_clEvEUlaE_EEvS5_RKT_EUlibE_EEviT1_: ; @_ZN2at6native32elementwise_kernel_manual_unrollILi128ELi8EZNS0_22gpu_kernel_impl_nocastIZZZNS0_12_GLOBAL__N_119launch_clamp_scalarERNS_18TensorIteratorBaseEN3c106ScalarES7_NS0_6detail11ClampLimitsEENKUlvE_clEvENKUlvE0_clEvEUlaE_EEvS5_RKT_EUlibE_EEviT1_
; %bb.0:
	s_clause 0x1
	s_load_b32 s30, s[0:1], 0x8
	s_load_b32 s36, s[0:1], 0x0
	s_bfe_u32 s2, ttmp6, 0x4000c
	s_and_b32 s3, ttmp6, 15
	s_add_co_i32 s2, s2, 1
	s_getreg_b32 s4, hwreg(HW_REG_IB_STS2, 6, 4)
	s_mul_i32 s2, ttmp9, s2
	s_add_nc_u64 s[12:13], s[0:1], 8
	s_add_co_i32 s3, s3, s2
	s_cmp_eq_u32 s4, 0
	s_mov_b32 s19, 0
	s_cselect_b32 s2, ttmp9, s3
	s_wait_xcnt 0x0
	s_mov_b32 s0, exec_lo
	v_lshl_or_b32 v0, s2, 10, v0
	s_delay_alu instid0(VALU_DEP_1) | instskip(SKIP_2) | instid1(SALU_CYCLE_1)
	v_or_b32_e32 v16, 0x380, v0
	s_wait_kmcnt 0x0
	s_add_co_i32 s31, s30, -1
	s_cmp_gt_u32 s31, 1
	s_cselect_b32 s33, -1, 0
	v_cmpx_le_i32_e64 s36, v16
	s_xor_b32 s34, exec_lo, s0
	s_cbranch_execz .LBB181_217
; %bb.1:
	s_clause 0x4
	s_load_b128 s[4:7], s[12:13], 0x4
	s_load_b64 s[16:17], s[12:13], 0x14
	s_load_b64 s[14:15], s[12:13], 0x158
	s_load_b128 s[8:11], s[12:13], 0xc4
	s_load_b128 s[0:3], s[12:13], 0x148
	s_cmp_lg_u32 s30, 0
	s_add_nc_u64 s[22:23], s[12:13], 0xc4
	s_cselect_b32 s38, -1, 0
	s_min_u32 s37, s31, 15
	s_cmp_gt_u32 s30, 1
	s_mov_b32 s21, s19
	s_cselect_b32 s35, -1, 0
	s_wait_kmcnt 0x0
	s_mov_b32 s18, s5
	s_mov_b32 s20, s16
	s_bfe_u32 s5, s15, 0x80008
	s_mov_b32 s16, exec_lo
	v_cmpx_gt_i32_e64 s36, v0
	s_cbranch_execnz .LBB181_9
; %bb.2:
	s_or_b32 exec_lo, exec_lo, s16
	s_delay_alu instid0(SALU_CYCLE_1)
	s_mov_b32 s16, exec_lo
	v_cmpx_gt_i32_e64 s36, v0
	s_cbranch_execnz .LBB181_34
.LBB181_3:
	s_or_b32 exec_lo, exec_lo, s16
	s_delay_alu instid0(SALU_CYCLE_1)
	s_mov_b32 s16, exec_lo
	v_cmpx_gt_i32_e64 s36, v0
	s_cbranch_execnz .LBB181_60
.LBB181_4:
	s_or_b32 exec_lo, exec_lo, s16
	s_delay_alu instid0(SALU_CYCLE_1)
	s_mov_b32 s16, exec_lo
	v_cmpx_gt_i32_e64 s36, v0
	s_cbranch_execnz .LBB181_86
.LBB181_5:
	s_or_b32 exec_lo, exec_lo, s16
	s_delay_alu instid0(SALU_CYCLE_1)
	s_mov_b32 s16, exec_lo
	v_cmpx_gt_i32_e64 s36, v0
	s_cbranch_execnz .LBB181_112
.LBB181_6:
	s_or_b32 exec_lo, exec_lo, s16
	s_delay_alu instid0(SALU_CYCLE_1)
	s_mov_b32 s16, exec_lo
	v_cmpx_gt_i32_e64 s36, v0
	s_cbranch_execnz .LBB181_138
.LBB181_7:
	s_or_b32 exec_lo, exec_lo, s16
	s_delay_alu instid0(SALU_CYCLE_1)
	s_mov_b32 s16, exec_lo
	v_cmpx_gt_i32_e64 s36, v0
	s_cbranch_execnz .LBB181_164
.LBB181_8:
	s_or_b32 exec_lo, exec_lo, s16
	s_delay_alu instid0(SALU_CYCLE_1)
	s_mov_b32 s16, exec_lo
	v_cmpx_gt_i32_e64 s36, v0
	s_cbranch_execnz .LBB181_190
	s_branch .LBB181_216
.LBB181_9:
	s_and_not1_b32 vcc_lo, exec_lo, s33
	s_cbranch_vccnz .LBB181_14
; %bb.10:
	s_and_not1_b32 vcc_lo, exec_lo, s38
	s_cbranch_vccnz .LBB181_15
; %bb.11:
	s_add_co_i32 s25, s37, 1
	s_cmp_eq_u32 s31, 2
	s_cbranch_scc1 .LBB181_16
; %bb.12:
	v_dual_mov_b32 v2, 0 :: v_dual_mov_b32 v3, 0
	v_mov_b32_e32 v1, v0
	s_and_b32 s24, s25, 28
	s_mov_b32 s39, 0
	s_mov_b64 s[26:27], s[12:13]
	s_mov_b64 s[28:29], s[22:23]
.LBB181_13:                             ; =>This Inner Loop Header: Depth=1
	s_clause 0x1
	s_load_b256 s[40:47], s[26:27], 0x4
	s_load_b128 s[56:59], s[26:27], 0x24
	s_load_b256 s[48:55], s[28:29], 0x0
	s_add_co_i32 s39, s39, 4
	s_wait_xcnt 0x0
	s_add_nc_u64 s[26:27], s[26:27], 48
	s_cmp_lg_u32 s24, s39
	s_add_nc_u64 s[28:29], s[28:29], 32
	s_wait_kmcnt 0x0
	v_mul_hi_u32 v4, s41, v1
	s_delay_alu instid0(VALU_DEP_1) | instskip(NEXT) | instid1(VALU_DEP_1)
	v_add_nc_u32_e32 v4, v1, v4
	v_lshrrev_b32_e32 v4, s42, v4
	s_delay_alu instid0(VALU_DEP_1) | instskip(NEXT) | instid1(VALU_DEP_1)
	v_mul_hi_u32 v5, s44, v4
	v_add_nc_u32_e32 v5, v4, v5
	s_delay_alu instid0(VALU_DEP_1) | instskip(NEXT) | instid1(VALU_DEP_1)
	v_lshrrev_b32_e32 v5, s45, v5
	v_mul_hi_u32 v6, s47, v5
	s_delay_alu instid0(VALU_DEP_1) | instskip(SKIP_1) | instid1(VALU_DEP_1)
	v_add_nc_u32_e32 v6, v5, v6
	v_mul_lo_u32 v7, v4, s40
	v_sub_nc_u32_e32 v1, v1, v7
	v_mul_lo_u32 v7, v5, s43
	s_delay_alu instid0(VALU_DEP_4) | instskip(NEXT) | instid1(VALU_DEP_3)
	v_lshrrev_b32_e32 v6, s56, v6
	v_mad_u32 v3, v1, s49, v3
	v_mad_u32 v1, v1, s48, v2
	s_delay_alu instid0(VALU_DEP_4) | instskip(NEXT) | instid1(VALU_DEP_4)
	v_sub_nc_u32_e32 v2, v4, v7
	v_mul_hi_u32 v8, s58, v6
	v_mul_lo_u32 v4, v6, s46
	s_delay_alu instid0(VALU_DEP_3) | instskip(SKIP_1) | instid1(VALU_DEP_4)
	v_mad_u32 v3, v2, s51, v3
	v_mad_u32 v2, v2, s50, v1
	v_add_nc_u32_e32 v7, v6, v8
	s_delay_alu instid0(VALU_DEP_1) | instskip(NEXT) | instid1(VALU_DEP_1)
	v_dual_sub_nc_u32 v4, v5, v4 :: v_dual_lshrrev_b32 v1, s59, v7
	v_mad_u32 v3, v4, s53, v3
	s_delay_alu instid0(VALU_DEP_4) | instskip(NEXT) | instid1(VALU_DEP_3)
	v_mad_u32 v2, v4, s52, v2
	v_mul_lo_u32 v5, v1, s57
	s_delay_alu instid0(VALU_DEP_1) | instskip(NEXT) | instid1(VALU_DEP_1)
	v_sub_nc_u32_e32 v4, v6, v5
	v_mad_u32 v3, v4, s55, v3
	s_delay_alu instid0(VALU_DEP_4)
	v_mad_u32 v2, v4, s54, v2
	s_cbranch_scc1 .LBB181_13
	s_branch .LBB181_17
.LBB181_14:
                                        ; implicit-def: $vgpr3
	s_branch .LBB181_21
.LBB181_15:
	v_dual_mov_b32 v3, 0 :: v_dual_mov_b32 v2, 0
	s_branch .LBB181_20
.LBB181_16:
	v_mov_b64_e32 v[2:3], 0
	v_mov_b32_e32 v1, v0
	s_mov_b32 s24, 0
.LBB181_17:
	s_and_b32 s28, s25, 3
	s_mov_b32 s25, 0
	s_cmp_eq_u32 s28, 0
	s_cbranch_scc1 .LBB181_20
; %bb.18:
	s_lshl_b32 s26, s24, 3
	s_mov_b32 s27, s25
	s_mul_u64 s[40:41], s[24:25], 12
	s_add_nc_u64 s[26:27], s[12:13], s[26:27]
	s_delay_alu instid0(SALU_CYCLE_1)
	s_add_nc_u64 s[24:25], s[26:27], 0xc4
	s_add_nc_u64 s[26:27], s[12:13], s[40:41]
.LBB181_19:                             ; =>This Inner Loop Header: Depth=1
	s_load_b96 s[40:42], s[26:27], 0x4
	s_add_co_i32 s28, s28, -1
	s_wait_xcnt 0x0
	s_add_nc_u64 s[26:27], s[26:27], 12
	s_cmp_lg_u32 s28, 0
	s_wait_kmcnt 0x0
	v_mul_hi_u32 v4, s41, v1
	s_delay_alu instid0(VALU_DEP_1) | instskip(NEXT) | instid1(VALU_DEP_1)
	v_add_nc_u32_e32 v4, v1, v4
	v_lshrrev_b32_e32 v4, s42, v4
	s_load_b64 s[42:43], s[24:25], 0x0
	s_wait_xcnt 0x0
	s_add_nc_u64 s[24:25], s[24:25], 8
	s_delay_alu instid0(VALU_DEP_1) | instskip(NEXT) | instid1(VALU_DEP_1)
	v_mul_lo_u32 v5, v4, s40
	v_sub_nc_u32_e32 v1, v1, v5
	s_wait_kmcnt 0x0
	s_delay_alu instid0(VALU_DEP_1)
	v_mad_u32 v3, v1, s43, v3
	v_mad_u32 v2, v1, s42, v2
	v_mov_b32_e32 v1, v4
	s_cbranch_scc1 .LBB181_19
.LBB181_20:
	s_cbranch_execnz .LBB181_23
.LBB181_21:
	v_mov_b32_e32 v1, 0
	s_and_not1_b32 vcc_lo, exec_lo, s35
	s_delay_alu instid0(VALU_DEP_1) | instskip(NEXT) | instid1(VALU_DEP_1)
	v_mul_u64_e32 v[2:3], s[18:19], v[0:1]
	v_add_nc_u32_e32 v2, v0, v3
	s_delay_alu instid0(VALU_DEP_1) | instskip(NEXT) | instid1(VALU_DEP_1)
	v_lshrrev_b32_e32 v4, s6, v2
	v_mul_lo_u32 v2, v4, s4
	s_delay_alu instid0(VALU_DEP_1) | instskip(NEXT) | instid1(VALU_DEP_1)
	v_sub_nc_u32_e32 v2, v0, v2
	v_mul_lo_u32 v3, v2, s9
	v_mul_lo_u32 v2, v2, s8
	s_cbranch_vccnz .LBB181_23
; %bb.22:
	v_mov_b32_e32 v5, v1
	s_delay_alu instid0(VALU_DEP_1) | instskip(NEXT) | instid1(VALU_DEP_1)
	v_mul_u64_e32 v[6:7], s[20:21], v[4:5]
	v_add_nc_u32_e32 v1, v4, v7
	s_delay_alu instid0(VALU_DEP_1) | instskip(NEXT) | instid1(VALU_DEP_1)
	v_lshrrev_b32_e32 v1, s17, v1
	v_mul_lo_u32 v1, v1, s7
	s_delay_alu instid0(VALU_DEP_1) | instskip(NEXT) | instid1(VALU_DEP_1)
	v_sub_nc_u32_e32 v1, v4, v1
	v_mad_u32 v2, v1, s10, v2
	v_mad_u32 v3, v1, s11, v3
.LBB181_23:
	global_load_u8 v3, v3, s[2:3]
	s_cmp_lt_i32 s14, 1
	s_mov_b32 s24, 0
	s_cbranch_scc1 .LBB181_26
; %bb.24:
	s_cmp_eq_u32 s14, 1
	s_cbranch_scc0 .LBB181_27
; %bb.25:
	s_wait_loadcnt 0x0
	v_bfe_i32 v1, v3, 0, 8
	s_bfe_i32 s25, s15, 0x80000
	s_delay_alu instid0(VALU_DEP_1) | instid1(SALU_CYCLE_1)
	v_min_i16 v1, v1, s25
	s_mov_b32 s25, 0
	s_branch .LBB181_28
.LBB181_26:
	s_mov_b32 s25, 0
                                        ; implicit-def: $vgpr1
	s_cbranch_execnz .LBB181_29
	s_branch .LBB181_30
.LBB181_27:
	s_mov_b32 s25, -1
                                        ; implicit-def: $vgpr1
.LBB181_28:
	s_branch .LBB181_30
.LBB181_29:
	s_cmp_lg_u32 s14, 0
	s_mov_b32 s24, -1
	s_cselect_b32 s25, -1, 0
.LBB181_30:
	s_wait_loadcnt 0x0
	v_bfe_i32 v3, v3, 0, 8
	s_and_not1_b32 vcc_lo, exec_lo, s25
	s_cbranch_vccz .LBB181_39
; %bb.31:
	s_and_not1_b32 vcc_lo, exec_lo, s24
	s_cbranch_vccnz .LBB181_33
.LBB181_32:
	s_bfe_i32 s24, s15, 0x80000
	s_delay_alu instid0(SALU_CYCLE_1)
	v_max_i16 v1, v3, s24
.LBB181_33:
	v_add_nc_u32_e32 v0, 0x80, v0
	global_store_b8 v2, v1, s[0:1]
	s_wait_xcnt 0x0
	s_or_b32 exec_lo, exec_lo, s16
	s_delay_alu instid0(SALU_CYCLE_1)
	s_mov_b32 s16, exec_lo
	v_cmpx_gt_i32_e64 s36, v0
	s_cbranch_execz .LBB181_3
.LBB181_34:
	s_and_not1_b32 vcc_lo, exec_lo, s33
	s_cbranch_vccnz .LBB181_40
; %bb.35:
	s_and_not1_b32 vcc_lo, exec_lo, s38
	s_cbranch_vccnz .LBB181_41
; %bb.36:
	s_add_co_i32 s25, s37, 1
	s_cmp_eq_u32 s31, 2
	s_cbranch_scc1 .LBB181_42
; %bb.37:
	v_dual_mov_b32 v2, 0 :: v_dual_mov_b32 v3, 0
	v_mov_b32_e32 v1, v0
	s_and_b32 s24, s25, 28
	s_mov_b32 s39, 0
	s_mov_b64 s[26:27], s[12:13]
	s_mov_b64 s[28:29], s[22:23]
.LBB181_38:                             ; =>This Inner Loop Header: Depth=1
	s_clause 0x1
	s_load_b256 s[40:47], s[26:27], 0x4
	s_load_b128 s[56:59], s[26:27], 0x24
	s_load_b256 s[48:55], s[28:29], 0x0
	s_add_co_i32 s39, s39, 4
	s_wait_xcnt 0x0
	s_add_nc_u64 s[26:27], s[26:27], 48
	s_cmp_eq_u32 s24, s39
	s_add_nc_u64 s[28:29], s[28:29], 32
	s_wait_kmcnt 0x0
	v_mul_hi_u32 v4, s41, v1
	s_delay_alu instid0(VALU_DEP_1) | instskip(NEXT) | instid1(VALU_DEP_1)
	v_add_nc_u32_e32 v4, v1, v4
	v_lshrrev_b32_e32 v4, s42, v4
	s_delay_alu instid0(VALU_DEP_1) | instskip(NEXT) | instid1(VALU_DEP_1)
	v_mul_hi_u32 v5, s44, v4
	v_add_nc_u32_e32 v5, v4, v5
	s_delay_alu instid0(VALU_DEP_1) | instskip(NEXT) | instid1(VALU_DEP_1)
	v_lshrrev_b32_e32 v5, s45, v5
	v_mul_hi_u32 v6, s47, v5
	s_delay_alu instid0(VALU_DEP_1) | instskip(SKIP_1) | instid1(VALU_DEP_1)
	v_add_nc_u32_e32 v6, v5, v6
	v_mul_lo_u32 v7, v4, s40
	v_sub_nc_u32_e32 v1, v1, v7
	v_mul_lo_u32 v7, v5, s43
	s_delay_alu instid0(VALU_DEP_4) | instskip(NEXT) | instid1(VALU_DEP_3)
	v_lshrrev_b32_e32 v6, s56, v6
	v_mad_u32 v3, v1, s49, v3
	v_mad_u32 v1, v1, s48, v2
	s_delay_alu instid0(VALU_DEP_4) | instskip(NEXT) | instid1(VALU_DEP_4)
	v_sub_nc_u32_e32 v2, v4, v7
	v_mul_hi_u32 v8, s58, v6
	v_mul_lo_u32 v4, v6, s46
	s_delay_alu instid0(VALU_DEP_3) | instskip(SKIP_1) | instid1(VALU_DEP_4)
	v_mad_u32 v3, v2, s51, v3
	v_mad_u32 v2, v2, s50, v1
	v_add_nc_u32_e32 v7, v6, v8
	s_delay_alu instid0(VALU_DEP_1) | instskip(NEXT) | instid1(VALU_DEP_1)
	v_dual_sub_nc_u32 v4, v5, v4 :: v_dual_lshrrev_b32 v1, s59, v7
	v_mad_u32 v3, v4, s53, v3
	s_delay_alu instid0(VALU_DEP_4) | instskip(NEXT) | instid1(VALU_DEP_3)
	v_mad_u32 v2, v4, s52, v2
	v_mul_lo_u32 v5, v1, s57
	s_delay_alu instid0(VALU_DEP_1) | instskip(NEXT) | instid1(VALU_DEP_1)
	v_sub_nc_u32_e32 v4, v6, v5
	v_mad_u32 v3, v4, s55, v3
	s_delay_alu instid0(VALU_DEP_4)
	v_mad_u32 v2, v4, s54, v2
	s_cbranch_scc0 .LBB181_38
	s_branch .LBB181_43
.LBB181_39:
	s_bfe_i32 s24, s15, 0x80000
	s_delay_alu instid0(VALU_DEP_1) | instid1(SALU_CYCLE_1)
	v_max_i16 v1, v3, s24
	s_bfe_i32 s24, s5, 0x80000
	s_delay_alu instid0(VALU_DEP_1) | instid1(SALU_CYCLE_1)
	v_min_i16 v1, v1, s24
	s_cbranch_execz .LBB181_32
	s_branch .LBB181_33
.LBB181_40:
                                        ; implicit-def: $vgpr3
	s_branch .LBB181_47
.LBB181_41:
	v_dual_mov_b32 v3, 0 :: v_dual_mov_b32 v2, 0
	s_branch .LBB181_46
.LBB181_42:
	v_mov_b64_e32 v[2:3], 0
	v_mov_b32_e32 v1, v0
	s_mov_b32 s24, 0
.LBB181_43:
	s_and_b32 s28, s25, 3
	s_mov_b32 s25, 0
	s_cmp_eq_u32 s28, 0
	s_cbranch_scc1 .LBB181_46
; %bb.44:
	s_lshl_b32 s26, s24, 3
	s_mov_b32 s27, s25
	s_mul_u64 s[40:41], s[24:25], 12
	s_add_nc_u64 s[26:27], s[12:13], s[26:27]
	s_delay_alu instid0(SALU_CYCLE_1)
	s_add_nc_u64 s[24:25], s[26:27], 0xc4
	s_add_nc_u64 s[26:27], s[12:13], s[40:41]
.LBB181_45:                             ; =>This Inner Loop Header: Depth=1
	s_load_b96 s[40:42], s[26:27], 0x4
	s_add_co_i32 s28, s28, -1
	s_wait_xcnt 0x0
	s_add_nc_u64 s[26:27], s[26:27], 12
	s_cmp_lg_u32 s28, 0
	s_wait_kmcnt 0x0
	v_mul_hi_u32 v4, s41, v1
	s_delay_alu instid0(VALU_DEP_1) | instskip(NEXT) | instid1(VALU_DEP_1)
	v_add_nc_u32_e32 v4, v1, v4
	v_lshrrev_b32_e32 v4, s42, v4
	s_load_b64 s[42:43], s[24:25], 0x0
	s_wait_xcnt 0x0
	s_add_nc_u64 s[24:25], s[24:25], 8
	s_delay_alu instid0(VALU_DEP_1) | instskip(NEXT) | instid1(VALU_DEP_1)
	v_mul_lo_u32 v5, v4, s40
	v_sub_nc_u32_e32 v1, v1, v5
	s_wait_kmcnt 0x0
	s_delay_alu instid0(VALU_DEP_1)
	v_mad_u32 v3, v1, s43, v3
	v_mad_u32 v2, v1, s42, v2
	v_mov_b32_e32 v1, v4
	s_cbranch_scc1 .LBB181_45
.LBB181_46:
	s_cbranch_execnz .LBB181_49
.LBB181_47:
	v_mov_b32_e32 v1, 0
	s_and_not1_b32 vcc_lo, exec_lo, s35
	s_delay_alu instid0(VALU_DEP_1) | instskip(NEXT) | instid1(VALU_DEP_1)
	v_mul_u64_e32 v[2:3], s[18:19], v[0:1]
	v_add_nc_u32_e32 v2, v0, v3
	s_delay_alu instid0(VALU_DEP_1) | instskip(NEXT) | instid1(VALU_DEP_1)
	v_lshrrev_b32_e32 v4, s6, v2
	v_mul_lo_u32 v2, v4, s4
	s_delay_alu instid0(VALU_DEP_1) | instskip(NEXT) | instid1(VALU_DEP_1)
	v_sub_nc_u32_e32 v2, v0, v2
	v_mul_lo_u32 v3, v2, s9
	v_mul_lo_u32 v2, v2, s8
	s_cbranch_vccnz .LBB181_49
; %bb.48:
	v_mov_b32_e32 v5, v1
	s_delay_alu instid0(VALU_DEP_1) | instskip(NEXT) | instid1(VALU_DEP_1)
	v_mul_u64_e32 v[6:7], s[20:21], v[4:5]
	v_add_nc_u32_e32 v1, v4, v7
	s_delay_alu instid0(VALU_DEP_1) | instskip(NEXT) | instid1(VALU_DEP_1)
	v_lshrrev_b32_e32 v1, s17, v1
	v_mul_lo_u32 v1, v1, s7
	s_delay_alu instid0(VALU_DEP_1) | instskip(NEXT) | instid1(VALU_DEP_1)
	v_sub_nc_u32_e32 v1, v4, v1
	v_mad_u32 v2, v1, s10, v2
	v_mad_u32 v3, v1, s11, v3
.LBB181_49:
	global_load_u8 v3, v3, s[2:3]
	s_cmp_lt_i32 s14, 1
	s_mov_b32 s24, 0
	s_cbranch_scc1 .LBB181_52
; %bb.50:
	s_cmp_eq_u32 s14, 1
	s_cbranch_scc0 .LBB181_53
; %bb.51:
	s_wait_loadcnt 0x0
	v_bfe_i32 v1, v3, 0, 8
	s_bfe_i32 s25, s15, 0x80000
	s_delay_alu instid0(VALU_DEP_1) | instid1(SALU_CYCLE_1)
	v_min_i16 v1, v1, s25
	s_mov_b32 s25, 0
	s_branch .LBB181_54
.LBB181_52:
	s_mov_b32 s25, 0
                                        ; implicit-def: $vgpr1
	s_cbranch_execnz .LBB181_55
	s_branch .LBB181_56
.LBB181_53:
	s_mov_b32 s25, -1
                                        ; implicit-def: $vgpr1
.LBB181_54:
	s_branch .LBB181_56
.LBB181_55:
	s_cmp_lg_u32 s14, 0
	s_mov_b32 s24, -1
	s_cselect_b32 s25, -1, 0
.LBB181_56:
	s_wait_loadcnt 0x0
	v_bfe_i32 v3, v3, 0, 8
	s_and_not1_b32 vcc_lo, exec_lo, s25
	s_cbranch_vccz .LBB181_65
; %bb.57:
	s_and_not1_b32 vcc_lo, exec_lo, s24
	s_cbranch_vccnz .LBB181_59
.LBB181_58:
	s_bfe_i32 s24, s15, 0x80000
	s_delay_alu instid0(SALU_CYCLE_1)
	v_max_i16 v1, v3, s24
.LBB181_59:
	v_add_nc_u32_e32 v0, 0x80, v0
	global_store_b8 v2, v1, s[0:1]
	s_wait_xcnt 0x0
	s_or_b32 exec_lo, exec_lo, s16
	s_delay_alu instid0(SALU_CYCLE_1)
	s_mov_b32 s16, exec_lo
	v_cmpx_gt_i32_e64 s36, v0
	s_cbranch_execz .LBB181_4
.LBB181_60:
	s_and_not1_b32 vcc_lo, exec_lo, s33
	s_cbranch_vccnz .LBB181_66
; %bb.61:
	s_and_not1_b32 vcc_lo, exec_lo, s38
	s_cbranch_vccnz .LBB181_67
; %bb.62:
	s_add_co_i32 s25, s37, 1
	s_cmp_eq_u32 s31, 2
	s_cbranch_scc1 .LBB181_68
; %bb.63:
	v_dual_mov_b32 v2, 0 :: v_dual_mov_b32 v3, 0
	v_mov_b32_e32 v1, v0
	s_and_b32 s24, s25, 28
	s_mov_b32 s39, 0
	s_mov_b64 s[26:27], s[12:13]
	s_mov_b64 s[28:29], s[22:23]
.LBB181_64:                             ; =>This Inner Loop Header: Depth=1
	s_clause 0x1
	s_load_b256 s[40:47], s[26:27], 0x4
	s_load_b128 s[56:59], s[26:27], 0x24
	s_load_b256 s[48:55], s[28:29], 0x0
	s_add_co_i32 s39, s39, 4
	s_wait_xcnt 0x0
	s_add_nc_u64 s[26:27], s[26:27], 48
	s_cmp_eq_u32 s24, s39
	s_add_nc_u64 s[28:29], s[28:29], 32
	s_wait_kmcnt 0x0
	v_mul_hi_u32 v4, s41, v1
	s_delay_alu instid0(VALU_DEP_1) | instskip(NEXT) | instid1(VALU_DEP_1)
	v_add_nc_u32_e32 v4, v1, v4
	v_lshrrev_b32_e32 v4, s42, v4
	s_delay_alu instid0(VALU_DEP_1) | instskip(NEXT) | instid1(VALU_DEP_1)
	v_mul_hi_u32 v5, s44, v4
	v_add_nc_u32_e32 v5, v4, v5
	s_delay_alu instid0(VALU_DEP_1) | instskip(NEXT) | instid1(VALU_DEP_1)
	v_lshrrev_b32_e32 v5, s45, v5
	v_mul_hi_u32 v6, s47, v5
	s_delay_alu instid0(VALU_DEP_1) | instskip(SKIP_1) | instid1(VALU_DEP_1)
	v_add_nc_u32_e32 v6, v5, v6
	v_mul_lo_u32 v7, v4, s40
	v_sub_nc_u32_e32 v1, v1, v7
	v_mul_lo_u32 v7, v5, s43
	s_delay_alu instid0(VALU_DEP_4) | instskip(NEXT) | instid1(VALU_DEP_3)
	v_lshrrev_b32_e32 v6, s56, v6
	v_mad_u32 v3, v1, s49, v3
	v_mad_u32 v1, v1, s48, v2
	s_delay_alu instid0(VALU_DEP_4) | instskip(NEXT) | instid1(VALU_DEP_4)
	v_sub_nc_u32_e32 v2, v4, v7
	v_mul_hi_u32 v8, s58, v6
	v_mul_lo_u32 v4, v6, s46
	s_delay_alu instid0(VALU_DEP_3) | instskip(SKIP_1) | instid1(VALU_DEP_4)
	v_mad_u32 v3, v2, s51, v3
	v_mad_u32 v2, v2, s50, v1
	v_add_nc_u32_e32 v7, v6, v8
	s_delay_alu instid0(VALU_DEP_1) | instskip(NEXT) | instid1(VALU_DEP_1)
	v_dual_sub_nc_u32 v4, v5, v4 :: v_dual_lshrrev_b32 v1, s59, v7
	v_mad_u32 v3, v4, s53, v3
	s_delay_alu instid0(VALU_DEP_4) | instskip(NEXT) | instid1(VALU_DEP_3)
	v_mad_u32 v2, v4, s52, v2
	v_mul_lo_u32 v5, v1, s57
	s_delay_alu instid0(VALU_DEP_1) | instskip(NEXT) | instid1(VALU_DEP_1)
	v_sub_nc_u32_e32 v4, v6, v5
	v_mad_u32 v3, v4, s55, v3
	s_delay_alu instid0(VALU_DEP_4)
	v_mad_u32 v2, v4, s54, v2
	s_cbranch_scc0 .LBB181_64
	s_branch .LBB181_69
.LBB181_65:
	s_bfe_i32 s24, s15, 0x80000
	s_delay_alu instid0(VALU_DEP_1) | instid1(SALU_CYCLE_1)
	v_max_i16 v1, v3, s24
	s_bfe_i32 s24, s5, 0x80000
	s_delay_alu instid0(VALU_DEP_1) | instid1(SALU_CYCLE_1)
	v_min_i16 v1, v1, s24
	s_cbranch_execz .LBB181_58
	s_branch .LBB181_59
.LBB181_66:
                                        ; implicit-def: $vgpr3
	s_branch .LBB181_73
.LBB181_67:
	v_dual_mov_b32 v3, 0 :: v_dual_mov_b32 v2, 0
	s_branch .LBB181_72
.LBB181_68:
	v_mov_b64_e32 v[2:3], 0
	v_mov_b32_e32 v1, v0
	s_mov_b32 s24, 0
.LBB181_69:
	s_and_b32 s28, s25, 3
	s_mov_b32 s25, 0
	s_cmp_eq_u32 s28, 0
	s_cbranch_scc1 .LBB181_72
; %bb.70:
	s_lshl_b32 s26, s24, 3
	s_mov_b32 s27, s25
	s_mul_u64 s[40:41], s[24:25], 12
	s_add_nc_u64 s[26:27], s[12:13], s[26:27]
	s_delay_alu instid0(SALU_CYCLE_1)
	s_add_nc_u64 s[24:25], s[26:27], 0xc4
	s_add_nc_u64 s[26:27], s[12:13], s[40:41]
.LBB181_71:                             ; =>This Inner Loop Header: Depth=1
	s_load_b96 s[40:42], s[26:27], 0x4
	s_add_co_i32 s28, s28, -1
	s_wait_xcnt 0x0
	s_add_nc_u64 s[26:27], s[26:27], 12
	s_cmp_lg_u32 s28, 0
	s_wait_kmcnt 0x0
	v_mul_hi_u32 v4, s41, v1
	s_delay_alu instid0(VALU_DEP_1) | instskip(NEXT) | instid1(VALU_DEP_1)
	v_add_nc_u32_e32 v4, v1, v4
	v_lshrrev_b32_e32 v4, s42, v4
	s_load_b64 s[42:43], s[24:25], 0x0
	s_wait_xcnt 0x0
	s_add_nc_u64 s[24:25], s[24:25], 8
	s_delay_alu instid0(VALU_DEP_1) | instskip(NEXT) | instid1(VALU_DEP_1)
	v_mul_lo_u32 v5, v4, s40
	v_sub_nc_u32_e32 v1, v1, v5
	s_wait_kmcnt 0x0
	s_delay_alu instid0(VALU_DEP_1)
	v_mad_u32 v3, v1, s43, v3
	v_mad_u32 v2, v1, s42, v2
	v_mov_b32_e32 v1, v4
	s_cbranch_scc1 .LBB181_71
.LBB181_72:
	s_cbranch_execnz .LBB181_75
.LBB181_73:
	v_mov_b32_e32 v1, 0
	s_and_not1_b32 vcc_lo, exec_lo, s35
	s_delay_alu instid0(VALU_DEP_1) | instskip(NEXT) | instid1(VALU_DEP_1)
	v_mul_u64_e32 v[2:3], s[18:19], v[0:1]
	v_add_nc_u32_e32 v2, v0, v3
	s_delay_alu instid0(VALU_DEP_1) | instskip(NEXT) | instid1(VALU_DEP_1)
	v_lshrrev_b32_e32 v4, s6, v2
	v_mul_lo_u32 v2, v4, s4
	s_delay_alu instid0(VALU_DEP_1) | instskip(NEXT) | instid1(VALU_DEP_1)
	v_sub_nc_u32_e32 v2, v0, v2
	v_mul_lo_u32 v3, v2, s9
	v_mul_lo_u32 v2, v2, s8
	s_cbranch_vccnz .LBB181_75
; %bb.74:
	v_mov_b32_e32 v5, v1
	s_delay_alu instid0(VALU_DEP_1) | instskip(NEXT) | instid1(VALU_DEP_1)
	v_mul_u64_e32 v[6:7], s[20:21], v[4:5]
	v_add_nc_u32_e32 v1, v4, v7
	s_delay_alu instid0(VALU_DEP_1) | instskip(NEXT) | instid1(VALU_DEP_1)
	v_lshrrev_b32_e32 v1, s17, v1
	v_mul_lo_u32 v1, v1, s7
	s_delay_alu instid0(VALU_DEP_1) | instskip(NEXT) | instid1(VALU_DEP_1)
	v_sub_nc_u32_e32 v1, v4, v1
	v_mad_u32 v2, v1, s10, v2
	v_mad_u32 v3, v1, s11, v3
.LBB181_75:
	global_load_u8 v3, v3, s[2:3]
	s_cmp_lt_i32 s14, 1
	s_mov_b32 s24, 0
	s_cbranch_scc1 .LBB181_78
; %bb.76:
	s_cmp_eq_u32 s14, 1
	s_cbranch_scc0 .LBB181_79
; %bb.77:
	s_wait_loadcnt 0x0
	v_bfe_i32 v1, v3, 0, 8
	s_bfe_i32 s25, s15, 0x80000
	s_delay_alu instid0(VALU_DEP_1) | instid1(SALU_CYCLE_1)
	v_min_i16 v1, v1, s25
	s_mov_b32 s25, 0
	s_branch .LBB181_80
.LBB181_78:
	s_mov_b32 s25, 0
                                        ; implicit-def: $vgpr1
	s_cbranch_execnz .LBB181_81
	s_branch .LBB181_82
.LBB181_79:
	s_mov_b32 s25, -1
                                        ; implicit-def: $vgpr1
.LBB181_80:
	s_branch .LBB181_82
.LBB181_81:
	s_cmp_lg_u32 s14, 0
	s_mov_b32 s24, -1
	s_cselect_b32 s25, -1, 0
.LBB181_82:
	s_wait_loadcnt 0x0
	v_bfe_i32 v3, v3, 0, 8
	s_and_not1_b32 vcc_lo, exec_lo, s25
	s_cbranch_vccz .LBB181_91
; %bb.83:
	s_and_not1_b32 vcc_lo, exec_lo, s24
	s_cbranch_vccnz .LBB181_85
.LBB181_84:
	s_bfe_i32 s24, s15, 0x80000
	s_delay_alu instid0(SALU_CYCLE_1)
	v_max_i16 v1, v3, s24
.LBB181_85:
	v_add_nc_u32_e32 v0, 0x80, v0
	global_store_b8 v2, v1, s[0:1]
	s_wait_xcnt 0x0
	s_or_b32 exec_lo, exec_lo, s16
	s_delay_alu instid0(SALU_CYCLE_1)
	s_mov_b32 s16, exec_lo
	v_cmpx_gt_i32_e64 s36, v0
	s_cbranch_execz .LBB181_5
.LBB181_86:
	s_and_not1_b32 vcc_lo, exec_lo, s33
	s_cbranch_vccnz .LBB181_92
; %bb.87:
	s_and_not1_b32 vcc_lo, exec_lo, s38
	s_cbranch_vccnz .LBB181_93
; %bb.88:
	s_add_co_i32 s25, s37, 1
	s_cmp_eq_u32 s31, 2
	s_cbranch_scc1 .LBB181_94
; %bb.89:
	v_dual_mov_b32 v2, 0 :: v_dual_mov_b32 v3, 0
	v_mov_b32_e32 v1, v0
	s_and_b32 s24, s25, 28
	s_mov_b32 s39, 0
	s_mov_b64 s[26:27], s[12:13]
	s_mov_b64 s[28:29], s[22:23]
.LBB181_90:                             ; =>This Inner Loop Header: Depth=1
	s_clause 0x1
	s_load_b256 s[40:47], s[26:27], 0x4
	s_load_b128 s[56:59], s[26:27], 0x24
	s_load_b256 s[48:55], s[28:29], 0x0
	s_add_co_i32 s39, s39, 4
	s_wait_xcnt 0x0
	s_add_nc_u64 s[26:27], s[26:27], 48
	s_cmp_eq_u32 s24, s39
	s_add_nc_u64 s[28:29], s[28:29], 32
	s_wait_kmcnt 0x0
	v_mul_hi_u32 v4, s41, v1
	s_delay_alu instid0(VALU_DEP_1) | instskip(NEXT) | instid1(VALU_DEP_1)
	v_add_nc_u32_e32 v4, v1, v4
	v_lshrrev_b32_e32 v4, s42, v4
	s_delay_alu instid0(VALU_DEP_1) | instskip(NEXT) | instid1(VALU_DEP_1)
	v_mul_hi_u32 v5, s44, v4
	v_add_nc_u32_e32 v5, v4, v5
	s_delay_alu instid0(VALU_DEP_1) | instskip(NEXT) | instid1(VALU_DEP_1)
	v_lshrrev_b32_e32 v5, s45, v5
	v_mul_hi_u32 v6, s47, v5
	s_delay_alu instid0(VALU_DEP_1) | instskip(SKIP_1) | instid1(VALU_DEP_1)
	v_add_nc_u32_e32 v6, v5, v6
	v_mul_lo_u32 v7, v4, s40
	v_sub_nc_u32_e32 v1, v1, v7
	v_mul_lo_u32 v7, v5, s43
	s_delay_alu instid0(VALU_DEP_4) | instskip(NEXT) | instid1(VALU_DEP_3)
	v_lshrrev_b32_e32 v6, s56, v6
	v_mad_u32 v3, v1, s49, v3
	v_mad_u32 v1, v1, s48, v2
	s_delay_alu instid0(VALU_DEP_4) | instskip(NEXT) | instid1(VALU_DEP_4)
	v_sub_nc_u32_e32 v2, v4, v7
	v_mul_hi_u32 v8, s58, v6
	v_mul_lo_u32 v4, v6, s46
	s_delay_alu instid0(VALU_DEP_3) | instskip(SKIP_1) | instid1(VALU_DEP_4)
	v_mad_u32 v3, v2, s51, v3
	v_mad_u32 v2, v2, s50, v1
	v_add_nc_u32_e32 v7, v6, v8
	s_delay_alu instid0(VALU_DEP_1) | instskip(NEXT) | instid1(VALU_DEP_1)
	v_dual_sub_nc_u32 v4, v5, v4 :: v_dual_lshrrev_b32 v1, s59, v7
	v_mad_u32 v3, v4, s53, v3
	s_delay_alu instid0(VALU_DEP_4) | instskip(NEXT) | instid1(VALU_DEP_3)
	v_mad_u32 v2, v4, s52, v2
	v_mul_lo_u32 v5, v1, s57
	s_delay_alu instid0(VALU_DEP_1) | instskip(NEXT) | instid1(VALU_DEP_1)
	v_sub_nc_u32_e32 v4, v6, v5
	v_mad_u32 v3, v4, s55, v3
	s_delay_alu instid0(VALU_DEP_4)
	v_mad_u32 v2, v4, s54, v2
	s_cbranch_scc0 .LBB181_90
	s_branch .LBB181_95
.LBB181_91:
	s_bfe_i32 s24, s15, 0x80000
	s_delay_alu instid0(VALU_DEP_1) | instid1(SALU_CYCLE_1)
	v_max_i16 v1, v3, s24
	s_bfe_i32 s24, s5, 0x80000
	s_delay_alu instid0(VALU_DEP_1) | instid1(SALU_CYCLE_1)
	v_min_i16 v1, v1, s24
	s_cbranch_execz .LBB181_84
	s_branch .LBB181_85
.LBB181_92:
                                        ; implicit-def: $vgpr3
	s_branch .LBB181_99
.LBB181_93:
	v_dual_mov_b32 v3, 0 :: v_dual_mov_b32 v2, 0
	s_branch .LBB181_98
.LBB181_94:
	v_mov_b64_e32 v[2:3], 0
	v_mov_b32_e32 v1, v0
	s_mov_b32 s24, 0
.LBB181_95:
	s_and_b32 s28, s25, 3
	s_mov_b32 s25, 0
	s_cmp_eq_u32 s28, 0
	s_cbranch_scc1 .LBB181_98
; %bb.96:
	s_lshl_b32 s26, s24, 3
	s_mov_b32 s27, s25
	s_mul_u64 s[40:41], s[24:25], 12
	s_add_nc_u64 s[26:27], s[12:13], s[26:27]
	s_delay_alu instid0(SALU_CYCLE_1)
	s_add_nc_u64 s[24:25], s[26:27], 0xc4
	s_add_nc_u64 s[26:27], s[12:13], s[40:41]
.LBB181_97:                             ; =>This Inner Loop Header: Depth=1
	s_load_b96 s[40:42], s[26:27], 0x4
	s_add_co_i32 s28, s28, -1
	s_wait_xcnt 0x0
	s_add_nc_u64 s[26:27], s[26:27], 12
	s_cmp_lg_u32 s28, 0
	s_wait_kmcnt 0x0
	v_mul_hi_u32 v4, s41, v1
	s_delay_alu instid0(VALU_DEP_1) | instskip(NEXT) | instid1(VALU_DEP_1)
	v_add_nc_u32_e32 v4, v1, v4
	v_lshrrev_b32_e32 v4, s42, v4
	s_load_b64 s[42:43], s[24:25], 0x0
	s_wait_xcnt 0x0
	s_add_nc_u64 s[24:25], s[24:25], 8
	s_delay_alu instid0(VALU_DEP_1) | instskip(NEXT) | instid1(VALU_DEP_1)
	v_mul_lo_u32 v5, v4, s40
	v_sub_nc_u32_e32 v1, v1, v5
	s_wait_kmcnt 0x0
	s_delay_alu instid0(VALU_DEP_1)
	v_mad_u32 v3, v1, s43, v3
	v_mad_u32 v2, v1, s42, v2
	v_mov_b32_e32 v1, v4
	s_cbranch_scc1 .LBB181_97
.LBB181_98:
	s_cbranch_execnz .LBB181_101
.LBB181_99:
	v_mov_b32_e32 v1, 0
	s_and_not1_b32 vcc_lo, exec_lo, s35
	s_delay_alu instid0(VALU_DEP_1) | instskip(NEXT) | instid1(VALU_DEP_1)
	v_mul_u64_e32 v[2:3], s[18:19], v[0:1]
	v_add_nc_u32_e32 v2, v0, v3
	s_delay_alu instid0(VALU_DEP_1) | instskip(NEXT) | instid1(VALU_DEP_1)
	v_lshrrev_b32_e32 v4, s6, v2
	v_mul_lo_u32 v2, v4, s4
	s_delay_alu instid0(VALU_DEP_1) | instskip(NEXT) | instid1(VALU_DEP_1)
	v_sub_nc_u32_e32 v2, v0, v2
	v_mul_lo_u32 v3, v2, s9
	v_mul_lo_u32 v2, v2, s8
	s_cbranch_vccnz .LBB181_101
; %bb.100:
	v_mov_b32_e32 v5, v1
	s_delay_alu instid0(VALU_DEP_1) | instskip(NEXT) | instid1(VALU_DEP_1)
	v_mul_u64_e32 v[6:7], s[20:21], v[4:5]
	v_add_nc_u32_e32 v1, v4, v7
	s_delay_alu instid0(VALU_DEP_1) | instskip(NEXT) | instid1(VALU_DEP_1)
	v_lshrrev_b32_e32 v1, s17, v1
	v_mul_lo_u32 v1, v1, s7
	s_delay_alu instid0(VALU_DEP_1) | instskip(NEXT) | instid1(VALU_DEP_1)
	v_sub_nc_u32_e32 v1, v4, v1
	v_mad_u32 v2, v1, s10, v2
	v_mad_u32 v3, v1, s11, v3
.LBB181_101:
	global_load_u8 v3, v3, s[2:3]
	s_cmp_lt_i32 s14, 1
	s_mov_b32 s24, 0
	s_cbranch_scc1 .LBB181_104
; %bb.102:
	s_cmp_eq_u32 s14, 1
	s_cbranch_scc0 .LBB181_105
; %bb.103:
	s_wait_loadcnt 0x0
	v_bfe_i32 v1, v3, 0, 8
	s_bfe_i32 s25, s15, 0x80000
	s_delay_alu instid0(VALU_DEP_1) | instid1(SALU_CYCLE_1)
	v_min_i16 v1, v1, s25
	s_mov_b32 s25, 0
	s_branch .LBB181_106
.LBB181_104:
	s_mov_b32 s25, 0
                                        ; implicit-def: $vgpr1
	s_cbranch_execnz .LBB181_107
	s_branch .LBB181_108
.LBB181_105:
	s_mov_b32 s25, -1
                                        ; implicit-def: $vgpr1
.LBB181_106:
	s_branch .LBB181_108
.LBB181_107:
	s_cmp_lg_u32 s14, 0
	s_mov_b32 s24, -1
	s_cselect_b32 s25, -1, 0
.LBB181_108:
	s_wait_loadcnt 0x0
	v_bfe_i32 v3, v3, 0, 8
	s_and_not1_b32 vcc_lo, exec_lo, s25
	s_cbranch_vccz .LBB181_117
; %bb.109:
	s_and_not1_b32 vcc_lo, exec_lo, s24
	s_cbranch_vccnz .LBB181_111
.LBB181_110:
	s_bfe_i32 s24, s15, 0x80000
	s_delay_alu instid0(SALU_CYCLE_1)
	v_max_i16 v1, v3, s24
.LBB181_111:
	v_add_nc_u32_e32 v0, 0x80, v0
	global_store_b8 v2, v1, s[0:1]
	s_wait_xcnt 0x0
	s_or_b32 exec_lo, exec_lo, s16
	s_delay_alu instid0(SALU_CYCLE_1)
	s_mov_b32 s16, exec_lo
	v_cmpx_gt_i32_e64 s36, v0
	s_cbranch_execz .LBB181_6
.LBB181_112:
	s_and_not1_b32 vcc_lo, exec_lo, s33
	s_cbranch_vccnz .LBB181_118
; %bb.113:
	s_and_not1_b32 vcc_lo, exec_lo, s38
	s_cbranch_vccnz .LBB181_119
; %bb.114:
	s_add_co_i32 s25, s37, 1
	s_cmp_eq_u32 s31, 2
	s_cbranch_scc1 .LBB181_120
; %bb.115:
	v_dual_mov_b32 v2, 0 :: v_dual_mov_b32 v3, 0
	v_mov_b32_e32 v1, v0
	s_and_b32 s24, s25, 28
	s_mov_b32 s39, 0
	s_mov_b64 s[26:27], s[12:13]
	s_mov_b64 s[28:29], s[22:23]
.LBB181_116:                            ; =>This Inner Loop Header: Depth=1
	s_clause 0x1
	s_load_b256 s[40:47], s[26:27], 0x4
	s_load_b128 s[56:59], s[26:27], 0x24
	s_load_b256 s[48:55], s[28:29], 0x0
	s_add_co_i32 s39, s39, 4
	s_wait_xcnt 0x0
	s_add_nc_u64 s[26:27], s[26:27], 48
	s_cmp_eq_u32 s24, s39
	s_add_nc_u64 s[28:29], s[28:29], 32
	s_wait_kmcnt 0x0
	v_mul_hi_u32 v4, s41, v1
	s_delay_alu instid0(VALU_DEP_1) | instskip(NEXT) | instid1(VALU_DEP_1)
	v_add_nc_u32_e32 v4, v1, v4
	v_lshrrev_b32_e32 v4, s42, v4
	s_delay_alu instid0(VALU_DEP_1) | instskip(NEXT) | instid1(VALU_DEP_1)
	v_mul_hi_u32 v5, s44, v4
	v_add_nc_u32_e32 v5, v4, v5
	s_delay_alu instid0(VALU_DEP_1) | instskip(NEXT) | instid1(VALU_DEP_1)
	v_lshrrev_b32_e32 v5, s45, v5
	v_mul_hi_u32 v6, s47, v5
	s_delay_alu instid0(VALU_DEP_1) | instskip(SKIP_1) | instid1(VALU_DEP_1)
	v_add_nc_u32_e32 v6, v5, v6
	v_mul_lo_u32 v7, v4, s40
	v_sub_nc_u32_e32 v1, v1, v7
	v_mul_lo_u32 v7, v5, s43
	s_delay_alu instid0(VALU_DEP_4) | instskip(NEXT) | instid1(VALU_DEP_3)
	v_lshrrev_b32_e32 v6, s56, v6
	v_mad_u32 v3, v1, s49, v3
	v_mad_u32 v1, v1, s48, v2
	s_delay_alu instid0(VALU_DEP_4) | instskip(NEXT) | instid1(VALU_DEP_4)
	v_sub_nc_u32_e32 v2, v4, v7
	v_mul_hi_u32 v8, s58, v6
	v_mul_lo_u32 v4, v6, s46
	s_delay_alu instid0(VALU_DEP_3) | instskip(SKIP_1) | instid1(VALU_DEP_4)
	v_mad_u32 v3, v2, s51, v3
	v_mad_u32 v2, v2, s50, v1
	v_add_nc_u32_e32 v7, v6, v8
	s_delay_alu instid0(VALU_DEP_1) | instskip(NEXT) | instid1(VALU_DEP_1)
	v_dual_sub_nc_u32 v4, v5, v4 :: v_dual_lshrrev_b32 v1, s59, v7
	v_mad_u32 v3, v4, s53, v3
	s_delay_alu instid0(VALU_DEP_4) | instskip(NEXT) | instid1(VALU_DEP_3)
	v_mad_u32 v2, v4, s52, v2
	v_mul_lo_u32 v5, v1, s57
	s_delay_alu instid0(VALU_DEP_1) | instskip(NEXT) | instid1(VALU_DEP_1)
	v_sub_nc_u32_e32 v4, v6, v5
	v_mad_u32 v3, v4, s55, v3
	s_delay_alu instid0(VALU_DEP_4)
	v_mad_u32 v2, v4, s54, v2
	s_cbranch_scc0 .LBB181_116
	s_branch .LBB181_121
.LBB181_117:
	s_bfe_i32 s24, s15, 0x80000
	s_delay_alu instid0(VALU_DEP_1) | instid1(SALU_CYCLE_1)
	v_max_i16 v1, v3, s24
	s_bfe_i32 s24, s5, 0x80000
	s_delay_alu instid0(VALU_DEP_1) | instid1(SALU_CYCLE_1)
	v_min_i16 v1, v1, s24
	s_cbranch_execz .LBB181_110
	s_branch .LBB181_111
.LBB181_118:
                                        ; implicit-def: $vgpr3
	s_branch .LBB181_125
.LBB181_119:
	v_dual_mov_b32 v3, 0 :: v_dual_mov_b32 v2, 0
	s_branch .LBB181_124
.LBB181_120:
	v_mov_b64_e32 v[2:3], 0
	v_mov_b32_e32 v1, v0
	s_mov_b32 s24, 0
.LBB181_121:
	s_and_b32 s28, s25, 3
	s_mov_b32 s25, 0
	s_cmp_eq_u32 s28, 0
	s_cbranch_scc1 .LBB181_124
; %bb.122:
	s_lshl_b32 s26, s24, 3
	s_mov_b32 s27, s25
	s_mul_u64 s[40:41], s[24:25], 12
	s_add_nc_u64 s[26:27], s[12:13], s[26:27]
	s_delay_alu instid0(SALU_CYCLE_1)
	s_add_nc_u64 s[24:25], s[26:27], 0xc4
	s_add_nc_u64 s[26:27], s[12:13], s[40:41]
.LBB181_123:                            ; =>This Inner Loop Header: Depth=1
	s_load_b96 s[40:42], s[26:27], 0x4
	s_add_co_i32 s28, s28, -1
	s_wait_xcnt 0x0
	s_add_nc_u64 s[26:27], s[26:27], 12
	s_cmp_lg_u32 s28, 0
	s_wait_kmcnt 0x0
	v_mul_hi_u32 v4, s41, v1
	s_delay_alu instid0(VALU_DEP_1) | instskip(NEXT) | instid1(VALU_DEP_1)
	v_add_nc_u32_e32 v4, v1, v4
	v_lshrrev_b32_e32 v4, s42, v4
	s_load_b64 s[42:43], s[24:25], 0x0
	s_wait_xcnt 0x0
	s_add_nc_u64 s[24:25], s[24:25], 8
	s_delay_alu instid0(VALU_DEP_1) | instskip(NEXT) | instid1(VALU_DEP_1)
	v_mul_lo_u32 v5, v4, s40
	v_sub_nc_u32_e32 v1, v1, v5
	s_wait_kmcnt 0x0
	s_delay_alu instid0(VALU_DEP_1)
	v_mad_u32 v3, v1, s43, v3
	v_mad_u32 v2, v1, s42, v2
	v_mov_b32_e32 v1, v4
	s_cbranch_scc1 .LBB181_123
.LBB181_124:
	s_cbranch_execnz .LBB181_127
.LBB181_125:
	v_mov_b32_e32 v1, 0
	s_and_not1_b32 vcc_lo, exec_lo, s35
	s_delay_alu instid0(VALU_DEP_1) | instskip(NEXT) | instid1(VALU_DEP_1)
	v_mul_u64_e32 v[2:3], s[18:19], v[0:1]
	v_add_nc_u32_e32 v2, v0, v3
	s_delay_alu instid0(VALU_DEP_1) | instskip(NEXT) | instid1(VALU_DEP_1)
	v_lshrrev_b32_e32 v4, s6, v2
	v_mul_lo_u32 v2, v4, s4
	s_delay_alu instid0(VALU_DEP_1) | instskip(NEXT) | instid1(VALU_DEP_1)
	v_sub_nc_u32_e32 v2, v0, v2
	v_mul_lo_u32 v3, v2, s9
	v_mul_lo_u32 v2, v2, s8
	s_cbranch_vccnz .LBB181_127
; %bb.126:
	v_mov_b32_e32 v5, v1
	s_delay_alu instid0(VALU_DEP_1) | instskip(NEXT) | instid1(VALU_DEP_1)
	v_mul_u64_e32 v[6:7], s[20:21], v[4:5]
	v_add_nc_u32_e32 v1, v4, v7
	s_delay_alu instid0(VALU_DEP_1) | instskip(NEXT) | instid1(VALU_DEP_1)
	v_lshrrev_b32_e32 v1, s17, v1
	v_mul_lo_u32 v1, v1, s7
	s_delay_alu instid0(VALU_DEP_1) | instskip(NEXT) | instid1(VALU_DEP_1)
	v_sub_nc_u32_e32 v1, v4, v1
	v_mad_u32 v2, v1, s10, v2
	v_mad_u32 v3, v1, s11, v3
.LBB181_127:
	global_load_u8 v3, v3, s[2:3]
	s_cmp_lt_i32 s14, 1
	s_mov_b32 s24, 0
	s_cbranch_scc1 .LBB181_130
; %bb.128:
	s_cmp_eq_u32 s14, 1
	s_cbranch_scc0 .LBB181_131
; %bb.129:
	s_wait_loadcnt 0x0
	v_bfe_i32 v1, v3, 0, 8
	s_bfe_i32 s25, s15, 0x80000
	s_delay_alu instid0(VALU_DEP_1) | instid1(SALU_CYCLE_1)
	v_min_i16 v1, v1, s25
	s_mov_b32 s25, 0
	s_branch .LBB181_132
.LBB181_130:
	s_mov_b32 s25, 0
                                        ; implicit-def: $vgpr1
	s_cbranch_execnz .LBB181_133
	s_branch .LBB181_134
.LBB181_131:
	s_mov_b32 s25, -1
                                        ; implicit-def: $vgpr1
.LBB181_132:
	s_branch .LBB181_134
.LBB181_133:
	s_cmp_lg_u32 s14, 0
	s_mov_b32 s24, -1
	s_cselect_b32 s25, -1, 0
.LBB181_134:
	s_wait_loadcnt 0x0
	v_bfe_i32 v3, v3, 0, 8
	s_and_not1_b32 vcc_lo, exec_lo, s25
	s_cbranch_vccz .LBB181_143
; %bb.135:
	s_and_not1_b32 vcc_lo, exec_lo, s24
	s_cbranch_vccnz .LBB181_137
.LBB181_136:
	s_bfe_i32 s24, s15, 0x80000
	s_delay_alu instid0(SALU_CYCLE_1)
	v_max_i16 v1, v3, s24
.LBB181_137:
	v_add_nc_u32_e32 v0, 0x80, v0
	global_store_b8 v2, v1, s[0:1]
	s_wait_xcnt 0x0
	s_or_b32 exec_lo, exec_lo, s16
	s_delay_alu instid0(SALU_CYCLE_1)
	s_mov_b32 s16, exec_lo
	v_cmpx_gt_i32_e64 s36, v0
	s_cbranch_execz .LBB181_7
.LBB181_138:
	s_and_not1_b32 vcc_lo, exec_lo, s33
	s_cbranch_vccnz .LBB181_144
; %bb.139:
	s_and_not1_b32 vcc_lo, exec_lo, s38
	s_cbranch_vccnz .LBB181_145
; %bb.140:
	s_add_co_i32 s25, s37, 1
	s_cmp_eq_u32 s31, 2
	s_cbranch_scc1 .LBB181_146
; %bb.141:
	v_dual_mov_b32 v2, 0 :: v_dual_mov_b32 v3, 0
	v_mov_b32_e32 v1, v0
	s_and_b32 s24, s25, 28
	s_mov_b32 s39, 0
	s_mov_b64 s[26:27], s[12:13]
	s_mov_b64 s[28:29], s[22:23]
.LBB181_142:                            ; =>This Inner Loop Header: Depth=1
	s_clause 0x1
	s_load_b256 s[40:47], s[26:27], 0x4
	s_load_b128 s[56:59], s[26:27], 0x24
	s_load_b256 s[48:55], s[28:29], 0x0
	s_add_co_i32 s39, s39, 4
	s_wait_xcnt 0x0
	s_add_nc_u64 s[26:27], s[26:27], 48
	s_cmp_eq_u32 s24, s39
	s_add_nc_u64 s[28:29], s[28:29], 32
	s_wait_kmcnt 0x0
	v_mul_hi_u32 v4, s41, v1
	s_delay_alu instid0(VALU_DEP_1) | instskip(NEXT) | instid1(VALU_DEP_1)
	v_add_nc_u32_e32 v4, v1, v4
	v_lshrrev_b32_e32 v4, s42, v4
	s_delay_alu instid0(VALU_DEP_1) | instskip(NEXT) | instid1(VALU_DEP_1)
	v_mul_hi_u32 v5, s44, v4
	v_add_nc_u32_e32 v5, v4, v5
	s_delay_alu instid0(VALU_DEP_1) | instskip(NEXT) | instid1(VALU_DEP_1)
	v_lshrrev_b32_e32 v5, s45, v5
	v_mul_hi_u32 v6, s47, v5
	s_delay_alu instid0(VALU_DEP_1) | instskip(SKIP_1) | instid1(VALU_DEP_1)
	v_add_nc_u32_e32 v6, v5, v6
	v_mul_lo_u32 v7, v4, s40
	v_sub_nc_u32_e32 v1, v1, v7
	v_mul_lo_u32 v7, v5, s43
	s_delay_alu instid0(VALU_DEP_4) | instskip(NEXT) | instid1(VALU_DEP_3)
	v_lshrrev_b32_e32 v6, s56, v6
	v_mad_u32 v3, v1, s49, v3
	v_mad_u32 v1, v1, s48, v2
	s_delay_alu instid0(VALU_DEP_4) | instskip(NEXT) | instid1(VALU_DEP_4)
	v_sub_nc_u32_e32 v2, v4, v7
	v_mul_hi_u32 v8, s58, v6
	v_mul_lo_u32 v4, v6, s46
	s_delay_alu instid0(VALU_DEP_3) | instskip(SKIP_1) | instid1(VALU_DEP_4)
	v_mad_u32 v3, v2, s51, v3
	v_mad_u32 v2, v2, s50, v1
	v_add_nc_u32_e32 v7, v6, v8
	s_delay_alu instid0(VALU_DEP_1) | instskip(NEXT) | instid1(VALU_DEP_1)
	v_dual_sub_nc_u32 v4, v5, v4 :: v_dual_lshrrev_b32 v1, s59, v7
	v_mad_u32 v3, v4, s53, v3
	s_delay_alu instid0(VALU_DEP_4) | instskip(NEXT) | instid1(VALU_DEP_3)
	v_mad_u32 v2, v4, s52, v2
	v_mul_lo_u32 v5, v1, s57
	s_delay_alu instid0(VALU_DEP_1) | instskip(NEXT) | instid1(VALU_DEP_1)
	v_sub_nc_u32_e32 v4, v6, v5
	v_mad_u32 v3, v4, s55, v3
	s_delay_alu instid0(VALU_DEP_4)
	v_mad_u32 v2, v4, s54, v2
	s_cbranch_scc0 .LBB181_142
	s_branch .LBB181_147
.LBB181_143:
	s_bfe_i32 s24, s15, 0x80000
	s_delay_alu instid0(VALU_DEP_1) | instid1(SALU_CYCLE_1)
	v_max_i16 v1, v3, s24
	s_bfe_i32 s24, s5, 0x80000
	s_delay_alu instid0(VALU_DEP_1) | instid1(SALU_CYCLE_1)
	v_min_i16 v1, v1, s24
	s_cbranch_execz .LBB181_136
	s_branch .LBB181_137
.LBB181_144:
                                        ; implicit-def: $vgpr3
	s_branch .LBB181_151
.LBB181_145:
	v_dual_mov_b32 v3, 0 :: v_dual_mov_b32 v2, 0
	s_branch .LBB181_150
.LBB181_146:
	v_mov_b64_e32 v[2:3], 0
	v_mov_b32_e32 v1, v0
	s_mov_b32 s24, 0
.LBB181_147:
	s_and_b32 s28, s25, 3
	s_mov_b32 s25, 0
	s_cmp_eq_u32 s28, 0
	s_cbranch_scc1 .LBB181_150
; %bb.148:
	s_lshl_b32 s26, s24, 3
	s_mov_b32 s27, s25
	s_mul_u64 s[40:41], s[24:25], 12
	s_add_nc_u64 s[26:27], s[12:13], s[26:27]
	s_delay_alu instid0(SALU_CYCLE_1)
	s_add_nc_u64 s[24:25], s[26:27], 0xc4
	s_add_nc_u64 s[26:27], s[12:13], s[40:41]
.LBB181_149:                            ; =>This Inner Loop Header: Depth=1
	s_load_b96 s[40:42], s[26:27], 0x4
	s_add_co_i32 s28, s28, -1
	s_wait_xcnt 0x0
	s_add_nc_u64 s[26:27], s[26:27], 12
	s_cmp_lg_u32 s28, 0
	s_wait_kmcnt 0x0
	v_mul_hi_u32 v4, s41, v1
	s_delay_alu instid0(VALU_DEP_1) | instskip(NEXT) | instid1(VALU_DEP_1)
	v_add_nc_u32_e32 v4, v1, v4
	v_lshrrev_b32_e32 v4, s42, v4
	s_load_b64 s[42:43], s[24:25], 0x0
	s_wait_xcnt 0x0
	s_add_nc_u64 s[24:25], s[24:25], 8
	s_delay_alu instid0(VALU_DEP_1) | instskip(NEXT) | instid1(VALU_DEP_1)
	v_mul_lo_u32 v5, v4, s40
	v_sub_nc_u32_e32 v1, v1, v5
	s_wait_kmcnt 0x0
	s_delay_alu instid0(VALU_DEP_1)
	v_mad_u32 v3, v1, s43, v3
	v_mad_u32 v2, v1, s42, v2
	v_mov_b32_e32 v1, v4
	s_cbranch_scc1 .LBB181_149
.LBB181_150:
	s_cbranch_execnz .LBB181_153
.LBB181_151:
	v_mov_b32_e32 v1, 0
	s_and_not1_b32 vcc_lo, exec_lo, s35
	s_delay_alu instid0(VALU_DEP_1) | instskip(NEXT) | instid1(VALU_DEP_1)
	v_mul_u64_e32 v[2:3], s[18:19], v[0:1]
	v_add_nc_u32_e32 v2, v0, v3
	s_delay_alu instid0(VALU_DEP_1) | instskip(NEXT) | instid1(VALU_DEP_1)
	v_lshrrev_b32_e32 v4, s6, v2
	v_mul_lo_u32 v2, v4, s4
	s_delay_alu instid0(VALU_DEP_1) | instskip(NEXT) | instid1(VALU_DEP_1)
	v_sub_nc_u32_e32 v2, v0, v2
	v_mul_lo_u32 v3, v2, s9
	v_mul_lo_u32 v2, v2, s8
	s_cbranch_vccnz .LBB181_153
; %bb.152:
	v_mov_b32_e32 v5, v1
	s_delay_alu instid0(VALU_DEP_1) | instskip(NEXT) | instid1(VALU_DEP_1)
	v_mul_u64_e32 v[6:7], s[20:21], v[4:5]
	v_add_nc_u32_e32 v1, v4, v7
	s_delay_alu instid0(VALU_DEP_1) | instskip(NEXT) | instid1(VALU_DEP_1)
	v_lshrrev_b32_e32 v1, s17, v1
	v_mul_lo_u32 v1, v1, s7
	s_delay_alu instid0(VALU_DEP_1) | instskip(NEXT) | instid1(VALU_DEP_1)
	v_sub_nc_u32_e32 v1, v4, v1
	v_mad_u32 v2, v1, s10, v2
	v_mad_u32 v3, v1, s11, v3
.LBB181_153:
	global_load_u8 v3, v3, s[2:3]
	s_cmp_lt_i32 s14, 1
	s_mov_b32 s24, 0
	s_cbranch_scc1 .LBB181_156
; %bb.154:
	s_cmp_eq_u32 s14, 1
	s_cbranch_scc0 .LBB181_157
; %bb.155:
	s_wait_loadcnt 0x0
	v_bfe_i32 v1, v3, 0, 8
	s_bfe_i32 s25, s15, 0x80000
	s_delay_alu instid0(VALU_DEP_1) | instid1(SALU_CYCLE_1)
	v_min_i16 v1, v1, s25
	s_mov_b32 s25, 0
	s_branch .LBB181_158
.LBB181_156:
	s_mov_b32 s25, 0
                                        ; implicit-def: $vgpr1
	s_cbranch_execnz .LBB181_159
	s_branch .LBB181_160
.LBB181_157:
	s_mov_b32 s25, -1
                                        ; implicit-def: $vgpr1
.LBB181_158:
	s_branch .LBB181_160
.LBB181_159:
	s_cmp_lg_u32 s14, 0
	s_mov_b32 s24, -1
	s_cselect_b32 s25, -1, 0
.LBB181_160:
	s_wait_loadcnt 0x0
	v_bfe_i32 v3, v3, 0, 8
	s_and_not1_b32 vcc_lo, exec_lo, s25
	s_cbranch_vccz .LBB181_169
; %bb.161:
	s_and_not1_b32 vcc_lo, exec_lo, s24
	s_cbranch_vccnz .LBB181_163
.LBB181_162:
	s_bfe_i32 s24, s15, 0x80000
	s_delay_alu instid0(SALU_CYCLE_1)
	v_max_i16 v1, v3, s24
.LBB181_163:
	v_add_nc_u32_e32 v0, 0x80, v0
	global_store_b8 v2, v1, s[0:1]
	s_wait_xcnt 0x0
	s_or_b32 exec_lo, exec_lo, s16
	s_delay_alu instid0(SALU_CYCLE_1)
	s_mov_b32 s16, exec_lo
	v_cmpx_gt_i32_e64 s36, v0
	s_cbranch_execz .LBB181_8
.LBB181_164:
	s_and_not1_b32 vcc_lo, exec_lo, s33
	s_cbranch_vccnz .LBB181_170
; %bb.165:
	s_and_not1_b32 vcc_lo, exec_lo, s38
	s_cbranch_vccnz .LBB181_171
; %bb.166:
	s_add_co_i32 s25, s37, 1
	s_cmp_eq_u32 s31, 2
	s_cbranch_scc1 .LBB181_172
; %bb.167:
	v_dual_mov_b32 v2, 0 :: v_dual_mov_b32 v3, 0
	v_mov_b32_e32 v1, v0
	s_and_b32 s24, s25, 28
	s_mov_b32 s39, 0
	s_mov_b64 s[26:27], s[12:13]
	s_mov_b64 s[28:29], s[22:23]
.LBB181_168:                            ; =>This Inner Loop Header: Depth=1
	s_clause 0x1
	s_load_b256 s[40:47], s[26:27], 0x4
	s_load_b128 s[56:59], s[26:27], 0x24
	s_load_b256 s[48:55], s[28:29], 0x0
	s_add_co_i32 s39, s39, 4
	s_wait_xcnt 0x0
	s_add_nc_u64 s[26:27], s[26:27], 48
	s_cmp_eq_u32 s24, s39
	s_add_nc_u64 s[28:29], s[28:29], 32
	s_wait_kmcnt 0x0
	v_mul_hi_u32 v4, s41, v1
	s_delay_alu instid0(VALU_DEP_1) | instskip(NEXT) | instid1(VALU_DEP_1)
	v_add_nc_u32_e32 v4, v1, v4
	v_lshrrev_b32_e32 v4, s42, v4
	s_delay_alu instid0(VALU_DEP_1) | instskip(NEXT) | instid1(VALU_DEP_1)
	v_mul_hi_u32 v5, s44, v4
	v_add_nc_u32_e32 v5, v4, v5
	s_delay_alu instid0(VALU_DEP_1) | instskip(NEXT) | instid1(VALU_DEP_1)
	v_lshrrev_b32_e32 v5, s45, v5
	v_mul_hi_u32 v6, s47, v5
	s_delay_alu instid0(VALU_DEP_1) | instskip(SKIP_1) | instid1(VALU_DEP_1)
	v_add_nc_u32_e32 v6, v5, v6
	v_mul_lo_u32 v7, v4, s40
	v_sub_nc_u32_e32 v1, v1, v7
	v_mul_lo_u32 v7, v5, s43
	s_delay_alu instid0(VALU_DEP_4) | instskip(NEXT) | instid1(VALU_DEP_3)
	v_lshrrev_b32_e32 v6, s56, v6
	v_mad_u32 v3, v1, s49, v3
	v_mad_u32 v1, v1, s48, v2
	s_delay_alu instid0(VALU_DEP_4) | instskip(NEXT) | instid1(VALU_DEP_4)
	v_sub_nc_u32_e32 v2, v4, v7
	v_mul_hi_u32 v8, s58, v6
	v_mul_lo_u32 v4, v6, s46
	s_delay_alu instid0(VALU_DEP_3) | instskip(SKIP_1) | instid1(VALU_DEP_4)
	v_mad_u32 v3, v2, s51, v3
	v_mad_u32 v2, v2, s50, v1
	v_add_nc_u32_e32 v7, v6, v8
	s_delay_alu instid0(VALU_DEP_1) | instskip(NEXT) | instid1(VALU_DEP_1)
	v_dual_sub_nc_u32 v4, v5, v4 :: v_dual_lshrrev_b32 v1, s59, v7
	v_mad_u32 v3, v4, s53, v3
	s_delay_alu instid0(VALU_DEP_4) | instskip(NEXT) | instid1(VALU_DEP_3)
	v_mad_u32 v2, v4, s52, v2
	v_mul_lo_u32 v5, v1, s57
	s_delay_alu instid0(VALU_DEP_1) | instskip(NEXT) | instid1(VALU_DEP_1)
	v_sub_nc_u32_e32 v4, v6, v5
	v_mad_u32 v3, v4, s55, v3
	s_delay_alu instid0(VALU_DEP_4)
	v_mad_u32 v2, v4, s54, v2
	s_cbranch_scc0 .LBB181_168
	s_branch .LBB181_173
.LBB181_169:
	s_bfe_i32 s24, s15, 0x80000
	s_delay_alu instid0(VALU_DEP_1) | instid1(SALU_CYCLE_1)
	v_max_i16 v1, v3, s24
	s_bfe_i32 s24, s5, 0x80000
	s_delay_alu instid0(VALU_DEP_1) | instid1(SALU_CYCLE_1)
	v_min_i16 v1, v1, s24
	s_cbranch_execz .LBB181_162
	s_branch .LBB181_163
.LBB181_170:
                                        ; implicit-def: $vgpr3
	s_branch .LBB181_177
.LBB181_171:
	v_dual_mov_b32 v3, 0 :: v_dual_mov_b32 v2, 0
	s_branch .LBB181_176
.LBB181_172:
	v_mov_b64_e32 v[2:3], 0
	v_mov_b32_e32 v1, v0
	s_mov_b32 s24, 0
.LBB181_173:
	s_and_b32 s28, s25, 3
	s_mov_b32 s25, 0
	s_cmp_eq_u32 s28, 0
	s_cbranch_scc1 .LBB181_176
; %bb.174:
	s_lshl_b32 s26, s24, 3
	s_mov_b32 s27, s25
	s_mul_u64 s[40:41], s[24:25], 12
	s_add_nc_u64 s[26:27], s[12:13], s[26:27]
	s_delay_alu instid0(SALU_CYCLE_1)
	s_add_nc_u64 s[24:25], s[26:27], 0xc4
	s_add_nc_u64 s[26:27], s[12:13], s[40:41]
.LBB181_175:                            ; =>This Inner Loop Header: Depth=1
	s_load_b96 s[40:42], s[26:27], 0x4
	s_add_co_i32 s28, s28, -1
	s_wait_xcnt 0x0
	s_add_nc_u64 s[26:27], s[26:27], 12
	s_cmp_lg_u32 s28, 0
	s_wait_kmcnt 0x0
	v_mul_hi_u32 v4, s41, v1
	s_delay_alu instid0(VALU_DEP_1) | instskip(NEXT) | instid1(VALU_DEP_1)
	v_add_nc_u32_e32 v4, v1, v4
	v_lshrrev_b32_e32 v4, s42, v4
	s_load_b64 s[42:43], s[24:25], 0x0
	s_wait_xcnt 0x0
	s_add_nc_u64 s[24:25], s[24:25], 8
	s_delay_alu instid0(VALU_DEP_1) | instskip(NEXT) | instid1(VALU_DEP_1)
	v_mul_lo_u32 v5, v4, s40
	v_sub_nc_u32_e32 v1, v1, v5
	s_wait_kmcnt 0x0
	s_delay_alu instid0(VALU_DEP_1)
	v_mad_u32 v3, v1, s43, v3
	v_mad_u32 v2, v1, s42, v2
	v_mov_b32_e32 v1, v4
	s_cbranch_scc1 .LBB181_175
.LBB181_176:
	s_cbranch_execnz .LBB181_179
.LBB181_177:
	v_mov_b32_e32 v1, 0
	s_and_not1_b32 vcc_lo, exec_lo, s35
	s_delay_alu instid0(VALU_DEP_1) | instskip(NEXT) | instid1(VALU_DEP_1)
	v_mul_u64_e32 v[2:3], s[18:19], v[0:1]
	v_add_nc_u32_e32 v2, v0, v3
	s_delay_alu instid0(VALU_DEP_1) | instskip(NEXT) | instid1(VALU_DEP_1)
	v_lshrrev_b32_e32 v4, s6, v2
	v_mul_lo_u32 v2, v4, s4
	s_delay_alu instid0(VALU_DEP_1) | instskip(NEXT) | instid1(VALU_DEP_1)
	v_sub_nc_u32_e32 v2, v0, v2
	v_mul_lo_u32 v3, v2, s9
	v_mul_lo_u32 v2, v2, s8
	s_cbranch_vccnz .LBB181_179
; %bb.178:
	v_mov_b32_e32 v5, v1
	s_delay_alu instid0(VALU_DEP_1) | instskip(NEXT) | instid1(VALU_DEP_1)
	v_mul_u64_e32 v[6:7], s[20:21], v[4:5]
	v_add_nc_u32_e32 v1, v4, v7
	s_delay_alu instid0(VALU_DEP_1) | instskip(NEXT) | instid1(VALU_DEP_1)
	v_lshrrev_b32_e32 v1, s17, v1
	v_mul_lo_u32 v1, v1, s7
	s_delay_alu instid0(VALU_DEP_1) | instskip(NEXT) | instid1(VALU_DEP_1)
	v_sub_nc_u32_e32 v1, v4, v1
	v_mad_u32 v2, v1, s10, v2
	v_mad_u32 v3, v1, s11, v3
.LBB181_179:
	global_load_u8 v3, v3, s[2:3]
	s_cmp_lt_i32 s14, 1
	s_mov_b32 s24, 0
	s_cbranch_scc1 .LBB181_182
; %bb.180:
	s_cmp_eq_u32 s14, 1
	s_cbranch_scc0 .LBB181_183
; %bb.181:
	s_wait_loadcnt 0x0
	v_bfe_i32 v1, v3, 0, 8
	s_bfe_i32 s25, s15, 0x80000
	s_delay_alu instid0(VALU_DEP_1) | instid1(SALU_CYCLE_1)
	v_min_i16 v1, v1, s25
	s_mov_b32 s25, 0
	s_branch .LBB181_184
.LBB181_182:
	s_mov_b32 s25, 0
                                        ; implicit-def: $vgpr1
	s_cbranch_execnz .LBB181_185
	s_branch .LBB181_186
.LBB181_183:
	s_mov_b32 s25, -1
                                        ; implicit-def: $vgpr1
.LBB181_184:
	s_branch .LBB181_186
.LBB181_185:
	s_cmp_lg_u32 s14, 0
	s_mov_b32 s24, -1
	s_cselect_b32 s25, -1, 0
.LBB181_186:
	s_wait_loadcnt 0x0
	v_bfe_i32 v3, v3, 0, 8
	s_and_not1_b32 vcc_lo, exec_lo, s25
	s_cbranch_vccz .LBB181_195
; %bb.187:
	s_and_not1_b32 vcc_lo, exec_lo, s24
	s_cbranch_vccnz .LBB181_189
.LBB181_188:
	s_bfe_i32 s24, s15, 0x80000
	s_delay_alu instid0(SALU_CYCLE_1)
	v_max_i16 v1, v3, s24
.LBB181_189:
	v_add_nc_u32_e32 v0, 0x80, v0
	global_store_b8 v2, v1, s[0:1]
	s_wait_xcnt 0x0
	s_or_b32 exec_lo, exec_lo, s16
	s_delay_alu instid0(SALU_CYCLE_1)
	s_mov_b32 s16, exec_lo
	v_cmpx_gt_i32_e64 s36, v0
	s_cbranch_execz .LBB181_216
.LBB181_190:
	s_and_not1_b32 vcc_lo, exec_lo, s33
	s_cbranch_vccnz .LBB181_196
; %bb.191:
	s_and_not1_b32 vcc_lo, exec_lo, s38
	s_cbranch_vccnz .LBB181_197
; %bb.192:
	s_add_co_i32 s37, s37, 1
	s_cmp_eq_u32 s31, 2
	s_cbranch_scc1 .LBB181_198
; %bb.193:
	v_dual_mov_b32 v2, 0 :: v_dual_mov_b32 v3, 0
	v_mov_b32_e32 v1, v0
	s_and_b32 s24, s37, 28
	s_mov_b32 s25, 0
	s_mov_b64 s[26:27], s[12:13]
.LBB181_194:                            ; =>This Inner Loop Header: Depth=1
	s_clause 0x1
	s_load_b256 s[40:47], s[26:27], 0x4
	s_load_b128 s[56:59], s[26:27], 0x24
	s_load_b256 s[48:55], s[22:23], 0x0
	s_add_co_i32 s25, s25, 4
	s_wait_xcnt 0x0
	s_add_nc_u64 s[26:27], s[26:27], 48
	s_cmp_eq_u32 s24, s25
	s_add_nc_u64 s[22:23], s[22:23], 32
	s_wait_kmcnt 0x0
	v_mul_hi_u32 v4, s41, v1
	s_delay_alu instid0(VALU_DEP_1) | instskip(NEXT) | instid1(VALU_DEP_1)
	v_add_nc_u32_e32 v4, v1, v4
	v_lshrrev_b32_e32 v4, s42, v4
	s_delay_alu instid0(VALU_DEP_1) | instskip(NEXT) | instid1(VALU_DEP_1)
	v_mul_hi_u32 v5, s44, v4
	v_add_nc_u32_e32 v5, v4, v5
	s_delay_alu instid0(VALU_DEP_1) | instskip(NEXT) | instid1(VALU_DEP_1)
	v_lshrrev_b32_e32 v5, s45, v5
	v_mul_hi_u32 v6, s47, v5
	s_delay_alu instid0(VALU_DEP_1) | instskip(SKIP_1) | instid1(VALU_DEP_1)
	v_add_nc_u32_e32 v6, v5, v6
	v_mul_lo_u32 v7, v4, s40
	v_sub_nc_u32_e32 v1, v1, v7
	v_mul_lo_u32 v7, v5, s43
	s_delay_alu instid0(VALU_DEP_4) | instskip(NEXT) | instid1(VALU_DEP_3)
	v_lshrrev_b32_e32 v6, s56, v6
	v_mad_u32 v3, v1, s49, v3
	v_mad_u32 v1, v1, s48, v2
	s_delay_alu instid0(VALU_DEP_4) | instskip(NEXT) | instid1(VALU_DEP_4)
	v_sub_nc_u32_e32 v2, v4, v7
	v_mul_hi_u32 v8, s58, v6
	v_mul_lo_u32 v4, v6, s46
	s_delay_alu instid0(VALU_DEP_3) | instskip(SKIP_1) | instid1(VALU_DEP_4)
	v_mad_u32 v3, v2, s51, v3
	v_mad_u32 v2, v2, s50, v1
	v_add_nc_u32_e32 v7, v6, v8
	s_delay_alu instid0(VALU_DEP_1) | instskip(NEXT) | instid1(VALU_DEP_1)
	v_dual_sub_nc_u32 v4, v5, v4 :: v_dual_lshrrev_b32 v1, s59, v7
	v_mad_u32 v3, v4, s53, v3
	s_delay_alu instid0(VALU_DEP_4) | instskip(NEXT) | instid1(VALU_DEP_3)
	v_mad_u32 v2, v4, s52, v2
	v_mul_lo_u32 v5, v1, s57
	s_delay_alu instid0(VALU_DEP_1) | instskip(NEXT) | instid1(VALU_DEP_1)
	v_sub_nc_u32_e32 v4, v6, v5
	v_mad_u32 v3, v4, s55, v3
	s_delay_alu instid0(VALU_DEP_4)
	v_mad_u32 v2, v4, s54, v2
	s_cbranch_scc0 .LBB181_194
	s_branch .LBB181_199
.LBB181_195:
	s_bfe_i32 s24, s15, 0x80000
	s_delay_alu instid0(VALU_DEP_1) | instid1(SALU_CYCLE_1)
	v_max_i16 v1, v3, s24
	s_bfe_i32 s24, s5, 0x80000
	s_delay_alu instid0(VALU_DEP_1) | instid1(SALU_CYCLE_1)
	v_min_i16 v1, v1, s24
	s_cbranch_execz .LBB181_188
	s_branch .LBB181_189
.LBB181_196:
                                        ; implicit-def: $vgpr3
	s_branch .LBB181_203
.LBB181_197:
	v_dual_mov_b32 v3, 0 :: v_dual_mov_b32 v2, 0
	s_branch .LBB181_202
.LBB181_198:
	v_mov_b64_e32 v[2:3], 0
	v_mov_b32_e32 v1, v0
	s_mov_b32 s24, 0
.LBB181_199:
	s_and_b32 s26, s37, 3
	s_mov_b32 s25, 0
	s_cmp_eq_u32 s26, 0
	s_cbranch_scc1 .LBB181_202
; %bb.200:
	s_lshl_b32 s22, s24, 3
	s_mov_b32 s23, s25
	s_mul_u64 s[24:25], s[24:25], 12
	s_add_nc_u64 s[22:23], s[12:13], s[22:23]
	s_add_nc_u64 s[24:25], s[12:13], s[24:25]
	;; [unrolled: 1-line block ×3, first 2 shown]
.LBB181_201:                            ; =>This Inner Loop Header: Depth=1
	s_load_b96 s[36:38], s[24:25], 0x4
	s_load_b64 s[28:29], s[22:23], 0x0
	s_add_co_i32 s26, s26, -1
	s_wait_xcnt 0x0
	s_add_nc_u64 s[24:25], s[24:25], 12
	s_cmp_lg_u32 s26, 0
	s_add_nc_u64 s[22:23], s[22:23], 8
	s_wait_kmcnt 0x0
	v_mul_hi_u32 v4, s37, v1
	s_delay_alu instid0(VALU_DEP_1) | instskip(NEXT) | instid1(VALU_DEP_1)
	v_add_nc_u32_e32 v4, v1, v4
	v_lshrrev_b32_e32 v4, s38, v4
	s_delay_alu instid0(VALU_DEP_1) | instskip(NEXT) | instid1(VALU_DEP_1)
	v_mul_lo_u32 v5, v4, s36
	v_sub_nc_u32_e32 v1, v1, v5
	s_delay_alu instid0(VALU_DEP_1)
	v_mad_u32 v3, v1, s29, v3
	v_mad_u32 v2, v1, s28, v2
	v_mov_b32_e32 v1, v4
	s_cbranch_scc1 .LBB181_201
.LBB181_202:
	s_cbranch_execnz .LBB181_205
.LBB181_203:
	v_mov_b32_e32 v1, 0
	s_and_not1_b32 vcc_lo, exec_lo, s35
	s_delay_alu instid0(VALU_DEP_1) | instskip(NEXT) | instid1(VALU_DEP_1)
	v_mul_u64_e32 v[2:3], s[18:19], v[0:1]
	v_add_nc_u32_e32 v2, v0, v3
	s_delay_alu instid0(VALU_DEP_1) | instskip(NEXT) | instid1(VALU_DEP_1)
	v_lshrrev_b32_e32 v4, s6, v2
	v_mul_lo_u32 v2, v4, s4
	s_delay_alu instid0(VALU_DEP_1) | instskip(NEXT) | instid1(VALU_DEP_1)
	v_sub_nc_u32_e32 v0, v0, v2
	v_mul_lo_u32 v3, v0, s9
	v_mul_lo_u32 v2, v0, s8
	s_cbranch_vccnz .LBB181_205
; %bb.204:
	v_mov_b32_e32 v5, v1
	s_delay_alu instid0(VALU_DEP_1) | instskip(NEXT) | instid1(VALU_DEP_1)
	v_mul_u64_e32 v[0:1], s[20:21], v[4:5]
	v_add_nc_u32_e32 v0, v4, v1
	s_delay_alu instid0(VALU_DEP_1) | instskip(NEXT) | instid1(VALU_DEP_1)
	v_lshrrev_b32_e32 v0, s17, v0
	v_mul_lo_u32 v0, v0, s7
	s_delay_alu instid0(VALU_DEP_1) | instskip(NEXT) | instid1(VALU_DEP_1)
	v_sub_nc_u32_e32 v0, v4, v0
	v_mad_u32 v2, v0, s10, v2
	v_mad_u32 v3, v0, s11, v3
.LBB181_205:
	global_load_u8 v1, v3, s[2:3]
	s_cmp_lt_i32 s14, 1
	s_wait_xcnt 0x0
	s_mov_b32 s2, 0
	s_cbranch_scc1 .LBB181_208
; %bb.206:
	s_cmp_eq_u32 s14, 1
	s_cbranch_scc0 .LBB181_209
; %bb.207:
	s_wait_loadcnt 0x0
	v_bfe_i32 v0, v1, 0, 8
	s_bfe_i32 s3, s15, 0x80000
	s_delay_alu instid0(VALU_DEP_1) | instid1(SALU_CYCLE_1)
	v_min_i16 v0, v0, s3
	s_mov_b32 s3, 0
	s_branch .LBB181_210
.LBB181_208:
	s_mov_b32 s3, 0
                                        ; implicit-def: $vgpr0
	s_cbranch_execnz .LBB181_211
	s_branch .LBB181_212
.LBB181_209:
	s_mov_b32 s3, -1
                                        ; implicit-def: $vgpr0
.LBB181_210:
	s_branch .LBB181_212
.LBB181_211:
	s_cmp_lg_u32 s14, 0
	s_mov_b32 s2, -1
	s_cselect_b32 s3, -1, 0
.LBB181_212:
	s_wait_loadcnt 0x0
	v_bfe_i32 v1, v1, 0, 8
	s_and_not1_b32 vcc_lo, exec_lo, s3
	s_cbranch_vccz .LBB181_226
; %bb.213:
	s_and_not1_b32 vcc_lo, exec_lo, s2
	s_cbranch_vccnz .LBB181_215
.LBB181_214:
	s_bfe_i32 s2, s15, 0x80000
	s_delay_alu instid0(SALU_CYCLE_1)
	v_max_i16 v0, v1, s2
.LBB181_215:
	global_store_b8 v2, v0, s[0:1]
.LBB181_216:
	s_wait_xcnt 0x0
	s_or_b32 exec_lo, exec_lo, s16
                                        ; implicit-def: $vgpr16
                                        ; implicit-def: $vgpr0
.LBB181_217:
	s_and_not1_saveexec_b32 s0, s34
	s_cbranch_execz .LBB181_224
; %bb.218:
	v_cndmask_b32_e64 v14, 0, 1, s33
	s_and_not1_b32 vcc_lo, exec_lo, s33
	s_cbranch_vccnz .LBB181_225
; %bb.219:
	s_cmp_lg_u32 s30, 0
	s_mov_b32 s6, 0
	s_cbranch_scc0 .LBB181_227
; %bb.220:
	s_min_u32 s1, s31, 15
	s_delay_alu instid0(SALU_CYCLE_1)
	s_add_co_i32 s1, s1, 1
	s_cmp_eq_u32 s31, 2
	s_cbranch_scc1 .LBB181_228
; %bb.221:
	v_dual_mov_b32 v2, 0 :: v_dual_mov_b32 v3, 0
	v_mov_b32_e32 v1, v0
	s_and_b32 s0, s1, 28
	s_add_nc_u64 s[2:3], s[12:13], 0xc4
	s_mov_b32 s7, 0
	s_mov_b64 s[4:5], s[12:13]
.LBB181_222:                            ; =>This Inner Loop Header: Depth=1
	s_clause 0x1
	s_load_b256 s[16:23], s[4:5], 0x4
	s_load_b128 s[8:11], s[4:5], 0x24
	s_load_b256 s[36:43], s[2:3], 0x0
	s_add_co_i32 s7, s7, 4
	s_wait_xcnt 0x0
	s_add_nc_u64 s[4:5], s[4:5], 48
	s_cmp_lg_u32 s0, s7
	s_add_nc_u64 s[2:3], s[2:3], 32
	s_wait_kmcnt 0x0
	v_mul_hi_u32 v4, s17, v1
	s_delay_alu instid0(VALU_DEP_1) | instskip(NEXT) | instid1(VALU_DEP_1)
	v_add_nc_u32_e32 v4, v1, v4
	v_lshrrev_b32_e32 v4, s18, v4
	s_delay_alu instid0(VALU_DEP_1) | instskip(NEXT) | instid1(VALU_DEP_1)
	v_mul_hi_u32 v5, s20, v4
	v_add_nc_u32_e32 v5, v4, v5
	s_delay_alu instid0(VALU_DEP_1) | instskip(NEXT) | instid1(VALU_DEP_1)
	v_lshrrev_b32_e32 v5, s21, v5
	v_mul_hi_u32 v6, s23, v5
	s_delay_alu instid0(VALU_DEP_1) | instskip(SKIP_1) | instid1(VALU_DEP_1)
	v_add_nc_u32_e32 v6, v5, v6
	v_mul_lo_u32 v7, v4, s16
	v_sub_nc_u32_e32 v1, v1, v7
	v_mul_lo_u32 v7, v5, s19
	s_delay_alu instid0(VALU_DEP_4) | instskip(NEXT) | instid1(VALU_DEP_3)
	v_lshrrev_b32_e32 v6, s8, v6
	v_mad_u32 v3, v1, s37, v3
	v_mad_u32 v1, v1, s36, v2
	s_delay_alu instid0(VALU_DEP_4) | instskip(NEXT) | instid1(VALU_DEP_4)
	v_sub_nc_u32_e32 v2, v4, v7
	v_mul_hi_u32 v8, s10, v6
	v_mul_lo_u32 v4, v6, s22
	s_delay_alu instid0(VALU_DEP_3) | instskip(SKIP_1) | instid1(VALU_DEP_4)
	v_mad_u32 v3, v2, s39, v3
	v_mad_u32 v2, v2, s38, v1
	v_add_nc_u32_e32 v7, v6, v8
	s_delay_alu instid0(VALU_DEP_1) | instskip(NEXT) | instid1(VALU_DEP_1)
	v_dual_sub_nc_u32 v4, v5, v4 :: v_dual_lshrrev_b32 v1, s11, v7
	v_mad_u32 v3, v4, s41, v3
	s_delay_alu instid0(VALU_DEP_4) | instskip(NEXT) | instid1(VALU_DEP_3)
	v_mad_u32 v2, v4, s40, v2
	v_mul_lo_u32 v5, v1, s9
	s_delay_alu instid0(VALU_DEP_1) | instskip(NEXT) | instid1(VALU_DEP_1)
	v_sub_nc_u32_e32 v4, v6, v5
	v_mad_u32 v3, v4, s43, v3
	s_delay_alu instid0(VALU_DEP_4)
	v_mad_u32 v2, v4, s42, v2
	s_cbranch_scc1 .LBB181_222
; %bb.223:
	s_and_b32 s4, s1, 3
	s_mov_b32 s1, 0
	s_cmp_eq_u32 s4, 0
	s_cbranch_scc0 .LBB181_229
	s_branch .LBB181_231
.LBB181_224:
	s_endpgm
.LBB181_225:
	s_mov_b32 s6, -1
                                        ; implicit-def: $vgpr3
	s_branch .LBB181_231
.LBB181_226:
	s_bfe_i32 s2, s15, 0x80000
	s_delay_alu instid0(VALU_DEP_1) | instid1(SALU_CYCLE_1)
	v_max_i16 v0, v1, s2
	s_bfe_i32 s2, s5, 0x80000
	s_delay_alu instid0(VALU_DEP_1) | instid1(SALU_CYCLE_1)
	v_min_i16 v0, v0, s2
	s_cbranch_execz .LBB181_214
	s_branch .LBB181_215
.LBB181_227:
	v_dual_mov_b32 v3, 0 :: v_dual_mov_b32 v2, 0
	s_branch .LBB181_231
.LBB181_228:
	v_mov_b64_e32 v[2:3], 0
	v_mov_b32_e32 v1, v0
	s_mov_b32 s0, 0
	s_and_b32 s4, s1, 3
	s_mov_b32 s1, 0
	s_cmp_eq_u32 s4, 0
	s_cbranch_scc1 .LBB181_231
.LBB181_229:
	s_lshl_b32 s2, s0, 3
	s_mov_b32 s3, s1
	s_mul_u64 s[8:9], s[0:1], 12
	s_add_nc_u64 s[2:3], s[12:13], s[2:3]
	s_delay_alu instid0(SALU_CYCLE_1)
	s_add_nc_u64 s[0:1], s[2:3], 0xc4
	s_add_nc_u64 s[2:3], s[12:13], s[8:9]
.LBB181_230:                            ; =>This Inner Loop Header: Depth=1
	s_load_b96 s[8:10], s[2:3], 0x4
	s_add_co_i32 s4, s4, -1
	s_wait_xcnt 0x0
	s_add_nc_u64 s[2:3], s[2:3], 12
	s_cmp_lg_u32 s4, 0
	s_wait_kmcnt 0x0
	v_mul_hi_u32 v4, s9, v1
	s_delay_alu instid0(VALU_DEP_1) | instskip(NEXT) | instid1(VALU_DEP_1)
	v_add_nc_u32_e32 v4, v1, v4
	v_lshrrev_b32_e32 v4, s10, v4
	s_load_b64 s[10:11], s[0:1], 0x0
	s_wait_xcnt 0x0
	s_add_nc_u64 s[0:1], s[0:1], 8
	s_delay_alu instid0(VALU_DEP_1) | instskip(NEXT) | instid1(VALU_DEP_1)
	v_mul_lo_u32 v5, v4, s8
	v_sub_nc_u32_e32 v1, v1, v5
	s_wait_kmcnt 0x0
	s_delay_alu instid0(VALU_DEP_1)
	v_mad_u32 v3, v1, s11, v3
	v_mad_u32 v2, v1, s10, v2
	v_mov_b32_e32 v1, v4
	s_cbranch_scc1 .LBB181_230
.LBB181_231:
	s_and_not1_b32 vcc_lo, exec_lo, s6
	s_cbranch_vccnz .LBB181_234
; %bb.232:
	s_clause 0x1
	s_load_b96 s[0:2], s[12:13], 0x4
	s_load_b64 s[4:5], s[12:13], 0xc4
	s_cmp_lt_u32 s30, 2
	s_wait_kmcnt 0x0
	v_mul_hi_u32 v1, s1, v0
	s_delay_alu instid0(VALU_DEP_1) | instskip(NEXT) | instid1(VALU_DEP_1)
	v_add_nc_u32_e32 v1, v0, v1
	v_lshrrev_b32_e32 v1, s2, v1
	s_delay_alu instid0(VALU_DEP_1) | instskip(NEXT) | instid1(VALU_DEP_1)
	v_mul_lo_u32 v2, v1, s0
	v_sub_nc_u32_e32 v2, v0, v2
	s_delay_alu instid0(VALU_DEP_1)
	v_mul_lo_u32 v3, v2, s5
	v_mul_lo_u32 v2, v2, s4
	s_cbranch_scc1 .LBB181_234
; %bb.233:
	s_clause 0x1
	s_load_b96 s[0:2], s[12:13], 0x10
	s_load_b64 s[4:5], s[12:13], 0xcc
	s_wait_kmcnt 0x0
	v_mul_hi_u32 v4, s1, v1
	s_delay_alu instid0(VALU_DEP_1) | instskip(NEXT) | instid1(VALU_DEP_1)
	v_add_nc_u32_e32 v4, v1, v4
	v_lshrrev_b32_e32 v4, s2, v4
	s_delay_alu instid0(VALU_DEP_1) | instskip(NEXT) | instid1(VALU_DEP_1)
	v_mul_lo_u32 v4, v4, s0
	v_sub_nc_u32_e32 v1, v1, v4
	s_delay_alu instid0(VALU_DEP_1)
	v_mad_u32 v2, v1, s4, v2
	v_mad_u32 v3, v1, s5, v3
.LBB181_234:
	v_cmp_ne_u32_e32 vcc_lo, 1, v14
	v_add_nc_u32_e32 v1, 0x80, v0
	s_cbranch_vccnz .LBB181_240
; %bb.235:
	s_cmp_lg_u32 s30, 0
	s_mov_b32 s6, 0
	s_cbranch_scc0 .LBB181_241
; %bb.236:
	s_min_u32 s1, s31, 15
	s_delay_alu instid0(SALU_CYCLE_1)
	s_add_co_i32 s1, s1, 1
	s_cmp_eq_u32 s31, 2
	s_cbranch_scc1 .LBB181_242
; %bb.237:
	v_dual_mov_b32 v4, 0 :: v_dual_mov_b32 v5, 0
	v_mov_b32_e32 v6, v1
	s_and_b32 s0, s1, 28
	s_add_nc_u64 s[2:3], s[12:13], 0xc4
	s_mov_b32 s7, 0
	s_mov_b64 s[4:5], s[12:13]
.LBB181_238:                            ; =>This Inner Loop Header: Depth=1
	s_clause 0x1
	s_load_b256 s[16:23], s[4:5], 0x4
	s_load_b128 s[8:11], s[4:5], 0x24
	s_load_b256 s[36:43], s[2:3], 0x0
	s_add_co_i32 s7, s7, 4
	s_wait_xcnt 0x0
	s_add_nc_u64 s[4:5], s[4:5], 48
	s_cmp_lg_u32 s0, s7
	s_add_nc_u64 s[2:3], s[2:3], 32
	s_wait_kmcnt 0x0
	v_mul_hi_u32 v7, s17, v6
	s_delay_alu instid0(VALU_DEP_1) | instskip(NEXT) | instid1(VALU_DEP_1)
	v_add_nc_u32_e32 v7, v6, v7
	v_lshrrev_b32_e32 v7, s18, v7
	s_delay_alu instid0(VALU_DEP_1) | instskip(NEXT) | instid1(VALU_DEP_1)
	v_mul_hi_u32 v8, s20, v7
	v_add_nc_u32_e32 v8, v7, v8
	s_delay_alu instid0(VALU_DEP_1) | instskip(NEXT) | instid1(VALU_DEP_1)
	v_lshrrev_b32_e32 v8, s21, v8
	v_mul_hi_u32 v9, s23, v8
	s_delay_alu instid0(VALU_DEP_1) | instskip(SKIP_1) | instid1(VALU_DEP_1)
	v_add_nc_u32_e32 v9, v8, v9
	v_mul_lo_u32 v10, v7, s16
	v_sub_nc_u32_e32 v6, v6, v10
	v_mul_lo_u32 v10, v8, s19
	s_delay_alu instid0(VALU_DEP_4) | instskip(NEXT) | instid1(VALU_DEP_3)
	v_lshrrev_b32_e32 v9, s8, v9
	v_mad_u32 v5, v6, s37, v5
	v_mad_u32 v4, v6, s36, v4
	s_delay_alu instid0(VALU_DEP_4) | instskip(NEXT) | instid1(VALU_DEP_4)
	v_sub_nc_u32_e32 v6, v7, v10
	v_mul_hi_u32 v11, s10, v9
	v_mul_lo_u32 v7, v9, s22
	s_delay_alu instid0(VALU_DEP_3) | instskip(SKIP_1) | instid1(VALU_DEP_4)
	v_mad_u32 v5, v6, s39, v5
	v_mad_u32 v4, v6, s38, v4
	v_add_nc_u32_e32 v10, v9, v11
	s_delay_alu instid0(VALU_DEP_1) | instskip(NEXT) | instid1(VALU_DEP_1)
	v_dual_sub_nc_u32 v7, v8, v7 :: v_dual_lshrrev_b32 v6, s11, v10
	v_mad_u32 v5, v7, s41, v5
	s_delay_alu instid0(VALU_DEP_4) | instskip(NEXT) | instid1(VALU_DEP_3)
	v_mad_u32 v4, v7, s40, v4
	v_mul_lo_u32 v8, v6, s9
	s_delay_alu instid0(VALU_DEP_1) | instskip(NEXT) | instid1(VALU_DEP_1)
	v_sub_nc_u32_e32 v7, v9, v8
	v_mad_u32 v5, v7, s43, v5
	s_delay_alu instid0(VALU_DEP_4)
	v_mad_u32 v4, v7, s42, v4
	s_cbranch_scc1 .LBB181_238
; %bb.239:
	s_and_b32 s4, s1, 3
	s_mov_b32 s1, 0
	s_cmp_eq_u32 s4, 0
	s_cbranch_scc0 .LBB181_243
	s_branch .LBB181_245
.LBB181_240:
	s_mov_b32 s6, -1
                                        ; implicit-def: $vgpr5
	s_branch .LBB181_245
.LBB181_241:
	v_dual_mov_b32 v5, 0 :: v_dual_mov_b32 v4, 0
	s_branch .LBB181_245
.LBB181_242:
	v_mov_b64_e32 v[4:5], 0
	v_mov_b32_e32 v6, v1
	s_mov_b32 s0, 0
	s_and_b32 s4, s1, 3
	s_mov_b32 s1, 0
	s_cmp_eq_u32 s4, 0
	s_cbranch_scc1 .LBB181_245
.LBB181_243:
	s_lshl_b32 s2, s0, 3
	s_mov_b32 s3, s1
	s_mul_u64 s[8:9], s[0:1], 12
	s_add_nc_u64 s[2:3], s[12:13], s[2:3]
	s_delay_alu instid0(SALU_CYCLE_1)
	s_add_nc_u64 s[0:1], s[2:3], 0xc4
	s_add_nc_u64 s[2:3], s[12:13], s[8:9]
.LBB181_244:                            ; =>This Inner Loop Header: Depth=1
	s_load_b96 s[8:10], s[2:3], 0x4
	s_add_co_i32 s4, s4, -1
	s_wait_xcnt 0x0
	s_add_nc_u64 s[2:3], s[2:3], 12
	s_cmp_lg_u32 s4, 0
	s_wait_kmcnt 0x0
	v_mul_hi_u32 v7, s9, v6
	s_delay_alu instid0(VALU_DEP_1) | instskip(NEXT) | instid1(VALU_DEP_1)
	v_add_nc_u32_e32 v7, v6, v7
	v_lshrrev_b32_e32 v7, s10, v7
	s_load_b64 s[10:11], s[0:1], 0x0
	s_wait_xcnt 0x0
	s_add_nc_u64 s[0:1], s[0:1], 8
	s_delay_alu instid0(VALU_DEP_1) | instskip(NEXT) | instid1(VALU_DEP_1)
	v_mul_lo_u32 v8, v7, s8
	v_sub_nc_u32_e32 v6, v6, v8
	s_wait_kmcnt 0x0
	s_delay_alu instid0(VALU_DEP_1)
	v_mad_u32 v5, v6, s11, v5
	v_mad_u32 v4, v6, s10, v4
	v_mov_b32_e32 v6, v7
	s_cbranch_scc1 .LBB181_244
.LBB181_245:
	s_and_not1_b32 vcc_lo, exec_lo, s6
	s_cbranch_vccnz .LBB181_248
; %bb.246:
	s_clause 0x1
	s_load_b96 s[0:2], s[12:13], 0x4
	s_load_b64 s[4:5], s[12:13], 0xc4
	s_cmp_lt_u32 s30, 2
	s_wait_kmcnt 0x0
	v_mul_hi_u32 v4, s1, v1
	s_delay_alu instid0(VALU_DEP_1) | instskip(NEXT) | instid1(VALU_DEP_1)
	v_add_nc_u32_e32 v4, v1, v4
	v_lshrrev_b32_e32 v6, s2, v4
	s_delay_alu instid0(VALU_DEP_1) | instskip(NEXT) | instid1(VALU_DEP_1)
	v_mul_lo_u32 v4, v6, s0
	v_sub_nc_u32_e32 v1, v1, v4
	s_delay_alu instid0(VALU_DEP_1)
	v_mul_lo_u32 v5, v1, s5
	v_mul_lo_u32 v4, v1, s4
	s_cbranch_scc1 .LBB181_248
; %bb.247:
	s_clause 0x1
	s_load_b96 s[0:2], s[12:13], 0x10
	s_load_b64 s[4:5], s[12:13], 0xcc
	s_wait_kmcnt 0x0
	v_mul_hi_u32 v1, s1, v6
	s_delay_alu instid0(VALU_DEP_1) | instskip(NEXT) | instid1(VALU_DEP_1)
	v_add_nc_u32_e32 v1, v6, v1
	v_lshrrev_b32_e32 v1, s2, v1
	s_delay_alu instid0(VALU_DEP_1) | instskip(NEXT) | instid1(VALU_DEP_1)
	v_mul_lo_u32 v1, v1, s0
	v_sub_nc_u32_e32 v1, v6, v1
	s_delay_alu instid0(VALU_DEP_1)
	v_mad_u32 v4, v1, s4, v4
	v_mad_u32 v5, v1, s5, v5
.LBB181_248:
	v_cmp_ne_u32_e32 vcc_lo, 1, v14
	v_add_nc_u32_e32 v1, 0x100, v0
	s_cbranch_vccnz .LBB181_254
; %bb.249:
	s_cmp_lg_u32 s30, 0
	s_mov_b32 s6, 0
	s_cbranch_scc0 .LBB181_255
; %bb.250:
	s_min_u32 s1, s31, 15
	s_delay_alu instid0(SALU_CYCLE_1)
	s_add_co_i32 s1, s1, 1
	s_cmp_eq_u32 s31, 2
	s_cbranch_scc1 .LBB181_256
; %bb.251:
	v_dual_mov_b32 v6, 0 :: v_dual_mov_b32 v7, 0
	v_mov_b32_e32 v8, v1
	s_and_b32 s0, s1, 28
	s_add_nc_u64 s[2:3], s[12:13], 0xc4
	s_mov_b32 s7, 0
	s_mov_b64 s[4:5], s[12:13]
.LBB181_252:                            ; =>This Inner Loop Header: Depth=1
	s_clause 0x1
	s_load_b256 s[16:23], s[4:5], 0x4
	s_load_b128 s[8:11], s[4:5], 0x24
	s_load_b256 s[36:43], s[2:3], 0x0
	s_add_co_i32 s7, s7, 4
	s_wait_xcnt 0x0
	s_add_nc_u64 s[4:5], s[4:5], 48
	s_cmp_lg_u32 s0, s7
	s_add_nc_u64 s[2:3], s[2:3], 32
	s_wait_kmcnt 0x0
	v_mul_hi_u32 v9, s17, v8
	s_delay_alu instid0(VALU_DEP_1) | instskip(NEXT) | instid1(VALU_DEP_1)
	v_add_nc_u32_e32 v9, v8, v9
	v_lshrrev_b32_e32 v9, s18, v9
	s_delay_alu instid0(VALU_DEP_1) | instskip(NEXT) | instid1(VALU_DEP_1)
	v_mul_hi_u32 v10, s20, v9
	v_add_nc_u32_e32 v10, v9, v10
	s_delay_alu instid0(VALU_DEP_1) | instskip(NEXT) | instid1(VALU_DEP_1)
	v_lshrrev_b32_e32 v10, s21, v10
	v_mul_hi_u32 v11, s23, v10
	s_delay_alu instid0(VALU_DEP_1) | instskip(SKIP_1) | instid1(VALU_DEP_1)
	v_add_nc_u32_e32 v11, v10, v11
	v_mul_lo_u32 v12, v9, s16
	v_sub_nc_u32_e32 v8, v8, v12
	v_mul_lo_u32 v12, v10, s19
	s_delay_alu instid0(VALU_DEP_4) | instskip(NEXT) | instid1(VALU_DEP_3)
	v_lshrrev_b32_e32 v11, s8, v11
	v_mad_u32 v7, v8, s37, v7
	v_mad_u32 v6, v8, s36, v6
	s_delay_alu instid0(VALU_DEP_4) | instskip(NEXT) | instid1(VALU_DEP_4)
	v_sub_nc_u32_e32 v8, v9, v12
	v_mul_hi_u32 v13, s10, v11
	v_mul_lo_u32 v9, v11, s22
	s_delay_alu instid0(VALU_DEP_3) | instskip(SKIP_1) | instid1(VALU_DEP_4)
	v_mad_u32 v7, v8, s39, v7
	v_mad_u32 v6, v8, s38, v6
	v_add_nc_u32_e32 v12, v11, v13
	s_delay_alu instid0(VALU_DEP_1) | instskip(NEXT) | instid1(VALU_DEP_1)
	v_dual_sub_nc_u32 v9, v10, v9 :: v_dual_lshrrev_b32 v8, s11, v12
	v_mad_u32 v7, v9, s41, v7
	s_delay_alu instid0(VALU_DEP_4) | instskip(NEXT) | instid1(VALU_DEP_3)
	v_mad_u32 v6, v9, s40, v6
	v_mul_lo_u32 v10, v8, s9
	s_delay_alu instid0(VALU_DEP_1) | instskip(NEXT) | instid1(VALU_DEP_1)
	v_sub_nc_u32_e32 v9, v11, v10
	v_mad_u32 v7, v9, s43, v7
	s_delay_alu instid0(VALU_DEP_4)
	v_mad_u32 v6, v9, s42, v6
	s_cbranch_scc1 .LBB181_252
; %bb.253:
	s_and_b32 s4, s1, 3
	s_mov_b32 s1, 0
	s_cmp_eq_u32 s4, 0
	s_cbranch_scc0 .LBB181_257
	s_branch .LBB181_259
.LBB181_254:
	s_mov_b32 s6, -1
                                        ; implicit-def: $vgpr7
	s_branch .LBB181_259
.LBB181_255:
	v_dual_mov_b32 v7, 0 :: v_dual_mov_b32 v6, 0
	s_branch .LBB181_259
.LBB181_256:
	v_mov_b64_e32 v[6:7], 0
	v_mov_b32_e32 v8, v1
	s_mov_b32 s0, 0
	s_and_b32 s4, s1, 3
	s_mov_b32 s1, 0
	s_cmp_eq_u32 s4, 0
	s_cbranch_scc1 .LBB181_259
.LBB181_257:
	s_lshl_b32 s2, s0, 3
	s_mov_b32 s3, s1
	s_mul_u64 s[8:9], s[0:1], 12
	s_add_nc_u64 s[2:3], s[12:13], s[2:3]
	s_delay_alu instid0(SALU_CYCLE_1)
	s_add_nc_u64 s[0:1], s[2:3], 0xc4
	s_add_nc_u64 s[2:3], s[12:13], s[8:9]
.LBB181_258:                            ; =>This Inner Loop Header: Depth=1
	s_load_b96 s[8:10], s[2:3], 0x4
	s_add_co_i32 s4, s4, -1
	s_wait_xcnt 0x0
	s_add_nc_u64 s[2:3], s[2:3], 12
	s_cmp_lg_u32 s4, 0
	s_wait_kmcnt 0x0
	v_mul_hi_u32 v9, s9, v8
	s_delay_alu instid0(VALU_DEP_1) | instskip(NEXT) | instid1(VALU_DEP_1)
	v_add_nc_u32_e32 v9, v8, v9
	v_lshrrev_b32_e32 v9, s10, v9
	s_load_b64 s[10:11], s[0:1], 0x0
	s_wait_xcnt 0x0
	s_add_nc_u64 s[0:1], s[0:1], 8
	s_delay_alu instid0(VALU_DEP_1) | instskip(NEXT) | instid1(VALU_DEP_1)
	v_mul_lo_u32 v10, v9, s8
	v_sub_nc_u32_e32 v8, v8, v10
	s_wait_kmcnt 0x0
	s_delay_alu instid0(VALU_DEP_1)
	v_mad_u32 v7, v8, s11, v7
	v_mad_u32 v6, v8, s10, v6
	v_mov_b32_e32 v8, v9
	s_cbranch_scc1 .LBB181_258
.LBB181_259:
	s_and_not1_b32 vcc_lo, exec_lo, s6
	s_cbranch_vccnz .LBB181_262
; %bb.260:
	s_clause 0x1
	s_load_b96 s[0:2], s[12:13], 0x4
	s_load_b64 s[4:5], s[12:13], 0xc4
	s_cmp_lt_u32 s30, 2
	s_wait_kmcnt 0x0
	v_mul_hi_u32 v6, s1, v1
	s_delay_alu instid0(VALU_DEP_1) | instskip(NEXT) | instid1(VALU_DEP_1)
	v_add_nc_u32_e32 v6, v1, v6
	v_lshrrev_b32_e32 v8, s2, v6
	s_delay_alu instid0(VALU_DEP_1) | instskip(NEXT) | instid1(VALU_DEP_1)
	v_mul_lo_u32 v6, v8, s0
	v_sub_nc_u32_e32 v1, v1, v6
	s_delay_alu instid0(VALU_DEP_1)
	v_mul_lo_u32 v7, v1, s5
	v_mul_lo_u32 v6, v1, s4
	s_cbranch_scc1 .LBB181_262
; %bb.261:
	s_clause 0x1
	s_load_b96 s[0:2], s[12:13], 0x10
	s_load_b64 s[4:5], s[12:13], 0xcc
	s_wait_kmcnt 0x0
	v_mul_hi_u32 v1, s1, v8
	s_delay_alu instid0(VALU_DEP_1) | instskip(NEXT) | instid1(VALU_DEP_1)
	v_add_nc_u32_e32 v1, v8, v1
	v_lshrrev_b32_e32 v1, s2, v1
	s_delay_alu instid0(VALU_DEP_1) | instskip(NEXT) | instid1(VALU_DEP_1)
	v_mul_lo_u32 v1, v1, s0
	v_sub_nc_u32_e32 v1, v8, v1
	s_delay_alu instid0(VALU_DEP_1)
	v_mad_u32 v6, v1, s4, v6
	v_mad_u32 v7, v1, s5, v7
.LBB181_262:
	v_cmp_ne_u32_e32 vcc_lo, 1, v14
	v_add_nc_u32_e32 v1, 0x180, v0
	s_cbranch_vccnz .LBB181_268
; %bb.263:
	s_cmp_lg_u32 s30, 0
	s_mov_b32 s6, 0
	s_cbranch_scc0 .LBB181_269
; %bb.264:
	s_min_u32 s1, s31, 15
	s_delay_alu instid0(SALU_CYCLE_1)
	s_add_co_i32 s1, s1, 1
	s_cmp_eq_u32 s31, 2
	s_cbranch_scc1 .LBB181_270
; %bb.265:
	v_dual_mov_b32 v8, 0 :: v_dual_mov_b32 v9, 0
	v_mov_b32_e32 v10, v1
	s_and_b32 s0, s1, 28
	s_add_nc_u64 s[2:3], s[12:13], 0xc4
	s_mov_b32 s7, 0
	s_mov_b64 s[4:5], s[12:13]
.LBB181_266:                            ; =>This Inner Loop Header: Depth=1
	s_clause 0x1
	s_load_b256 s[16:23], s[4:5], 0x4
	s_load_b128 s[8:11], s[4:5], 0x24
	s_load_b256 s[36:43], s[2:3], 0x0
	s_add_co_i32 s7, s7, 4
	s_wait_xcnt 0x0
	s_add_nc_u64 s[4:5], s[4:5], 48
	s_cmp_lg_u32 s0, s7
	s_add_nc_u64 s[2:3], s[2:3], 32
	s_wait_kmcnt 0x0
	v_mul_hi_u32 v11, s17, v10
	s_delay_alu instid0(VALU_DEP_1) | instskip(NEXT) | instid1(VALU_DEP_1)
	v_add_nc_u32_e32 v11, v10, v11
	v_lshrrev_b32_e32 v11, s18, v11
	s_delay_alu instid0(VALU_DEP_1) | instskip(NEXT) | instid1(VALU_DEP_1)
	v_mul_hi_u32 v12, s20, v11
	v_add_nc_u32_e32 v12, v11, v12
	s_delay_alu instid0(VALU_DEP_1) | instskip(NEXT) | instid1(VALU_DEP_1)
	v_lshrrev_b32_e32 v12, s21, v12
	v_mul_hi_u32 v13, s23, v12
	s_delay_alu instid0(VALU_DEP_1) | instskip(SKIP_1) | instid1(VALU_DEP_1)
	v_add_nc_u32_e32 v13, v12, v13
	v_mul_lo_u32 v15, v11, s16
	v_sub_nc_u32_e32 v10, v10, v15
	v_mul_lo_u32 v15, v12, s19
	s_delay_alu instid0(VALU_DEP_4) | instskip(NEXT) | instid1(VALU_DEP_3)
	v_lshrrev_b32_e32 v13, s8, v13
	v_mad_u32 v9, v10, s37, v9
	v_mad_u32 v8, v10, s36, v8
	s_delay_alu instid0(VALU_DEP_4) | instskip(NEXT) | instid1(VALU_DEP_4)
	v_sub_nc_u32_e32 v10, v11, v15
	v_mul_hi_u32 v17, s10, v13
	v_mul_lo_u32 v11, v13, s22
	s_delay_alu instid0(VALU_DEP_3) | instskip(SKIP_1) | instid1(VALU_DEP_3)
	v_mad_u32 v9, v10, s39, v9
	v_mad_u32 v8, v10, s38, v8
	v_dual_add_nc_u32 v15, v13, v17 :: v_dual_sub_nc_u32 v11, v12, v11
	s_delay_alu instid0(VALU_DEP_1) | instskip(NEXT) | instid1(VALU_DEP_2)
	v_lshrrev_b32_e32 v10, s11, v15
	v_mad_u32 v9, v11, s41, v9
	s_delay_alu instid0(VALU_DEP_4) | instskip(NEXT) | instid1(VALU_DEP_3)
	v_mad_u32 v8, v11, s40, v8
	v_mul_lo_u32 v12, v10, s9
	s_delay_alu instid0(VALU_DEP_1) | instskip(NEXT) | instid1(VALU_DEP_1)
	v_sub_nc_u32_e32 v11, v13, v12
	v_mad_u32 v9, v11, s43, v9
	s_delay_alu instid0(VALU_DEP_4)
	v_mad_u32 v8, v11, s42, v8
	s_cbranch_scc1 .LBB181_266
; %bb.267:
	s_and_b32 s4, s1, 3
	s_mov_b32 s1, 0
	s_cmp_eq_u32 s4, 0
	s_cbranch_scc0 .LBB181_271
	s_branch .LBB181_273
.LBB181_268:
	s_mov_b32 s6, -1
                                        ; implicit-def: $vgpr9
	s_branch .LBB181_273
.LBB181_269:
	v_dual_mov_b32 v9, 0 :: v_dual_mov_b32 v8, 0
	s_branch .LBB181_273
.LBB181_270:
	v_mov_b64_e32 v[8:9], 0
	v_mov_b32_e32 v10, v1
	s_mov_b32 s0, 0
	s_and_b32 s4, s1, 3
	s_mov_b32 s1, 0
	s_cmp_eq_u32 s4, 0
	s_cbranch_scc1 .LBB181_273
.LBB181_271:
	s_lshl_b32 s2, s0, 3
	s_mov_b32 s3, s1
	s_mul_u64 s[8:9], s[0:1], 12
	s_add_nc_u64 s[2:3], s[12:13], s[2:3]
	s_delay_alu instid0(SALU_CYCLE_1)
	s_add_nc_u64 s[0:1], s[2:3], 0xc4
	s_add_nc_u64 s[2:3], s[12:13], s[8:9]
.LBB181_272:                            ; =>This Inner Loop Header: Depth=1
	s_load_b96 s[8:10], s[2:3], 0x4
	s_add_co_i32 s4, s4, -1
	s_wait_xcnt 0x0
	s_add_nc_u64 s[2:3], s[2:3], 12
	s_cmp_lg_u32 s4, 0
	s_wait_kmcnt 0x0
	v_mul_hi_u32 v11, s9, v10
	s_delay_alu instid0(VALU_DEP_1) | instskip(NEXT) | instid1(VALU_DEP_1)
	v_add_nc_u32_e32 v11, v10, v11
	v_lshrrev_b32_e32 v11, s10, v11
	s_load_b64 s[10:11], s[0:1], 0x0
	s_wait_xcnt 0x0
	s_add_nc_u64 s[0:1], s[0:1], 8
	s_delay_alu instid0(VALU_DEP_1) | instskip(NEXT) | instid1(VALU_DEP_1)
	v_mul_lo_u32 v12, v11, s8
	v_sub_nc_u32_e32 v10, v10, v12
	s_wait_kmcnt 0x0
	s_delay_alu instid0(VALU_DEP_1)
	v_mad_u32 v9, v10, s11, v9
	v_mad_u32 v8, v10, s10, v8
	v_mov_b32_e32 v10, v11
	s_cbranch_scc1 .LBB181_272
.LBB181_273:
	s_and_not1_b32 vcc_lo, exec_lo, s6
	s_cbranch_vccnz .LBB181_276
; %bb.274:
	s_clause 0x1
	s_load_b96 s[0:2], s[12:13], 0x4
	s_load_b64 s[4:5], s[12:13], 0xc4
	s_cmp_lt_u32 s30, 2
	s_wait_kmcnt 0x0
	v_mul_hi_u32 v8, s1, v1
	s_delay_alu instid0(VALU_DEP_1) | instskip(NEXT) | instid1(VALU_DEP_1)
	v_add_nc_u32_e32 v8, v1, v8
	v_lshrrev_b32_e32 v10, s2, v8
	s_delay_alu instid0(VALU_DEP_1) | instskip(NEXT) | instid1(VALU_DEP_1)
	v_mul_lo_u32 v8, v10, s0
	v_sub_nc_u32_e32 v1, v1, v8
	s_delay_alu instid0(VALU_DEP_1)
	v_mul_lo_u32 v9, v1, s5
	v_mul_lo_u32 v8, v1, s4
	s_cbranch_scc1 .LBB181_276
; %bb.275:
	s_clause 0x1
	s_load_b96 s[0:2], s[12:13], 0x10
	s_load_b64 s[4:5], s[12:13], 0xcc
	s_wait_kmcnt 0x0
	v_mul_hi_u32 v1, s1, v10
	s_delay_alu instid0(VALU_DEP_1) | instskip(NEXT) | instid1(VALU_DEP_1)
	v_add_nc_u32_e32 v1, v10, v1
	v_lshrrev_b32_e32 v1, s2, v1
	s_delay_alu instid0(VALU_DEP_1) | instskip(NEXT) | instid1(VALU_DEP_1)
	v_mul_lo_u32 v1, v1, s0
	v_sub_nc_u32_e32 v1, v10, v1
	s_delay_alu instid0(VALU_DEP_1)
	v_mad_u32 v8, v1, s4, v8
	v_mad_u32 v9, v1, s5, v9
.LBB181_276:
	v_cmp_ne_u32_e32 vcc_lo, 1, v14
	v_add_nc_u32_e32 v1, 0x200, v0
	s_cbranch_vccnz .LBB181_282
; %bb.277:
	s_cmp_lg_u32 s30, 0
	s_mov_b32 s6, 0
	s_cbranch_scc0 .LBB181_283
; %bb.278:
	s_min_u32 s1, s31, 15
	s_delay_alu instid0(SALU_CYCLE_1)
	s_add_co_i32 s1, s1, 1
	s_cmp_eq_u32 s31, 2
	s_cbranch_scc1 .LBB181_284
; %bb.279:
	v_dual_mov_b32 v10, 0 :: v_dual_mov_b32 v11, 0
	v_mov_b32_e32 v12, v1
	s_and_b32 s0, s1, 28
	s_add_nc_u64 s[2:3], s[12:13], 0xc4
	s_mov_b32 s7, 0
	s_mov_b64 s[4:5], s[12:13]
.LBB181_280:                            ; =>This Inner Loop Header: Depth=1
	s_clause 0x1
	s_load_b256 s[16:23], s[4:5], 0x4
	s_load_b128 s[8:11], s[4:5], 0x24
	s_load_b256 s[36:43], s[2:3], 0x0
	s_add_co_i32 s7, s7, 4
	s_wait_xcnt 0x0
	s_add_nc_u64 s[4:5], s[4:5], 48
	s_cmp_lg_u32 s0, s7
	s_add_nc_u64 s[2:3], s[2:3], 32
	s_wait_kmcnt 0x0
	v_mul_hi_u32 v13, s17, v12
	s_delay_alu instid0(VALU_DEP_1) | instskip(NEXT) | instid1(VALU_DEP_1)
	v_add_nc_u32_e32 v13, v12, v13
	v_lshrrev_b32_e32 v13, s18, v13
	s_delay_alu instid0(VALU_DEP_1) | instskip(NEXT) | instid1(VALU_DEP_1)
	v_mul_lo_u32 v18, v13, s16
	v_sub_nc_u32_e32 v12, v12, v18
	v_mul_hi_u32 v15, s20, v13
	s_delay_alu instid0(VALU_DEP_2) | instskip(SKIP_1) | instid1(VALU_DEP_3)
	v_mad_u32 v11, v12, s37, v11
	v_mad_u32 v10, v12, s36, v10
	v_add_nc_u32_e32 v15, v13, v15
	s_delay_alu instid0(VALU_DEP_1) | instskip(NEXT) | instid1(VALU_DEP_1)
	v_lshrrev_b32_e32 v15, s21, v15
	v_mul_hi_u32 v17, s23, v15
	v_mul_lo_u32 v18, v15, s19
	s_delay_alu instid0(VALU_DEP_1) | instskip(NEXT) | instid1(VALU_DEP_1)
	v_dual_add_nc_u32 v17, v15, v17 :: v_dual_sub_nc_u32 v12, v13, v18
	v_lshrrev_b32_e32 v17, s8, v17
	s_delay_alu instid0(VALU_DEP_2) | instskip(SKIP_1) | instid1(VALU_DEP_3)
	v_mad_u32 v11, v12, s39, v11
	v_mad_u32 v10, v12, s38, v10
	v_mul_hi_u32 v19, s10, v17
	v_mul_lo_u32 v13, v17, s22
	s_delay_alu instid0(VALU_DEP_1) | instskip(NEXT) | instid1(VALU_DEP_1)
	v_dual_add_nc_u32 v18, v17, v19 :: v_dual_sub_nc_u32 v13, v15, v13
	v_lshrrev_b32_e32 v12, s11, v18
	s_delay_alu instid0(VALU_DEP_2) | instskip(SKIP_1) | instid1(VALU_DEP_3)
	v_mad_u32 v11, v13, s41, v11
	v_mad_u32 v10, v13, s40, v10
	v_mul_lo_u32 v15, v12, s9
	s_delay_alu instid0(VALU_DEP_1) | instskip(NEXT) | instid1(VALU_DEP_1)
	v_sub_nc_u32_e32 v13, v17, v15
	v_mad_u32 v11, v13, s43, v11
	s_delay_alu instid0(VALU_DEP_4)
	v_mad_u32 v10, v13, s42, v10
	s_cbranch_scc1 .LBB181_280
; %bb.281:
	s_and_b32 s4, s1, 3
	s_mov_b32 s1, 0
	s_cmp_eq_u32 s4, 0
	s_cbranch_scc0 .LBB181_285
	s_branch .LBB181_287
.LBB181_282:
	s_mov_b32 s6, -1
                                        ; implicit-def: $vgpr11
	s_branch .LBB181_287
.LBB181_283:
	v_dual_mov_b32 v11, 0 :: v_dual_mov_b32 v10, 0
	s_branch .LBB181_287
.LBB181_284:
	v_mov_b64_e32 v[10:11], 0
	v_mov_b32_e32 v12, v1
	s_mov_b32 s0, 0
	s_and_b32 s4, s1, 3
	s_mov_b32 s1, 0
	s_cmp_eq_u32 s4, 0
	s_cbranch_scc1 .LBB181_287
.LBB181_285:
	s_lshl_b32 s2, s0, 3
	s_mov_b32 s3, s1
	s_mul_u64 s[8:9], s[0:1], 12
	s_add_nc_u64 s[2:3], s[12:13], s[2:3]
	s_delay_alu instid0(SALU_CYCLE_1)
	s_add_nc_u64 s[0:1], s[2:3], 0xc4
	s_add_nc_u64 s[2:3], s[12:13], s[8:9]
.LBB181_286:                            ; =>This Inner Loop Header: Depth=1
	s_load_b96 s[8:10], s[2:3], 0x4
	s_add_co_i32 s4, s4, -1
	s_wait_xcnt 0x0
	s_add_nc_u64 s[2:3], s[2:3], 12
	s_cmp_lg_u32 s4, 0
	s_wait_kmcnt 0x0
	v_mul_hi_u32 v13, s9, v12
	s_delay_alu instid0(VALU_DEP_1) | instskip(NEXT) | instid1(VALU_DEP_1)
	v_add_nc_u32_e32 v13, v12, v13
	v_lshrrev_b32_e32 v13, s10, v13
	s_load_b64 s[10:11], s[0:1], 0x0
	s_wait_xcnt 0x0
	s_add_nc_u64 s[0:1], s[0:1], 8
	s_delay_alu instid0(VALU_DEP_1) | instskip(NEXT) | instid1(VALU_DEP_1)
	v_mul_lo_u32 v15, v13, s8
	v_sub_nc_u32_e32 v12, v12, v15
	s_wait_kmcnt 0x0
	s_delay_alu instid0(VALU_DEP_1)
	v_mad_u32 v11, v12, s11, v11
	v_mad_u32 v10, v12, s10, v10
	v_mov_b32_e32 v12, v13
	s_cbranch_scc1 .LBB181_286
.LBB181_287:
	s_and_not1_b32 vcc_lo, exec_lo, s6
	s_cbranch_vccnz .LBB181_290
; %bb.288:
	s_clause 0x1
	s_load_b96 s[0:2], s[12:13], 0x4
	s_load_b64 s[4:5], s[12:13], 0xc4
	s_cmp_lt_u32 s30, 2
	s_wait_kmcnt 0x0
	v_mul_hi_u32 v10, s1, v1
	s_delay_alu instid0(VALU_DEP_1) | instskip(NEXT) | instid1(VALU_DEP_1)
	v_add_nc_u32_e32 v10, v1, v10
	v_lshrrev_b32_e32 v12, s2, v10
	s_delay_alu instid0(VALU_DEP_1) | instskip(NEXT) | instid1(VALU_DEP_1)
	v_mul_lo_u32 v10, v12, s0
	v_sub_nc_u32_e32 v1, v1, v10
	s_delay_alu instid0(VALU_DEP_1)
	v_mul_lo_u32 v11, v1, s5
	v_mul_lo_u32 v10, v1, s4
	s_cbranch_scc1 .LBB181_290
; %bb.289:
	s_clause 0x1
	s_load_b96 s[0:2], s[12:13], 0x10
	s_load_b64 s[4:5], s[12:13], 0xcc
	s_wait_kmcnt 0x0
	v_mul_hi_u32 v1, s1, v12
	s_delay_alu instid0(VALU_DEP_1) | instskip(NEXT) | instid1(VALU_DEP_1)
	v_add_nc_u32_e32 v1, v12, v1
	v_lshrrev_b32_e32 v1, s2, v1
	s_delay_alu instid0(VALU_DEP_1) | instskip(NEXT) | instid1(VALU_DEP_1)
	v_mul_lo_u32 v1, v1, s0
	v_sub_nc_u32_e32 v1, v12, v1
	s_delay_alu instid0(VALU_DEP_1)
	v_mad_u32 v10, v1, s4, v10
	v_mad_u32 v11, v1, s5, v11
.LBB181_290:
	v_cmp_ne_u32_e32 vcc_lo, 1, v14
	v_add_nc_u32_e32 v1, 0x280, v0
	s_cbranch_vccnz .LBB181_296
; %bb.291:
	s_cmp_lg_u32 s30, 0
	s_mov_b32 s6, 0
	s_cbranch_scc0 .LBB181_297
; %bb.292:
	s_min_u32 s1, s31, 15
	s_delay_alu instid0(SALU_CYCLE_1)
	s_add_co_i32 s1, s1, 1
	s_cmp_eq_u32 s31, 2
	s_cbranch_scc1 .LBB181_298
; %bb.293:
	v_dual_mov_b32 v12, 0 :: v_dual_mov_b32 v13, 0
	v_mov_b32_e32 v15, v1
	s_and_b32 s0, s1, 28
	s_add_nc_u64 s[2:3], s[12:13], 0xc4
	s_mov_b32 s7, 0
	s_mov_b64 s[4:5], s[12:13]
.LBB181_294:                            ; =>This Inner Loop Header: Depth=1
	s_clause 0x1
	s_load_b256 s[16:23], s[4:5], 0x4
	s_load_b128 s[8:11], s[4:5], 0x24
	s_load_b256 s[36:43], s[2:3], 0x0
	s_add_co_i32 s7, s7, 4
	s_wait_xcnt 0x0
	s_add_nc_u64 s[4:5], s[4:5], 48
	s_cmp_lg_u32 s0, s7
	s_add_nc_u64 s[2:3], s[2:3], 32
	s_wait_kmcnt 0x0
	v_mul_hi_u32 v17, s17, v15
	s_delay_alu instid0(VALU_DEP_1) | instskip(NEXT) | instid1(VALU_DEP_1)
	v_add_nc_u32_e32 v17, v15, v17
	v_lshrrev_b32_e32 v17, s18, v17
	s_delay_alu instid0(VALU_DEP_1) | instskip(NEXT) | instid1(VALU_DEP_1)
	v_mul_hi_u32 v18, s20, v17
	v_add_nc_u32_e32 v18, v17, v18
	s_delay_alu instid0(VALU_DEP_1) | instskip(NEXT) | instid1(VALU_DEP_1)
	v_lshrrev_b32_e32 v18, s21, v18
	v_mul_hi_u32 v19, s23, v18
	s_delay_alu instid0(VALU_DEP_1) | instskip(SKIP_1) | instid1(VALU_DEP_1)
	v_add_nc_u32_e32 v19, v18, v19
	v_mul_lo_u32 v20, v17, s16
	v_sub_nc_u32_e32 v15, v15, v20
	v_mul_lo_u32 v20, v18, s19
	s_delay_alu instid0(VALU_DEP_4) | instskip(NEXT) | instid1(VALU_DEP_3)
	v_lshrrev_b32_e32 v19, s8, v19
	v_mad_u32 v13, v15, s37, v13
	v_mad_u32 v12, v15, s36, v12
	s_delay_alu instid0(VALU_DEP_4) | instskip(NEXT) | instid1(VALU_DEP_4)
	v_sub_nc_u32_e32 v15, v17, v20
	v_mul_hi_u32 v21, s10, v19
	v_mul_lo_u32 v17, v19, s22
	s_delay_alu instid0(VALU_DEP_3) | instskip(SKIP_1) | instid1(VALU_DEP_4)
	v_mad_u32 v13, v15, s39, v13
	v_mad_u32 v12, v15, s38, v12
	v_add_nc_u32_e32 v20, v19, v21
	s_delay_alu instid0(VALU_DEP_1) | instskip(NEXT) | instid1(VALU_DEP_1)
	v_dual_sub_nc_u32 v17, v18, v17 :: v_dual_lshrrev_b32 v15, s11, v20
	v_mad_u32 v13, v17, s41, v13
	s_delay_alu instid0(VALU_DEP_4) | instskip(NEXT) | instid1(VALU_DEP_3)
	v_mad_u32 v12, v17, s40, v12
	v_mul_lo_u32 v18, v15, s9
	s_delay_alu instid0(VALU_DEP_1) | instskip(NEXT) | instid1(VALU_DEP_1)
	v_sub_nc_u32_e32 v17, v19, v18
	v_mad_u32 v13, v17, s43, v13
	s_delay_alu instid0(VALU_DEP_4)
	v_mad_u32 v12, v17, s42, v12
	s_cbranch_scc1 .LBB181_294
; %bb.295:
	s_and_b32 s4, s1, 3
	s_mov_b32 s1, 0
	s_cmp_eq_u32 s4, 0
	s_cbranch_scc0 .LBB181_299
	s_branch .LBB181_301
.LBB181_296:
	s_mov_b32 s6, -1
                                        ; implicit-def: $vgpr13
	s_branch .LBB181_301
.LBB181_297:
	v_dual_mov_b32 v13, 0 :: v_dual_mov_b32 v12, 0
	s_branch .LBB181_301
.LBB181_298:
	v_mov_b64_e32 v[12:13], 0
	v_mov_b32_e32 v15, v1
	s_mov_b32 s0, 0
	s_and_b32 s4, s1, 3
	s_mov_b32 s1, 0
	s_cmp_eq_u32 s4, 0
	s_cbranch_scc1 .LBB181_301
.LBB181_299:
	s_lshl_b32 s2, s0, 3
	s_mov_b32 s3, s1
	s_mul_u64 s[8:9], s[0:1], 12
	s_add_nc_u64 s[2:3], s[12:13], s[2:3]
	s_delay_alu instid0(SALU_CYCLE_1)
	s_add_nc_u64 s[0:1], s[2:3], 0xc4
	s_add_nc_u64 s[2:3], s[12:13], s[8:9]
.LBB181_300:                            ; =>This Inner Loop Header: Depth=1
	s_load_b96 s[8:10], s[2:3], 0x4
	s_add_co_i32 s4, s4, -1
	s_wait_xcnt 0x0
	s_add_nc_u64 s[2:3], s[2:3], 12
	s_cmp_lg_u32 s4, 0
	s_wait_kmcnt 0x0
	v_mul_hi_u32 v17, s9, v15
	s_delay_alu instid0(VALU_DEP_1) | instskip(NEXT) | instid1(VALU_DEP_1)
	v_add_nc_u32_e32 v17, v15, v17
	v_lshrrev_b32_e32 v17, s10, v17
	s_load_b64 s[10:11], s[0:1], 0x0
	s_wait_xcnt 0x0
	s_add_nc_u64 s[0:1], s[0:1], 8
	s_delay_alu instid0(VALU_DEP_1) | instskip(NEXT) | instid1(VALU_DEP_1)
	v_mul_lo_u32 v18, v17, s8
	v_sub_nc_u32_e32 v15, v15, v18
	s_wait_kmcnt 0x0
	s_delay_alu instid0(VALU_DEP_1)
	v_mad_u32 v13, v15, s11, v13
	v_mad_u32 v12, v15, s10, v12
	v_mov_b32_e32 v15, v17
	s_cbranch_scc1 .LBB181_300
.LBB181_301:
	s_and_not1_b32 vcc_lo, exec_lo, s6
	s_cbranch_vccnz .LBB181_304
; %bb.302:
	s_clause 0x1
	s_load_b96 s[0:2], s[12:13], 0x4
	s_load_b64 s[4:5], s[12:13], 0xc4
	s_cmp_lt_u32 s30, 2
	s_wait_kmcnt 0x0
	v_mul_hi_u32 v12, s1, v1
	s_delay_alu instid0(VALU_DEP_1) | instskip(NEXT) | instid1(VALU_DEP_1)
	v_add_nc_u32_e32 v12, v1, v12
	v_lshrrev_b32_e32 v15, s2, v12
	s_delay_alu instid0(VALU_DEP_1) | instskip(NEXT) | instid1(VALU_DEP_1)
	v_mul_lo_u32 v12, v15, s0
	v_sub_nc_u32_e32 v1, v1, v12
	s_delay_alu instid0(VALU_DEP_1)
	v_mul_lo_u32 v13, v1, s5
	v_mul_lo_u32 v12, v1, s4
	s_cbranch_scc1 .LBB181_304
; %bb.303:
	s_clause 0x1
	s_load_b96 s[0:2], s[12:13], 0x10
	s_load_b64 s[4:5], s[12:13], 0xcc
	s_wait_kmcnt 0x0
	v_mul_hi_u32 v1, s1, v15
	s_delay_alu instid0(VALU_DEP_1) | instskip(NEXT) | instid1(VALU_DEP_1)
	v_add_nc_u32_e32 v1, v15, v1
	v_lshrrev_b32_e32 v1, s2, v1
	s_delay_alu instid0(VALU_DEP_1) | instskip(NEXT) | instid1(VALU_DEP_1)
	v_mul_lo_u32 v1, v1, s0
	v_sub_nc_u32_e32 v1, v15, v1
	s_delay_alu instid0(VALU_DEP_1)
	v_mad_u32 v12, v1, s4, v12
	v_mad_u32 v13, v1, s5, v13
.LBB181_304:
	v_cmp_ne_u32_e32 vcc_lo, 1, v14
	v_add_nc_u32_e32 v15, 0x300, v0
	s_cbranch_vccnz .LBB181_310
; %bb.305:
	s_cmp_lg_u32 s30, 0
	s_mov_b32 s6, 0
	s_cbranch_scc0 .LBB181_311
; %bb.306:
	s_min_u32 s1, s31, 15
	s_delay_alu instid0(SALU_CYCLE_1)
	s_add_co_i32 s1, s1, 1
	s_cmp_eq_u32 s31, 2
	s_cbranch_scc1 .LBB181_312
; %bb.307:
	v_dual_mov_b32 v0, 0 :: v_dual_mov_b32 v1, 0
	v_mov_b32_e32 v17, v15
	s_and_b32 s0, s1, 28
	s_add_nc_u64 s[2:3], s[12:13], 0xc4
	s_mov_b32 s7, 0
	s_mov_b64 s[4:5], s[12:13]
.LBB181_308:                            ; =>This Inner Loop Header: Depth=1
	s_clause 0x1
	s_load_b256 s[16:23], s[4:5], 0x4
	s_load_b128 s[8:11], s[4:5], 0x24
	s_load_b256 s[36:43], s[2:3], 0x0
	s_add_co_i32 s7, s7, 4
	s_wait_xcnt 0x0
	s_add_nc_u64 s[4:5], s[4:5], 48
	s_cmp_lg_u32 s0, s7
	s_add_nc_u64 s[2:3], s[2:3], 32
	s_wait_kmcnt 0x0
	v_mul_hi_u32 v18, s17, v17
	s_delay_alu instid0(VALU_DEP_1) | instskip(NEXT) | instid1(VALU_DEP_1)
	v_add_nc_u32_e32 v18, v17, v18
	v_lshrrev_b32_e32 v18, s18, v18
	s_delay_alu instid0(VALU_DEP_1) | instskip(NEXT) | instid1(VALU_DEP_1)
	v_mul_hi_u32 v19, s20, v18
	v_add_nc_u32_e32 v19, v18, v19
	s_delay_alu instid0(VALU_DEP_1) | instskip(NEXT) | instid1(VALU_DEP_1)
	v_lshrrev_b32_e32 v19, s21, v19
	v_mul_hi_u32 v20, s23, v19
	s_delay_alu instid0(VALU_DEP_1) | instskip(SKIP_1) | instid1(VALU_DEP_1)
	v_add_nc_u32_e32 v20, v19, v20
	v_mul_lo_u32 v21, v18, s16
	v_sub_nc_u32_e32 v17, v17, v21
	v_mul_lo_u32 v21, v19, s19
	s_delay_alu instid0(VALU_DEP_4) | instskip(NEXT) | instid1(VALU_DEP_3)
	v_lshrrev_b32_e32 v20, s8, v20
	v_mad_u32 v1, v17, s37, v1
	v_mad_u32 v0, v17, s36, v0
	s_delay_alu instid0(VALU_DEP_4) | instskip(NEXT) | instid1(VALU_DEP_4)
	v_sub_nc_u32_e32 v17, v18, v21
	v_mul_hi_u32 v22, s10, v20
	v_mul_lo_u32 v18, v20, s22
	s_delay_alu instid0(VALU_DEP_3) | instskip(SKIP_1) | instid1(VALU_DEP_4)
	v_mad_u32 v1, v17, s39, v1
	v_mad_u32 v0, v17, s38, v0
	v_add_nc_u32_e32 v21, v20, v22
	s_delay_alu instid0(VALU_DEP_1) | instskip(NEXT) | instid1(VALU_DEP_1)
	v_dual_sub_nc_u32 v18, v19, v18 :: v_dual_lshrrev_b32 v17, s11, v21
	v_mad_u32 v1, v18, s41, v1
	s_delay_alu instid0(VALU_DEP_4) | instskip(NEXT) | instid1(VALU_DEP_3)
	v_mad_u32 v0, v18, s40, v0
	v_mul_lo_u32 v19, v17, s9
	s_delay_alu instid0(VALU_DEP_1) | instskip(NEXT) | instid1(VALU_DEP_1)
	v_sub_nc_u32_e32 v18, v20, v19
	v_mad_u32 v1, v18, s43, v1
	s_delay_alu instid0(VALU_DEP_4)
	v_mad_u32 v0, v18, s42, v0
	s_cbranch_scc1 .LBB181_308
; %bb.309:
	s_and_b32 s4, s1, 3
	s_mov_b32 s1, 0
	s_cmp_eq_u32 s4, 0
	s_cbranch_scc0 .LBB181_313
	s_branch .LBB181_315
.LBB181_310:
	s_mov_b32 s6, -1
                                        ; implicit-def: $vgpr1
	s_branch .LBB181_315
.LBB181_311:
	v_dual_mov_b32 v1, 0 :: v_dual_mov_b32 v0, 0
	s_branch .LBB181_315
.LBB181_312:
	v_mov_b64_e32 v[0:1], 0
	v_mov_b32_e32 v17, v15
	s_mov_b32 s0, 0
	s_and_b32 s4, s1, 3
	s_mov_b32 s1, 0
	s_cmp_eq_u32 s4, 0
	s_cbranch_scc1 .LBB181_315
.LBB181_313:
	s_lshl_b32 s2, s0, 3
	s_mov_b32 s3, s1
	s_mul_u64 s[8:9], s[0:1], 12
	s_add_nc_u64 s[2:3], s[12:13], s[2:3]
	s_delay_alu instid0(SALU_CYCLE_1)
	s_add_nc_u64 s[0:1], s[2:3], 0xc4
	s_add_nc_u64 s[2:3], s[12:13], s[8:9]
.LBB181_314:                            ; =>This Inner Loop Header: Depth=1
	s_load_b96 s[8:10], s[2:3], 0x4
	s_add_co_i32 s4, s4, -1
	s_wait_xcnt 0x0
	s_add_nc_u64 s[2:3], s[2:3], 12
	s_cmp_lg_u32 s4, 0
	s_wait_kmcnt 0x0
	v_mul_hi_u32 v18, s9, v17
	s_delay_alu instid0(VALU_DEP_1) | instskip(NEXT) | instid1(VALU_DEP_1)
	v_add_nc_u32_e32 v18, v17, v18
	v_lshrrev_b32_e32 v18, s10, v18
	s_load_b64 s[10:11], s[0:1], 0x0
	s_wait_xcnt 0x0
	s_add_nc_u64 s[0:1], s[0:1], 8
	s_delay_alu instid0(VALU_DEP_1) | instskip(NEXT) | instid1(VALU_DEP_1)
	v_mul_lo_u32 v19, v18, s8
	v_sub_nc_u32_e32 v17, v17, v19
	s_wait_kmcnt 0x0
	s_delay_alu instid0(VALU_DEP_1)
	v_mad_u32 v1, v17, s11, v1
	v_mad_u32 v0, v17, s10, v0
	v_mov_b32_e32 v17, v18
	s_cbranch_scc1 .LBB181_314
.LBB181_315:
	s_and_not1_b32 vcc_lo, exec_lo, s6
	s_cbranch_vccnz .LBB181_318
; %bb.316:
	s_clause 0x1
	s_load_b96 s[0:2], s[12:13], 0x4
	s_load_b64 s[4:5], s[12:13], 0xc4
	s_cmp_lt_u32 s30, 2
	s_wait_kmcnt 0x0
	v_mul_hi_u32 v0, s1, v15
	s_delay_alu instid0(VALU_DEP_1) | instskip(NEXT) | instid1(VALU_DEP_1)
	v_add_nc_u32_e32 v0, v15, v0
	v_lshrrev_b32_e32 v17, s2, v0
	s_delay_alu instid0(VALU_DEP_1) | instskip(NEXT) | instid1(VALU_DEP_1)
	v_mul_lo_u32 v0, v17, s0
	v_sub_nc_u32_e32 v0, v15, v0
	s_delay_alu instid0(VALU_DEP_1)
	v_mul_lo_u32 v1, v0, s5
	v_mul_lo_u32 v0, v0, s4
	s_cbranch_scc1 .LBB181_318
; %bb.317:
	s_clause 0x1
	s_load_b96 s[0:2], s[12:13], 0x10
	s_load_b64 s[4:5], s[12:13], 0xcc
	s_wait_kmcnt 0x0
	v_mul_hi_u32 v15, s1, v17
	s_delay_alu instid0(VALU_DEP_1) | instskip(NEXT) | instid1(VALU_DEP_1)
	v_add_nc_u32_e32 v15, v17, v15
	v_lshrrev_b32_e32 v15, s2, v15
	s_delay_alu instid0(VALU_DEP_1) | instskip(NEXT) | instid1(VALU_DEP_1)
	v_mul_lo_u32 v15, v15, s0
	v_sub_nc_u32_e32 v15, v17, v15
	s_delay_alu instid0(VALU_DEP_1)
	v_mad_u32 v0, v15, s4, v0
	v_mad_u32 v1, v15, s5, v1
.LBB181_318:
	v_cmp_ne_u32_e32 vcc_lo, 1, v14
	s_cbranch_vccnz .LBB181_324
; %bb.319:
	s_cmp_lg_u32 s30, 0
	s_mov_b32 s6, 0
	s_cbranch_scc0 .LBB181_325
; %bb.320:
	s_min_u32 s1, s31, 15
	s_delay_alu instid0(SALU_CYCLE_1)
	s_add_co_i32 s1, s1, 1
	s_cmp_eq_u32 s31, 2
	s_cbranch_scc1 .LBB181_326
; %bb.321:
	v_dual_mov_b32 v14, 0 :: v_dual_mov_b32 v15, 0
	v_mov_b32_e32 v17, v16
	s_and_b32 s0, s1, 28
	s_add_nc_u64 s[2:3], s[12:13], 0xc4
	s_mov_b32 s7, 0
	s_mov_b64 s[4:5], s[12:13]
.LBB181_322:                            ; =>This Inner Loop Header: Depth=1
	s_clause 0x1
	s_load_b256 s[16:23], s[4:5], 0x4
	s_load_b128 s[8:11], s[4:5], 0x24
	s_load_b256 s[36:43], s[2:3], 0x0
	s_add_co_i32 s7, s7, 4
	s_wait_xcnt 0x0
	s_add_nc_u64 s[4:5], s[4:5], 48
	s_cmp_lg_u32 s0, s7
	s_add_nc_u64 s[2:3], s[2:3], 32
	s_wait_kmcnt 0x0
	v_mul_hi_u32 v18, s17, v17
	s_delay_alu instid0(VALU_DEP_1) | instskip(NEXT) | instid1(VALU_DEP_1)
	v_add_nc_u32_e32 v18, v17, v18
	v_lshrrev_b32_e32 v18, s18, v18
	s_delay_alu instid0(VALU_DEP_1) | instskip(NEXT) | instid1(VALU_DEP_1)
	v_mul_hi_u32 v19, s20, v18
	v_add_nc_u32_e32 v19, v18, v19
	s_delay_alu instid0(VALU_DEP_1) | instskip(NEXT) | instid1(VALU_DEP_1)
	v_lshrrev_b32_e32 v19, s21, v19
	v_mul_hi_u32 v20, s23, v19
	s_delay_alu instid0(VALU_DEP_1) | instskip(SKIP_1) | instid1(VALU_DEP_1)
	v_add_nc_u32_e32 v20, v19, v20
	v_mul_lo_u32 v21, v18, s16
	v_sub_nc_u32_e32 v17, v17, v21
	v_mul_lo_u32 v21, v19, s19
	s_delay_alu instid0(VALU_DEP_4) | instskip(NEXT) | instid1(VALU_DEP_3)
	v_lshrrev_b32_e32 v20, s8, v20
	v_mad_u32 v15, v17, s37, v15
	v_mad_u32 v14, v17, s36, v14
	s_delay_alu instid0(VALU_DEP_4) | instskip(NEXT) | instid1(VALU_DEP_4)
	v_sub_nc_u32_e32 v17, v18, v21
	v_mul_hi_u32 v22, s10, v20
	v_mul_lo_u32 v18, v20, s22
	s_delay_alu instid0(VALU_DEP_3) | instskip(SKIP_1) | instid1(VALU_DEP_4)
	v_mad_u32 v15, v17, s39, v15
	v_mad_u32 v14, v17, s38, v14
	v_add_nc_u32_e32 v21, v20, v22
	s_delay_alu instid0(VALU_DEP_1) | instskip(NEXT) | instid1(VALU_DEP_1)
	v_dual_sub_nc_u32 v18, v19, v18 :: v_dual_lshrrev_b32 v17, s11, v21
	v_mad_u32 v15, v18, s41, v15
	s_delay_alu instid0(VALU_DEP_4) | instskip(NEXT) | instid1(VALU_DEP_3)
	v_mad_u32 v14, v18, s40, v14
	v_mul_lo_u32 v19, v17, s9
	s_delay_alu instid0(VALU_DEP_1) | instskip(NEXT) | instid1(VALU_DEP_1)
	v_sub_nc_u32_e32 v18, v20, v19
	v_mad_u32 v15, v18, s43, v15
	s_delay_alu instid0(VALU_DEP_4)
	v_mad_u32 v14, v18, s42, v14
	s_cbranch_scc1 .LBB181_322
; %bb.323:
	s_and_b32 s4, s1, 3
	s_mov_b32 s1, 0
	s_cmp_eq_u32 s4, 0
	s_cbranch_scc0 .LBB181_327
	s_branch .LBB181_329
.LBB181_324:
	s_mov_b32 s6, -1
                                        ; implicit-def: $vgpr15
	s_branch .LBB181_329
.LBB181_325:
	v_dual_mov_b32 v15, 0 :: v_dual_mov_b32 v14, 0
	s_branch .LBB181_329
.LBB181_326:
	v_mov_b64_e32 v[14:15], 0
	v_mov_b32_e32 v17, v16
	s_mov_b32 s0, 0
	s_and_b32 s4, s1, 3
	s_mov_b32 s1, 0
	s_cmp_eq_u32 s4, 0
	s_cbranch_scc1 .LBB181_329
.LBB181_327:
	s_lshl_b32 s2, s0, 3
	s_mov_b32 s3, s1
	s_mul_u64 s[8:9], s[0:1], 12
	s_add_nc_u64 s[2:3], s[12:13], s[2:3]
	s_delay_alu instid0(SALU_CYCLE_1)
	s_add_nc_u64 s[0:1], s[2:3], 0xc4
	s_add_nc_u64 s[2:3], s[12:13], s[8:9]
.LBB181_328:                            ; =>This Inner Loop Header: Depth=1
	s_load_b96 s[8:10], s[2:3], 0x4
	s_add_co_i32 s4, s4, -1
	s_wait_xcnt 0x0
	s_add_nc_u64 s[2:3], s[2:3], 12
	s_cmp_lg_u32 s4, 0
	s_wait_kmcnt 0x0
	v_mul_hi_u32 v18, s9, v17
	s_delay_alu instid0(VALU_DEP_1) | instskip(NEXT) | instid1(VALU_DEP_1)
	v_add_nc_u32_e32 v18, v17, v18
	v_lshrrev_b32_e32 v18, s10, v18
	s_load_b64 s[10:11], s[0:1], 0x0
	s_wait_xcnt 0x0
	s_add_nc_u64 s[0:1], s[0:1], 8
	s_delay_alu instid0(VALU_DEP_1) | instskip(NEXT) | instid1(VALU_DEP_1)
	v_mul_lo_u32 v19, v18, s8
	v_sub_nc_u32_e32 v17, v17, v19
	s_wait_kmcnt 0x0
	s_delay_alu instid0(VALU_DEP_1)
	v_mad_u32 v15, v17, s11, v15
	v_mad_u32 v14, v17, s10, v14
	v_mov_b32_e32 v17, v18
	s_cbranch_scc1 .LBB181_328
.LBB181_329:
	s_and_not1_b32 vcc_lo, exec_lo, s6
	s_cbranch_vccnz .LBB181_332
; %bb.330:
	s_clause 0x1
	s_load_b96 s[0:2], s[12:13], 0x4
	s_load_b64 s[4:5], s[12:13], 0xc4
	s_cmp_lt_u32 s30, 2
	s_wait_kmcnt 0x0
	v_mul_hi_u32 v14, s1, v16
	s_delay_alu instid0(VALU_DEP_1) | instskip(NEXT) | instid1(VALU_DEP_1)
	v_add_nc_u32_e32 v14, v16, v14
	v_lshrrev_b32_e32 v17, s2, v14
	s_delay_alu instid0(VALU_DEP_1) | instskip(NEXT) | instid1(VALU_DEP_1)
	v_mul_lo_u32 v14, v17, s0
	v_sub_nc_u32_e32 v14, v16, v14
	s_delay_alu instid0(VALU_DEP_1)
	v_mul_lo_u32 v15, v14, s5
	v_mul_lo_u32 v14, v14, s4
	s_cbranch_scc1 .LBB181_332
; %bb.331:
	s_clause 0x1
	s_load_b96 s[0:2], s[12:13], 0x10
	s_load_b64 s[4:5], s[12:13], 0xcc
	s_wait_kmcnt 0x0
	v_mul_hi_u32 v16, s1, v17
	s_delay_alu instid0(VALU_DEP_1) | instskip(NEXT) | instid1(VALU_DEP_1)
	v_add_nc_u32_e32 v16, v17, v16
	v_lshrrev_b32_e32 v16, s2, v16
	s_delay_alu instid0(VALU_DEP_1) | instskip(NEXT) | instid1(VALU_DEP_1)
	v_mul_lo_u32 v16, v16, s0
	v_sub_nc_u32_e32 v16, v17, v16
	s_delay_alu instid0(VALU_DEP_1)
	v_mad_u32 v14, v16, s4, v14
	v_mad_u32 v15, v16, s5, v15
.LBB181_332:
	s_clause 0x1
	s_load_b128 s[0:3], s[12:13], 0x148
	s_load_b64 s[4:5], s[12:13], 0x158
	s_mov_b32 s6, 0
	s_wait_kmcnt 0x0
	global_load_u8 v16, v3, s[2:3]
	s_cmp_lt_i32 s4, 1
	s_cbranch_scc1 .LBB181_335
; %bb.333:
	s_cmp_eq_u32 s4, 1
	s_cbranch_scc0 .LBB181_336
; %bb.334:
	s_wait_loadcnt 0x0
	v_bfe_i32 v3, v16, 0, 8
	s_bfe_i32 s7, s5, 0x80000
	s_delay_alu instid0(VALU_DEP_1) | instid1(SALU_CYCLE_1)
	v_min_i16 v3, v3, s7
	s_mov_b32 s7, 0
	s_branch .LBB181_337
.LBB181_335:
	s_mov_b32 s7, 0
                                        ; implicit-def: $vgpr3
	s_cbranch_execnz .LBB181_338
	s_branch .LBB181_339
.LBB181_336:
	s_mov_b32 s7, -1
                                        ; implicit-def: $vgpr3
.LBB181_337:
	s_branch .LBB181_339
.LBB181_338:
	s_cmp_lg_u32 s4, 0
	s_mov_b32 s6, -1
	s_cselect_b32 s7, -1, 0
.LBB181_339:
	s_delay_alu instid0(SALU_CYCLE_1)
	s_and_not1_b32 vcc_lo, exec_lo, s7
	s_cbranch_vccz .LBB181_344
; %bb.340:
	s_and_not1_b32 vcc_lo, exec_lo, s6
	s_cbranch_vccz .LBB181_345
.LBB181_341:
	s_wait_loadcnt 0x0
	global_load_u8 v16, v5, s[2:3]
	s_cmp_lt_i32 s4, 1
	s_mov_b32 s6, 0
	s_cbranch_scc1 .LBB181_346
.LBB181_342:
	s_cmp_eq_u32 s4, 1
	s_cbranch_scc0 .LBB181_347
; %bb.343:
	s_wait_loadcnt 0x0
	v_bfe_i32 v5, v16, 0, 8
	s_bfe_i32 s7, s5, 0x80000
	s_delay_alu instid0(VALU_DEP_1) | instid1(SALU_CYCLE_1)
	v_min_i16 v5, v5, s7
	s_mov_b32 s7, 0
	s_branch .LBB181_348
.LBB181_344:
	s_wait_xcnt 0x0
	v_mov_b32_e32 v3, 0
	s_wait_loadcnt 0x0
	v_bfe_i32 v17, v16, 0, 8
	s_bfe_i32 s6, s5, 0x80000
	global_load_i8 v3, v3, s[12:13] offset:349
	v_max_i16 v17, v17, s6
	s_wait_loadcnt 0x0
	s_delay_alu instid0(VALU_DEP_1)
	v_min_i16 v3, v17, v3
	s_cbranch_execnz .LBB181_341
.LBB181_345:
	s_wait_loadcnt 0x0
	v_bfe_i32 v3, v16, 0, 8
	s_bfe_i32 s6, s5, 0x80000
	s_delay_alu instid0(VALU_DEP_1) | instid1(SALU_CYCLE_1)
	v_max_i16 v3, v3, s6
	global_load_u8 v16, v5, s[2:3]
	s_cmp_lt_i32 s4, 1
	s_mov_b32 s6, 0
	s_cbranch_scc0 .LBB181_342
.LBB181_346:
	s_mov_b32 s7, 0
                                        ; implicit-def: $vgpr5
	s_cbranch_execnz .LBB181_349
	s_branch .LBB181_350
.LBB181_347:
	s_mov_b32 s7, -1
                                        ; implicit-def: $vgpr5
.LBB181_348:
	s_branch .LBB181_350
.LBB181_349:
	s_cmp_lg_u32 s4, 0
	s_mov_b32 s6, -1
	s_cselect_b32 s7, -1, 0
.LBB181_350:
	s_delay_alu instid0(SALU_CYCLE_1)
	s_and_not1_b32 vcc_lo, exec_lo, s7
	s_cbranch_vccz .LBB181_355
; %bb.351:
	s_and_not1_b32 vcc_lo, exec_lo, s6
	s_cbranch_vccz .LBB181_356
.LBB181_352:
	s_wait_loadcnt 0x0
	global_load_u8 v16, v7, s[2:3]
	s_cmp_lt_i32 s4, 1
	s_mov_b32 s6, 0
	s_cbranch_scc1 .LBB181_357
.LBB181_353:
	s_cmp_eq_u32 s4, 1
	s_cbranch_scc0 .LBB181_358
; %bb.354:
	s_wait_loadcnt 0x0
	v_bfe_i32 v7, v16, 0, 8
	s_bfe_i32 s7, s5, 0x80000
	s_delay_alu instid0(VALU_DEP_1) | instid1(SALU_CYCLE_1)
	v_min_i16 v7, v7, s7
	s_mov_b32 s7, 0
	s_branch .LBB181_359
.LBB181_355:
	s_wait_xcnt 0x0
	v_mov_b32_e32 v5, 0
	s_wait_loadcnt 0x0
	v_bfe_i32 v17, v16, 0, 8
	s_bfe_i32 s6, s5, 0x80000
	global_load_i8 v5, v5, s[12:13] offset:349
	v_max_i16 v17, v17, s6
	s_wait_loadcnt 0x0
	s_delay_alu instid0(VALU_DEP_1)
	v_min_i16 v5, v17, v5
	s_cbranch_execnz .LBB181_352
.LBB181_356:
	s_wait_loadcnt 0x0
	v_bfe_i32 v5, v16, 0, 8
	s_bfe_i32 s6, s5, 0x80000
	s_delay_alu instid0(VALU_DEP_1) | instid1(SALU_CYCLE_1)
	v_max_i16 v5, v5, s6
	global_load_u8 v16, v7, s[2:3]
	s_cmp_lt_i32 s4, 1
	s_mov_b32 s6, 0
	s_cbranch_scc0 .LBB181_353
.LBB181_357:
	s_mov_b32 s7, 0
                                        ; implicit-def: $vgpr7
	s_cbranch_execnz .LBB181_360
	s_branch .LBB181_361
.LBB181_358:
	s_mov_b32 s7, -1
                                        ; implicit-def: $vgpr7
.LBB181_359:
	s_branch .LBB181_361
.LBB181_360:
	s_cmp_lg_u32 s4, 0
	s_mov_b32 s6, -1
	s_cselect_b32 s7, -1, 0
.LBB181_361:
	s_delay_alu instid0(SALU_CYCLE_1)
	s_and_not1_b32 vcc_lo, exec_lo, s7
	s_cbranch_vccz .LBB181_366
; %bb.362:
	s_and_not1_b32 vcc_lo, exec_lo, s6
	s_cbranch_vccz .LBB181_367
.LBB181_363:
	s_wait_loadcnt 0x0
	global_load_u8 v16, v9, s[2:3]
	s_cmp_lt_i32 s4, 1
	s_mov_b32 s6, 0
	s_cbranch_scc1 .LBB181_368
.LBB181_364:
	s_cmp_eq_u32 s4, 1
	s_cbranch_scc0 .LBB181_369
; %bb.365:
	s_wait_loadcnt 0x0
	v_bfe_i32 v9, v16, 0, 8
	s_bfe_i32 s7, s5, 0x80000
	s_delay_alu instid0(VALU_DEP_1) | instid1(SALU_CYCLE_1)
	v_min_i16 v9, v9, s7
	s_mov_b32 s7, 0
	s_branch .LBB181_370
.LBB181_366:
	s_wait_xcnt 0x0
	v_mov_b32_e32 v7, 0
	s_wait_loadcnt 0x0
	v_bfe_i32 v17, v16, 0, 8
	s_bfe_i32 s6, s5, 0x80000
	global_load_i8 v7, v7, s[12:13] offset:349
	v_max_i16 v17, v17, s6
	s_wait_loadcnt 0x0
	s_delay_alu instid0(VALU_DEP_1)
	v_min_i16 v7, v17, v7
	s_cbranch_execnz .LBB181_363
.LBB181_367:
	s_wait_loadcnt 0x0
	v_bfe_i32 v7, v16, 0, 8
	s_bfe_i32 s6, s5, 0x80000
	s_delay_alu instid0(VALU_DEP_1) | instid1(SALU_CYCLE_1)
	v_max_i16 v7, v7, s6
	global_load_u8 v16, v9, s[2:3]
	s_cmp_lt_i32 s4, 1
	s_mov_b32 s6, 0
	s_cbranch_scc0 .LBB181_364
.LBB181_368:
	s_mov_b32 s7, 0
                                        ; implicit-def: $vgpr9
	s_cbranch_execnz .LBB181_371
	s_branch .LBB181_372
.LBB181_369:
	s_mov_b32 s7, -1
                                        ; implicit-def: $vgpr9
.LBB181_370:
	s_branch .LBB181_372
.LBB181_371:
	s_cmp_lg_u32 s4, 0
	s_mov_b32 s6, -1
	s_cselect_b32 s7, -1, 0
.LBB181_372:
	s_delay_alu instid0(SALU_CYCLE_1)
	s_and_not1_b32 vcc_lo, exec_lo, s7
	s_cbranch_vccz .LBB181_377
; %bb.373:
	s_and_not1_b32 vcc_lo, exec_lo, s6
	s_cbranch_vccz .LBB181_378
.LBB181_374:
	s_wait_loadcnt 0x0
	global_load_u8 v16, v11, s[2:3]
	s_cmp_lt_i32 s4, 1
	s_mov_b32 s6, 0
	s_cbranch_scc1 .LBB181_379
.LBB181_375:
	s_cmp_eq_u32 s4, 1
	s_cbranch_scc0 .LBB181_380
; %bb.376:
	s_wait_loadcnt 0x0
	v_bfe_i32 v11, v16, 0, 8
	s_bfe_i32 s7, s5, 0x80000
	s_delay_alu instid0(VALU_DEP_1) | instid1(SALU_CYCLE_1)
	v_min_i16 v11, v11, s7
	s_mov_b32 s7, 0
	s_branch .LBB181_381
.LBB181_377:
	s_wait_xcnt 0x0
	v_mov_b32_e32 v9, 0
	s_wait_loadcnt 0x0
	v_bfe_i32 v17, v16, 0, 8
	s_bfe_i32 s6, s5, 0x80000
	global_load_i8 v9, v9, s[12:13] offset:349
	v_max_i16 v17, v17, s6
	s_wait_loadcnt 0x0
	s_delay_alu instid0(VALU_DEP_1)
	v_min_i16 v9, v17, v9
	s_cbranch_execnz .LBB181_374
.LBB181_378:
	s_wait_loadcnt 0x0
	v_bfe_i32 v9, v16, 0, 8
	s_bfe_i32 s6, s5, 0x80000
	s_delay_alu instid0(VALU_DEP_1) | instid1(SALU_CYCLE_1)
	v_max_i16 v9, v9, s6
	global_load_u8 v16, v11, s[2:3]
	s_cmp_lt_i32 s4, 1
	s_mov_b32 s6, 0
	s_cbranch_scc0 .LBB181_375
.LBB181_379:
	s_mov_b32 s7, 0
                                        ; implicit-def: $vgpr11
	s_cbranch_execnz .LBB181_382
	s_branch .LBB181_383
.LBB181_380:
	s_mov_b32 s7, -1
                                        ; implicit-def: $vgpr11
.LBB181_381:
	s_branch .LBB181_383
.LBB181_382:
	s_cmp_lg_u32 s4, 0
	s_mov_b32 s6, -1
	s_cselect_b32 s7, -1, 0
.LBB181_383:
	s_delay_alu instid0(SALU_CYCLE_1)
	s_and_not1_b32 vcc_lo, exec_lo, s7
	s_cbranch_vccz .LBB181_388
; %bb.384:
	s_and_not1_b32 vcc_lo, exec_lo, s6
	s_cbranch_vccz .LBB181_389
.LBB181_385:
	s_wait_loadcnt 0x0
	global_load_u8 v16, v13, s[2:3]
	s_cmp_lt_i32 s4, 1
	s_mov_b32 s6, 0
	s_cbranch_scc1 .LBB181_390
.LBB181_386:
	s_cmp_eq_u32 s4, 1
	s_cbranch_scc0 .LBB181_391
; %bb.387:
	s_wait_loadcnt 0x0
	v_bfe_i32 v13, v16, 0, 8
	s_bfe_i32 s7, s5, 0x80000
	s_delay_alu instid0(VALU_DEP_1) | instid1(SALU_CYCLE_1)
	v_min_i16 v13, v13, s7
	s_mov_b32 s7, 0
	s_branch .LBB181_392
.LBB181_388:
	s_wait_xcnt 0x0
	v_mov_b32_e32 v11, 0
	s_wait_loadcnt 0x0
	v_bfe_i32 v17, v16, 0, 8
	s_bfe_i32 s6, s5, 0x80000
	global_load_i8 v11, v11, s[12:13] offset:349
	v_max_i16 v17, v17, s6
	s_wait_loadcnt 0x0
	s_delay_alu instid0(VALU_DEP_1)
	v_min_i16 v11, v17, v11
	s_cbranch_execnz .LBB181_385
.LBB181_389:
	s_wait_loadcnt 0x0
	v_bfe_i32 v11, v16, 0, 8
	s_bfe_i32 s6, s5, 0x80000
	s_delay_alu instid0(VALU_DEP_1) | instid1(SALU_CYCLE_1)
	v_max_i16 v11, v11, s6
	global_load_u8 v16, v13, s[2:3]
	s_cmp_lt_i32 s4, 1
	s_mov_b32 s6, 0
	s_cbranch_scc0 .LBB181_386
.LBB181_390:
	s_mov_b32 s7, 0
                                        ; implicit-def: $vgpr13
	s_cbranch_execnz .LBB181_393
	s_branch .LBB181_394
.LBB181_391:
	s_mov_b32 s7, -1
                                        ; implicit-def: $vgpr13
.LBB181_392:
	s_branch .LBB181_394
.LBB181_393:
	s_cmp_lg_u32 s4, 0
	s_mov_b32 s6, -1
	s_cselect_b32 s7, -1, 0
.LBB181_394:
	s_delay_alu instid0(SALU_CYCLE_1)
	s_and_not1_b32 vcc_lo, exec_lo, s7
	s_cbranch_vccz .LBB181_399
; %bb.395:
	s_and_not1_b32 vcc_lo, exec_lo, s6
	s_cbranch_vccz .LBB181_400
.LBB181_396:
	s_wait_loadcnt 0x0
	global_load_u8 v16, v1, s[2:3]
	s_cmp_lt_i32 s4, 1
	s_mov_b32 s6, 0
	s_cbranch_scc1 .LBB181_401
.LBB181_397:
	s_cmp_eq_u32 s4, 1
	s_cbranch_scc0 .LBB181_402
; %bb.398:
	s_wait_loadcnt 0x0
	v_bfe_i32 v1, v16, 0, 8
	s_bfe_i32 s7, s5, 0x80000
	s_delay_alu instid0(VALU_DEP_1) | instid1(SALU_CYCLE_1)
	v_min_i16 v1, v1, s7
	s_mov_b32 s7, 0
	s_branch .LBB181_403
.LBB181_399:
	s_wait_xcnt 0x0
	v_mov_b32_e32 v13, 0
	s_wait_loadcnt 0x0
	v_bfe_i32 v17, v16, 0, 8
	s_bfe_i32 s6, s5, 0x80000
	global_load_i8 v13, v13, s[12:13] offset:349
	v_max_i16 v17, v17, s6
	s_wait_loadcnt 0x0
	s_delay_alu instid0(VALU_DEP_1)
	v_min_i16 v13, v17, v13
	s_cbranch_execnz .LBB181_396
.LBB181_400:
	s_wait_loadcnt 0x0
	v_bfe_i32 v13, v16, 0, 8
	s_bfe_i32 s6, s5, 0x80000
	s_delay_alu instid0(VALU_DEP_1) | instid1(SALU_CYCLE_1)
	v_max_i16 v13, v13, s6
	global_load_u8 v16, v1, s[2:3]
	s_cmp_lt_i32 s4, 1
	s_mov_b32 s6, 0
	s_cbranch_scc0 .LBB181_397
.LBB181_401:
	s_mov_b32 s7, 0
                                        ; implicit-def: $vgpr1
	s_cbranch_execnz .LBB181_404
	s_branch .LBB181_405
.LBB181_402:
	s_mov_b32 s7, -1
                                        ; implicit-def: $vgpr1
.LBB181_403:
	s_branch .LBB181_405
.LBB181_404:
	s_cmp_lg_u32 s4, 0
	s_mov_b32 s6, -1
	s_cselect_b32 s7, -1, 0
.LBB181_405:
	s_delay_alu instid0(SALU_CYCLE_1)
	s_and_not1_b32 vcc_lo, exec_lo, s7
	s_cbranch_vccz .LBB181_410
; %bb.406:
	s_and_not1_b32 vcc_lo, exec_lo, s6
	s_cbranch_vccz .LBB181_411
.LBB181_407:
	global_load_u8 v15, v15, s[2:3]
	s_cmp_lt_i32 s4, 1
	s_wait_xcnt 0x0
	s_mov_b32 s2, 0
	s_cbranch_scc1 .LBB181_412
.LBB181_408:
	s_cmp_eq_u32 s4, 1
	s_cbranch_scc0 .LBB181_413
; %bb.409:
	s_wait_loadcnt 0x0
	v_bfe_i32 v16, v15, 0, 8
	s_bfe_i32 s3, s5, 0x80000
	s_delay_alu instid0(VALU_DEP_1) | instid1(SALU_CYCLE_1)
	v_min_i16 v16, v16, s3
	s_mov_b32 s3, 0
	s_branch .LBB181_414
.LBB181_410:
	s_wait_xcnt 0x0
	v_mov_b32_e32 v1, 0
	s_wait_loadcnt 0x0
	v_bfe_i32 v17, v16, 0, 8
	s_bfe_i32 s6, s5, 0x80000
	global_load_i8 v1, v1, s[12:13] offset:349
	v_max_i16 v17, v17, s6
	s_wait_loadcnt 0x0
	s_delay_alu instid0(VALU_DEP_1)
	v_min_i16 v1, v17, v1
	s_cbranch_execnz .LBB181_407
.LBB181_411:
	s_wait_loadcnt 0x0
	v_bfe_i32 v1, v16, 0, 8
	s_bfe_i32 s6, s5, 0x80000
	s_delay_alu instid0(VALU_DEP_1) | instid1(SALU_CYCLE_1)
	v_max_i16 v1, v1, s6
	global_load_u8 v15, v15, s[2:3]
	s_cmp_lt_i32 s4, 1
	s_wait_xcnt 0x0
	s_mov_b32 s2, 0
	s_cbranch_scc0 .LBB181_408
.LBB181_412:
	s_mov_b32 s3, 0
                                        ; implicit-def: $vgpr16
	s_cbranch_execnz .LBB181_415
	s_branch .LBB181_416
.LBB181_413:
	s_mov_b32 s3, -1
                                        ; implicit-def: $vgpr16
.LBB181_414:
	s_branch .LBB181_416
.LBB181_415:
	s_cmp_lg_u32 s4, 0
	s_mov_b32 s2, -1
	s_cselect_b32 s3, -1, 0
.LBB181_416:
	s_delay_alu instid0(SALU_CYCLE_1)
	s_and_not1_b32 vcc_lo, exec_lo, s3
	s_cbranch_vccz .LBB181_420
; %bb.417:
	s_and_not1_b32 vcc_lo, exec_lo, s2
	s_cbranch_vccnz .LBB181_419
.LBB181_418:
	s_wait_loadcnt 0x0
	v_bfe_i32 v15, v15, 0, 8
	s_bfe_i32 s2, s5, 0x80000
	s_delay_alu instid0(VALU_DEP_1) | instid1(SALU_CYCLE_1)
	v_max_i16 v16, v15, s2
.LBB181_419:
	s_clause 0x6
	global_store_b8 v2, v3, s[0:1]
	global_store_b8 v4, v5, s[0:1]
	global_store_b8 v6, v7, s[0:1]
	global_store_b8 v8, v9, s[0:1]
	global_store_b8 v10, v11, s[0:1]
	global_store_b8 v12, v13, s[0:1]
	global_store_b8 v0, v1, s[0:1]
	s_wait_loadcnt 0x1
	global_store_b8 v14, v16, s[0:1]
	s_endpgm
.LBB181_420:
	s_wait_loadcnt 0x1
	v_mov_b32_e32 v16, 0
	s_wait_loadcnt 0x0
	v_bfe_i32 v17, v15, 0, 8
	s_bfe_i32 s2, s5, 0x80000
	global_load_i8 v16, v16, s[12:13] offset:349
	v_max_i16 v17, v17, s2
	s_wait_loadcnt 0x0
	s_delay_alu instid0(VALU_DEP_1)
	v_min_i16 v16, v17, v16
	s_cbranch_execz .LBB181_418
	s_branch .LBB181_419
	.section	.rodata,"a",@progbits
	.p2align	6, 0x0
	.amdhsa_kernel _ZN2at6native32elementwise_kernel_manual_unrollILi128ELi8EZNS0_22gpu_kernel_impl_nocastIZZZNS0_12_GLOBAL__N_119launch_clamp_scalarERNS_18TensorIteratorBaseEN3c106ScalarES7_NS0_6detail11ClampLimitsEENKUlvE_clEvENKUlvE0_clEvEUlaE_EEvS5_RKT_EUlibE_EEviT1_
		.amdhsa_group_segment_fixed_size 0
		.amdhsa_private_segment_fixed_size 0
		.amdhsa_kernarg_size 360
		.amdhsa_user_sgpr_count 2
		.amdhsa_user_sgpr_dispatch_ptr 0
		.amdhsa_user_sgpr_queue_ptr 0
		.amdhsa_user_sgpr_kernarg_segment_ptr 1
		.amdhsa_user_sgpr_dispatch_id 0
		.amdhsa_user_sgpr_kernarg_preload_length 0
		.amdhsa_user_sgpr_kernarg_preload_offset 0
		.amdhsa_user_sgpr_private_segment_size 0
		.amdhsa_wavefront_size32 1
		.amdhsa_uses_dynamic_stack 0
		.amdhsa_enable_private_segment 0
		.amdhsa_system_sgpr_workgroup_id_x 1
		.amdhsa_system_sgpr_workgroup_id_y 0
		.amdhsa_system_sgpr_workgroup_id_z 0
		.amdhsa_system_sgpr_workgroup_info 0
		.amdhsa_system_vgpr_workitem_id 0
		.amdhsa_next_free_vgpr 23
		.amdhsa_next_free_sgpr 60
		.amdhsa_named_barrier_count 0
		.amdhsa_reserve_vcc 1
		.amdhsa_float_round_mode_32 0
		.amdhsa_float_round_mode_16_64 0
		.amdhsa_float_denorm_mode_32 3
		.amdhsa_float_denorm_mode_16_64 3
		.amdhsa_fp16_overflow 0
		.amdhsa_memory_ordered 1
		.amdhsa_forward_progress 1
		.amdhsa_inst_pref_size 123
		.amdhsa_round_robin_scheduling 0
		.amdhsa_exception_fp_ieee_invalid_op 0
		.amdhsa_exception_fp_denorm_src 0
		.amdhsa_exception_fp_ieee_div_zero 0
		.amdhsa_exception_fp_ieee_overflow 0
		.amdhsa_exception_fp_ieee_underflow 0
		.amdhsa_exception_fp_ieee_inexact 0
		.amdhsa_exception_int_div_zero 0
	.end_amdhsa_kernel
	.section	.text._ZN2at6native32elementwise_kernel_manual_unrollILi128ELi8EZNS0_22gpu_kernel_impl_nocastIZZZNS0_12_GLOBAL__N_119launch_clamp_scalarERNS_18TensorIteratorBaseEN3c106ScalarES7_NS0_6detail11ClampLimitsEENKUlvE_clEvENKUlvE0_clEvEUlaE_EEvS5_RKT_EUlibE_EEviT1_,"axG",@progbits,_ZN2at6native32elementwise_kernel_manual_unrollILi128ELi8EZNS0_22gpu_kernel_impl_nocastIZZZNS0_12_GLOBAL__N_119launch_clamp_scalarERNS_18TensorIteratorBaseEN3c106ScalarES7_NS0_6detail11ClampLimitsEENKUlvE_clEvENKUlvE0_clEvEUlaE_EEvS5_RKT_EUlibE_EEviT1_,comdat
.Lfunc_end181:
	.size	_ZN2at6native32elementwise_kernel_manual_unrollILi128ELi8EZNS0_22gpu_kernel_impl_nocastIZZZNS0_12_GLOBAL__N_119launch_clamp_scalarERNS_18TensorIteratorBaseEN3c106ScalarES7_NS0_6detail11ClampLimitsEENKUlvE_clEvENKUlvE0_clEvEUlaE_EEvS5_RKT_EUlibE_EEviT1_, .Lfunc_end181-_ZN2at6native32elementwise_kernel_manual_unrollILi128ELi8EZNS0_22gpu_kernel_impl_nocastIZZZNS0_12_GLOBAL__N_119launch_clamp_scalarERNS_18TensorIteratorBaseEN3c106ScalarES7_NS0_6detail11ClampLimitsEENKUlvE_clEvENKUlvE0_clEvEUlaE_EEvS5_RKT_EUlibE_EEviT1_
                                        ; -- End function
	.set _ZN2at6native32elementwise_kernel_manual_unrollILi128ELi8EZNS0_22gpu_kernel_impl_nocastIZZZNS0_12_GLOBAL__N_119launch_clamp_scalarERNS_18TensorIteratorBaseEN3c106ScalarES7_NS0_6detail11ClampLimitsEENKUlvE_clEvENKUlvE0_clEvEUlaE_EEvS5_RKT_EUlibE_EEviT1_.num_vgpr, 23
	.set _ZN2at6native32elementwise_kernel_manual_unrollILi128ELi8EZNS0_22gpu_kernel_impl_nocastIZZZNS0_12_GLOBAL__N_119launch_clamp_scalarERNS_18TensorIteratorBaseEN3c106ScalarES7_NS0_6detail11ClampLimitsEENKUlvE_clEvENKUlvE0_clEvEUlaE_EEvS5_RKT_EUlibE_EEviT1_.num_agpr, 0
	.set _ZN2at6native32elementwise_kernel_manual_unrollILi128ELi8EZNS0_22gpu_kernel_impl_nocastIZZZNS0_12_GLOBAL__N_119launch_clamp_scalarERNS_18TensorIteratorBaseEN3c106ScalarES7_NS0_6detail11ClampLimitsEENKUlvE_clEvENKUlvE0_clEvEUlaE_EEvS5_RKT_EUlibE_EEviT1_.numbered_sgpr, 60
	.set _ZN2at6native32elementwise_kernel_manual_unrollILi128ELi8EZNS0_22gpu_kernel_impl_nocastIZZZNS0_12_GLOBAL__N_119launch_clamp_scalarERNS_18TensorIteratorBaseEN3c106ScalarES7_NS0_6detail11ClampLimitsEENKUlvE_clEvENKUlvE0_clEvEUlaE_EEvS5_RKT_EUlibE_EEviT1_.num_named_barrier, 0
	.set _ZN2at6native32elementwise_kernel_manual_unrollILi128ELi8EZNS0_22gpu_kernel_impl_nocastIZZZNS0_12_GLOBAL__N_119launch_clamp_scalarERNS_18TensorIteratorBaseEN3c106ScalarES7_NS0_6detail11ClampLimitsEENKUlvE_clEvENKUlvE0_clEvEUlaE_EEvS5_RKT_EUlibE_EEviT1_.private_seg_size, 0
	.set _ZN2at6native32elementwise_kernel_manual_unrollILi128ELi8EZNS0_22gpu_kernel_impl_nocastIZZZNS0_12_GLOBAL__N_119launch_clamp_scalarERNS_18TensorIteratorBaseEN3c106ScalarES7_NS0_6detail11ClampLimitsEENKUlvE_clEvENKUlvE0_clEvEUlaE_EEvS5_RKT_EUlibE_EEviT1_.uses_vcc, 1
	.set _ZN2at6native32elementwise_kernel_manual_unrollILi128ELi8EZNS0_22gpu_kernel_impl_nocastIZZZNS0_12_GLOBAL__N_119launch_clamp_scalarERNS_18TensorIteratorBaseEN3c106ScalarES7_NS0_6detail11ClampLimitsEENKUlvE_clEvENKUlvE0_clEvEUlaE_EEvS5_RKT_EUlibE_EEviT1_.uses_flat_scratch, 0
	.set _ZN2at6native32elementwise_kernel_manual_unrollILi128ELi8EZNS0_22gpu_kernel_impl_nocastIZZZNS0_12_GLOBAL__N_119launch_clamp_scalarERNS_18TensorIteratorBaseEN3c106ScalarES7_NS0_6detail11ClampLimitsEENKUlvE_clEvENKUlvE0_clEvEUlaE_EEvS5_RKT_EUlibE_EEviT1_.has_dyn_sized_stack, 0
	.set _ZN2at6native32elementwise_kernel_manual_unrollILi128ELi8EZNS0_22gpu_kernel_impl_nocastIZZZNS0_12_GLOBAL__N_119launch_clamp_scalarERNS_18TensorIteratorBaseEN3c106ScalarES7_NS0_6detail11ClampLimitsEENKUlvE_clEvENKUlvE0_clEvEUlaE_EEvS5_RKT_EUlibE_EEviT1_.has_recursion, 0
	.set _ZN2at6native32elementwise_kernel_manual_unrollILi128ELi8EZNS0_22gpu_kernel_impl_nocastIZZZNS0_12_GLOBAL__N_119launch_clamp_scalarERNS_18TensorIteratorBaseEN3c106ScalarES7_NS0_6detail11ClampLimitsEENKUlvE_clEvENKUlvE0_clEvEUlaE_EEvS5_RKT_EUlibE_EEviT1_.has_indirect_call, 0
	.section	.AMDGPU.csdata,"",@progbits
; Kernel info:
; codeLenInByte = 15684
; TotalNumSgprs: 62
; NumVgprs: 23
; ScratchSize: 0
; MemoryBound: 0
; FloatMode: 240
; IeeeMode: 1
; LDSByteSize: 0 bytes/workgroup (compile time only)
; SGPRBlocks: 0
; VGPRBlocks: 1
; NumSGPRsForWavesPerEU: 62
; NumVGPRsForWavesPerEU: 23
; NamedBarCnt: 0
; Occupancy: 16
; WaveLimiterHint : 1
; COMPUTE_PGM_RSRC2:SCRATCH_EN: 0
; COMPUTE_PGM_RSRC2:USER_SGPR: 2
; COMPUTE_PGM_RSRC2:TRAP_HANDLER: 0
; COMPUTE_PGM_RSRC2:TGID_X_EN: 1
; COMPUTE_PGM_RSRC2:TGID_Y_EN: 0
; COMPUTE_PGM_RSRC2:TGID_Z_EN: 0
; COMPUTE_PGM_RSRC2:TIDIG_COMP_CNT: 0
	.section	.text._ZN2at6native32elementwise_kernel_manual_unrollILi128ELi4EZNS0_15gpu_kernel_implIZZZNS0_12_GLOBAL__N_119launch_clamp_scalarERNS_18TensorIteratorBaseEN3c106ScalarES7_NS0_6detail11ClampLimitsEENKUlvE_clEvENKUlvE0_clEvEUlaE_EEvS5_RKT_EUlibE_EEviT1_,"axG",@progbits,_ZN2at6native32elementwise_kernel_manual_unrollILi128ELi4EZNS0_15gpu_kernel_implIZZZNS0_12_GLOBAL__N_119launch_clamp_scalarERNS_18TensorIteratorBaseEN3c106ScalarES7_NS0_6detail11ClampLimitsEENKUlvE_clEvENKUlvE0_clEvEUlaE_EEvS5_RKT_EUlibE_EEviT1_,comdat
	.globl	_ZN2at6native32elementwise_kernel_manual_unrollILi128ELi4EZNS0_15gpu_kernel_implIZZZNS0_12_GLOBAL__N_119launch_clamp_scalarERNS_18TensorIteratorBaseEN3c106ScalarES7_NS0_6detail11ClampLimitsEENKUlvE_clEvENKUlvE0_clEvEUlaE_EEvS5_RKT_EUlibE_EEviT1_ ; -- Begin function _ZN2at6native32elementwise_kernel_manual_unrollILi128ELi4EZNS0_15gpu_kernel_implIZZZNS0_12_GLOBAL__N_119launch_clamp_scalarERNS_18TensorIteratorBaseEN3c106ScalarES7_NS0_6detail11ClampLimitsEENKUlvE_clEvENKUlvE0_clEvEUlaE_EEvS5_RKT_EUlibE_EEviT1_
	.p2align	8
	.type	_ZN2at6native32elementwise_kernel_manual_unrollILi128ELi4EZNS0_15gpu_kernel_implIZZZNS0_12_GLOBAL__N_119launch_clamp_scalarERNS_18TensorIteratorBaseEN3c106ScalarES7_NS0_6detail11ClampLimitsEENKUlvE_clEvENKUlvE0_clEvEUlaE_EEvS5_RKT_EUlibE_EEviT1_,@function
_ZN2at6native32elementwise_kernel_manual_unrollILi128ELi4EZNS0_15gpu_kernel_implIZZZNS0_12_GLOBAL__N_119launch_clamp_scalarERNS_18TensorIteratorBaseEN3c106ScalarES7_NS0_6detail11ClampLimitsEENKUlvE_clEvENKUlvE0_clEvEUlaE_EEvS5_RKT_EUlibE_EEviT1_: ; @_ZN2at6native32elementwise_kernel_manual_unrollILi128ELi4EZNS0_15gpu_kernel_implIZZZNS0_12_GLOBAL__N_119launch_clamp_scalarERNS_18TensorIteratorBaseEN3c106ScalarES7_NS0_6detail11ClampLimitsEENKUlvE_clEvENKUlvE0_clEvEUlaE_EEvS5_RKT_EUlibE_EEviT1_
; %bb.0:
	s_clause 0x1
	s_load_b256 s[4:11], s[0:1], 0x8
	s_load_b32 s2, s[0:1], 0x28
	s_bfe_u32 s12, ttmp6, 0x4000c
	s_load_b32 s15, s[0:1], 0x0
	s_add_co_i32 s12, s12, 1
	s_and_b32 s3, ttmp6, 15
	s_mul_i32 s13, ttmp9, s12
	s_wait_xcnt 0x0
	s_getreg_b32 s0, hwreg(HW_REG_IB_STS2, 6, 4)
	s_add_co_i32 s3, s3, s13
	s_mov_b32 s14, 0
	s_wait_kmcnt 0x0
	s_bfe_u32 s1, s11, 0x80008
	s_bfe_u32 s12, s2, 0x80008
	s_cmp_eq_u32 s0, 0
	s_cselect_b32 s0, ttmp9, s3
	s_mov_b32 s3, 0
	v_lshl_or_b32 v6, s0, 9, v0
	s_mov_b32 s0, exec_lo
	s_delay_alu instid0(VALU_DEP_1) | instskip(NEXT) | instid1(VALU_DEP_1)
	v_or_b32_e32 v0, 0x180, v6
	v_cmpx_le_i32_e64 s15, v0
	s_xor_b32 s13, exec_lo, s0
	s_cbranch_execz .LBB182_1059
; %bb.1:
	s_mov_b32 s20, -1
	s_mov_b32 s18, 0
	s_mov_b32 s16, 0
	s_mov_b32 s17, exec_lo
	v_cmpx_gt_i32_e64 s15, v6
	s_cbranch_execz .LBB182_259
; %bb.2:
	v_mul_lo_u32 v0, v6, s9
	s_and_b32 s0, 0xffff, s12
	s_delay_alu instid0(SALU_CYCLE_1) | instskip(NEXT) | instid1(VALU_DEP_1)
	s_cmp_lt_i32 s0, 11
	v_ashrrev_i32_e32 v1, 31, v0
	s_delay_alu instid0(VALU_DEP_1)
	v_add_nc_u64_e32 v[0:1], s[6:7], v[0:1]
	s_cbranch_scc1 .LBB182_9
; %bb.3:
	s_cmp_gt_i32 s0, 25
	s_cbranch_scc0 .LBB182_14
; %bb.4:
	s_cmp_gt_i32 s0, 28
	s_cbranch_scc0 .LBB182_16
	;; [unrolled: 3-line block ×4, first 2 shown]
; %bb.7:
	s_cmp_eq_u32 s0, 46
	s_mov_b32 s19, 0
	s_cbranch_scc0 .LBB182_38
; %bb.8:
	global_load_b32 v2, v[0:1], off
	s_mov_b32 s14, -1
	s_wait_loadcnt 0x0
	v_lshlrev_b32_e32 v2, 16, v2
	s_delay_alu instid0(VALU_DEP_1)
	v_cvt_i32_f32_e32 v2, v2
	s_branch .LBB182_40
.LBB182_9:
                                        ; implicit-def: $vgpr2
	s_cbranch_execnz .LBB182_209
.LBB182_10:
	s_and_not1_b32 vcc_lo, exec_lo, s14
	s_cbranch_vccnz .LBB182_256
.LBB182_11:
	s_cmp_lt_i32 s10, 1
	s_mov_b32 s0, 0
	s_cbranch_scc1 .LBB182_15
; %bb.12:
	s_cmp_eq_u32 s10, 1
	s_cbranch_scc0 .LBB182_17
; %bb.13:
	s_wait_loadcnt 0x0
	s_delay_alu instid0(VALU_DEP_1)
	v_bfe_i32 v0, v2, 0, 8
	s_bfe_i32 s14, s11, 0x80000
	s_delay_alu instid0(VALU_DEP_1) | instid1(SALU_CYCLE_1)
	v_min_i16 v3, v0, s14
	s_mov_b32 s14, 0
	s_branch .LBB182_18
.LBB182_14:
                                        ; implicit-def: $vgpr2
	s_cbranch_execnz .LBB182_176
	s_branch .LBB182_208
.LBB182_15:
	s_mov_b32 s14, 0
                                        ; implicit-def: $vgpr3
	s_cbranch_execnz .LBB182_19
	s_branch .LBB182_20
.LBB182_16:
	s_mov_b32 s19, -1
                                        ; implicit-def: $vgpr2
	s_branch .LBB182_159
.LBB182_17:
	s_mov_b32 s14, -1
                                        ; implicit-def: $vgpr3
.LBB182_18:
	s_branch .LBB182_20
.LBB182_19:
	s_cmp_lg_u32 s10, 0
	s_mov_b32 s0, -1
	s_cselect_b32 s14, -1, 0
.LBB182_20:
	s_wait_loadcnt 0x0
	s_delay_alu instid0(VALU_DEP_1)
	v_bfe_i32 v0, v2, 0, 8
	s_and_not1_b32 vcc_lo, exec_lo, s14
	s_cbranch_vccnz .LBB182_22
; %bb.21:
	s_bfe_i32 s0, s11, 0x80000
	s_delay_alu instid0(VALU_DEP_1) | instid1(SALU_CYCLE_1)
	v_max_i16 v1, v0, s0
	s_bfe_i32 s0, s1, 0x80000
	s_delay_alu instid0(VALU_DEP_1) | instid1(SALU_CYCLE_1)
	v_min_i16 v3, v1, s0
	s_cbranch_execz .LBB182_23
	s_branch .LBB182_24
.LBB182_22:
	s_and_not1_b32 vcc_lo, exec_lo, s0
	s_cbranch_vccnz .LBB182_24
.LBB182_23:
	s_bfe_i32 s0, s11, 0x80000
	s_delay_alu instid0(SALU_CYCLE_1)
	v_max_i16 v3, v0, s0
.LBB182_24:
	v_mul_lo_u32 v0, v6, s8
	s_and_b32 s14, s2, 0xff
	s_delay_alu instid0(SALU_CYCLE_1) | instskip(NEXT) | instid1(VALU_DEP_1)
	s_cmp_lt_i32 s14, 11
	v_ashrrev_i32_e32 v1, 31, v0
	s_delay_alu instid0(VALU_DEP_1)
	v_add_nc_u64_e32 v[0:1], s[4:5], v[0:1]
	s_cbranch_scc1 .LBB182_31
; %bb.25:
	s_and_b32 s19, 0xffff, s14
	s_delay_alu instid0(SALU_CYCLE_1)
	s_cmp_gt_i32 s19, 25
	s_cbranch_scc0 .LBB182_33
; %bb.26:
	s_cmp_gt_i32 s19, 28
	s_cbranch_scc0 .LBB182_35
; %bb.27:
	;; [unrolled: 3-line block ×4, first 2 shown]
	s_mov_b32 s21, 0
	s_mov_b32 s0, -1
	s_cmp_eq_u32 s19, 46
	s_mov_b32 s20, 0
	s_cbranch_scc0 .LBB182_44
; %bb.30:
	v_bfe_i32 v2, v3, 0, 8
	s_mov_b32 s20, -1
	s_mov_b32 s0, 0
	s_delay_alu instid0(VALU_DEP_1) | instskip(NEXT) | instid1(VALU_DEP_1)
	v_bfe_i32 v2, v2, 0, 16
	v_cvt_f32_i32_e32 v2, v2
	s_delay_alu instid0(VALU_DEP_1) | instskip(NEXT) | instid1(VALU_DEP_1)
	v_bfe_u32 v4, v2, 16, 1
	v_add3_u32 v2, v2, v4, 0x7fff
	s_delay_alu instid0(VALU_DEP_1)
	v_lshrrev_b32_e32 v2, 16, v2
	global_store_b32 v[0:1], v2, off
	s_branch .LBB182_44
.LBB182_31:
	s_mov_b32 s0, 0
	s_mov_b32 s20, 0
	s_cbranch_execnz .LBB182_113
.LBB182_32:
	s_and_not1_b32 vcc_lo, exec_lo, s20
	s_cbranch_vccnz .LBB182_257
	s_branch .LBB182_151
.LBB182_33:
	s_mov_b32 s21, -1
	s_mov_b32 s0, 0
	s_mov_b32 s20, 0
	s_branch .LBB182_71
.LBB182_34:
	s_mov_b32 s19, -1
                                        ; implicit-def: $vgpr2
	s_branch .LBB182_154
.LBB182_35:
	s_mov_b32 s21, -1
	s_mov_b32 s0, 0
	s_mov_b32 s20, 0
	s_branch .LBB182_54
.LBB182_36:
	s_mov_b32 s19, -1
	s_branch .LBB182_39
.LBB182_37:
	s_mov_b32 s21, -1
	s_mov_b32 s0, 0
	s_mov_b32 s20, 0
	s_branch .LBB182_50
.LBB182_38:
	s_mov_b32 s16, -1
.LBB182_39:
                                        ; implicit-def: $vgpr2
.LBB182_40:
	s_and_b32 vcc_lo, exec_lo, s19
	s_cbranch_vccz .LBB182_153
; %bb.41:
	s_cmp_eq_u32 s0, 44
	s_cbranch_scc0 .LBB182_152
; %bb.42:
	global_load_u8 v2, v[0:1], off
	s_mov_b32 s16, 0
	s_mov_b32 s14, -1
	s_wait_loadcnt 0x0
	v_lshlrev_b32_e32 v3, 23, v2
	v_cmp_ne_u32_e32 vcc_lo, 0, v2
	s_delay_alu instid0(VALU_DEP_2) | instskip(NEXT) | instid1(VALU_DEP_1)
	v_cvt_i32_f32_e32 v3, v3
	v_cndmask_b32_e32 v2, 0, v3, vcc_lo
	s_branch .LBB182_153
.LBB182_43:
	s_mov_b32 s21, -1
	s_mov_b32 s0, 0
	s_mov_b32 s20, 0
.LBB182_44:
	s_and_b32 vcc_lo, exec_lo, s21
	s_cbranch_vccz .LBB182_49
; %bb.45:
	s_cmp_eq_u32 s19, 44
	s_mov_b32 s0, -1
	s_cbranch_scc0 .LBB182_49
; %bb.46:
	s_wait_xcnt 0x0
	v_bfe_i32 v2, v3, 0, 8
	v_mov_b32_e32 v4, 0xff
	s_mov_b32 s20, exec_lo
	s_delay_alu instid0(VALU_DEP_2) | instskip(NEXT) | instid1(VALU_DEP_1)
	v_bfe_i32 v2, v2, 0, 16
	v_cvt_f32_i32_e32 v2, v2
	s_delay_alu instid0(VALU_DEP_1) | instskip(NEXT) | instid1(VALU_DEP_1)
	v_bfe_u32 v5, v2, 23, 8
	v_cmpx_ne_u32_e32 0xff, v5
	s_cbranch_execz .LBB182_48
; %bb.47:
	v_and_b32_e32 v4, 0x400000, v2
	v_and_or_b32 v5, 0x3fffff, v2, v5
	v_lshrrev_b32_e32 v2, 23, v2
	s_delay_alu instid0(VALU_DEP_3) | instskip(NEXT) | instid1(VALU_DEP_3)
	v_cmp_ne_u32_e32 vcc_lo, 0, v4
	v_cmp_ne_u32_e64 s0, 0, v5
	s_and_b32 s0, vcc_lo, s0
	s_delay_alu instid0(SALU_CYCLE_1) | instskip(NEXT) | instid1(VALU_DEP_1)
	v_cndmask_b32_e64 v4, 0, 1, s0
	v_add_nc_u32_e32 v4, v2, v4
.LBB182_48:
	s_or_b32 exec_lo, exec_lo, s20
	s_mov_b32 s20, -1
	s_mov_b32 s0, 0
	global_store_b8 v[0:1], v4, off
.LBB182_49:
	s_mov_b32 s21, 0
.LBB182_50:
	s_delay_alu instid0(SALU_CYCLE_1)
	s_and_b32 vcc_lo, exec_lo, s21
	s_cbranch_vccz .LBB182_53
; %bb.51:
	s_cmp_eq_u32 s19, 29
	s_mov_b32 s0, -1
	s_cbranch_scc0 .LBB182_53
; %bb.52:
	s_wait_xcnt 0x0
	v_bfe_i32 v4, v3, 0, 8
	s_mov_b32 s20, -1
	s_mov_b32 s0, 0
	s_mov_b32 s21, 0
	s_delay_alu instid0(VALU_DEP_1)
	v_ashrrev_i32_e32 v5, 31, v4
	global_store_b64 v[0:1], v[4:5], off
	s_branch .LBB182_54
.LBB182_53:
	s_mov_b32 s21, 0
.LBB182_54:
	s_delay_alu instid0(SALU_CYCLE_1)
	s_and_b32 vcc_lo, exec_lo, s21
	s_cbranch_vccz .LBB182_70
; %bb.55:
	s_cmp_lt_i32 s19, 27
	s_mov_b32 s20, -1
	s_cbranch_scc1 .LBB182_61
; %bb.56:
	s_cmp_gt_i32 s19, 27
	s_cbranch_scc0 .LBB182_58
; %bb.57:
	s_wait_xcnt 0x0
	v_bfe_i32 v2, v3, 0, 8
	s_mov_b32 s20, 0
	global_store_b32 v[0:1], v2, off
.LBB182_58:
	s_and_not1_b32 vcc_lo, exec_lo, s20
	s_cbranch_vccnz .LBB182_60
; %bb.59:
	s_wait_xcnt 0x0
	v_bfe_i32 v2, v3, 0, 8
	global_store_b16 v[0:1], v2, off
.LBB182_60:
	s_mov_b32 s20, 0
.LBB182_61:
	s_delay_alu instid0(SALU_CYCLE_1)
	s_and_not1_b32 vcc_lo, exec_lo, s20
	s_cbranch_vccnz .LBB182_69
; %bb.62:
	s_wait_xcnt 0x0
	v_bfe_i32 v2, v3, 0, 8
	v_mov_b32_e32 v5, 0x80
	s_mov_b32 s20, exec_lo
	s_delay_alu instid0(VALU_DEP_2) | instskip(NEXT) | instid1(VALU_DEP_1)
	v_bfe_i32 v2, v2, 0, 16
	v_cvt_f32_i32_e32 v2, v2
	s_delay_alu instid0(VALU_DEP_1) | instskip(NEXT) | instid1(VALU_DEP_1)
	v_and_b32_e32 v4, 0x7fffffff, v2
	v_cmpx_gt_u32_e32 0x43800000, v4
	s_cbranch_execz .LBB182_68
; %bb.63:
	v_cmp_lt_u32_e32 vcc_lo, 0x3bffffff, v4
	s_mov_b32 s21, 0
                                        ; implicit-def: $vgpr4
	s_and_saveexec_b32 s22, vcc_lo
	s_delay_alu instid0(SALU_CYCLE_1)
	s_xor_b32 s22, exec_lo, s22
	s_cbranch_execz .LBB182_297
; %bb.64:
	v_bfe_u32 v4, v2, 20, 1
	s_mov_b32 s21, exec_lo
	s_delay_alu instid0(VALU_DEP_1) | instskip(NEXT) | instid1(VALU_DEP_1)
	v_add3_u32 v4, v2, v4, 0x487ffff
	v_lshrrev_b32_e32 v4, 20, v4
	s_and_not1_saveexec_b32 s22, s22
	s_cbranch_execnz .LBB182_298
.LBB182_65:
	s_or_b32 exec_lo, exec_lo, s22
	v_mov_b32_e32 v5, 0
	s_and_saveexec_b32 s22, s21
.LBB182_66:
	v_lshrrev_b32_e32 v2, 24, v2
	s_delay_alu instid0(VALU_DEP_1)
	v_and_or_b32 v5, 0x80, v2, v4
.LBB182_67:
	s_or_b32 exec_lo, exec_lo, s22
.LBB182_68:
	s_delay_alu instid0(SALU_CYCLE_1)
	s_or_b32 exec_lo, exec_lo, s20
	global_store_b8 v[0:1], v5, off
.LBB182_69:
	s_mov_b32 s20, -1
.LBB182_70:
	s_mov_b32 s21, 0
.LBB182_71:
	s_delay_alu instid0(SALU_CYCLE_1)
	s_and_b32 vcc_lo, exec_lo, s21
	s_cbranch_vccz .LBB182_112
; %bb.72:
	s_cmp_gt_i32 s19, 22
	s_mov_b32 s21, -1
	s_cbranch_scc0 .LBB182_104
; %bb.73:
	s_cmp_lt_i32 s19, 24
	s_mov_b32 s20, -1
	s_cbranch_scc1 .LBB182_93
; %bb.74:
	s_cmp_gt_i32 s19, 24
	s_cbranch_scc0 .LBB182_82
; %bb.75:
	s_wait_xcnt 0x0
	v_bfe_i32 v2, v3, 0, 8
	v_mov_b32_e32 v5, 0x80
	s_mov_b32 s20, exec_lo
	s_delay_alu instid0(VALU_DEP_2) | instskip(NEXT) | instid1(VALU_DEP_1)
	v_bfe_i32 v2, v2, 0, 16
	v_cvt_f32_i32_e32 v2, v2
	s_delay_alu instid0(VALU_DEP_1) | instskip(NEXT) | instid1(VALU_DEP_1)
	v_and_b32_e32 v4, 0x7fffffff, v2
	v_cmpx_gt_u32_e32 0x47800000, v4
	s_cbranch_execz .LBB182_81
; %bb.76:
	v_cmp_lt_u32_e32 vcc_lo, 0x37ffffff, v4
	s_mov_b32 s21, 0
                                        ; implicit-def: $vgpr4
	s_and_saveexec_b32 s22, vcc_lo
	s_delay_alu instid0(SALU_CYCLE_1)
	s_xor_b32 s22, exec_lo, s22
	s_cbranch_execz .LBB182_301
; %bb.77:
	v_bfe_u32 v4, v2, 21, 1
	s_mov_b32 s21, exec_lo
	s_delay_alu instid0(VALU_DEP_1) | instskip(NEXT) | instid1(VALU_DEP_1)
	v_add3_u32 v4, v2, v4, 0x88fffff
	v_lshrrev_b32_e32 v4, 21, v4
	s_and_not1_saveexec_b32 s22, s22
	s_cbranch_execnz .LBB182_302
.LBB182_78:
	s_or_b32 exec_lo, exec_lo, s22
	v_mov_b32_e32 v5, 0
	s_and_saveexec_b32 s22, s21
.LBB182_79:
	v_lshrrev_b32_e32 v2, 24, v2
	s_delay_alu instid0(VALU_DEP_1)
	v_and_or_b32 v5, 0x80, v2, v4
.LBB182_80:
	s_or_b32 exec_lo, exec_lo, s22
.LBB182_81:
	s_delay_alu instid0(SALU_CYCLE_1)
	s_or_b32 exec_lo, exec_lo, s20
	s_mov_b32 s20, 0
	global_store_b8 v[0:1], v5, off
.LBB182_82:
	s_and_b32 vcc_lo, exec_lo, s20
	s_cbranch_vccz .LBB182_92
; %bb.83:
	s_wait_xcnt 0x0
	v_bfe_i32 v2, v3, 0, 8
	s_mov_b32 s20, exec_lo
                                        ; implicit-def: $vgpr4
	s_delay_alu instid0(VALU_DEP_1) | instskip(NEXT) | instid1(VALU_DEP_1)
	v_bfe_i32 v2, v2, 0, 16
	v_cvt_f32_i32_e32 v2, v2
	s_delay_alu instid0(VALU_DEP_1) | instskip(NEXT) | instid1(VALU_DEP_1)
	v_and_b32_e32 v5, 0x7fffffff, v2
	v_cmpx_gt_u32_e32 0x43f00000, v5
	s_xor_b32 s20, exec_lo, s20
	s_cbranch_execz .LBB182_89
; %bb.84:
	s_mov_b32 s21, exec_lo
                                        ; implicit-def: $vgpr4
	v_cmpx_lt_u32_e32 0x3c7fffff, v5
	s_xor_b32 s21, exec_lo, s21
; %bb.85:
	v_bfe_u32 v4, v2, 20, 1
	s_delay_alu instid0(VALU_DEP_1) | instskip(NEXT) | instid1(VALU_DEP_1)
	v_add3_u32 v4, v2, v4, 0x407ffff
	v_and_b32_e32 v5, 0xff00000, v4
	v_lshrrev_b32_e32 v4, 20, v4
	s_delay_alu instid0(VALU_DEP_2) | instskip(NEXT) | instid1(VALU_DEP_2)
	v_cmp_ne_u32_e32 vcc_lo, 0x7f00000, v5
	v_cndmask_b32_e32 v4, 0x7e, v4, vcc_lo
; %bb.86:
	s_and_not1_saveexec_b32 s21, s21
; %bb.87:
	v_add_f32_e64 v4, 0x46800000, |v2|
; %bb.88:
	s_or_b32 exec_lo, exec_lo, s21
                                        ; implicit-def: $vgpr5
.LBB182_89:
	s_and_not1_saveexec_b32 s20, s20
; %bb.90:
	v_mov_b32_e32 v4, 0x7f
	v_cmp_lt_u32_e32 vcc_lo, 0x7f800000, v5
	s_delay_alu instid0(VALU_DEP_2)
	v_cndmask_b32_e32 v4, 0x7e, v4, vcc_lo
; %bb.91:
	s_or_b32 exec_lo, exec_lo, s20
	v_lshrrev_b32_e32 v2, 24, v2
	s_delay_alu instid0(VALU_DEP_1)
	v_and_or_b32 v2, 0x80, v2, v4
	global_store_b8 v[0:1], v2, off
.LBB182_92:
	s_mov_b32 s20, 0
.LBB182_93:
	s_delay_alu instid0(SALU_CYCLE_1)
	s_and_not1_b32 vcc_lo, exec_lo, s20
	s_cbranch_vccnz .LBB182_103
; %bb.94:
	s_wait_xcnt 0x0
	v_bfe_i32 v2, v3, 0, 8
	s_mov_b32 s20, exec_lo
                                        ; implicit-def: $vgpr4
	s_delay_alu instid0(VALU_DEP_1) | instskip(NEXT) | instid1(VALU_DEP_1)
	v_bfe_i32 v2, v2, 0, 16
	v_cvt_f32_i32_e32 v2, v2
	s_delay_alu instid0(VALU_DEP_1) | instskip(NEXT) | instid1(VALU_DEP_1)
	v_and_b32_e32 v5, 0x7fffffff, v2
	v_cmpx_gt_u32_e32 0x47800000, v5
	s_xor_b32 s20, exec_lo, s20
	s_cbranch_execz .LBB182_100
; %bb.95:
	s_mov_b32 s21, exec_lo
                                        ; implicit-def: $vgpr4
	v_cmpx_lt_u32_e32 0x387fffff, v5
	s_xor_b32 s21, exec_lo, s21
; %bb.96:
	v_bfe_u32 v4, v2, 21, 1
	s_delay_alu instid0(VALU_DEP_1) | instskip(NEXT) | instid1(VALU_DEP_1)
	v_add3_u32 v4, v2, v4, 0x80fffff
	v_lshrrev_b32_e32 v4, 21, v4
; %bb.97:
	s_and_not1_saveexec_b32 s21, s21
; %bb.98:
	v_add_f32_e64 v4, 0x43000000, |v2|
; %bb.99:
	s_or_b32 exec_lo, exec_lo, s21
                                        ; implicit-def: $vgpr5
.LBB182_100:
	s_and_not1_saveexec_b32 s20, s20
; %bb.101:
	v_mov_b32_e32 v4, 0x7f
	v_cmp_lt_u32_e32 vcc_lo, 0x7f800000, v5
	s_delay_alu instid0(VALU_DEP_2)
	v_cndmask_b32_e32 v4, 0x7c, v4, vcc_lo
; %bb.102:
	s_or_b32 exec_lo, exec_lo, s20
	v_lshrrev_b32_e32 v2, 24, v2
	s_delay_alu instid0(VALU_DEP_1)
	v_and_or_b32 v2, 0x80, v2, v4
	global_store_b8 v[0:1], v2, off
.LBB182_103:
	s_mov_b32 s21, 0
	s_mov_b32 s20, -1
.LBB182_104:
	s_and_not1_b32 vcc_lo, exec_lo, s21
	s_cbranch_vccnz .LBB182_112
; %bb.105:
	s_cmp_gt_i32 s19, 14
	s_mov_b32 s21, -1
	s_cbranch_scc0 .LBB182_109
; %bb.106:
	s_cmp_eq_u32 s19, 15
	s_mov_b32 s0, -1
	s_cbranch_scc0 .LBB182_108
; %bb.107:
	s_wait_xcnt 0x0
	v_bfe_i32 v2, v3, 0, 8
	s_mov_b32 s20, -1
	s_mov_b32 s0, 0
	s_delay_alu instid0(VALU_DEP_1) | instskip(NEXT) | instid1(VALU_DEP_1)
	v_bfe_i32 v2, v2, 0, 16
	v_cvt_f32_i32_e32 v2, v2
	s_delay_alu instid0(VALU_DEP_1) | instskip(NEXT) | instid1(VALU_DEP_1)
	v_bfe_u32 v4, v2, 16, 1
	v_add3_u32 v2, v2, v4, 0x7fff
	global_store_d16_hi_b16 v[0:1], v2, off
.LBB182_108:
	s_mov_b32 s21, 0
.LBB182_109:
	s_delay_alu instid0(SALU_CYCLE_1)
	s_and_b32 vcc_lo, exec_lo, s21
	s_cbranch_vccz .LBB182_112
; %bb.110:
	s_cmp_eq_u32 s19, 11
	s_mov_b32 s0, -1
	s_cbranch_scc0 .LBB182_112
; %bb.111:
	s_wait_xcnt 0x0
	v_and_b32_e32 v2, 0xff, v3
	s_mov_b32 s0, 0
	s_mov_b32 s20, -1
	s_delay_alu instid0(VALU_DEP_1)
	v_cmp_ne_u16_e32 vcc_lo, 0, v2
	v_cndmask_b32_e64 v2, 0, 1, vcc_lo
	global_store_b8 v[0:1], v2, off
.LBB182_112:
	s_branch .LBB182_32
.LBB182_113:
	s_and_b32 s14, 0xffff, s14
	s_mov_b32 s19, -1
	s_cmp_lt_i32 s14, 5
	s_cbranch_scc1 .LBB182_134
; %bb.114:
	s_cmp_lt_i32 s14, 8
	s_cbranch_scc1 .LBB182_124
; %bb.115:
	;; [unrolled: 3-line block ×3, first 2 shown]
	s_cmp_gt_i32 s14, 9
	s_cbranch_scc0 .LBB182_118
; %bb.117:
	s_wait_xcnt 0x0
	v_bfe_i32 v2, v3, 0, 8
	v_mov_b32_e32 v10, 0
	s_mov_b32 s19, 0
	s_delay_alu instid0(VALU_DEP_2) | instskip(NEXT) | instid1(VALU_DEP_2)
	v_bfe_i32 v2, v2, 0, 16
	v_mov_b32_e32 v11, v10
	s_delay_alu instid0(VALU_DEP_2)
	v_cvt_f64_i32_e32 v[8:9], v2
	global_store_b128 v[0:1], v[8:11], off
.LBB182_118:
	s_and_not1_b32 vcc_lo, exec_lo, s19
	s_cbranch_vccnz .LBB182_120
; %bb.119:
	s_wait_xcnt 0x0
	v_bfe_i32 v2, v3, 0, 8
	v_mov_b32_e32 v5, 0
	s_delay_alu instid0(VALU_DEP_2) | instskip(NEXT) | instid1(VALU_DEP_1)
	v_bfe_i32 v2, v2, 0, 16
	v_cvt_f32_i32_e32 v4, v2
	global_store_b64 v[0:1], v[4:5], off
.LBB182_120:
	s_mov_b32 s19, 0
.LBB182_121:
	s_delay_alu instid0(SALU_CYCLE_1)
	s_and_not1_b32 vcc_lo, exec_lo, s19
	s_cbranch_vccnz .LBB182_123
; %bb.122:
	s_wait_xcnt 0x0
	v_bfe_i32 v2, v3, 0, 8
	s_delay_alu instid0(VALU_DEP_1) | instskip(NEXT) | instid1(VALU_DEP_1)
	v_cvt_f16_i16_e32 v2, v2
	v_and_b32_e32 v2, 0xffff, v2
	global_store_b32 v[0:1], v2, off
.LBB182_123:
	s_mov_b32 s19, 0
.LBB182_124:
	s_delay_alu instid0(SALU_CYCLE_1)
	s_and_not1_b32 vcc_lo, exec_lo, s19
	s_cbranch_vccnz .LBB182_133
; %bb.125:
	s_cmp_lt_i32 s14, 6
	s_mov_b32 s19, -1
	s_cbranch_scc1 .LBB182_131
; %bb.126:
	s_cmp_gt_i32 s14, 6
	s_cbranch_scc0 .LBB182_128
; %bb.127:
	s_wait_xcnt 0x0
	v_bfe_i32 v2, v3, 0, 8
	s_mov_b32 s19, 0
	s_delay_alu instid0(VALU_DEP_1) | instskip(NEXT) | instid1(VALU_DEP_1)
	v_bfe_i32 v2, v2, 0, 16
	v_cvt_f64_i32_e32 v[4:5], v2
	global_store_b64 v[0:1], v[4:5], off
.LBB182_128:
	s_and_not1_b32 vcc_lo, exec_lo, s19
	s_cbranch_vccnz .LBB182_130
; %bb.129:
	s_wait_xcnt 0x0
	v_bfe_i32 v2, v3, 0, 8
	s_delay_alu instid0(VALU_DEP_1) | instskip(NEXT) | instid1(VALU_DEP_1)
	v_bfe_i32 v2, v2, 0, 16
	v_cvt_f32_i32_e32 v2, v2
	global_store_b32 v[0:1], v2, off
.LBB182_130:
	s_mov_b32 s19, 0
.LBB182_131:
	s_delay_alu instid0(SALU_CYCLE_1)
	s_and_not1_b32 vcc_lo, exec_lo, s19
	s_cbranch_vccnz .LBB182_133
; %bb.132:
	s_wait_xcnt 0x0
	v_bfe_i32 v2, v3, 0, 8
	s_delay_alu instid0(VALU_DEP_1)
	v_cvt_f16_i16_e32 v2, v2
	global_store_b16 v[0:1], v2, off
.LBB182_133:
	s_mov_b32 s19, 0
.LBB182_134:
	s_delay_alu instid0(SALU_CYCLE_1)
	s_and_not1_b32 vcc_lo, exec_lo, s19
	s_cbranch_vccnz .LBB182_150
; %bb.135:
	s_cmp_lt_i32 s14, 2
	s_mov_b32 s19, -1
	s_cbranch_scc1 .LBB182_145
; %bb.136:
	s_cmp_lt_i32 s14, 3
	s_cbranch_scc1 .LBB182_142
; %bb.137:
	s_cmp_gt_i32 s14, 3
	s_cbranch_scc0 .LBB182_139
; %bb.138:
	s_wait_xcnt 0x0
	v_bfe_i32 v4, v3, 0, 8
	s_mov_b32 s19, 0
	s_delay_alu instid0(VALU_DEP_1)
	v_ashrrev_i32_e32 v5, 31, v4
	global_store_b64 v[0:1], v[4:5], off
.LBB182_139:
	s_and_not1_b32 vcc_lo, exec_lo, s19
	s_cbranch_vccnz .LBB182_141
; %bb.140:
	s_wait_xcnt 0x0
	v_bfe_i32 v2, v3, 0, 8
	global_store_b32 v[0:1], v2, off
.LBB182_141:
	s_mov_b32 s19, 0
.LBB182_142:
	s_delay_alu instid0(SALU_CYCLE_1)
	s_and_not1_b32 vcc_lo, exec_lo, s19
	s_cbranch_vccnz .LBB182_144
; %bb.143:
	s_wait_xcnt 0x0
	v_bfe_i32 v2, v3, 0, 8
	global_store_b16 v[0:1], v2, off
.LBB182_144:
	s_mov_b32 s19, 0
.LBB182_145:
	s_delay_alu instid0(SALU_CYCLE_1)
	s_and_not1_b32 vcc_lo, exec_lo, s19
	s_cbranch_vccnz .LBB182_150
; %bb.146:
	s_cmp_gt_i32 s14, 0
	s_mov_b32 s14, -1
	s_cbranch_scc0 .LBB182_148
; %bb.147:
	s_mov_b32 s14, 0
	global_store_b8 v[0:1], v3, off
.LBB182_148:
	s_and_not1_b32 vcc_lo, exec_lo, s14
	s_cbranch_vccnz .LBB182_150
; %bb.149:
	global_store_b8 v[0:1], v3, off
.LBB182_150:
.LBB182_151:
	v_add_nc_u32_e32 v6, 0x80, v6
	s_mov_b32 s19, -1
	s_branch .LBB182_258
.LBB182_152:
	s_mov_b32 s16, -1
                                        ; implicit-def: $vgpr2
.LBB182_153:
	s_mov_b32 s19, 0
.LBB182_154:
	s_delay_alu instid0(SALU_CYCLE_1)
	s_and_b32 vcc_lo, exec_lo, s19
	s_cbranch_vccz .LBB182_158
; %bb.155:
	s_cmp_eq_u32 s0, 29
	s_cbranch_scc0 .LBB182_157
; %bb.156:
	global_load_b64 v[2:3], v[0:1], off
	s_mov_b32 s14, -1
	s_mov_b32 s16, 0
	s_branch .LBB182_158
.LBB182_157:
	s_mov_b32 s16, -1
                                        ; implicit-def: $vgpr2
.LBB182_158:
	s_mov_b32 s19, 0
.LBB182_159:
	s_delay_alu instid0(SALU_CYCLE_1)
	s_and_b32 vcc_lo, exec_lo, s19
	s_cbranch_vccz .LBB182_175
; %bb.160:
	s_cmp_lt_i32 s0, 27
	s_cbranch_scc1 .LBB182_163
; %bb.161:
	s_cmp_gt_i32 s0, 27
	s_cbranch_scc0 .LBB182_164
; %bb.162:
	s_wait_loadcnt 0x0
	global_load_b32 v2, v[0:1], off
	s_mov_b32 s14, 0
	s_branch .LBB182_165
.LBB182_163:
	s_mov_b32 s14, -1
                                        ; implicit-def: $vgpr2
	s_branch .LBB182_168
.LBB182_164:
	s_mov_b32 s14, -1
                                        ; implicit-def: $vgpr2
.LBB182_165:
	s_delay_alu instid0(SALU_CYCLE_1)
	s_and_not1_b32 vcc_lo, exec_lo, s14
	s_cbranch_vccnz .LBB182_167
; %bb.166:
	s_wait_loadcnt 0x0
	global_load_u16 v2, v[0:1], off
.LBB182_167:
	s_mov_b32 s14, 0
.LBB182_168:
	s_delay_alu instid0(SALU_CYCLE_1)
	s_and_not1_b32 vcc_lo, exec_lo, s14
	s_cbranch_vccnz .LBB182_174
; %bb.169:
	s_wait_loadcnt 0x0
	global_load_u8 v3, v[0:1], off
	s_mov_b32 s19, 0
	s_mov_b32 s14, exec_lo
	s_wait_loadcnt 0x0
	v_cmpx_lt_i16_e32 0x7f, v3
	s_xor_b32 s14, exec_lo, s14
	s_cbranch_execz .LBB182_185
; %bb.170:
	v_cmp_ne_u16_e32 vcc_lo, 0x80, v3
	s_and_b32 s19, vcc_lo, exec_lo
	s_and_not1_saveexec_b32 s14, s14
	s_cbranch_execnz .LBB182_186
.LBB182_171:
	s_or_b32 exec_lo, exec_lo, s14
	v_mov_b32_e32 v2, 0
	s_and_saveexec_b32 s14, s19
	s_cbranch_execz .LBB182_173
.LBB182_172:
	v_and_b32_e32 v2, 0xffff, v3
	s_delay_alu instid0(VALU_DEP_1) | instskip(SKIP_1) | instid1(VALU_DEP_2)
	v_and_b32_e32 v4, 7, v2
	v_bfe_u32 v8, v2, 3, 4
	v_clz_i32_u32_e32 v5, v4
	s_delay_alu instid0(VALU_DEP_2) | instskip(NEXT) | instid1(VALU_DEP_2)
	v_cmp_eq_u32_e32 vcc_lo, 0, v8
	v_min_u32_e32 v5, 32, v5
	s_delay_alu instid0(VALU_DEP_1) | instskip(NEXT) | instid1(VALU_DEP_1)
	v_subrev_nc_u32_e32 v7, 28, v5
	v_dual_lshlrev_b32 v2, v7, v2 :: v_dual_sub_nc_u32 v5, 29, v5
	s_delay_alu instid0(VALU_DEP_1) | instskip(NEXT) | instid1(VALU_DEP_2)
	v_dual_lshlrev_b32 v3, 24, v3 :: v_dual_bitop2_b32 v2, 7, v2 bitop3:0x40
	v_cndmask_b32_e32 v5, v8, v5, vcc_lo
	s_delay_alu instid0(VALU_DEP_2) | instskip(NEXT) | instid1(VALU_DEP_3)
	v_cndmask_b32_e32 v2, v4, v2, vcc_lo
	v_and_b32_e32 v3, 0x80000000, v3
	s_delay_alu instid0(VALU_DEP_3) | instskip(NEXT) | instid1(VALU_DEP_3)
	v_lshl_add_u32 v4, v5, 23, 0x3b800000
	v_lshlrev_b32_e32 v2, 20, v2
	s_delay_alu instid0(VALU_DEP_1) | instskip(NEXT) | instid1(VALU_DEP_1)
	v_or3_b32 v2, v3, v4, v2
	v_cvt_i32_f32_e32 v2, v2
.LBB182_173:
	s_or_b32 exec_lo, exec_lo, s14
.LBB182_174:
	s_mov_b32 s14, -1
.LBB182_175:
	s_branch .LBB182_208
.LBB182_176:
	s_cmp_gt_i32 s0, 22
	s_cbranch_scc0 .LBB182_184
; %bb.177:
	s_cmp_lt_i32 s0, 24
	s_cbranch_scc1 .LBB182_187
; %bb.178:
	s_cmp_gt_i32 s0, 24
	s_cbranch_scc0 .LBB182_188
; %bb.179:
	s_wait_loadcnt 0x0
	global_load_u8 v3, v[0:1], off
	s_mov_b32 s19, 0
	s_mov_b32 s14, exec_lo
	s_wait_loadcnt 0x0
	v_cmpx_lt_i16_e32 0x7f, v3
	s_xor_b32 s14, exec_lo, s14
	s_cbranch_execz .LBB182_200
; %bb.180:
	v_cmp_ne_u16_e32 vcc_lo, 0x80, v3
	s_and_b32 s19, vcc_lo, exec_lo
	s_and_not1_saveexec_b32 s14, s14
	s_cbranch_execnz .LBB182_201
.LBB182_181:
	s_or_b32 exec_lo, exec_lo, s14
	v_mov_b32_e32 v2, 0
	s_and_saveexec_b32 s14, s19
	s_cbranch_execz .LBB182_183
.LBB182_182:
	v_and_b32_e32 v2, 0xffff, v3
	s_delay_alu instid0(VALU_DEP_1) | instskip(SKIP_1) | instid1(VALU_DEP_2)
	v_and_b32_e32 v4, 3, v2
	v_bfe_u32 v8, v2, 2, 5
	v_clz_i32_u32_e32 v5, v4
	s_delay_alu instid0(VALU_DEP_2) | instskip(NEXT) | instid1(VALU_DEP_2)
	v_cmp_eq_u32_e32 vcc_lo, 0, v8
	v_min_u32_e32 v5, 32, v5
	s_delay_alu instid0(VALU_DEP_1) | instskip(NEXT) | instid1(VALU_DEP_1)
	v_subrev_nc_u32_e32 v7, 29, v5
	v_dual_lshlrev_b32 v2, v7, v2 :: v_dual_sub_nc_u32 v5, 30, v5
	s_delay_alu instid0(VALU_DEP_1) | instskip(NEXT) | instid1(VALU_DEP_2)
	v_dual_lshlrev_b32 v3, 24, v3 :: v_dual_bitop2_b32 v2, 3, v2 bitop3:0x40
	v_cndmask_b32_e32 v5, v8, v5, vcc_lo
	s_delay_alu instid0(VALU_DEP_2) | instskip(NEXT) | instid1(VALU_DEP_3)
	v_cndmask_b32_e32 v2, v4, v2, vcc_lo
	v_and_b32_e32 v3, 0x80000000, v3
	s_delay_alu instid0(VALU_DEP_3) | instskip(NEXT) | instid1(VALU_DEP_3)
	v_lshl_add_u32 v4, v5, 23, 0x37800000
	v_lshlrev_b32_e32 v2, 21, v2
	s_delay_alu instid0(VALU_DEP_1) | instskip(NEXT) | instid1(VALU_DEP_1)
	v_or3_b32 v2, v3, v4, v2
	v_cvt_i32_f32_e32 v2, v2
.LBB182_183:
	s_or_b32 exec_lo, exec_lo, s14
	s_mov_b32 s14, 0
	s_branch .LBB182_189
.LBB182_184:
	s_mov_b32 s19, -1
                                        ; implicit-def: $vgpr2
	s_branch .LBB182_195
.LBB182_185:
	s_and_not1_saveexec_b32 s14, s14
	s_cbranch_execz .LBB182_171
.LBB182_186:
	v_cmp_ne_u16_e32 vcc_lo, 0, v3
	s_and_not1_b32 s19, s19, exec_lo
	s_and_b32 s20, vcc_lo, exec_lo
	s_delay_alu instid0(SALU_CYCLE_1)
	s_or_b32 s19, s19, s20
	s_or_b32 exec_lo, exec_lo, s14
	v_mov_b32_e32 v2, 0
	s_and_saveexec_b32 s14, s19
	s_cbranch_execnz .LBB182_172
	s_branch .LBB182_173
.LBB182_187:
	s_mov_b32 s14, -1
                                        ; implicit-def: $vgpr2
	s_branch .LBB182_192
.LBB182_188:
	s_mov_b32 s14, -1
                                        ; implicit-def: $vgpr2
.LBB182_189:
	s_delay_alu instid0(SALU_CYCLE_1)
	s_and_b32 vcc_lo, exec_lo, s14
	s_cbranch_vccz .LBB182_191
; %bb.190:
	s_wait_loadcnt 0x0
	global_load_u8 v2, v[0:1], off
	s_wait_loadcnt 0x0
	v_lshlrev_b32_e32 v2, 24, v2
	s_delay_alu instid0(VALU_DEP_1) | instskip(NEXT) | instid1(VALU_DEP_1)
	v_and_b32_e32 v3, 0x7f000000, v2
	v_clz_i32_u32_e32 v4, v3
	v_add_nc_u32_e32 v7, 0x1000000, v3
	v_cmp_ne_u32_e32 vcc_lo, 0, v3
	s_delay_alu instid0(VALU_DEP_3) | instskip(NEXT) | instid1(VALU_DEP_1)
	v_min_u32_e32 v4, 32, v4
	v_sub_nc_u32_e64 v4, v4, 4 clamp
	s_delay_alu instid0(VALU_DEP_1) | instskip(NEXT) | instid1(VALU_DEP_1)
	v_dual_lshlrev_b32 v5, v4, v3 :: v_dual_lshlrev_b32 v4, 23, v4
	v_lshrrev_b32_e32 v5, 4, v5
	s_delay_alu instid0(VALU_DEP_1) | instskip(NEXT) | instid1(VALU_DEP_1)
	v_dual_sub_nc_u32 v4, v5, v4 :: v_dual_ashrrev_i32 v5, 8, v7
	v_add_nc_u32_e32 v4, 0x3c000000, v4
	s_delay_alu instid0(VALU_DEP_1) | instskip(NEXT) | instid1(VALU_DEP_1)
	v_and_or_b32 v4, 0x7f800000, v5, v4
	v_cndmask_b32_e32 v3, 0, v4, vcc_lo
	s_delay_alu instid0(VALU_DEP_1) | instskip(NEXT) | instid1(VALU_DEP_1)
	v_and_or_b32 v2, 0x80000000, v2, v3
	v_cvt_i32_f32_e32 v2, v2
.LBB182_191:
	s_mov_b32 s14, 0
.LBB182_192:
	s_delay_alu instid0(SALU_CYCLE_1)
	s_and_not1_b32 vcc_lo, exec_lo, s14
	s_cbranch_vccnz .LBB182_194
; %bb.193:
	s_wait_loadcnt 0x0
	global_load_u8 v2, v[0:1], off
	s_wait_loadcnt 0x0
	v_lshlrev_b32_e32 v3, 25, v2
	v_lshlrev_b16 v2, 8, v2
	s_delay_alu instid0(VALU_DEP_1) | instskip(SKIP_1) | instid1(VALU_DEP_2)
	v_and_or_b32 v5, 0x7f00, v2, 0.5
	v_bfe_i32 v2, v2, 0, 16
	v_dual_add_f32 v5, -0.5, v5 :: v_dual_lshrrev_b32 v4, 4, v3
	v_cmp_gt_u32_e32 vcc_lo, 0x8000000, v3
	s_delay_alu instid0(VALU_DEP_2) | instskip(NEXT) | instid1(VALU_DEP_1)
	v_or_b32_e32 v4, 0x70000000, v4
	v_mul_f32_e32 v4, 0x7800000, v4
	s_delay_alu instid0(VALU_DEP_1) | instskip(NEXT) | instid1(VALU_DEP_1)
	v_cndmask_b32_e32 v3, v4, v5, vcc_lo
	v_and_or_b32 v2, 0x80000000, v2, v3
	s_delay_alu instid0(VALU_DEP_1)
	v_cvt_i32_f32_e32 v2, v2
.LBB182_194:
	s_mov_b32 s19, 0
	s_mov_b32 s14, -1
.LBB182_195:
	s_and_not1_b32 vcc_lo, exec_lo, s19
	s_cbranch_vccnz .LBB182_208
; %bb.196:
	s_cmp_gt_i32 s0, 14
	s_cbranch_scc0 .LBB182_199
; %bb.197:
	s_cmp_eq_u32 s0, 15
	s_cbranch_scc0 .LBB182_202
; %bb.198:
	s_wait_loadcnt 0x0
	global_load_u16 v2, v[0:1], off
	s_mov_b32 s14, -1
	s_mov_b32 s16, 0
	s_wait_loadcnt 0x0
	v_lshlrev_b32_e32 v2, 16, v2
	s_delay_alu instid0(VALU_DEP_1)
	v_cvt_i32_f32_e32 v2, v2
	s_branch .LBB182_203
.LBB182_199:
	s_mov_b32 s19, -1
                                        ; implicit-def: $vgpr2
	s_branch .LBB182_204
.LBB182_200:
	s_and_not1_saveexec_b32 s14, s14
	s_cbranch_execz .LBB182_181
.LBB182_201:
	v_cmp_ne_u16_e32 vcc_lo, 0, v3
	s_and_not1_b32 s19, s19, exec_lo
	s_and_b32 s20, vcc_lo, exec_lo
	s_delay_alu instid0(SALU_CYCLE_1)
	s_or_b32 s19, s19, s20
	s_or_b32 exec_lo, exec_lo, s14
	v_mov_b32_e32 v2, 0
	s_and_saveexec_b32 s14, s19
	s_cbranch_execnz .LBB182_182
	s_branch .LBB182_183
.LBB182_202:
	s_mov_b32 s16, -1
                                        ; implicit-def: $vgpr2
.LBB182_203:
	s_mov_b32 s19, 0
.LBB182_204:
	s_delay_alu instid0(SALU_CYCLE_1)
	s_and_b32 vcc_lo, exec_lo, s19
	s_cbranch_vccz .LBB182_208
; %bb.205:
	s_cmp_eq_u32 s0, 11
	s_cbranch_scc0 .LBB182_207
; %bb.206:
	s_wait_loadcnt 0x0
	global_load_u8 v2, v[0:1], off
	s_mov_b32 s16, 0
	s_mov_b32 s14, -1
	s_wait_loadcnt 0x0
	v_cmp_ne_u16_e32 vcc_lo, 0, v2
	v_cndmask_b32_e64 v2, 0, 1, vcc_lo
	s_branch .LBB182_208
.LBB182_207:
	s_mov_b32 s16, -1
                                        ; implicit-def: $vgpr2
.LBB182_208:
	s_branch .LBB182_10
.LBB182_209:
	s_cmp_lt_i32 s0, 5
	s_cbranch_scc1 .LBB182_214
; %bb.210:
	s_cmp_lt_i32 s0, 8
	s_cbranch_scc1 .LBB182_215
; %bb.211:
	s_cmp_lt_i32 s0, 9
	s_cbranch_scc1 .LBB182_216
; %bb.212:
	s_cmp_gt_i32 s0, 9
	s_cbranch_scc0 .LBB182_217
; %bb.213:
	s_wait_loadcnt 0x0
	global_load_b64 v[2:3], v[0:1], off
	s_mov_b32 s14, 0
	s_wait_loadcnt 0x0
	v_cvt_i32_f64_e32 v2, v[2:3]
	s_branch .LBB182_218
.LBB182_214:
                                        ; implicit-def: $vgpr2
	s_branch .LBB182_236
.LBB182_215:
	s_mov_b32 s14, -1
                                        ; implicit-def: $vgpr2
	s_branch .LBB182_224
.LBB182_216:
	s_mov_b32 s14, -1
                                        ; implicit-def: $vgpr2
	s_branch .LBB182_221
.LBB182_217:
	s_mov_b32 s14, -1
                                        ; implicit-def: $vgpr2
.LBB182_218:
	s_delay_alu instid0(SALU_CYCLE_1)
	s_and_not1_b32 vcc_lo, exec_lo, s14
	s_cbranch_vccnz .LBB182_220
; %bb.219:
	s_wait_loadcnt 0x0
	global_load_b32 v2, v[0:1], off
	s_wait_loadcnt 0x0
	v_cvt_i32_f32_e32 v2, v2
.LBB182_220:
	s_mov_b32 s14, 0
.LBB182_221:
	s_delay_alu instid0(SALU_CYCLE_1)
	s_and_not1_b32 vcc_lo, exec_lo, s14
	s_cbranch_vccnz .LBB182_223
; %bb.222:
	s_wait_loadcnt 0x0
	global_load_b32 v2, v[0:1], off
	s_wait_loadcnt 0x0
	v_cvt_i16_f16_e32 v2, v2
.LBB182_223:
	s_mov_b32 s14, 0
.LBB182_224:
	s_delay_alu instid0(SALU_CYCLE_1)
	s_and_not1_b32 vcc_lo, exec_lo, s14
	s_cbranch_vccnz .LBB182_235
; %bb.225:
	s_cmp_lt_i32 s0, 6
	s_cbranch_scc1 .LBB182_228
; %bb.226:
	s_cmp_gt_i32 s0, 6
	s_cbranch_scc0 .LBB182_229
; %bb.227:
	s_wait_loadcnt 0x0
	global_load_b64 v[2:3], v[0:1], off
	s_mov_b32 s14, 0
	s_wait_loadcnt 0x0
	v_cvt_i32_f64_e32 v2, v[2:3]
	s_branch .LBB182_230
.LBB182_228:
	s_mov_b32 s14, -1
                                        ; implicit-def: $vgpr2
	s_branch .LBB182_233
.LBB182_229:
	s_mov_b32 s14, -1
                                        ; implicit-def: $vgpr2
.LBB182_230:
	s_delay_alu instid0(SALU_CYCLE_1)
	s_and_not1_b32 vcc_lo, exec_lo, s14
	s_cbranch_vccnz .LBB182_232
; %bb.231:
	s_wait_loadcnt 0x0
	global_load_b32 v2, v[0:1], off
	s_wait_loadcnt 0x0
	v_cvt_i32_f32_e32 v2, v2
.LBB182_232:
	s_mov_b32 s14, 0
.LBB182_233:
	s_delay_alu instid0(SALU_CYCLE_1)
	s_and_not1_b32 vcc_lo, exec_lo, s14
	s_cbranch_vccnz .LBB182_235
; %bb.234:
	s_wait_loadcnt 0x0
	global_load_u16 v2, v[0:1], off
	s_wait_loadcnt 0x0
	v_cvt_i16_f16_e32 v2, v2
.LBB182_235:
	s_cbranch_execnz .LBB182_255
.LBB182_236:
	s_cmp_lt_i32 s0, 2
	s_cbranch_scc1 .LBB182_240
; %bb.237:
	s_cmp_lt_i32 s0, 3
	s_cbranch_scc1 .LBB182_241
; %bb.238:
	s_cmp_gt_i32 s0, 3
	s_cbranch_scc0 .LBB182_242
; %bb.239:
	s_wait_loadcnt 0x0
	global_load_b64 v[2:3], v[0:1], off
	s_mov_b32 s14, 0
	s_branch .LBB182_243
.LBB182_240:
	s_mov_b32 s14, -1
                                        ; implicit-def: $vgpr2
	s_branch .LBB182_249
.LBB182_241:
	s_mov_b32 s14, -1
                                        ; implicit-def: $vgpr2
	s_branch .LBB182_246
.LBB182_242:
	s_mov_b32 s14, -1
                                        ; implicit-def: $vgpr2
.LBB182_243:
	s_delay_alu instid0(SALU_CYCLE_1)
	s_and_not1_b32 vcc_lo, exec_lo, s14
	s_cbranch_vccnz .LBB182_245
; %bb.244:
	s_wait_loadcnt 0x0
	global_load_b32 v2, v[0:1], off
.LBB182_245:
	s_mov_b32 s14, 0
.LBB182_246:
	s_delay_alu instid0(SALU_CYCLE_1)
	s_and_not1_b32 vcc_lo, exec_lo, s14
	s_cbranch_vccnz .LBB182_248
; %bb.247:
	s_wait_loadcnt 0x0
	global_load_u16 v2, v[0:1], off
.LBB182_248:
	s_mov_b32 s14, 0
.LBB182_249:
	s_delay_alu instid0(SALU_CYCLE_1)
	s_and_not1_b32 vcc_lo, exec_lo, s14
	s_cbranch_vccnz .LBB182_255
; %bb.250:
	s_cmp_gt_i32 s0, 0
	s_mov_b32 s0, 0
	s_cbranch_scc0 .LBB182_252
; %bb.251:
	s_wait_loadcnt 0x0
	global_load_u8 v2, v[0:1], off
	s_branch .LBB182_253
.LBB182_252:
	s_mov_b32 s0, -1
                                        ; implicit-def: $vgpr2
.LBB182_253:
	s_delay_alu instid0(SALU_CYCLE_1)
	s_and_not1_b32 vcc_lo, exec_lo, s0
	s_cbranch_vccnz .LBB182_255
; %bb.254:
	s_wait_loadcnt 0x0
	global_load_u8 v2, v[0:1], off
.LBB182_255:
	s_branch .LBB182_11
.LBB182_256:
	s_mov_b32 s0, 0
.LBB182_257:
	s_mov_b32 s19, 0
                                        ; implicit-def: $vgpr6
.LBB182_258:
	s_and_b32 s14, s0, exec_lo
	s_and_b32 s16, s16, exec_lo
	s_or_not1_b32 s20, s19, exec_lo
.LBB182_259:
	s_wait_xcnt 0x0
	s_or_b32 exec_lo, exec_lo, s17
	s_mov_b32 s19, 0
	s_mov_b32 s0, 0
                                        ; implicit-def: $vgpr0_vgpr1
                                        ; implicit-def: $vgpr2
	s_and_saveexec_b32 s17, s20
	s_cbranch_execz .LBB182_268
; %bb.260:
	s_mov_b32 s0, -1
	s_mov_b32 s18, s16
	s_mov_b32 s19, s14
	s_mov_b32 s20, exec_lo
	v_cmpx_gt_i32_e64 s15, v6
	s_cbranch_execz .LBB182_529
; %bb.261:
	v_mul_lo_u32 v0, v6, s9
	s_and_b32 s0, 0xffff, s12
	s_delay_alu instid0(SALU_CYCLE_1) | instskip(NEXT) | instid1(VALU_DEP_1)
	s_cmp_lt_i32 s0, 11
	v_ashrrev_i32_e32 v1, 31, v0
	s_delay_alu instid0(VALU_DEP_1)
	v_add_nc_u64_e32 v[0:1], s[6:7], v[0:1]
	s_cbranch_scc1 .LBB182_271
; %bb.262:
	s_cmp_gt_i32 s0, 25
	s_cbranch_scc0 .LBB182_276
; %bb.263:
	s_cmp_gt_i32 s0, 28
	s_cbranch_scc0 .LBB182_280
	;; [unrolled: 3-line block ×4, first 2 shown]
; %bb.266:
	s_cmp_eq_u32 s0, 46
	s_mov_b32 s21, 0
	s_cbranch_scc0 .LBB182_303
; %bb.267:
	s_wait_loadcnt 0x0
	global_load_b32 v2, v[0:1], off
	s_mov_b32 s19, -1
	s_mov_b32 s18, 0
	s_wait_loadcnt 0x0
	v_lshlrev_b32_e32 v2, 16, v2
	s_delay_alu instid0(VALU_DEP_1)
	v_cvt_i32_f32_e32 v2, v2
	s_branch .LBB182_305
.LBB182_268:
	s_or_b32 exec_lo, exec_lo, s17
	s_mov_b32 s15, 0
	s_and_saveexec_b32 s17, s16
	s_cbranch_execnz .LBB182_881
.LBB182_269:
	s_or_b32 exec_lo, exec_lo, s17
	s_and_saveexec_b32 s16, s18
	s_delay_alu instid0(SALU_CYCLE_1)
	s_xor_b32 s16, exec_lo, s16
	s_cbranch_execz .LBB182_882
.LBB182_270:
	s_wait_loadcnt 0x0
	global_load_u8 v2, v[0:1], off
	s_or_b32 s0, s0, exec_lo
	s_wait_loadcnt 0x0
	v_cmp_ne_u16_e32 vcc_lo, 0, v2
	v_cndmask_b32_e64 v2, 0, 1, vcc_lo
	s_wait_xcnt 0x0
	s_or_b32 exec_lo, exec_lo, s16
	s_and_saveexec_b32 s16, s19
	s_cbranch_execz .LBB182_928
	s_branch .LBB182_883
.LBB182_271:
	s_mov_b32 s19, 0
	s_mov_b32 s18, s16
                                        ; implicit-def: $vgpr2
	s_cbranch_execnz .LBB182_478
.LBB182_272:
	s_and_not1_b32 vcc_lo, exec_lo, s19
	s_cbranch_vccnz .LBB182_526
.LBB182_273:
	s_cmp_lt_i32 s10, 1
	s_mov_b32 s0, 0
	s_cbranch_scc1 .LBB182_277
; %bb.274:
	s_cmp_eq_u32 s10, 1
	s_cbranch_scc0 .LBB182_281
; %bb.275:
	s_wait_loadcnt 0x0
	s_delay_alu instid0(VALU_DEP_1)
	v_bfe_i32 v0, v2, 0, 8
	s_bfe_i32 s19, s11, 0x80000
	s_delay_alu instid0(VALU_DEP_1) | instid1(SALU_CYCLE_1)
	v_min_i16 v3, v0, s19
	s_mov_b32 s19, 0
	s_branch .LBB182_282
.LBB182_276:
	s_mov_b32 s21, -1
	s_mov_b32 s19, 0
	s_mov_b32 s18, s16
                                        ; implicit-def: $vgpr2
	s_branch .LBB182_444
.LBB182_277:
	s_mov_b32 s19, 0
                                        ; implicit-def: $vgpr3
	s_cbranch_execnz .LBB182_283
.LBB182_278:
	s_wait_loadcnt 0x0
	s_delay_alu instid0(VALU_DEP_1)
	v_bfe_i32 v0, v2, 0, 8
	s_and_not1_b32 vcc_lo, exec_lo, s19
	s_cbranch_vccnz .LBB182_284
.LBB182_279:
	s_bfe_i32 s0, s11, 0x80000
	s_delay_alu instid0(VALU_DEP_1) | instid1(SALU_CYCLE_1)
	v_max_i16 v1, v0, s0
	s_bfe_i32 s0, s1, 0x80000
	s_delay_alu instid0(VALU_DEP_1) | instid1(SALU_CYCLE_1)
	v_min_i16 v3, v1, s0
	s_cbranch_execz .LBB182_285
	s_branch .LBB182_286
.LBB182_280:
	s_mov_b32 s21, -1
	s_mov_b32 s19, 0
	s_mov_b32 s18, s16
                                        ; implicit-def: $vgpr2
	s_branch .LBB182_427
.LBB182_281:
	s_mov_b32 s19, -1
                                        ; implicit-def: $vgpr3
.LBB182_282:
	s_branch .LBB182_278
.LBB182_283:
	s_cmp_lg_u32 s10, 0
	s_mov_b32 s0, -1
	s_cselect_b32 s19, -1, 0
	s_wait_loadcnt 0x0
	s_delay_alu instid0(VALU_DEP_1)
	v_bfe_i32 v0, v2, 0, 8
	s_and_not1_b32 vcc_lo, exec_lo, s19
	s_cbranch_vccz .LBB182_279
.LBB182_284:
	s_and_not1_b32 vcc_lo, exec_lo, s0
	s_cbranch_vccnz .LBB182_286
.LBB182_285:
	s_bfe_i32 s0, s11, 0x80000
	s_delay_alu instid0(SALU_CYCLE_1)
	v_max_i16 v3, v0, s0
.LBB182_286:
	v_mul_lo_u32 v0, v6, s8
	s_and_b32 s19, s2, 0xff
	s_delay_alu instid0(SALU_CYCLE_1) | instskip(NEXT) | instid1(VALU_DEP_1)
	s_cmp_lt_i32 s19, 11
	v_ashrrev_i32_e32 v1, 31, v0
	s_delay_alu instid0(VALU_DEP_1)
	v_add_nc_u64_e32 v[0:1], s[4:5], v[0:1]
	s_cbranch_scc1 .LBB182_293
; %bb.287:
	s_and_b32 s21, 0xffff, s19
	s_delay_alu instid0(SALU_CYCLE_1)
	s_cmp_gt_i32 s21, 25
	s_cbranch_scc0 .LBB182_294
; %bb.288:
	s_cmp_gt_i32 s21, 28
	s_cbranch_scc0 .LBB182_296
; %bb.289:
	;; [unrolled: 3-line block ×4, first 2 shown]
	s_mov_b32 s23, 0
	s_mov_b32 s0, -1
	s_cmp_eq_u32 s21, 46
	s_mov_b32 s22, 0
	s_cbranch_scc0 .LBB182_309
; %bb.292:
	v_bfe_i32 v2, v3, 0, 8
	s_mov_b32 s22, -1
	s_mov_b32 s0, 0
	s_delay_alu instid0(VALU_DEP_1) | instskip(NEXT) | instid1(VALU_DEP_1)
	v_bfe_i32 v2, v2, 0, 16
	v_cvt_f32_i32_e32 v2, v2
	s_delay_alu instid0(VALU_DEP_1) | instskip(NEXT) | instid1(VALU_DEP_1)
	v_bfe_u32 v4, v2, 16, 1
	v_add3_u32 v2, v2, v4, 0x7fff
	s_delay_alu instid0(VALU_DEP_1)
	v_lshrrev_b32_e32 v2, 16, v2
	global_store_b32 v[0:1], v2, off
	s_branch .LBB182_309
.LBB182_293:
	s_mov_b32 s21, -1
	s_mov_b32 s22, 0
	s_mov_b32 s0, s14
	s_branch .LBB182_378
.LBB182_294:
	s_mov_b32 s23, -1
	s_mov_b32 s22, 0
	s_mov_b32 s0, s14
	s_branch .LBB182_336
.LBB182_295:
	s_mov_b32 s21, -1
	s_mov_b32 s19, 0
	s_mov_b32 s18, s16
                                        ; implicit-def: $vgpr2
	s_branch .LBB182_422
.LBB182_296:
	s_mov_b32 s23, -1
	s_mov_b32 s22, 0
	s_mov_b32 s0, s14
	s_branch .LBB182_319
.LBB182_297:
	s_and_not1_saveexec_b32 s22, s22
	s_cbranch_execz .LBB182_65
.LBB182_298:
	v_add_f32_e64 v4, 0x46000000, |v2|
	s_and_not1_b32 s21, s21, exec_lo
	s_delay_alu instid0(VALU_DEP_1) | instskip(NEXT) | instid1(VALU_DEP_1)
	v_and_b32_e32 v4, 0xff, v4
	v_cmp_ne_u32_e32 vcc_lo, 0, v4
	s_and_b32 s23, vcc_lo, exec_lo
	s_delay_alu instid0(SALU_CYCLE_1)
	s_or_b32 s21, s21, s23
	s_or_b32 exec_lo, exec_lo, s22
	v_mov_b32_e32 v5, 0
	s_and_saveexec_b32 s22, s21
	s_cbranch_execnz .LBB182_66
	s_branch .LBB182_67
.LBB182_299:
	s_mov_b32 s21, -1
	s_mov_b32 s19, 0
	s_mov_b32 s18, s16
	s_branch .LBB182_304
.LBB182_300:
	s_mov_b32 s23, -1
	s_mov_b32 s22, 0
	s_mov_b32 s0, s14
	s_branch .LBB182_315
.LBB182_301:
	s_and_not1_saveexec_b32 s22, s22
	s_cbranch_execz .LBB182_78
.LBB182_302:
	v_add_f32_e64 v4, 0x42800000, |v2|
	s_and_not1_b32 s21, s21, exec_lo
	s_delay_alu instid0(VALU_DEP_1) | instskip(NEXT) | instid1(VALU_DEP_1)
	v_and_b32_e32 v4, 0xff, v4
	v_cmp_ne_u32_e32 vcc_lo, 0, v4
	s_and_b32 s23, vcc_lo, exec_lo
	s_delay_alu instid0(SALU_CYCLE_1)
	s_or_b32 s21, s21, s23
	s_or_b32 exec_lo, exec_lo, s22
	v_mov_b32_e32 v5, 0
	s_and_saveexec_b32 s22, s21
	s_cbranch_execnz .LBB182_79
	s_branch .LBB182_80
.LBB182_303:
	s_mov_b32 s18, -1
	s_mov_b32 s19, 0
.LBB182_304:
                                        ; implicit-def: $vgpr2
.LBB182_305:
	s_and_b32 vcc_lo, exec_lo, s21
	s_cbranch_vccz .LBB182_421
; %bb.306:
	s_cmp_eq_u32 s0, 44
	s_cbranch_scc0 .LBB182_420
; %bb.307:
	s_wait_loadcnt 0x0
	global_load_u8 v2, v[0:1], off
	s_mov_b32 s18, 0
	s_mov_b32 s19, -1
	s_wait_loadcnt 0x0
	v_lshlrev_b32_e32 v3, 23, v2
	v_cmp_ne_u32_e32 vcc_lo, 0, v2
	s_delay_alu instid0(VALU_DEP_2) | instskip(NEXT) | instid1(VALU_DEP_1)
	v_cvt_i32_f32_e32 v3, v3
	v_cndmask_b32_e32 v2, 0, v3, vcc_lo
	s_branch .LBB182_421
.LBB182_308:
	s_mov_b32 s23, -1
	s_mov_b32 s22, 0
	s_mov_b32 s0, s14
.LBB182_309:
	s_and_b32 vcc_lo, exec_lo, s23
	s_cbranch_vccz .LBB182_314
; %bb.310:
	s_cmp_eq_u32 s21, 44
	s_mov_b32 s0, -1
	s_cbranch_scc0 .LBB182_314
; %bb.311:
	s_wait_xcnt 0x0
	v_bfe_i32 v2, v3, 0, 8
	v_mov_b32_e32 v4, 0xff
	s_mov_b32 s22, exec_lo
	s_delay_alu instid0(VALU_DEP_2) | instskip(NEXT) | instid1(VALU_DEP_1)
	v_bfe_i32 v2, v2, 0, 16
	v_cvt_f32_i32_e32 v2, v2
	s_delay_alu instid0(VALU_DEP_1) | instskip(NEXT) | instid1(VALU_DEP_1)
	v_bfe_u32 v5, v2, 23, 8
	v_cmpx_ne_u32_e32 0xff, v5
	s_cbranch_execz .LBB182_313
; %bb.312:
	v_and_b32_e32 v4, 0x400000, v2
	v_and_or_b32 v5, 0x3fffff, v2, v5
	v_lshrrev_b32_e32 v2, 23, v2
	s_delay_alu instid0(VALU_DEP_3) | instskip(NEXT) | instid1(VALU_DEP_3)
	v_cmp_ne_u32_e32 vcc_lo, 0, v4
	v_cmp_ne_u32_e64 s0, 0, v5
	s_and_b32 s0, vcc_lo, s0
	s_delay_alu instid0(SALU_CYCLE_1) | instskip(NEXT) | instid1(VALU_DEP_1)
	v_cndmask_b32_e64 v4, 0, 1, s0
	v_add_nc_u32_e32 v4, v2, v4
.LBB182_313:
	s_or_b32 exec_lo, exec_lo, s22
	s_mov_b32 s22, -1
	s_mov_b32 s0, 0
	global_store_b8 v[0:1], v4, off
.LBB182_314:
	s_mov_b32 s23, 0
.LBB182_315:
	s_delay_alu instid0(SALU_CYCLE_1)
	s_and_b32 vcc_lo, exec_lo, s23
	s_cbranch_vccz .LBB182_318
; %bb.316:
	s_cmp_eq_u32 s21, 29
	s_mov_b32 s0, -1
	s_cbranch_scc0 .LBB182_318
; %bb.317:
	s_wait_xcnt 0x0
	v_bfe_i32 v4, v3, 0, 8
	s_mov_b32 s22, -1
	s_mov_b32 s0, 0
	s_mov_b32 s23, 0
	s_delay_alu instid0(VALU_DEP_1)
	v_ashrrev_i32_e32 v5, 31, v4
	global_store_b64 v[0:1], v[4:5], off
	s_branch .LBB182_319
.LBB182_318:
	s_mov_b32 s23, 0
.LBB182_319:
	s_delay_alu instid0(SALU_CYCLE_1)
	s_and_b32 vcc_lo, exec_lo, s23
	s_cbranch_vccz .LBB182_335
; %bb.320:
	s_cmp_lt_i32 s21, 27
	s_mov_b32 s22, -1
	s_cbranch_scc1 .LBB182_326
; %bb.321:
	s_cmp_gt_i32 s21, 27
	s_cbranch_scc0 .LBB182_323
; %bb.322:
	s_wait_xcnt 0x0
	v_bfe_i32 v2, v3, 0, 8
	s_mov_b32 s22, 0
	global_store_b32 v[0:1], v2, off
.LBB182_323:
	s_and_not1_b32 vcc_lo, exec_lo, s22
	s_cbranch_vccnz .LBB182_325
; %bb.324:
	s_wait_xcnt 0x0
	v_bfe_i32 v2, v3, 0, 8
	global_store_b16 v[0:1], v2, off
.LBB182_325:
	s_mov_b32 s22, 0
.LBB182_326:
	s_delay_alu instid0(SALU_CYCLE_1)
	s_and_not1_b32 vcc_lo, exec_lo, s22
	s_cbranch_vccnz .LBB182_334
; %bb.327:
	s_wait_xcnt 0x0
	v_bfe_i32 v2, v3, 0, 8
	v_mov_b32_e32 v5, 0x80
	s_mov_b32 s22, exec_lo
	s_delay_alu instid0(VALU_DEP_2) | instskip(NEXT) | instid1(VALU_DEP_1)
	v_bfe_i32 v2, v2, 0, 16
	v_cvt_f32_i32_e32 v2, v2
	s_delay_alu instid0(VALU_DEP_1) | instskip(NEXT) | instid1(VALU_DEP_1)
	v_and_b32_e32 v4, 0x7fffffff, v2
	v_cmpx_gt_u32_e32 0x43800000, v4
	s_cbranch_execz .LBB182_333
; %bb.328:
	v_cmp_lt_u32_e32 vcc_lo, 0x3bffffff, v4
	s_mov_b32 s23, 0
                                        ; implicit-def: $vgpr4
	s_and_saveexec_b32 s24, vcc_lo
	s_delay_alu instid0(SALU_CYCLE_1)
	s_xor_b32 s24, exec_lo, s24
	s_cbranch_execz .LBB182_542
; %bb.329:
	v_bfe_u32 v4, v2, 20, 1
	s_mov_b32 s23, exec_lo
	s_delay_alu instid0(VALU_DEP_1) | instskip(NEXT) | instid1(VALU_DEP_1)
	v_add3_u32 v4, v2, v4, 0x487ffff
	v_lshrrev_b32_e32 v4, 20, v4
	s_and_not1_saveexec_b32 s24, s24
	s_cbranch_execnz .LBB182_543
.LBB182_330:
	s_or_b32 exec_lo, exec_lo, s24
	v_mov_b32_e32 v5, 0
	s_and_saveexec_b32 s24, s23
.LBB182_331:
	v_lshrrev_b32_e32 v2, 24, v2
	s_delay_alu instid0(VALU_DEP_1)
	v_and_or_b32 v5, 0x80, v2, v4
.LBB182_332:
	s_or_b32 exec_lo, exec_lo, s24
.LBB182_333:
	s_delay_alu instid0(SALU_CYCLE_1)
	s_or_b32 exec_lo, exec_lo, s22
	global_store_b8 v[0:1], v5, off
.LBB182_334:
	s_mov_b32 s22, -1
.LBB182_335:
	s_mov_b32 s23, 0
.LBB182_336:
	s_delay_alu instid0(SALU_CYCLE_1)
	s_and_b32 vcc_lo, exec_lo, s23
	s_cbranch_vccz .LBB182_377
; %bb.337:
	s_cmp_gt_i32 s21, 22
	s_mov_b32 s23, -1
	s_cbranch_scc0 .LBB182_369
; %bb.338:
	s_cmp_lt_i32 s21, 24
	s_mov_b32 s22, -1
	s_cbranch_scc1 .LBB182_358
; %bb.339:
	s_cmp_gt_i32 s21, 24
	s_cbranch_scc0 .LBB182_347
; %bb.340:
	s_wait_xcnt 0x0
	v_bfe_i32 v2, v3, 0, 8
	v_mov_b32_e32 v5, 0x80
	s_mov_b32 s22, exec_lo
	s_delay_alu instid0(VALU_DEP_2) | instskip(NEXT) | instid1(VALU_DEP_1)
	v_bfe_i32 v2, v2, 0, 16
	v_cvt_f32_i32_e32 v2, v2
	s_delay_alu instid0(VALU_DEP_1) | instskip(NEXT) | instid1(VALU_DEP_1)
	v_and_b32_e32 v4, 0x7fffffff, v2
	v_cmpx_gt_u32_e32 0x47800000, v4
	s_cbranch_execz .LBB182_346
; %bb.341:
	v_cmp_lt_u32_e32 vcc_lo, 0x37ffffff, v4
	s_mov_b32 s23, 0
                                        ; implicit-def: $vgpr4
	s_and_saveexec_b32 s24, vcc_lo
	s_delay_alu instid0(SALU_CYCLE_1)
	s_xor_b32 s24, exec_lo, s24
	s_cbranch_execz .LBB182_545
; %bb.342:
	v_bfe_u32 v4, v2, 21, 1
	s_mov_b32 s23, exec_lo
	s_delay_alu instid0(VALU_DEP_1) | instskip(NEXT) | instid1(VALU_DEP_1)
	v_add3_u32 v4, v2, v4, 0x88fffff
	v_lshrrev_b32_e32 v4, 21, v4
	s_and_not1_saveexec_b32 s24, s24
	s_cbranch_execnz .LBB182_546
.LBB182_343:
	s_or_b32 exec_lo, exec_lo, s24
	v_mov_b32_e32 v5, 0
	s_and_saveexec_b32 s24, s23
.LBB182_344:
	v_lshrrev_b32_e32 v2, 24, v2
	s_delay_alu instid0(VALU_DEP_1)
	v_and_or_b32 v5, 0x80, v2, v4
.LBB182_345:
	s_or_b32 exec_lo, exec_lo, s24
.LBB182_346:
	s_delay_alu instid0(SALU_CYCLE_1)
	s_or_b32 exec_lo, exec_lo, s22
	s_mov_b32 s22, 0
	global_store_b8 v[0:1], v5, off
.LBB182_347:
	s_and_b32 vcc_lo, exec_lo, s22
	s_cbranch_vccz .LBB182_357
; %bb.348:
	s_wait_xcnt 0x0
	v_bfe_i32 v2, v3, 0, 8
	s_mov_b32 s22, exec_lo
                                        ; implicit-def: $vgpr4
	s_delay_alu instid0(VALU_DEP_1) | instskip(NEXT) | instid1(VALU_DEP_1)
	v_bfe_i32 v2, v2, 0, 16
	v_cvt_f32_i32_e32 v2, v2
	s_delay_alu instid0(VALU_DEP_1) | instskip(NEXT) | instid1(VALU_DEP_1)
	v_and_b32_e32 v5, 0x7fffffff, v2
	v_cmpx_gt_u32_e32 0x43f00000, v5
	s_xor_b32 s22, exec_lo, s22
	s_cbranch_execz .LBB182_354
; %bb.349:
	s_mov_b32 s23, exec_lo
                                        ; implicit-def: $vgpr4
	v_cmpx_lt_u32_e32 0x3c7fffff, v5
	s_xor_b32 s23, exec_lo, s23
; %bb.350:
	v_bfe_u32 v4, v2, 20, 1
	s_delay_alu instid0(VALU_DEP_1) | instskip(NEXT) | instid1(VALU_DEP_1)
	v_add3_u32 v4, v2, v4, 0x407ffff
	v_and_b32_e32 v5, 0xff00000, v4
	v_lshrrev_b32_e32 v4, 20, v4
	s_delay_alu instid0(VALU_DEP_2) | instskip(NEXT) | instid1(VALU_DEP_2)
	v_cmp_ne_u32_e32 vcc_lo, 0x7f00000, v5
	v_cndmask_b32_e32 v4, 0x7e, v4, vcc_lo
; %bb.351:
	s_and_not1_saveexec_b32 s23, s23
; %bb.352:
	v_add_f32_e64 v4, 0x46800000, |v2|
; %bb.353:
	s_or_b32 exec_lo, exec_lo, s23
                                        ; implicit-def: $vgpr5
.LBB182_354:
	s_and_not1_saveexec_b32 s22, s22
; %bb.355:
	v_mov_b32_e32 v4, 0x7f
	v_cmp_lt_u32_e32 vcc_lo, 0x7f800000, v5
	s_delay_alu instid0(VALU_DEP_2)
	v_cndmask_b32_e32 v4, 0x7e, v4, vcc_lo
; %bb.356:
	s_or_b32 exec_lo, exec_lo, s22
	v_lshrrev_b32_e32 v2, 24, v2
	s_delay_alu instid0(VALU_DEP_1)
	v_and_or_b32 v2, 0x80, v2, v4
	global_store_b8 v[0:1], v2, off
.LBB182_357:
	s_mov_b32 s22, 0
.LBB182_358:
	s_delay_alu instid0(SALU_CYCLE_1)
	s_and_not1_b32 vcc_lo, exec_lo, s22
	s_cbranch_vccnz .LBB182_368
; %bb.359:
	s_wait_xcnt 0x0
	v_bfe_i32 v2, v3, 0, 8
	s_mov_b32 s22, exec_lo
                                        ; implicit-def: $vgpr4
	s_delay_alu instid0(VALU_DEP_1) | instskip(NEXT) | instid1(VALU_DEP_1)
	v_bfe_i32 v2, v2, 0, 16
	v_cvt_f32_i32_e32 v2, v2
	s_delay_alu instid0(VALU_DEP_1) | instskip(NEXT) | instid1(VALU_DEP_1)
	v_and_b32_e32 v5, 0x7fffffff, v2
	v_cmpx_gt_u32_e32 0x47800000, v5
	s_xor_b32 s22, exec_lo, s22
	s_cbranch_execz .LBB182_365
; %bb.360:
	s_mov_b32 s23, exec_lo
                                        ; implicit-def: $vgpr4
	v_cmpx_lt_u32_e32 0x387fffff, v5
	s_xor_b32 s23, exec_lo, s23
; %bb.361:
	v_bfe_u32 v4, v2, 21, 1
	s_delay_alu instid0(VALU_DEP_1) | instskip(NEXT) | instid1(VALU_DEP_1)
	v_add3_u32 v4, v2, v4, 0x80fffff
	v_lshrrev_b32_e32 v4, 21, v4
; %bb.362:
	s_and_not1_saveexec_b32 s23, s23
; %bb.363:
	v_add_f32_e64 v4, 0x43000000, |v2|
; %bb.364:
	s_or_b32 exec_lo, exec_lo, s23
                                        ; implicit-def: $vgpr5
.LBB182_365:
	s_and_not1_saveexec_b32 s22, s22
; %bb.366:
	v_mov_b32_e32 v4, 0x7f
	v_cmp_lt_u32_e32 vcc_lo, 0x7f800000, v5
	s_delay_alu instid0(VALU_DEP_2)
	v_cndmask_b32_e32 v4, 0x7c, v4, vcc_lo
; %bb.367:
	s_or_b32 exec_lo, exec_lo, s22
	v_lshrrev_b32_e32 v2, 24, v2
	s_delay_alu instid0(VALU_DEP_1)
	v_and_or_b32 v2, 0x80, v2, v4
	global_store_b8 v[0:1], v2, off
.LBB182_368:
	s_mov_b32 s23, 0
	s_mov_b32 s22, -1
.LBB182_369:
	s_and_not1_b32 vcc_lo, exec_lo, s23
	s_cbranch_vccnz .LBB182_377
; %bb.370:
	s_cmp_gt_i32 s21, 14
	s_mov_b32 s23, -1
	s_cbranch_scc0 .LBB182_374
; %bb.371:
	s_cmp_eq_u32 s21, 15
	s_mov_b32 s0, -1
	s_cbranch_scc0 .LBB182_373
; %bb.372:
	s_wait_xcnt 0x0
	v_bfe_i32 v2, v3, 0, 8
	s_mov_b32 s22, -1
	s_mov_b32 s0, 0
	s_delay_alu instid0(VALU_DEP_1) | instskip(NEXT) | instid1(VALU_DEP_1)
	v_bfe_i32 v2, v2, 0, 16
	v_cvt_f32_i32_e32 v2, v2
	s_delay_alu instid0(VALU_DEP_1) | instskip(NEXT) | instid1(VALU_DEP_1)
	v_bfe_u32 v4, v2, 16, 1
	v_add3_u32 v2, v2, v4, 0x7fff
	global_store_d16_hi_b16 v[0:1], v2, off
.LBB182_373:
	s_mov_b32 s23, 0
.LBB182_374:
	s_delay_alu instid0(SALU_CYCLE_1)
	s_and_b32 vcc_lo, exec_lo, s23
	s_cbranch_vccz .LBB182_377
; %bb.375:
	s_cmp_eq_u32 s21, 11
	s_mov_b32 s0, -1
	s_cbranch_scc0 .LBB182_377
; %bb.376:
	s_wait_xcnt 0x0
	v_and_b32_e32 v2, 0xff, v3
	s_mov_b32 s0, 0
	s_mov_b32 s22, -1
	s_delay_alu instid0(VALU_DEP_1)
	v_cmp_ne_u16_e32 vcc_lo, 0, v2
	v_cndmask_b32_e64 v2, 0, 1, vcc_lo
	global_store_b8 v[0:1], v2, off
.LBB182_377:
	s_mov_b32 s21, 0
.LBB182_378:
	s_delay_alu instid0(SALU_CYCLE_1)
	s_and_b32 vcc_lo, exec_lo, s21
	s_cbranch_vccz .LBB182_417
; %bb.379:
	s_and_b32 s19, 0xffff, s19
	s_mov_b32 s21, -1
	s_cmp_lt_i32 s19, 5
	s_cbranch_scc1 .LBB182_400
; %bb.380:
	s_cmp_lt_i32 s19, 8
	s_cbranch_scc1 .LBB182_390
; %bb.381:
	;; [unrolled: 3-line block ×3, first 2 shown]
	s_cmp_gt_i32 s19, 9
	s_cbranch_scc0 .LBB182_384
; %bb.383:
	s_wait_xcnt 0x0
	v_bfe_i32 v2, v3, 0, 8
	v_mov_b32_e32 v10, 0
	s_mov_b32 s21, 0
	s_delay_alu instid0(VALU_DEP_2) | instskip(NEXT) | instid1(VALU_DEP_2)
	v_bfe_i32 v2, v2, 0, 16
	v_mov_b32_e32 v11, v10
	s_delay_alu instid0(VALU_DEP_2)
	v_cvt_f64_i32_e32 v[8:9], v2
	global_store_b128 v[0:1], v[8:11], off
.LBB182_384:
	s_and_not1_b32 vcc_lo, exec_lo, s21
	s_cbranch_vccnz .LBB182_386
; %bb.385:
	s_wait_xcnt 0x0
	v_bfe_i32 v2, v3, 0, 8
	v_mov_b32_e32 v5, 0
	s_delay_alu instid0(VALU_DEP_2) | instskip(NEXT) | instid1(VALU_DEP_1)
	v_bfe_i32 v2, v2, 0, 16
	v_cvt_f32_i32_e32 v4, v2
	global_store_b64 v[0:1], v[4:5], off
.LBB182_386:
	s_mov_b32 s21, 0
.LBB182_387:
	s_delay_alu instid0(SALU_CYCLE_1)
	s_and_not1_b32 vcc_lo, exec_lo, s21
	s_cbranch_vccnz .LBB182_389
; %bb.388:
	s_wait_xcnt 0x0
	v_bfe_i32 v2, v3, 0, 8
	s_delay_alu instid0(VALU_DEP_1) | instskip(NEXT) | instid1(VALU_DEP_1)
	v_cvt_f16_i16_e32 v2, v2
	v_and_b32_e32 v2, 0xffff, v2
	global_store_b32 v[0:1], v2, off
.LBB182_389:
	s_mov_b32 s21, 0
.LBB182_390:
	s_delay_alu instid0(SALU_CYCLE_1)
	s_and_not1_b32 vcc_lo, exec_lo, s21
	s_cbranch_vccnz .LBB182_399
; %bb.391:
	s_cmp_lt_i32 s19, 6
	s_mov_b32 s21, -1
	s_cbranch_scc1 .LBB182_397
; %bb.392:
	s_cmp_gt_i32 s19, 6
	s_cbranch_scc0 .LBB182_394
; %bb.393:
	s_wait_xcnt 0x0
	v_bfe_i32 v2, v3, 0, 8
	s_mov_b32 s21, 0
	s_delay_alu instid0(VALU_DEP_1) | instskip(NEXT) | instid1(VALU_DEP_1)
	v_bfe_i32 v2, v2, 0, 16
	v_cvt_f64_i32_e32 v[4:5], v2
	global_store_b64 v[0:1], v[4:5], off
.LBB182_394:
	s_and_not1_b32 vcc_lo, exec_lo, s21
	s_cbranch_vccnz .LBB182_396
; %bb.395:
	s_wait_xcnt 0x0
	v_bfe_i32 v2, v3, 0, 8
	s_delay_alu instid0(VALU_DEP_1) | instskip(NEXT) | instid1(VALU_DEP_1)
	v_bfe_i32 v2, v2, 0, 16
	v_cvt_f32_i32_e32 v2, v2
	global_store_b32 v[0:1], v2, off
.LBB182_396:
	s_mov_b32 s21, 0
.LBB182_397:
	s_delay_alu instid0(SALU_CYCLE_1)
	s_and_not1_b32 vcc_lo, exec_lo, s21
	s_cbranch_vccnz .LBB182_399
; %bb.398:
	s_wait_xcnt 0x0
	v_bfe_i32 v2, v3, 0, 8
	s_delay_alu instid0(VALU_DEP_1)
	v_cvt_f16_i16_e32 v2, v2
	global_store_b16 v[0:1], v2, off
.LBB182_399:
	s_mov_b32 s21, 0
.LBB182_400:
	s_delay_alu instid0(SALU_CYCLE_1)
	s_and_not1_b32 vcc_lo, exec_lo, s21
	s_cbranch_vccnz .LBB182_416
; %bb.401:
	s_cmp_lt_i32 s19, 2
	s_mov_b32 s21, -1
	s_cbranch_scc1 .LBB182_411
; %bb.402:
	s_cmp_lt_i32 s19, 3
	s_cbranch_scc1 .LBB182_408
; %bb.403:
	s_cmp_gt_i32 s19, 3
	s_cbranch_scc0 .LBB182_405
; %bb.404:
	s_wait_xcnt 0x0
	v_bfe_i32 v4, v3, 0, 8
	s_mov_b32 s21, 0
	s_delay_alu instid0(VALU_DEP_1)
	v_ashrrev_i32_e32 v5, 31, v4
	global_store_b64 v[0:1], v[4:5], off
.LBB182_405:
	s_and_not1_b32 vcc_lo, exec_lo, s21
	s_cbranch_vccnz .LBB182_407
; %bb.406:
	s_wait_xcnt 0x0
	v_bfe_i32 v2, v3, 0, 8
	global_store_b32 v[0:1], v2, off
.LBB182_407:
	s_mov_b32 s21, 0
.LBB182_408:
	s_delay_alu instid0(SALU_CYCLE_1)
	s_and_not1_b32 vcc_lo, exec_lo, s21
	s_cbranch_vccnz .LBB182_410
; %bb.409:
	s_wait_xcnt 0x0
	v_bfe_i32 v2, v3, 0, 8
	global_store_b16 v[0:1], v2, off
.LBB182_410:
	s_mov_b32 s21, 0
.LBB182_411:
	s_delay_alu instid0(SALU_CYCLE_1)
	s_and_not1_b32 vcc_lo, exec_lo, s21
	s_cbranch_vccnz .LBB182_416
; %bb.412:
	s_cmp_gt_i32 s19, 0
	s_mov_b32 s19, -1
	s_cbranch_scc0 .LBB182_414
; %bb.413:
	s_mov_b32 s19, 0
	global_store_b8 v[0:1], v3, off
.LBB182_414:
	s_and_not1_b32 vcc_lo, exec_lo, s19
	s_cbranch_vccnz .LBB182_416
; %bb.415:
	global_store_b8 v[0:1], v3, off
.LBB182_416:
	s_mov_b32 s22, -1
.LBB182_417:
	s_delay_alu instid0(SALU_CYCLE_1)
	s_and_not1_b32 vcc_lo, exec_lo, s22
	s_cbranch_vccnz .LBB182_419
; %bb.418:
	v_add_nc_u32_e32 v6, 0x80, v6
	s_mov_b32 s21, -1
	s_branch .LBB182_528
.LBB182_419:
	s_mov_b32 s21, 0
	s_branch .LBB182_527
.LBB182_420:
	s_mov_b32 s18, -1
                                        ; implicit-def: $vgpr2
.LBB182_421:
	s_mov_b32 s21, 0
.LBB182_422:
	s_delay_alu instid0(SALU_CYCLE_1)
	s_and_b32 vcc_lo, exec_lo, s21
	s_cbranch_vccz .LBB182_426
; %bb.423:
	s_cmp_eq_u32 s0, 29
	s_cbranch_scc0 .LBB182_425
; %bb.424:
	s_wait_loadcnt 0x0
	global_load_b64 v[2:3], v[0:1], off
	s_mov_b32 s19, -1
	s_mov_b32 s18, 0
	s_branch .LBB182_426
.LBB182_425:
	s_mov_b32 s18, -1
                                        ; implicit-def: $vgpr2
.LBB182_426:
	s_mov_b32 s21, 0
.LBB182_427:
	s_delay_alu instid0(SALU_CYCLE_1)
	s_and_b32 vcc_lo, exec_lo, s21
	s_cbranch_vccz .LBB182_443
; %bb.428:
	s_cmp_lt_i32 s0, 27
	s_cbranch_scc1 .LBB182_431
; %bb.429:
	s_cmp_gt_i32 s0, 27
	s_cbranch_scc0 .LBB182_432
; %bb.430:
	s_wait_loadcnt 0x0
	global_load_b32 v2, v[0:1], off
	s_mov_b32 s19, 0
	s_branch .LBB182_433
.LBB182_431:
	s_mov_b32 s19, -1
                                        ; implicit-def: $vgpr2
	s_branch .LBB182_436
.LBB182_432:
	s_mov_b32 s19, -1
                                        ; implicit-def: $vgpr2
.LBB182_433:
	s_delay_alu instid0(SALU_CYCLE_1)
	s_and_not1_b32 vcc_lo, exec_lo, s19
	s_cbranch_vccnz .LBB182_435
; %bb.434:
	s_wait_loadcnt 0x0
	global_load_u16 v2, v[0:1], off
.LBB182_435:
	s_mov_b32 s19, 0
.LBB182_436:
	s_delay_alu instid0(SALU_CYCLE_1)
	s_and_not1_b32 vcc_lo, exec_lo, s19
	s_cbranch_vccnz .LBB182_442
; %bb.437:
	s_wait_loadcnt 0x0
	global_load_u8 v3, v[0:1], off
	s_mov_b32 s21, 0
	s_mov_b32 s19, exec_lo
	s_wait_loadcnt 0x0
	v_cmpx_lt_i16_e32 0x7f, v3
	s_xor_b32 s19, exec_lo, s19
	s_cbranch_execz .LBB182_454
; %bb.438:
	v_cmp_ne_u16_e32 vcc_lo, 0x80, v3
	s_and_b32 s21, vcc_lo, exec_lo
	s_and_not1_saveexec_b32 s19, s19
	s_cbranch_execnz .LBB182_455
.LBB182_439:
	s_or_b32 exec_lo, exec_lo, s19
	v_mov_b32_e32 v2, 0
	s_and_saveexec_b32 s19, s21
	s_cbranch_execz .LBB182_441
.LBB182_440:
	v_and_b32_e32 v2, 0xffff, v3
	s_delay_alu instid0(VALU_DEP_1) | instskip(SKIP_1) | instid1(VALU_DEP_2)
	v_and_b32_e32 v4, 7, v2
	v_bfe_u32 v8, v2, 3, 4
	v_clz_i32_u32_e32 v5, v4
	s_delay_alu instid0(VALU_DEP_2) | instskip(NEXT) | instid1(VALU_DEP_2)
	v_cmp_eq_u32_e32 vcc_lo, 0, v8
	v_min_u32_e32 v5, 32, v5
	s_delay_alu instid0(VALU_DEP_1) | instskip(NEXT) | instid1(VALU_DEP_1)
	v_subrev_nc_u32_e32 v7, 28, v5
	v_dual_lshlrev_b32 v2, v7, v2 :: v_dual_sub_nc_u32 v5, 29, v5
	s_delay_alu instid0(VALU_DEP_1) | instskip(NEXT) | instid1(VALU_DEP_2)
	v_dual_lshlrev_b32 v3, 24, v3 :: v_dual_bitop2_b32 v2, 7, v2 bitop3:0x40
	v_cndmask_b32_e32 v5, v8, v5, vcc_lo
	s_delay_alu instid0(VALU_DEP_2) | instskip(NEXT) | instid1(VALU_DEP_3)
	v_cndmask_b32_e32 v2, v4, v2, vcc_lo
	v_and_b32_e32 v3, 0x80000000, v3
	s_delay_alu instid0(VALU_DEP_3) | instskip(NEXT) | instid1(VALU_DEP_3)
	v_lshl_add_u32 v4, v5, 23, 0x3b800000
	v_lshlrev_b32_e32 v2, 20, v2
	s_delay_alu instid0(VALU_DEP_1) | instskip(NEXT) | instid1(VALU_DEP_1)
	v_or3_b32 v2, v3, v4, v2
	v_cvt_i32_f32_e32 v2, v2
.LBB182_441:
	s_or_b32 exec_lo, exec_lo, s19
.LBB182_442:
	s_mov_b32 s19, -1
.LBB182_443:
	s_mov_b32 s21, 0
.LBB182_444:
	s_delay_alu instid0(SALU_CYCLE_1)
	s_and_b32 vcc_lo, exec_lo, s21
	s_cbranch_vccz .LBB182_477
; %bb.445:
	s_cmp_gt_i32 s0, 22
	s_cbranch_scc0 .LBB182_453
; %bb.446:
	s_cmp_lt_i32 s0, 24
	s_cbranch_scc1 .LBB182_456
; %bb.447:
	s_cmp_gt_i32 s0, 24
	s_cbranch_scc0 .LBB182_457
; %bb.448:
	s_wait_loadcnt 0x0
	global_load_u8 v3, v[0:1], off
	s_mov_b32 s21, 0
	s_mov_b32 s19, exec_lo
	s_wait_loadcnt 0x0
	v_cmpx_lt_i16_e32 0x7f, v3
	s_xor_b32 s19, exec_lo, s19
	s_cbranch_execz .LBB182_469
; %bb.449:
	v_cmp_ne_u16_e32 vcc_lo, 0x80, v3
	s_and_b32 s21, vcc_lo, exec_lo
	s_and_not1_saveexec_b32 s19, s19
	s_cbranch_execnz .LBB182_470
.LBB182_450:
	s_or_b32 exec_lo, exec_lo, s19
	v_mov_b32_e32 v2, 0
	s_and_saveexec_b32 s19, s21
	s_cbranch_execz .LBB182_452
.LBB182_451:
	v_and_b32_e32 v2, 0xffff, v3
	s_delay_alu instid0(VALU_DEP_1) | instskip(SKIP_1) | instid1(VALU_DEP_2)
	v_and_b32_e32 v4, 3, v2
	v_bfe_u32 v8, v2, 2, 5
	v_clz_i32_u32_e32 v5, v4
	s_delay_alu instid0(VALU_DEP_2) | instskip(NEXT) | instid1(VALU_DEP_2)
	v_cmp_eq_u32_e32 vcc_lo, 0, v8
	v_min_u32_e32 v5, 32, v5
	s_delay_alu instid0(VALU_DEP_1) | instskip(NEXT) | instid1(VALU_DEP_1)
	v_subrev_nc_u32_e32 v7, 29, v5
	v_dual_lshlrev_b32 v2, v7, v2 :: v_dual_sub_nc_u32 v5, 30, v5
	s_delay_alu instid0(VALU_DEP_1) | instskip(NEXT) | instid1(VALU_DEP_2)
	v_dual_lshlrev_b32 v3, 24, v3 :: v_dual_bitop2_b32 v2, 3, v2 bitop3:0x40
	v_cndmask_b32_e32 v5, v8, v5, vcc_lo
	s_delay_alu instid0(VALU_DEP_2) | instskip(NEXT) | instid1(VALU_DEP_3)
	v_cndmask_b32_e32 v2, v4, v2, vcc_lo
	v_and_b32_e32 v3, 0x80000000, v3
	s_delay_alu instid0(VALU_DEP_3) | instskip(NEXT) | instid1(VALU_DEP_3)
	v_lshl_add_u32 v4, v5, 23, 0x37800000
	v_lshlrev_b32_e32 v2, 21, v2
	s_delay_alu instid0(VALU_DEP_1) | instskip(NEXT) | instid1(VALU_DEP_1)
	v_or3_b32 v2, v3, v4, v2
	v_cvt_i32_f32_e32 v2, v2
.LBB182_452:
	s_or_b32 exec_lo, exec_lo, s19
	s_mov_b32 s19, 0
	s_branch .LBB182_458
.LBB182_453:
	s_mov_b32 s21, -1
                                        ; implicit-def: $vgpr2
	s_branch .LBB182_464
.LBB182_454:
	s_and_not1_saveexec_b32 s19, s19
	s_cbranch_execz .LBB182_439
.LBB182_455:
	v_cmp_ne_u16_e32 vcc_lo, 0, v3
	s_and_not1_b32 s21, s21, exec_lo
	s_and_b32 s22, vcc_lo, exec_lo
	s_delay_alu instid0(SALU_CYCLE_1)
	s_or_b32 s21, s21, s22
	s_or_b32 exec_lo, exec_lo, s19
	v_mov_b32_e32 v2, 0
	s_and_saveexec_b32 s19, s21
	s_cbranch_execnz .LBB182_440
	s_branch .LBB182_441
.LBB182_456:
	s_mov_b32 s19, -1
                                        ; implicit-def: $vgpr2
	s_branch .LBB182_461
.LBB182_457:
	s_mov_b32 s19, -1
                                        ; implicit-def: $vgpr2
.LBB182_458:
	s_delay_alu instid0(SALU_CYCLE_1)
	s_and_b32 vcc_lo, exec_lo, s19
	s_cbranch_vccz .LBB182_460
; %bb.459:
	s_wait_loadcnt 0x0
	global_load_u8 v2, v[0:1], off
	s_wait_loadcnt 0x0
	v_lshlrev_b32_e32 v2, 24, v2
	s_delay_alu instid0(VALU_DEP_1) | instskip(NEXT) | instid1(VALU_DEP_1)
	v_and_b32_e32 v3, 0x7f000000, v2
	v_clz_i32_u32_e32 v4, v3
	v_add_nc_u32_e32 v7, 0x1000000, v3
	v_cmp_ne_u32_e32 vcc_lo, 0, v3
	s_delay_alu instid0(VALU_DEP_3) | instskip(NEXT) | instid1(VALU_DEP_1)
	v_min_u32_e32 v4, 32, v4
	v_sub_nc_u32_e64 v4, v4, 4 clamp
	s_delay_alu instid0(VALU_DEP_1) | instskip(NEXT) | instid1(VALU_DEP_1)
	v_dual_lshlrev_b32 v5, v4, v3 :: v_dual_lshlrev_b32 v4, 23, v4
	v_lshrrev_b32_e32 v5, 4, v5
	s_delay_alu instid0(VALU_DEP_1) | instskip(NEXT) | instid1(VALU_DEP_1)
	v_dual_sub_nc_u32 v4, v5, v4 :: v_dual_ashrrev_i32 v5, 8, v7
	v_add_nc_u32_e32 v4, 0x3c000000, v4
	s_delay_alu instid0(VALU_DEP_1) | instskip(NEXT) | instid1(VALU_DEP_1)
	v_and_or_b32 v4, 0x7f800000, v5, v4
	v_cndmask_b32_e32 v3, 0, v4, vcc_lo
	s_delay_alu instid0(VALU_DEP_1) | instskip(NEXT) | instid1(VALU_DEP_1)
	v_and_or_b32 v2, 0x80000000, v2, v3
	v_cvt_i32_f32_e32 v2, v2
.LBB182_460:
	s_mov_b32 s19, 0
.LBB182_461:
	s_delay_alu instid0(SALU_CYCLE_1)
	s_and_not1_b32 vcc_lo, exec_lo, s19
	s_cbranch_vccnz .LBB182_463
; %bb.462:
	s_wait_loadcnt 0x0
	global_load_u8 v2, v[0:1], off
	s_wait_loadcnt 0x0
	v_lshlrev_b32_e32 v3, 25, v2
	v_lshlrev_b16 v2, 8, v2
	s_delay_alu instid0(VALU_DEP_1) | instskip(SKIP_1) | instid1(VALU_DEP_2)
	v_and_or_b32 v5, 0x7f00, v2, 0.5
	v_bfe_i32 v2, v2, 0, 16
	v_dual_add_f32 v5, -0.5, v5 :: v_dual_lshrrev_b32 v4, 4, v3
	v_cmp_gt_u32_e32 vcc_lo, 0x8000000, v3
	s_delay_alu instid0(VALU_DEP_2) | instskip(NEXT) | instid1(VALU_DEP_1)
	v_or_b32_e32 v4, 0x70000000, v4
	v_mul_f32_e32 v4, 0x7800000, v4
	s_delay_alu instid0(VALU_DEP_1) | instskip(NEXT) | instid1(VALU_DEP_1)
	v_cndmask_b32_e32 v3, v4, v5, vcc_lo
	v_and_or_b32 v2, 0x80000000, v2, v3
	s_delay_alu instid0(VALU_DEP_1)
	v_cvt_i32_f32_e32 v2, v2
.LBB182_463:
	s_mov_b32 s21, 0
	s_mov_b32 s19, -1
.LBB182_464:
	s_and_not1_b32 vcc_lo, exec_lo, s21
	s_cbranch_vccnz .LBB182_477
; %bb.465:
	s_cmp_gt_i32 s0, 14
	s_cbranch_scc0 .LBB182_468
; %bb.466:
	s_cmp_eq_u32 s0, 15
	s_cbranch_scc0 .LBB182_471
; %bb.467:
	s_wait_loadcnt 0x0
	global_load_u16 v2, v[0:1], off
	s_mov_b32 s19, -1
	s_mov_b32 s18, 0
	s_wait_loadcnt 0x0
	v_lshlrev_b32_e32 v2, 16, v2
	s_delay_alu instid0(VALU_DEP_1)
	v_cvt_i32_f32_e32 v2, v2
	s_branch .LBB182_472
.LBB182_468:
	s_mov_b32 s21, -1
                                        ; implicit-def: $vgpr2
	s_branch .LBB182_473
.LBB182_469:
	s_and_not1_saveexec_b32 s19, s19
	s_cbranch_execz .LBB182_450
.LBB182_470:
	v_cmp_ne_u16_e32 vcc_lo, 0, v3
	s_and_not1_b32 s21, s21, exec_lo
	s_and_b32 s22, vcc_lo, exec_lo
	s_delay_alu instid0(SALU_CYCLE_1)
	s_or_b32 s21, s21, s22
	s_or_b32 exec_lo, exec_lo, s19
	v_mov_b32_e32 v2, 0
	s_and_saveexec_b32 s19, s21
	s_cbranch_execnz .LBB182_451
	s_branch .LBB182_452
.LBB182_471:
	s_mov_b32 s18, -1
                                        ; implicit-def: $vgpr2
.LBB182_472:
	s_mov_b32 s21, 0
.LBB182_473:
	s_delay_alu instid0(SALU_CYCLE_1)
	s_and_b32 vcc_lo, exec_lo, s21
	s_cbranch_vccz .LBB182_477
; %bb.474:
	s_cmp_eq_u32 s0, 11
	s_cbranch_scc0 .LBB182_476
; %bb.475:
	s_wait_loadcnt 0x0
	global_load_u8 v2, v[0:1], off
	s_mov_b32 s18, 0
	s_mov_b32 s19, -1
	s_wait_loadcnt 0x0
	v_cmp_ne_u16_e32 vcc_lo, 0, v2
	v_cndmask_b32_e64 v2, 0, 1, vcc_lo
	s_branch .LBB182_477
.LBB182_476:
	s_mov_b32 s18, -1
                                        ; implicit-def: $vgpr2
.LBB182_477:
	s_branch .LBB182_272
.LBB182_478:
	s_cmp_lt_i32 s0, 5
	s_cbranch_scc1 .LBB182_483
; %bb.479:
	s_cmp_lt_i32 s0, 8
	s_cbranch_scc1 .LBB182_484
; %bb.480:
	;; [unrolled: 3-line block ×3, first 2 shown]
	s_cmp_gt_i32 s0, 9
	s_cbranch_scc0 .LBB182_486
; %bb.482:
	s_wait_loadcnt 0x0
	global_load_b64 v[2:3], v[0:1], off
	s_mov_b32 s19, 0
	s_wait_loadcnt 0x0
	v_cvt_i32_f64_e32 v2, v[2:3]
	s_branch .LBB182_487
.LBB182_483:
	s_mov_b32 s19, -1
                                        ; implicit-def: $vgpr2
	s_branch .LBB182_505
.LBB182_484:
	s_mov_b32 s19, -1
                                        ; implicit-def: $vgpr2
	s_branch .LBB182_493
.LBB182_485:
	s_mov_b32 s19, -1
                                        ; implicit-def: $vgpr2
	s_branch .LBB182_490
.LBB182_486:
	s_mov_b32 s19, -1
                                        ; implicit-def: $vgpr2
.LBB182_487:
	s_delay_alu instid0(SALU_CYCLE_1)
	s_and_not1_b32 vcc_lo, exec_lo, s19
	s_cbranch_vccnz .LBB182_489
; %bb.488:
	s_wait_loadcnt 0x0
	global_load_b32 v2, v[0:1], off
	s_wait_loadcnt 0x0
	v_cvt_i32_f32_e32 v2, v2
.LBB182_489:
	s_mov_b32 s19, 0
.LBB182_490:
	s_delay_alu instid0(SALU_CYCLE_1)
	s_and_not1_b32 vcc_lo, exec_lo, s19
	s_cbranch_vccnz .LBB182_492
; %bb.491:
	s_wait_loadcnt 0x0
	global_load_b32 v2, v[0:1], off
	s_wait_loadcnt 0x0
	v_cvt_i16_f16_e32 v2, v2
.LBB182_492:
	s_mov_b32 s19, 0
.LBB182_493:
	s_delay_alu instid0(SALU_CYCLE_1)
	s_and_not1_b32 vcc_lo, exec_lo, s19
	s_cbranch_vccnz .LBB182_504
; %bb.494:
	s_cmp_lt_i32 s0, 6
	s_cbranch_scc1 .LBB182_497
; %bb.495:
	s_cmp_gt_i32 s0, 6
	s_cbranch_scc0 .LBB182_498
; %bb.496:
	s_wait_loadcnt 0x0
	global_load_b64 v[2:3], v[0:1], off
	s_mov_b32 s19, 0
	s_wait_loadcnt 0x0
	v_cvt_i32_f64_e32 v2, v[2:3]
	s_branch .LBB182_499
.LBB182_497:
	s_mov_b32 s19, -1
                                        ; implicit-def: $vgpr2
	s_branch .LBB182_502
.LBB182_498:
	s_mov_b32 s19, -1
                                        ; implicit-def: $vgpr2
.LBB182_499:
	s_delay_alu instid0(SALU_CYCLE_1)
	s_and_not1_b32 vcc_lo, exec_lo, s19
	s_cbranch_vccnz .LBB182_501
; %bb.500:
	s_wait_loadcnt 0x0
	global_load_b32 v2, v[0:1], off
	s_wait_loadcnt 0x0
	v_cvt_i32_f32_e32 v2, v2
.LBB182_501:
	s_mov_b32 s19, 0
.LBB182_502:
	s_delay_alu instid0(SALU_CYCLE_1)
	s_and_not1_b32 vcc_lo, exec_lo, s19
	s_cbranch_vccnz .LBB182_504
; %bb.503:
	s_wait_loadcnt 0x0
	global_load_u16 v2, v[0:1], off
	s_wait_loadcnt 0x0
	v_cvt_i16_f16_e32 v2, v2
.LBB182_504:
	s_mov_b32 s19, 0
.LBB182_505:
	s_delay_alu instid0(SALU_CYCLE_1)
	s_and_not1_b32 vcc_lo, exec_lo, s19
	s_cbranch_vccnz .LBB182_525
; %bb.506:
	s_cmp_lt_i32 s0, 2
	s_cbranch_scc1 .LBB182_510
; %bb.507:
	s_cmp_lt_i32 s0, 3
	s_cbranch_scc1 .LBB182_511
; %bb.508:
	s_cmp_gt_i32 s0, 3
	s_cbranch_scc0 .LBB182_512
; %bb.509:
	s_wait_loadcnt 0x0
	global_load_b64 v[2:3], v[0:1], off
	s_mov_b32 s19, 0
	s_branch .LBB182_513
.LBB182_510:
	s_mov_b32 s19, -1
                                        ; implicit-def: $vgpr2
	s_branch .LBB182_519
.LBB182_511:
	s_mov_b32 s19, -1
                                        ; implicit-def: $vgpr2
	s_branch .LBB182_516
.LBB182_512:
	s_mov_b32 s19, -1
                                        ; implicit-def: $vgpr2
.LBB182_513:
	s_delay_alu instid0(SALU_CYCLE_1)
	s_and_not1_b32 vcc_lo, exec_lo, s19
	s_cbranch_vccnz .LBB182_515
; %bb.514:
	s_wait_loadcnt 0x0
	global_load_b32 v2, v[0:1], off
.LBB182_515:
	s_mov_b32 s19, 0
.LBB182_516:
	s_delay_alu instid0(SALU_CYCLE_1)
	s_and_not1_b32 vcc_lo, exec_lo, s19
	s_cbranch_vccnz .LBB182_518
; %bb.517:
	s_wait_loadcnt 0x0
	global_load_u16 v2, v[0:1], off
.LBB182_518:
	s_mov_b32 s19, 0
.LBB182_519:
	s_delay_alu instid0(SALU_CYCLE_1)
	s_and_not1_b32 vcc_lo, exec_lo, s19
	s_cbranch_vccnz .LBB182_525
; %bb.520:
	s_cmp_gt_i32 s0, 0
	s_mov_b32 s0, 0
	s_cbranch_scc0 .LBB182_522
; %bb.521:
	s_wait_loadcnt 0x0
	global_load_u8 v2, v[0:1], off
	s_branch .LBB182_523
.LBB182_522:
	s_mov_b32 s0, -1
                                        ; implicit-def: $vgpr2
.LBB182_523:
	s_delay_alu instid0(SALU_CYCLE_1)
	s_and_not1_b32 vcc_lo, exec_lo, s0
	s_cbranch_vccnz .LBB182_525
; %bb.524:
	s_wait_loadcnt 0x0
	global_load_u8 v2, v[0:1], off
.LBB182_525:
	s_branch .LBB182_273
.LBB182_526:
	s_mov_b32 s21, 0
	s_mov_b32 s0, s14
.LBB182_527:
                                        ; implicit-def: $vgpr6
.LBB182_528:
	s_and_not1_b32 s19, s14, exec_lo
	s_and_b32 s0, s0, exec_lo
	s_and_not1_b32 s22, s16, exec_lo
	s_and_b32 s18, s18, exec_lo
	s_or_b32 s19, s19, s0
	s_or_b32 s18, s22, s18
	s_or_not1_b32 s0, s21, exec_lo
.LBB182_529:
	s_wait_xcnt 0x0
	s_or_b32 exec_lo, exec_lo, s20
	s_mov_b32 s21, 0
	s_mov_b32 s22, 0
	;; [unrolled: 1-line block ×3, first 2 shown]
                                        ; implicit-def: $vgpr0_vgpr1
                                        ; implicit-def: $vgpr2
	s_and_saveexec_b32 s20, s0
	s_cbranch_execz .LBB182_880
; %bb.530:
	s_mov_b32 s23, -1
	s_mov_b32 s0, s18
	s_mov_b32 s22, s19
	s_mov_b32 s21, exec_lo
	v_cmpx_gt_i32_e64 s15, v6
	s_cbranch_execz .LBB182_798
; %bb.531:
	v_mul_lo_u32 v0, v6, s9
	s_and_b32 s0, 0xffff, s12
	s_delay_alu instid0(SALU_CYCLE_1) | instskip(NEXT) | instid1(VALU_DEP_1)
	s_cmp_lt_i32 s0, 11
	v_ashrrev_i32_e32 v1, 31, v0
	s_delay_alu instid0(VALU_DEP_1)
	v_add_nc_u64_e32 v[0:1], s[6:7], v[0:1]
	s_cbranch_scc1 .LBB182_538
; %bb.532:
	s_cmp_gt_i32 s0, 25
	s_cbranch_scc0 .LBB182_539
; %bb.533:
	s_cmp_gt_i32 s0, 28
	s_cbranch_scc0 .LBB182_540
	;; [unrolled: 3-line block ×4, first 2 shown]
; %bb.536:
	s_cmp_eq_u32 s0, 46
	s_mov_b32 s24, 0
	s_cbranch_scc0 .LBB182_547
; %bb.537:
	s_wait_loadcnt 0x0
	global_load_b32 v2, v[0:1], off
	s_mov_b32 s22, 0
	s_wait_loadcnt 0x0
	v_lshlrev_b32_e32 v2, 16, v2
	s_delay_alu instid0(VALU_DEP_1)
	v_cvt_i32_f32_e32 v2, v2
	s_branch .LBB182_549
.LBB182_538:
	s_mov_b32 s24, -1
	s_mov_b32 s23, 0
	s_mov_b32 s22, s18
                                        ; implicit-def: $vgpr2
	s_branch .LBB182_610
.LBB182_539:
	s_mov_b32 s24, -1
	s_mov_b32 s23, 0
	s_mov_b32 s22, s18
                                        ; implicit-def: $vgpr2
	s_branch .LBB182_576
.LBB182_540:
	s_mov_b32 s24, -1
	s_mov_b32 s23, 0
	s_mov_b32 s22, s18
                                        ; implicit-def: $vgpr2
	s_branch .LBB182_559
.LBB182_541:
	s_mov_b32 s24, -1
	s_mov_b32 s23, 0
	s_mov_b32 s22, s18
                                        ; implicit-def: $vgpr2
	s_branch .LBB182_554
.LBB182_542:
	s_and_not1_saveexec_b32 s24, s24
	s_cbranch_execz .LBB182_330
.LBB182_543:
	v_add_f32_e64 v4, 0x46000000, |v2|
	s_and_not1_b32 s23, s23, exec_lo
	s_delay_alu instid0(VALU_DEP_1) | instskip(NEXT) | instid1(VALU_DEP_1)
	v_and_b32_e32 v4, 0xff, v4
	v_cmp_ne_u32_e32 vcc_lo, 0, v4
	s_and_b32 s25, vcc_lo, exec_lo
	s_delay_alu instid0(SALU_CYCLE_1)
	s_or_b32 s23, s23, s25
	s_or_b32 exec_lo, exec_lo, s24
	v_mov_b32_e32 v5, 0
	s_and_saveexec_b32 s24, s23
	s_cbranch_execnz .LBB182_331
	s_branch .LBB182_332
.LBB182_544:
	s_mov_b32 s24, -1
	s_mov_b32 s23, 0
	s_mov_b32 s22, s18
	s_branch .LBB182_548
.LBB182_545:
	s_and_not1_saveexec_b32 s24, s24
	s_cbranch_execz .LBB182_343
.LBB182_546:
	v_add_f32_e64 v4, 0x42800000, |v2|
	s_and_not1_b32 s23, s23, exec_lo
	s_delay_alu instid0(VALU_DEP_1) | instskip(NEXT) | instid1(VALU_DEP_1)
	v_and_b32_e32 v4, 0xff, v4
	v_cmp_ne_u32_e32 vcc_lo, 0, v4
	s_and_b32 s25, vcc_lo, exec_lo
	s_delay_alu instid0(SALU_CYCLE_1)
	s_or_b32 s23, s23, s25
	s_or_b32 exec_lo, exec_lo, s24
	v_mov_b32_e32 v5, 0
	s_and_saveexec_b32 s24, s23
	s_cbranch_execnz .LBB182_344
	s_branch .LBB182_345
.LBB182_547:
	s_mov_b32 s22, -1
	s_mov_b32 s23, 0
.LBB182_548:
                                        ; implicit-def: $vgpr2
.LBB182_549:
	s_and_b32 vcc_lo, exec_lo, s24
	s_cbranch_vccz .LBB182_553
; %bb.550:
	s_cmp_eq_u32 s0, 44
	s_cbranch_scc0 .LBB182_552
; %bb.551:
	s_wait_loadcnt 0x0
	global_load_u8 v2, v[0:1], off
	s_mov_b32 s22, 0
	s_mov_b32 s23, -1
	s_wait_loadcnt 0x0
	v_lshlrev_b32_e32 v3, 23, v2
	v_cmp_ne_u32_e32 vcc_lo, 0, v2
	s_delay_alu instid0(VALU_DEP_2) | instskip(NEXT) | instid1(VALU_DEP_1)
	v_cvt_i32_f32_e32 v3, v3
	v_cndmask_b32_e32 v2, 0, v3, vcc_lo
	s_branch .LBB182_553
.LBB182_552:
	s_mov_b32 s22, -1
                                        ; implicit-def: $vgpr2
.LBB182_553:
	s_mov_b32 s24, 0
.LBB182_554:
	s_delay_alu instid0(SALU_CYCLE_1)
	s_and_b32 vcc_lo, exec_lo, s24
	s_cbranch_vccz .LBB182_558
; %bb.555:
	s_cmp_eq_u32 s0, 29
	s_cbranch_scc0 .LBB182_557
; %bb.556:
	s_wait_loadcnt 0x0
	global_load_b64 v[2:3], v[0:1], off
	s_mov_b32 s23, -1
	s_mov_b32 s22, 0
	s_branch .LBB182_558
.LBB182_557:
	s_mov_b32 s22, -1
                                        ; implicit-def: $vgpr2
.LBB182_558:
	s_mov_b32 s24, 0
.LBB182_559:
	s_delay_alu instid0(SALU_CYCLE_1)
	s_and_b32 vcc_lo, exec_lo, s24
	s_cbranch_vccz .LBB182_575
; %bb.560:
	s_cmp_lt_i32 s0, 27
	s_cbranch_scc1 .LBB182_563
; %bb.561:
	s_cmp_gt_i32 s0, 27
	s_cbranch_scc0 .LBB182_564
; %bb.562:
	s_wait_loadcnt 0x0
	global_load_b32 v2, v[0:1], off
	s_mov_b32 s23, 0
	s_branch .LBB182_565
.LBB182_563:
	s_mov_b32 s23, -1
                                        ; implicit-def: $vgpr2
	s_branch .LBB182_568
.LBB182_564:
	s_mov_b32 s23, -1
                                        ; implicit-def: $vgpr2
.LBB182_565:
	s_delay_alu instid0(SALU_CYCLE_1)
	s_and_not1_b32 vcc_lo, exec_lo, s23
	s_cbranch_vccnz .LBB182_567
; %bb.566:
	s_wait_loadcnt 0x0
	global_load_u16 v2, v[0:1], off
.LBB182_567:
	s_mov_b32 s23, 0
.LBB182_568:
	s_delay_alu instid0(SALU_CYCLE_1)
	s_and_not1_b32 vcc_lo, exec_lo, s23
	s_cbranch_vccnz .LBB182_574
; %bb.569:
	s_wait_loadcnt 0x0
	global_load_u8 v3, v[0:1], off
	s_mov_b32 s24, 0
	s_mov_b32 s23, exec_lo
	s_wait_loadcnt 0x0
	v_cmpx_lt_i16_e32 0x7f, v3
	s_xor_b32 s23, exec_lo, s23
	s_cbranch_execz .LBB182_586
; %bb.570:
	v_cmp_ne_u16_e32 vcc_lo, 0x80, v3
	s_and_b32 s24, vcc_lo, exec_lo
	s_and_not1_saveexec_b32 s23, s23
	s_cbranch_execnz .LBB182_587
.LBB182_571:
	s_or_b32 exec_lo, exec_lo, s23
	v_mov_b32_e32 v2, 0
	s_and_saveexec_b32 s23, s24
	s_cbranch_execz .LBB182_573
.LBB182_572:
	v_and_b32_e32 v2, 0xffff, v3
	s_delay_alu instid0(VALU_DEP_1) | instskip(SKIP_1) | instid1(VALU_DEP_2)
	v_and_b32_e32 v4, 7, v2
	v_bfe_u32 v8, v2, 3, 4
	v_clz_i32_u32_e32 v5, v4
	s_delay_alu instid0(VALU_DEP_2) | instskip(NEXT) | instid1(VALU_DEP_2)
	v_cmp_eq_u32_e32 vcc_lo, 0, v8
	v_min_u32_e32 v5, 32, v5
	s_delay_alu instid0(VALU_DEP_1) | instskip(NEXT) | instid1(VALU_DEP_1)
	v_subrev_nc_u32_e32 v7, 28, v5
	v_dual_lshlrev_b32 v2, v7, v2 :: v_dual_sub_nc_u32 v5, 29, v5
	s_delay_alu instid0(VALU_DEP_1) | instskip(NEXT) | instid1(VALU_DEP_2)
	v_dual_lshlrev_b32 v3, 24, v3 :: v_dual_bitop2_b32 v2, 7, v2 bitop3:0x40
	v_cndmask_b32_e32 v5, v8, v5, vcc_lo
	s_delay_alu instid0(VALU_DEP_2) | instskip(NEXT) | instid1(VALU_DEP_3)
	v_cndmask_b32_e32 v2, v4, v2, vcc_lo
	v_and_b32_e32 v3, 0x80000000, v3
	s_delay_alu instid0(VALU_DEP_3) | instskip(NEXT) | instid1(VALU_DEP_3)
	v_lshl_add_u32 v4, v5, 23, 0x3b800000
	v_lshlrev_b32_e32 v2, 20, v2
	s_delay_alu instid0(VALU_DEP_1) | instskip(NEXT) | instid1(VALU_DEP_1)
	v_or3_b32 v2, v3, v4, v2
	v_cvt_i32_f32_e32 v2, v2
.LBB182_573:
	s_or_b32 exec_lo, exec_lo, s23
.LBB182_574:
	s_mov_b32 s23, -1
.LBB182_575:
	s_mov_b32 s24, 0
.LBB182_576:
	s_delay_alu instid0(SALU_CYCLE_1)
	s_and_b32 vcc_lo, exec_lo, s24
	s_cbranch_vccz .LBB182_609
; %bb.577:
	s_cmp_gt_i32 s0, 22
	s_cbranch_scc0 .LBB182_585
; %bb.578:
	s_cmp_lt_i32 s0, 24
	s_cbranch_scc1 .LBB182_588
; %bb.579:
	s_cmp_gt_i32 s0, 24
	s_cbranch_scc0 .LBB182_589
; %bb.580:
	s_wait_loadcnt 0x0
	global_load_u8 v3, v[0:1], off
	s_mov_b32 s24, 0
	s_mov_b32 s23, exec_lo
	s_wait_loadcnt 0x0
	v_cmpx_lt_i16_e32 0x7f, v3
	s_xor_b32 s23, exec_lo, s23
	s_cbranch_execz .LBB182_601
; %bb.581:
	v_cmp_ne_u16_e32 vcc_lo, 0x80, v3
	s_and_b32 s24, vcc_lo, exec_lo
	s_and_not1_saveexec_b32 s23, s23
	s_cbranch_execnz .LBB182_602
.LBB182_582:
	s_or_b32 exec_lo, exec_lo, s23
	v_mov_b32_e32 v2, 0
	s_and_saveexec_b32 s23, s24
	s_cbranch_execz .LBB182_584
.LBB182_583:
	v_and_b32_e32 v2, 0xffff, v3
	s_delay_alu instid0(VALU_DEP_1) | instskip(SKIP_1) | instid1(VALU_DEP_2)
	v_and_b32_e32 v4, 3, v2
	v_bfe_u32 v8, v2, 2, 5
	v_clz_i32_u32_e32 v5, v4
	s_delay_alu instid0(VALU_DEP_2) | instskip(NEXT) | instid1(VALU_DEP_2)
	v_cmp_eq_u32_e32 vcc_lo, 0, v8
	v_min_u32_e32 v5, 32, v5
	s_delay_alu instid0(VALU_DEP_1) | instskip(NEXT) | instid1(VALU_DEP_1)
	v_subrev_nc_u32_e32 v7, 29, v5
	v_dual_lshlrev_b32 v2, v7, v2 :: v_dual_sub_nc_u32 v5, 30, v5
	s_delay_alu instid0(VALU_DEP_1) | instskip(NEXT) | instid1(VALU_DEP_2)
	v_dual_lshlrev_b32 v3, 24, v3 :: v_dual_bitop2_b32 v2, 3, v2 bitop3:0x40
	v_cndmask_b32_e32 v5, v8, v5, vcc_lo
	s_delay_alu instid0(VALU_DEP_2) | instskip(NEXT) | instid1(VALU_DEP_3)
	v_cndmask_b32_e32 v2, v4, v2, vcc_lo
	v_and_b32_e32 v3, 0x80000000, v3
	s_delay_alu instid0(VALU_DEP_3) | instskip(NEXT) | instid1(VALU_DEP_3)
	v_lshl_add_u32 v4, v5, 23, 0x37800000
	v_lshlrev_b32_e32 v2, 21, v2
	s_delay_alu instid0(VALU_DEP_1) | instskip(NEXT) | instid1(VALU_DEP_1)
	v_or3_b32 v2, v3, v4, v2
	v_cvt_i32_f32_e32 v2, v2
.LBB182_584:
	s_or_b32 exec_lo, exec_lo, s23
	s_mov_b32 s23, 0
	s_branch .LBB182_590
.LBB182_585:
	s_mov_b32 s24, -1
                                        ; implicit-def: $vgpr2
	s_branch .LBB182_596
.LBB182_586:
	s_and_not1_saveexec_b32 s23, s23
	s_cbranch_execz .LBB182_571
.LBB182_587:
	v_cmp_ne_u16_e32 vcc_lo, 0, v3
	s_and_not1_b32 s24, s24, exec_lo
	s_and_b32 s25, vcc_lo, exec_lo
	s_delay_alu instid0(SALU_CYCLE_1)
	s_or_b32 s24, s24, s25
	s_or_b32 exec_lo, exec_lo, s23
	v_mov_b32_e32 v2, 0
	s_and_saveexec_b32 s23, s24
	s_cbranch_execnz .LBB182_572
	s_branch .LBB182_573
.LBB182_588:
	s_mov_b32 s23, -1
                                        ; implicit-def: $vgpr2
	s_branch .LBB182_593
.LBB182_589:
	s_mov_b32 s23, -1
                                        ; implicit-def: $vgpr2
.LBB182_590:
	s_delay_alu instid0(SALU_CYCLE_1)
	s_and_b32 vcc_lo, exec_lo, s23
	s_cbranch_vccz .LBB182_592
; %bb.591:
	s_wait_loadcnt 0x0
	global_load_u8 v2, v[0:1], off
	s_wait_loadcnt 0x0
	v_lshlrev_b32_e32 v2, 24, v2
	s_delay_alu instid0(VALU_DEP_1) | instskip(NEXT) | instid1(VALU_DEP_1)
	v_and_b32_e32 v3, 0x7f000000, v2
	v_clz_i32_u32_e32 v4, v3
	v_add_nc_u32_e32 v7, 0x1000000, v3
	v_cmp_ne_u32_e32 vcc_lo, 0, v3
	s_delay_alu instid0(VALU_DEP_3) | instskip(NEXT) | instid1(VALU_DEP_1)
	v_min_u32_e32 v4, 32, v4
	v_sub_nc_u32_e64 v4, v4, 4 clamp
	s_delay_alu instid0(VALU_DEP_1) | instskip(NEXT) | instid1(VALU_DEP_1)
	v_dual_lshlrev_b32 v5, v4, v3 :: v_dual_lshlrev_b32 v4, 23, v4
	v_lshrrev_b32_e32 v5, 4, v5
	s_delay_alu instid0(VALU_DEP_1) | instskip(NEXT) | instid1(VALU_DEP_1)
	v_dual_sub_nc_u32 v4, v5, v4 :: v_dual_ashrrev_i32 v5, 8, v7
	v_add_nc_u32_e32 v4, 0x3c000000, v4
	s_delay_alu instid0(VALU_DEP_1) | instskip(NEXT) | instid1(VALU_DEP_1)
	v_and_or_b32 v4, 0x7f800000, v5, v4
	v_cndmask_b32_e32 v3, 0, v4, vcc_lo
	s_delay_alu instid0(VALU_DEP_1) | instskip(NEXT) | instid1(VALU_DEP_1)
	v_and_or_b32 v2, 0x80000000, v2, v3
	v_cvt_i32_f32_e32 v2, v2
.LBB182_592:
	s_mov_b32 s23, 0
.LBB182_593:
	s_delay_alu instid0(SALU_CYCLE_1)
	s_and_not1_b32 vcc_lo, exec_lo, s23
	s_cbranch_vccnz .LBB182_595
; %bb.594:
	s_wait_loadcnt 0x0
	global_load_u8 v2, v[0:1], off
	s_wait_loadcnt 0x0
	v_lshlrev_b32_e32 v3, 25, v2
	v_lshlrev_b16 v2, 8, v2
	s_delay_alu instid0(VALU_DEP_1) | instskip(SKIP_1) | instid1(VALU_DEP_2)
	v_and_or_b32 v5, 0x7f00, v2, 0.5
	v_bfe_i32 v2, v2, 0, 16
	v_dual_add_f32 v5, -0.5, v5 :: v_dual_lshrrev_b32 v4, 4, v3
	v_cmp_gt_u32_e32 vcc_lo, 0x8000000, v3
	s_delay_alu instid0(VALU_DEP_2) | instskip(NEXT) | instid1(VALU_DEP_1)
	v_or_b32_e32 v4, 0x70000000, v4
	v_mul_f32_e32 v4, 0x7800000, v4
	s_delay_alu instid0(VALU_DEP_1) | instskip(NEXT) | instid1(VALU_DEP_1)
	v_cndmask_b32_e32 v3, v4, v5, vcc_lo
	v_and_or_b32 v2, 0x80000000, v2, v3
	s_delay_alu instid0(VALU_DEP_1)
	v_cvt_i32_f32_e32 v2, v2
.LBB182_595:
	s_mov_b32 s24, 0
	s_mov_b32 s23, -1
.LBB182_596:
	s_and_not1_b32 vcc_lo, exec_lo, s24
	s_cbranch_vccnz .LBB182_609
; %bb.597:
	s_cmp_gt_i32 s0, 14
	s_cbranch_scc0 .LBB182_600
; %bb.598:
	s_cmp_eq_u32 s0, 15
	s_cbranch_scc0 .LBB182_603
; %bb.599:
	s_wait_loadcnt 0x0
	global_load_u16 v2, v[0:1], off
	s_mov_b32 s23, -1
	s_mov_b32 s22, 0
	s_wait_loadcnt 0x0
	v_lshlrev_b32_e32 v2, 16, v2
	s_delay_alu instid0(VALU_DEP_1)
	v_cvt_i32_f32_e32 v2, v2
	s_branch .LBB182_604
.LBB182_600:
	s_mov_b32 s24, -1
                                        ; implicit-def: $vgpr2
	s_branch .LBB182_605
.LBB182_601:
	s_and_not1_saveexec_b32 s23, s23
	s_cbranch_execz .LBB182_582
.LBB182_602:
	v_cmp_ne_u16_e32 vcc_lo, 0, v3
	s_and_not1_b32 s24, s24, exec_lo
	s_and_b32 s25, vcc_lo, exec_lo
	s_delay_alu instid0(SALU_CYCLE_1)
	s_or_b32 s24, s24, s25
	s_or_b32 exec_lo, exec_lo, s23
	v_mov_b32_e32 v2, 0
	s_and_saveexec_b32 s23, s24
	s_cbranch_execnz .LBB182_583
	s_branch .LBB182_584
.LBB182_603:
	s_mov_b32 s22, -1
                                        ; implicit-def: $vgpr2
.LBB182_604:
	s_mov_b32 s24, 0
.LBB182_605:
	s_delay_alu instid0(SALU_CYCLE_1)
	s_and_b32 vcc_lo, exec_lo, s24
	s_cbranch_vccz .LBB182_609
; %bb.606:
	s_cmp_eq_u32 s0, 11
	s_cbranch_scc0 .LBB182_608
; %bb.607:
	s_wait_loadcnt 0x0
	global_load_u8 v2, v[0:1], off
	s_mov_b32 s22, 0
	s_mov_b32 s23, -1
	s_wait_loadcnt 0x0
	v_cmp_ne_u16_e32 vcc_lo, 0, v2
	v_cndmask_b32_e64 v2, 0, 1, vcc_lo
	s_branch .LBB182_609
.LBB182_608:
	s_mov_b32 s22, -1
                                        ; implicit-def: $vgpr2
.LBB182_609:
	s_mov_b32 s24, 0
.LBB182_610:
	s_delay_alu instid0(SALU_CYCLE_1)
	s_and_b32 vcc_lo, exec_lo, s24
	s_cbranch_vccz .LBB182_659
; %bb.611:
	s_cmp_lt_i32 s0, 5
	s_cbranch_scc1 .LBB182_616
; %bb.612:
	s_cmp_lt_i32 s0, 8
	s_cbranch_scc1 .LBB182_617
; %bb.613:
	s_cmp_lt_i32 s0, 9
	s_cbranch_scc1 .LBB182_618
; %bb.614:
	s_cmp_gt_i32 s0, 9
	s_cbranch_scc0 .LBB182_619
; %bb.615:
	s_wait_loadcnt 0x0
	global_load_b64 v[2:3], v[0:1], off
	s_mov_b32 s23, 0
	s_wait_loadcnt 0x0
	v_cvt_i32_f64_e32 v2, v[2:3]
	s_branch .LBB182_620
.LBB182_616:
	s_mov_b32 s23, -1
                                        ; implicit-def: $vgpr2
	s_branch .LBB182_638
.LBB182_617:
	s_mov_b32 s23, -1
                                        ; implicit-def: $vgpr2
	s_branch .LBB182_626
.LBB182_618:
	s_mov_b32 s23, -1
                                        ; implicit-def: $vgpr2
	s_branch .LBB182_623
.LBB182_619:
	s_mov_b32 s23, -1
                                        ; implicit-def: $vgpr2
.LBB182_620:
	s_delay_alu instid0(SALU_CYCLE_1)
	s_and_not1_b32 vcc_lo, exec_lo, s23
	s_cbranch_vccnz .LBB182_622
; %bb.621:
	s_wait_loadcnt 0x0
	global_load_b32 v2, v[0:1], off
	s_wait_loadcnt 0x0
	v_cvt_i32_f32_e32 v2, v2
.LBB182_622:
	s_mov_b32 s23, 0
.LBB182_623:
	s_delay_alu instid0(SALU_CYCLE_1)
	s_and_not1_b32 vcc_lo, exec_lo, s23
	s_cbranch_vccnz .LBB182_625
; %bb.624:
	s_wait_loadcnt 0x0
	global_load_b32 v2, v[0:1], off
	s_wait_loadcnt 0x0
	v_cvt_i16_f16_e32 v2, v2
.LBB182_625:
	s_mov_b32 s23, 0
.LBB182_626:
	s_delay_alu instid0(SALU_CYCLE_1)
	s_and_not1_b32 vcc_lo, exec_lo, s23
	s_cbranch_vccnz .LBB182_637
; %bb.627:
	s_cmp_lt_i32 s0, 6
	s_cbranch_scc1 .LBB182_630
; %bb.628:
	s_cmp_gt_i32 s0, 6
	s_cbranch_scc0 .LBB182_631
; %bb.629:
	s_wait_loadcnt 0x0
	global_load_b64 v[2:3], v[0:1], off
	s_mov_b32 s23, 0
	s_wait_loadcnt 0x0
	v_cvt_i32_f64_e32 v2, v[2:3]
	s_branch .LBB182_632
.LBB182_630:
	s_mov_b32 s23, -1
                                        ; implicit-def: $vgpr2
	s_branch .LBB182_635
.LBB182_631:
	s_mov_b32 s23, -1
                                        ; implicit-def: $vgpr2
.LBB182_632:
	s_delay_alu instid0(SALU_CYCLE_1)
	s_and_not1_b32 vcc_lo, exec_lo, s23
	s_cbranch_vccnz .LBB182_634
; %bb.633:
	s_wait_loadcnt 0x0
	global_load_b32 v2, v[0:1], off
	s_wait_loadcnt 0x0
	v_cvt_i32_f32_e32 v2, v2
.LBB182_634:
	s_mov_b32 s23, 0
.LBB182_635:
	s_delay_alu instid0(SALU_CYCLE_1)
	s_and_not1_b32 vcc_lo, exec_lo, s23
	s_cbranch_vccnz .LBB182_637
; %bb.636:
	s_wait_loadcnt 0x0
	global_load_u16 v2, v[0:1], off
	s_wait_loadcnt 0x0
	v_cvt_i16_f16_e32 v2, v2
.LBB182_637:
	s_mov_b32 s23, 0
.LBB182_638:
	s_delay_alu instid0(SALU_CYCLE_1)
	s_and_not1_b32 vcc_lo, exec_lo, s23
	s_cbranch_vccnz .LBB182_658
; %bb.639:
	s_cmp_lt_i32 s0, 2
	s_cbranch_scc1 .LBB182_643
; %bb.640:
	s_cmp_lt_i32 s0, 3
	s_cbranch_scc1 .LBB182_644
; %bb.641:
	s_cmp_gt_i32 s0, 3
	s_cbranch_scc0 .LBB182_645
; %bb.642:
	s_wait_loadcnt 0x0
	global_load_b64 v[2:3], v[0:1], off
	s_mov_b32 s23, 0
	s_branch .LBB182_646
.LBB182_643:
	s_mov_b32 s23, -1
                                        ; implicit-def: $vgpr2
	s_branch .LBB182_652
.LBB182_644:
	s_mov_b32 s23, -1
                                        ; implicit-def: $vgpr2
	s_branch .LBB182_649
.LBB182_645:
	s_mov_b32 s23, -1
                                        ; implicit-def: $vgpr2
.LBB182_646:
	s_delay_alu instid0(SALU_CYCLE_1)
	s_and_not1_b32 vcc_lo, exec_lo, s23
	s_cbranch_vccnz .LBB182_648
; %bb.647:
	s_wait_loadcnt 0x0
	global_load_b32 v2, v[0:1], off
.LBB182_648:
	s_mov_b32 s23, 0
.LBB182_649:
	s_delay_alu instid0(SALU_CYCLE_1)
	s_and_not1_b32 vcc_lo, exec_lo, s23
	s_cbranch_vccnz .LBB182_651
; %bb.650:
	s_wait_loadcnt 0x0
	global_load_u16 v2, v[0:1], off
.LBB182_651:
	s_mov_b32 s23, 0
.LBB182_652:
	s_delay_alu instid0(SALU_CYCLE_1)
	s_and_not1_b32 vcc_lo, exec_lo, s23
	s_cbranch_vccnz .LBB182_658
; %bb.653:
	s_cmp_gt_i32 s0, 0
	s_mov_b32 s0, 0
	s_cbranch_scc0 .LBB182_655
; %bb.654:
	s_wait_loadcnt 0x0
	global_load_u8 v2, v[0:1], off
	s_branch .LBB182_656
.LBB182_655:
	s_mov_b32 s0, -1
                                        ; implicit-def: $vgpr2
.LBB182_656:
	s_delay_alu instid0(SALU_CYCLE_1)
	s_and_not1_b32 vcc_lo, exec_lo, s0
	s_cbranch_vccnz .LBB182_658
; %bb.657:
	s_wait_loadcnt 0x0
	global_load_u8 v2, v[0:1], off
.LBB182_658:
	s_mov_b32 s23, -1
.LBB182_659:
	s_delay_alu instid0(SALU_CYCLE_1)
	s_and_not1_b32 vcc_lo, exec_lo, s23
	s_cbranch_vccnz .LBB182_663
; %bb.660:
	s_cmp_lt_i32 s10, 1
	s_mov_b32 s0, 0
	s_cbranch_scc1 .LBB182_664
; %bb.661:
	s_cmp_eq_u32 s10, 1
	s_cbranch_scc0 .LBB182_665
; %bb.662:
	s_wait_loadcnt 0x0
	s_delay_alu instid0(VALU_DEP_1)
	v_bfe_i32 v0, v2, 0, 8
	s_bfe_i32 s23, s11, 0x80000
	s_delay_alu instid0(VALU_DEP_1) | instid1(SALU_CYCLE_1)
	v_min_i16 v3, v0, s23
	s_mov_b32 s23, 0
	s_branch .LBB182_666
.LBB182_663:
	s_mov_b32 s23, 0
	s_mov_b32 s0, s19
	s_branch .LBB182_796
.LBB182_664:
	s_mov_b32 s24, -1
	s_mov_b32 s23, 0
                                        ; implicit-def: $vgpr3
	s_branch .LBB182_667
.LBB182_665:
	s_mov_b32 s23, -1
                                        ; implicit-def: $vgpr3
.LBB182_666:
	s_mov_b32 s24, 0
.LBB182_667:
	s_delay_alu instid0(SALU_CYCLE_1)
	s_and_b32 vcc_lo, exec_lo, s24
	s_cbranch_vccz .LBB182_678
; %bb.668:
	s_cmp_lg_u32 s10, 0
	s_mov_b32 s0, -1
	s_cselect_b32 s23, -1, 0
	s_wait_loadcnt 0x0
	s_delay_alu instid0(VALU_DEP_1)
	v_bfe_i32 v0, v2, 0, 8
	s_and_not1_b32 vcc_lo, exec_lo, s23
	s_cbranch_vccz .LBB182_679
.LBB182_669:
	s_and_not1_b32 vcc_lo, exec_lo, s0
	s_cbranch_vccnz .LBB182_671
.LBB182_670:
	s_bfe_i32 s0, s11, 0x80000
	s_delay_alu instid0(SALU_CYCLE_1)
	v_max_i16 v3, v0, s0
.LBB182_671:
	v_mul_lo_u32 v0, v6, s8
	s_and_b32 s23, s2, 0xff
	s_delay_alu instid0(SALU_CYCLE_1) | instskip(NEXT) | instid1(VALU_DEP_1)
	s_cmp_lt_i32 s23, 11
	v_ashrrev_i32_e32 v1, 31, v0
	s_delay_alu instid0(VALU_DEP_1)
	v_add_nc_u64_e32 v[0:1], s[4:5], v[0:1]
	s_cbranch_scc1 .LBB182_680
; %bb.672:
	s_and_b32 s24, 0xffff, s23
	s_delay_alu instid0(SALU_CYCLE_1)
	s_cmp_gt_i32 s24, 25
	s_cbranch_scc0 .LBB182_681
; %bb.673:
	s_cmp_gt_i32 s24, 28
	s_cbranch_scc0 .LBB182_682
; %bb.674:
	;; [unrolled: 3-line block ×4, first 2 shown]
	s_mov_b32 s26, 0
	s_mov_b32 s0, -1
	s_cmp_eq_u32 s24, 46
	s_mov_b32 s25, 0
	s_cbranch_scc0 .LBB182_685
; %bb.677:
	v_bfe_i32 v2, v3, 0, 8
	s_mov_b32 s25, -1
	s_mov_b32 s0, 0
	s_delay_alu instid0(VALU_DEP_1) | instskip(NEXT) | instid1(VALU_DEP_1)
	v_bfe_i32 v2, v2, 0, 16
	v_cvt_f32_i32_e32 v2, v2
	s_delay_alu instid0(VALU_DEP_1) | instskip(NEXT) | instid1(VALU_DEP_1)
	v_bfe_u32 v4, v2, 16, 1
	v_add3_u32 v2, v2, v4, 0x7fff
	s_delay_alu instid0(VALU_DEP_1)
	v_lshrrev_b32_e32 v2, 16, v2
	global_store_b32 v[0:1], v2, off
	s_branch .LBB182_685
.LBB182_678:
	s_wait_loadcnt 0x0
	s_delay_alu instid0(VALU_DEP_1)
	v_bfe_i32 v0, v2, 0, 8
	s_and_not1_b32 vcc_lo, exec_lo, s23
	s_cbranch_vccnz .LBB182_669
.LBB182_679:
	s_bfe_i32 s0, s11, 0x80000
	s_delay_alu instid0(VALU_DEP_1) | instid1(SALU_CYCLE_1)
	v_max_i16 v1, v0, s0
	s_bfe_i32 s0, s1, 0x80000
	s_delay_alu instid0(VALU_DEP_1) | instid1(SALU_CYCLE_1)
	v_min_i16 v3, v1, s0
	s_cbranch_execz .LBB182_670
	s_branch .LBB182_671
.LBB182_680:
	s_mov_b32 s24, -1
	s_mov_b32 s25, 0
	s_mov_b32 s0, s19
	s_branch .LBB182_754
.LBB182_681:
	s_mov_b32 s26, -1
	s_mov_b32 s25, 0
	s_mov_b32 s0, s19
	s_branch .LBB182_712
.LBB182_682:
	s_mov_b32 s26, -1
	s_mov_b32 s25, 0
	s_mov_b32 s0, s19
	s_branch .LBB182_695
.LBB182_683:
	s_mov_b32 s26, -1
	s_mov_b32 s25, 0
	s_mov_b32 s0, s19
	s_branch .LBB182_691
.LBB182_684:
	s_mov_b32 s26, -1
	s_mov_b32 s25, 0
	s_mov_b32 s0, s19
.LBB182_685:
	s_and_b32 vcc_lo, exec_lo, s26
	s_cbranch_vccz .LBB182_690
; %bb.686:
	s_cmp_eq_u32 s24, 44
	s_mov_b32 s0, -1
	s_cbranch_scc0 .LBB182_690
; %bb.687:
	s_wait_xcnt 0x0
	v_bfe_i32 v2, v3, 0, 8
	v_mov_b32_e32 v4, 0xff
	s_mov_b32 s25, exec_lo
	s_delay_alu instid0(VALU_DEP_2) | instskip(NEXT) | instid1(VALU_DEP_1)
	v_bfe_i32 v2, v2, 0, 16
	v_cvt_f32_i32_e32 v2, v2
	s_delay_alu instid0(VALU_DEP_1) | instskip(NEXT) | instid1(VALU_DEP_1)
	v_bfe_u32 v5, v2, 23, 8
	v_cmpx_ne_u32_e32 0xff, v5
	s_cbranch_execz .LBB182_689
; %bb.688:
	v_and_b32_e32 v4, 0x400000, v2
	v_and_or_b32 v5, 0x3fffff, v2, v5
	v_lshrrev_b32_e32 v2, 23, v2
	s_delay_alu instid0(VALU_DEP_3) | instskip(NEXT) | instid1(VALU_DEP_3)
	v_cmp_ne_u32_e32 vcc_lo, 0, v4
	v_cmp_ne_u32_e64 s0, 0, v5
	s_and_b32 s0, vcc_lo, s0
	s_delay_alu instid0(SALU_CYCLE_1) | instskip(NEXT) | instid1(VALU_DEP_1)
	v_cndmask_b32_e64 v4, 0, 1, s0
	v_add_nc_u32_e32 v4, v2, v4
.LBB182_689:
	s_or_b32 exec_lo, exec_lo, s25
	s_mov_b32 s25, -1
	s_mov_b32 s0, 0
	global_store_b8 v[0:1], v4, off
.LBB182_690:
	s_mov_b32 s26, 0
.LBB182_691:
	s_delay_alu instid0(SALU_CYCLE_1)
	s_and_b32 vcc_lo, exec_lo, s26
	s_cbranch_vccz .LBB182_694
; %bb.692:
	s_cmp_eq_u32 s24, 29
	s_mov_b32 s0, -1
	s_cbranch_scc0 .LBB182_694
; %bb.693:
	s_wait_xcnt 0x0
	v_bfe_i32 v4, v3, 0, 8
	s_mov_b32 s25, -1
	s_mov_b32 s0, 0
	s_mov_b32 s26, 0
	s_delay_alu instid0(VALU_DEP_1)
	v_ashrrev_i32_e32 v5, 31, v4
	global_store_b64 v[0:1], v[4:5], off
	s_branch .LBB182_695
.LBB182_694:
	s_mov_b32 s26, 0
.LBB182_695:
	s_delay_alu instid0(SALU_CYCLE_1)
	s_and_b32 vcc_lo, exec_lo, s26
	s_cbranch_vccz .LBB182_711
; %bb.696:
	s_cmp_lt_i32 s24, 27
	s_mov_b32 s25, -1
	s_cbranch_scc1 .LBB182_702
; %bb.697:
	s_cmp_gt_i32 s24, 27
	s_cbranch_scc0 .LBB182_699
; %bb.698:
	s_wait_xcnt 0x0
	v_bfe_i32 v2, v3, 0, 8
	s_mov_b32 s25, 0
	global_store_b32 v[0:1], v2, off
.LBB182_699:
	s_and_not1_b32 vcc_lo, exec_lo, s25
	s_cbranch_vccnz .LBB182_701
; %bb.700:
	s_wait_xcnt 0x0
	v_bfe_i32 v2, v3, 0, 8
	global_store_b16 v[0:1], v2, off
.LBB182_701:
	s_mov_b32 s25, 0
.LBB182_702:
	s_delay_alu instid0(SALU_CYCLE_1)
	s_and_not1_b32 vcc_lo, exec_lo, s25
	s_cbranch_vccnz .LBB182_710
; %bb.703:
	s_wait_xcnt 0x0
	v_bfe_i32 v2, v3, 0, 8
	v_mov_b32_e32 v5, 0x80
	s_mov_b32 s25, exec_lo
	s_delay_alu instid0(VALU_DEP_2) | instskip(NEXT) | instid1(VALU_DEP_1)
	v_bfe_i32 v2, v2, 0, 16
	v_cvt_f32_i32_e32 v2, v2
	s_delay_alu instid0(VALU_DEP_1) | instskip(NEXT) | instid1(VALU_DEP_1)
	v_and_b32_e32 v4, 0x7fffffff, v2
	v_cmpx_gt_u32_e32 0x43800000, v4
	s_cbranch_execz .LBB182_709
; %bb.704:
	v_cmp_lt_u32_e32 vcc_lo, 0x3bffffff, v4
	s_mov_b32 s26, 0
                                        ; implicit-def: $vgpr4
	s_and_saveexec_b32 s27, vcc_lo
	s_delay_alu instid0(SALU_CYCLE_1)
	s_xor_b32 s27, exec_lo, s27
	s_cbranch_execz .LBB182_811
; %bb.705:
	v_bfe_u32 v4, v2, 20, 1
	s_mov_b32 s26, exec_lo
	s_delay_alu instid0(VALU_DEP_1) | instskip(NEXT) | instid1(VALU_DEP_1)
	v_add3_u32 v4, v2, v4, 0x487ffff
	v_lshrrev_b32_e32 v4, 20, v4
	s_and_not1_saveexec_b32 s27, s27
	s_cbranch_execnz .LBB182_812
.LBB182_706:
	s_or_b32 exec_lo, exec_lo, s27
	v_mov_b32_e32 v5, 0
	s_and_saveexec_b32 s27, s26
.LBB182_707:
	v_lshrrev_b32_e32 v2, 24, v2
	s_delay_alu instid0(VALU_DEP_1)
	v_and_or_b32 v5, 0x80, v2, v4
.LBB182_708:
	s_or_b32 exec_lo, exec_lo, s27
.LBB182_709:
	s_delay_alu instid0(SALU_CYCLE_1)
	s_or_b32 exec_lo, exec_lo, s25
	global_store_b8 v[0:1], v5, off
.LBB182_710:
	s_mov_b32 s25, -1
.LBB182_711:
	s_mov_b32 s26, 0
.LBB182_712:
	s_delay_alu instid0(SALU_CYCLE_1)
	s_and_b32 vcc_lo, exec_lo, s26
	s_cbranch_vccz .LBB182_753
; %bb.713:
	s_cmp_gt_i32 s24, 22
	s_mov_b32 s26, -1
	s_cbranch_scc0 .LBB182_745
; %bb.714:
	s_cmp_lt_i32 s24, 24
	s_mov_b32 s25, -1
	s_cbranch_scc1 .LBB182_734
; %bb.715:
	s_cmp_gt_i32 s24, 24
	s_cbranch_scc0 .LBB182_723
; %bb.716:
	s_wait_xcnt 0x0
	v_bfe_i32 v2, v3, 0, 8
	v_mov_b32_e32 v5, 0x80
	s_mov_b32 s25, exec_lo
	s_delay_alu instid0(VALU_DEP_2) | instskip(NEXT) | instid1(VALU_DEP_1)
	v_bfe_i32 v2, v2, 0, 16
	v_cvt_f32_i32_e32 v2, v2
	s_delay_alu instid0(VALU_DEP_1) | instskip(NEXT) | instid1(VALU_DEP_1)
	v_and_b32_e32 v4, 0x7fffffff, v2
	v_cmpx_gt_u32_e32 0x47800000, v4
	s_cbranch_execz .LBB182_722
; %bb.717:
	v_cmp_lt_u32_e32 vcc_lo, 0x37ffffff, v4
	s_mov_b32 s26, 0
                                        ; implicit-def: $vgpr4
	s_and_saveexec_b32 s27, vcc_lo
	s_delay_alu instid0(SALU_CYCLE_1)
	s_xor_b32 s27, exec_lo, s27
	s_cbranch_execz .LBB182_814
; %bb.718:
	v_bfe_u32 v4, v2, 21, 1
	s_mov_b32 s26, exec_lo
	s_delay_alu instid0(VALU_DEP_1) | instskip(NEXT) | instid1(VALU_DEP_1)
	v_add3_u32 v4, v2, v4, 0x88fffff
	v_lshrrev_b32_e32 v4, 21, v4
	s_and_not1_saveexec_b32 s27, s27
	s_cbranch_execnz .LBB182_815
.LBB182_719:
	s_or_b32 exec_lo, exec_lo, s27
	v_mov_b32_e32 v5, 0
	s_and_saveexec_b32 s27, s26
.LBB182_720:
	v_lshrrev_b32_e32 v2, 24, v2
	s_delay_alu instid0(VALU_DEP_1)
	v_and_or_b32 v5, 0x80, v2, v4
.LBB182_721:
	s_or_b32 exec_lo, exec_lo, s27
.LBB182_722:
	s_delay_alu instid0(SALU_CYCLE_1)
	s_or_b32 exec_lo, exec_lo, s25
	s_mov_b32 s25, 0
	global_store_b8 v[0:1], v5, off
.LBB182_723:
	s_and_b32 vcc_lo, exec_lo, s25
	s_cbranch_vccz .LBB182_733
; %bb.724:
	s_wait_xcnt 0x0
	v_bfe_i32 v2, v3, 0, 8
	s_mov_b32 s25, exec_lo
                                        ; implicit-def: $vgpr4
	s_delay_alu instid0(VALU_DEP_1) | instskip(NEXT) | instid1(VALU_DEP_1)
	v_bfe_i32 v2, v2, 0, 16
	v_cvt_f32_i32_e32 v2, v2
	s_delay_alu instid0(VALU_DEP_1) | instskip(NEXT) | instid1(VALU_DEP_1)
	v_and_b32_e32 v5, 0x7fffffff, v2
	v_cmpx_gt_u32_e32 0x43f00000, v5
	s_xor_b32 s25, exec_lo, s25
	s_cbranch_execz .LBB182_730
; %bb.725:
	s_mov_b32 s26, exec_lo
                                        ; implicit-def: $vgpr4
	v_cmpx_lt_u32_e32 0x3c7fffff, v5
	s_xor_b32 s26, exec_lo, s26
; %bb.726:
	v_bfe_u32 v4, v2, 20, 1
	s_delay_alu instid0(VALU_DEP_1) | instskip(NEXT) | instid1(VALU_DEP_1)
	v_add3_u32 v4, v2, v4, 0x407ffff
	v_and_b32_e32 v5, 0xff00000, v4
	v_lshrrev_b32_e32 v4, 20, v4
	s_delay_alu instid0(VALU_DEP_2) | instskip(NEXT) | instid1(VALU_DEP_2)
	v_cmp_ne_u32_e32 vcc_lo, 0x7f00000, v5
	v_cndmask_b32_e32 v4, 0x7e, v4, vcc_lo
; %bb.727:
	s_and_not1_saveexec_b32 s26, s26
; %bb.728:
	v_add_f32_e64 v4, 0x46800000, |v2|
; %bb.729:
	s_or_b32 exec_lo, exec_lo, s26
                                        ; implicit-def: $vgpr5
.LBB182_730:
	s_and_not1_saveexec_b32 s25, s25
; %bb.731:
	v_mov_b32_e32 v4, 0x7f
	v_cmp_lt_u32_e32 vcc_lo, 0x7f800000, v5
	s_delay_alu instid0(VALU_DEP_2)
	v_cndmask_b32_e32 v4, 0x7e, v4, vcc_lo
; %bb.732:
	s_or_b32 exec_lo, exec_lo, s25
	v_lshrrev_b32_e32 v2, 24, v2
	s_delay_alu instid0(VALU_DEP_1)
	v_and_or_b32 v2, 0x80, v2, v4
	global_store_b8 v[0:1], v2, off
.LBB182_733:
	s_mov_b32 s25, 0
.LBB182_734:
	s_delay_alu instid0(SALU_CYCLE_1)
	s_and_not1_b32 vcc_lo, exec_lo, s25
	s_cbranch_vccnz .LBB182_744
; %bb.735:
	s_wait_xcnt 0x0
	v_bfe_i32 v2, v3, 0, 8
	s_mov_b32 s25, exec_lo
                                        ; implicit-def: $vgpr4
	s_delay_alu instid0(VALU_DEP_1) | instskip(NEXT) | instid1(VALU_DEP_1)
	v_bfe_i32 v2, v2, 0, 16
	v_cvt_f32_i32_e32 v2, v2
	s_delay_alu instid0(VALU_DEP_1) | instskip(NEXT) | instid1(VALU_DEP_1)
	v_and_b32_e32 v5, 0x7fffffff, v2
	v_cmpx_gt_u32_e32 0x47800000, v5
	s_xor_b32 s25, exec_lo, s25
	s_cbranch_execz .LBB182_741
; %bb.736:
	s_mov_b32 s26, exec_lo
                                        ; implicit-def: $vgpr4
	v_cmpx_lt_u32_e32 0x387fffff, v5
	s_xor_b32 s26, exec_lo, s26
; %bb.737:
	v_bfe_u32 v4, v2, 21, 1
	s_delay_alu instid0(VALU_DEP_1) | instskip(NEXT) | instid1(VALU_DEP_1)
	v_add3_u32 v4, v2, v4, 0x80fffff
	v_lshrrev_b32_e32 v4, 21, v4
; %bb.738:
	s_and_not1_saveexec_b32 s26, s26
; %bb.739:
	v_add_f32_e64 v4, 0x43000000, |v2|
; %bb.740:
	s_or_b32 exec_lo, exec_lo, s26
                                        ; implicit-def: $vgpr5
.LBB182_741:
	s_and_not1_saveexec_b32 s25, s25
; %bb.742:
	v_mov_b32_e32 v4, 0x7f
	v_cmp_lt_u32_e32 vcc_lo, 0x7f800000, v5
	s_delay_alu instid0(VALU_DEP_2)
	v_cndmask_b32_e32 v4, 0x7c, v4, vcc_lo
; %bb.743:
	s_or_b32 exec_lo, exec_lo, s25
	v_lshrrev_b32_e32 v2, 24, v2
	s_delay_alu instid0(VALU_DEP_1)
	v_and_or_b32 v2, 0x80, v2, v4
	global_store_b8 v[0:1], v2, off
.LBB182_744:
	s_mov_b32 s26, 0
	s_mov_b32 s25, -1
.LBB182_745:
	s_and_not1_b32 vcc_lo, exec_lo, s26
	s_cbranch_vccnz .LBB182_753
; %bb.746:
	s_cmp_gt_i32 s24, 14
	s_mov_b32 s26, -1
	s_cbranch_scc0 .LBB182_750
; %bb.747:
	s_cmp_eq_u32 s24, 15
	s_mov_b32 s0, -1
	s_cbranch_scc0 .LBB182_749
; %bb.748:
	s_wait_xcnt 0x0
	v_bfe_i32 v2, v3, 0, 8
	s_mov_b32 s25, -1
	s_mov_b32 s0, 0
	s_delay_alu instid0(VALU_DEP_1) | instskip(NEXT) | instid1(VALU_DEP_1)
	v_bfe_i32 v2, v2, 0, 16
	v_cvt_f32_i32_e32 v2, v2
	s_delay_alu instid0(VALU_DEP_1) | instskip(NEXT) | instid1(VALU_DEP_1)
	v_bfe_u32 v4, v2, 16, 1
	v_add3_u32 v2, v2, v4, 0x7fff
	global_store_d16_hi_b16 v[0:1], v2, off
.LBB182_749:
	s_mov_b32 s26, 0
.LBB182_750:
	s_delay_alu instid0(SALU_CYCLE_1)
	s_and_b32 vcc_lo, exec_lo, s26
	s_cbranch_vccz .LBB182_753
; %bb.751:
	s_cmp_eq_u32 s24, 11
	s_mov_b32 s0, -1
	s_cbranch_scc0 .LBB182_753
; %bb.752:
	s_wait_xcnt 0x0
	v_and_b32_e32 v2, 0xff, v3
	s_mov_b32 s0, 0
	s_mov_b32 s25, -1
	s_delay_alu instid0(VALU_DEP_1)
	v_cmp_ne_u16_e32 vcc_lo, 0, v2
	v_cndmask_b32_e64 v2, 0, 1, vcc_lo
	global_store_b8 v[0:1], v2, off
.LBB182_753:
	s_mov_b32 s24, 0
.LBB182_754:
	s_delay_alu instid0(SALU_CYCLE_1)
	s_and_b32 vcc_lo, exec_lo, s24
	s_cbranch_vccz .LBB182_793
; %bb.755:
	s_and_b32 s23, 0xffff, s23
	s_mov_b32 s24, -1
	s_cmp_lt_i32 s23, 5
	s_cbranch_scc1 .LBB182_776
; %bb.756:
	s_cmp_lt_i32 s23, 8
	s_cbranch_scc1 .LBB182_766
; %bb.757:
	;; [unrolled: 3-line block ×3, first 2 shown]
	s_cmp_gt_i32 s23, 9
	s_cbranch_scc0 .LBB182_760
; %bb.759:
	s_wait_xcnt 0x0
	v_bfe_i32 v2, v3, 0, 8
	v_mov_b32_e32 v10, 0
	s_mov_b32 s24, 0
	s_delay_alu instid0(VALU_DEP_2) | instskip(NEXT) | instid1(VALU_DEP_2)
	v_bfe_i32 v2, v2, 0, 16
	v_mov_b32_e32 v11, v10
	s_delay_alu instid0(VALU_DEP_2)
	v_cvt_f64_i32_e32 v[8:9], v2
	global_store_b128 v[0:1], v[8:11], off
.LBB182_760:
	s_and_not1_b32 vcc_lo, exec_lo, s24
	s_cbranch_vccnz .LBB182_762
; %bb.761:
	s_wait_xcnt 0x0
	v_bfe_i32 v2, v3, 0, 8
	v_mov_b32_e32 v5, 0
	s_delay_alu instid0(VALU_DEP_2) | instskip(NEXT) | instid1(VALU_DEP_1)
	v_bfe_i32 v2, v2, 0, 16
	v_cvt_f32_i32_e32 v4, v2
	global_store_b64 v[0:1], v[4:5], off
.LBB182_762:
	s_mov_b32 s24, 0
.LBB182_763:
	s_delay_alu instid0(SALU_CYCLE_1)
	s_and_not1_b32 vcc_lo, exec_lo, s24
	s_cbranch_vccnz .LBB182_765
; %bb.764:
	s_wait_xcnt 0x0
	v_bfe_i32 v2, v3, 0, 8
	s_delay_alu instid0(VALU_DEP_1) | instskip(NEXT) | instid1(VALU_DEP_1)
	v_cvt_f16_i16_e32 v2, v2
	v_and_b32_e32 v2, 0xffff, v2
	global_store_b32 v[0:1], v2, off
.LBB182_765:
	s_mov_b32 s24, 0
.LBB182_766:
	s_delay_alu instid0(SALU_CYCLE_1)
	s_and_not1_b32 vcc_lo, exec_lo, s24
	s_cbranch_vccnz .LBB182_775
; %bb.767:
	s_cmp_lt_i32 s23, 6
	s_mov_b32 s24, -1
	s_cbranch_scc1 .LBB182_773
; %bb.768:
	s_cmp_gt_i32 s23, 6
	s_cbranch_scc0 .LBB182_770
; %bb.769:
	s_wait_xcnt 0x0
	v_bfe_i32 v2, v3, 0, 8
	s_mov_b32 s24, 0
	s_delay_alu instid0(VALU_DEP_1) | instskip(NEXT) | instid1(VALU_DEP_1)
	v_bfe_i32 v2, v2, 0, 16
	v_cvt_f64_i32_e32 v[4:5], v2
	global_store_b64 v[0:1], v[4:5], off
.LBB182_770:
	s_and_not1_b32 vcc_lo, exec_lo, s24
	s_cbranch_vccnz .LBB182_772
; %bb.771:
	s_wait_xcnt 0x0
	v_bfe_i32 v2, v3, 0, 8
	s_delay_alu instid0(VALU_DEP_1) | instskip(NEXT) | instid1(VALU_DEP_1)
	v_bfe_i32 v2, v2, 0, 16
	v_cvt_f32_i32_e32 v2, v2
	global_store_b32 v[0:1], v2, off
.LBB182_772:
	s_mov_b32 s24, 0
.LBB182_773:
	s_delay_alu instid0(SALU_CYCLE_1)
	s_and_not1_b32 vcc_lo, exec_lo, s24
	s_cbranch_vccnz .LBB182_775
; %bb.774:
	s_wait_xcnt 0x0
	v_bfe_i32 v2, v3, 0, 8
	s_delay_alu instid0(VALU_DEP_1)
	v_cvt_f16_i16_e32 v2, v2
	global_store_b16 v[0:1], v2, off
.LBB182_775:
	s_mov_b32 s24, 0
.LBB182_776:
	s_delay_alu instid0(SALU_CYCLE_1)
	s_and_not1_b32 vcc_lo, exec_lo, s24
	s_cbranch_vccnz .LBB182_792
; %bb.777:
	s_cmp_lt_i32 s23, 2
	s_mov_b32 s24, -1
	s_cbranch_scc1 .LBB182_787
; %bb.778:
	s_cmp_lt_i32 s23, 3
	s_cbranch_scc1 .LBB182_784
; %bb.779:
	s_cmp_gt_i32 s23, 3
	s_cbranch_scc0 .LBB182_781
; %bb.780:
	s_wait_xcnt 0x0
	v_bfe_i32 v4, v3, 0, 8
	s_mov_b32 s24, 0
	s_delay_alu instid0(VALU_DEP_1)
	v_ashrrev_i32_e32 v5, 31, v4
	global_store_b64 v[0:1], v[4:5], off
.LBB182_781:
	s_and_not1_b32 vcc_lo, exec_lo, s24
	s_cbranch_vccnz .LBB182_783
; %bb.782:
	s_wait_xcnt 0x0
	v_bfe_i32 v2, v3, 0, 8
	global_store_b32 v[0:1], v2, off
.LBB182_783:
	s_mov_b32 s24, 0
.LBB182_784:
	s_delay_alu instid0(SALU_CYCLE_1)
	s_and_not1_b32 vcc_lo, exec_lo, s24
	s_cbranch_vccnz .LBB182_786
; %bb.785:
	s_wait_xcnt 0x0
	v_bfe_i32 v2, v3, 0, 8
	global_store_b16 v[0:1], v2, off
.LBB182_786:
	s_mov_b32 s24, 0
.LBB182_787:
	s_delay_alu instid0(SALU_CYCLE_1)
	s_and_not1_b32 vcc_lo, exec_lo, s24
	s_cbranch_vccnz .LBB182_792
; %bb.788:
	s_cmp_gt_i32 s23, 0
	s_mov_b32 s23, -1
	s_cbranch_scc0 .LBB182_790
; %bb.789:
	s_mov_b32 s23, 0
	global_store_b8 v[0:1], v3, off
.LBB182_790:
	s_and_not1_b32 vcc_lo, exec_lo, s23
	s_cbranch_vccnz .LBB182_792
; %bb.791:
	global_store_b8 v[0:1], v3, off
.LBB182_792:
	s_mov_b32 s25, -1
.LBB182_793:
	s_delay_alu instid0(SALU_CYCLE_1)
	s_and_not1_b32 vcc_lo, exec_lo, s25
	s_cbranch_vccnz .LBB182_795
; %bb.794:
	v_add_nc_u32_e32 v6, 0x80, v6
	s_mov_b32 s23, -1
	s_branch .LBB182_797
.LBB182_795:
	s_mov_b32 s23, 0
.LBB182_796:
                                        ; implicit-def: $vgpr6
.LBB182_797:
	s_and_not1_b32 s24, s19, exec_lo
	s_and_b32 s0, s0, exec_lo
	s_and_not1_b32 s25, s18, exec_lo
	s_and_b32 s26, s22, exec_lo
	s_or_b32 s22, s24, s0
	s_or_b32 s0, s25, s26
	s_or_not1_b32 s23, s23, exec_lo
.LBB182_798:
	s_wait_xcnt 0x0
	s_or_b32 exec_lo, exec_lo, s21
	s_mov_b32 s24, 0
	s_mov_b32 s25, 0
	;; [unrolled: 1-line block ×3, first 2 shown]
                                        ; implicit-def: $vgpr0_vgpr1
                                        ; implicit-def: $vgpr2
	s_and_saveexec_b32 s21, s23
	s_cbranch_execz .LBB182_879
; %bb.799:
	v_cmp_gt_i32_e32 vcc_lo, s15, v6
	s_mov_b32 s23, 0
	s_mov_b32 s24, s0
	s_mov_b32 s27, 0
                                        ; implicit-def: $vgpr0_vgpr1
                                        ; implicit-def: $vgpr2
	s_and_saveexec_b32 s15, vcc_lo
	s_cbranch_execz .LBB182_878
; %bb.800:
	v_mul_lo_u32 v0, v6, s9
	s_and_b32 s23, 0xffff, s12
	s_delay_alu instid0(SALU_CYCLE_1) | instskip(NEXT) | instid1(VALU_DEP_1)
	s_cmp_lt_i32 s23, 11
	v_ashrrev_i32_e32 v1, 31, v0
	s_delay_alu instid0(VALU_DEP_1)
	v_add_nc_u64_e32 v[0:1], s[6:7], v[0:1]
	s_cbranch_scc1 .LBB182_807
; %bb.801:
	s_cmp_gt_i32 s23, 25
	s_cbranch_scc0 .LBB182_808
; %bb.802:
	s_cmp_gt_i32 s23, 28
	s_cbranch_scc0 .LBB182_809
	;; [unrolled: 3-line block ×4, first 2 shown]
; %bb.805:
	s_cmp_eq_u32 s23, 46
	s_cbranch_scc0 .LBB182_816
; %bb.806:
	s_wait_loadcnt 0x0
	global_load_b32 v2, v[0:1], off
	s_mov_b32 s24, 0
	s_mov_b32 s26, -1
	s_wait_loadcnt 0x0
	v_lshlrev_b32_e32 v2, 16, v2
	s_delay_alu instid0(VALU_DEP_1)
	v_cvt_i32_f32_e32 v2, v2
	s_branch .LBB182_818
.LBB182_807:
	s_mov_b32 s23, -1
	s_mov_b32 s24, s0
                                        ; implicit-def: $vgpr2
	s_branch .LBB182_877
.LBB182_808:
	s_mov_b32 s27, -1
	s_mov_b32 s24, s0
                                        ; implicit-def: $vgpr2
	s_branch .LBB182_845
.LBB182_809:
	s_mov_b32 s27, -1
	s_mov_b32 s24, s0
                                        ; implicit-def: $vgpr2
	s_branch .LBB182_828
.LBB182_810:
	s_mov_b32 s27, -1
	s_mov_b32 s24, s0
                                        ; implicit-def: $vgpr2
	s_branch .LBB182_823
.LBB182_811:
	s_and_not1_saveexec_b32 s27, s27
	s_cbranch_execz .LBB182_706
.LBB182_812:
	v_add_f32_e64 v4, 0x46000000, |v2|
	s_and_not1_b32 s26, s26, exec_lo
	s_delay_alu instid0(VALU_DEP_1) | instskip(NEXT) | instid1(VALU_DEP_1)
	v_and_b32_e32 v4, 0xff, v4
	v_cmp_ne_u32_e32 vcc_lo, 0, v4
	s_and_b32 s28, vcc_lo, exec_lo
	s_delay_alu instid0(SALU_CYCLE_1)
	s_or_b32 s26, s26, s28
	s_or_b32 exec_lo, exec_lo, s27
	v_mov_b32_e32 v5, 0
	s_and_saveexec_b32 s27, s26
	s_cbranch_execnz .LBB182_707
	s_branch .LBB182_708
.LBB182_813:
	s_mov_b32 s27, -1
	s_mov_b32 s24, s0
	s_branch .LBB182_817
.LBB182_814:
	s_and_not1_saveexec_b32 s27, s27
	s_cbranch_execz .LBB182_719
.LBB182_815:
	v_add_f32_e64 v4, 0x42800000, |v2|
	s_and_not1_b32 s26, s26, exec_lo
	s_delay_alu instid0(VALU_DEP_1) | instskip(NEXT) | instid1(VALU_DEP_1)
	v_and_b32_e32 v4, 0xff, v4
	v_cmp_ne_u32_e32 vcc_lo, 0, v4
	s_and_b32 s28, vcc_lo, exec_lo
	s_delay_alu instid0(SALU_CYCLE_1)
	s_or_b32 s26, s26, s28
	s_or_b32 exec_lo, exec_lo, s27
	v_mov_b32_e32 v5, 0
	s_and_saveexec_b32 s27, s26
	s_cbranch_execnz .LBB182_720
	s_branch .LBB182_721
.LBB182_816:
	s_mov_b32 s24, -1
.LBB182_817:
                                        ; implicit-def: $vgpr2
.LBB182_818:
	s_and_b32 vcc_lo, exec_lo, s27
	s_cbranch_vccz .LBB182_822
; %bb.819:
	s_cmp_eq_u32 s23, 44
	s_cbranch_scc0 .LBB182_821
; %bb.820:
	s_wait_loadcnt 0x0
	global_load_u8 v2, v[0:1], off
	s_mov_b32 s24, 0
	s_mov_b32 s26, -1
	s_wait_loadcnt 0x0
	v_lshlrev_b32_e32 v3, 23, v2
	v_cmp_ne_u32_e32 vcc_lo, 0, v2
	s_delay_alu instid0(VALU_DEP_2) | instskip(NEXT) | instid1(VALU_DEP_1)
	v_cvt_i32_f32_e32 v3, v3
	v_cndmask_b32_e32 v2, 0, v3, vcc_lo
	s_branch .LBB182_822
.LBB182_821:
	s_mov_b32 s24, -1
                                        ; implicit-def: $vgpr2
.LBB182_822:
	s_mov_b32 s27, 0
.LBB182_823:
	s_delay_alu instid0(SALU_CYCLE_1)
	s_and_b32 vcc_lo, exec_lo, s27
	s_cbranch_vccz .LBB182_827
; %bb.824:
	s_cmp_eq_u32 s23, 29
	s_cbranch_scc0 .LBB182_826
; %bb.825:
	s_wait_loadcnt 0x0
	global_load_b64 v[2:3], v[0:1], off
	s_mov_b32 s24, 0
	s_mov_b32 s26, -1
	s_branch .LBB182_827
.LBB182_826:
	s_mov_b32 s24, -1
                                        ; implicit-def: $vgpr2
.LBB182_827:
	s_mov_b32 s27, 0
.LBB182_828:
	s_delay_alu instid0(SALU_CYCLE_1)
	s_and_b32 vcc_lo, exec_lo, s27
	s_cbranch_vccz .LBB182_844
; %bb.829:
	s_cmp_lt_i32 s23, 27
	s_cbranch_scc1 .LBB182_832
; %bb.830:
	s_cmp_gt_i32 s23, 27
	s_cbranch_scc0 .LBB182_833
; %bb.831:
	s_wait_loadcnt 0x0
	global_load_b32 v2, v[0:1], off
	s_mov_b32 s26, 0
	s_branch .LBB182_834
.LBB182_832:
	s_mov_b32 s26, -1
                                        ; implicit-def: $vgpr2
	s_branch .LBB182_837
.LBB182_833:
	s_mov_b32 s26, -1
                                        ; implicit-def: $vgpr2
.LBB182_834:
	s_delay_alu instid0(SALU_CYCLE_1)
	s_and_not1_b32 vcc_lo, exec_lo, s26
	s_cbranch_vccnz .LBB182_836
; %bb.835:
	s_wait_loadcnt 0x0
	global_load_u16 v2, v[0:1], off
.LBB182_836:
	s_mov_b32 s26, 0
.LBB182_837:
	s_delay_alu instid0(SALU_CYCLE_1)
	s_and_not1_b32 vcc_lo, exec_lo, s26
	s_cbranch_vccnz .LBB182_843
; %bb.838:
	s_wait_loadcnt 0x0
	global_load_u8 v3, v[0:1], off
	s_mov_b32 s27, 0
	s_mov_b32 s26, exec_lo
	s_wait_loadcnt 0x0
	v_cmpx_lt_i16_e32 0x7f, v3
	s_xor_b32 s26, exec_lo, s26
	s_cbranch_execz .LBB182_855
; %bb.839:
	v_cmp_ne_u16_e32 vcc_lo, 0x80, v3
	s_and_b32 s27, vcc_lo, exec_lo
	s_and_not1_saveexec_b32 s26, s26
	s_cbranch_execnz .LBB182_856
.LBB182_840:
	s_or_b32 exec_lo, exec_lo, s26
	v_mov_b32_e32 v2, 0
	s_and_saveexec_b32 s26, s27
	s_cbranch_execz .LBB182_842
.LBB182_841:
	v_and_b32_e32 v2, 0xffff, v3
	s_delay_alu instid0(VALU_DEP_1) | instskip(SKIP_1) | instid1(VALU_DEP_2)
	v_and_b32_e32 v4, 7, v2
	v_bfe_u32 v8, v2, 3, 4
	v_clz_i32_u32_e32 v5, v4
	s_delay_alu instid0(VALU_DEP_2) | instskip(NEXT) | instid1(VALU_DEP_2)
	v_cmp_eq_u32_e32 vcc_lo, 0, v8
	v_min_u32_e32 v5, 32, v5
	s_delay_alu instid0(VALU_DEP_1) | instskip(NEXT) | instid1(VALU_DEP_1)
	v_subrev_nc_u32_e32 v7, 28, v5
	v_dual_lshlrev_b32 v2, v7, v2 :: v_dual_sub_nc_u32 v5, 29, v5
	s_delay_alu instid0(VALU_DEP_1) | instskip(NEXT) | instid1(VALU_DEP_2)
	v_dual_lshlrev_b32 v3, 24, v3 :: v_dual_bitop2_b32 v2, 7, v2 bitop3:0x40
	v_cndmask_b32_e32 v5, v8, v5, vcc_lo
	s_delay_alu instid0(VALU_DEP_2) | instskip(NEXT) | instid1(VALU_DEP_3)
	v_cndmask_b32_e32 v2, v4, v2, vcc_lo
	v_and_b32_e32 v3, 0x80000000, v3
	s_delay_alu instid0(VALU_DEP_3) | instskip(NEXT) | instid1(VALU_DEP_3)
	v_lshl_add_u32 v4, v5, 23, 0x3b800000
	v_lshlrev_b32_e32 v2, 20, v2
	s_delay_alu instid0(VALU_DEP_1) | instskip(NEXT) | instid1(VALU_DEP_1)
	v_or3_b32 v2, v3, v4, v2
	v_cvt_i32_f32_e32 v2, v2
.LBB182_842:
	s_or_b32 exec_lo, exec_lo, s26
.LBB182_843:
	s_mov_b32 s26, -1
.LBB182_844:
	s_mov_b32 s27, 0
.LBB182_845:
	s_delay_alu instid0(SALU_CYCLE_1)
	s_and_b32 vcc_lo, exec_lo, s27
	s_cbranch_vccz .LBB182_876
; %bb.846:
	s_cmp_gt_i32 s23, 22
	s_cbranch_scc0 .LBB182_854
; %bb.847:
	s_cmp_lt_i32 s23, 24
	s_cbranch_scc1 .LBB182_857
; %bb.848:
	s_cmp_gt_i32 s23, 24
	s_cbranch_scc0 .LBB182_858
; %bb.849:
	s_wait_loadcnt 0x0
	global_load_u8 v3, v[0:1], off
	s_mov_b32 s26, 0
	s_mov_b32 s25, exec_lo
	s_wait_loadcnt 0x0
	v_cmpx_lt_i16_e32 0x7f, v3
	s_xor_b32 s25, exec_lo, s25
	s_cbranch_execz .LBB182_870
; %bb.850:
	v_cmp_ne_u16_e32 vcc_lo, 0x80, v3
	s_and_b32 s26, vcc_lo, exec_lo
	s_and_not1_saveexec_b32 s25, s25
	s_cbranch_execnz .LBB182_871
.LBB182_851:
	s_or_b32 exec_lo, exec_lo, s25
	v_mov_b32_e32 v2, 0
	s_and_saveexec_b32 s25, s26
	s_cbranch_execz .LBB182_853
.LBB182_852:
	v_and_b32_e32 v2, 0xffff, v3
	s_delay_alu instid0(VALU_DEP_1) | instskip(SKIP_1) | instid1(VALU_DEP_2)
	v_and_b32_e32 v4, 3, v2
	v_bfe_u32 v8, v2, 2, 5
	v_clz_i32_u32_e32 v5, v4
	s_delay_alu instid0(VALU_DEP_2) | instskip(NEXT) | instid1(VALU_DEP_2)
	v_cmp_eq_u32_e32 vcc_lo, 0, v8
	v_min_u32_e32 v5, 32, v5
	s_delay_alu instid0(VALU_DEP_1) | instskip(NEXT) | instid1(VALU_DEP_1)
	v_subrev_nc_u32_e32 v7, 29, v5
	v_dual_lshlrev_b32 v2, v7, v2 :: v_dual_sub_nc_u32 v5, 30, v5
	s_delay_alu instid0(VALU_DEP_1) | instskip(NEXT) | instid1(VALU_DEP_2)
	v_dual_lshlrev_b32 v3, 24, v3 :: v_dual_bitop2_b32 v2, 3, v2 bitop3:0x40
	v_cndmask_b32_e32 v5, v8, v5, vcc_lo
	s_delay_alu instid0(VALU_DEP_2) | instskip(NEXT) | instid1(VALU_DEP_3)
	v_cndmask_b32_e32 v2, v4, v2, vcc_lo
	v_and_b32_e32 v3, 0x80000000, v3
	s_delay_alu instid0(VALU_DEP_3) | instskip(NEXT) | instid1(VALU_DEP_3)
	v_lshl_add_u32 v4, v5, 23, 0x37800000
	v_lshlrev_b32_e32 v2, 21, v2
	s_delay_alu instid0(VALU_DEP_1) | instskip(NEXT) | instid1(VALU_DEP_1)
	v_or3_b32 v2, v3, v4, v2
	v_cvt_i32_f32_e32 v2, v2
.LBB182_853:
	s_or_b32 exec_lo, exec_lo, s25
	s_mov_b32 s25, 0
	s_branch .LBB182_859
.LBB182_854:
	s_mov_b32 s25, -1
                                        ; implicit-def: $vgpr2
	s_branch .LBB182_865
.LBB182_855:
	s_and_not1_saveexec_b32 s26, s26
	s_cbranch_execz .LBB182_840
.LBB182_856:
	v_cmp_ne_u16_e32 vcc_lo, 0, v3
	s_and_not1_b32 s27, s27, exec_lo
	s_and_b32 s28, vcc_lo, exec_lo
	s_delay_alu instid0(SALU_CYCLE_1)
	s_or_b32 s27, s27, s28
	s_or_b32 exec_lo, exec_lo, s26
	v_mov_b32_e32 v2, 0
	s_and_saveexec_b32 s26, s27
	s_cbranch_execnz .LBB182_841
	s_branch .LBB182_842
.LBB182_857:
	s_mov_b32 s25, -1
                                        ; implicit-def: $vgpr2
	s_branch .LBB182_862
.LBB182_858:
	s_mov_b32 s25, -1
                                        ; implicit-def: $vgpr2
.LBB182_859:
	s_delay_alu instid0(SALU_CYCLE_1)
	s_and_b32 vcc_lo, exec_lo, s25
	s_cbranch_vccz .LBB182_861
; %bb.860:
	s_wait_loadcnt 0x0
	global_load_u8 v2, v[0:1], off
	s_wait_loadcnt 0x0
	v_lshlrev_b32_e32 v2, 24, v2
	s_delay_alu instid0(VALU_DEP_1) | instskip(NEXT) | instid1(VALU_DEP_1)
	v_and_b32_e32 v3, 0x7f000000, v2
	v_clz_i32_u32_e32 v4, v3
	v_add_nc_u32_e32 v7, 0x1000000, v3
	v_cmp_ne_u32_e32 vcc_lo, 0, v3
	s_delay_alu instid0(VALU_DEP_3) | instskip(NEXT) | instid1(VALU_DEP_1)
	v_min_u32_e32 v4, 32, v4
	v_sub_nc_u32_e64 v4, v4, 4 clamp
	s_delay_alu instid0(VALU_DEP_1) | instskip(NEXT) | instid1(VALU_DEP_1)
	v_dual_lshlrev_b32 v5, v4, v3 :: v_dual_lshlrev_b32 v4, 23, v4
	v_lshrrev_b32_e32 v5, 4, v5
	s_delay_alu instid0(VALU_DEP_1) | instskip(NEXT) | instid1(VALU_DEP_1)
	v_dual_sub_nc_u32 v4, v5, v4 :: v_dual_ashrrev_i32 v5, 8, v7
	v_add_nc_u32_e32 v4, 0x3c000000, v4
	s_delay_alu instid0(VALU_DEP_1) | instskip(NEXT) | instid1(VALU_DEP_1)
	v_and_or_b32 v4, 0x7f800000, v5, v4
	v_cndmask_b32_e32 v3, 0, v4, vcc_lo
	s_delay_alu instid0(VALU_DEP_1) | instskip(NEXT) | instid1(VALU_DEP_1)
	v_and_or_b32 v2, 0x80000000, v2, v3
	v_cvt_i32_f32_e32 v2, v2
.LBB182_861:
	s_mov_b32 s25, 0
.LBB182_862:
	s_delay_alu instid0(SALU_CYCLE_1)
	s_and_not1_b32 vcc_lo, exec_lo, s25
	s_cbranch_vccnz .LBB182_864
; %bb.863:
	s_wait_loadcnt 0x0
	global_load_u8 v2, v[0:1], off
	s_wait_loadcnt 0x0
	v_lshlrev_b32_e32 v3, 25, v2
	v_lshlrev_b16 v2, 8, v2
	s_delay_alu instid0(VALU_DEP_1) | instskip(SKIP_1) | instid1(VALU_DEP_2)
	v_and_or_b32 v5, 0x7f00, v2, 0.5
	v_bfe_i32 v2, v2, 0, 16
	v_dual_add_f32 v5, -0.5, v5 :: v_dual_lshrrev_b32 v4, 4, v3
	v_cmp_gt_u32_e32 vcc_lo, 0x8000000, v3
	s_delay_alu instid0(VALU_DEP_2) | instskip(NEXT) | instid1(VALU_DEP_1)
	v_or_b32_e32 v4, 0x70000000, v4
	v_mul_f32_e32 v4, 0x7800000, v4
	s_delay_alu instid0(VALU_DEP_1) | instskip(NEXT) | instid1(VALU_DEP_1)
	v_cndmask_b32_e32 v3, v4, v5, vcc_lo
	v_and_or_b32 v2, 0x80000000, v2, v3
	s_delay_alu instid0(VALU_DEP_1)
	v_cvt_i32_f32_e32 v2, v2
.LBB182_864:
	s_mov_b32 s25, 0
	s_mov_b32 s26, -1
.LBB182_865:
	s_and_not1_b32 vcc_lo, exec_lo, s25
	s_mov_b32 s25, 0
	s_cbranch_vccnz .LBB182_876
; %bb.866:
	s_cmp_gt_i32 s23, 14
	s_cbranch_scc0 .LBB182_869
; %bb.867:
	s_cmp_eq_u32 s23, 15
	s_cbranch_scc0 .LBB182_872
; %bb.868:
	s_wait_loadcnt 0x0
	global_load_u16 v2, v[0:1], off
	s_mov_b32 s24, 0
	s_mov_b32 s26, -1
	s_wait_loadcnt 0x0
	v_lshlrev_b32_e32 v2, 16, v2
	s_delay_alu instid0(VALU_DEP_1)
	v_cvt_i32_f32_e32 v2, v2
	s_branch .LBB182_874
.LBB182_869:
	s_mov_b32 s25, -1
	s_branch .LBB182_873
.LBB182_870:
	s_and_not1_saveexec_b32 s25, s25
	s_cbranch_execz .LBB182_851
.LBB182_871:
	v_cmp_ne_u16_e32 vcc_lo, 0, v3
	s_and_not1_b32 s26, s26, exec_lo
	s_and_b32 s27, vcc_lo, exec_lo
	s_delay_alu instid0(SALU_CYCLE_1)
	s_or_b32 s26, s26, s27
	s_or_b32 exec_lo, exec_lo, s25
	v_mov_b32_e32 v2, 0
	s_and_saveexec_b32 s25, s26
	s_cbranch_execnz .LBB182_852
	s_branch .LBB182_853
.LBB182_872:
	s_mov_b32 s24, -1
.LBB182_873:
                                        ; implicit-def: $vgpr2
.LBB182_874:
	s_and_b32 vcc_lo, exec_lo, s25
	s_mov_b32 s25, 0
	s_cbranch_vccz .LBB182_876
; %bb.875:
	s_cmp_lg_u32 s23, 11
	s_mov_b32 s25, -1
	s_cselect_b32 s23, -1, 0
	s_and_not1_b32 s24, s24, exec_lo
	s_and_b32 s23, s23, exec_lo
	s_delay_alu instid0(SALU_CYCLE_1)
	s_or_b32 s24, s24, s23
.LBB182_876:
	s_mov_b32 s23, 0
.LBB182_877:
	s_and_not1_b32 s28, s0, exec_lo
	s_and_b32 s24, s24, exec_lo
	s_and_b32 s26, s26, exec_lo
	s_and_b32 s27, s23, exec_lo
	s_and_b32 s23, s25, exec_lo
	s_or_b32 s24, s28, s24
.LBB182_878:
	s_wait_xcnt 0x0
	s_or_b32 exec_lo, exec_lo, s15
	s_delay_alu instid0(SALU_CYCLE_1)
	s_and_not1_b32 s0, s0, exec_lo
	s_and_b32 s15, s24, exec_lo
	s_and_b32 s26, s26, exec_lo
	;; [unrolled: 1-line block ×4, first 2 shown]
	s_or_b32 s0, s0, s15
.LBB182_879:
	s_or_b32 exec_lo, exec_lo, s21
	s_delay_alu instid0(SALU_CYCLE_1)
	s_and_not1_b32 s15, s19, exec_lo
	s_and_b32 s19, s22, exec_lo
	s_and_b32 s0, s0, exec_lo
	s_or_b32 s19, s15, s19
	s_and_not1_b32 s15, s18, exec_lo
	s_and_b32 s23, s26, exec_lo
	s_and_b32 s22, s25, exec_lo
	;; [unrolled: 1-line block ×3, first 2 shown]
	s_or_b32 s18, s15, s0
.LBB182_880:
	s_or_b32 exec_lo, exec_lo, s20
	s_delay_alu instid0(SALU_CYCLE_1)
	s_and_not1_b32 s0, s14, exec_lo
	s_and_b32 s14, s19, exec_lo
	s_and_not1_b32 s15, s16, exec_lo
	s_and_b32 s16, s18, exec_lo
	s_or_b32 s14, s0, s14
	s_and_b32 s0, s23, exec_lo
	s_and_b32 s19, s22, exec_lo
	;; [unrolled: 1-line block ×3, first 2 shown]
	s_or_b32 s16, s15, s16
	s_or_b32 exec_lo, exec_lo, s17
	s_mov_b32 s15, 0
	s_and_saveexec_b32 s17, s16
	s_cbranch_execz .LBB182_269
.LBB182_881:
	s_mov_b32 s15, exec_lo
	s_and_not1_b32 s18, s18, exec_lo
	s_trap 2
	s_or_b32 exec_lo, exec_lo, s17
	s_and_saveexec_b32 s16, s18
	s_delay_alu instid0(SALU_CYCLE_1)
	s_xor_b32 s16, exec_lo, s16
	s_cbranch_execnz .LBB182_270
.LBB182_882:
	s_or_b32 exec_lo, exec_lo, s16
	s_and_saveexec_b32 s16, s19
	s_cbranch_execz .LBB182_928
.LBB182_883:
	s_sext_i32_i16 s17, s12
	s_delay_alu instid0(SALU_CYCLE_1)
	s_cmp_lt_i32 s17, 5
	s_cbranch_scc1 .LBB182_888
; %bb.884:
	s_cmp_lt_i32 s17, 8
	s_cbranch_scc1 .LBB182_889
; %bb.885:
	;; [unrolled: 3-line block ×3, first 2 shown]
	s_cmp_gt_i32 s17, 9
	s_cbranch_scc0 .LBB182_891
; %bb.887:
	s_wait_loadcnt 0x0
	global_load_b64 v[2:3], v[0:1], off
	s_mov_b32 s17, 0
	s_wait_loadcnt 0x0
	v_cvt_i32_f64_e32 v2, v[2:3]
	s_branch .LBB182_892
.LBB182_888:
                                        ; implicit-def: $vgpr2
	s_branch .LBB182_909
.LBB182_889:
                                        ; implicit-def: $vgpr2
	s_branch .LBB182_898
.LBB182_890:
	s_mov_b32 s17, -1
                                        ; implicit-def: $vgpr2
	s_branch .LBB182_895
.LBB182_891:
	s_mov_b32 s17, -1
                                        ; implicit-def: $vgpr2
.LBB182_892:
	s_delay_alu instid0(SALU_CYCLE_1)
	s_and_not1_b32 vcc_lo, exec_lo, s17
	s_cbranch_vccnz .LBB182_894
; %bb.893:
	s_wait_loadcnt 0x0
	global_load_b32 v2, v[0:1], off
	s_wait_loadcnt 0x0
	v_cvt_i32_f32_e32 v2, v2
.LBB182_894:
	s_mov_b32 s17, 0
.LBB182_895:
	s_delay_alu instid0(SALU_CYCLE_1)
	s_and_not1_b32 vcc_lo, exec_lo, s17
	s_cbranch_vccnz .LBB182_897
; %bb.896:
	s_wait_loadcnt 0x0
	global_load_b32 v2, v[0:1], off
	s_wait_loadcnt 0x0
	v_cvt_i16_f16_e32 v2, v2
.LBB182_897:
	s_cbranch_execnz .LBB182_908
.LBB182_898:
	s_sext_i32_i16 s17, s12
	s_delay_alu instid0(SALU_CYCLE_1)
	s_cmp_lt_i32 s17, 6
	s_cbranch_scc1 .LBB182_901
; %bb.899:
	s_cmp_gt_i32 s17, 6
	s_cbranch_scc0 .LBB182_902
; %bb.900:
	s_wait_loadcnt 0x0
	global_load_b64 v[2:3], v[0:1], off
	s_mov_b32 s17, 0
	s_wait_loadcnt 0x0
	v_cvt_i32_f64_e32 v2, v[2:3]
	s_branch .LBB182_903
.LBB182_901:
	s_mov_b32 s17, -1
                                        ; implicit-def: $vgpr2
	s_branch .LBB182_906
.LBB182_902:
	s_mov_b32 s17, -1
                                        ; implicit-def: $vgpr2
.LBB182_903:
	s_delay_alu instid0(SALU_CYCLE_1)
	s_and_not1_b32 vcc_lo, exec_lo, s17
	s_cbranch_vccnz .LBB182_905
; %bb.904:
	s_wait_loadcnt 0x0
	global_load_b32 v2, v[0:1], off
	s_wait_loadcnt 0x0
	v_cvt_i32_f32_e32 v2, v2
.LBB182_905:
	s_mov_b32 s17, 0
.LBB182_906:
	s_delay_alu instid0(SALU_CYCLE_1)
	s_and_not1_b32 vcc_lo, exec_lo, s17
	s_cbranch_vccnz .LBB182_908
; %bb.907:
	s_wait_loadcnt 0x0
	global_load_u16 v2, v[0:1], off
	s_wait_loadcnt 0x0
	v_cvt_i16_f16_e32 v2, v2
.LBB182_908:
	s_cbranch_execnz .LBB182_927
.LBB182_909:
	s_sext_i32_i16 s17, s12
	s_delay_alu instid0(SALU_CYCLE_1)
	s_cmp_lt_i32 s17, 2
	s_cbranch_scc1 .LBB182_913
; %bb.910:
	s_cmp_lt_i32 s17, 3
	s_cbranch_scc1 .LBB182_914
; %bb.911:
	s_cmp_gt_i32 s17, 3
	s_cbranch_scc0 .LBB182_915
; %bb.912:
	s_wait_loadcnt 0x0
	global_load_b64 v[2:3], v[0:1], off
	s_mov_b32 s17, 0
	s_branch .LBB182_916
.LBB182_913:
                                        ; implicit-def: $vgpr2
	s_branch .LBB182_922
.LBB182_914:
	s_mov_b32 s17, -1
                                        ; implicit-def: $vgpr2
	s_branch .LBB182_919
.LBB182_915:
	s_mov_b32 s17, -1
                                        ; implicit-def: $vgpr2
.LBB182_916:
	s_delay_alu instid0(SALU_CYCLE_1)
	s_and_not1_b32 vcc_lo, exec_lo, s17
	s_cbranch_vccnz .LBB182_918
; %bb.917:
	s_wait_loadcnt 0x0
	global_load_b32 v2, v[0:1], off
.LBB182_918:
	s_mov_b32 s17, 0
.LBB182_919:
	s_delay_alu instid0(SALU_CYCLE_1)
	s_and_not1_b32 vcc_lo, exec_lo, s17
	s_cbranch_vccnz .LBB182_921
; %bb.920:
	s_wait_loadcnt 0x0
	global_load_u16 v2, v[0:1], off
.LBB182_921:
	s_cbranch_execnz .LBB182_927
.LBB182_922:
	s_sext_i32_i16 s17, s12
	s_delay_alu instid0(SALU_CYCLE_1)
	s_cmp_gt_i32 s17, 0
	s_mov_b32 s17, 0
	s_cbranch_scc0 .LBB182_924
; %bb.923:
	s_wait_loadcnt 0x0
	global_load_u8 v2, v[0:1], off
	s_branch .LBB182_925
.LBB182_924:
	s_mov_b32 s17, -1
                                        ; implicit-def: $vgpr2
.LBB182_925:
	s_delay_alu instid0(SALU_CYCLE_1)
	s_and_not1_b32 vcc_lo, exec_lo, s17
	s_cbranch_vccnz .LBB182_927
; %bb.926:
	s_wait_loadcnt 0x0
	global_load_u8 v2, v[0:1], off
.LBB182_927:
	s_or_b32 s0, s0, exec_lo
.LBB182_928:
	s_wait_xcnt 0x0
	s_or_b32 exec_lo, exec_lo, s16
	s_mov_b32 s19, 0
	s_mov_b32 s18, 0
                                        ; implicit-def: $sgpr16
                                        ; implicit-def: $vgpr0_vgpr1
                                        ; implicit-def: $vgpr3
	s_and_saveexec_b32 s17, s0
	s_cbranch_execz .LBB182_932
; %bb.929:
	s_cmp_lt_i32 s10, 1
	s_mov_b32 s0, 0
	s_cbranch_scc1 .LBB182_935
; %bb.930:
	s_cmp_eq_u32 s10, 1
	s_cbranch_scc0 .LBB182_949
; %bb.931:
	s_wait_loadcnt 0x0
	s_delay_alu instid0(VALU_DEP_1)
	v_bfe_i32 v0, v2, 0, 8
	s_bfe_i32 s16, s11, 0x80000
	s_delay_alu instid0(VALU_DEP_1) | instid1(SALU_CYCLE_1)
	v_min_i16 v3, v0, s16
	s_mov_b32 s16, 0
	s_and_b32 vcc_lo, exec_lo, s18
	s_cbranch_vccnz .LBB182_936
	s_branch .LBB182_937
.LBB182_932:
	s_or_b32 exec_lo, exec_lo, s17
	s_and_saveexec_b32 s0, s14
	s_cbranch_execnz .LBB182_1019
.LBB182_933:
	s_or_b32 exec_lo, exec_lo, s0
	s_and_saveexec_b32 s0, s19
	s_delay_alu instid0(SALU_CYCLE_1)
	s_xor_b32 s0, exec_lo, s0
	s_cbranch_execz .LBB182_1020
.LBB182_934:
	s_wait_loadcnt 0x0
	v_and_b32_e32 v2, 0xff, v3
	s_delay_alu instid0(VALU_DEP_1)
	v_cmp_ne_u16_e32 vcc_lo, 0, v2
	v_cndmask_b32_e64 v2, 0, 1, vcc_lo
	global_store_b8 v[0:1], v2, off
	s_wait_xcnt 0x0
	s_or_b32 exec_lo, exec_lo, s0
	s_and_saveexec_b32 s0, s18
	s_delay_alu instid0(SALU_CYCLE_1)
	s_xor_b32 s0, exec_lo, s0
	s_cbranch_execz .LBB182_1058
	s_branch .LBB182_1021
.LBB182_935:
	s_mov_b32 s16, 0
                                        ; implicit-def: $vgpr3
	s_cbranch_execz .LBB182_937
.LBB182_936:
	s_cmp_lg_u32 s10, 0
	s_mov_b32 s0, -1
	s_cselect_b32 s16, -1, 0
.LBB182_937:
	s_wait_loadcnt 0x0
	s_delay_alu instid0(VALU_DEP_1)
	v_bfe_i32 v0, v2, 0, 8
	s_and_not1_b32 vcc_lo, exec_lo, s16
	s_cbranch_vccnz .LBB182_939
; %bb.938:
	s_bfe_i32 s0, s11, 0x80000
	s_delay_alu instid0(VALU_DEP_1) | instid1(SALU_CYCLE_1)
	v_max_i16 v1, v0, s0
	s_bfe_i32 s0, s1, 0x80000
	s_delay_alu instid0(VALU_DEP_1) | instid1(SALU_CYCLE_1)
	v_min_i16 v3, v1, s0
	s_cbranch_execz .LBB182_940
	s_branch .LBB182_941
.LBB182_939:
	s_and_not1_b32 vcc_lo, exec_lo, s0
	s_cbranch_vccnz .LBB182_941
.LBB182_940:
	s_bfe_i32 s0, s11, 0x80000
	s_delay_alu instid0(SALU_CYCLE_1)
	v_max_i16 v3, v0, s0
.LBB182_941:
	v_mul_lo_u32 v0, v6, s8
	s_and_b32 s16, s2, 0xff
	s_delay_alu instid0(SALU_CYCLE_1) | instskip(NEXT) | instid1(VALU_DEP_1)
	s_cmp_lt_i32 s16, 11
	v_ashrrev_i32_e32 v1, 31, v0
	s_delay_alu instid0(VALU_DEP_1)
	v_add_nc_u64_e32 v[0:1], s[4:5], v[0:1]
	s_cbranch_scc1 .LBB182_948
; %bb.942:
	s_and_b32 s18, 0xffff, s16
	s_mov_b32 s19, -1
	s_cmp_gt_i32 s18, 25
	s_mov_b32 s0, s14
	s_cbranch_scc0 .LBB182_977
; %bb.943:
	s_cmp_gt_i32 s18, 28
	s_mov_b32 s0, s14
	s_cbranch_scc0 .LBB182_961
; %bb.944:
	;; [unrolled: 4-line block ×4, first 2 shown]
	s_cmp_eq_u32 s18, 46
	s_mov_b32 s0, -1
	s_cbranch_scc0 .LBB182_950
; %bb.947:
	v_bfe_i32 v2, v3, 0, 8
	s_mov_b32 s0, 0
	s_mov_b32 s19, 0
	s_delay_alu instid0(VALU_DEP_1) | instskip(NEXT) | instid1(VALU_DEP_1)
	v_bfe_i32 v2, v2, 0, 16
	v_cvt_f32_i32_e32 v2, v2
	s_delay_alu instid0(VALU_DEP_1) | instskip(NEXT) | instid1(VALU_DEP_1)
	v_bfe_u32 v4, v2, 16, 1
	v_add3_u32 v2, v2, v4, 0x7fff
	s_delay_alu instid0(VALU_DEP_1)
	v_lshrrev_b32_e32 v2, 16, v2
	global_store_b32 v[0:1], v2, off
	s_branch .LBB182_951
.LBB182_948:
	s_mov_b32 s20, 0
	s_mov_b32 s19, -1
	s_mov_b32 s0, s14
	s_branch .LBB182_1018
.LBB182_949:
	s_mov_b32 s16, -1
                                        ; implicit-def: $vgpr3
	s_and_b32 vcc_lo, exec_lo, s18
	s_cbranch_vccnz .LBB182_936
	s_branch .LBB182_937
.LBB182_950:
	s_mov_b32 s19, 0
.LBB182_951:
	s_delay_alu instid0(SALU_CYCLE_1)
	s_and_b32 vcc_lo, exec_lo, s19
	s_cbranch_vccz .LBB182_956
; %bb.952:
	s_cmp_eq_u32 s18, 44
	s_mov_b32 s0, -1
	s_cbranch_scc0 .LBB182_956
; %bb.953:
	s_wait_xcnt 0x0
	v_bfe_i32 v2, v3, 0, 8
	v_mov_b32_e32 v4, 0xff
	s_mov_b32 s19, exec_lo
	s_delay_alu instid0(VALU_DEP_2) | instskip(NEXT) | instid1(VALU_DEP_1)
	v_bfe_i32 v2, v2, 0, 16
	v_cvt_f32_i32_e32 v2, v2
	s_delay_alu instid0(VALU_DEP_1) | instskip(NEXT) | instid1(VALU_DEP_1)
	v_bfe_u32 v5, v2, 23, 8
	v_cmpx_ne_u32_e32 0xff, v5
	s_cbranch_execz .LBB182_955
; %bb.954:
	v_and_b32_e32 v4, 0x400000, v2
	v_and_or_b32 v5, 0x3fffff, v2, v5
	v_lshrrev_b32_e32 v2, 23, v2
	s_delay_alu instid0(VALU_DEP_3) | instskip(NEXT) | instid1(VALU_DEP_3)
	v_cmp_ne_u32_e32 vcc_lo, 0, v4
	v_cmp_ne_u32_e64 s0, 0, v5
	s_and_b32 s0, vcc_lo, s0
	s_delay_alu instid0(SALU_CYCLE_1) | instskip(NEXT) | instid1(VALU_DEP_1)
	v_cndmask_b32_e64 v4, 0, 1, s0
	v_add_nc_u32_e32 v4, v2, v4
.LBB182_955:
	s_or_b32 exec_lo, exec_lo, s19
	s_mov_b32 s0, 0
	global_store_b8 v[0:1], v4, off
.LBB182_956:
	s_mov_b32 s19, 0
.LBB182_957:
	s_delay_alu instid0(SALU_CYCLE_1)
	s_and_b32 vcc_lo, exec_lo, s19
	s_cbranch_vccz .LBB182_960
; %bb.958:
	s_cmp_eq_u32 s18, 29
	s_mov_b32 s0, -1
	s_cbranch_scc0 .LBB182_960
; %bb.959:
	s_wait_xcnt 0x0
	v_bfe_i32 v4, v3, 0, 8
	s_mov_b32 s0, 0
	s_mov_b32 s19, 0
	s_delay_alu instid0(VALU_DEP_1)
	v_ashrrev_i32_e32 v5, 31, v4
	global_store_b64 v[0:1], v[4:5], off
	s_branch .LBB182_961
.LBB182_960:
	s_mov_b32 s19, 0
.LBB182_961:
	s_delay_alu instid0(SALU_CYCLE_1)
	s_and_b32 vcc_lo, exec_lo, s19
	s_cbranch_vccz .LBB182_976
; %bb.962:
	s_cmp_lt_i32 s18, 27
	s_mov_b32 s19, -1
	s_cbranch_scc1 .LBB182_968
; %bb.963:
	s_cmp_gt_i32 s18, 27
	s_cbranch_scc0 .LBB182_965
; %bb.964:
	s_wait_xcnt 0x0
	v_bfe_i32 v2, v3, 0, 8
	s_mov_b32 s19, 0
	global_store_b32 v[0:1], v2, off
.LBB182_965:
	s_and_not1_b32 vcc_lo, exec_lo, s19
	s_cbranch_vccnz .LBB182_967
; %bb.966:
	s_wait_xcnt 0x0
	v_bfe_i32 v2, v3, 0, 8
	global_store_b16 v[0:1], v2, off
.LBB182_967:
	s_mov_b32 s19, 0
.LBB182_968:
	s_delay_alu instid0(SALU_CYCLE_1)
	s_and_not1_b32 vcc_lo, exec_lo, s19
	s_cbranch_vccnz .LBB182_976
; %bb.969:
	s_wait_xcnt 0x0
	v_bfe_i32 v2, v3, 0, 8
	v_mov_b32_e32 v5, 0x80
	s_mov_b32 s19, exec_lo
	s_delay_alu instid0(VALU_DEP_2) | instskip(NEXT) | instid1(VALU_DEP_1)
	v_bfe_i32 v2, v2, 0, 16
	v_cvt_f32_i32_e32 v2, v2
	s_delay_alu instid0(VALU_DEP_1) | instskip(NEXT) | instid1(VALU_DEP_1)
	v_and_b32_e32 v4, 0x7fffffff, v2
	v_cmpx_gt_u32_e32 0x43800000, v4
	s_cbranch_execz .LBB182_975
; %bb.970:
	v_cmp_lt_u32_e32 vcc_lo, 0x3bffffff, v4
	s_mov_b32 s20, 0
                                        ; implicit-def: $vgpr4
	s_and_saveexec_b32 s21, vcc_lo
	s_delay_alu instid0(SALU_CYCLE_1)
	s_xor_b32 s21, exec_lo, s21
	s_cbranch_execz .LBB182_1073
; %bb.971:
	v_bfe_u32 v4, v2, 20, 1
	s_mov_b32 s20, exec_lo
	s_delay_alu instid0(VALU_DEP_1) | instskip(NEXT) | instid1(VALU_DEP_1)
	v_add3_u32 v4, v2, v4, 0x487ffff
	v_lshrrev_b32_e32 v4, 20, v4
	s_and_not1_saveexec_b32 s21, s21
	s_cbranch_execnz .LBB182_1074
.LBB182_972:
	s_or_b32 exec_lo, exec_lo, s21
	v_mov_b32_e32 v5, 0
	s_and_saveexec_b32 s21, s20
.LBB182_973:
	v_lshrrev_b32_e32 v2, 24, v2
	s_delay_alu instid0(VALU_DEP_1)
	v_and_or_b32 v5, 0x80, v2, v4
.LBB182_974:
	s_or_b32 exec_lo, exec_lo, s21
.LBB182_975:
	s_delay_alu instid0(SALU_CYCLE_1)
	s_or_b32 exec_lo, exec_lo, s19
	global_store_b8 v[0:1], v5, off
.LBB182_976:
	s_mov_b32 s19, 0
.LBB182_977:
	s_delay_alu instid0(SALU_CYCLE_1)
	s_and_b32 vcc_lo, exec_lo, s19
	s_mov_b32 s19, 0
	s_cbranch_vccz .LBB182_1017
; %bb.978:
	s_cmp_gt_i32 s18, 22
	s_mov_b32 s20, -1
	s_cbranch_scc0 .LBB182_1010
; %bb.979:
	s_cmp_lt_i32 s18, 24
	s_cbranch_scc1 .LBB182_999
; %bb.980:
	s_cmp_gt_i32 s18, 24
	s_cbranch_scc0 .LBB182_988
; %bb.981:
	s_wait_xcnt 0x0
	v_bfe_i32 v2, v3, 0, 8
	v_mov_b32_e32 v5, 0x80
	s_mov_b32 s20, exec_lo
	s_delay_alu instid0(VALU_DEP_2) | instskip(NEXT) | instid1(VALU_DEP_1)
	v_bfe_i32 v2, v2, 0, 16
	v_cvt_f32_i32_e32 v2, v2
	s_delay_alu instid0(VALU_DEP_1) | instskip(NEXT) | instid1(VALU_DEP_1)
	v_and_b32_e32 v4, 0x7fffffff, v2
	v_cmpx_gt_u32_e32 0x47800000, v4
	s_cbranch_execz .LBB182_987
; %bb.982:
	v_cmp_lt_u32_e32 vcc_lo, 0x37ffffff, v4
	s_mov_b32 s21, 0
                                        ; implicit-def: $vgpr4
	s_and_saveexec_b32 s22, vcc_lo
	s_delay_alu instid0(SALU_CYCLE_1)
	s_xor_b32 s22, exec_lo, s22
	s_cbranch_execz .LBB182_1204
; %bb.983:
	v_bfe_u32 v4, v2, 21, 1
	s_mov_b32 s21, exec_lo
	s_delay_alu instid0(VALU_DEP_1) | instskip(NEXT) | instid1(VALU_DEP_1)
	v_add3_u32 v4, v2, v4, 0x88fffff
	v_lshrrev_b32_e32 v4, 21, v4
	s_and_not1_saveexec_b32 s22, s22
	s_cbranch_execnz .LBB182_1205
.LBB182_984:
	s_or_b32 exec_lo, exec_lo, s22
	v_mov_b32_e32 v5, 0
	s_and_saveexec_b32 s22, s21
.LBB182_985:
	v_lshrrev_b32_e32 v2, 24, v2
	s_delay_alu instid0(VALU_DEP_1)
	v_and_or_b32 v5, 0x80, v2, v4
.LBB182_986:
	s_or_b32 exec_lo, exec_lo, s22
.LBB182_987:
	s_delay_alu instid0(SALU_CYCLE_1)
	s_or_b32 exec_lo, exec_lo, s20
	s_mov_b32 s20, 0
	global_store_b8 v[0:1], v5, off
.LBB182_988:
	s_and_b32 vcc_lo, exec_lo, s20
	s_cbranch_vccz .LBB182_998
; %bb.989:
	s_wait_xcnt 0x0
	v_bfe_i32 v2, v3, 0, 8
	s_mov_b32 s20, exec_lo
                                        ; implicit-def: $vgpr4
	s_delay_alu instid0(VALU_DEP_1) | instskip(NEXT) | instid1(VALU_DEP_1)
	v_bfe_i32 v2, v2, 0, 16
	v_cvt_f32_i32_e32 v2, v2
	s_delay_alu instid0(VALU_DEP_1) | instskip(NEXT) | instid1(VALU_DEP_1)
	v_and_b32_e32 v5, 0x7fffffff, v2
	v_cmpx_gt_u32_e32 0x43f00000, v5
	s_xor_b32 s20, exec_lo, s20
	s_cbranch_execz .LBB182_995
; %bb.990:
	s_mov_b32 s21, exec_lo
                                        ; implicit-def: $vgpr4
	v_cmpx_lt_u32_e32 0x3c7fffff, v5
	s_xor_b32 s21, exec_lo, s21
; %bb.991:
	v_bfe_u32 v4, v2, 20, 1
	s_delay_alu instid0(VALU_DEP_1) | instskip(NEXT) | instid1(VALU_DEP_1)
	v_add3_u32 v4, v2, v4, 0x407ffff
	v_and_b32_e32 v5, 0xff00000, v4
	v_lshrrev_b32_e32 v4, 20, v4
	s_delay_alu instid0(VALU_DEP_2) | instskip(NEXT) | instid1(VALU_DEP_2)
	v_cmp_ne_u32_e32 vcc_lo, 0x7f00000, v5
	v_cndmask_b32_e32 v4, 0x7e, v4, vcc_lo
; %bb.992:
	s_and_not1_saveexec_b32 s21, s21
; %bb.993:
	v_add_f32_e64 v4, 0x46800000, |v2|
; %bb.994:
	s_or_b32 exec_lo, exec_lo, s21
                                        ; implicit-def: $vgpr5
.LBB182_995:
	s_and_not1_saveexec_b32 s20, s20
; %bb.996:
	v_mov_b32_e32 v4, 0x7f
	v_cmp_lt_u32_e32 vcc_lo, 0x7f800000, v5
	s_delay_alu instid0(VALU_DEP_2)
	v_cndmask_b32_e32 v4, 0x7e, v4, vcc_lo
; %bb.997:
	s_or_b32 exec_lo, exec_lo, s20
	v_lshrrev_b32_e32 v2, 24, v2
	s_delay_alu instid0(VALU_DEP_1)
	v_and_or_b32 v2, 0x80, v2, v4
	global_store_b8 v[0:1], v2, off
.LBB182_998:
	s_mov_b32 s20, 0
.LBB182_999:
	s_delay_alu instid0(SALU_CYCLE_1)
	s_and_not1_b32 vcc_lo, exec_lo, s20
	s_cbranch_vccnz .LBB182_1009
; %bb.1000:
	s_wait_xcnt 0x0
	v_bfe_i32 v2, v3, 0, 8
	s_mov_b32 s20, exec_lo
                                        ; implicit-def: $vgpr4
	s_delay_alu instid0(VALU_DEP_1) | instskip(NEXT) | instid1(VALU_DEP_1)
	v_bfe_i32 v2, v2, 0, 16
	v_cvt_f32_i32_e32 v2, v2
	s_delay_alu instid0(VALU_DEP_1) | instskip(NEXT) | instid1(VALU_DEP_1)
	v_and_b32_e32 v5, 0x7fffffff, v2
	v_cmpx_gt_u32_e32 0x47800000, v5
	s_xor_b32 s20, exec_lo, s20
	s_cbranch_execz .LBB182_1006
; %bb.1001:
	s_mov_b32 s21, exec_lo
                                        ; implicit-def: $vgpr4
	v_cmpx_lt_u32_e32 0x387fffff, v5
	s_xor_b32 s21, exec_lo, s21
; %bb.1002:
	v_bfe_u32 v4, v2, 21, 1
	s_delay_alu instid0(VALU_DEP_1) | instskip(NEXT) | instid1(VALU_DEP_1)
	v_add3_u32 v4, v2, v4, 0x80fffff
	v_lshrrev_b32_e32 v4, 21, v4
; %bb.1003:
	s_and_not1_saveexec_b32 s21, s21
; %bb.1004:
	v_add_f32_e64 v4, 0x43000000, |v2|
; %bb.1005:
	s_or_b32 exec_lo, exec_lo, s21
                                        ; implicit-def: $vgpr5
.LBB182_1006:
	s_and_not1_saveexec_b32 s20, s20
; %bb.1007:
	v_mov_b32_e32 v4, 0x7f
	v_cmp_lt_u32_e32 vcc_lo, 0x7f800000, v5
	s_delay_alu instid0(VALU_DEP_2)
	v_cndmask_b32_e32 v4, 0x7c, v4, vcc_lo
; %bb.1008:
	s_or_b32 exec_lo, exec_lo, s20
	v_lshrrev_b32_e32 v2, 24, v2
	s_delay_alu instid0(VALU_DEP_1)
	v_and_or_b32 v2, 0x80, v2, v4
	global_store_b8 v[0:1], v2, off
.LBB182_1009:
	s_mov_b32 s20, 0
.LBB182_1010:
	s_delay_alu instid0(SALU_CYCLE_1)
	s_and_not1_b32 vcc_lo, exec_lo, s20
	s_mov_b32 s20, 0
	s_cbranch_vccnz .LBB182_1018
; %bb.1011:
	s_cmp_gt_i32 s18, 14
	s_mov_b32 s20, -1
	s_cbranch_scc0 .LBB182_1015
; %bb.1012:
	s_cmp_eq_u32 s18, 15
	s_mov_b32 s0, -1
	s_cbranch_scc0 .LBB182_1014
; %bb.1013:
	s_wait_xcnt 0x0
	v_bfe_i32 v2, v3, 0, 8
	s_mov_b32 s0, 0
	s_delay_alu instid0(VALU_DEP_1) | instskip(NEXT) | instid1(VALU_DEP_1)
	v_bfe_i32 v2, v2, 0, 16
	v_cvt_f32_i32_e32 v2, v2
	s_delay_alu instid0(VALU_DEP_1) | instskip(NEXT) | instid1(VALU_DEP_1)
	v_bfe_u32 v4, v2, 16, 1
	v_add3_u32 v2, v2, v4, 0x7fff
	global_store_d16_hi_b16 v[0:1], v2, off
.LBB182_1014:
	s_mov_b32 s20, 0
.LBB182_1015:
	s_delay_alu instid0(SALU_CYCLE_1)
	s_and_b32 vcc_lo, exec_lo, s20
	s_mov_b32 s20, 0
	s_cbranch_vccz .LBB182_1018
; %bb.1016:
	s_cmp_lg_u32 s18, 11
	s_mov_b32 s20, -1
	s_cselect_b32 s18, -1, 0
	s_and_not1_b32 s0, s0, exec_lo
	s_and_b32 s18, s18, exec_lo
	s_delay_alu instid0(SALU_CYCLE_1)
	s_or_b32 s0, s0, s18
	s_branch .LBB182_1018
.LBB182_1017:
	s_mov_b32 s20, 0
.LBB182_1018:
	s_and_not1_b32 s14, s14, exec_lo
	s_and_b32 s0, s0, exec_lo
	s_and_b32 s18, s19, exec_lo
	;; [unrolled: 1-line block ×3, first 2 shown]
	s_or_b32 s14, s14, s0
	s_wait_xcnt 0x0
	s_or_b32 exec_lo, exec_lo, s17
	s_and_saveexec_b32 s0, s14
	s_cbranch_execz .LBB182_933
.LBB182_1019:
	s_or_b32 s15, s15, exec_lo
	s_and_not1_b32 s19, s19, exec_lo
	s_trap 2
	s_or_b32 exec_lo, exec_lo, s0
	s_and_saveexec_b32 s0, s19
	s_delay_alu instid0(SALU_CYCLE_1)
	s_xor_b32 s0, exec_lo, s0
	s_cbranch_execnz .LBB182_934
.LBB182_1020:
	s_or_b32 exec_lo, exec_lo, s0
	s_and_saveexec_b32 s0, s18
	s_delay_alu instid0(SALU_CYCLE_1)
	s_xor_b32 s0, exec_lo, s0
	s_cbranch_execz .LBB182_1058
.LBB182_1021:
	s_sext_i32_i16 s17, s16
	s_mov_b32 s14, -1
	s_cmp_lt_i32 s17, 5
	s_cbranch_scc1 .LBB182_1042
; %bb.1022:
	s_cmp_lt_i32 s17, 8
	s_cbranch_scc1 .LBB182_1032
; %bb.1023:
	;; [unrolled: 3-line block ×3, first 2 shown]
	s_cmp_gt_i32 s17, 9
	s_cbranch_scc0 .LBB182_1026
; %bb.1025:
	s_wait_loadcnt 0x0
	v_bfe_i32 v2, v3, 0, 8
	v_mov_b32_e32 v6, 0
	s_mov_b32 s14, 0
	s_delay_alu instid0(VALU_DEP_2) | instskip(NEXT) | instid1(VALU_DEP_2)
	v_bfe_i32 v2, v2, 0, 16
	v_mov_b32_e32 v7, v6
	s_delay_alu instid0(VALU_DEP_2)
	v_cvt_f64_i32_e32 v[4:5], v2
	global_store_b128 v[0:1], v[4:7], off
.LBB182_1026:
	s_and_not1_b32 vcc_lo, exec_lo, s14
	s_cbranch_vccnz .LBB182_1028
; %bb.1027:
	s_wait_loadcnt 0x0
	v_bfe_i32 v2, v3, 0, 8
	s_wait_xcnt 0x0
	v_mov_b32_e32 v5, 0
	s_delay_alu instid0(VALU_DEP_2) | instskip(NEXT) | instid1(VALU_DEP_1)
	v_bfe_i32 v2, v2, 0, 16
	v_cvt_f32_i32_e32 v4, v2
	global_store_b64 v[0:1], v[4:5], off
.LBB182_1028:
	s_mov_b32 s14, 0
.LBB182_1029:
	s_delay_alu instid0(SALU_CYCLE_1)
	s_and_not1_b32 vcc_lo, exec_lo, s14
	s_cbranch_vccnz .LBB182_1031
; %bb.1030:
	s_wait_loadcnt 0x0
	v_bfe_i32 v2, v3, 0, 8
	s_delay_alu instid0(VALU_DEP_1) | instskip(NEXT) | instid1(VALU_DEP_1)
	v_cvt_f16_i16_e32 v2, v2
	v_and_b32_e32 v2, 0xffff, v2
	global_store_b32 v[0:1], v2, off
.LBB182_1031:
	s_mov_b32 s14, 0
.LBB182_1032:
	s_delay_alu instid0(SALU_CYCLE_1)
	s_and_not1_b32 vcc_lo, exec_lo, s14
	s_cbranch_vccnz .LBB182_1041
; %bb.1033:
	s_sext_i32_i16 s17, s16
	s_mov_b32 s14, -1
	s_cmp_lt_i32 s17, 6
	s_cbranch_scc1 .LBB182_1039
; %bb.1034:
	s_cmp_gt_i32 s17, 6
	s_cbranch_scc0 .LBB182_1036
; %bb.1035:
	s_wait_loadcnt 0x0
	v_bfe_i32 v2, v3, 0, 8
	s_mov_b32 s14, 0
	s_delay_alu instid0(VALU_DEP_1) | instskip(NEXT) | instid1(VALU_DEP_1)
	v_bfe_i32 v2, v2, 0, 16
	v_cvt_f64_i32_e32 v[4:5], v2
	global_store_b64 v[0:1], v[4:5], off
.LBB182_1036:
	s_and_not1_b32 vcc_lo, exec_lo, s14
	s_cbranch_vccnz .LBB182_1038
; %bb.1037:
	s_wait_loadcnt 0x0
	v_bfe_i32 v2, v3, 0, 8
	s_delay_alu instid0(VALU_DEP_1) | instskip(NEXT) | instid1(VALU_DEP_1)
	v_bfe_i32 v2, v2, 0, 16
	v_cvt_f32_i32_e32 v2, v2
	global_store_b32 v[0:1], v2, off
.LBB182_1038:
	s_mov_b32 s14, 0
.LBB182_1039:
	s_delay_alu instid0(SALU_CYCLE_1)
	s_and_not1_b32 vcc_lo, exec_lo, s14
	s_cbranch_vccnz .LBB182_1041
; %bb.1040:
	s_wait_loadcnt 0x0
	v_bfe_i32 v2, v3, 0, 8
	s_delay_alu instid0(VALU_DEP_1)
	v_cvt_f16_i16_e32 v2, v2
	global_store_b16 v[0:1], v2, off
.LBB182_1041:
	s_mov_b32 s14, 0
.LBB182_1042:
	s_delay_alu instid0(SALU_CYCLE_1)
	s_and_not1_b32 vcc_lo, exec_lo, s14
	s_cbranch_vccnz .LBB182_1058
; %bb.1043:
	s_sext_i32_i16 s17, s16
	s_mov_b32 s14, -1
	s_cmp_lt_i32 s17, 2
	s_cbranch_scc1 .LBB182_1053
; %bb.1044:
	s_cmp_lt_i32 s17, 3
	s_cbranch_scc1 .LBB182_1050
; %bb.1045:
	s_cmp_gt_i32 s17, 3
	s_cbranch_scc0 .LBB182_1047
; %bb.1046:
	s_wait_loadcnt 0x0
	v_bfe_i32 v4, v3, 0, 8
	s_mov_b32 s14, 0
	s_delay_alu instid0(VALU_DEP_1)
	v_ashrrev_i32_e32 v5, 31, v4
	global_store_b64 v[0:1], v[4:5], off
.LBB182_1047:
	s_and_not1_b32 vcc_lo, exec_lo, s14
	s_cbranch_vccnz .LBB182_1049
; %bb.1048:
	s_wait_loadcnt 0x0
	v_bfe_i32 v2, v3, 0, 8
	global_store_b32 v[0:1], v2, off
.LBB182_1049:
	s_mov_b32 s14, 0
.LBB182_1050:
	s_delay_alu instid0(SALU_CYCLE_1)
	s_and_not1_b32 vcc_lo, exec_lo, s14
	s_cbranch_vccnz .LBB182_1052
; %bb.1051:
	s_wait_loadcnt 0x0
	v_bfe_i32 v2, v3, 0, 8
	global_store_b16 v[0:1], v2, off
.LBB182_1052:
	s_mov_b32 s14, 0
.LBB182_1053:
	s_delay_alu instid0(SALU_CYCLE_1)
	s_and_not1_b32 vcc_lo, exec_lo, s14
	s_cbranch_vccnz .LBB182_1058
; %bb.1054:
	s_sext_i32_i16 s14, s16
	s_delay_alu instid0(SALU_CYCLE_1)
	s_cmp_gt_i32 s14, 0
	s_mov_b32 s14, -1
	s_cbranch_scc0 .LBB182_1056
; %bb.1055:
	s_mov_b32 s14, 0
	s_wait_loadcnt 0x0
	global_store_b8 v[0:1], v3, off
.LBB182_1056:
	s_and_not1_b32 vcc_lo, exec_lo, s14
	s_cbranch_vccnz .LBB182_1058
; %bb.1057:
	s_wait_loadcnt 0x0
	global_store_b8 v[0:1], v3, off
.LBB182_1058:
	s_wait_xcnt 0x0
	s_or_b32 exec_lo, exec_lo, s0
	s_delay_alu instid0(SALU_CYCLE_1)
	s_and_b32 s14, s15, exec_lo
                                        ; implicit-def: $vgpr6
.LBB182_1059:
	s_or_saveexec_b32 s13, s13
	s_mov_b32 s0, 0
                                        ; implicit-def: $sgpr15
                                        ; implicit-def: $vgpr0_vgpr1
                                        ; implicit-def: $vgpr4
	s_xor_b32 exec_lo, exec_lo, s13
	s_cbranch_execz .LBB182_1596
; %bb.1060:
	v_mul_lo_u32 v0, s9, v6
	s_and_b32 s0, 0xffff, s12
	s_delay_alu instid0(SALU_CYCLE_1) | instskip(NEXT) | instid1(VALU_DEP_1)
	s_cmp_lt_i32 s0, 11
	v_ashrrev_i32_e32 v1, 31, v0
	s_wait_loadcnt 0x0
	s_delay_alu instid0(VALU_DEP_1)
	v_add_nc_u64_e32 v[2:3], s[6:7], v[0:1]
	s_cbranch_scc1 .LBB182_1067
; %bb.1061:
	s_cmp_gt_i32 s0, 25
	s_mov_b32 s12, 0
	s_cbranch_scc0 .LBB182_1069
; %bb.1062:
	s_cmp_gt_i32 s0, 28
	s_cbranch_scc0 .LBB182_1070
; %bb.1063:
	s_cmp_gt_i32 s0, 43
	;; [unrolled: 3-line block ×3, first 2 shown]
	s_cbranch_scc0 .LBB182_1072
; %bb.1065:
	s_cmp_eq_u32 s0, 46
	s_mov_b32 s16, 0
	s_cbranch_scc0 .LBB182_1075
; %bb.1066:
	global_load_b32 v1, v[2:3], off
	s_mov_b32 s15, -1
	s_wait_loadcnt 0x0
	v_lshlrev_b32_e32 v1, 16, v1
	s_delay_alu instid0(VALU_DEP_1)
	v_cvt_i32_f32_e32 v4, v1
	s_branch .LBB182_1077
.LBB182_1067:
	s_mov_b32 s15, 0
	s_mov_b32 s3, s14
                                        ; implicit-def: $vgpr4
	s_cbranch_execnz .LBB182_1135
.LBB182_1068:
	s_and_not1_b32 vcc_lo, exec_lo, s15
	s_cbranch_vccz .LBB182_1180
	s_branch .LBB182_1594
.LBB182_1069:
	s_mov_b32 s15, 0
                                        ; implicit-def: $vgpr4
	s_cbranch_execnz .LBB182_1102
	s_branch .LBB182_1131
.LBB182_1070:
	s_mov_b32 s15, 0
                                        ; implicit-def: $vgpr4
	s_cbranch_execz .LBB182_1101
	s_branch .LBB182_1086
.LBB182_1071:
	s_mov_b32 s15, 0
                                        ; implicit-def: $vgpr4
	s_cbranch_execnz .LBB182_1082
	s_branch .LBB182_1085
.LBB182_1072:
	s_mov_b32 s16, -1
	s_branch .LBB182_1076
.LBB182_1073:
	s_and_not1_saveexec_b32 s21, s21
	s_cbranch_execz .LBB182_972
.LBB182_1074:
	v_add_f32_e64 v4, 0x46000000, |v2|
	s_and_not1_b32 s20, s20, exec_lo
	s_delay_alu instid0(VALU_DEP_1) | instskip(NEXT) | instid1(VALU_DEP_1)
	v_and_b32_e32 v4, 0xff, v4
	v_cmp_ne_u32_e32 vcc_lo, 0, v4
	s_and_b32 s22, vcc_lo, exec_lo
	s_delay_alu instid0(SALU_CYCLE_1)
	s_or_b32 s20, s20, s22
	s_or_b32 exec_lo, exec_lo, s21
	v_mov_b32_e32 v5, 0
	s_and_saveexec_b32 s21, s20
	s_cbranch_execnz .LBB182_973
	s_branch .LBB182_974
.LBB182_1075:
	s_mov_b32 s3, -1
.LBB182_1076:
	s_mov_b32 s15, 0
                                        ; implicit-def: $vgpr4
.LBB182_1077:
	s_and_b32 vcc_lo, exec_lo, s16
	s_cbranch_vccz .LBB182_1080
; %bb.1078:
	s_cmp_eq_u32 s0, 44
	s_cbranch_scc0 .LBB182_1081
; %bb.1079:
	global_load_u8 v1, v[2:3], off
	s_mov_b32 s3, 0
	s_mov_b32 s15, -1
	s_wait_loadcnt 0x0
	v_lshlrev_b32_e32 v4, 23, v1
	v_cmp_ne_u32_e32 vcc_lo, 0, v1
	s_delay_alu instid0(VALU_DEP_2) | instskip(NEXT) | instid1(VALU_DEP_1)
	v_cvt_i32_f32_e32 v4, v4
	v_cndmask_b32_e32 v4, 0, v4, vcc_lo
.LBB182_1080:
	s_branch .LBB182_1085
.LBB182_1081:
	s_mov_b32 s3, -1
                                        ; implicit-def: $vgpr4
	s_branch .LBB182_1085
.LBB182_1082:
	s_cmp_eq_u32 s0, 29
	s_cbranch_scc0 .LBB182_1084
; %bb.1083:
	global_load_b64 v[4:5], v[2:3], off
	s_mov_b32 s3, 0
	s_mov_b32 s15, -1
	s_branch .LBB182_1085
.LBB182_1084:
	s_mov_b32 s3, -1
                                        ; implicit-def: $vgpr4
.LBB182_1085:
	s_branch .LBB182_1101
.LBB182_1086:
	s_cmp_lt_i32 s0, 27
	s_cbranch_scc1 .LBB182_1089
; %bb.1087:
	s_cmp_gt_i32 s0, 27
	s_cbranch_scc0 .LBB182_1090
; %bb.1088:
	s_wait_loadcnt 0x0
	global_load_b32 v4, v[2:3], off
	s_mov_b32 s15, 0
	s_branch .LBB182_1091
.LBB182_1089:
	s_mov_b32 s15, -1
                                        ; implicit-def: $vgpr4
	s_branch .LBB182_1094
.LBB182_1090:
	s_mov_b32 s15, -1
                                        ; implicit-def: $vgpr4
.LBB182_1091:
	s_delay_alu instid0(SALU_CYCLE_1)
	s_and_not1_b32 vcc_lo, exec_lo, s15
	s_cbranch_vccnz .LBB182_1093
; %bb.1092:
	s_wait_loadcnt 0x0
	global_load_u16 v4, v[2:3], off
.LBB182_1093:
	s_mov_b32 s15, 0
.LBB182_1094:
	s_delay_alu instid0(SALU_CYCLE_1)
	s_and_not1_b32 vcc_lo, exec_lo, s15
	s_cbranch_vccnz .LBB182_1100
; %bb.1095:
	global_load_u8 v1, v[2:3], off
	s_mov_b32 s16, 0
	s_mov_b32 s15, exec_lo
	s_wait_loadcnt 0x0
	v_cmpx_lt_i16_e32 0x7f, v1
	s_xor_b32 s15, exec_lo, s15
	s_cbranch_execz .LBB182_1111
; %bb.1096:
	v_cmp_ne_u16_e32 vcc_lo, 0x80, v1
	s_and_b32 s16, vcc_lo, exec_lo
	s_and_not1_saveexec_b32 s15, s15
	s_cbranch_execnz .LBB182_1112
.LBB182_1097:
	s_or_b32 exec_lo, exec_lo, s15
	v_mov_b32_e32 v4, 0
	s_and_saveexec_b32 s15, s16
	s_cbranch_execz .LBB182_1099
.LBB182_1098:
	v_and_b32_e32 v4, 0xffff, v1
	s_delay_alu instid0(VALU_DEP_1) | instskip(SKIP_1) | instid1(VALU_DEP_2)
	v_and_b32_e32 v5, 7, v4
	v_bfe_u32 v9, v4, 3, 4
	v_clz_i32_u32_e32 v7, v5
	s_delay_alu instid0(VALU_DEP_2) | instskip(NEXT) | instid1(VALU_DEP_2)
	v_cmp_eq_u32_e32 vcc_lo, 0, v9
	v_min_u32_e32 v7, 32, v7
	s_delay_alu instid0(VALU_DEP_1) | instskip(NEXT) | instid1(VALU_DEP_1)
	v_subrev_nc_u32_e32 v8, 28, v7
	v_dual_lshlrev_b32 v4, v8, v4 :: v_dual_sub_nc_u32 v7, 29, v7
	s_delay_alu instid0(VALU_DEP_1) | instskip(NEXT) | instid1(VALU_DEP_2)
	v_dual_lshlrev_b32 v1, 24, v1 :: v_dual_bitop2_b32 v4, 7, v4 bitop3:0x40
	v_cndmask_b32_e32 v7, v9, v7, vcc_lo
	s_delay_alu instid0(VALU_DEP_2) | instskip(NEXT) | instid1(VALU_DEP_3)
	v_cndmask_b32_e32 v4, v5, v4, vcc_lo
	v_and_b32_e32 v1, 0x80000000, v1
	s_delay_alu instid0(VALU_DEP_3) | instskip(NEXT) | instid1(VALU_DEP_3)
	v_lshl_add_u32 v5, v7, 23, 0x3b800000
	v_lshlrev_b32_e32 v4, 20, v4
	s_delay_alu instid0(VALU_DEP_1) | instskip(NEXT) | instid1(VALU_DEP_1)
	v_or3_b32 v1, v1, v5, v4
	v_cvt_i32_f32_e32 v4, v1
.LBB182_1099:
	s_or_b32 exec_lo, exec_lo, s15
.LBB182_1100:
	s_mov_b32 s15, -1
.LBB182_1101:
	s_branch .LBB182_1131
.LBB182_1102:
	s_cmp_gt_i32 s0, 22
	s_cbranch_scc0 .LBB182_1110
; %bb.1103:
	s_cmp_lt_i32 s0, 24
	s_cbranch_scc1 .LBB182_1113
; %bb.1104:
	s_cmp_gt_i32 s0, 24
	s_cbranch_scc0 .LBB182_1114
; %bb.1105:
	global_load_u8 v1, v[2:3], off
	s_mov_b32 s15, 0
	s_mov_b32 s12, exec_lo
	s_wait_loadcnt 0x0
	v_cmpx_lt_i16_e32 0x7f, v1
	s_xor_b32 s12, exec_lo, s12
	s_cbranch_execz .LBB182_1125
; %bb.1106:
	v_cmp_ne_u16_e32 vcc_lo, 0x80, v1
	s_and_b32 s15, vcc_lo, exec_lo
	s_and_not1_saveexec_b32 s12, s12
	s_cbranch_execnz .LBB182_1126
.LBB182_1107:
	s_or_b32 exec_lo, exec_lo, s12
	v_mov_b32_e32 v4, 0
	s_and_saveexec_b32 s12, s15
	s_cbranch_execz .LBB182_1109
.LBB182_1108:
	v_and_b32_e32 v4, 0xffff, v1
	s_delay_alu instid0(VALU_DEP_1) | instskip(SKIP_1) | instid1(VALU_DEP_2)
	v_and_b32_e32 v5, 3, v4
	v_bfe_u32 v9, v4, 2, 5
	v_clz_i32_u32_e32 v7, v5
	s_delay_alu instid0(VALU_DEP_2) | instskip(NEXT) | instid1(VALU_DEP_2)
	v_cmp_eq_u32_e32 vcc_lo, 0, v9
	v_min_u32_e32 v7, 32, v7
	s_delay_alu instid0(VALU_DEP_1) | instskip(NEXT) | instid1(VALU_DEP_1)
	v_subrev_nc_u32_e32 v8, 29, v7
	v_dual_lshlrev_b32 v4, v8, v4 :: v_dual_sub_nc_u32 v7, 30, v7
	s_delay_alu instid0(VALU_DEP_1) | instskip(NEXT) | instid1(VALU_DEP_2)
	v_dual_lshlrev_b32 v1, 24, v1 :: v_dual_bitop2_b32 v4, 3, v4 bitop3:0x40
	v_cndmask_b32_e32 v7, v9, v7, vcc_lo
	s_delay_alu instid0(VALU_DEP_2) | instskip(NEXT) | instid1(VALU_DEP_3)
	v_cndmask_b32_e32 v4, v5, v4, vcc_lo
	v_and_b32_e32 v1, 0x80000000, v1
	s_delay_alu instid0(VALU_DEP_3) | instskip(NEXT) | instid1(VALU_DEP_3)
	v_lshl_add_u32 v5, v7, 23, 0x37800000
	v_lshlrev_b32_e32 v4, 21, v4
	s_delay_alu instid0(VALU_DEP_1) | instskip(NEXT) | instid1(VALU_DEP_1)
	v_or3_b32 v1, v1, v5, v4
	v_cvt_i32_f32_e32 v4, v1
.LBB182_1109:
	s_or_b32 exec_lo, exec_lo, s12
	s_mov_b32 s12, 0
	s_branch .LBB182_1115
.LBB182_1110:
                                        ; implicit-def: $vgpr4
	s_mov_b32 s12, 0
	s_branch .LBB182_1121
.LBB182_1111:
	s_and_not1_saveexec_b32 s15, s15
	s_cbranch_execz .LBB182_1097
.LBB182_1112:
	v_cmp_ne_u16_e32 vcc_lo, 0, v1
	s_and_not1_b32 s16, s16, exec_lo
	s_and_b32 s17, vcc_lo, exec_lo
	s_delay_alu instid0(SALU_CYCLE_1)
	s_or_b32 s16, s16, s17
	s_or_b32 exec_lo, exec_lo, s15
	v_mov_b32_e32 v4, 0
	s_and_saveexec_b32 s15, s16
	s_cbranch_execnz .LBB182_1098
	s_branch .LBB182_1099
.LBB182_1113:
	s_mov_b32 s12, -1
                                        ; implicit-def: $vgpr4
	s_branch .LBB182_1118
.LBB182_1114:
	s_mov_b32 s12, -1
                                        ; implicit-def: $vgpr4
.LBB182_1115:
	s_delay_alu instid0(SALU_CYCLE_1)
	s_and_b32 vcc_lo, exec_lo, s12
	s_cbranch_vccz .LBB182_1117
; %bb.1116:
	global_load_u8 v1, v[2:3], off
	s_wait_loadcnt 0x0
	v_lshlrev_b32_e32 v1, 24, v1
	s_delay_alu instid0(VALU_DEP_1) | instskip(NEXT) | instid1(VALU_DEP_1)
	v_and_b32_e32 v4, 0x7f000000, v1
	v_clz_i32_u32_e32 v5, v4
	v_add_nc_u32_e32 v8, 0x1000000, v4
	v_cmp_ne_u32_e32 vcc_lo, 0, v4
	s_delay_alu instid0(VALU_DEP_3) | instskip(NEXT) | instid1(VALU_DEP_1)
	v_min_u32_e32 v5, 32, v5
	v_sub_nc_u32_e64 v5, v5, 4 clamp
	s_delay_alu instid0(VALU_DEP_1) | instskip(NEXT) | instid1(VALU_DEP_1)
	v_dual_lshlrev_b32 v7, v5, v4 :: v_dual_lshlrev_b32 v5, 23, v5
	v_lshrrev_b32_e32 v7, 4, v7
	s_delay_alu instid0(VALU_DEP_1) | instskip(NEXT) | instid1(VALU_DEP_1)
	v_dual_sub_nc_u32 v5, v7, v5 :: v_dual_ashrrev_i32 v7, 8, v8
	v_add_nc_u32_e32 v5, 0x3c000000, v5
	s_delay_alu instid0(VALU_DEP_1) | instskip(NEXT) | instid1(VALU_DEP_1)
	v_and_or_b32 v5, 0x7f800000, v7, v5
	v_cndmask_b32_e32 v4, 0, v5, vcc_lo
	s_delay_alu instid0(VALU_DEP_1) | instskip(NEXT) | instid1(VALU_DEP_1)
	v_and_or_b32 v1, 0x80000000, v1, v4
	v_cvt_i32_f32_e32 v4, v1
.LBB182_1117:
	s_mov_b32 s12, 0
.LBB182_1118:
	s_delay_alu instid0(SALU_CYCLE_1)
	s_and_not1_b32 vcc_lo, exec_lo, s12
	s_cbranch_vccnz .LBB182_1120
; %bb.1119:
	global_load_u8 v1, v[2:3], off
	s_wait_loadcnt 0x0
	v_lshlrev_b32_e32 v4, 25, v1
	v_lshlrev_b16 v1, 8, v1
	s_delay_alu instid0(VALU_DEP_1) | instskip(SKIP_1) | instid1(VALU_DEP_2)
	v_and_or_b32 v7, 0x7f00, v1, 0.5
	v_bfe_i32 v1, v1, 0, 16
	v_dual_add_f32 v7, -0.5, v7 :: v_dual_lshrrev_b32 v5, 4, v4
	v_cmp_gt_u32_e32 vcc_lo, 0x8000000, v4
	s_delay_alu instid0(VALU_DEP_2) | instskip(NEXT) | instid1(VALU_DEP_1)
	v_or_b32_e32 v5, 0x70000000, v5
	v_mul_f32_e32 v5, 0x7800000, v5
	s_delay_alu instid0(VALU_DEP_1) | instskip(NEXT) | instid1(VALU_DEP_1)
	v_cndmask_b32_e32 v4, v5, v7, vcc_lo
	v_and_or_b32 v1, 0x80000000, v1, v4
	s_delay_alu instid0(VALU_DEP_1)
	v_cvt_i32_f32_e32 v4, v1
.LBB182_1120:
	s_mov_b32 s15, -1
	s_mov_b32 s12, 0
	s_cbranch_execnz .LBB182_1131
.LBB182_1121:
	s_cmp_gt_i32 s0, 14
	s_cbranch_scc0 .LBB182_1124
; %bb.1122:
	s_cmp_eq_u32 s0, 15
	s_cbranch_scc0 .LBB182_1127
; %bb.1123:
	global_load_u16 v1, v[2:3], off
	s_mov_b32 s3, 0
	s_mov_b32 s15, -1
	s_wait_loadcnt 0x0
	v_lshlrev_b32_e32 v1, 16, v1
	s_delay_alu instid0(VALU_DEP_1)
	v_cvt_i32_f32_e32 v4, v1
	s_branch .LBB182_1129
.LBB182_1124:
	s_mov_b32 s12, -1
	s_branch .LBB182_1128
.LBB182_1125:
	s_and_not1_saveexec_b32 s12, s12
	s_cbranch_execz .LBB182_1107
.LBB182_1126:
	v_cmp_ne_u16_e32 vcc_lo, 0, v1
	s_and_not1_b32 s15, s15, exec_lo
	s_and_b32 s16, vcc_lo, exec_lo
	s_delay_alu instid0(SALU_CYCLE_1)
	s_or_b32 s15, s15, s16
	s_or_b32 exec_lo, exec_lo, s12
	v_mov_b32_e32 v4, 0
	s_and_saveexec_b32 s12, s15
	s_cbranch_execnz .LBB182_1108
	s_branch .LBB182_1109
.LBB182_1127:
	s_mov_b32 s3, -1
.LBB182_1128:
                                        ; implicit-def: $vgpr4
.LBB182_1129:
	s_and_b32 vcc_lo, exec_lo, s12
	s_mov_b32 s12, 0
	s_cbranch_vccz .LBB182_1131
; %bb.1130:
	s_cmp_lg_u32 s0, 11
	s_mov_b32 s12, -1
	s_cselect_b32 s3, -1, 0
.LBB182_1131:
	s_delay_alu instid0(SALU_CYCLE_1)
	s_and_b32 vcc_lo, exec_lo, s3
	s_mov_b32 s3, s14
	s_cbranch_vccnz .LBB182_1202
; %bb.1132:
	s_and_not1_b32 vcc_lo, exec_lo, s12
	s_cbranch_vccnz .LBB182_1134
.LBB182_1133:
	global_load_u8 v1, v[2:3], off
	s_mov_b32 s15, -1
	s_wait_loadcnt 0x0
	v_cmp_ne_u16_e32 vcc_lo, 0, v1
	v_cndmask_b32_e64 v4, 0, 1, vcc_lo
.LBB182_1134:
	s_branch .LBB182_1068
.LBB182_1135:
	s_cmp_lt_i32 s0, 5
	s_cbranch_scc1 .LBB182_1140
; %bb.1136:
	s_cmp_lt_i32 s0, 8
	s_cbranch_scc1 .LBB182_1141
; %bb.1137:
	;; [unrolled: 3-line block ×3, first 2 shown]
	s_cmp_gt_i32 s0, 9
	s_cbranch_scc0 .LBB182_1143
; %bb.1139:
	s_wait_loadcnt 0x0
	global_load_b64 v[4:5], v[2:3], off
	s_mov_b32 s12, 0
	s_wait_loadcnt 0x0
	v_cvt_i32_f64_e32 v4, v[4:5]
	s_branch .LBB182_1144
.LBB182_1140:
                                        ; implicit-def: $vgpr4
	s_branch .LBB182_1161
.LBB182_1141:
                                        ; implicit-def: $vgpr4
	s_branch .LBB182_1150
.LBB182_1142:
	s_mov_b32 s12, -1
                                        ; implicit-def: $vgpr4
	s_branch .LBB182_1147
.LBB182_1143:
	s_mov_b32 s12, -1
                                        ; implicit-def: $vgpr4
.LBB182_1144:
	s_delay_alu instid0(SALU_CYCLE_1)
	s_and_not1_b32 vcc_lo, exec_lo, s12
	s_cbranch_vccnz .LBB182_1146
; %bb.1145:
	global_load_b32 v1, v[2:3], off
	s_wait_loadcnt 0x0
	v_cvt_i32_f32_e32 v4, v1
.LBB182_1146:
	s_mov_b32 s12, 0
.LBB182_1147:
	s_delay_alu instid0(SALU_CYCLE_1)
	s_and_not1_b32 vcc_lo, exec_lo, s12
	s_cbranch_vccnz .LBB182_1149
; %bb.1148:
	global_load_b32 v1, v[2:3], off
	s_wait_loadcnt 0x0
	v_cvt_i16_f16_e32 v4, v1
.LBB182_1149:
	s_cbranch_execnz .LBB182_1160
.LBB182_1150:
	s_cmp_lt_i32 s0, 6
	s_cbranch_scc1 .LBB182_1153
; %bb.1151:
	s_cmp_gt_i32 s0, 6
	s_cbranch_scc0 .LBB182_1154
; %bb.1152:
	s_wait_loadcnt 0x0
	global_load_b64 v[4:5], v[2:3], off
	s_mov_b32 s12, 0
	s_wait_loadcnt 0x0
	v_cvt_i32_f64_e32 v4, v[4:5]
	s_branch .LBB182_1155
.LBB182_1153:
	s_mov_b32 s12, -1
                                        ; implicit-def: $vgpr4
	s_branch .LBB182_1158
.LBB182_1154:
	s_mov_b32 s12, -1
                                        ; implicit-def: $vgpr4
.LBB182_1155:
	s_delay_alu instid0(SALU_CYCLE_1)
	s_and_not1_b32 vcc_lo, exec_lo, s12
	s_cbranch_vccnz .LBB182_1157
; %bb.1156:
	global_load_b32 v1, v[2:3], off
	s_wait_loadcnt 0x0
	v_cvt_i32_f32_e32 v4, v1
.LBB182_1157:
	s_mov_b32 s12, 0
.LBB182_1158:
	s_delay_alu instid0(SALU_CYCLE_1)
	s_and_not1_b32 vcc_lo, exec_lo, s12
	s_cbranch_vccnz .LBB182_1160
; %bb.1159:
	global_load_u16 v1, v[2:3], off
	s_wait_loadcnt 0x0
	v_cvt_i16_f16_e32 v4, v1
.LBB182_1160:
	s_cbranch_execnz .LBB182_1179
.LBB182_1161:
	s_cmp_lt_i32 s0, 2
	s_cbranch_scc1 .LBB182_1165
; %bb.1162:
	s_cmp_lt_i32 s0, 3
	s_cbranch_scc1 .LBB182_1166
; %bb.1163:
	s_cmp_gt_i32 s0, 3
	s_cbranch_scc0 .LBB182_1167
; %bb.1164:
	s_wait_loadcnt 0x0
	global_load_b64 v[4:5], v[2:3], off
	s_mov_b32 s12, 0
	s_branch .LBB182_1168
.LBB182_1165:
                                        ; implicit-def: $vgpr4
	s_branch .LBB182_1174
.LBB182_1166:
	s_mov_b32 s12, -1
                                        ; implicit-def: $vgpr4
	s_branch .LBB182_1171
.LBB182_1167:
	s_mov_b32 s12, -1
                                        ; implicit-def: $vgpr4
.LBB182_1168:
	s_delay_alu instid0(SALU_CYCLE_1)
	s_and_not1_b32 vcc_lo, exec_lo, s12
	s_cbranch_vccnz .LBB182_1170
; %bb.1169:
	s_wait_loadcnt 0x0
	global_load_b32 v4, v[2:3], off
.LBB182_1170:
	s_mov_b32 s12, 0
.LBB182_1171:
	s_delay_alu instid0(SALU_CYCLE_1)
	s_and_not1_b32 vcc_lo, exec_lo, s12
	s_cbranch_vccnz .LBB182_1173
; %bb.1172:
	s_wait_loadcnt 0x0
	global_load_u16 v4, v[2:3], off
.LBB182_1173:
	s_cbranch_execnz .LBB182_1179
.LBB182_1174:
	s_cmp_gt_i32 s0, 0
	s_mov_b32 s12, 0
	s_cbranch_scc0 .LBB182_1176
; %bb.1175:
	s_wait_loadcnt 0x0
	global_load_u8 v4, v[2:3], off
	s_branch .LBB182_1177
.LBB182_1176:
	s_mov_b32 s12, -1
                                        ; implicit-def: $vgpr4
.LBB182_1177:
	s_delay_alu instid0(SALU_CYCLE_1)
	s_and_not1_b32 vcc_lo, exec_lo, s12
	s_cbranch_vccnz .LBB182_1179
; %bb.1178:
	s_wait_loadcnt 0x0
	global_load_u8 v4, v[2:3], off
.LBB182_1179:
.LBB182_1180:
	s_cmp_lt_i32 s10, 1
	s_mov_b32 s12, 0
	s_cbranch_scc1 .LBB182_1183
; %bb.1181:
	s_cmp_eq_u32 s10, 1
	s_cbranch_scc0 .LBB182_1198
; %bb.1182:
	s_wait_loadcnt 0x0
	s_delay_alu instid0(VALU_DEP_1)
	v_bfe_i32 v1, v4, 0, 8
	s_bfe_i32 s15, s11, 0x80000
	s_delay_alu instid0(VALU_DEP_1) | instid1(SALU_CYCLE_1)
	v_min_i16 v7, v1, s15
	s_mov_b32 s15, 0
	s_branch .LBB182_1185
.LBB182_1183:
	s_mov_b32 s15, 0
                                        ; implicit-def: $vgpr7
	s_cbranch_execz .LBB182_1185
; %bb.1184:
	s_cmp_lg_u32 s10, 0
	s_mov_b32 s12, -1
	s_cselect_b32 s15, -1, 0
.LBB182_1185:
	s_wait_loadcnt 0x0
	s_delay_alu instid0(VALU_DEP_1)
	v_bfe_i32 v1, v4, 0, 8
	s_and_not1_b32 vcc_lo, exec_lo, s15
	s_cbranch_vccnz .LBB182_1187
; %bb.1186:
	s_bfe_i32 s12, s11, 0x80000
	s_wait_xcnt 0x0
	v_max_i16 v2, v1, s12
	s_bfe_i32 s12, s1, 0x80000
	s_delay_alu instid0(VALU_DEP_1) | instid1(SALU_CYCLE_1)
	v_min_i16 v7, v2, s12
	s_cbranch_execz .LBB182_1188
	s_branch .LBB182_1189
.LBB182_1187:
	s_and_not1_b32 vcc_lo, exec_lo, s12
	s_cbranch_vccnz .LBB182_1189
.LBB182_1188:
	s_bfe_i32 s12, s11, 0x80000
	s_delay_alu instid0(SALU_CYCLE_1)
	v_max_i16 v7, v1, s12
.LBB182_1189:
	s_lshl_b32 s9, s9, 7
	s_cmp_lt_i32 s0, 11
	v_add_nc_u32_e32 v0, s9, v0
	s_delay_alu instid0(VALU_DEP_1) | instskip(SKIP_1) | instid1(VALU_DEP_1)
	v_ashrrev_i32_e32 v1, 31, v0
	s_wait_xcnt 0x0
	v_add_nc_u64_e32 v[2:3], s[6:7], v[0:1]
	s_cbranch_scc1 .LBB182_1196
; %bb.1190:
	s_cmp_gt_i32 s0, 25
	s_mov_b32 s15, 0
	s_cbranch_scc0 .LBB182_1199
; %bb.1191:
	s_cmp_gt_i32 s0, 28
	s_cbranch_scc0 .LBB182_1200
; %bb.1192:
	s_cmp_gt_i32 s0, 43
	;; [unrolled: 3-line block ×3, first 2 shown]
	s_cbranch_scc0 .LBB182_1203
; %bb.1194:
	s_cmp_eq_u32 s0, 46
	s_mov_b32 s17, 0
	s_cbranch_scc0 .LBB182_1206
; %bb.1195:
	global_load_b32 v1, v[2:3], off
	s_mov_b32 s12, 0
	s_mov_b32 s16, -1
	s_wait_loadcnt 0x0
	v_lshlrev_b32_e32 v1, 16, v1
	s_delay_alu instid0(VALU_DEP_1)
	v_cvt_i32_f32_e32 v4, v1
	s_branch .LBB182_1208
.LBB182_1196:
	s_mov_b32 s16, 0
                                        ; implicit-def: $vgpr4
	s_cbranch_execnz .LBB182_1269
.LBB182_1197:
	s_and_not1_b32 vcc_lo, exec_lo, s16
	s_cbranch_vccnz .LBB182_1594
	s_branch .LBB182_1316
.LBB182_1198:
	s_mov_b32 s15, -1
                                        ; implicit-def: $vgpr7
	s_branch .LBB182_1185
.LBB182_1199:
	s_mov_b32 s16, 0
	s_mov_b32 s12, 0
                                        ; implicit-def: $vgpr4
	s_cbranch_execnz .LBB182_1235
	s_branch .LBB182_1265
.LBB182_1200:
	s_mov_b32 s17, -1
	s_mov_b32 s16, 0
	s_mov_b32 s12, 0
                                        ; implicit-def: $vgpr4
	s_branch .LBB182_1218
.LBB182_1201:
	s_mov_b32 s17, -1
	s_mov_b32 s16, 0
	s_mov_b32 s12, 0
                                        ; implicit-def: $vgpr4
	s_branch .LBB182_1213
.LBB182_1202:
	s_or_b32 s3, s14, exec_lo
	s_trap 2
	s_cbranch_execz .LBB182_1133
	s_branch .LBB182_1134
.LBB182_1203:
	s_mov_b32 s17, -1
	s_mov_b32 s16, 0
	s_mov_b32 s12, 0
	s_branch .LBB182_1207
.LBB182_1204:
	s_and_not1_saveexec_b32 s22, s22
	s_cbranch_execz .LBB182_984
.LBB182_1205:
	v_add_f32_e64 v4, 0x42800000, |v2|
	s_and_not1_b32 s21, s21, exec_lo
	s_delay_alu instid0(VALU_DEP_1) | instskip(NEXT) | instid1(VALU_DEP_1)
	v_and_b32_e32 v4, 0xff, v4
	v_cmp_ne_u32_e32 vcc_lo, 0, v4
	s_and_b32 s23, vcc_lo, exec_lo
	s_delay_alu instid0(SALU_CYCLE_1)
	s_or_b32 s21, s21, s23
	s_or_b32 exec_lo, exec_lo, s22
	v_mov_b32_e32 v5, 0
	s_and_saveexec_b32 s22, s21
	s_cbranch_execnz .LBB182_985
	s_branch .LBB182_986
.LBB182_1206:
	s_mov_b32 s12, -1
	s_mov_b32 s16, 0
.LBB182_1207:
                                        ; implicit-def: $vgpr4
.LBB182_1208:
	s_and_b32 vcc_lo, exec_lo, s17
	s_cbranch_vccz .LBB182_1212
; %bb.1209:
	s_cmp_eq_u32 s0, 44
	s_cbranch_scc0 .LBB182_1211
; %bb.1210:
	global_load_u8 v1, v[2:3], off
	s_mov_b32 s12, 0
	s_mov_b32 s16, -1
	s_wait_loadcnt 0x0
	v_lshlrev_b32_e32 v4, 23, v1
	v_cmp_ne_u32_e32 vcc_lo, 0, v1
	s_delay_alu instid0(VALU_DEP_2) | instskip(NEXT) | instid1(VALU_DEP_1)
	v_cvt_i32_f32_e32 v4, v4
	v_cndmask_b32_e32 v4, 0, v4, vcc_lo
	s_branch .LBB182_1212
.LBB182_1211:
	s_mov_b32 s12, -1
                                        ; implicit-def: $vgpr4
.LBB182_1212:
	s_mov_b32 s17, 0
.LBB182_1213:
	s_delay_alu instid0(SALU_CYCLE_1)
	s_and_b32 vcc_lo, exec_lo, s17
	s_cbranch_vccz .LBB182_1217
; %bb.1214:
	s_cmp_eq_u32 s0, 29
	s_cbranch_scc0 .LBB182_1216
; %bb.1215:
	global_load_b64 v[4:5], v[2:3], off
	s_mov_b32 s12, 0
	s_mov_b32 s16, -1
	s_branch .LBB182_1217
.LBB182_1216:
	s_mov_b32 s12, -1
                                        ; implicit-def: $vgpr4
.LBB182_1217:
	s_mov_b32 s17, 0
.LBB182_1218:
	s_delay_alu instid0(SALU_CYCLE_1)
	s_and_b32 vcc_lo, exec_lo, s17
	s_cbranch_vccz .LBB182_1234
; %bb.1219:
	s_cmp_lt_i32 s0, 27
	s_cbranch_scc1 .LBB182_1222
; %bb.1220:
	s_cmp_gt_i32 s0, 27
	s_cbranch_scc0 .LBB182_1223
; %bb.1221:
	s_wait_loadcnt 0x0
	global_load_b32 v4, v[2:3], off
	s_mov_b32 s16, 0
	s_branch .LBB182_1224
.LBB182_1222:
	s_mov_b32 s16, -1
                                        ; implicit-def: $vgpr4
	s_branch .LBB182_1227
.LBB182_1223:
	s_mov_b32 s16, -1
                                        ; implicit-def: $vgpr4
.LBB182_1224:
	s_delay_alu instid0(SALU_CYCLE_1)
	s_and_not1_b32 vcc_lo, exec_lo, s16
	s_cbranch_vccnz .LBB182_1226
; %bb.1225:
	s_wait_loadcnt 0x0
	global_load_u16 v4, v[2:3], off
.LBB182_1226:
	s_mov_b32 s16, 0
.LBB182_1227:
	s_delay_alu instid0(SALU_CYCLE_1)
	s_and_not1_b32 vcc_lo, exec_lo, s16
	s_cbranch_vccnz .LBB182_1233
; %bb.1228:
	global_load_u8 v1, v[2:3], off
	s_mov_b32 s17, 0
	s_mov_b32 s16, exec_lo
	s_wait_loadcnt 0x0
	v_cmpx_lt_i16_e32 0x7f, v1
	s_xor_b32 s16, exec_lo, s16
	s_cbranch_execz .LBB182_1244
; %bb.1229:
	v_cmp_ne_u16_e32 vcc_lo, 0x80, v1
	s_and_b32 s17, vcc_lo, exec_lo
	s_and_not1_saveexec_b32 s16, s16
	s_cbranch_execnz .LBB182_1245
.LBB182_1230:
	s_or_b32 exec_lo, exec_lo, s16
	v_mov_b32_e32 v4, 0
	s_and_saveexec_b32 s16, s17
	s_cbranch_execz .LBB182_1232
.LBB182_1231:
	v_and_b32_e32 v4, 0xffff, v1
	s_delay_alu instid0(VALU_DEP_1) | instskip(SKIP_1) | instid1(VALU_DEP_2)
	v_dual_lshlrev_b32 v1, 24, v1 :: v_dual_bitop2_b32 v5, 7, v4 bitop3:0x40
	v_bfe_u32 v10, v4, 3, 4
	v_and_b32_e32 v1, 0x80000000, v1
	s_delay_alu instid0(VALU_DEP_3) | instskip(NEXT) | instid1(VALU_DEP_3)
	v_clz_i32_u32_e32 v8, v5
	v_cmp_eq_u32_e32 vcc_lo, 0, v10
	s_delay_alu instid0(VALU_DEP_2) | instskip(NEXT) | instid1(VALU_DEP_1)
	v_min_u32_e32 v8, 32, v8
	v_subrev_nc_u32_e32 v9, 28, v8
	v_sub_nc_u32_e32 v8, 29, v8
	s_delay_alu instid0(VALU_DEP_2) | instskip(NEXT) | instid1(VALU_DEP_2)
	v_lshlrev_b32_e32 v4, v9, v4
	v_cndmask_b32_e32 v8, v10, v8, vcc_lo
	s_delay_alu instid0(VALU_DEP_2) | instskip(NEXT) | instid1(VALU_DEP_1)
	v_and_b32_e32 v4, 7, v4
	v_cndmask_b32_e32 v4, v5, v4, vcc_lo
	s_delay_alu instid0(VALU_DEP_3) | instskip(NEXT) | instid1(VALU_DEP_2)
	v_lshl_add_u32 v5, v8, 23, 0x3b800000
	v_lshlrev_b32_e32 v4, 20, v4
	s_delay_alu instid0(VALU_DEP_1) | instskip(NEXT) | instid1(VALU_DEP_1)
	v_or3_b32 v1, v1, v5, v4
	v_cvt_i32_f32_e32 v4, v1
.LBB182_1232:
	s_or_b32 exec_lo, exec_lo, s16
.LBB182_1233:
	s_mov_b32 s16, -1
.LBB182_1234:
	s_branch .LBB182_1265
.LBB182_1235:
	s_cmp_gt_i32 s0, 22
	s_cbranch_scc0 .LBB182_1243
; %bb.1236:
	s_cmp_lt_i32 s0, 24
	s_cbranch_scc1 .LBB182_1246
; %bb.1237:
	s_cmp_gt_i32 s0, 24
	s_cbranch_scc0 .LBB182_1247
; %bb.1238:
	global_load_u8 v1, v[2:3], off
	s_mov_b32 s16, 0
	s_mov_b32 s15, exec_lo
	s_wait_loadcnt 0x0
	v_cmpx_lt_i16_e32 0x7f, v1
	s_xor_b32 s15, exec_lo, s15
	s_cbranch_execz .LBB182_1259
; %bb.1239:
	v_cmp_ne_u16_e32 vcc_lo, 0x80, v1
	s_and_b32 s16, vcc_lo, exec_lo
	s_and_not1_saveexec_b32 s15, s15
	s_cbranch_execnz .LBB182_1260
.LBB182_1240:
	s_or_b32 exec_lo, exec_lo, s15
	v_mov_b32_e32 v4, 0
	s_and_saveexec_b32 s15, s16
	s_cbranch_execz .LBB182_1242
.LBB182_1241:
	v_and_b32_e32 v4, 0xffff, v1
	s_delay_alu instid0(VALU_DEP_1) | instskip(SKIP_1) | instid1(VALU_DEP_2)
	v_dual_lshlrev_b32 v1, 24, v1 :: v_dual_bitop2_b32 v5, 3, v4 bitop3:0x40
	v_bfe_u32 v10, v4, 2, 5
	v_and_b32_e32 v1, 0x80000000, v1
	s_delay_alu instid0(VALU_DEP_3) | instskip(NEXT) | instid1(VALU_DEP_3)
	v_clz_i32_u32_e32 v8, v5
	v_cmp_eq_u32_e32 vcc_lo, 0, v10
	s_delay_alu instid0(VALU_DEP_2) | instskip(NEXT) | instid1(VALU_DEP_1)
	v_min_u32_e32 v8, 32, v8
	v_subrev_nc_u32_e32 v9, 29, v8
	v_sub_nc_u32_e32 v8, 30, v8
	s_delay_alu instid0(VALU_DEP_2) | instskip(NEXT) | instid1(VALU_DEP_2)
	v_lshlrev_b32_e32 v4, v9, v4
	v_cndmask_b32_e32 v8, v10, v8, vcc_lo
	s_delay_alu instid0(VALU_DEP_2) | instskip(NEXT) | instid1(VALU_DEP_1)
	v_and_b32_e32 v4, 3, v4
	v_cndmask_b32_e32 v4, v5, v4, vcc_lo
	s_delay_alu instid0(VALU_DEP_3) | instskip(NEXT) | instid1(VALU_DEP_2)
	v_lshl_add_u32 v5, v8, 23, 0x37800000
	v_lshlrev_b32_e32 v4, 21, v4
	s_delay_alu instid0(VALU_DEP_1) | instskip(NEXT) | instid1(VALU_DEP_1)
	v_or3_b32 v1, v1, v5, v4
	v_cvt_i32_f32_e32 v4, v1
.LBB182_1242:
	s_or_b32 exec_lo, exec_lo, s15
	s_mov_b32 s15, 0
	s_branch .LBB182_1248
.LBB182_1243:
	s_mov_b32 s15, -1
                                        ; implicit-def: $vgpr4
	s_branch .LBB182_1254
.LBB182_1244:
	s_and_not1_saveexec_b32 s16, s16
	s_cbranch_execz .LBB182_1230
.LBB182_1245:
	v_cmp_ne_u16_e32 vcc_lo, 0, v1
	s_and_not1_b32 s17, s17, exec_lo
	s_and_b32 s18, vcc_lo, exec_lo
	s_delay_alu instid0(SALU_CYCLE_1)
	s_or_b32 s17, s17, s18
	s_or_b32 exec_lo, exec_lo, s16
	v_mov_b32_e32 v4, 0
	s_and_saveexec_b32 s16, s17
	s_cbranch_execnz .LBB182_1231
	s_branch .LBB182_1232
.LBB182_1246:
	s_mov_b32 s15, -1
                                        ; implicit-def: $vgpr4
	s_branch .LBB182_1251
.LBB182_1247:
	s_mov_b32 s15, -1
                                        ; implicit-def: $vgpr4
.LBB182_1248:
	s_delay_alu instid0(SALU_CYCLE_1)
	s_and_b32 vcc_lo, exec_lo, s15
	s_cbranch_vccz .LBB182_1250
; %bb.1249:
	global_load_u8 v1, v[2:3], off
	s_wait_loadcnt 0x0
	v_lshlrev_b32_e32 v1, 24, v1
	s_delay_alu instid0(VALU_DEP_1) | instskip(NEXT) | instid1(VALU_DEP_1)
	v_and_b32_e32 v4, 0x7f000000, v1
	v_clz_i32_u32_e32 v5, v4
	v_cmp_ne_u32_e32 vcc_lo, 0, v4
	v_add_nc_u32_e32 v9, 0x1000000, v4
	s_delay_alu instid0(VALU_DEP_3) | instskip(NEXT) | instid1(VALU_DEP_1)
	v_min_u32_e32 v5, 32, v5
	v_sub_nc_u32_e64 v5, v5, 4 clamp
	s_delay_alu instid0(VALU_DEP_1) | instskip(NEXT) | instid1(VALU_DEP_1)
	v_dual_lshlrev_b32 v8, v5, v4 :: v_dual_lshlrev_b32 v5, 23, v5
	v_lshrrev_b32_e32 v8, 4, v8
	s_delay_alu instid0(VALU_DEP_1) | instskip(SKIP_1) | instid1(VALU_DEP_2)
	v_sub_nc_u32_e32 v5, v8, v5
	v_ashrrev_i32_e32 v8, 8, v9
	v_add_nc_u32_e32 v5, 0x3c000000, v5
	s_delay_alu instid0(VALU_DEP_1) | instskip(NEXT) | instid1(VALU_DEP_1)
	v_and_or_b32 v5, 0x7f800000, v8, v5
	v_cndmask_b32_e32 v4, 0, v5, vcc_lo
	s_delay_alu instid0(VALU_DEP_1) | instskip(NEXT) | instid1(VALU_DEP_1)
	v_and_or_b32 v1, 0x80000000, v1, v4
	v_cvt_i32_f32_e32 v4, v1
.LBB182_1250:
	s_mov_b32 s15, 0
.LBB182_1251:
	s_delay_alu instid0(SALU_CYCLE_1)
	s_and_not1_b32 vcc_lo, exec_lo, s15
	s_cbranch_vccnz .LBB182_1253
; %bb.1252:
	global_load_u8 v1, v[2:3], off
	s_wait_loadcnt 0x0
	v_lshlrev_b32_e32 v4, 25, v1
	v_lshlrev_b16 v1, 8, v1
	s_delay_alu instid0(VALU_DEP_1) | instskip(SKIP_1) | instid1(VALU_DEP_2)
	v_and_or_b32 v8, 0x7f00, v1, 0.5
	v_bfe_i32 v1, v1, 0, 16
	v_add_f32_e32 v8, -0.5, v8
	v_lshrrev_b32_e32 v5, 4, v4
	v_cmp_gt_u32_e32 vcc_lo, 0x8000000, v4
	s_delay_alu instid0(VALU_DEP_2) | instskip(NEXT) | instid1(VALU_DEP_1)
	v_or_b32_e32 v5, 0x70000000, v5
	v_mul_f32_e32 v5, 0x7800000, v5
	s_delay_alu instid0(VALU_DEP_1) | instskip(NEXT) | instid1(VALU_DEP_1)
	v_cndmask_b32_e32 v4, v5, v8, vcc_lo
	v_and_or_b32 v1, 0x80000000, v1, v4
	s_delay_alu instid0(VALU_DEP_1)
	v_cvt_i32_f32_e32 v4, v1
.LBB182_1253:
	s_mov_b32 s15, 0
	s_mov_b32 s16, -1
.LBB182_1254:
	s_and_not1_b32 vcc_lo, exec_lo, s15
	s_mov_b32 s15, 0
	s_cbranch_vccnz .LBB182_1265
; %bb.1255:
	s_cmp_gt_i32 s0, 14
	s_cbranch_scc0 .LBB182_1258
; %bb.1256:
	s_cmp_eq_u32 s0, 15
	s_cbranch_scc0 .LBB182_1261
; %bb.1257:
	global_load_u16 v1, v[2:3], off
	s_mov_b32 s12, 0
	s_mov_b32 s16, -1
	s_wait_loadcnt 0x0
	v_lshlrev_b32_e32 v1, 16, v1
	s_delay_alu instid0(VALU_DEP_1)
	v_cvt_i32_f32_e32 v4, v1
	s_branch .LBB182_1263
.LBB182_1258:
	s_mov_b32 s15, -1
	s_branch .LBB182_1262
.LBB182_1259:
	s_and_not1_saveexec_b32 s15, s15
	s_cbranch_execz .LBB182_1240
.LBB182_1260:
	v_cmp_ne_u16_e32 vcc_lo, 0, v1
	s_and_not1_b32 s16, s16, exec_lo
	s_and_b32 s17, vcc_lo, exec_lo
	s_delay_alu instid0(SALU_CYCLE_1)
	s_or_b32 s16, s16, s17
	s_or_b32 exec_lo, exec_lo, s15
	v_mov_b32_e32 v4, 0
	s_and_saveexec_b32 s15, s16
	s_cbranch_execnz .LBB182_1241
	s_branch .LBB182_1242
.LBB182_1261:
	s_mov_b32 s12, -1
.LBB182_1262:
                                        ; implicit-def: $vgpr4
.LBB182_1263:
	s_and_b32 vcc_lo, exec_lo, s15
	s_mov_b32 s15, 0
	s_cbranch_vccz .LBB182_1265
; %bb.1264:
	s_cmp_lg_u32 s0, 11
	s_mov_b32 s15, -1
	s_cselect_b32 s12, -1, 0
.LBB182_1265:
	s_delay_alu instid0(SALU_CYCLE_1)
	s_and_b32 vcc_lo, exec_lo, s12
	s_cbranch_vccnz .LBB182_1339
; %bb.1266:
	s_and_not1_b32 vcc_lo, exec_lo, s15
	s_cbranch_vccnz .LBB182_1268
.LBB182_1267:
	global_load_u8 v1, v[2:3], off
	s_mov_b32 s16, -1
	s_wait_loadcnt 0x0
	v_cmp_ne_u16_e32 vcc_lo, 0, v1
	v_cndmask_b32_e64 v4, 0, 1, vcc_lo
.LBB182_1268:
	s_branch .LBB182_1197
.LBB182_1269:
	s_cmp_lt_i32 s0, 5
	s_cbranch_scc1 .LBB182_1274
; %bb.1270:
	s_cmp_lt_i32 s0, 8
	s_cbranch_scc1 .LBB182_1275
; %bb.1271:
	;; [unrolled: 3-line block ×3, first 2 shown]
	s_cmp_gt_i32 s0, 9
	s_cbranch_scc0 .LBB182_1277
; %bb.1273:
	s_wait_loadcnt 0x0
	global_load_b64 v[4:5], v[2:3], off
	s_mov_b32 s12, 0
	s_wait_loadcnt 0x0
	v_cvt_i32_f64_e32 v4, v[4:5]
	s_branch .LBB182_1278
.LBB182_1274:
                                        ; implicit-def: $vgpr4
	s_branch .LBB182_1296
.LBB182_1275:
	s_mov_b32 s12, -1
                                        ; implicit-def: $vgpr4
	s_branch .LBB182_1284
.LBB182_1276:
	s_mov_b32 s12, -1
                                        ; implicit-def: $vgpr4
	s_branch .LBB182_1281
.LBB182_1277:
	s_mov_b32 s12, -1
                                        ; implicit-def: $vgpr4
.LBB182_1278:
	s_delay_alu instid0(SALU_CYCLE_1)
	s_and_not1_b32 vcc_lo, exec_lo, s12
	s_cbranch_vccnz .LBB182_1280
; %bb.1279:
	global_load_b32 v1, v[2:3], off
	s_wait_loadcnt 0x0
	v_cvt_i32_f32_e32 v4, v1
.LBB182_1280:
	s_mov_b32 s12, 0
.LBB182_1281:
	s_delay_alu instid0(SALU_CYCLE_1)
	s_and_not1_b32 vcc_lo, exec_lo, s12
	s_cbranch_vccnz .LBB182_1283
; %bb.1282:
	global_load_b32 v1, v[2:3], off
	s_wait_loadcnt 0x0
	v_cvt_i16_f16_e32 v4, v1
.LBB182_1283:
	s_mov_b32 s12, 0
.LBB182_1284:
	s_delay_alu instid0(SALU_CYCLE_1)
	s_and_not1_b32 vcc_lo, exec_lo, s12
	s_cbranch_vccnz .LBB182_1295
; %bb.1285:
	s_cmp_lt_i32 s0, 6
	s_cbranch_scc1 .LBB182_1288
; %bb.1286:
	s_cmp_gt_i32 s0, 6
	s_cbranch_scc0 .LBB182_1289
; %bb.1287:
	s_wait_loadcnt 0x0
	global_load_b64 v[4:5], v[2:3], off
	s_mov_b32 s12, 0
	s_wait_loadcnt 0x0
	v_cvt_i32_f64_e32 v4, v[4:5]
	s_branch .LBB182_1290
.LBB182_1288:
	s_mov_b32 s12, -1
                                        ; implicit-def: $vgpr4
	s_branch .LBB182_1293
.LBB182_1289:
	s_mov_b32 s12, -1
                                        ; implicit-def: $vgpr4
.LBB182_1290:
	s_delay_alu instid0(SALU_CYCLE_1)
	s_and_not1_b32 vcc_lo, exec_lo, s12
	s_cbranch_vccnz .LBB182_1292
; %bb.1291:
	global_load_b32 v1, v[2:3], off
	s_wait_loadcnt 0x0
	v_cvt_i32_f32_e32 v4, v1
.LBB182_1292:
	s_mov_b32 s12, 0
.LBB182_1293:
	s_delay_alu instid0(SALU_CYCLE_1)
	s_and_not1_b32 vcc_lo, exec_lo, s12
	s_cbranch_vccnz .LBB182_1295
; %bb.1294:
	global_load_u16 v1, v[2:3], off
	s_wait_loadcnt 0x0
	v_cvt_i16_f16_e32 v4, v1
.LBB182_1295:
	s_cbranch_execnz .LBB182_1315
.LBB182_1296:
	s_cmp_lt_i32 s0, 2
	s_cbranch_scc1 .LBB182_1300
; %bb.1297:
	s_cmp_lt_i32 s0, 3
	s_cbranch_scc1 .LBB182_1301
; %bb.1298:
	s_cmp_gt_i32 s0, 3
	s_cbranch_scc0 .LBB182_1302
; %bb.1299:
	s_wait_loadcnt 0x0
	global_load_b64 v[4:5], v[2:3], off
	s_mov_b32 s12, 0
	s_branch .LBB182_1303
.LBB182_1300:
	s_mov_b32 s12, -1
                                        ; implicit-def: $vgpr4
	s_branch .LBB182_1309
.LBB182_1301:
	s_mov_b32 s12, -1
                                        ; implicit-def: $vgpr4
	s_branch .LBB182_1306
.LBB182_1302:
	s_mov_b32 s12, -1
                                        ; implicit-def: $vgpr4
.LBB182_1303:
	s_delay_alu instid0(SALU_CYCLE_1)
	s_and_not1_b32 vcc_lo, exec_lo, s12
	s_cbranch_vccnz .LBB182_1305
; %bb.1304:
	s_wait_loadcnt 0x0
	global_load_b32 v4, v[2:3], off
.LBB182_1305:
	s_mov_b32 s12, 0
.LBB182_1306:
	s_delay_alu instid0(SALU_CYCLE_1)
	s_and_not1_b32 vcc_lo, exec_lo, s12
	s_cbranch_vccnz .LBB182_1308
; %bb.1307:
	s_wait_loadcnt 0x0
	global_load_u16 v4, v[2:3], off
.LBB182_1308:
	s_mov_b32 s12, 0
.LBB182_1309:
	s_delay_alu instid0(SALU_CYCLE_1)
	s_and_not1_b32 vcc_lo, exec_lo, s12
	s_cbranch_vccnz .LBB182_1315
; %bb.1310:
	s_cmp_gt_i32 s0, 0
	s_mov_b32 s12, 0
	s_cbranch_scc0 .LBB182_1312
; %bb.1311:
	s_wait_loadcnt 0x0
	global_load_u8 v4, v[2:3], off
	s_branch .LBB182_1313
.LBB182_1312:
	s_mov_b32 s12, -1
                                        ; implicit-def: $vgpr4
.LBB182_1313:
	s_delay_alu instid0(SALU_CYCLE_1)
	s_and_not1_b32 vcc_lo, exec_lo, s12
	s_cbranch_vccnz .LBB182_1315
; %bb.1314:
	s_wait_loadcnt 0x0
	global_load_u8 v4, v[2:3], off
.LBB182_1315:
.LBB182_1316:
	s_cmp_lt_i32 s10, 1
	s_mov_b32 s12, 0
	s_cbranch_scc1 .LBB182_1319
; %bb.1317:
	s_cmp_eq_u32 s10, 1
	s_cbranch_scc0 .LBB182_1320
; %bb.1318:
	s_wait_loadcnt 0x0
	s_delay_alu instid0(VALU_DEP_1)
	v_bfe_i32 v1, v4, 0, 8
	s_bfe_i32 s15, s11, 0x80000
	s_delay_alu instid0(VALU_DEP_1) | instid1(SALU_CYCLE_1)
	v_min_i16 v8, v1, s15
	s_mov_b32 s15, 0
	s_branch .LBB182_1321
.LBB182_1319:
	s_mov_b32 s15, 0
                                        ; implicit-def: $vgpr8
	s_cbranch_execnz .LBB182_1322
	s_branch .LBB182_1323
.LBB182_1320:
	s_mov_b32 s15, -1
                                        ; implicit-def: $vgpr8
.LBB182_1321:
	s_branch .LBB182_1323
.LBB182_1322:
	s_cmp_lg_u32 s10, 0
	s_mov_b32 s12, -1
	s_cselect_b32 s15, -1, 0
.LBB182_1323:
	s_wait_loadcnt 0x0
	s_delay_alu instid0(VALU_DEP_1)
	v_bfe_i32 v1, v4, 0, 8
	s_and_not1_b32 vcc_lo, exec_lo, s15
	s_cbranch_vccnz .LBB182_1325
; %bb.1324:
	s_bfe_i32 s12, s11, 0x80000
	s_wait_xcnt 0x0
	v_max_i16 v2, v1, s12
	s_bfe_i32 s12, s1, 0x80000
	s_delay_alu instid0(VALU_DEP_1) | instid1(SALU_CYCLE_1)
	v_min_i16 v8, v2, s12
	s_cbranch_execz .LBB182_1326
	s_branch .LBB182_1327
.LBB182_1325:
	s_and_not1_b32 vcc_lo, exec_lo, s12
	s_cbranch_vccnz .LBB182_1327
.LBB182_1326:
	s_bfe_i32 s12, s11, 0x80000
	s_delay_alu instid0(SALU_CYCLE_1)
	v_max_i16 v8, v1, s12
.LBB182_1327:
	v_add_nc_u32_e32 v0, s9, v0
	s_cmp_lt_i32 s0, 11
	s_delay_alu instid0(VALU_DEP_1) | instskip(SKIP_1) | instid1(VALU_DEP_1)
	v_ashrrev_i32_e32 v1, 31, v0
	s_wait_xcnt 0x0
	v_add_nc_u64_e32 v[2:3], s[6:7], v[0:1]
	s_cbranch_scc1 .LBB182_1334
; %bb.1328:
	s_cmp_gt_i32 s0, 25
	s_mov_b32 s15, 0
	s_cbranch_scc0 .LBB182_1336
; %bb.1329:
	s_cmp_gt_i32 s0, 28
	s_cbranch_scc0 .LBB182_1337
; %bb.1330:
	s_cmp_gt_i32 s0, 43
	;; [unrolled: 3-line block ×3, first 2 shown]
	s_cbranch_scc0 .LBB182_1340
; %bb.1332:
	s_cmp_eq_u32 s0, 46
	s_mov_b32 s17, 0
	s_cbranch_scc0 .LBB182_1341
; %bb.1333:
	global_load_b32 v1, v[2:3], off
	s_mov_b32 s12, 0
	s_mov_b32 s16, -1
	s_wait_loadcnt 0x0
	v_lshlrev_b32_e32 v1, 16, v1
	s_delay_alu instid0(VALU_DEP_1)
	v_cvt_i32_f32_e32 v4, v1
	s_branch .LBB182_1343
.LBB182_1334:
	s_mov_b32 s16, 0
                                        ; implicit-def: $vgpr4
	s_cbranch_execnz .LBB182_1405
.LBB182_1335:
	s_and_not1_b32 vcc_lo, exec_lo, s16
	s_cbranch_vccnz .LBB182_1594
	s_branch .LBB182_1453
.LBB182_1336:
	s_mov_b32 s17, -1
	s_mov_b32 s16, 0
	s_mov_b32 s12, 0
                                        ; implicit-def: $vgpr4
	s_branch .LBB182_1370
.LBB182_1337:
	s_mov_b32 s17, -1
	s_mov_b32 s16, 0
	s_mov_b32 s12, 0
                                        ; implicit-def: $vgpr4
	s_branch .LBB182_1353
.LBB182_1338:
	s_mov_b32 s17, -1
	s_mov_b32 s16, 0
	s_mov_b32 s12, 0
                                        ; implicit-def: $vgpr4
	s_branch .LBB182_1348
.LBB182_1339:
	s_or_b32 s3, s3, exec_lo
	s_trap 2
	s_cbranch_execz .LBB182_1267
	s_branch .LBB182_1268
.LBB182_1340:
	s_mov_b32 s17, -1
	s_mov_b32 s16, 0
	s_mov_b32 s12, 0
	s_branch .LBB182_1342
.LBB182_1341:
	s_mov_b32 s12, -1
	s_mov_b32 s16, 0
.LBB182_1342:
                                        ; implicit-def: $vgpr4
.LBB182_1343:
	s_and_b32 vcc_lo, exec_lo, s17
	s_cbranch_vccz .LBB182_1347
; %bb.1344:
	s_cmp_eq_u32 s0, 44
	s_cbranch_scc0 .LBB182_1346
; %bb.1345:
	global_load_u8 v1, v[2:3], off
	s_mov_b32 s12, 0
	s_mov_b32 s16, -1
	s_wait_loadcnt 0x0
	v_lshlrev_b32_e32 v4, 23, v1
	v_cmp_ne_u32_e32 vcc_lo, 0, v1
	s_delay_alu instid0(VALU_DEP_2) | instskip(NEXT) | instid1(VALU_DEP_1)
	v_cvt_i32_f32_e32 v4, v4
	v_cndmask_b32_e32 v4, 0, v4, vcc_lo
	s_branch .LBB182_1347
.LBB182_1346:
	s_mov_b32 s12, -1
                                        ; implicit-def: $vgpr4
.LBB182_1347:
	s_mov_b32 s17, 0
.LBB182_1348:
	s_delay_alu instid0(SALU_CYCLE_1)
	s_and_b32 vcc_lo, exec_lo, s17
	s_cbranch_vccz .LBB182_1352
; %bb.1349:
	s_cmp_eq_u32 s0, 29
	s_cbranch_scc0 .LBB182_1351
; %bb.1350:
	global_load_b64 v[4:5], v[2:3], off
	s_mov_b32 s12, 0
	s_mov_b32 s16, -1
	s_branch .LBB182_1352
.LBB182_1351:
	s_mov_b32 s12, -1
                                        ; implicit-def: $vgpr4
.LBB182_1352:
	s_mov_b32 s17, 0
.LBB182_1353:
	s_delay_alu instid0(SALU_CYCLE_1)
	s_and_b32 vcc_lo, exec_lo, s17
	s_cbranch_vccz .LBB182_1369
; %bb.1354:
	s_cmp_lt_i32 s0, 27
	s_cbranch_scc1 .LBB182_1357
; %bb.1355:
	s_cmp_gt_i32 s0, 27
	s_cbranch_scc0 .LBB182_1358
; %bb.1356:
	s_wait_loadcnt 0x0
	global_load_b32 v4, v[2:3], off
	s_mov_b32 s16, 0
	s_branch .LBB182_1359
.LBB182_1357:
	s_mov_b32 s16, -1
                                        ; implicit-def: $vgpr4
	s_branch .LBB182_1362
.LBB182_1358:
	s_mov_b32 s16, -1
                                        ; implicit-def: $vgpr4
.LBB182_1359:
	s_delay_alu instid0(SALU_CYCLE_1)
	s_and_not1_b32 vcc_lo, exec_lo, s16
	s_cbranch_vccnz .LBB182_1361
; %bb.1360:
	s_wait_loadcnt 0x0
	global_load_u16 v4, v[2:3], off
.LBB182_1361:
	s_mov_b32 s16, 0
.LBB182_1362:
	s_delay_alu instid0(SALU_CYCLE_1)
	s_and_not1_b32 vcc_lo, exec_lo, s16
	s_cbranch_vccnz .LBB182_1368
; %bb.1363:
	global_load_u8 v1, v[2:3], off
	s_mov_b32 s17, 0
	s_mov_b32 s16, exec_lo
	s_wait_loadcnt 0x0
	v_cmpx_lt_i16_e32 0x7f, v1
	s_xor_b32 s16, exec_lo, s16
	s_cbranch_execz .LBB182_1380
; %bb.1364:
	v_cmp_ne_u16_e32 vcc_lo, 0x80, v1
	s_and_b32 s17, vcc_lo, exec_lo
	s_and_not1_saveexec_b32 s16, s16
	s_cbranch_execnz .LBB182_1381
.LBB182_1365:
	s_or_b32 exec_lo, exec_lo, s16
	v_mov_b32_e32 v4, 0
	s_and_saveexec_b32 s16, s17
	s_cbranch_execz .LBB182_1367
.LBB182_1366:
	v_and_b32_e32 v4, 0xffff, v1
	s_delay_alu instid0(VALU_DEP_1) | instskip(SKIP_1) | instid1(VALU_DEP_2)
	v_and_b32_e32 v5, 7, v4
	v_bfe_u32 v11, v4, 3, 4
	v_clz_i32_u32_e32 v9, v5
	s_delay_alu instid0(VALU_DEP_2) | instskip(NEXT) | instid1(VALU_DEP_2)
	v_cmp_eq_u32_e32 vcc_lo, 0, v11
	v_min_u32_e32 v9, 32, v9
	s_delay_alu instid0(VALU_DEP_1) | instskip(NEXT) | instid1(VALU_DEP_1)
	v_subrev_nc_u32_e32 v10, 28, v9
	v_dual_lshlrev_b32 v4, v10, v4 :: v_dual_sub_nc_u32 v9, 29, v9
	s_delay_alu instid0(VALU_DEP_1) | instskip(NEXT) | instid1(VALU_DEP_1)
	v_dual_lshlrev_b32 v1, 24, v1 :: v_dual_bitop2_b32 v4, 7, v4 bitop3:0x40
	v_dual_cndmask_b32 v4, v5, v4 :: v_dual_cndmask_b32 v9, v11, v9
	s_delay_alu instid0(VALU_DEP_2) | instskip(NEXT) | instid1(VALU_DEP_2)
	v_and_b32_e32 v1, 0x80000000, v1
	v_lshlrev_b32_e32 v4, 20, v4
	s_delay_alu instid0(VALU_DEP_3) | instskip(NEXT) | instid1(VALU_DEP_1)
	v_lshl_add_u32 v5, v9, 23, 0x3b800000
	v_or3_b32 v1, v1, v5, v4
	s_delay_alu instid0(VALU_DEP_1)
	v_cvt_i32_f32_e32 v4, v1
.LBB182_1367:
	s_or_b32 exec_lo, exec_lo, s16
.LBB182_1368:
	s_mov_b32 s16, -1
.LBB182_1369:
	s_mov_b32 s17, 0
.LBB182_1370:
	s_delay_alu instid0(SALU_CYCLE_1)
	s_and_b32 vcc_lo, exec_lo, s17
	s_cbranch_vccz .LBB182_1401
; %bb.1371:
	s_cmp_gt_i32 s0, 22
	s_cbranch_scc0 .LBB182_1379
; %bb.1372:
	s_cmp_lt_i32 s0, 24
	s_cbranch_scc1 .LBB182_1382
; %bb.1373:
	s_cmp_gt_i32 s0, 24
	s_cbranch_scc0 .LBB182_1383
; %bb.1374:
	global_load_u8 v1, v[2:3], off
	s_mov_b32 s16, 0
	s_mov_b32 s15, exec_lo
	s_wait_loadcnt 0x0
	v_cmpx_lt_i16_e32 0x7f, v1
	s_xor_b32 s15, exec_lo, s15
	s_cbranch_execz .LBB182_1395
; %bb.1375:
	v_cmp_ne_u16_e32 vcc_lo, 0x80, v1
	s_and_b32 s16, vcc_lo, exec_lo
	s_and_not1_saveexec_b32 s15, s15
	s_cbranch_execnz .LBB182_1396
.LBB182_1376:
	s_or_b32 exec_lo, exec_lo, s15
	v_mov_b32_e32 v4, 0
	s_and_saveexec_b32 s15, s16
	s_cbranch_execz .LBB182_1378
.LBB182_1377:
	v_and_b32_e32 v4, 0xffff, v1
	s_delay_alu instid0(VALU_DEP_1) | instskip(SKIP_1) | instid1(VALU_DEP_2)
	v_and_b32_e32 v5, 3, v4
	v_bfe_u32 v11, v4, 2, 5
	v_clz_i32_u32_e32 v9, v5
	s_delay_alu instid0(VALU_DEP_2) | instskip(NEXT) | instid1(VALU_DEP_2)
	v_cmp_eq_u32_e32 vcc_lo, 0, v11
	v_min_u32_e32 v9, 32, v9
	s_delay_alu instid0(VALU_DEP_1) | instskip(NEXT) | instid1(VALU_DEP_1)
	v_subrev_nc_u32_e32 v10, 29, v9
	v_dual_lshlrev_b32 v4, v10, v4 :: v_dual_sub_nc_u32 v9, 30, v9
	s_delay_alu instid0(VALU_DEP_1) | instskip(NEXT) | instid1(VALU_DEP_1)
	v_dual_lshlrev_b32 v1, 24, v1 :: v_dual_bitop2_b32 v4, 3, v4 bitop3:0x40
	v_dual_cndmask_b32 v4, v5, v4 :: v_dual_cndmask_b32 v9, v11, v9
	s_delay_alu instid0(VALU_DEP_2) | instskip(NEXT) | instid1(VALU_DEP_2)
	v_and_b32_e32 v1, 0x80000000, v1
	v_lshlrev_b32_e32 v4, 21, v4
	s_delay_alu instid0(VALU_DEP_3) | instskip(NEXT) | instid1(VALU_DEP_1)
	v_lshl_add_u32 v5, v9, 23, 0x37800000
	v_or3_b32 v1, v1, v5, v4
	s_delay_alu instid0(VALU_DEP_1)
	v_cvt_i32_f32_e32 v4, v1
.LBB182_1378:
	s_or_b32 exec_lo, exec_lo, s15
	s_mov_b32 s15, 0
	s_branch .LBB182_1384
.LBB182_1379:
	s_mov_b32 s15, -1
                                        ; implicit-def: $vgpr4
	s_branch .LBB182_1390
.LBB182_1380:
	s_and_not1_saveexec_b32 s16, s16
	s_cbranch_execz .LBB182_1365
.LBB182_1381:
	v_cmp_ne_u16_e32 vcc_lo, 0, v1
	s_and_not1_b32 s17, s17, exec_lo
	s_and_b32 s18, vcc_lo, exec_lo
	s_delay_alu instid0(SALU_CYCLE_1)
	s_or_b32 s17, s17, s18
	s_or_b32 exec_lo, exec_lo, s16
	v_mov_b32_e32 v4, 0
	s_and_saveexec_b32 s16, s17
	s_cbranch_execnz .LBB182_1366
	s_branch .LBB182_1367
.LBB182_1382:
	s_mov_b32 s15, -1
                                        ; implicit-def: $vgpr4
	s_branch .LBB182_1387
.LBB182_1383:
	s_mov_b32 s15, -1
                                        ; implicit-def: $vgpr4
.LBB182_1384:
	s_delay_alu instid0(SALU_CYCLE_1)
	s_and_b32 vcc_lo, exec_lo, s15
	s_cbranch_vccz .LBB182_1386
; %bb.1385:
	global_load_u8 v1, v[2:3], off
	s_wait_loadcnt 0x0
	v_lshlrev_b32_e32 v1, 24, v1
	s_delay_alu instid0(VALU_DEP_1) | instskip(NEXT) | instid1(VALU_DEP_1)
	v_and_b32_e32 v4, 0x7f000000, v1
	v_clz_i32_u32_e32 v5, v4
	v_add_nc_u32_e32 v10, 0x1000000, v4
	v_cmp_ne_u32_e32 vcc_lo, 0, v4
	s_delay_alu instid0(VALU_DEP_3) | instskip(NEXT) | instid1(VALU_DEP_1)
	v_min_u32_e32 v5, 32, v5
	v_sub_nc_u32_e64 v5, v5, 4 clamp
	s_delay_alu instid0(VALU_DEP_1) | instskip(NEXT) | instid1(VALU_DEP_1)
	v_dual_lshlrev_b32 v9, v5, v4 :: v_dual_lshlrev_b32 v5, 23, v5
	v_lshrrev_b32_e32 v9, 4, v9
	s_delay_alu instid0(VALU_DEP_1) | instskip(NEXT) | instid1(VALU_DEP_1)
	v_dual_sub_nc_u32 v5, v9, v5 :: v_dual_ashrrev_i32 v9, 8, v10
	v_add_nc_u32_e32 v5, 0x3c000000, v5
	s_delay_alu instid0(VALU_DEP_1) | instskip(NEXT) | instid1(VALU_DEP_1)
	v_and_or_b32 v5, 0x7f800000, v9, v5
	v_cndmask_b32_e32 v4, 0, v5, vcc_lo
	s_delay_alu instid0(VALU_DEP_1) | instskip(NEXT) | instid1(VALU_DEP_1)
	v_and_or_b32 v1, 0x80000000, v1, v4
	v_cvt_i32_f32_e32 v4, v1
.LBB182_1386:
	s_mov_b32 s15, 0
.LBB182_1387:
	s_delay_alu instid0(SALU_CYCLE_1)
	s_and_not1_b32 vcc_lo, exec_lo, s15
	s_cbranch_vccnz .LBB182_1389
; %bb.1388:
	global_load_u8 v1, v[2:3], off
	s_wait_loadcnt 0x0
	v_lshlrev_b32_e32 v4, 25, v1
	v_lshlrev_b16 v1, 8, v1
	s_delay_alu instid0(VALU_DEP_2) | instskip(NEXT) | instid1(VALU_DEP_2)
	v_cmp_gt_u32_e32 vcc_lo, 0x8000000, v4
	v_and_or_b32 v9, 0x7f00, v1, 0.5
	v_lshrrev_b32_e32 v5, 4, v4
	v_bfe_i32 v1, v1, 0, 16
	s_delay_alu instid0(VALU_DEP_3) | instskip(NEXT) | instid1(VALU_DEP_3)
	v_add_f32_e32 v9, -0.5, v9
	v_or_b32_e32 v5, 0x70000000, v5
	s_delay_alu instid0(VALU_DEP_1) | instskip(NEXT) | instid1(VALU_DEP_1)
	v_mul_f32_e32 v5, 0x7800000, v5
	v_cndmask_b32_e32 v4, v5, v9, vcc_lo
	s_delay_alu instid0(VALU_DEP_1) | instskip(NEXT) | instid1(VALU_DEP_1)
	v_and_or_b32 v1, 0x80000000, v1, v4
	v_cvt_i32_f32_e32 v4, v1
.LBB182_1389:
	s_mov_b32 s15, 0
	s_mov_b32 s16, -1
.LBB182_1390:
	s_and_not1_b32 vcc_lo, exec_lo, s15
	s_mov_b32 s15, 0
	s_cbranch_vccnz .LBB182_1401
; %bb.1391:
	s_cmp_gt_i32 s0, 14
	s_cbranch_scc0 .LBB182_1394
; %bb.1392:
	s_cmp_eq_u32 s0, 15
	s_cbranch_scc0 .LBB182_1397
; %bb.1393:
	global_load_u16 v1, v[2:3], off
	s_mov_b32 s12, 0
	s_mov_b32 s16, -1
	s_wait_loadcnt 0x0
	v_lshlrev_b32_e32 v1, 16, v1
	s_delay_alu instid0(VALU_DEP_1)
	v_cvt_i32_f32_e32 v4, v1
	s_branch .LBB182_1399
.LBB182_1394:
	s_mov_b32 s15, -1
	s_branch .LBB182_1398
.LBB182_1395:
	s_and_not1_saveexec_b32 s15, s15
	s_cbranch_execz .LBB182_1376
.LBB182_1396:
	v_cmp_ne_u16_e32 vcc_lo, 0, v1
	s_and_not1_b32 s16, s16, exec_lo
	s_and_b32 s17, vcc_lo, exec_lo
	s_delay_alu instid0(SALU_CYCLE_1)
	s_or_b32 s16, s16, s17
	s_or_b32 exec_lo, exec_lo, s15
	v_mov_b32_e32 v4, 0
	s_and_saveexec_b32 s15, s16
	s_cbranch_execnz .LBB182_1377
	s_branch .LBB182_1378
.LBB182_1397:
	s_mov_b32 s12, -1
.LBB182_1398:
                                        ; implicit-def: $vgpr4
.LBB182_1399:
	s_and_b32 vcc_lo, exec_lo, s15
	s_mov_b32 s15, 0
	s_cbranch_vccz .LBB182_1401
; %bb.1400:
	s_cmp_lg_u32 s0, 11
	s_mov_b32 s15, -1
	s_cselect_b32 s12, -1, 0
.LBB182_1401:
	s_delay_alu instid0(SALU_CYCLE_1)
	s_and_b32 vcc_lo, exec_lo, s12
	s_cbranch_vccnz .LBB182_1475
; %bb.1402:
	s_and_not1_b32 vcc_lo, exec_lo, s15
	s_cbranch_vccnz .LBB182_1404
.LBB182_1403:
	global_load_u8 v1, v[2:3], off
	s_mov_b32 s16, -1
	s_wait_loadcnt 0x0
	v_cmp_ne_u16_e32 vcc_lo, 0, v1
	v_cndmask_b32_e64 v4, 0, 1, vcc_lo
.LBB182_1404:
	s_branch .LBB182_1335
.LBB182_1405:
	s_cmp_lt_i32 s0, 5
	s_cbranch_scc1 .LBB182_1410
; %bb.1406:
	s_cmp_lt_i32 s0, 8
	s_cbranch_scc1 .LBB182_1411
; %bb.1407:
	;; [unrolled: 3-line block ×3, first 2 shown]
	s_cmp_gt_i32 s0, 9
	s_cbranch_scc0 .LBB182_1413
; %bb.1409:
	s_wait_loadcnt 0x0
	global_load_b64 v[4:5], v[2:3], off
	s_mov_b32 s12, 0
	s_wait_loadcnt 0x0
	v_cvt_i32_f64_e32 v4, v[4:5]
	s_branch .LBB182_1414
.LBB182_1410:
	s_mov_b32 s12, -1
                                        ; implicit-def: $vgpr4
	s_branch .LBB182_1432
.LBB182_1411:
	s_mov_b32 s12, -1
                                        ; implicit-def: $vgpr4
	s_branch .LBB182_1420
.LBB182_1412:
	s_mov_b32 s12, -1
                                        ; implicit-def: $vgpr4
	s_branch .LBB182_1417
.LBB182_1413:
	s_mov_b32 s12, -1
                                        ; implicit-def: $vgpr4
.LBB182_1414:
	s_delay_alu instid0(SALU_CYCLE_1)
	s_and_not1_b32 vcc_lo, exec_lo, s12
	s_cbranch_vccnz .LBB182_1416
; %bb.1415:
	global_load_b32 v1, v[2:3], off
	s_wait_loadcnt 0x0
	v_cvt_i32_f32_e32 v4, v1
.LBB182_1416:
	s_mov_b32 s12, 0
.LBB182_1417:
	s_delay_alu instid0(SALU_CYCLE_1)
	s_and_not1_b32 vcc_lo, exec_lo, s12
	s_cbranch_vccnz .LBB182_1419
; %bb.1418:
	global_load_b32 v1, v[2:3], off
	s_wait_loadcnt 0x0
	v_cvt_i16_f16_e32 v4, v1
.LBB182_1419:
	s_mov_b32 s12, 0
.LBB182_1420:
	s_delay_alu instid0(SALU_CYCLE_1)
	s_and_not1_b32 vcc_lo, exec_lo, s12
	s_cbranch_vccnz .LBB182_1431
; %bb.1421:
	s_cmp_lt_i32 s0, 6
	s_cbranch_scc1 .LBB182_1424
; %bb.1422:
	s_cmp_gt_i32 s0, 6
	s_cbranch_scc0 .LBB182_1425
; %bb.1423:
	s_wait_loadcnt 0x0
	global_load_b64 v[4:5], v[2:3], off
	s_mov_b32 s12, 0
	s_wait_loadcnt 0x0
	v_cvt_i32_f64_e32 v4, v[4:5]
	s_branch .LBB182_1426
.LBB182_1424:
	s_mov_b32 s12, -1
                                        ; implicit-def: $vgpr4
	s_branch .LBB182_1429
.LBB182_1425:
	s_mov_b32 s12, -1
                                        ; implicit-def: $vgpr4
.LBB182_1426:
	s_delay_alu instid0(SALU_CYCLE_1)
	s_and_not1_b32 vcc_lo, exec_lo, s12
	s_cbranch_vccnz .LBB182_1428
; %bb.1427:
	global_load_b32 v1, v[2:3], off
	s_wait_loadcnt 0x0
	v_cvt_i32_f32_e32 v4, v1
.LBB182_1428:
	s_mov_b32 s12, 0
.LBB182_1429:
	s_delay_alu instid0(SALU_CYCLE_1)
	s_and_not1_b32 vcc_lo, exec_lo, s12
	s_cbranch_vccnz .LBB182_1431
; %bb.1430:
	global_load_u16 v1, v[2:3], off
	s_wait_loadcnt 0x0
	v_cvt_i16_f16_e32 v4, v1
.LBB182_1431:
	s_mov_b32 s12, 0
.LBB182_1432:
	s_delay_alu instid0(SALU_CYCLE_1)
	s_and_not1_b32 vcc_lo, exec_lo, s12
	s_cbranch_vccnz .LBB182_1452
; %bb.1433:
	s_cmp_lt_i32 s0, 2
	s_cbranch_scc1 .LBB182_1437
; %bb.1434:
	s_cmp_lt_i32 s0, 3
	s_cbranch_scc1 .LBB182_1438
; %bb.1435:
	s_cmp_gt_i32 s0, 3
	s_cbranch_scc0 .LBB182_1439
; %bb.1436:
	s_wait_loadcnt 0x0
	global_load_b64 v[4:5], v[2:3], off
	s_mov_b32 s12, 0
	s_branch .LBB182_1440
.LBB182_1437:
	s_mov_b32 s12, -1
                                        ; implicit-def: $vgpr4
	s_branch .LBB182_1446
.LBB182_1438:
	s_mov_b32 s12, -1
                                        ; implicit-def: $vgpr4
	s_branch .LBB182_1443
.LBB182_1439:
	s_mov_b32 s12, -1
                                        ; implicit-def: $vgpr4
.LBB182_1440:
	s_delay_alu instid0(SALU_CYCLE_1)
	s_and_not1_b32 vcc_lo, exec_lo, s12
	s_cbranch_vccnz .LBB182_1442
; %bb.1441:
	s_wait_loadcnt 0x0
	global_load_b32 v4, v[2:3], off
.LBB182_1442:
	s_mov_b32 s12, 0
.LBB182_1443:
	s_delay_alu instid0(SALU_CYCLE_1)
	s_and_not1_b32 vcc_lo, exec_lo, s12
	s_cbranch_vccnz .LBB182_1445
; %bb.1444:
	s_wait_loadcnt 0x0
	global_load_u16 v4, v[2:3], off
.LBB182_1445:
	s_mov_b32 s12, 0
.LBB182_1446:
	s_delay_alu instid0(SALU_CYCLE_1)
	s_and_not1_b32 vcc_lo, exec_lo, s12
	s_cbranch_vccnz .LBB182_1452
; %bb.1447:
	s_cmp_gt_i32 s0, 0
	s_mov_b32 s12, 0
	s_cbranch_scc0 .LBB182_1449
; %bb.1448:
	s_wait_loadcnt 0x0
	global_load_u8 v4, v[2:3], off
	s_branch .LBB182_1450
.LBB182_1449:
	s_mov_b32 s12, -1
                                        ; implicit-def: $vgpr4
.LBB182_1450:
	s_delay_alu instid0(SALU_CYCLE_1)
	s_and_not1_b32 vcc_lo, exec_lo, s12
	s_cbranch_vccnz .LBB182_1452
; %bb.1451:
	s_wait_loadcnt 0x0
	global_load_u8 v4, v[2:3], off
.LBB182_1452:
.LBB182_1453:
	s_cmp_lt_i32 s10, 1
	s_mov_b32 s12, 0
	s_cbranch_scc1 .LBB182_1456
; %bb.1454:
	s_cmp_eq_u32 s10, 1
	s_cbranch_scc0 .LBB182_1459
; %bb.1455:
	s_wait_loadcnt 0x0
	s_delay_alu instid0(VALU_DEP_1)
	v_bfe_i32 v1, v4, 0, 8
	s_bfe_i32 s15, s11, 0x80000
	s_delay_alu instid0(VALU_DEP_1) | instid1(SALU_CYCLE_1)
	v_min_i16 v5, v1, s15
	s_mov_b32 s15, 0
	s_branch .LBB182_1460
.LBB182_1456:
	s_mov_b32 s15, 0
                                        ; implicit-def: $vgpr5
	s_cbranch_execnz .LBB182_1461
.LBB182_1457:
	s_wait_loadcnt 0x0
	s_delay_alu instid0(VALU_DEP_1)
	v_bfe_i32 v1, v4, 0, 8
	s_and_not1_b32 vcc_lo, exec_lo, s15
	s_cbranch_vccnz .LBB182_1462
.LBB182_1458:
	s_bfe_i32 s12, s11, 0x80000
	s_wait_xcnt 0x0
	v_max_i16 v2, v1, s12
	s_bfe_i32 s12, s1, 0x80000
	s_delay_alu instid0(VALU_DEP_1) | instid1(SALU_CYCLE_1)
	v_min_i16 v5, v2, s12
	s_cbranch_execz .LBB182_1463
	s_branch .LBB182_1464
.LBB182_1459:
	s_mov_b32 s15, -1
                                        ; implicit-def: $vgpr5
.LBB182_1460:
	s_branch .LBB182_1457
.LBB182_1461:
	s_cmp_lg_u32 s10, 0
	s_mov_b32 s12, -1
	s_cselect_b32 s15, -1, 0
	s_wait_loadcnt 0x0
	s_delay_alu instid0(VALU_DEP_1)
	v_bfe_i32 v1, v4, 0, 8
	s_and_not1_b32 vcc_lo, exec_lo, s15
	s_cbranch_vccz .LBB182_1458
.LBB182_1462:
	s_and_not1_b32 vcc_lo, exec_lo, s12
	s_cbranch_vccnz .LBB182_1464
.LBB182_1463:
	s_bfe_i32 s12, s11, 0x80000
	s_delay_alu instid0(SALU_CYCLE_1)
	v_max_i16 v5, v1, s12
.LBB182_1464:
	v_add_nc_u32_e32 v0, s9, v0
	s_cmp_lt_i32 s0, 11
	s_delay_alu instid0(VALU_DEP_1) | instskip(NEXT) | instid1(VALU_DEP_1)
	v_ashrrev_i32_e32 v1, 31, v0
	v_add_nc_u64_e32 v[0:1], s[6:7], v[0:1]
	s_cbranch_scc1 .LBB182_1471
; %bb.1465:
	s_cmp_gt_i32 s0, 25
	s_mov_b32 s7, 0
	s_cbranch_scc0 .LBB182_1472
; %bb.1466:
	s_cmp_gt_i32 s0, 28
	s_cbranch_scc0 .LBB182_1473
; %bb.1467:
	s_cmp_gt_i32 s0, 43
	s_cbranch_scc0 .LBB182_1474
; %bb.1468:
	s_cmp_gt_i32 s0, 45
	s_cbranch_scc0 .LBB182_1476
; %bb.1469:
	s_cmp_eq_u32 s0, 46
	s_mov_b32 s12, 0
	s_cbranch_scc0 .LBB182_1477
; %bb.1470:
	global_load_b32 v2, v[0:1], off
	s_mov_b32 s6, 0
	s_mov_b32 s9, -1
	s_wait_loadcnt 0x0
	v_lshlrev_b32_e32 v2, 16, v2
	s_delay_alu instid0(VALU_DEP_1)
	v_cvt_i32_f32_e32 v2, v2
	s_branch .LBB182_1479
.LBB182_1471:
	s_mov_b32 s6, -1
	s_mov_b32 s9, 0
                                        ; implicit-def: $vgpr2
	s_branch .LBB182_1541
.LBB182_1472:
	s_mov_b32 s12, -1
	s_mov_b32 s9, 0
	s_mov_b32 s6, 0
                                        ; implicit-def: $vgpr2
	s_branch .LBB182_1506
.LBB182_1473:
	s_mov_b32 s12, -1
	s_mov_b32 s9, 0
	s_mov_b32 s6, 0
                                        ; implicit-def: $vgpr2
	s_branch .LBB182_1489
.LBB182_1474:
	s_mov_b32 s12, -1
	s_mov_b32 s9, 0
	s_mov_b32 s6, 0
                                        ; implicit-def: $vgpr2
	s_branch .LBB182_1484
.LBB182_1475:
	s_or_b32 s3, s3, exec_lo
	s_trap 2
	s_cbranch_execz .LBB182_1403
	s_branch .LBB182_1404
.LBB182_1476:
	s_mov_b32 s12, -1
	s_mov_b32 s9, 0
	s_mov_b32 s6, 0
	s_branch .LBB182_1478
.LBB182_1477:
	s_mov_b32 s6, -1
	s_mov_b32 s9, 0
.LBB182_1478:
                                        ; implicit-def: $vgpr2
.LBB182_1479:
	s_and_b32 vcc_lo, exec_lo, s12
	s_cbranch_vccz .LBB182_1483
; %bb.1480:
	s_cmp_eq_u32 s0, 44
	s_cbranch_scc0 .LBB182_1482
; %bb.1481:
	global_load_u8 v2, v[0:1], off
	s_mov_b32 s6, 0
	s_mov_b32 s9, -1
	s_wait_loadcnt 0x0
	v_lshlrev_b32_e32 v3, 23, v2
	v_cmp_ne_u32_e32 vcc_lo, 0, v2
	s_delay_alu instid0(VALU_DEP_2) | instskip(NEXT) | instid1(VALU_DEP_1)
	v_cvt_i32_f32_e32 v3, v3
	v_cndmask_b32_e32 v2, 0, v3, vcc_lo
	s_branch .LBB182_1483
.LBB182_1482:
	s_mov_b32 s6, -1
                                        ; implicit-def: $vgpr2
.LBB182_1483:
	s_mov_b32 s12, 0
.LBB182_1484:
	s_delay_alu instid0(SALU_CYCLE_1)
	s_and_b32 vcc_lo, exec_lo, s12
	s_cbranch_vccz .LBB182_1488
; %bb.1485:
	s_cmp_eq_u32 s0, 29
	s_cbranch_scc0 .LBB182_1487
; %bb.1486:
	global_load_b64 v[2:3], v[0:1], off
	s_mov_b32 s6, 0
	s_mov_b32 s9, -1
	s_branch .LBB182_1488
.LBB182_1487:
	s_mov_b32 s6, -1
                                        ; implicit-def: $vgpr2
.LBB182_1488:
	s_mov_b32 s12, 0
.LBB182_1489:
	s_delay_alu instid0(SALU_CYCLE_1)
	s_and_b32 vcc_lo, exec_lo, s12
	s_cbranch_vccz .LBB182_1505
; %bb.1490:
	s_cmp_lt_i32 s0, 27
	s_cbranch_scc1 .LBB182_1493
; %bb.1491:
	s_cmp_gt_i32 s0, 27
	s_cbranch_scc0 .LBB182_1494
; %bb.1492:
	s_wait_loadcnt 0x0
	global_load_b32 v2, v[0:1], off
	s_mov_b32 s9, 0
	s_branch .LBB182_1495
.LBB182_1493:
	s_mov_b32 s9, -1
                                        ; implicit-def: $vgpr2
	s_branch .LBB182_1498
.LBB182_1494:
	s_mov_b32 s9, -1
                                        ; implicit-def: $vgpr2
.LBB182_1495:
	s_delay_alu instid0(SALU_CYCLE_1)
	s_and_not1_b32 vcc_lo, exec_lo, s9
	s_cbranch_vccnz .LBB182_1497
; %bb.1496:
	s_wait_loadcnt 0x0
	global_load_u16 v2, v[0:1], off
.LBB182_1497:
	s_mov_b32 s9, 0
.LBB182_1498:
	s_delay_alu instid0(SALU_CYCLE_1)
	s_and_not1_b32 vcc_lo, exec_lo, s9
	s_cbranch_vccnz .LBB182_1504
; %bb.1499:
	s_wait_loadcnt 0x0
	global_load_u8 v3, v[0:1], off
	s_mov_b32 s12, 0
	s_mov_b32 s9, exec_lo
	s_wait_loadcnt 0x0
	v_cmpx_lt_i16_e32 0x7f, v3
	s_xor_b32 s9, exec_lo, s9
	s_cbranch_execz .LBB182_1516
; %bb.1500:
	v_cmp_ne_u16_e32 vcc_lo, 0x80, v3
	s_and_b32 s12, vcc_lo, exec_lo
	s_and_not1_saveexec_b32 s9, s9
	s_cbranch_execnz .LBB182_1517
.LBB182_1501:
	s_or_b32 exec_lo, exec_lo, s9
	v_mov_b32_e32 v2, 0
	s_and_saveexec_b32 s9, s12
	s_cbranch_execz .LBB182_1503
.LBB182_1502:
	v_and_b32_e32 v2, 0xffff, v3
	s_delay_alu instid0(VALU_DEP_1) | instskip(SKIP_1) | instid1(VALU_DEP_2)
	v_and_b32_e32 v4, 7, v2
	v_bfe_u32 v11, v2, 3, 4
	v_clz_i32_u32_e32 v9, v4
	s_delay_alu instid0(VALU_DEP_2) | instskip(NEXT) | instid1(VALU_DEP_2)
	v_cmp_eq_u32_e32 vcc_lo, 0, v11
	v_min_u32_e32 v9, 32, v9
	s_delay_alu instid0(VALU_DEP_1) | instskip(NEXT) | instid1(VALU_DEP_1)
	v_subrev_nc_u32_e32 v10, 28, v9
	v_dual_lshlrev_b32 v2, v10, v2 :: v_dual_sub_nc_u32 v9, 29, v9
	s_delay_alu instid0(VALU_DEP_1) | instskip(NEXT) | instid1(VALU_DEP_1)
	v_dual_lshlrev_b32 v3, 24, v3 :: v_dual_bitop2_b32 v2, 7, v2 bitop3:0x40
	v_dual_cndmask_b32 v9, v11, v9 :: v_dual_cndmask_b32 v2, v4, v2
	s_delay_alu instid0(VALU_DEP_2) | instskip(NEXT) | instid1(VALU_DEP_2)
	v_and_b32_e32 v3, 0x80000000, v3
	v_lshl_add_u32 v4, v9, 23, 0x3b800000
	s_delay_alu instid0(VALU_DEP_3) | instskip(NEXT) | instid1(VALU_DEP_1)
	v_lshlrev_b32_e32 v2, 20, v2
	v_or3_b32 v2, v3, v4, v2
	s_delay_alu instid0(VALU_DEP_1)
	v_cvt_i32_f32_e32 v2, v2
.LBB182_1503:
	s_or_b32 exec_lo, exec_lo, s9
.LBB182_1504:
	s_mov_b32 s9, -1
.LBB182_1505:
	s_mov_b32 s12, 0
.LBB182_1506:
	s_delay_alu instid0(SALU_CYCLE_1)
	s_and_b32 vcc_lo, exec_lo, s12
	s_cbranch_vccz .LBB182_1537
; %bb.1507:
	s_cmp_gt_i32 s0, 22
	s_cbranch_scc0 .LBB182_1515
; %bb.1508:
	s_cmp_lt_i32 s0, 24
	s_cbranch_scc1 .LBB182_1518
; %bb.1509:
	s_cmp_gt_i32 s0, 24
	s_cbranch_scc0 .LBB182_1519
; %bb.1510:
	s_wait_loadcnt 0x0
	global_load_u8 v3, v[0:1], off
	s_mov_b32 s9, 0
	s_mov_b32 s7, exec_lo
	s_wait_loadcnt 0x0
	v_cmpx_lt_i16_e32 0x7f, v3
	s_xor_b32 s7, exec_lo, s7
	s_cbranch_execz .LBB182_1531
; %bb.1511:
	v_cmp_ne_u16_e32 vcc_lo, 0x80, v3
	s_and_b32 s9, vcc_lo, exec_lo
	s_and_not1_saveexec_b32 s7, s7
	s_cbranch_execnz .LBB182_1532
.LBB182_1512:
	s_or_b32 exec_lo, exec_lo, s7
	v_mov_b32_e32 v2, 0
	s_and_saveexec_b32 s7, s9
	s_cbranch_execz .LBB182_1514
.LBB182_1513:
	v_and_b32_e32 v2, 0xffff, v3
	s_delay_alu instid0(VALU_DEP_1) | instskip(SKIP_1) | instid1(VALU_DEP_2)
	v_and_b32_e32 v4, 3, v2
	v_bfe_u32 v11, v2, 2, 5
	v_clz_i32_u32_e32 v9, v4
	s_delay_alu instid0(VALU_DEP_2) | instskip(NEXT) | instid1(VALU_DEP_2)
	v_cmp_eq_u32_e32 vcc_lo, 0, v11
	v_min_u32_e32 v9, 32, v9
	s_delay_alu instid0(VALU_DEP_1) | instskip(NEXT) | instid1(VALU_DEP_1)
	v_subrev_nc_u32_e32 v10, 29, v9
	v_dual_lshlrev_b32 v2, v10, v2 :: v_dual_sub_nc_u32 v9, 30, v9
	s_delay_alu instid0(VALU_DEP_1) | instskip(NEXT) | instid1(VALU_DEP_1)
	v_dual_lshlrev_b32 v3, 24, v3 :: v_dual_bitop2_b32 v2, 3, v2 bitop3:0x40
	v_dual_cndmask_b32 v9, v11, v9 :: v_dual_cndmask_b32 v2, v4, v2
	s_delay_alu instid0(VALU_DEP_2) | instskip(NEXT) | instid1(VALU_DEP_2)
	v_and_b32_e32 v3, 0x80000000, v3
	v_lshl_add_u32 v4, v9, 23, 0x37800000
	s_delay_alu instid0(VALU_DEP_3) | instskip(NEXT) | instid1(VALU_DEP_1)
	v_lshlrev_b32_e32 v2, 21, v2
	v_or3_b32 v2, v3, v4, v2
	s_delay_alu instid0(VALU_DEP_1)
	v_cvt_i32_f32_e32 v2, v2
.LBB182_1514:
	s_or_b32 exec_lo, exec_lo, s7
	s_mov_b32 s7, 0
	s_branch .LBB182_1520
.LBB182_1515:
	s_mov_b32 s7, -1
                                        ; implicit-def: $vgpr2
	s_branch .LBB182_1526
.LBB182_1516:
	s_and_not1_saveexec_b32 s9, s9
	s_cbranch_execz .LBB182_1501
.LBB182_1517:
	v_cmp_ne_u16_e32 vcc_lo, 0, v3
	s_and_not1_b32 s12, s12, exec_lo
	s_and_b32 s15, vcc_lo, exec_lo
	s_delay_alu instid0(SALU_CYCLE_1)
	s_or_b32 s12, s12, s15
	s_or_b32 exec_lo, exec_lo, s9
	v_mov_b32_e32 v2, 0
	s_and_saveexec_b32 s9, s12
	s_cbranch_execnz .LBB182_1502
	s_branch .LBB182_1503
.LBB182_1518:
	s_mov_b32 s7, -1
                                        ; implicit-def: $vgpr2
	s_branch .LBB182_1523
.LBB182_1519:
	s_mov_b32 s7, -1
                                        ; implicit-def: $vgpr2
.LBB182_1520:
	s_delay_alu instid0(SALU_CYCLE_1)
	s_and_b32 vcc_lo, exec_lo, s7
	s_cbranch_vccz .LBB182_1522
; %bb.1521:
	s_wait_loadcnt 0x0
	global_load_u8 v2, v[0:1], off
	s_wait_loadcnt 0x0
	v_lshlrev_b32_e32 v2, 24, v2
	s_delay_alu instid0(VALU_DEP_1) | instskip(NEXT) | instid1(VALU_DEP_1)
	v_and_b32_e32 v3, 0x7f000000, v2
	v_clz_i32_u32_e32 v4, v3
	v_cmp_ne_u32_e32 vcc_lo, 0, v3
	v_add_nc_u32_e32 v10, 0x1000000, v3
	s_delay_alu instid0(VALU_DEP_3) | instskip(NEXT) | instid1(VALU_DEP_1)
	v_min_u32_e32 v4, 32, v4
	v_sub_nc_u32_e64 v4, v4, 4 clamp
	s_delay_alu instid0(VALU_DEP_1) | instskip(NEXT) | instid1(VALU_DEP_1)
	v_dual_lshlrev_b32 v9, v4, v3 :: v_dual_lshlrev_b32 v4, 23, v4
	v_lshrrev_b32_e32 v9, 4, v9
	s_delay_alu instid0(VALU_DEP_1) | instskip(NEXT) | instid1(VALU_DEP_1)
	v_dual_sub_nc_u32 v4, v9, v4 :: v_dual_ashrrev_i32 v9, 8, v10
	v_add_nc_u32_e32 v4, 0x3c000000, v4
	s_delay_alu instid0(VALU_DEP_1) | instskip(NEXT) | instid1(VALU_DEP_1)
	v_and_or_b32 v4, 0x7f800000, v9, v4
	v_cndmask_b32_e32 v3, 0, v4, vcc_lo
	s_delay_alu instid0(VALU_DEP_1) | instskip(NEXT) | instid1(VALU_DEP_1)
	v_and_or_b32 v2, 0x80000000, v2, v3
	v_cvt_i32_f32_e32 v2, v2
.LBB182_1522:
	s_mov_b32 s7, 0
.LBB182_1523:
	s_delay_alu instid0(SALU_CYCLE_1)
	s_and_not1_b32 vcc_lo, exec_lo, s7
	s_cbranch_vccnz .LBB182_1525
; %bb.1524:
	s_wait_loadcnt 0x0
	global_load_u8 v2, v[0:1], off
	s_wait_loadcnt 0x0
	v_lshlrev_b32_e32 v3, 25, v2
	v_lshlrev_b16 v2, 8, v2
	s_delay_alu instid0(VALU_DEP_1) | instskip(SKIP_1) | instid1(VALU_DEP_2)
	v_and_or_b32 v9, 0x7f00, v2, 0.5
	v_bfe_i32 v2, v2, 0, 16
	v_dual_add_f32 v9, -0.5, v9 :: v_dual_lshrrev_b32 v4, 4, v3
	v_cmp_gt_u32_e32 vcc_lo, 0x8000000, v3
	s_delay_alu instid0(VALU_DEP_2) | instskip(NEXT) | instid1(VALU_DEP_1)
	v_or_b32_e32 v4, 0x70000000, v4
	v_mul_f32_e32 v4, 0x7800000, v4
	s_delay_alu instid0(VALU_DEP_1) | instskip(NEXT) | instid1(VALU_DEP_1)
	v_cndmask_b32_e32 v3, v4, v9, vcc_lo
	v_and_or_b32 v2, 0x80000000, v2, v3
	s_delay_alu instid0(VALU_DEP_1)
	v_cvt_i32_f32_e32 v2, v2
.LBB182_1525:
	s_mov_b32 s7, 0
	s_mov_b32 s9, -1
.LBB182_1526:
	s_and_not1_b32 vcc_lo, exec_lo, s7
	s_mov_b32 s7, 0
	s_cbranch_vccnz .LBB182_1537
; %bb.1527:
	s_cmp_gt_i32 s0, 14
	s_cbranch_scc0 .LBB182_1530
; %bb.1528:
	s_cmp_eq_u32 s0, 15
	s_cbranch_scc0 .LBB182_1533
; %bb.1529:
	s_wait_loadcnt 0x0
	global_load_u16 v2, v[0:1], off
	s_mov_b32 s6, 0
	s_mov_b32 s9, -1
	s_wait_loadcnt 0x0
	v_lshlrev_b32_e32 v2, 16, v2
	s_delay_alu instid0(VALU_DEP_1)
	v_cvt_i32_f32_e32 v2, v2
	s_branch .LBB182_1535
.LBB182_1530:
	s_mov_b32 s7, -1
	s_branch .LBB182_1534
.LBB182_1531:
	s_and_not1_saveexec_b32 s7, s7
	s_cbranch_execz .LBB182_1512
.LBB182_1532:
	v_cmp_ne_u16_e32 vcc_lo, 0, v3
	s_and_not1_b32 s9, s9, exec_lo
	s_and_b32 s12, vcc_lo, exec_lo
	s_delay_alu instid0(SALU_CYCLE_1)
	s_or_b32 s9, s9, s12
	s_or_b32 exec_lo, exec_lo, s7
	v_mov_b32_e32 v2, 0
	s_and_saveexec_b32 s7, s9
	s_cbranch_execnz .LBB182_1513
	s_branch .LBB182_1514
.LBB182_1533:
	s_mov_b32 s6, -1
.LBB182_1534:
                                        ; implicit-def: $vgpr2
.LBB182_1535:
	s_and_b32 vcc_lo, exec_lo, s7
	s_mov_b32 s7, 0
	s_cbranch_vccz .LBB182_1537
; %bb.1536:
	s_cmp_lg_u32 s0, 11
	s_mov_b32 s7, -1
	s_cselect_b32 s6, -1, 0
.LBB182_1537:
	s_delay_alu instid0(SALU_CYCLE_1)
	s_and_b32 vcc_lo, exec_lo, s6
	s_cbranch_vccnz .LBB182_2083
; %bb.1538:
	s_and_not1_b32 vcc_lo, exec_lo, s7
	s_cbranch_vccnz .LBB182_1540
.LBB182_1539:
	s_wait_loadcnt 0x0
	global_load_u8 v2, v[0:1], off
	s_mov_b32 s9, -1
	s_wait_loadcnt 0x0
	v_cmp_ne_u16_e32 vcc_lo, 0, v2
	v_cndmask_b32_e64 v2, 0, 1, vcc_lo
.LBB182_1540:
	s_mov_b32 s6, 0
.LBB182_1541:
	s_delay_alu instid0(SALU_CYCLE_1)
	s_and_b32 vcc_lo, exec_lo, s6
	s_cbranch_vccz .LBB182_1590
; %bb.1542:
	s_cmp_lt_i32 s0, 5
	s_cbranch_scc1 .LBB182_1547
; %bb.1543:
	s_cmp_lt_i32 s0, 8
	s_cbranch_scc1 .LBB182_1548
	;; [unrolled: 3-line block ×3, first 2 shown]
; %bb.1545:
	s_cmp_gt_i32 s0, 9
	s_cbranch_scc0 .LBB182_1550
; %bb.1546:
	s_wait_loadcnt 0x0
	global_load_b64 v[2:3], v[0:1], off
	s_mov_b32 s6, 0
	s_wait_loadcnt 0x0
	v_cvt_i32_f64_e32 v2, v[2:3]
	s_branch .LBB182_1551
.LBB182_1547:
	s_mov_b32 s6, -1
                                        ; implicit-def: $vgpr2
	s_branch .LBB182_1569
.LBB182_1548:
	s_mov_b32 s6, -1
                                        ; implicit-def: $vgpr2
	s_branch .LBB182_1557
.LBB182_1549:
	s_mov_b32 s6, -1
                                        ; implicit-def: $vgpr2
	s_branch .LBB182_1554
.LBB182_1550:
	s_mov_b32 s6, -1
                                        ; implicit-def: $vgpr2
.LBB182_1551:
	s_delay_alu instid0(SALU_CYCLE_1)
	s_and_not1_b32 vcc_lo, exec_lo, s6
	s_cbranch_vccnz .LBB182_1553
; %bb.1552:
	s_wait_loadcnt 0x0
	global_load_b32 v2, v[0:1], off
	s_wait_loadcnt 0x0
	v_cvt_i32_f32_e32 v2, v2
.LBB182_1553:
	s_mov_b32 s6, 0
.LBB182_1554:
	s_delay_alu instid0(SALU_CYCLE_1)
	s_and_not1_b32 vcc_lo, exec_lo, s6
	s_cbranch_vccnz .LBB182_1556
; %bb.1555:
	s_wait_loadcnt 0x0
	global_load_b32 v2, v[0:1], off
	s_wait_loadcnt 0x0
	v_cvt_i16_f16_e32 v2, v2
.LBB182_1556:
	s_mov_b32 s6, 0
.LBB182_1557:
	s_delay_alu instid0(SALU_CYCLE_1)
	s_and_not1_b32 vcc_lo, exec_lo, s6
	s_cbranch_vccnz .LBB182_1568
; %bb.1558:
	s_cmp_lt_i32 s0, 6
	s_cbranch_scc1 .LBB182_1561
; %bb.1559:
	s_cmp_gt_i32 s0, 6
	s_cbranch_scc0 .LBB182_1562
; %bb.1560:
	s_wait_loadcnt 0x0
	global_load_b64 v[2:3], v[0:1], off
	s_mov_b32 s6, 0
	s_wait_loadcnt 0x0
	v_cvt_i32_f64_e32 v2, v[2:3]
	s_branch .LBB182_1563
.LBB182_1561:
	s_mov_b32 s6, -1
                                        ; implicit-def: $vgpr2
	s_branch .LBB182_1566
.LBB182_1562:
	s_mov_b32 s6, -1
                                        ; implicit-def: $vgpr2
.LBB182_1563:
	s_delay_alu instid0(SALU_CYCLE_1)
	s_and_not1_b32 vcc_lo, exec_lo, s6
	s_cbranch_vccnz .LBB182_1565
; %bb.1564:
	s_wait_loadcnt 0x0
	global_load_b32 v2, v[0:1], off
	s_wait_loadcnt 0x0
	v_cvt_i32_f32_e32 v2, v2
.LBB182_1565:
	s_mov_b32 s6, 0
.LBB182_1566:
	s_delay_alu instid0(SALU_CYCLE_1)
	s_and_not1_b32 vcc_lo, exec_lo, s6
	s_cbranch_vccnz .LBB182_1568
; %bb.1567:
	s_wait_loadcnt 0x0
	global_load_u16 v2, v[0:1], off
	s_wait_loadcnt 0x0
	v_cvt_i16_f16_e32 v2, v2
.LBB182_1568:
	s_mov_b32 s6, 0
.LBB182_1569:
	s_delay_alu instid0(SALU_CYCLE_1)
	s_and_not1_b32 vcc_lo, exec_lo, s6
	s_cbranch_vccnz .LBB182_1589
; %bb.1570:
	s_cmp_lt_i32 s0, 2
	s_cbranch_scc1 .LBB182_1574
; %bb.1571:
	s_cmp_lt_i32 s0, 3
	s_cbranch_scc1 .LBB182_1575
; %bb.1572:
	s_cmp_gt_i32 s0, 3
	s_cbranch_scc0 .LBB182_1576
; %bb.1573:
	s_wait_loadcnt 0x0
	global_load_b64 v[2:3], v[0:1], off
	s_mov_b32 s6, 0
	s_branch .LBB182_1577
.LBB182_1574:
	s_mov_b32 s6, -1
                                        ; implicit-def: $vgpr2
	s_branch .LBB182_1583
.LBB182_1575:
	s_mov_b32 s6, -1
                                        ; implicit-def: $vgpr2
	s_branch .LBB182_1580
.LBB182_1576:
	s_mov_b32 s6, -1
                                        ; implicit-def: $vgpr2
.LBB182_1577:
	s_delay_alu instid0(SALU_CYCLE_1)
	s_and_not1_b32 vcc_lo, exec_lo, s6
	s_cbranch_vccnz .LBB182_1579
; %bb.1578:
	s_wait_loadcnt 0x0
	global_load_b32 v2, v[0:1], off
.LBB182_1579:
	s_mov_b32 s6, 0
.LBB182_1580:
	s_delay_alu instid0(SALU_CYCLE_1)
	s_and_not1_b32 vcc_lo, exec_lo, s6
	s_cbranch_vccnz .LBB182_1582
; %bb.1581:
	s_wait_loadcnt 0x0
	global_load_u16 v2, v[0:1], off
.LBB182_1582:
	s_mov_b32 s6, 0
.LBB182_1583:
	s_delay_alu instid0(SALU_CYCLE_1)
	s_and_not1_b32 vcc_lo, exec_lo, s6
	s_cbranch_vccnz .LBB182_1589
; %bb.1584:
	s_cmp_gt_i32 s0, 0
	s_mov_b32 s0, 0
	s_cbranch_scc0 .LBB182_1586
; %bb.1585:
	s_wait_loadcnt 0x0
	global_load_u8 v2, v[0:1], off
	s_branch .LBB182_1587
.LBB182_1586:
	s_mov_b32 s0, -1
                                        ; implicit-def: $vgpr2
.LBB182_1587:
	s_delay_alu instid0(SALU_CYCLE_1)
	s_and_not1_b32 vcc_lo, exec_lo, s0
	s_cbranch_vccnz .LBB182_1589
; %bb.1588:
	s_wait_loadcnt 0x0
	global_load_u8 v2, v[0:1], off
.LBB182_1589:
	s_mov_b32 s9, -1
.LBB182_1590:
	s_delay_alu instid0(SALU_CYCLE_1)
	s_and_not1_b32 vcc_lo, exec_lo, s9
	s_cbranch_vccnz .LBB182_1594
; %bb.1591:
	s_cmp_lt_i32 s10, 1
	s_mov_b32 s0, 0
	s_cbranch_scc1 .LBB182_1639
; %bb.1592:
	s_cmp_eq_u32 s10, 1
	s_cbranch_scc0 .LBB182_1640
; %bb.1593:
	s_wait_loadcnt 0x0
	s_delay_alu instid0(VALU_DEP_1)
	v_bfe_i32 v0, v2, 0, 8
	s_bfe_i32 s6, s11, 0x80000
	s_delay_alu instid0(VALU_DEP_1) | instid1(SALU_CYCLE_1)
	v_min_i16 v4, v0, s6
	s_mov_b32 s6, 0
	s_branch .LBB182_1641
.LBB182_1594:
	s_mov_b32 s0, 0
	s_mov_b32 s2, 0
                                        ; implicit-def: $sgpr15
                                        ; implicit-def: $vgpr0_vgpr1
                                        ; implicit-def: $vgpr4
.LBB182_1595:
	s_and_not1_b32 s1, s14, exec_lo
	s_and_b32 s4, s3, exec_lo
	s_and_b32 s0, s0, exec_lo
	;; [unrolled: 1-line block ×3, first 2 shown]
	s_or_b32 s14, s1, s4
.LBB182_1596:
	s_wait_xcnt 0x0
	s_or_b32 exec_lo, exec_lo, s13
	s_and_saveexec_b32 s1, s14
	s_cbranch_execz .LBB182_1599
; %bb.1597:
	; divergent unreachable
	s_or_b32 exec_lo, exec_lo, s1
	s_and_saveexec_b32 s1, s3
	s_delay_alu instid0(SALU_CYCLE_1)
	s_xor_b32 s1, exec_lo, s1
	s_cbranch_execnz .LBB182_1600
.LBB182_1598:
	s_or_b32 exec_lo, exec_lo, s1
	s_and_saveexec_b32 s1, s0
	s_cbranch_execnz .LBB182_1601
	s_branch .LBB182_1638
.LBB182_1599:
	s_or_b32 exec_lo, exec_lo, s1
	s_and_saveexec_b32 s1, s3
	s_delay_alu instid0(SALU_CYCLE_1)
	s_xor_b32 s1, exec_lo, s1
	s_cbranch_execz .LBB182_1598
.LBB182_1600:
	s_wait_loadcnt 0x0
	v_and_b32_e32 v2, 0xff, v4
	s_delay_alu instid0(VALU_DEP_1)
	v_cmp_ne_u16_e32 vcc_lo, 0, v2
	v_cndmask_b32_e64 v2, 0, 1, vcc_lo
	global_store_b8 v[0:1], v2, off
	s_wait_xcnt 0x0
	s_or_b32 exec_lo, exec_lo, s1
	s_and_saveexec_b32 s1, s0
	s_cbranch_execz .LBB182_1638
.LBB182_1601:
	s_sext_i32_i16 s1, s15
	s_mov_b32 s0, -1
	s_cmp_lt_i32 s1, 5
	s_cbranch_scc1 .LBB182_1622
; %bb.1602:
	s_cmp_lt_i32 s1, 8
	s_cbranch_scc1 .LBB182_1612
; %bb.1603:
	;; [unrolled: 3-line block ×3, first 2 shown]
	s_cmp_gt_i32 s1, 9
	s_cbranch_scc0 .LBB182_1606
; %bb.1605:
	s_wait_loadcnt 0x0
	v_bfe_i32 v2, v4, 0, 8
	v_mov_b32_e32 v8, 0
	s_mov_b32 s0, 0
	s_delay_alu instid0(VALU_DEP_2) | instskip(NEXT) | instid1(VALU_DEP_2)
	v_bfe_i32 v2, v2, 0, 16
	v_mov_b32_e32 v9, v8
	s_delay_alu instid0(VALU_DEP_2)
	v_cvt_f64_i32_e32 v[6:7], v2
	global_store_b128 v[0:1], v[6:9], off
.LBB182_1606:
	s_and_not1_b32 vcc_lo, exec_lo, s0
	s_cbranch_vccnz .LBB182_1608
; %bb.1607:
	s_wait_loadcnt 0x0
	v_bfe_i32 v2, v4, 0, 8
	v_mov_b32_e32 v3, 0
	s_delay_alu instid0(VALU_DEP_2) | instskip(NEXT) | instid1(VALU_DEP_1)
	v_bfe_i32 v2, v2, 0, 16
	v_cvt_f32_i32_e32 v2, v2
	global_store_b64 v[0:1], v[2:3], off
.LBB182_1608:
	s_mov_b32 s0, 0
.LBB182_1609:
	s_delay_alu instid0(SALU_CYCLE_1)
	s_and_not1_b32 vcc_lo, exec_lo, s0
	s_cbranch_vccnz .LBB182_1611
; %bb.1610:
	s_wait_loadcnt 0x0
	v_bfe_i32 v2, v4, 0, 8
	s_delay_alu instid0(VALU_DEP_1) | instskip(NEXT) | instid1(VALU_DEP_1)
	v_cvt_f16_i16_e32 v2, v2
	v_and_b32_e32 v2, 0xffff, v2
	global_store_b32 v[0:1], v2, off
.LBB182_1611:
	s_mov_b32 s0, 0
.LBB182_1612:
	s_delay_alu instid0(SALU_CYCLE_1)
	s_and_not1_b32 vcc_lo, exec_lo, s0
	s_cbranch_vccnz .LBB182_1621
; %bb.1613:
	s_sext_i32_i16 s1, s15
	s_mov_b32 s0, -1
	s_cmp_lt_i32 s1, 6
	s_cbranch_scc1 .LBB182_1619
; %bb.1614:
	s_cmp_gt_i32 s1, 6
	s_cbranch_scc0 .LBB182_1616
; %bb.1615:
	s_wait_loadcnt 0x0
	v_bfe_i32 v2, v4, 0, 8
	s_mov_b32 s0, 0
	s_delay_alu instid0(VALU_DEP_1) | instskip(NEXT) | instid1(VALU_DEP_1)
	v_bfe_i32 v2, v2, 0, 16
	v_cvt_f64_i32_e32 v[2:3], v2
	global_store_b64 v[0:1], v[2:3], off
.LBB182_1616:
	s_and_not1_b32 vcc_lo, exec_lo, s0
	s_cbranch_vccnz .LBB182_1618
; %bb.1617:
	s_wait_loadcnt 0x0
	v_bfe_i32 v2, v4, 0, 8
	s_delay_alu instid0(VALU_DEP_1) | instskip(NEXT) | instid1(VALU_DEP_1)
	v_bfe_i32 v2, v2, 0, 16
	v_cvt_f32_i32_e32 v2, v2
	global_store_b32 v[0:1], v2, off
.LBB182_1618:
	s_mov_b32 s0, 0
.LBB182_1619:
	s_delay_alu instid0(SALU_CYCLE_1)
	s_and_not1_b32 vcc_lo, exec_lo, s0
	s_cbranch_vccnz .LBB182_1621
; %bb.1620:
	s_wait_loadcnt 0x0
	v_bfe_i32 v2, v4, 0, 8
	s_delay_alu instid0(VALU_DEP_1)
	v_cvt_f16_i16_e32 v2, v2
	global_store_b16 v[0:1], v2, off
.LBB182_1621:
	s_mov_b32 s0, 0
.LBB182_1622:
	s_delay_alu instid0(SALU_CYCLE_1)
	s_and_not1_b32 vcc_lo, exec_lo, s0
	s_cbranch_vccnz .LBB182_1638
; %bb.1623:
	s_sext_i32_i16 s1, s15
	s_mov_b32 s0, -1
	s_cmp_lt_i32 s1, 2
	s_cbranch_scc1 .LBB182_1633
; %bb.1624:
	s_cmp_lt_i32 s1, 3
	s_cbranch_scc1 .LBB182_1630
; %bb.1625:
	s_cmp_gt_i32 s1, 3
	s_cbranch_scc0 .LBB182_1627
; %bb.1626:
	s_wait_loadcnt 0x0
	v_bfe_i32 v2, v4, 0, 8
	s_mov_b32 s0, 0
	s_delay_alu instid0(VALU_DEP_1)
	v_ashrrev_i32_e32 v3, 31, v2
	global_store_b64 v[0:1], v[2:3], off
.LBB182_1627:
	s_and_not1_b32 vcc_lo, exec_lo, s0
	s_cbranch_vccnz .LBB182_1629
; %bb.1628:
	s_wait_loadcnt 0x0
	v_bfe_i32 v2, v4, 0, 8
	global_store_b32 v[0:1], v2, off
.LBB182_1629:
	s_mov_b32 s0, 0
.LBB182_1630:
	s_delay_alu instid0(SALU_CYCLE_1)
	s_and_not1_b32 vcc_lo, exec_lo, s0
	s_cbranch_vccnz .LBB182_1632
; %bb.1631:
	s_wait_loadcnt 0x0
	v_bfe_i32 v2, v4, 0, 8
	global_store_b16 v[0:1], v2, off
.LBB182_1632:
	s_mov_b32 s0, 0
.LBB182_1633:
	s_delay_alu instid0(SALU_CYCLE_1)
	s_and_not1_b32 vcc_lo, exec_lo, s0
	s_cbranch_vccnz .LBB182_1638
; %bb.1634:
	s_sext_i32_i16 s0, s15
	s_delay_alu instid0(SALU_CYCLE_1)
	s_cmp_gt_i32 s0, 0
	s_mov_b32 s0, -1
	s_cbranch_scc0 .LBB182_1636
; %bb.1635:
	s_mov_b32 s0, 0
	s_wait_loadcnt 0x0
	global_store_b8 v[0:1], v4, off
.LBB182_1636:
	s_and_not1_b32 vcc_lo, exec_lo, s0
	s_cbranch_vccnz .LBB182_1638
; %bb.1637:
	s_wait_loadcnt 0x0
	global_store_b8 v[0:1], v4, off
	s_endpgm
.LBB182_1638:
	s_endpgm
.LBB182_1639:
	s_mov_b32 s7, -1
	s_mov_b32 s6, 0
                                        ; implicit-def: $vgpr4
	s_branch .LBB182_1642
.LBB182_1640:
	s_mov_b32 s6, -1
                                        ; implicit-def: $vgpr4
.LBB182_1641:
	s_mov_b32 s7, 0
.LBB182_1642:
	s_delay_alu instid0(SALU_CYCLE_1)
	s_and_b32 vcc_lo, exec_lo, s7
	s_cbranch_vccz .LBB182_1724
; %bb.1643:
	s_cmp_lg_u32 s10, 0
	s_mov_b32 s0, -1
	s_cselect_b32 s6, -1, 0
	s_wait_loadcnt 0x0
	s_delay_alu instid0(VALU_DEP_1)
	v_bfe_i32 v0, v2, 0, 8
	s_and_not1_b32 vcc_lo, exec_lo, s6
	s_cbranch_vccz .LBB182_1725
.LBB182_1644:
	s_and_not1_b32 vcc_lo, exec_lo, s0
	s_cbranch_vccnz .LBB182_1646
.LBB182_1645:
	s_bfe_i32 s0, s11, 0x80000
	s_delay_alu instid0(SALU_CYCLE_1)
	v_max_i16 v4, v0, s0
.LBB182_1646:
	v_mul_lo_u32 v0, s8, v6
	s_and_b32 s15, s2, 0xff
	s_delay_alu instid0(SALU_CYCLE_1) | instskip(NEXT) | instid1(VALU_DEP_1)
	s_cmp_lt_i32 s15, 11
	v_ashrrev_i32_e32 v1, 31, v0
	s_delay_alu instid0(VALU_DEP_1)
	v_add_nc_u64_e32 v[2:3], s[4:5], v[0:1]
	s_cbranch_scc1 .LBB182_1726
; %bb.1647:
	s_and_b32 s1, 0xffff, s15
	s_mov_b32 s7, -1
	s_mov_b32 s2, 0
	s_cmp_gt_i32 s1, 25
	s_mov_b32 s6, 0
	s_mov_b32 s0, 0
	s_cbranch_scc0 .LBB182_1680
; %bb.1648:
	s_cmp_gt_i32 s1, 28
	s_cbranch_scc0 .LBB182_1663
; %bb.1649:
	s_cmp_gt_i32 s1, 43
	;; [unrolled: 3-line block ×3, first 2 shown]
	s_cbranch_scc0 .LBB182_1653
; %bb.1651:
	s_mov_b32 s0, -1
	s_mov_b32 s7, 0
	s_cmp_eq_u32 s1, 46
	s_cbranch_scc0 .LBB182_1653
; %bb.1652:
	v_bfe_i32 v1, v7, 0, 8
	s_mov_b32 s0, 0
	s_mov_b32 s6, -1
	s_delay_alu instid0(VALU_DEP_1) | instskip(NEXT) | instid1(VALU_DEP_1)
	v_bfe_i32 v1, v1, 0, 16
	v_cvt_f32_i32_e32 v1, v1
	s_delay_alu instid0(VALU_DEP_1) | instskip(NEXT) | instid1(VALU_DEP_1)
	v_bfe_u32 v6, v1, 16, 1
	v_add3_u32 v1, v1, v6, 0x7fff
	s_delay_alu instid0(VALU_DEP_1)
	v_lshrrev_b32_e32 v1, 16, v1
	global_store_b32 v[2:3], v1, off
.LBB182_1653:
	s_and_b32 vcc_lo, exec_lo, s7
	s_cbranch_vccz .LBB182_1658
; %bb.1654:
	s_cmp_eq_u32 s1, 44
	s_mov_b32 s0, -1
	s_cbranch_scc0 .LBB182_1658
; %bb.1655:
	s_wait_xcnt 0x0
	v_bfe_i32 v1, v7, 0, 8
	v_mov_b32_e32 v6, 0xff
	s_mov_b32 s6, exec_lo
	s_delay_alu instid0(VALU_DEP_2) | instskip(NEXT) | instid1(VALU_DEP_1)
	v_bfe_i32 v1, v1, 0, 16
	v_cvt_f32_i32_e32 v1, v1
	s_delay_alu instid0(VALU_DEP_1) | instskip(NEXT) | instid1(VALU_DEP_1)
	v_bfe_u32 v9, v1, 23, 8
	v_cmpx_ne_u32_e32 0xff, v9
	s_cbranch_execz .LBB182_1657
; %bb.1656:
	v_and_b32_e32 v6, 0x400000, v1
	v_and_or_b32 v9, 0x3fffff, v1, v9
	v_lshrrev_b32_e32 v1, 23, v1
	s_delay_alu instid0(VALU_DEP_3) | instskip(NEXT) | instid1(VALU_DEP_3)
	v_cmp_ne_u32_e32 vcc_lo, 0, v6
	v_cmp_ne_u32_e64 s0, 0, v9
	s_and_b32 s0, vcc_lo, s0
	s_delay_alu instid0(SALU_CYCLE_1) | instskip(NEXT) | instid1(VALU_DEP_1)
	v_cndmask_b32_e64 v6, 0, 1, s0
	v_add_nc_u32_e32 v6, v1, v6
.LBB182_1657:
	s_or_b32 exec_lo, exec_lo, s6
	s_mov_b32 s0, 0
	s_mov_b32 s6, -1
	global_store_b8 v[2:3], v6, off
.LBB182_1658:
	s_mov_b32 s7, 0
.LBB182_1659:
	s_delay_alu instid0(SALU_CYCLE_1)
	s_and_b32 vcc_lo, exec_lo, s7
	s_cbranch_vccz .LBB182_1662
; %bb.1660:
	s_cmp_eq_u32 s1, 29
	s_mov_b32 s0, -1
	s_cbranch_scc0 .LBB182_1662
; %bb.1661:
	v_bfe_i32 v10, v7, 0, 8
	s_mov_b32 s0, 0
	s_mov_b32 s6, -1
	s_delay_alu instid0(VALU_DEP_1)
	v_ashrrev_i32_e32 v11, 31, v10
	global_store_b64 v[2:3], v[10:11], off
.LBB182_1662:
	s_mov_b32 s7, 0
.LBB182_1663:
	s_delay_alu instid0(SALU_CYCLE_1)
	s_and_b32 vcc_lo, exec_lo, s7
	s_cbranch_vccz .LBB182_1679
; %bb.1664:
	s_cmp_lt_i32 s1, 27
	s_mov_b32 s6, -1
	s_cbranch_scc1 .LBB182_1670
; %bb.1665:
	s_cmp_gt_i32 s1, 27
	s_cbranch_scc0 .LBB182_1667
; %bb.1666:
	s_wait_xcnt 0x0
	v_bfe_i32 v1, v7, 0, 8
	s_mov_b32 s6, 0
	global_store_b32 v[2:3], v1, off
.LBB182_1667:
	s_and_not1_b32 vcc_lo, exec_lo, s6
	s_cbranch_vccnz .LBB182_1669
; %bb.1668:
	s_wait_xcnt 0x0
	v_bfe_i32 v1, v7, 0, 8
	global_store_b16 v[2:3], v1, off
.LBB182_1669:
	s_mov_b32 s6, 0
.LBB182_1670:
	s_delay_alu instid0(SALU_CYCLE_1)
	s_and_not1_b32 vcc_lo, exec_lo, s6
	s_cbranch_vccnz .LBB182_1678
; %bb.1671:
	s_wait_xcnt 0x0
	v_bfe_i32 v1, v7, 0, 8
	v_mov_b32_e32 v9, 0x80
	s_mov_b32 s6, exec_lo
	s_delay_alu instid0(VALU_DEP_2) | instskip(NEXT) | instid1(VALU_DEP_1)
	v_bfe_i32 v1, v1, 0, 16
	v_cvt_f32_i32_e32 v1, v1
	s_delay_alu instid0(VALU_DEP_1) | instskip(NEXT) | instid1(VALU_DEP_1)
	v_and_b32_e32 v6, 0x7fffffff, v1
	v_cmpx_gt_u32_e32 0x43800000, v6
	s_cbranch_execz .LBB182_1677
; %bb.1672:
	v_cmp_lt_u32_e32 vcc_lo, 0x3bffffff, v6
	s_mov_b32 s7, 0
                                        ; implicit-def: $vgpr6
	s_and_saveexec_b32 s9, vcc_lo
	s_delay_alu instid0(SALU_CYCLE_1)
	s_xor_b32 s9, exec_lo, s9
	s_cbranch_execz .LBB182_2084
; %bb.1673:
	v_bfe_u32 v6, v1, 20, 1
	s_mov_b32 s7, exec_lo
	s_delay_alu instid0(VALU_DEP_1) | instskip(NEXT) | instid1(VALU_DEP_1)
	v_add3_u32 v6, v1, v6, 0x487ffff
	v_lshrrev_b32_e32 v6, 20, v6
	s_and_not1_saveexec_b32 s9, s9
	s_cbranch_execnz .LBB182_2085
.LBB182_1674:
	s_or_b32 exec_lo, exec_lo, s9
	v_mov_b32_e32 v9, 0
	s_and_saveexec_b32 s9, s7
.LBB182_1675:
	v_lshrrev_b32_e32 v1, 24, v1
	s_delay_alu instid0(VALU_DEP_1)
	v_and_or_b32 v9, 0x80, v1, v6
.LBB182_1676:
	s_or_b32 exec_lo, exec_lo, s9
.LBB182_1677:
	s_delay_alu instid0(SALU_CYCLE_1)
	s_or_b32 exec_lo, exec_lo, s6
	global_store_b8 v[2:3], v9, off
.LBB182_1678:
	s_mov_b32 s6, -1
.LBB182_1679:
	s_mov_b32 s7, 0
.LBB182_1680:
	s_delay_alu instid0(SALU_CYCLE_1)
	s_and_b32 vcc_lo, exec_lo, s7
	s_cbranch_vccz .LBB182_1720
; %bb.1681:
	s_cmp_gt_i32 s1, 22
	s_mov_b32 s2, -1
	s_cbranch_scc0 .LBB182_1713
; %bb.1682:
	s_cmp_lt_i32 s1, 24
	s_cbranch_scc1 .LBB182_1702
; %bb.1683:
	s_cmp_gt_i32 s1, 24
	s_cbranch_scc0 .LBB182_1691
; %bb.1684:
	s_wait_xcnt 0x0
	v_bfe_i32 v1, v7, 0, 8
	v_mov_b32_e32 v9, 0x80
	s_mov_b32 s2, exec_lo
	s_delay_alu instid0(VALU_DEP_2) | instskip(NEXT) | instid1(VALU_DEP_1)
	v_bfe_i32 v1, v1, 0, 16
	v_cvt_f32_i32_e32 v1, v1
	s_delay_alu instid0(VALU_DEP_1) | instskip(NEXT) | instid1(VALU_DEP_1)
	v_and_b32_e32 v6, 0x7fffffff, v1
	v_cmpx_gt_u32_e32 0x47800000, v6
	s_cbranch_execz .LBB182_1690
; %bb.1685:
	v_cmp_lt_u32_e32 vcc_lo, 0x37ffffff, v6
	s_mov_b32 s6, 0
                                        ; implicit-def: $vgpr6
	s_and_saveexec_b32 s7, vcc_lo
	s_delay_alu instid0(SALU_CYCLE_1)
	s_xor_b32 s7, exec_lo, s7
	s_cbranch_execz .LBB182_2087
; %bb.1686:
	v_bfe_u32 v6, v1, 21, 1
	s_mov_b32 s6, exec_lo
	s_delay_alu instid0(VALU_DEP_1) | instskip(NEXT) | instid1(VALU_DEP_1)
	v_add3_u32 v6, v1, v6, 0x88fffff
	v_lshrrev_b32_e32 v6, 21, v6
	s_and_not1_saveexec_b32 s7, s7
	s_cbranch_execnz .LBB182_2088
.LBB182_1687:
	s_or_b32 exec_lo, exec_lo, s7
	v_mov_b32_e32 v9, 0
	s_and_saveexec_b32 s7, s6
.LBB182_1688:
	v_lshrrev_b32_e32 v1, 24, v1
	s_delay_alu instid0(VALU_DEP_1)
	v_and_or_b32 v9, 0x80, v1, v6
.LBB182_1689:
	s_or_b32 exec_lo, exec_lo, s7
.LBB182_1690:
	s_delay_alu instid0(SALU_CYCLE_1)
	s_or_b32 exec_lo, exec_lo, s2
	s_mov_b32 s2, 0
	global_store_b8 v[2:3], v9, off
.LBB182_1691:
	s_and_b32 vcc_lo, exec_lo, s2
	s_cbranch_vccz .LBB182_1701
; %bb.1692:
	s_wait_xcnt 0x0
	v_bfe_i32 v1, v7, 0, 8
	s_mov_b32 s2, exec_lo
                                        ; implicit-def: $vgpr6
	s_delay_alu instid0(VALU_DEP_1) | instskip(NEXT) | instid1(VALU_DEP_1)
	v_bfe_i32 v1, v1, 0, 16
	v_cvt_f32_i32_e32 v1, v1
	s_delay_alu instid0(VALU_DEP_1) | instskip(NEXT) | instid1(VALU_DEP_1)
	v_and_b32_e32 v9, 0x7fffffff, v1
	v_cmpx_gt_u32_e32 0x43f00000, v9
	s_xor_b32 s2, exec_lo, s2
	s_cbranch_execz .LBB182_1698
; %bb.1693:
	s_mov_b32 s6, exec_lo
                                        ; implicit-def: $vgpr6
	v_cmpx_lt_u32_e32 0x3c7fffff, v9
	s_xor_b32 s6, exec_lo, s6
; %bb.1694:
	v_bfe_u32 v6, v1, 20, 1
	s_delay_alu instid0(VALU_DEP_1) | instskip(NEXT) | instid1(VALU_DEP_1)
	v_add3_u32 v6, v1, v6, 0x407ffff
	v_and_b32_e32 v9, 0xff00000, v6
	v_lshrrev_b32_e32 v6, 20, v6
	s_delay_alu instid0(VALU_DEP_2) | instskip(NEXT) | instid1(VALU_DEP_2)
	v_cmp_ne_u32_e32 vcc_lo, 0x7f00000, v9
	v_cndmask_b32_e32 v6, 0x7e, v6, vcc_lo
; %bb.1695:
	s_and_not1_saveexec_b32 s6, s6
; %bb.1696:
	v_add_f32_e64 v6, 0x46800000, |v1|
; %bb.1697:
	s_or_b32 exec_lo, exec_lo, s6
                                        ; implicit-def: $vgpr9
.LBB182_1698:
	s_and_not1_saveexec_b32 s2, s2
; %bb.1699:
	v_mov_b32_e32 v6, 0x7f
	v_cmp_lt_u32_e32 vcc_lo, 0x7f800000, v9
	s_delay_alu instid0(VALU_DEP_2)
	v_cndmask_b32_e32 v6, 0x7e, v6, vcc_lo
; %bb.1700:
	s_or_b32 exec_lo, exec_lo, s2
	v_lshrrev_b32_e32 v1, 24, v1
	s_delay_alu instid0(VALU_DEP_1)
	v_and_or_b32 v1, 0x80, v1, v6
	global_store_b8 v[2:3], v1, off
.LBB182_1701:
	s_mov_b32 s2, 0
.LBB182_1702:
	s_delay_alu instid0(SALU_CYCLE_1)
	s_and_not1_b32 vcc_lo, exec_lo, s2
	s_cbranch_vccnz .LBB182_1712
; %bb.1703:
	s_wait_xcnt 0x0
	v_bfe_i32 v1, v7, 0, 8
	s_mov_b32 s2, exec_lo
                                        ; implicit-def: $vgpr6
	s_delay_alu instid0(VALU_DEP_1) | instskip(NEXT) | instid1(VALU_DEP_1)
	v_bfe_i32 v1, v1, 0, 16
	v_cvt_f32_i32_e32 v1, v1
	s_delay_alu instid0(VALU_DEP_1) | instskip(NEXT) | instid1(VALU_DEP_1)
	v_and_b32_e32 v9, 0x7fffffff, v1
	v_cmpx_gt_u32_e32 0x47800000, v9
	s_xor_b32 s2, exec_lo, s2
	s_cbranch_execz .LBB182_1709
; %bb.1704:
	s_mov_b32 s6, exec_lo
                                        ; implicit-def: $vgpr6
	v_cmpx_lt_u32_e32 0x387fffff, v9
	s_xor_b32 s6, exec_lo, s6
; %bb.1705:
	v_bfe_u32 v6, v1, 21, 1
	s_delay_alu instid0(VALU_DEP_1) | instskip(NEXT) | instid1(VALU_DEP_1)
	v_add3_u32 v6, v1, v6, 0x80fffff
	v_lshrrev_b32_e32 v6, 21, v6
; %bb.1706:
	s_and_not1_saveexec_b32 s6, s6
; %bb.1707:
	v_add_f32_e64 v6, 0x43000000, |v1|
; %bb.1708:
	s_or_b32 exec_lo, exec_lo, s6
                                        ; implicit-def: $vgpr9
.LBB182_1709:
	s_and_not1_saveexec_b32 s2, s2
; %bb.1710:
	v_mov_b32_e32 v6, 0x7f
	v_cmp_lt_u32_e32 vcc_lo, 0x7f800000, v9
	s_delay_alu instid0(VALU_DEP_2)
	v_cndmask_b32_e32 v6, 0x7c, v6, vcc_lo
; %bb.1711:
	s_or_b32 exec_lo, exec_lo, s2
	v_lshrrev_b32_e32 v1, 24, v1
	s_delay_alu instid0(VALU_DEP_1)
	v_and_or_b32 v1, 0x80, v1, v6
	global_store_b8 v[2:3], v1, off
.LBB182_1712:
	s_mov_b32 s2, 0
	s_mov_b32 s6, -1
.LBB182_1713:
	s_and_not1_b32 vcc_lo, exec_lo, s2
	s_mov_b32 s2, 0
	s_cbranch_vccnz .LBB182_1720
; %bb.1714:
	s_cmp_gt_i32 s1, 14
	s_mov_b32 s2, -1
	s_cbranch_scc0 .LBB182_1718
; %bb.1715:
	s_cmp_eq_u32 s1, 15
	s_mov_b32 s0, -1
	s_cbranch_scc0 .LBB182_1717
; %bb.1716:
	s_wait_xcnt 0x0
	v_bfe_i32 v1, v7, 0, 8
	s_mov_b32 s0, 0
	s_mov_b32 s6, -1
	s_delay_alu instid0(VALU_DEP_1) | instskip(NEXT) | instid1(VALU_DEP_1)
	v_bfe_i32 v1, v1, 0, 16
	v_cvt_f32_i32_e32 v1, v1
	s_delay_alu instid0(VALU_DEP_1) | instskip(NEXT) | instid1(VALU_DEP_1)
	v_bfe_u32 v6, v1, 16, 1
	v_add3_u32 v1, v1, v6, 0x7fff
	global_store_d16_hi_b16 v[2:3], v1, off
.LBB182_1717:
	s_mov_b32 s2, 0
.LBB182_1718:
	s_delay_alu instid0(SALU_CYCLE_1)
	s_and_b32 vcc_lo, exec_lo, s2
	s_mov_b32 s2, 0
	s_cbranch_vccz .LBB182_1720
; %bb.1719:
	s_cmp_lg_u32 s1, 11
	s_mov_b32 s2, -1
	s_cselect_b32 s0, -1, 0
.LBB182_1720:
	s_delay_alu instid0(SALU_CYCLE_1)
	s_and_b32 vcc_lo, exec_lo, s0
	s_cbranch_vccnz .LBB182_2086
; %bb.1721:
	s_and_not1_b32 vcc_lo, exec_lo, s2
	s_cbranch_vccnz .LBB182_1723
.LBB182_1722:
	s_wait_xcnt 0x0
	v_and_b32_e32 v1, 0xff, v7
	s_mov_b32 s6, -1
	s_delay_alu instid0(VALU_DEP_1)
	v_cmp_ne_u16_e32 vcc_lo, 0, v1
	v_cndmask_b32_e64 v1, 0, 1, vcc_lo
	global_store_b8 v[2:3], v1, off
.LBB182_1723:
	s_mov_b32 s0, 0
	s_branch .LBB182_1727
.LBB182_1724:
	s_wait_loadcnt 0x0
	s_delay_alu instid0(VALU_DEP_1)
	v_bfe_i32 v0, v2, 0, 8
	s_and_not1_b32 vcc_lo, exec_lo, s6
	s_cbranch_vccnz .LBB182_1644
.LBB182_1725:
	s_bfe_i32 s0, s11, 0x80000
	s_delay_alu instid0(VALU_DEP_1) | instid1(SALU_CYCLE_1)
	v_max_i16 v1, v0, s0
	s_bfe_i32 s0, s1, 0x80000
	s_delay_alu instid0(VALU_DEP_1) | instid1(SALU_CYCLE_1)
	v_min_i16 v4, v1, s0
	s_cbranch_execz .LBB182_1645
	s_branch .LBB182_1646
.LBB182_1726:
	s_mov_b32 s0, -1
	s_mov_b32 s6, 0
.LBB182_1727:
	s_and_b32 vcc_lo, exec_lo, s0
	s_cbranch_vccz .LBB182_1766
; %bb.1728:
	s_and_b32 s0, 0xffff, s15
	s_mov_b32 s1, -1
	s_cmp_lt_i32 s0, 5
	s_cbranch_scc1 .LBB182_1749
; %bb.1729:
	s_cmp_lt_i32 s0, 8
	s_cbranch_scc1 .LBB182_1739
; %bb.1730:
	;; [unrolled: 3-line block ×3, first 2 shown]
	s_cmp_gt_i32 s0, 9
	s_cbranch_scc0 .LBB182_1733
; %bb.1732:
	s_wait_xcnt 0x0
	v_bfe_i32 v1, v7, 0, 8
	v_mov_b32_e32 v12, 0
	s_mov_b32 s1, 0
	s_delay_alu instid0(VALU_DEP_2) | instskip(NEXT) | instid1(VALU_DEP_2)
	v_bfe_i32 v1, v1, 0, 16
	v_mov_b32_e32 v13, v12
	s_delay_alu instid0(VALU_DEP_2)
	v_cvt_f64_i32_e32 v[10:11], v1
	global_store_b128 v[2:3], v[10:13], off
.LBB182_1733:
	s_and_not1_b32 vcc_lo, exec_lo, s1
	s_cbranch_vccnz .LBB182_1735
; %bb.1734:
	s_wait_xcnt 0x0
	v_bfe_i32 v1, v7, 0, 8
	v_mov_b32_e32 v11, 0
	s_delay_alu instid0(VALU_DEP_2) | instskip(NEXT) | instid1(VALU_DEP_1)
	v_bfe_i32 v1, v1, 0, 16
	v_cvt_f32_i32_e32 v10, v1
	global_store_b64 v[2:3], v[10:11], off
.LBB182_1735:
	s_mov_b32 s1, 0
.LBB182_1736:
	s_delay_alu instid0(SALU_CYCLE_1)
	s_and_not1_b32 vcc_lo, exec_lo, s1
	s_cbranch_vccnz .LBB182_1738
; %bb.1737:
	s_wait_xcnt 0x0
	v_bfe_i32 v1, v7, 0, 8
	s_delay_alu instid0(VALU_DEP_1) | instskip(NEXT) | instid1(VALU_DEP_1)
	v_cvt_f16_i16_e32 v1, v1
	v_and_b32_e32 v1, 0xffff, v1
	global_store_b32 v[2:3], v1, off
.LBB182_1738:
	s_mov_b32 s1, 0
.LBB182_1739:
	s_delay_alu instid0(SALU_CYCLE_1)
	s_and_not1_b32 vcc_lo, exec_lo, s1
	s_cbranch_vccnz .LBB182_1748
; %bb.1740:
	s_cmp_lt_i32 s0, 6
	s_mov_b32 s1, -1
	s_cbranch_scc1 .LBB182_1746
; %bb.1741:
	s_cmp_gt_i32 s0, 6
	s_cbranch_scc0 .LBB182_1743
; %bb.1742:
	s_wait_xcnt 0x0
	v_bfe_i32 v1, v7, 0, 8
	s_mov_b32 s1, 0
	s_delay_alu instid0(VALU_DEP_1) | instskip(NEXT) | instid1(VALU_DEP_1)
	v_bfe_i32 v1, v1, 0, 16
	v_cvt_f64_i32_e32 v[10:11], v1
	global_store_b64 v[2:3], v[10:11], off
.LBB182_1743:
	s_and_not1_b32 vcc_lo, exec_lo, s1
	s_cbranch_vccnz .LBB182_1745
; %bb.1744:
	s_wait_xcnt 0x0
	v_bfe_i32 v1, v7, 0, 8
	s_delay_alu instid0(VALU_DEP_1) | instskip(NEXT) | instid1(VALU_DEP_1)
	v_bfe_i32 v1, v1, 0, 16
	v_cvt_f32_i32_e32 v1, v1
	global_store_b32 v[2:3], v1, off
.LBB182_1745:
	s_mov_b32 s1, 0
.LBB182_1746:
	s_delay_alu instid0(SALU_CYCLE_1)
	s_and_not1_b32 vcc_lo, exec_lo, s1
	s_cbranch_vccnz .LBB182_1748
; %bb.1747:
	s_wait_xcnt 0x0
	v_bfe_i32 v1, v7, 0, 8
	s_delay_alu instid0(VALU_DEP_1)
	v_cvt_f16_i16_e32 v1, v1
	global_store_b16 v[2:3], v1, off
.LBB182_1748:
	s_mov_b32 s1, 0
.LBB182_1749:
	s_delay_alu instid0(SALU_CYCLE_1)
	s_and_not1_b32 vcc_lo, exec_lo, s1
	s_cbranch_vccnz .LBB182_1765
; %bb.1750:
	s_cmp_lt_i32 s0, 2
	s_mov_b32 s1, -1
	s_cbranch_scc1 .LBB182_1760
; %bb.1751:
	s_cmp_lt_i32 s0, 3
	s_cbranch_scc1 .LBB182_1757
; %bb.1752:
	s_cmp_gt_i32 s0, 3
	s_cbranch_scc0 .LBB182_1754
; %bb.1753:
	s_wait_xcnt 0x0
	v_bfe_i32 v10, v7, 0, 8
	s_mov_b32 s1, 0
	s_delay_alu instid0(VALU_DEP_1)
	v_ashrrev_i32_e32 v11, 31, v10
	global_store_b64 v[2:3], v[10:11], off
.LBB182_1754:
	s_and_not1_b32 vcc_lo, exec_lo, s1
	s_cbranch_vccnz .LBB182_1756
; %bb.1755:
	s_wait_xcnt 0x0
	v_bfe_i32 v1, v7, 0, 8
	global_store_b32 v[2:3], v1, off
.LBB182_1756:
	s_mov_b32 s1, 0
.LBB182_1757:
	s_delay_alu instid0(SALU_CYCLE_1)
	s_and_not1_b32 vcc_lo, exec_lo, s1
	s_cbranch_vccnz .LBB182_1759
; %bb.1758:
	s_wait_xcnt 0x0
	v_bfe_i32 v1, v7, 0, 8
	global_store_b16 v[2:3], v1, off
.LBB182_1759:
	s_mov_b32 s1, 0
.LBB182_1760:
	s_delay_alu instid0(SALU_CYCLE_1)
	s_and_not1_b32 vcc_lo, exec_lo, s1
	s_cbranch_vccnz .LBB182_1765
; %bb.1761:
	s_cmp_gt_i32 s0, 0
	s_mov_b32 s0, -1
	s_cbranch_scc0 .LBB182_1763
; %bb.1762:
	s_mov_b32 s0, 0
	global_store_b8 v[2:3], v7, off
.LBB182_1763:
	s_and_not1_b32 vcc_lo, exec_lo, s0
	s_cbranch_vccnz .LBB182_1765
; %bb.1764:
	global_store_b8 v[2:3], v7, off
.LBB182_1765:
	s_mov_b32 s6, -1
.LBB182_1766:
	s_delay_alu instid0(SALU_CYCLE_1)
	s_and_not1_b32 vcc_lo, exec_lo, s6
	s_cbranch_vccnz .LBB182_2081
; %bb.1767:
	s_lshl_b32 s1, s8, 7
	s_cmp_lt_i32 s15, 11
	v_add_nc_u32_e32 v0, s1, v0
	s_wait_xcnt 0x0
	s_delay_alu instid0(VALU_DEP_1) | instskip(NEXT) | instid1(VALU_DEP_1)
	v_ashrrev_i32_e32 v1, 31, v0
	v_add_nc_u64_e32 v[2:3], s[4:5], v[0:1]
	s_cbranch_scc1 .LBB182_1845
; %bb.1768:
	s_and_b32 s2, 0xffff, s15
	s_mov_b32 s8, -1
	s_mov_b32 s6, 0
	s_cmp_gt_i32 s2, 25
	s_mov_b32 s7, 0
	s_mov_b32 s0, 0
	s_cbranch_scc0 .LBB182_1801
; %bb.1769:
	s_cmp_gt_i32 s2, 28
	s_cbranch_scc0 .LBB182_1784
; %bb.1770:
	s_cmp_gt_i32 s2, 43
	;; [unrolled: 3-line block ×3, first 2 shown]
	s_cbranch_scc0 .LBB182_1774
; %bb.1772:
	s_mov_b32 s0, -1
	s_mov_b32 s8, 0
	s_cmp_eq_u32 s2, 46
	s_cbranch_scc0 .LBB182_1774
; %bb.1773:
	v_bfe_i32 v1, v8, 0, 8
	s_mov_b32 s0, 0
	s_mov_b32 s7, -1
	s_delay_alu instid0(VALU_DEP_1) | instskip(NEXT) | instid1(VALU_DEP_1)
	v_bfe_i32 v1, v1, 0, 16
	v_cvt_f32_i32_e32 v1, v1
	s_delay_alu instid0(VALU_DEP_1) | instskip(NEXT) | instid1(VALU_DEP_1)
	v_bfe_u32 v6, v1, 16, 1
	v_add3_u32 v1, v1, v6, 0x7fff
	s_delay_alu instid0(VALU_DEP_1)
	v_lshrrev_b32_e32 v1, 16, v1
	global_store_b32 v[2:3], v1, off
.LBB182_1774:
	s_and_b32 vcc_lo, exec_lo, s8
	s_cbranch_vccz .LBB182_1779
; %bb.1775:
	s_cmp_eq_u32 s2, 44
	s_mov_b32 s0, -1
	s_cbranch_scc0 .LBB182_1779
; %bb.1776:
	s_wait_xcnt 0x0
	v_bfe_i32 v1, v8, 0, 8
	v_mov_b32_e32 v6, 0xff
	s_mov_b32 s7, exec_lo
	s_delay_alu instid0(VALU_DEP_2) | instskip(NEXT) | instid1(VALU_DEP_1)
	v_bfe_i32 v1, v1, 0, 16
	v_cvt_f32_i32_e32 v1, v1
	s_delay_alu instid0(VALU_DEP_1) | instskip(NEXT) | instid1(VALU_DEP_1)
	v_bfe_u32 v7, v1, 23, 8
	v_cmpx_ne_u32_e32 0xff, v7
	s_cbranch_execz .LBB182_1778
; %bb.1777:
	v_and_b32_e32 v6, 0x400000, v1
	v_and_or_b32 v7, 0x3fffff, v1, v7
	v_lshrrev_b32_e32 v1, 23, v1
	s_delay_alu instid0(VALU_DEP_3) | instskip(NEXT) | instid1(VALU_DEP_3)
	v_cmp_ne_u32_e32 vcc_lo, 0, v6
	v_cmp_ne_u32_e64 s0, 0, v7
	s_and_b32 s0, vcc_lo, s0
	s_delay_alu instid0(SALU_CYCLE_1) | instskip(NEXT) | instid1(VALU_DEP_1)
	v_cndmask_b32_e64 v6, 0, 1, s0
	v_add_nc_u32_e32 v6, v1, v6
.LBB182_1778:
	s_or_b32 exec_lo, exec_lo, s7
	s_mov_b32 s0, 0
	s_mov_b32 s7, -1
	global_store_b8 v[2:3], v6, off
.LBB182_1779:
	s_mov_b32 s8, 0
.LBB182_1780:
	s_delay_alu instid0(SALU_CYCLE_1)
	s_and_b32 vcc_lo, exec_lo, s8
	s_cbranch_vccz .LBB182_1783
; %bb.1781:
	s_cmp_eq_u32 s2, 29
	s_mov_b32 s0, -1
	s_cbranch_scc0 .LBB182_1783
; %bb.1782:
	s_wait_xcnt 0x0
	v_bfe_i32 v6, v8, 0, 8
	s_mov_b32 s0, 0
	s_mov_b32 s7, -1
	s_delay_alu instid0(VALU_DEP_1)
	v_ashrrev_i32_e32 v7, 31, v6
	global_store_b64 v[2:3], v[6:7], off
.LBB182_1783:
	s_mov_b32 s8, 0
.LBB182_1784:
	s_delay_alu instid0(SALU_CYCLE_1)
	s_and_b32 vcc_lo, exec_lo, s8
	s_cbranch_vccz .LBB182_1800
; %bb.1785:
	s_cmp_lt_i32 s2, 27
	s_mov_b32 s7, -1
	s_cbranch_scc1 .LBB182_1791
; %bb.1786:
	s_cmp_gt_i32 s2, 27
	s_cbranch_scc0 .LBB182_1788
; %bb.1787:
	s_wait_xcnt 0x0
	v_bfe_i32 v1, v8, 0, 8
	s_mov_b32 s7, 0
	global_store_b32 v[2:3], v1, off
.LBB182_1788:
	s_and_not1_b32 vcc_lo, exec_lo, s7
	s_cbranch_vccnz .LBB182_1790
; %bb.1789:
	s_wait_xcnt 0x0
	v_bfe_i32 v1, v8, 0, 8
	global_store_b16 v[2:3], v1, off
.LBB182_1790:
	s_mov_b32 s7, 0
.LBB182_1791:
	s_delay_alu instid0(SALU_CYCLE_1)
	s_and_not1_b32 vcc_lo, exec_lo, s7
	s_cbranch_vccnz .LBB182_1799
; %bb.1792:
	s_wait_xcnt 0x0
	v_bfe_i32 v1, v8, 0, 8
	v_mov_b32_e32 v7, 0x80
	s_mov_b32 s7, exec_lo
	s_delay_alu instid0(VALU_DEP_2) | instskip(NEXT) | instid1(VALU_DEP_1)
	v_bfe_i32 v1, v1, 0, 16
	v_cvt_f32_i32_e32 v1, v1
	s_delay_alu instid0(VALU_DEP_1) | instskip(NEXT) | instid1(VALU_DEP_1)
	v_and_b32_e32 v6, 0x7fffffff, v1
	v_cmpx_gt_u32_e32 0x43800000, v6
	s_cbranch_execz .LBB182_1798
; %bb.1793:
	v_cmp_lt_u32_e32 vcc_lo, 0x3bffffff, v6
	s_mov_b32 s8, 0
                                        ; implicit-def: $vgpr6
	s_and_saveexec_b32 s9, vcc_lo
	s_delay_alu instid0(SALU_CYCLE_1)
	s_xor_b32 s9, exec_lo, s9
	s_cbranch_execz .LBB182_2089
; %bb.1794:
	v_bfe_u32 v6, v1, 20, 1
	s_mov_b32 s8, exec_lo
	s_delay_alu instid0(VALU_DEP_1) | instskip(NEXT) | instid1(VALU_DEP_1)
	v_add3_u32 v6, v1, v6, 0x487ffff
	v_lshrrev_b32_e32 v6, 20, v6
	s_and_not1_saveexec_b32 s9, s9
	s_cbranch_execnz .LBB182_2090
.LBB182_1795:
	s_or_b32 exec_lo, exec_lo, s9
	v_mov_b32_e32 v7, 0
	s_and_saveexec_b32 s9, s8
.LBB182_1796:
	v_lshrrev_b32_e32 v1, 24, v1
	s_delay_alu instid0(VALU_DEP_1)
	v_and_or_b32 v7, 0x80, v1, v6
.LBB182_1797:
	s_or_b32 exec_lo, exec_lo, s9
.LBB182_1798:
	s_delay_alu instid0(SALU_CYCLE_1)
	s_or_b32 exec_lo, exec_lo, s7
	global_store_b8 v[2:3], v7, off
.LBB182_1799:
	s_mov_b32 s7, -1
.LBB182_1800:
	s_mov_b32 s8, 0
.LBB182_1801:
	s_delay_alu instid0(SALU_CYCLE_1)
	s_and_b32 vcc_lo, exec_lo, s8
	s_cbranch_vccz .LBB182_1841
; %bb.1802:
	s_cmp_gt_i32 s2, 22
	s_mov_b32 s6, -1
	s_cbranch_scc0 .LBB182_1834
; %bb.1803:
	s_cmp_lt_i32 s2, 24
	s_cbranch_scc1 .LBB182_1823
; %bb.1804:
	s_cmp_gt_i32 s2, 24
	s_cbranch_scc0 .LBB182_1812
; %bb.1805:
	s_wait_xcnt 0x0
	v_bfe_i32 v1, v8, 0, 8
	v_mov_b32_e32 v7, 0x80
	s_mov_b32 s6, exec_lo
	s_delay_alu instid0(VALU_DEP_2) | instskip(NEXT) | instid1(VALU_DEP_1)
	v_bfe_i32 v1, v1, 0, 16
	v_cvt_f32_i32_e32 v1, v1
	s_delay_alu instid0(VALU_DEP_1) | instskip(NEXT) | instid1(VALU_DEP_1)
	v_and_b32_e32 v6, 0x7fffffff, v1
	v_cmpx_gt_u32_e32 0x47800000, v6
	s_cbranch_execz .LBB182_1811
; %bb.1806:
	v_cmp_lt_u32_e32 vcc_lo, 0x37ffffff, v6
	s_mov_b32 s7, 0
                                        ; implicit-def: $vgpr6
	s_and_saveexec_b32 s8, vcc_lo
	s_delay_alu instid0(SALU_CYCLE_1)
	s_xor_b32 s8, exec_lo, s8
	s_cbranch_execz .LBB182_2092
; %bb.1807:
	v_bfe_u32 v6, v1, 21, 1
	s_mov_b32 s7, exec_lo
	s_delay_alu instid0(VALU_DEP_1) | instskip(NEXT) | instid1(VALU_DEP_1)
	v_add3_u32 v6, v1, v6, 0x88fffff
	v_lshrrev_b32_e32 v6, 21, v6
	s_and_not1_saveexec_b32 s8, s8
	s_cbranch_execnz .LBB182_2093
.LBB182_1808:
	s_or_b32 exec_lo, exec_lo, s8
	v_mov_b32_e32 v7, 0
	s_and_saveexec_b32 s8, s7
.LBB182_1809:
	v_lshrrev_b32_e32 v1, 24, v1
	s_delay_alu instid0(VALU_DEP_1)
	v_and_or_b32 v7, 0x80, v1, v6
.LBB182_1810:
	s_or_b32 exec_lo, exec_lo, s8
.LBB182_1811:
	s_delay_alu instid0(SALU_CYCLE_1)
	s_or_b32 exec_lo, exec_lo, s6
	s_mov_b32 s6, 0
	global_store_b8 v[2:3], v7, off
.LBB182_1812:
	s_and_b32 vcc_lo, exec_lo, s6
	s_cbranch_vccz .LBB182_1822
; %bb.1813:
	s_wait_xcnt 0x0
	v_bfe_i32 v1, v8, 0, 8
	s_mov_b32 s6, exec_lo
                                        ; implicit-def: $vgpr6
	s_delay_alu instid0(VALU_DEP_1) | instskip(NEXT) | instid1(VALU_DEP_1)
	v_bfe_i32 v1, v1, 0, 16
	v_cvt_f32_i32_e32 v1, v1
	s_delay_alu instid0(VALU_DEP_1) | instskip(NEXT) | instid1(VALU_DEP_1)
	v_and_b32_e32 v7, 0x7fffffff, v1
	v_cmpx_gt_u32_e32 0x43f00000, v7
	s_xor_b32 s6, exec_lo, s6
	s_cbranch_execz .LBB182_1819
; %bb.1814:
	s_mov_b32 s7, exec_lo
                                        ; implicit-def: $vgpr6
	v_cmpx_lt_u32_e32 0x3c7fffff, v7
	s_xor_b32 s7, exec_lo, s7
; %bb.1815:
	v_bfe_u32 v6, v1, 20, 1
	s_delay_alu instid0(VALU_DEP_1) | instskip(NEXT) | instid1(VALU_DEP_1)
	v_add3_u32 v6, v1, v6, 0x407ffff
	v_and_b32_e32 v7, 0xff00000, v6
	v_lshrrev_b32_e32 v6, 20, v6
	s_delay_alu instid0(VALU_DEP_2) | instskip(NEXT) | instid1(VALU_DEP_2)
	v_cmp_ne_u32_e32 vcc_lo, 0x7f00000, v7
	v_cndmask_b32_e32 v6, 0x7e, v6, vcc_lo
; %bb.1816:
	s_and_not1_saveexec_b32 s7, s7
; %bb.1817:
	v_add_f32_e64 v6, 0x46800000, |v1|
; %bb.1818:
	s_or_b32 exec_lo, exec_lo, s7
                                        ; implicit-def: $vgpr7
.LBB182_1819:
	s_and_not1_saveexec_b32 s6, s6
; %bb.1820:
	v_mov_b32_e32 v6, 0x7f
	v_cmp_lt_u32_e32 vcc_lo, 0x7f800000, v7
	s_delay_alu instid0(VALU_DEP_2)
	v_cndmask_b32_e32 v6, 0x7e, v6, vcc_lo
; %bb.1821:
	s_or_b32 exec_lo, exec_lo, s6
	v_lshrrev_b32_e32 v1, 24, v1
	s_delay_alu instid0(VALU_DEP_1)
	v_and_or_b32 v1, 0x80, v1, v6
	global_store_b8 v[2:3], v1, off
.LBB182_1822:
	s_mov_b32 s6, 0
.LBB182_1823:
	s_delay_alu instid0(SALU_CYCLE_1)
	s_and_not1_b32 vcc_lo, exec_lo, s6
	s_cbranch_vccnz .LBB182_1833
; %bb.1824:
	s_wait_xcnt 0x0
	v_bfe_i32 v1, v8, 0, 8
	s_mov_b32 s6, exec_lo
                                        ; implicit-def: $vgpr6
	s_delay_alu instid0(VALU_DEP_1) | instskip(NEXT) | instid1(VALU_DEP_1)
	v_bfe_i32 v1, v1, 0, 16
	v_cvt_f32_i32_e32 v1, v1
	s_delay_alu instid0(VALU_DEP_1) | instskip(NEXT) | instid1(VALU_DEP_1)
	v_and_b32_e32 v7, 0x7fffffff, v1
	v_cmpx_gt_u32_e32 0x47800000, v7
	s_xor_b32 s6, exec_lo, s6
	s_cbranch_execz .LBB182_1830
; %bb.1825:
	s_mov_b32 s7, exec_lo
                                        ; implicit-def: $vgpr6
	v_cmpx_lt_u32_e32 0x387fffff, v7
	s_xor_b32 s7, exec_lo, s7
; %bb.1826:
	v_bfe_u32 v6, v1, 21, 1
	s_delay_alu instid0(VALU_DEP_1) | instskip(NEXT) | instid1(VALU_DEP_1)
	v_add3_u32 v6, v1, v6, 0x80fffff
	v_lshrrev_b32_e32 v6, 21, v6
; %bb.1827:
	s_and_not1_saveexec_b32 s7, s7
; %bb.1828:
	v_add_f32_e64 v6, 0x43000000, |v1|
; %bb.1829:
	s_or_b32 exec_lo, exec_lo, s7
                                        ; implicit-def: $vgpr7
.LBB182_1830:
	s_and_not1_saveexec_b32 s6, s6
; %bb.1831:
	v_mov_b32_e32 v6, 0x7f
	v_cmp_lt_u32_e32 vcc_lo, 0x7f800000, v7
	s_delay_alu instid0(VALU_DEP_2)
	v_cndmask_b32_e32 v6, 0x7c, v6, vcc_lo
; %bb.1832:
	s_or_b32 exec_lo, exec_lo, s6
	v_lshrrev_b32_e32 v1, 24, v1
	s_delay_alu instid0(VALU_DEP_1)
	v_and_or_b32 v1, 0x80, v1, v6
	global_store_b8 v[2:3], v1, off
.LBB182_1833:
	s_mov_b32 s6, 0
	s_mov_b32 s7, -1
.LBB182_1834:
	s_and_not1_b32 vcc_lo, exec_lo, s6
	s_mov_b32 s6, 0
	s_cbranch_vccnz .LBB182_1841
; %bb.1835:
	s_cmp_gt_i32 s2, 14
	s_mov_b32 s6, -1
	s_cbranch_scc0 .LBB182_1839
; %bb.1836:
	s_cmp_eq_u32 s2, 15
	s_mov_b32 s0, -1
	s_cbranch_scc0 .LBB182_1838
; %bb.1837:
	s_wait_xcnt 0x0
	v_bfe_i32 v1, v8, 0, 8
	s_mov_b32 s0, 0
	s_mov_b32 s7, -1
	s_delay_alu instid0(VALU_DEP_1) | instskip(NEXT) | instid1(VALU_DEP_1)
	v_bfe_i32 v1, v1, 0, 16
	v_cvt_f32_i32_e32 v1, v1
	s_delay_alu instid0(VALU_DEP_1) | instskip(NEXT) | instid1(VALU_DEP_1)
	v_bfe_u32 v6, v1, 16, 1
	v_add3_u32 v1, v1, v6, 0x7fff
	global_store_d16_hi_b16 v[2:3], v1, off
.LBB182_1838:
	s_mov_b32 s6, 0
.LBB182_1839:
	s_delay_alu instid0(SALU_CYCLE_1)
	s_and_b32 vcc_lo, exec_lo, s6
	s_mov_b32 s6, 0
	s_cbranch_vccz .LBB182_1841
; %bb.1840:
	s_cmp_lg_u32 s2, 11
	s_mov_b32 s6, -1
	s_cselect_b32 s0, -1, 0
.LBB182_1841:
	s_delay_alu instid0(SALU_CYCLE_1)
	s_and_b32 vcc_lo, exec_lo, s0
	s_cbranch_vccnz .LBB182_2091
; %bb.1842:
	s_and_not1_b32 vcc_lo, exec_lo, s6
	s_cbranch_vccnz .LBB182_1844
.LBB182_1843:
	s_wait_xcnt 0x0
	v_and_b32_e32 v1, 0xff, v8
	s_mov_b32 s7, -1
	s_delay_alu instid0(VALU_DEP_1)
	v_cmp_ne_u16_e32 vcc_lo, 0, v1
	v_cndmask_b32_e64 v1, 0, 1, vcc_lo
	global_store_b8 v[2:3], v1, off
.LBB182_1844:
	s_mov_b32 s0, 0
	s_branch .LBB182_1846
.LBB182_1845:
	s_mov_b32 s0, -1
	s_mov_b32 s7, 0
.LBB182_1846:
	s_and_b32 vcc_lo, exec_lo, s0
	s_cbranch_vccz .LBB182_1885
; %bb.1847:
	s_and_b32 s0, 0xffff, s15
	s_mov_b32 s2, -1
	s_cmp_lt_i32 s0, 5
	s_cbranch_scc1 .LBB182_1868
; %bb.1848:
	s_cmp_lt_i32 s0, 8
	s_cbranch_scc1 .LBB182_1858
; %bb.1849:
	;; [unrolled: 3-line block ×3, first 2 shown]
	s_cmp_gt_i32 s0, 9
	s_cbranch_scc0 .LBB182_1852
; %bb.1851:
	s_wait_xcnt 0x0
	v_bfe_i32 v1, v8, 0, 8
	v_mov_b32_e32 v12, 0
	s_mov_b32 s2, 0
	s_delay_alu instid0(VALU_DEP_2) | instskip(NEXT) | instid1(VALU_DEP_2)
	v_bfe_i32 v1, v1, 0, 16
	v_mov_b32_e32 v13, v12
	s_delay_alu instid0(VALU_DEP_2)
	v_cvt_f64_i32_e32 v[10:11], v1
	global_store_b128 v[2:3], v[10:13], off
.LBB182_1852:
	s_and_not1_b32 vcc_lo, exec_lo, s2
	s_cbranch_vccnz .LBB182_1854
; %bb.1853:
	s_wait_xcnt 0x0
	v_bfe_i32 v1, v8, 0, 8
	v_mov_b32_e32 v7, 0
	s_delay_alu instid0(VALU_DEP_2) | instskip(NEXT) | instid1(VALU_DEP_1)
	v_bfe_i32 v1, v1, 0, 16
	v_cvt_f32_i32_e32 v6, v1
	global_store_b64 v[2:3], v[6:7], off
.LBB182_1854:
	s_mov_b32 s2, 0
.LBB182_1855:
	s_delay_alu instid0(SALU_CYCLE_1)
	s_and_not1_b32 vcc_lo, exec_lo, s2
	s_cbranch_vccnz .LBB182_1857
; %bb.1856:
	s_wait_xcnt 0x0
	v_bfe_i32 v1, v8, 0, 8
	s_delay_alu instid0(VALU_DEP_1) | instskip(NEXT) | instid1(VALU_DEP_1)
	v_cvt_f16_i16_e32 v1, v1
	v_and_b32_e32 v1, 0xffff, v1
	global_store_b32 v[2:3], v1, off
.LBB182_1857:
	s_mov_b32 s2, 0
.LBB182_1858:
	s_delay_alu instid0(SALU_CYCLE_1)
	s_and_not1_b32 vcc_lo, exec_lo, s2
	s_cbranch_vccnz .LBB182_1867
; %bb.1859:
	s_cmp_lt_i32 s0, 6
	s_mov_b32 s2, -1
	s_cbranch_scc1 .LBB182_1865
; %bb.1860:
	s_cmp_gt_i32 s0, 6
	s_cbranch_scc0 .LBB182_1862
; %bb.1861:
	s_wait_xcnt 0x0
	v_bfe_i32 v1, v8, 0, 8
	s_mov_b32 s2, 0
	s_delay_alu instid0(VALU_DEP_1) | instskip(NEXT) | instid1(VALU_DEP_1)
	v_bfe_i32 v1, v1, 0, 16
	v_cvt_f64_i32_e32 v[6:7], v1
	global_store_b64 v[2:3], v[6:7], off
.LBB182_1862:
	s_and_not1_b32 vcc_lo, exec_lo, s2
	s_cbranch_vccnz .LBB182_1864
; %bb.1863:
	s_wait_xcnt 0x0
	v_bfe_i32 v1, v8, 0, 8
	s_delay_alu instid0(VALU_DEP_1) | instskip(NEXT) | instid1(VALU_DEP_1)
	v_bfe_i32 v1, v1, 0, 16
	v_cvt_f32_i32_e32 v1, v1
	global_store_b32 v[2:3], v1, off
.LBB182_1864:
	s_mov_b32 s2, 0
.LBB182_1865:
	s_delay_alu instid0(SALU_CYCLE_1)
	s_and_not1_b32 vcc_lo, exec_lo, s2
	s_cbranch_vccnz .LBB182_1867
; %bb.1866:
	s_wait_xcnt 0x0
	v_bfe_i32 v1, v8, 0, 8
	s_delay_alu instid0(VALU_DEP_1)
	v_cvt_f16_i16_e32 v1, v1
	global_store_b16 v[2:3], v1, off
.LBB182_1867:
	s_mov_b32 s2, 0
.LBB182_1868:
	s_delay_alu instid0(SALU_CYCLE_1)
	s_and_not1_b32 vcc_lo, exec_lo, s2
	s_cbranch_vccnz .LBB182_1884
; %bb.1869:
	s_cmp_lt_i32 s0, 2
	s_mov_b32 s2, -1
	s_cbranch_scc1 .LBB182_1879
; %bb.1870:
	s_cmp_lt_i32 s0, 3
	s_cbranch_scc1 .LBB182_1876
; %bb.1871:
	s_cmp_gt_i32 s0, 3
	s_cbranch_scc0 .LBB182_1873
; %bb.1872:
	s_wait_xcnt 0x0
	v_bfe_i32 v6, v8, 0, 8
	s_mov_b32 s2, 0
	s_delay_alu instid0(VALU_DEP_1)
	v_ashrrev_i32_e32 v7, 31, v6
	global_store_b64 v[2:3], v[6:7], off
.LBB182_1873:
	s_and_not1_b32 vcc_lo, exec_lo, s2
	s_cbranch_vccnz .LBB182_1875
; %bb.1874:
	s_wait_xcnt 0x0
	v_bfe_i32 v1, v8, 0, 8
	global_store_b32 v[2:3], v1, off
.LBB182_1875:
	s_mov_b32 s2, 0
.LBB182_1876:
	s_delay_alu instid0(SALU_CYCLE_1)
	s_and_not1_b32 vcc_lo, exec_lo, s2
	s_cbranch_vccnz .LBB182_1878
; %bb.1877:
	s_wait_xcnt 0x0
	v_bfe_i32 v1, v8, 0, 8
	global_store_b16 v[2:3], v1, off
.LBB182_1878:
	s_mov_b32 s2, 0
.LBB182_1879:
	s_delay_alu instid0(SALU_CYCLE_1)
	s_and_not1_b32 vcc_lo, exec_lo, s2
	s_cbranch_vccnz .LBB182_1884
; %bb.1880:
	s_cmp_gt_i32 s0, 0
	s_mov_b32 s0, -1
	s_cbranch_scc0 .LBB182_1882
; %bb.1881:
	s_mov_b32 s0, 0
	global_store_b8 v[2:3], v8, off
.LBB182_1882:
	s_and_not1_b32 vcc_lo, exec_lo, s0
	s_cbranch_vccnz .LBB182_1884
; %bb.1883:
	global_store_b8 v[2:3], v8, off
.LBB182_1884:
	s_mov_b32 s7, -1
.LBB182_1885:
	s_delay_alu instid0(SALU_CYCLE_1)
	s_and_not1_b32 vcc_lo, exec_lo, s7
	s_cbranch_vccnz .LBB182_2081
; %bb.1886:
	v_add_nc_u32_e32 v0, s1, v0
	s_cmp_lt_i32 s15, 11
	s_wait_xcnt 0x0
	s_delay_alu instid0(VALU_DEP_1) | instskip(NEXT) | instid1(VALU_DEP_1)
	v_ashrrev_i32_e32 v1, 31, v0
	v_add_nc_u64_e32 v[2:3], s[4:5], v[0:1]
	s_cbranch_scc1 .LBB182_1964
; %bb.1887:
	s_and_b32 s2, 0xffff, s15
	s_mov_b32 s8, -1
	s_mov_b32 s6, 0
	s_cmp_gt_i32 s2, 25
	s_mov_b32 s7, 0
	s_mov_b32 s0, 0
	s_cbranch_scc0 .LBB182_1920
; %bb.1888:
	s_cmp_gt_i32 s2, 28
	s_cbranch_scc0 .LBB182_1903
; %bb.1889:
	s_cmp_gt_i32 s2, 43
	;; [unrolled: 3-line block ×3, first 2 shown]
	s_cbranch_scc0 .LBB182_1893
; %bb.1891:
	s_mov_b32 s0, -1
	s_mov_b32 s8, 0
	s_cmp_eq_u32 s2, 46
	s_cbranch_scc0 .LBB182_1893
; %bb.1892:
	v_bfe_i32 v1, v5, 0, 8
	s_mov_b32 s0, 0
	s_mov_b32 s7, -1
	s_delay_alu instid0(VALU_DEP_1) | instskip(NEXT) | instid1(VALU_DEP_1)
	v_bfe_i32 v1, v1, 0, 16
	v_cvt_f32_i32_e32 v1, v1
	s_delay_alu instid0(VALU_DEP_1) | instskip(NEXT) | instid1(VALU_DEP_1)
	v_bfe_u32 v6, v1, 16, 1
	v_add3_u32 v1, v1, v6, 0x7fff
	s_delay_alu instid0(VALU_DEP_1)
	v_lshrrev_b32_e32 v1, 16, v1
	global_store_b32 v[2:3], v1, off
.LBB182_1893:
	s_and_b32 vcc_lo, exec_lo, s8
	s_cbranch_vccz .LBB182_1898
; %bb.1894:
	s_cmp_eq_u32 s2, 44
	s_mov_b32 s0, -1
	s_cbranch_scc0 .LBB182_1898
; %bb.1895:
	s_wait_xcnt 0x0
	v_bfe_i32 v1, v5, 0, 8
	v_mov_b32_e32 v6, 0xff
	s_mov_b32 s7, exec_lo
	s_delay_alu instid0(VALU_DEP_2) | instskip(NEXT) | instid1(VALU_DEP_1)
	v_bfe_i32 v1, v1, 0, 16
	v_cvt_f32_i32_e32 v1, v1
	s_delay_alu instid0(VALU_DEP_1) | instskip(NEXT) | instid1(VALU_DEP_1)
	v_bfe_u32 v7, v1, 23, 8
	v_cmpx_ne_u32_e32 0xff, v7
	s_cbranch_execz .LBB182_1897
; %bb.1896:
	v_and_b32_e32 v6, 0x400000, v1
	v_and_or_b32 v7, 0x3fffff, v1, v7
	v_lshrrev_b32_e32 v1, 23, v1
	s_delay_alu instid0(VALU_DEP_3) | instskip(NEXT) | instid1(VALU_DEP_3)
	v_cmp_ne_u32_e32 vcc_lo, 0, v6
	v_cmp_ne_u32_e64 s0, 0, v7
	s_and_b32 s0, vcc_lo, s0
	s_delay_alu instid0(SALU_CYCLE_1) | instskip(NEXT) | instid1(VALU_DEP_1)
	v_cndmask_b32_e64 v6, 0, 1, s0
	v_add_nc_u32_e32 v6, v1, v6
.LBB182_1897:
	s_or_b32 exec_lo, exec_lo, s7
	s_mov_b32 s0, 0
	s_mov_b32 s7, -1
	global_store_b8 v[2:3], v6, off
.LBB182_1898:
	s_mov_b32 s8, 0
.LBB182_1899:
	s_delay_alu instid0(SALU_CYCLE_1)
	s_and_b32 vcc_lo, exec_lo, s8
	s_cbranch_vccz .LBB182_1902
; %bb.1900:
	s_cmp_eq_u32 s2, 29
	s_mov_b32 s0, -1
	s_cbranch_scc0 .LBB182_1902
; %bb.1901:
	s_wait_xcnt 0x0
	v_bfe_i32 v6, v5, 0, 8
	s_mov_b32 s0, 0
	s_mov_b32 s7, -1
	s_delay_alu instid0(VALU_DEP_1)
	v_ashrrev_i32_e32 v7, 31, v6
	global_store_b64 v[2:3], v[6:7], off
.LBB182_1902:
	s_mov_b32 s8, 0
.LBB182_1903:
	s_delay_alu instid0(SALU_CYCLE_1)
	s_and_b32 vcc_lo, exec_lo, s8
	s_cbranch_vccz .LBB182_1919
; %bb.1904:
	s_cmp_lt_i32 s2, 27
	s_mov_b32 s7, -1
	s_cbranch_scc1 .LBB182_1910
; %bb.1905:
	s_cmp_gt_i32 s2, 27
	s_cbranch_scc0 .LBB182_1907
; %bb.1906:
	s_wait_xcnt 0x0
	v_bfe_i32 v1, v5, 0, 8
	s_mov_b32 s7, 0
	global_store_b32 v[2:3], v1, off
.LBB182_1907:
	s_and_not1_b32 vcc_lo, exec_lo, s7
	s_cbranch_vccnz .LBB182_1909
; %bb.1908:
	s_wait_xcnt 0x0
	v_bfe_i32 v1, v5, 0, 8
	global_store_b16 v[2:3], v1, off
.LBB182_1909:
	s_mov_b32 s7, 0
.LBB182_1910:
	s_delay_alu instid0(SALU_CYCLE_1)
	s_and_not1_b32 vcc_lo, exec_lo, s7
	s_cbranch_vccnz .LBB182_1918
; %bb.1911:
	s_wait_xcnt 0x0
	v_bfe_i32 v1, v5, 0, 8
	v_mov_b32_e32 v7, 0x80
	s_mov_b32 s7, exec_lo
	s_delay_alu instid0(VALU_DEP_2) | instskip(NEXT) | instid1(VALU_DEP_1)
	v_bfe_i32 v1, v1, 0, 16
	v_cvt_f32_i32_e32 v1, v1
	s_delay_alu instid0(VALU_DEP_1) | instskip(NEXT) | instid1(VALU_DEP_1)
	v_and_b32_e32 v6, 0x7fffffff, v1
	v_cmpx_gt_u32_e32 0x43800000, v6
	s_cbranch_execz .LBB182_1917
; %bb.1912:
	v_cmp_lt_u32_e32 vcc_lo, 0x3bffffff, v6
	s_mov_b32 s8, 0
                                        ; implicit-def: $vgpr6
	s_and_saveexec_b32 s9, vcc_lo
	s_delay_alu instid0(SALU_CYCLE_1)
	s_xor_b32 s9, exec_lo, s9
	s_cbranch_execz .LBB182_2094
; %bb.1913:
	v_bfe_u32 v6, v1, 20, 1
	s_mov_b32 s8, exec_lo
	s_delay_alu instid0(VALU_DEP_1) | instskip(NEXT) | instid1(VALU_DEP_1)
	v_add3_u32 v6, v1, v6, 0x487ffff
	v_lshrrev_b32_e32 v6, 20, v6
	s_and_not1_saveexec_b32 s9, s9
	s_cbranch_execnz .LBB182_2095
.LBB182_1914:
	s_or_b32 exec_lo, exec_lo, s9
	v_mov_b32_e32 v7, 0
	s_and_saveexec_b32 s9, s8
.LBB182_1915:
	v_lshrrev_b32_e32 v1, 24, v1
	s_delay_alu instid0(VALU_DEP_1)
	v_and_or_b32 v7, 0x80, v1, v6
.LBB182_1916:
	s_or_b32 exec_lo, exec_lo, s9
.LBB182_1917:
	s_delay_alu instid0(SALU_CYCLE_1)
	s_or_b32 exec_lo, exec_lo, s7
	global_store_b8 v[2:3], v7, off
.LBB182_1918:
	s_mov_b32 s7, -1
.LBB182_1919:
	s_mov_b32 s8, 0
.LBB182_1920:
	s_delay_alu instid0(SALU_CYCLE_1)
	s_and_b32 vcc_lo, exec_lo, s8
	s_cbranch_vccz .LBB182_1960
; %bb.1921:
	s_cmp_gt_i32 s2, 22
	s_mov_b32 s6, -1
	s_cbranch_scc0 .LBB182_1953
; %bb.1922:
	s_cmp_lt_i32 s2, 24
	s_cbranch_scc1 .LBB182_1942
; %bb.1923:
	s_cmp_gt_i32 s2, 24
	s_cbranch_scc0 .LBB182_1931
; %bb.1924:
	s_wait_xcnt 0x0
	v_bfe_i32 v1, v5, 0, 8
	v_mov_b32_e32 v7, 0x80
	s_mov_b32 s6, exec_lo
	s_delay_alu instid0(VALU_DEP_2) | instskip(NEXT) | instid1(VALU_DEP_1)
	v_bfe_i32 v1, v1, 0, 16
	v_cvt_f32_i32_e32 v1, v1
	s_delay_alu instid0(VALU_DEP_1) | instskip(NEXT) | instid1(VALU_DEP_1)
	v_and_b32_e32 v6, 0x7fffffff, v1
	v_cmpx_gt_u32_e32 0x47800000, v6
	s_cbranch_execz .LBB182_1930
; %bb.1925:
	v_cmp_lt_u32_e32 vcc_lo, 0x37ffffff, v6
	s_mov_b32 s7, 0
                                        ; implicit-def: $vgpr6
	s_and_saveexec_b32 s8, vcc_lo
	s_delay_alu instid0(SALU_CYCLE_1)
	s_xor_b32 s8, exec_lo, s8
	s_cbranch_execz .LBB182_2097
; %bb.1926:
	v_bfe_u32 v6, v1, 21, 1
	s_mov_b32 s7, exec_lo
	s_delay_alu instid0(VALU_DEP_1) | instskip(NEXT) | instid1(VALU_DEP_1)
	v_add3_u32 v6, v1, v6, 0x88fffff
	v_lshrrev_b32_e32 v6, 21, v6
	s_and_not1_saveexec_b32 s8, s8
	s_cbranch_execnz .LBB182_2098
.LBB182_1927:
	s_or_b32 exec_lo, exec_lo, s8
	v_mov_b32_e32 v7, 0
	s_and_saveexec_b32 s8, s7
.LBB182_1928:
	v_lshrrev_b32_e32 v1, 24, v1
	s_delay_alu instid0(VALU_DEP_1)
	v_and_or_b32 v7, 0x80, v1, v6
.LBB182_1929:
	s_or_b32 exec_lo, exec_lo, s8
.LBB182_1930:
	s_delay_alu instid0(SALU_CYCLE_1)
	s_or_b32 exec_lo, exec_lo, s6
	s_mov_b32 s6, 0
	global_store_b8 v[2:3], v7, off
.LBB182_1931:
	s_and_b32 vcc_lo, exec_lo, s6
	s_cbranch_vccz .LBB182_1941
; %bb.1932:
	s_wait_xcnt 0x0
	v_bfe_i32 v1, v5, 0, 8
	s_mov_b32 s6, exec_lo
                                        ; implicit-def: $vgpr6
	s_delay_alu instid0(VALU_DEP_1) | instskip(NEXT) | instid1(VALU_DEP_1)
	v_bfe_i32 v1, v1, 0, 16
	v_cvt_f32_i32_e32 v1, v1
	s_delay_alu instid0(VALU_DEP_1) | instskip(NEXT) | instid1(VALU_DEP_1)
	v_and_b32_e32 v7, 0x7fffffff, v1
	v_cmpx_gt_u32_e32 0x43f00000, v7
	s_xor_b32 s6, exec_lo, s6
	s_cbranch_execz .LBB182_1938
; %bb.1933:
	s_mov_b32 s7, exec_lo
                                        ; implicit-def: $vgpr6
	v_cmpx_lt_u32_e32 0x3c7fffff, v7
	s_xor_b32 s7, exec_lo, s7
; %bb.1934:
	v_bfe_u32 v6, v1, 20, 1
	s_delay_alu instid0(VALU_DEP_1) | instskip(NEXT) | instid1(VALU_DEP_1)
	v_add3_u32 v6, v1, v6, 0x407ffff
	v_and_b32_e32 v7, 0xff00000, v6
	v_lshrrev_b32_e32 v6, 20, v6
	s_delay_alu instid0(VALU_DEP_2) | instskip(NEXT) | instid1(VALU_DEP_2)
	v_cmp_ne_u32_e32 vcc_lo, 0x7f00000, v7
	v_cndmask_b32_e32 v6, 0x7e, v6, vcc_lo
; %bb.1935:
	s_and_not1_saveexec_b32 s7, s7
; %bb.1936:
	v_add_f32_e64 v6, 0x46800000, |v1|
; %bb.1937:
	s_or_b32 exec_lo, exec_lo, s7
                                        ; implicit-def: $vgpr7
.LBB182_1938:
	s_and_not1_saveexec_b32 s6, s6
; %bb.1939:
	v_mov_b32_e32 v6, 0x7f
	v_cmp_lt_u32_e32 vcc_lo, 0x7f800000, v7
	s_delay_alu instid0(VALU_DEP_2)
	v_cndmask_b32_e32 v6, 0x7e, v6, vcc_lo
; %bb.1940:
	s_or_b32 exec_lo, exec_lo, s6
	v_lshrrev_b32_e32 v1, 24, v1
	s_delay_alu instid0(VALU_DEP_1)
	v_and_or_b32 v1, 0x80, v1, v6
	global_store_b8 v[2:3], v1, off
.LBB182_1941:
	s_mov_b32 s6, 0
.LBB182_1942:
	s_delay_alu instid0(SALU_CYCLE_1)
	s_and_not1_b32 vcc_lo, exec_lo, s6
	s_cbranch_vccnz .LBB182_1952
; %bb.1943:
	s_wait_xcnt 0x0
	v_bfe_i32 v1, v5, 0, 8
	s_mov_b32 s6, exec_lo
                                        ; implicit-def: $vgpr6
	s_delay_alu instid0(VALU_DEP_1) | instskip(NEXT) | instid1(VALU_DEP_1)
	v_bfe_i32 v1, v1, 0, 16
	v_cvt_f32_i32_e32 v1, v1
	s_delay_alu instid0(VALU_DEP_1) | instskip(NEXT) | instid1(VALU_DEP_1)
	v_and_b32_e32 v7, 0x7fffffff, v1
	v_cmpx_gt_u32_e32 0x47800000, v7
	s_xor_b32 s6, exec_lo, s6
	s_cbranch_execz .LBB182_1949
; %bb.1944:
	s_mov_b32 s7, exec_lo
                                        ; implicit-def: $vgpr6
	v_cmpx_lt_u32_e32 0x387fffff, v7
	s_xor_b32 s7, exec_lo, s7
; %bb.1945:
	v_bfe_u32 v6, v1, 21, 1
	s_delay_alu instid0(VALU_DEP_1) | instskip(NEXT) | instid1(VALU_DEP_1)
	v_add3_u32 v6, v1, v6, 0x80fffff
	v_lshrrev_b32_e32 v6, 21, v6
; %bb.1946:
	s_and_not1_saveexec_b32 s7, s7
; %bb.1947:
	v_add_f32_e64 v6, 0x43000000, |v1|
; %bb.1948:
	s_or_b32 exec_lo, exec_lo, s7
                                        ; implicit-def: $vgpr7
.LBB182_1949:
	s_and_not1_saveexec_b32 s6, s6
; %bb.1950:
	v_mov_b32_e32 v6, 0x7f
	v_cmp_lt_u32_e32 vcc_lo, 0x7f800000, v7
	s_delay_alu instid0(VALU_DEP_2)
	v_cndmask_b32_e32 v6, 0x7c, v6, vcc_lo
; %bb.1951:
	s_or_b32 exec_lo, exec_lo, s6
	v_lshrrev_b32_e32 v1, 24, v1
	s_delay_alu instid0(VALU_DEP_1)
	v_and_or_b32 v1, 0x80, v1, v6
	global_store_b8 v[2:3], v1, off
.LBB182_1952:
	s_mov_b32 s6, 0
	s_mov_b32 s7, -1
.LBB182_1953:
	s_and_not1_b32 vcc_lo, exec_lo, s6
	s_mov_b32 s6, 0
	s_cbranch_vccnz .LBB182_1960
; %bb.1954:
	s_cmp_gt_i32 s2, 14
	s_mov_b32 s6, -1
	s_cbranch_scc0 .LBB182_1958
; %bb.1955:
	s_cmp_eq_u32 s2, 15
	s_mov_b32 s0, -1
	s_cbranch_scc0 .LBB182_1957
; %bb.1956:
	s_wait_xcnt 0x0
	v_bfe_i32 v1, v5, 0, 8
	s_mov_b32 s0, 0
	s_mov_b32 s7, -1
	s_delay_alu instid0(VALU_DEP_1) | instskip(NEXT) | instid1(VALU_DEP_1)
	v_bfe_i32 v1, v1, 0, 16
	v_cvt_f32_i32_e32 v1, v1
	s_delay_alu instid0(VALU_DEP_1) | instskip(NEXT) | instid1(VALU_DEP_1)
	v_bfe_u32 v6, v1, 16, 1
	v_add3_u32 v1, v1, v6, 0x7fff
	global_store_d16_hi_b16 v[2:3], v1, off
.LBB182_1957:
	s_mov_b32 s6, 0
.LBB182_1958:
	s_delay_alu instid0(SALU_CYCLE_1)
	s_and_b32 vcc_lo, exec_lo, s6
	s_mov_b32 s6, 0
	s_cbranch_vccz .LBB182_1960
; %bb.1959:
	s_cmp_lg_u32 s2, 11
	s_mov_b32 s6, -1
	s_cselect_b32 s0, -1, 0
.LBB182_1960:
	s_delay_alu instid0(SALU_CYCLE_1)
	s_and_b32 vcc_lo, exec_lo, s0
	s_cbranch_vccnz .LBB182_2096
; %bb.1961:
	s_and_not1_b32 vcc_lo, exec_lo, s6
	s_cbranch_vccnz .LBB182_1963
.LBB182_1962:
	s_wait_xcnt 0x0
	v_and_b32_e32 v1, 0xff, v5
	s_mov_b32 s7, -1
	s_delay_alu instid0(VALU_DEP_1)
	v_cmp_ne_u16_e32 vcc_lo, 0, v1
	v_cndmask_b32_e64 v1, 0, 1, vcc_lo
	global_store_b8 v[2:3], v1, off
.LBB182_1963:
	s_mov_b32 s0, 0
	s_branch .LBB182_1965
.LBB182_1964:
	s_mov_b32 s0, -1
	s_mov_b32 s7, 0
.LBB182_1965:
	s_and_b32 vcc_lo, exec_lo, s0
	s_cbranch_vccz .LBB182_2004
; %bb.1966:
	s_and_b32 s0, 0xffff, s15
	s_mov_b32 s2, -1
	s_cmp_lt_i32 s0, 5
	s_cbranch_scc1 .LBB182_1987
; %bb.1967:
	s_cmp_lt_i32 s0, 8
	s_cbranch_scc1 .LBB182_1977
; %bb.1968:
	;; [unrolled: 3-line block ×3, first 2 shown]
	s_cmp_gt_i32 s0, 9
	s_cbranch_scc0 .LBB182_1971
; %bb.1970:
	s_wait_xcnt 0x0
	v_bfe_i32 v1, v5, 0, 8
	v_mov_b32_e32 v8, 0
	s_mov_b32 s2, 0
	s_delay_alu instid0(VALU_DEP_2) | instskip(NEXT) | instid1(VALU_DEP_2)
	v_bfe_i32 v1, v1, 0, 16
	v_mov_b32_e32 v9, v8
	s_delay_alu instid0(VALU_DEP_2)
	v_cvt_f64_i32_e32 v[6:7], v1
	global_store_b128 v[2:3], v[6:9], off
.LBB182_1971:
	s_and_not1_b32 vcc_lo, exec_lo, s2
	s_cbranch_vccnz .LBB182_1973
; %bb.1972:
	s_wait_xcnt 0x0
	v_bfe_i32 v1, v5, 0, 8
	v_mov_b32_e32 v7, 0
	s_delay_alu instid0(VALU_DEP_2) | instskip(NEXT) | instid1(VALU_DEP_1)
	v_bfe_i32 v1, v1, 0, 16
	v_cvt_f32_i32_e32 v6, v1
	global_store_b64 v[2:3], v[6:7], off
.LBB182_1973:
	s_mov_b32 s2, 0
.LBB182_1974:
	s_delay_alu instid0(SALU_CYCLE_1)
	s_and_not1_b32 vcc_lo, exec_lo, s2
	s_cbranch_vccnz .LBB182_1976
; %bb.1975:
	s_wait_xcnt 0x0
	v_bfe_i32 v1, v5, 0, 8
	s_delay_alu instid0(VALU_DEP_1) | instskip(NEXT) | instid1(VALU_DEP_1)
	v_cvt_f16_i16_e32 v1, v1
	v_and_b32_e32 v1, 0xffff, v1
	global_store_b32 v[2:3], v1, off
.LBB182_1976:
	s_mov_b32 s2, 0
.LBB182_1977:
	s_delay_alu instid0(SALU_CYCLE_1)
	s_and_not1_b32 vcc_lo, exec_lo, s2
	s_cbranch_vccnz .LBB182_1986
; %bb.1978:
	s_cmp_lt_i32 s0, 6
	s_mov_b32 s2, -1
	s_cbranch_scc1 .LBB182_1984
; %bb.1979:
	s_cmp_gt_i32 s0, 6
	s_cbranch_scc0 .LBB182_1981
; %bb.1980:
	s_wait_xcnt 0x0
	v_bfe_i32 v1, v5, 0, 8
	s_mov_b32 s2, 0
	s_delay_alu instid0(VALU_DEP_1) | instskip(NEXT) | instid1(VALU_DEP_1)
	v_bfe_i32 v1, v1, 0, 16
	v_cvt_f64_i32_e32 v[6:7], v1
	global_store_b64 v[2:3], v[6:7], off
.LBB182_1981:
	s_and_not1_b32 vcc_lo, exec_lo, s2
	s_cbranch_vccnz .LBB182_1983
; %bb.1982:
	s_wait_xcnt 0x0
	v_bfe_i32 v1, v5, 0, 8
	s_delay_alu instid0(VALU_DEP_1) | instskip(NEXT) | instid1(VALU_DEP_1)
	v_bfe_i32 v1, v1, 0, 16
	v_cvt_f32_i32_e32 v1, v1
	global_store_b32 v[2:3], v1, off
.LBB182_1983:
	s_mov_b32 s2, 0
.LBB182_1984:
	s_delay_alu instid0(SALU_CYCLE_1)
	s_and_not1_b32 vcc_lo, exec_lo, s2
	s_cbranch_vccnz .LBB182_1986
; %bb.1985:
	s_wait_xcnt 0x0
	v_bfe_i32 v1, v5, 0, 8
	s_delay_alu instid0(VALU_DEP_1)
	v_cvt_f16_i16_e32 v1, v1
	global_store_b16 v[2:3], v1, off
.LBB182_1986:
	s_mov_b32 s2, 0
.LBB182_1987:
	s_delay_alu instid0(SALU_CYCLE_1)
	s_and_not1_b32 vcc_lo, exec_lo, s2
	s_cbranch_vccnz .LBB182_2003
; %bb.1988:
	s_cmp_lt_i32 s0, 2
	s_mov_b32 s2, -1
	s_cbranch_scc1 .LBB182_1998
; %bb.1989:
	s_cmp_lt_i32 s0, 3
	s_cbranch_scc1 .LBB182_1995
; %bb.1990:
	s_cmp_gt_i32 s0, 3
	s_cbranch_scc0 .LBB182_1992
; %bb.1991:
	s_wait_xcnt 0x0
	v_bfe_i32 v6, v5, 0, 8
	s_mov_b32 s2, 0
	s_delay_alu instid0(VALU_DEP_1)
	v_ashrrev_i32_e32 v7, 31, v6
	global_store_b64 v[2:3], v[6:7], off
.LBB182_1992:
	s_and_not1_b32 vcc_lo, exec_lo, s2
	s_cbranch_vccnz .LBB182_1994
; %bb.1993:
	s_wait_xcnt 0x0
	v_bfe_i32 v1, v5, 0, 8
	global_store_b32 v[2:3], v1, off
.LBB182_1994:
	s_mov_b32 s2, 0
.LBB182_1995:
	s_delay_alu instid0(SALU_CYCLE_1)
	s_and_not1_b32 vcc_lo, exec_lo, s2
	s_cbranch_vccnz .LBB182_1997
; %bb.1996:
	s_wait_xcnt 0x0
	v_bfe_i32 v1, v5, 0, 8
	global_store_b16 v[2:3], v1, off
.LBB182_1997:
	s_mov_b32 s2, 0
.LBB182_1998:
	s_delay_alu instid0(SALU_CYCLE_1)
	s_and_not1_b32 vcc_lo, exec_lo, s2
	s_cbranch_vccnz .LBB182_2003
; %bb.1999:
	s_cmp_gt_i32 s0, 0
	s_mov_b32 s0, -1
	s_cbranch_scc0 .LBB182_2001
; %bb.2000:
	s_mov_b32 s0, 0
	global_store_b8 v[2:3], v5, off
.LBB182_2001:
	s_and_not1_b32 vcc_lo, exec_lo, s0
	s_cbranch_vccnz .LBB182_2003
; %bb.2002:
	global_store_b8 v[2:3], v5, off
.LBB182_2003:
	s_mov_b32 s7, -1
.LBB182_2004:
	s_delay_alu instid0(SALU_CYCLE_1)
	s_and_not1_b32 vcc_lo, exec_lo, s7
	s_cbranch_vccnz .LBB182_2081
; %bb.2005:
	v_add_nc_u32_e32 v0, s1, v0
	s_cmp_lt_i32 s15, 11
	s_wait_xcnt 0x0
	s_delay_alu instid0(VALU_DEP_1) | instskip(NEXT) | instid1(VALU_DEP_1)
	v_ashrrev_i32_e32 v1, 31, v0
	v_add_nc_u64_e32 v[0:1], s[4:5], v[0:1]
	s_cbranch_scc1 .LBB182_2082
; %bb.2006:
	s_and_b32 s1, 0xffff, s15
	s_mov_b32 s4, -1
	s_mov_b32 s2, 0
	s_cmp_gt_i32 s1, 25
	s_mov_b32 s0, 0
	s_cbranch_scc0 .LBB182_2039
; %bb.2007:
	s_cmp_gt_i32 s1, 28
	s_cbranch_scc0 .LBB182_2023
; %bb.2008:
	s_cmp_gt_i32 s1, 43
	;; [unrolled: 3-line block ×3, first 2 shown]
	s_cbranch_scc0 .LBB182_2013
; %bb.2010:
	s_cmp_eq_u32 s1, 46
	s_mov_b32 s0, -1
	s_cbranch_scc0 .LBB182_2012
; %bb.2011:
	v_bfe_i32 v2, v4, 0, 8
	s_mov_b32 s0, 0
	s_delay_alu instid0(VALU_DEP_1) | instskip(NEXT) | instid1(VALU_DEP_1)
	v_bfe_i32 v2, v2, 0, 16
	v_cvt_f32_i32_e32 v2, v2
	s_delay_alu instid0(VALU_DEP_1) | instskip(NEXT) | instid1(VALU_DEP_1)
	v_bfe_u32 v3, v2, 16, 1
	v_add3_u32 v2, v2, v3, 0x7fff
	s_delay_alu instid0(VALU_DEP_1)
	v_lshrrev_b32_e32 v2, 16, v2
	global_store_b32 v[0:1], v2, off
.LBB182_2012:
	s_mov_b32 s4, 0
.LBB182_2013:
	s_delay_alu instid0(SALU_CYCLE_1)
	s_and_b32 vcc_lo, exec_lo, s4
	s_cbranch_vccz .LBB182_2018
; %bb.2014:
	s_cmp_eq_u32 s1, 44
	s_mov_b32 s0, -1
	s_cbranch_scc0 .LBB182_2018
; %bb.2015:
	s_wait_xcnt 0x0
	v_bfe_i32 v2, v4, 0, 8
	v_mov_b32_e32 v3, 0xff
	s_mov_b32 s4, exec_lo
	s_delay_alu instid0(VALU_DEP_2) | instskip(NEXT) | instid1(VALU_DEP_1)
	v_bfe_i32 v2, v2, 0, 16
	v_cvt_f32_i32_e32 v2, v2
	s_delay_alu instid0(VALU_DEP_1) | instskip(NEXT) | instid1(VALU_DEP_1)
	v_bfe_u32 v5, v2, 23, 8
	v_cmpx_ne_u32_e32 0xff, v5
	s_cbranch_execz .LBB182_2017
; %bb.2016:
	v_and_b32_e32 v3, 0x400000, v2
	v_and_or_b32 v5, 0x3fffff, v2, v5
	v_lshrrev_b32_e32 v2, 23, v2
	s_delay_alu instid0(VALU_DEP_3) | instskip(NEXT) | instid1(VALU_DEP_3)
	v_cmp_ne_u32_e32 vcc_lo, 0, v3
	v_cmp_ne_u32_e64 s0, 0, v5
	s_and_b32 s0, vcc_lo, s0
	s_delay_alu instid0(SALU_CYCLE_1) | instskip(NEXT) | instid1(VALU_DEP_1)
	v_cndmask_b32_e64 v3, 0, 1, s0
	v_add_nc_u32_e32 v3, v2, v3
.LBB182_2017:
	s_or_b32 exec_lo, exec_lo, s4
	s_mov_b32 s0, 0
	global_store_b8 v[0:1], v3, off
.LBB182_2018:
	s_mov_b32 s4, 0
.LBB182_2019:
	s_delay_alu instid0(SALU_CYCLE_1)
	s_and_b32 vcc_lo, exec_lo, s4
	s_cbranch_vccz .LBB182_2022
; %bb.2020:
	s_cmp_eq_u32 s1, 29
	s_mov_b32 s0, -1
	s_cbranch_scc0 .LBB182_2022
; %bb.2021:
	s_wait_xcnt 0x0
	v_bfe_i32 v2, v4, 0, 8
	s_mov_b32 s0, 0
	s_delay_alu instid0(VALU_DEP_1)
	v_ashrrev_i32_e32 v3, 31, v2
	global_store_b64 v[0:1], v[2:3], off
.LBB182_2022:
	s_mov_b32 s4, 0
.LBB182_2023:
	s_delay_alu instid0(SALU_CYCLE_1)
	s_and_b32 vcc_lo, exec_lo, s4
	s_cbranch_vccz .LBB182_2038
; %bb.2024:
	s_cmp_lt_i32 s1, 27
	s_mov_b32 s4, -1
	s_cbranch_scc1 .LBB182_2030
; %bb.2025:
	s_cmp_gt_i32 s1, 27
	s_cbranch_scc0 .LBB182_2027
; %bb.2026:
	s_wait_xcnt 0x0
	v_bfe_i32 v2, v4, 0, 8
	s_mov_b32 s4, 0
	global_store_b32 v[0:1], v2, off
.LBB182_2027:
	s_and_not1_b32 vcc_lo, exec_lo, s4
	s_cbranch_vccnz .LBB182_2029
; %bb.2028:
	s_wait_xcnt 0x0
	v_bfe_i32 v2, v4, 0, 8
	global_store_b16 v[0:1], v2, off
.LBB182_2029:
	s_mov_b32 s4, 0
.LBB182_2030:
	s_delay_alu instid0(SALU_CYCLE_1)
	s_and_not1_b32 vcc_lo, exec_lo, s4
	s_cbranch_vccnz .LBB182_2038
; %bb.2031:
	s_wait_xcnt 0x0
	v_bfe_i32 v2, v4, 0, 8
	v_mov_b32_e32 v5, 0x80
	s_mov_b32 s4, exec_lo
	s_delay_alu instid0(VALU_DEP_2) | instskip(NEXT) | instid1(VALU_DEP_1)
	v_bfe_i32 v2, v2, 0, 16
	v_cvt_f32_i32_e32 v2, v2
	s_delay_alu instid0(VALU_DEP_1) | instskip(NEXT) | instid1(VALU_DEP_1)
	v_and_b32_e32 v3, 0x7fffffff, v2
	v_cmpx_gt_u32_e32 0x43800000, v3
	s_cbranch_execz .LBB182_2037
; %bb.2032:
	v_cmp_lt_u32_e32 vcc_lo, 0x3bffffff, v3
	s_mov_b32 s5, 0
                                        ; implicit-def: $vgpr3
	s_and_saveexec_b32 s6, vcc_lo
	s_delay_alu instid0(SALU_CYCLE_1)
	s_xor_b32 s6, exec_lo, s6
	s_cbranch_execz .LBB182_2099
; %bb.2033:
	v_bfe_u32 v3, v2, 20, 1
	s_mov_b32 s5, exec_lo
	s_delay_alu instid0(VALU_DEP_1) | instskip(NEXT) | instid1(VALU_DEP_1)
	v_add3_u32 v3, v2, v3, 0x487ffff
	v_lshrrev_b32_e32 v3, 20, v3
	s_and_not1_saveexec_b32 s6, s6
	s_cbranch_execnz .LBB182_2100
.LBB182_2034:
	s_or_b32 exec_lo, exec_lo, s6
	v_mov_b32_e32 v5, 0
	s_and_saveexec_b32 s6, s5
.LBB182_2035:
	v_lshrrev_b32_e32 v2, 24, v2
	s_delay_alu instid0(VALU_DEP_1)
	v_and_or_b32 v5, 0x80, v2, v3
.LBB182_2036:
	s_or_b32 exec_lo, exec_lo, s6
.LBB182_2037:
	s_delay_alu instid0(SALU_CYCLE_1)
	s_or_b32 exec_lo, exec_lo, s4
	global_store_b8 v[0:1], v5, off
.LBB182_2038:
	s_mov_b32 s4, 0
.LBB182_2039:
	s_delay_alu instid0(SALU_CYCLE_1)
	s_and_b32 vcc_lo, exec_lo, s4
	s_cbranch_vccz .LBB182_2079
; %bb.2040:
	s_cmp_gt_i32 s1, 22
	s_mov_b32 s2, -1
	s_cbranch_scc0 .LBB182_2072
; %bb.2041:
	s_cmp_lt_i32 s1, 24
	s_cbranch_scc1 .LBB182_2061
; %bb.2042:
	s_cmp_gt_i32 s1, 24
	s_cbranch_scc0 .LBB182_2050
; %bb.2043:
	s_wait_xcnt 0x0
	v_bfe_i32 v2, v4, 0, 8
	v_mov_b32_e32 v5, 0x80
	s_mov_b32 s2, exec_lo
	s_delay_alu instid0(VALU_DEP_2) | instskip(NEXT) | instid1(VALU_DEP_1)
	v_bfe_i32 v2, v2, 0, 16
	v_cvt_f32_i32_e32 v2, v2
	s_delay_alu instid0(VALU_DEP_1) | instskip(NEXT) | instid1(VALU_DEP_1)
	v_and_b32_e32 v3, 0x7fffffff, v2
	v_cmpx_gt_u32_e32 0x47800000, v3
	s_cbranch_execz .LBB182_2049
; %bb.2044:
	v_cmp_lt_u32_e32 vcc_lo, 0x37ffffff, v3
	s_mov_b32 s4, 0
                                        ; implicit-def: $vgpr3
	s_and_saveexec_b32 s5, vcc_lo
	s_delay_alu instid0(SALU_CYCLE_1)
	s_xor_b32 s5, exec_lo, s5
	s_cbranch_execz .LBB182_2102
; %bb.2045:
	v_bfe_u32 v3, v2, 21, 1
	s_mov_b32 s4, exec_lo
	s_delay_alu instid0(VALU_DEP_1) | instskip(NEXT) | instid1(VALU_DEP_1)
	v_add3_u32 v3, v2, v3, 0x88fffff
	v_lshrrev_b32_e32 v3, 21, v3
	s_and_not1_saveexec_b32 s5, s5
	s_cbranch_execnz .LBB182_2103
.LBB182_2046:
	s_or_b32 exec_lo, exec_lo, s5
	v_mov_b32_e32 v5, 0
	s_and_saveexec_b32 s5, s4
.LBB182_2047:
	v_lshrrev_b32_e32 v2, 24, v2
	s_delay_alu instid0(VALU_DEP_1)
	v_and_or_b32 v5, 0x80, v2, v3
.LBB182_2048:
	s_or_b32 exec_lo, exec_lo, s5
.LBB182_2049:
	s_delay_alu instid0(SALU_CYCLE_1)
	s_or_b32 exec_lo, exec_lo, s2
	s_mov_b32 s2, 0
	global_store_b8 v[0:1], v5, off
.LBB182_2050:
	s_and_b32 vcc_lo, exec_lo, s2
	s_cbranch_vccz .LBB182_2060
; %bb.2051:
	s_wait_xcnt 0x0
	v_bfe_i32 v2, v4, 0, 8
	s_mov_b32 s2, exec_lo
                                        ; implicit-def: $vgpr3
	s_delay_alu instid0(VALU_DEP_1) | instskip(NEXT) | instid1(VALU_DEP_1)
	v_bfe_i32 v2, v2, 0, 16
	v_cvt_f32_i32_e32 v2, v2
	s_delay_alu instid0(VALU_DEP_1) | instskip(NEXT) | instid1(VALU_DEP_1)
	v_and_b32_e32 v5, 0x7fffffff, v2
	v_cmpx_gt_u32_e32 0x43f00000, v5
	s_xor_b32 s2, exec_lo, s2
	s_cbranch_execz .LBB182_2057
; %bb.2052:
	s_mov_b32 s4, exec_lo
                                        ; implicit-def: $vgpr3
	v_cmpx_lt_u32_e32 0x3c7fffff, v5
	s_xor_b32 s4, exec_lo, s4
; %bb.2053:
	v_bfe_u32 v3, v2, 20, 1
	s_delay_alu instid0(VALU_DEP_1) | instskip(NEXT) | instid1(VALU_DEP_1)
	v_add3_u32 v3, v2, v3, 0x407ffff
	v_and_b32_e32 v5, 0xff00000, v3
	v_lshrrev_b32_e32 v3, 20, v3
	s_delay_alu instid0(VALU_DEP_2) | instskip(NEXT) | instid1(VALU_DEP_2)
	v_cmp_ne_u32_e32 vcc_lo, 0x7f00000, v5
	v_cndmask_b32_e32 v3, 0x7e, v3, vcc_lo
; %bb.2054:
	s_and_not1_saveexec_b32 s4, s4
; %bb.2055:
	v_add_f32_e64 v3, 0x46800000, |v2|
; %bb.2056:
	s_or_b32 exec_lo, exec_lo, s4
                                        ; implicit-def: $vgpr5
.LBB182_2057:
	s_and_not1_saveexec_b32 s2, s2
; %bb.2058:
	v_mov_b32_e32 v3, 0x7f
	v_cmp_lt_u32_e32 vcc_lo, 0x7f800000, v5
	s_delay_alu instid0(VALU_DEP_2)
	v_cndmask_b32_e32 v3, 0x7e, v3, vcc_lo
; %bb.2059:
	s_or_b32 exec_lo, exec_lo, s2
	v_lshrrev_b32_e32 v2, 24, v2
	s_delay_alu instid0(VALU_DEP_1)
	v_and_or_b32 v2, 0x80, v2, v3
	global_store_b8 v[0:1], v2, off
.LBB182_2060:
	s_mov_b32 s2, 0
.LBB182_2061:
	s_delay_alu instid0(SALU_CYCLE_1)
	s_and_not1_b32 vcc_lo, exec_lo, s2
	s_cbranch_vccnz .LBB182_2071
; %bb.2062:
	s_wait_xcnt 0x0
	v_bfe_i32 v2, v4, 0, 8
	s_mov_b32 s2, exec_lo
                                        ; implicit-def: $vgpr3
	s_delay_alu instid0(VALU_DEP_1) | instskip(NEXT) | instid1(VALU_DEP_1)
	v_bfe_i32 v2, v2, 0, 16
	v_cvt_f32_i32_e32 v2, v2
	s_delay_alu instid0(VALU_DEP_1) | instskip(NEXT) | instid1(VALU_DEP_1)
	v_and_b32_e32 v5, 0x7fffffff, v2
	v_cmpx_gt_u32_e32 0x47800000, v5
	s_xor_b32 s2, exec_lo, s2
	s_cbranch_execz .LBB182_2068
; %bb.2063:
	s_mov_b32 s4, exec_lo
                                        ; implicit-def: $vgpr3
	v_cmpx_lt_u32_e32 0x387fffff, v5
	s_xor_b32 s4, exec_lo, s4
; %bb.2064:
	v_bfe_u32 v3, v2, 21, 1
	s_delay_alu instid0(VALU_DEP_1) | instskip(NEXT) | instid1(VALU_DEP_1)
	v_add3_u32 v3, v2, v3, 0x80fffff
	v_lshrrev_b32_e32 v3, 21, v3
; %bb.2065:
	s_and_not1_saveexec_b32 s4, s4
; %bb.2066:
	v_add_f32_e64 v3, 0x43000000, |v2|
; %bb.2067:
	s_or_b32 exec_lo, exec_lo, s4
                                        ; implicit-def: $vgpr5
.LBB182_2068:
	s_and_not1_saveexec_b32 s2, s2
; %bb.2069:
	v_mov_b32_e32 v3, 0x7f
	v_cmp_lt_u32_e32 vcc_lo, 0x7f800000, v5
	s_delay_alu instid0(VALU_DEP_2)
	v_cndmask_b32_e32 v3, 0x7c, v3, vcc_lo
; %bb.2070:
	s_or_b32 exec_lo, exec_lo, s2
	v_lshrrev_b32_e32 v2, 24, v2
	s_delay_alu instid0(VALU_DEP_1)
	v_and_or_b32 v2, 0x80, v2, v3
	global_store_b8 v[0:1], v2, off
.LBB182_2071:
	s_mov_b32 s2, 0
.LBB182_2072:
	s_delay_alu instid0(SALU_CYCLE_1)
	s_and_not1_b32 vcc_lo, exec_lo, s2
	s_mov_b32 s2, 0
	s_cbranch_vccnz .LBB182_2079
; %bb.2073:
	s_cmp_gt_i32 s1, 14
	s_mov_b32 s2, -1
	s_cbranch_scc0 .LBB182_2077
; %bb.2074:
	s_cmp_eq_u32 s1, 15
	s_mov_b32 s0, -1
	s_cbranch_scc0 .LBB182_2076
; %bb.2075:
	s_wait_xcnt 0x0
	v_bfe_i32 v2, v4, 0, 8
	s_mov_b32 s0, 0
	s_delay_alu instid0(VALU_DEP_1) | instskip(NEXT) | instid1(VALU_DEP_1)
	v_bfe_i32 v2, v2, 0, 16
	v_cvt_f32_i32_e32 v2, v2
	s_delay_alu instid0(VALU_DEP_1) | instskip(NEXT) | instid1(VALU_DEP_1)
	v_bfe_u32 v3, v2, 16, 1
	v_add3_u32 v2, v2, v3, 0x7fff
	global_store_d16_hi_b16 v[0:1], v2, off
.LBB182_2076:
	s_mov_b32 s2, 0
.LBB182_2077:
	s_delay_alu instid0(SALU_CYCLE_1)
	s_and_b32 vcc_lo, exec_lo, s2
	s_mov_b32 s2, 0
	s_cbranch_vccz .LBB182_2079
; %bb.2078:
	s_cmp_lg_u32 s1, 11
	s_mov_b32 s2, -1
	s_cselect_b32 s0, -1, 0
.LBB182_2079:
	s_delay_alu instid0(SALU_CYCLE_1)
	s_and_b32 vcc_lo, exec_lo, s0
	s_cbranch_vccnz .LBB182_2101
.LBB182_2080:
	s_mov_b32 s0, 0
	s_branch .LBB182_1595
.LBB182_2081:
	s_mov_b32 s0, 0
	s_mov_b32 s2, 0
                                        ; implicit-def: $sgpr15
                                        ; implicit-def: $vgpr0_vgpr1
	s_branch .LBB182_1595
.LBB182_2082:
	s_mov_b32 s2, 0
	s_mov_b32 s0, -1
	s_branch .LBB182_1595
.LBB182_2083:
	s_or_b32 s3, s3, exec_lo
	s_trap 2
	s_cbranch_execz .LBB182_1539
	s_branch .LBB182_1540
.LBB182_2084:
	s_and_not1_saveexec_b32 s9, s9
	s_cbranch_execz .LBB182_1674
.LBB182_2085:
	v_add_f32_e64 v6, 0x46000000, |v1|
	s_and_not1_b32 s7, s7, exec_lo
	s_delay_alu instid0(VALU_DEP_1) | instskip(NEXT) | instid1(VALU_DEP_1)
	v_and_b32_e32 v6, 0xff, v6
	v_cmp_ne_u32_e32 vcc_lo, 0, v6
	s_and_b32 s10, vcc_lo, exec_lo
	s_delay_alu instid0(SALU_CYCLE_1)
	s_or_b32 s7, s7, s10
	s_or_b32 exec_lo, exec_lo, s9
	v_mov_b32_e32 v9, 0
	s_and_saveexec_b32 s9, s7
	s_cbranch_execnz .LBB182_1675
	s_branch .LBB182_1676
.LBB182_2086:
	s_or_b32 s3, s3, exec_lo
	s_trap 2
	s_cbranch_execz .LBB182_1722
	s_branch .LBB182_1723
.LBB182_2087:
	s_and_not1_saveexec_b32 s7, s7
	s_cbranch_execz .LBB182_1687
.LBB182_2088:
	v_add_f32_e64 v6, 0x42800000, |v1|
	s_and_not1_b32 s6, s6, exec_lo
	s_delay_alu instid0(VALU_DEP_1) | instskip(NEXT) | instid1(VALU_DEP_1)
	v_and_b32_e32 v6, 0xff, v6
	v_cmp_ne_u32_e32 vcc_lo, 0, v6
	s_and_b32 s9, vcc_lo, exec_lo
	s_delay_alu instid0(SALU_CYCLE_1)
	s_or_b32 s6, s6, s9
	s_or_b32 exec_lo, exec_lo, s7
	v_mov_b32_e32 v9, 0
	s_and_saveexec_b32 s7, s6
	s_cbranch_execnz .LBB182_1688
	s_branch .LBB182_1689
.LBB182_2089:
	s_and_not1_saveexec_b32 s9, s9
	s_cbranch_execz .LBB182_1795
.LBB182_2090:
	v_add_f32_e64 v6, 0x46000000, |v1|
	s_and_not1_b32 s8, s8, exec_lo
	s_delay_alu instid0(VALU_DEP_1) | instskip(NEXT) | instid1(VALU_DEP_1)
	v_and_b32_e32 v6, 0xff, v6
	v_cmp_ne_u32_e32 vcc_lo, 0, v6
	s_and_b32 s10, vcc_lo, exec_lo
	s_delay_alu instid0(SALU_CYCLE_1)
	s_or_b32 s8, s8, s10
	s_or_b32 exec_lo, exec_lo, s9
	v_mov_b32_e32 v7, 0
	s_and_saveexec_b32 s9, s8
	s_cbranch_execnz .LBB182_1796
	s_branch .LBB182_1797
.LBB182_2091:
	s_or_b32 s3, s3, exec_lo
	s_trap 2
	s_cbranch_execz .LBB182_1843
	s_branch .LBB182_1844
.LBB182_2092:
	s_and_not1_saveexec_b32 s8, s8
	s_cbranch_execz .LBB182_1808
.LBB182_2093:
	v_add_f32_e64 v6, 0x42800000, |v1|
	s_and_not1_b32 s7, s7, exec_lo
	s_delay_alu instid0(VALU_DEP_1) | instskip(NEXT) | instid1(VALU_DEP_1)
	v_and_b32_e32 v6, 0xff, v6
	v_cmp_ne_u32_e32 vcc_lo, 0, v6
	s_and_b32 s9, vcc_lo, exec_lo
	s_delay_alu instid0(SALU_CYCLE_1)
	s_or_b32 s7, s7, s9
	s_or_b32 exec_lo, exec_lo, s8
	v_mov_b32_e32 v7, 0
	s_and_saveexec_b32 s8, s7
	s_cbranch_execnz .LBB182_1809
	s_branch .LBB182_1810
.LBB182_2094:
	s_and_not1_saveexec_b32 s9, s9
	s_cbranch_execz .LBB182_1914
.LBB182_2095:
	v_add_f32_e64 v6, 0x46000000, |v1|
	s_and_not1_b32 s8, s8, exec_lo
	s_delay_alu instid0(VALU_DEP_1) | instskip(NEXT) | instid1(VALU_DEP_1)
	v_and_b32_e32 v6, 0xff, v6
	v_cmp_ne_u32_e32 vcc_lo, 0, v6
	s_and_b32 s10, vcc_lo, exec_lo
	s_delay_alu instid0(SALU_CYCLE_1)
	s_or_b32 s8, s8, s10
	s_or_b32 exec_lo, exec_lo, s9
	v_mov_b32_e32 v7, 0
	s_and_saveexec_b32 s9, s8
	s_cbranch_execnz .LBB182_1915
	s_branch .LBB182_1916
.LBB182_2096:
	s_or_b32 s3, s3, exec_lo
	s_trap 2
	s_cbranch_execz .LBB182_1962
	s_branch .LBB182_1963
.LBB182_2097:
	s_and_not1_saveexec_b32 s8, s8
	s_cbranch_execz .LBB182_1927
.LBB182_2098:
	v_add_f32_e64 v6, 0x42800000, |v1|
	s_and_not1_b32 s7, s7, exec_lo
	s_delay_alu instid0(VALU_DEP_1) | instskip(NEXT) | instid1(VALU_DEP_1)
	v_and_b32_e32 v6, 0xff, v6
	v_cmp_ne_u32_e32 vcc_lo, 0, v6
	s_and_b32 s9, vcc_lo, exec_lo
	s_delay_alu instid0(SALU_CYCLE_1)
	s_or_b32 s7, s7, s9
	s_or_b32 exec_lo, exec_lo, s8
	v_mov_b32_e32 v7, 0
	s_and_saveexec_b32 s8, s7
	s_cbranch_execnz .LBB182_1928
	s_branch .LBB182_1929
.LBB182_2099:
	s_and_not1_saveexec_b32 s6, s6
	s_cbranch_execz .LBB182_2034
.LBB182_2100:
	v_add_f32_e64 v3, 0x46000000, |v2|
	s_and_not1_b32 s5, s5, exec_lo
	s_delay_alu instid0(VALU_DEP_1) | instskip(NEXT) | instid1(VALU_DEP_1)
	v_and_b32_e32 v3, 0xff, v3
	v_cmp_ne_u32_e32 vcc_lo, 0, v3
	s_and_b32 s7, vcc_lo, exec_lo
	s_delay_alu instid0(SALU_CYCLE_1)
	s_or_b32 s5, s5, s7
	s_or_b32 exec_lo, exec_lo, s6
	v_mov_b32_e32 v5, 0
	s_and_saveexec_b32 s6, s5
	s_cbranch_execnz .LBB182_2035
	s_branch .LBB182_2036
.LBB182_2101:
	s_mov_b32 s2, 0
	s_or_b32 s3, s3, exec_lo
	s_trap 2
	s_branch .LBB182_2080
.LBB182_2102:
	s_and_not1_saveexec_b32 s5, s5
	s_cbranch_execz .LBB182_2046
.LBB182_2103:
	v_add_f32_e64 v3, 0x42800000, |v2|
	s_and_not1_b32 s4, s4, exec_lo
	s_delay_alu instid0(VALU_DEP_1) | instskip(NEXT) | instid1(VALU_DEP_1)
	v_and_b32_e32 v3, 0xff, v3
	v_cmp_ne_u32_e32 vcc_lo, 0, v3
	s_and_b32 s6, vcc_lo, exec_lo
	s_delay_alu instid0(SALU_CYCLE_1)
	s_or_b32 s4, s4, s6
	s_or_b32 exec_lo, exec_lo, s5
	v_mov_b32_e32 v5, 0
	s_and_saveexec_b32 s5, s4
	s_cbranch_execnz .LBB182_2047
	s_branch .LBB182_2048
	.section	.rodata,"a",@progbits
	.p2align	6, 0x0
	.amdhsa_kernel _ZN2at6native32elementwise_kernel_manual_unrollILi128ELi4EZNS0_15gpu_kernel_implIZZZNS0_12_GLOBAL__N_119launch_clamp_scalarERNS_18TensorIteratorBaseEN3c106ScalarES7_NS0_6detail11ClampLimitsEENKUlvE_clEvENKUlvE0_clEvEUlaE_EEvS5_RKT_EUlibE_EEviT1_
		.amdhsa_group_segment_fixed_size 0
		.amdhsa_private_segment_fixed_size 0
		.amdhsa_kernarg_size 48
		.amdhsa_user_sgpr_count 2
		.amdhsa_user_sgpr_dispatch_ptr 0
		.amdhsa_user_sgpr_queue_ptr 0
		.amdhsa_user_sgpr_kernarg_segment_ptr 1
		.amdhsa_user_sgpr_dispatch_id 0
		.amdhsa_user_sgpr_kernarg_preload_length 0
		.amdhsa_user_sgpr_kernarg_preload_offset 0
		.amdhsa_user_sgpr_private_segment_size 0
		.amdhsa_wavefront_size32 1
		.amdhsa_uses_dynamic_stack 0
		.amdhsa_enable_private_segment 0
		.amdhsa_system_sgpr_workgroup_id_x 1
		.amdhsa_system_sgpr_workgroup_id_y 0
		.amdhsa_system_sgpr_workgroup_id_z 0
		.amdhsa_system_sgpr_workgroup_info 0
		.amdhsa_system_vgpr_workitem_id 0
		.amdhsa_next_free_vgpr 14
		.amdhsa_next_free_sgpr 29
		.amdhsa_named_barrier_count 0
		.amdhsa_reserve_vcc 1
		.amdhsa_float_round_mode_32 0
		.amdhsa_float_round_mode_16_64 0
		.amdhsa_float_denorm_mode_32 3
		.amdhsa_float_denorm_mode_16_64 3
		.amdhsa_fp16_overflow 0
		.amdhsa_memory_ordered 1
		.amdhsa_forward_progress 1
		.amdhsa_inst_pref_size 255
		.amdhsa_round_robin_scheduling 0
		.amdhsa_exception_fp_ieee_invalid_op 0
		.amdhsa_exception_fp_denorm_src 0
		.amdhsa_exception_fp_ieee_div_zero 0
		.amdhsa_exception_fp_ieee_overflow 0
		.amdhsa_exception_fp_ieee_underflow 0
		.amdhsa_exception_fp_ieee_inexact 0
		.amdhsa_exception_int_div_zero 0
	.end_amdhsa_kernel
	.section	.text._ZN2at6native32elementwise_kernel_manual_unrollILi128ELi4EZNS0_15gpu_kernel_implIZZZNS0_12_GLOBAL__N_119launch_clamp_scalarERNS_18TensorIteratorBaseEN3c106ScalarES7_NS0_6detail11ClampLimitsEENKUlvE_clEvENKUlvE0_clEvEUlaE_EEvS5_RKT_EUlibE_EEviT1_,"axG",@progbits,_ZN2at6native32elementwise_kernel_manual_unrollILi128ELi4EZNS0_15gpu_kernel_implIZZZNS0_12_GLOBAL__N_119launch_clamp_scalarERNS_18TensorIteratorBaseEN3c106ScalarES7_NS0_6detail11ClampLimitsEENKUlvE_clEvENKUlvE0_clEvEUlaE_EEvS5_RKT_EUlibE_EEviT1_,comdat
.Lfunc_end182:
	.size	_ZN2at6native32elementwise_kernel_manual_unrollILi128ELi4EZNS0_15gpu_kernel_implIZZZNS0_12_GLOBAL__N_119launch_clamp_scalarERNS_18TensorIteratorBaseEN3c106ScalarES7_NS0_6detail11ClampLimitsEENKUlvE_clEvENKUlvE0_clEvEUlaE_EEvS5_RKT_EUlibE_EEviT1_, .Lfunc_end182-_ZN2at6native32elementwise_kernel_manual_unrollILi128ELi4EZNS0_15gpu_kernel_implIZZZNS0_12_GLOBAL__N_119launch_clamp_scalarERNS_18TensorIteratorBaseEN3c106ScalarES7_NS0_6detail11ClampLimitsEENKUlvE_clEvENKUlvE0_clEvEUlaE_EEvS5_RKT_EUlibE_EEviT1_
                                        ; -- End function
	.set _ZN2at6native32elementwise_kernel_manual_unrollILi128ELi4EZNS0_15gpu_kernel_implIZZZNS0_12_GLOBAL__N_119launch_clamp_scalarERNS_18TensorIteratorBaseEN3c106ScalarES7_NS0_6detail11ClampLimitsEENKUlvE_clEvENKUlvE0_clEvEUlaE_EEvS5_RKT_EUlibE_EEviT1_.num_vgpr, 14
	.set _ZN2at6native32elementwise_kernel_manual_unrollILi128ELi4EZNS0_15gpu_kernel_implIZZZNS0_12_GLOBAL__N_119launch_clamp_scalarERNS_18TensorIteratorBaseEN3c106ScalarES7_NS0_6detail11ClampLimitsEENKUlvE_clEvENKUlvE0_clEvEUlaE_EEvS5_RKT_EUlibE_EEviT1_.num_agpr, 0
	.set _ZN2at6native32elementwise_kernel_manual_unrollILi128ELi4EZNS0_15gpu_kernel_implIZZZNS0_12_GLOBAL__N_119launch_clamp_scalarERNS_18TensorIteratorBaseEN3c106ScalarES7_NS0_6detail11ClampLimitsEENKUlvE_clEvENKUlvE0_clEvEUlaE_EEvS5_RKT_EUlibE_EEviT1_.numbered_sgpr, 29
	.set _ZN2at6native32elementwise_kernel_manual_unrollILi128ELi4EZNS0_15gpu_kernel_implIZZZNS0_12_GLOBAL__N_119launch_clamp_scalarERNS_18TensorIteratorBaseEN3c106ScalarES7_NS0_6detail11ClampLimitsEENKUlvE_clEvENKUlvE0_clEvEUlaE_EEvS5_RKT_EUlibE_EEviT1_.num_named_barrier, 0
	.set _ZN2at6native32elementwise_kernel_manual_unrollILi128ELi4EZNS0_15gpu_kernel_implIZZZNS0_12_GLOBAL__N_119launch_clamp_scalarERNS_18TensorIteratorBaseEN3c106ScalarES7_NS0_6detail11ClampLimitsEENKUlvE_clEvENKUlvE0_clEvEUlaE_EEvS5_RKT_EUlibE_EEviT1_.private_seg_size, 0
	.set _ZN2at6native32elementwise_kernel_manual_unrollILi128ELi4EZNS0_15gpu_kernel_implIZZZNS0_12_GLOBAL__N_119launch_clamp_scalarERNS_18TensorIteratorBaseEN3c106ScalarES7_NS0_6detail11ClampLimitsEENKUlvE_clEvENKUlvE0_clEvEUlaE_EEvS5_RKT_EUlibE_EEviT1_.uses_vcc, 1
	.set _ZN2at6native32elementwise_kernel_manual_unrollILi128ELi4EZNS0_15gpu_kernel_implIZZZNS0_12_GLOBAL__N_119launch_clamp_scalarERNS_18TensorIteratorBaseEN3c106ScalarES7_NS0_6detail11ClampLimitsEENKUlvE_clEvENKUlvE0_clEvEUlaE_EEvS5_RKT_EUlibE_EEviT1_.uses_flat_scratch, 0
	.set _ZN2at6native32elementwise_kernel_manual_unrollILi128ELi4EZNS0_15gpu_kernel_implIZZZNS0_12_GLOBAL__N_119launch_clamp_scalarERNS_18TensorIteratorBaseEN3c106ScalarES7_NS0_6detail11ClampLimitsEENKUlvE_clEvENKUlvE0_clEvEUlaE_EEvS5_RKT_EUlibE_EEviT1_.has_dyn_sized_stack, 0
	.set _ZN2at6native32elementwise_kernel_manual_unrollILi128ELi4EZNS0_15gpu_kernel_implIZZZNS0_12_GLOBAL__N_119launch_clamp_scalarERNS_18TensorIteratorBaseEN3c106ScalarES7_NS0_6detail11ClampLimitsEENKUlvE_clEvENKUlvE0_clEvEUlaE_EEvS5_RKT_EUlibE_EEviT1_.has_recursion, 0
	.set _ZN2at6native32elementwise_kernel_manual_unrollILi128ELi4EZNS0_15gpu_kernel_implIZZZNS0_12_GLOBAL__N_119launch_clamp_scalarERNS_18TensorIteratorBaseEN3c106ScalarES7_NS0_6detail11ClampLimitsEENKUlvE_clEvENKUlvE0_clEvEUlaE_EEvS5_RKT_EUlibE_EEviT1_.has_indirect_call, 0
	.section	.AMDGPU.csdata,"",@progbits
; Kernel info:
; codeLenInByte = 38332
; TotalNumSgprs: 31
; NumVgprs: 14
; ScratchSize: 0
; MemoryBound: 1
; FloatMode: 240
; IeeeMode: 1
; LDSByteSize: 0 bytes/workgroup (compile time only)
; SGPRBlocks: 0
; VGPRBlocks: 0
; NumSGPRsForWavesPerEU: 31
; NumVGPRsForWavesPerEU: 14
; NamedBarCnt: 0
; Occupancy: 16
; WaveLimiterHint : 0
; COMPUTE_PGM_RSRC2:SCRATCH_EN: 0
; COMPUTE_PGM_RSRC2:USER_SGPR: 2
; COMPUTE_PGM_RSRC2:TRAP_HANDLER: 0
; COMPUTE_PGM_RSRC2:TGID_X_EN: 1
; COMPUTE_PGM_RSRC2:TGID_Y_EN: 0
; COMPUTE_PGM_RSRC2:TGID_Z_EN: 0
; COMPUTE_PGM_RSRC2:TIDIG_COMP_CNT: 0
	.section	.text._ZN2at6native32elementwise_kernel_manual_unrollILi128ELi4EZNS0_15gpu_kernel_implIZZZNS0_12_GLOBAL__N_119launch_clamp_scalarERNS_18TensorIteratorBaseEN3c106ScalarES7_NS0_6detail11ClampLimitsEENKUlvE_clEvENKUlvE0_clEvEUlaE_EEvS5_RKT_EUlibE0_EEviT1_,"axG",@progbits,_ZN2at6native32elementwise_kernel_manual_unrollILi128ELi4EZNS0_15gpu_kernel_implIZZZNS0_12_GLOBAL__N_119launch_clamp_scalarERNS_18TensorIteratorBaseEN3c106ScalarES7_NS0_6detail11ClampLimitsEENKUlvE_clEvENKUlvE0_clEvEUlaE_EEvS5_RKT_EUlibE0_EEviT1_,comdat
	.globl	_ZN2at6native32elementwise_kernel_manual_unrollILi128ELi4EZNS0_15gpu_kernel_implIZZZNS0_12_GLOBAL__N_119launch_clamp_scalarERNS_18TensorIteratorBaseEN3c106ScalarES7_NS0_6detail11ClampLimitsEENKUlvE_clEvENKUlvE0_clEvEUlaE_EEvS5_RKT_EUlibE0_EEviT1_ ; -- Begin function _ZN2at6native32elementwise_kernel_manual_unrollILi128ELi4EZNS0_15gpu_kernel_implIZZZNS0_12_GLOBAL__N_119launch_clamp_scalarERNS_18TensorIteratorBaseEN3c106ScalarES7_NS0_6detail11ClampLimitsEENKUlvE_clEvENKUlvE0_clEvEUlaE_EEvS5_RKT_EUlibE0_EEviT1_
	.p2align	8
	.type	_ZN2at6native32elementwise_kernel_manual_unrollILi128ELi4EZNS0_15gpu_kernel_implIZZZNS0_12_GLOBAL__N_119launch_clamp_scalarERNS_18TensorIteratorBaseEN3c106ScalarES7_NS0_6detail11ClampLimitsEENKUlvE_clEvENKUlvE0_clEvEUlaE_EEvS5_RKT_EUlibE0_EEviT1_,@function
_ZN2at6native32elementwise_kernel_manual_unrollILi128ELi4EZNS0_15gpu_kernel_implIZZZNS0_12_GLOBAL__N_119launch_clamp_scalarERNS_18TensorIteratorBaseEN3c106ScalarES7_NS0_6detail11ClampLimitsEENKUlvE_clEvENKUlvE0_clEvEUlaE_EEvS5_RKT_EUlibE0_EEviT1_: ; @_ZN2at6native32elementwise_kernel_manual_unrollILi128ELi4EZNS0_15gpu_kernel_implIZZZNS0_12_GLOBAL__N_119launch_clamp_scalarERNS_18TensorIteratorBaseEN3c106ScalarES7_NS0_6detail11ClampLimitsEENKUlvE_clEvENKUlvE0_clEvEUlaE_EEvS5_RKT_EUlibE0_EEviT1_
; %bb.0:
	s_clause 0x1
	s_load_b32 s19, s[0:1], 0x8
	s_load_b32 s39, s[0:1], 0x0
	s_bfe_u32 s2, ttmp6, 0x4000c
	s_and_b32 s3, ttmp6, 15
	s_add_co_i32 s2, s2, 1
	s_getreg_b32 s4, hwreg(HW_REG_IB_STS2, 6, 4)
	s_mul_i32 s2, ttmp9, s2
	s_mov_b32 s34, 0
	s_add_co_i32 s3, s3, s2
	s_cmp_eq_u32 s4, 0
	s_mov_b32 s27, -1
	s_cselect_b32 s2, ttmp9, s3
	s_mov_b32 s8, 0
	v_lshl_or_b32 v0, s2, 9, v0
	s_add_nc_u64 s[2:3], s[0:1], 8
	s_wait_xcnt 0x0
	s_mov_b32 s0, exec_lo
	s_delay_alu instid0(VALU_DEP_1) | instskip(SKIP_2) | instid1(SALU_CYCLE_1)
	v_or_b32_e32 v9, 0x180, v0
	s_wait_kmcnt 0x0
	s_add_co_i32 s33, s19, -1
	s_cmp_gt_u32 s33, 1
	s_cselect_b32 s35, -1, 0
	v_cmpx_le_i32_e64 s39, v9
	s_xor_b32 s36, exec_lo, s0
	s_cbranch_execz .LBB183_1124
; %bb.1:
	s_clause 0x4
	s_load_b128 s[8:11], s[2:3], 0x4
	s_load_b64 s[0:1], s[2:3], 0x14
	s_load_b96 s[16:18], s[2:3], 0x158
	s_load_b128 s[12:15], s[2:3], 0xc4
	s_load_b128 s[4:7], s[2:3], 0x148
	s_cmp_lg_u32 s19, 0
	s_mov_b32 s21, 0
	s_cselect_b32 s41, -1, 0
	s_min_u32 s40, s33, 15
	s_cmp_gt_u32 s19, 1
	s_add_nc_u64 s[24:25], s[2:3], 0xc4
	s_mov_b32 s23, s21
	s_mov_b32 s43, s21
	s_cselect_b32 s38, -1, 0
	s_mov_b32 s42, s21
	s_mov_b32 s44, exec_lo
	s_wait_kmcnt 0x0
	s_mov_b32 s20, s9
	s_mov_b32 s22, s0
	s_bfe_u32 s37, s18, 0x80008
	s_bfe_u32 s9, s17, 0x80008
	v_cmpx_gt_i32_e64 s39, v0
	s_cbranch_execz .LBB183_274
; %bb.2:
	s_and_not1_b32 vcc_lo, exec_lo, s35
	s_cbranch_vccnz .LBB183_8
; %bb.3:
	s_and_not1_b32 vcc_lo, exec_lo, s41
	s_cbranch_vccnz .LBB183_9
; %bb.4:
	s_add_co_i32 s0, s40, 1
	s_cmp_eq_u32 s33, 2
	s_cbranch_scc1 .LBB183_10
; %bb.5:
	v_dual_mov_b32 v2, 0 :: v_dual_mov_b32 v4, 0
	v_mov_b32_e32 v1, v0
	s_and_b32 s26, s0, 28
	s_mov_b32 s27, 0
	s_mov_b64 s[28:29], s[2:3]
	s_mov_b64 s[30:31], s[24:25]
.LBB183_6:                              ; =>This Inner Loop Header: Depth=1
	s_clause 0x1
	s_load_b256 s[48:55], s[28:29], 0x4
	s_load_b128 s[64:67], s[28:29], 0x24
	s_load_b256 s[56:63], s[30:31], 0x0
	s_add_co_i32 s27, s27, 4
	s_wait_xcnt 0x0
	s_add_nc_u64 s[28:29], s[28:29], 48
	s_cmp_lg_u32 s26, s27
	s_add_nc_u64 s[30:31], s[30:31], 32
	s_wait_kmcnt 0x0
	v_mul_hi_u32 v3, s49, v1
	s_delay_alu instid0(VALU_DEP_1) | instskip(NEXT) | instid1(VALU_DEP_1)
	v_add_nc_u32_e32 v3, v1, v3
	v_lshrrev_b32_e32 v3, s50, v3
	s_delay_alu instid0(VALU_DEP_1) | instskip(NEXT) | instid1(VALU_DEP_1)
	v_mul_hi_u32 v5, s52, v3
	v_add_nc_u32_e32 v5, v3, v5
	s_delay_alu instid0(VALU_DEP_1) | instskip(NEXT) | instid1(VALU_DEP_1)
	v_lshrrev_b32_e32 v5, s53, v5
	v_mul_hi_u32 v6, s55, v5
	s_delay_alu instid0(VALU_DEP_1) | instskip(SKIP_1) | instid1(VALU_DEP_1)
	v_add_nc_u32_e32 v6, v5, v6
	v_mul_lo_u32 v7, v3, s48
	v_sub_nc_u32_e32 v1, v1, v7
	v_mul_lo_u32 v7, v5, s51
	s_delay_alu instid0(VALU_DEP_4) | instskip(NEXT) | instid1(VALU_DEP_3)
	v_lshrrev_b32_e32 v6, s64, v6
	v_mad_u32 v4, v1, s57, v4
	v_mad_u32 v1, v1, s56, v2
	s_delay_alu instid0(VALU_DEP_4) | instskip(NEXT) | instid1(VALU_DEP_4)
	v_sub_nc_u32_e32 v2, v3, v7
	v_mul_hi_u32 v8, s66, v6
	v_mul_lo_u32 v3, v6, s54
	s_delay_alu instid0(VALU_DEP_3) | instskip(SKIP_1) | instid1(VALU_DEP_3)
	v_mad_u32 v4, v2, s59, v4
	v_mad_u32 v2, v2, s58, v1
	v_dual_add_nc_u32 v7, v6, v8 :: v_dual_sub_nc_u32 v3, v5, v3
	s_delay_alu instid0(VALU_DEP_1) | instskip(NEXT) | instid1(VALU_DEP_2)
	v_lshrrev_b32_e32 v1, s67, v7
	v_mad_u32 v4, v3, s61, v4
	s_delay_alu instid0(VALU_DEP_4) | instskip(NEXT) | instid1(VALU_DEP_3)
	v_mad_u32 v2, v3, s60, v2
	v_mul_lo_u32 v5, v1, s65
	s_delay_alu instid0(VALU_DEP_1) | instskip(NEXT) | instid1(VALU_DEP_1)
	v_sub_nc_u32_e32 v3, v6, v5
	v_mad_u32 v4, v3, s63, v4
	s_delay_alu instid0(VALU_DEP_4)
	v_mad_u32 v2, v3, s62, v2
	s_cbranch_scc1 .LBB183_6
; %bb.7:
	s_delay_alu instid0(VALU_DEP_2)
	v_mov_b32_e32 v3, v4
	s_and_b32 s0, s0, 3
	s_mov_b32 s27, 0
	s_cmp_eq_u32 s0, 0
	s_cbranch_scc0 .LBB183_11
	s_branch .LBB183_14
.LBB183_8:
                                        ; implicit-def: $vgpr4
                                        ; implicit-def: $vgpr2
	s_branch .LBB183_15
.LBB183_9:
	v_dual_mov_b32 v4, 0 :: v_dual_mov_b32 v2, 0
	s_branch .LBB183_14
.LBB183_10:
	v_mov_b64_e32 v[2:3], 0
	v_mov_b32_e32 v1, v0
	s_mov_b32 s26, 0
                                        ; implicit-def: $vgpr4
	s_and_b32 s0, s0, 3
	s_mov_b32 s27, 0
	s_cmp_eq_u32 s0, 0
	s_cbranch_scc1 .LBB183_14
.LBB183_11:
	s_lshl_b32 s28, s26, 3
	s_mov_b32 s29, s27
	s_mul_u64 s[30:31], s[26:27], 12
	s_add_nc_u64 s[28:29], s[2:3], s[28:29]
	s_delay_alu instid0(SALU_CYCLE_1)
	s_add_nc_u64 s[26:27], s[28:29], 0xc4
	s_add_nc_u64 s[28:29], s[2:3], s[30:31]
.LBB183_12:                             ; =>This Inner Loop Header: Depth=1
	s_load_b96 s[48:50], s[28:29], 0x4
	s_load_b64 s[30:31], s[26:27], 0x0
	s_add_co_i32 s0, s0, -1
	s_wait_xcnt 0x0
	s_add_nc_u64 s[28:29], s[28:29], 12
	s_cmp_lg_u32 s0, 0
	s_add_nc_u64 s[26:27], s[26:27], 8
	s_wait_kmcnt 0x0
	v_mul_hi_u32 v4, s49, v1
	s_delay_alu instid0(VALU_DEP_1) | instskip(NEXT) | instid1(VALU_DEP_1)
	v_add_nc_u32_e32 v4, v1, v4
	v_lshrrev_b32_e32 v4, s50, v4
	s_delay_alu instid0(VALU_DEP_1) | instskip(NEXT) | instid1(VALU_DEP_1)
	v_mul_lo_u32 v5, v4, s48
	v_sub_nc_u32_e32 v1, v1, v5
	s_delay_alu instid0(VALU_DEP_1)
	v_mad_u32 v3, v1, s31, v3
	v_mad_u32 v2, v1, s30, v2
	v_mov_b32_e32 v1, v4
	s_cbranch_scc1 .LBB183_12
; %bb.13:
	s_delay_alu instid0(VALU_DEP_3)
	v_mov_b32_e32 v4, v3
.LBB183_14:
	s_cbranch_execnz .LBB183_17
.LBB183_15:
	v_mov_b32_e32 v1, 0
	s_and_not1_b32 vcc_lo, exec_lo, s38
	s_delay_alu instid0(VALU_DEP_1) | instskip(NEXT) | instid1(VALU_DEP_1)
	v_mul_u64_e32 v[2:3], s[20:21], v[0:1]
	v_add_nc_u32_e32 v2, v0, v3
	s_delay_alu instid0(VALU_DEP_1) | instskip(NEXT) | instid1(VALU_DEP_1)
	v_lshrrev_b32_e32 v6, s10, v2
	v_mul_lo_u32 v2, v6, s8
	s_delay_alu instid0(VALU_DEP_1) | instskip(NEXT) | instid1(VALU_DEP_1)
	v_sub_nc_u32_e32 v2, v0, v2
	v_mul_lo_u32 v4, v2, s13
	v_mul_lo_u32 v2, v2, s12
	s_cbranch_vccnz .LBB183_17
; %bb.16:
	v_mov_b32_e32 v7, v1
	s_delay_alu instid0(VALU_DEP_1) | instskip(NEXT) | instid1(VALU_DEP_1)
	v_mul_u64_e32 v[8:9], s[22:23], v[6:7]
	v_add_nc_u32_e32 v1, v6, v9
	s_delay_alu instid0(VALU_DEP_1) | instskip(NEXT) | instid1(VALU_DEP_1)
	v_lshrrev_b32_e32 v1, s1, v1
	v_mul_lo_u32 v1, v1, s11
	s_delay_alu instid0(VALU_DEP_1) | instskip(NEXT) | instid1(VALU_DEP_1)
	v_sub_nc_u32_e32 v1, v6, v1
	v_mad_u32 v2, v1, s14, v2
	v_mad_u32 v4, v1, s15, v4
.LBB183_17:
	v_mov_b32_e32 v5, 0
	s_and_b32 s0, 0xffff, s37
	s_delay_alu instid0(SALU_CYCLE_1) | instskip(NEXT) | instid1(VALU_DEP_1)
	s_cmp_lt_i32 s0, 11
	v_add_nc_u64_e32 v[4:5], s[6:7], v[4:5]
	s_cbranch_scc1 .LBB183_24
; %bb.18:
	s_cmp_gt_i32 s0, 25
	s_cbranch_scc0 .LBB183_29
; %bb.19:
	s_cmp_gt_i32 s0, 28
	s_cbranch_scc0 .LBB183_31
	;; [unrolled: 3-line block ×4, first 2 shown]
; %bb.22:
	s_cmp_eq_u32 s0, 46
	s_mov_b32 s28, 0
	s_cbranch_scc0 .LBB183_53
; %bb.23:
	global_load_b32 v1, v[4:5], off
	s_mov_b32 s27, -1
	s_mov_b32 s26, 0
	s_wait_loadcnt 0x0
	v_lshlrev_b32_e32 v1, 16, v1
	s_delay_alu instid0(VALU_DEP_1)
	v_cvt_i32_f32_e32 v6, v1
	s_branch .LBB183_55
.LBB183_24:
	s_mov_b32 s26, 0
	s_mov_b32 s27, 0
                                        ; implicit-def: $vgpr6
	s_cbranch_execnz .LBB183_224
.LBB183_25:
	s_and_not1_b32 vcc_lo, exec_lo, s27
	s_cbranch_vccnz .LBB183_271
.LBB183_26:
	s_cmp_lt_i32 s16, 1
	s_mov_b32 s0, 0
	s_cbranch_scc1 .LBB183_30
; %bb.27:
	s_cmp_eq_u32 s16, 1
	s_cbranch_scc0 .LBB183_32
; %bb.28:
	s_wait_loadcnt 0x0
	s_delay_alu instid0(VALU_DEP_1)
	v_bfe_i32 v1, v6, 0, 8
	s_bfe_i32 s27, s17, 0x80000
	s_delay_alu instid0(VALU_DEP_1) | instid1(SALU_CYCLE_1)
	v_min_i16 v1, v1, s27
	s_mov_b32 s27, 0
	s_branch .LBB183_33
.LBB183_29:
	s_mov_b32 s26, 0
	s_mov_b32 s27, 0
                                        ; implicit-def: $vgpr6
	s_cbranch_execnz .LBB183_191
	s_branch .LBB183_223
.LBB183_30:
	s_mov_b32 s27, 0
                                        ; implicit-def: $vgpr1
	s_cbranch_execnz .LBB183_34
	s_branch .LBB183_35
.LBB183_31:
	s_mov_b32 s28, -1
	s_mov_b32 s26, 0
	s_mov_b32 s27, 0
                                        ; implicit-def: $vgpr6
	s_branch .LBB183_174
.LBB183_32:
	s_mov_b32 s27, -1
                                        ; implicit-def: $vgpr1
.LBB183_33:
	s_branch .LBB183_35
.LBB183_34:
	s_cmp_lg_u32 s16, 0
	s_mov_b32 s0, -1
	s_cselect_b32 s27, -1, 0
.LBB183_35:
	s_delay_alu instid0(SALU_CYCLE_1)
	s_and_not1_b32 vcc_lo, exec_lo, s27
	s_cbranch_vccnz .LBB183_37
; %bb.36:
	s_wait_loadcnt 0x0
	s_delay_alu instid0(VALU_DEP_1)
	v_bfe_i32 v1, v6, 0, 8
	s_bfe_i32 s0, s17, 0x80000
	s_delay_alu instid0(VALU_DEP_1) | instid1(SALU_CYCLE_1)
	v_max_i16 v1, v1, s0
	s_bfe_i32 s0, s9, 0x80000
	s_delay_alu instid0(VALU_DEP_1) | instid1(SALU_CYCLE_1)
	v_min_i16 v1, v1, s0
	s_cbranch_execz .LBB183_38
	s_branch .LBB183_39
.LBB183_37:
	s_and_not1_b32 vcc_lo, exec_lo, s0
	s_cbranch_vccnz .LBB183_39
.LBB183_38:
	s_wait_loadcnt 0x0
	s_delay_alu instid0(VALU_DEP_1)
	v_bfe_i32 v1, v6, 0, 8
	s_bfe_i32 s0, s17, 0x80000
	s_delay_alu instid0(VALU_DEP_1) | instid1(SALU_CYCLE_1)
	v_max_i16 v1, v1, s0
.LBB183_39:
	v_mov_b32_e32 v3, 0
	s_and_b32 s27, s18, 0xff
	s_delay_alu instid0(SALU_CYCLE_1) | instskip(NEXT) | instid1(VALU_DEP_1)
	s_cmp_lt_i32 s27, 11
	v_add_nc_u64_e32 v[2:3], s[4:5], v[2:3]
	s_cbranch_scc1 .LBB183_46
; %bb.40:
	s_and_b32 s28, 0xffff, s27
	s_delay_alu instid0(SALU_CYCLE_1)
	s_cmp_gt_i32 s28, 25
	s_cbranch_scc0 .LBB183_48
; %bb.41:
	s_cmp_gt_i32 s28, 28
	s_cbranch_scc0 .LBB183_50
; %bb.42:
	;; [unrolled: 3-line block ×4, first 2 shown]
	s_mov_b32 s30, 0
	s_mov_b32 s0, -1
	s_cmp_eq_u32 s28, 46
	s_mov_b32 s29, 0
	s_cbranch_scc0 .LBB183_59
; %bb.45:
	s_wait_xcnt 0x0
	v_bfe_i32 v4, v1, 0, 8
	s_mov_b32 s29, -1
	s_mov_b32 s0, 0
	s_delay_alu instid0(VALU_DEP_1) | instskip(NEXT) | instid1(VALU_DEP_1)
	v_bfe_i32 v4, v4, 0, 16
	v_cvt_f32_i32_e32 v4, v4
	s_delay_alu instid0(VALU_DEP_1) | instskip(NEXT) | instid1(VALU_DEP_1)
	v_bfe_u32 v5, v4, 16, 1
	v_add3_u32 v4, v4, v5, 0x7fff
	s_delay_alu instid0(VALU_DEP_1)
	v_lshrrev_b32_e32 v4, 16, v4
	global_store_b32 v[2:3], v4, off
	s_branch .LBB183_59
.LBB183_46:
	s_mov_b32 s0, 0
	s_mov_b32 s29, 0
	s_cbranch_execnz .LBB183_128
.LBB183_47:
	s_and_not1_b32 vcc_lo, exec_lo, s29
	s_cbranch_vccz .LBB183_166
	s_branch .LBB183_272
.LBB183_48:
	s_mov_b32 s30, -1
	s_mov_b32 s0, 0
	s_mov_b32 s29, 0
	s_branch .LBB183_86
.LBB183_49:
	s_mov_b32 s28, -1
	s_mov_b32 s26, 0
	s_mov_b32 s27, 0
                                        ; implicit-def: $vgpr6
	s_branch .LBB183_169
.LBB183_50:
	s_mov_b32 s30, -1
	s_mov_b32 s0, 0
	s_mov_b32 s29, 0
	s_branch .LBB183_69
.LBB183_51:
	s_mov_b32 s28, -1
	s_mov_b32 s26, 0
	s_branch .LBB183_54
.LBB183_52:
	s_mov_b32 s30, -1
	s_mov_b32 s0, 0
	s_mov_b32 s29, 0
	s_branch .LBB183_65
.LBB183_53:
	s_mov_b32 s26, -1
.LBB183_54:
	s_mov_b32 s27, 0
                                        ; implicit-def: $vgpr6
.LBB183_55:
	s_and_b32 vcc_lo, exec_lo, s28
	s_cbranch_vccz .LBB183_168
; %bb.56:
	s_cmp_eq_u32 s0, 44
	s_cbranch_scc0 .LBB183_167
; %bb.57:
	global_load_u8 v1, v[4:5], off
	s_mov_b32 s26, 0
	s_mov_b32 s27, -1
	s_wait_loadcnt 0x0
	v_lshlrev_b32_e32 v3, 23, v1
	v_cmp_ne_u32_e32 vcc_lo, 0, v1
	s_delay_alu instid0(VALU_DEP_2) | instskip(NEXT) | instid1(VALU_DEP_1)
	v_cvt_i32_f32_e32 v3, v3
	v_cndmask_b32_e32 v6, 0, v3, vcc_lo
	s_branch .LBB183_168
.LBB183_58:
	s_mov_b32 s30, -1
	s_mov_b32 s0, 0
	s_mov_b32 s29, 0
.LBB183_59:
	s_and_b32 vcc_lo, exec_lo, s30
	s_cbranch_vccz .LBB183_64
; %bb.60:
	s_cmp_eq_u32 s28, 44
	s_mov_b32 s0, -1
	s_cbranch_scc0 .LBB183_64
; %bb.61:
	s_wait_xcnt 0x0
	v_bfe_i32 v4, v1, 0, 8
	v_mov_b32_e32 v5, 0xff
	s_mov_b32 s29, exec_lo
	s_delay_alu instid0(VALU_DEP_2) | instskip(NEXT) | instid1(VALU_DEP_1)
	v_bfe_i32 v4, v4, 0, 16
	v_cvt_f32_i32_e32 v4, v4
	s_wait_loadcnt 0x0
	s_delay_alu instid0(VALU_DEP_1) | instskip(NEXT) | instid1(VALU_DEP_1)
	v_bfe_u32 v6, v4, 23, 8
	v_cmpx_ne_u32_e32 0xff, v6
	s_cbranch_execz .LBB183_63
; %bb.62:
	v_and_b32_e32 v5, 0x400000, v4
	v_and_or_b32 v6, 0x3fffff, v4, v6
	v_lshrrev_b32_e32 v4, 23, v4
	s_delay_alu instid0(VALU_DEP_3) | instskip(NEXT) | instid1(VALU_DEP_3)
	v_cmp_ne_u32_e32 vcc_lo, 0, v5
	v_cmp_ne_u32_e64 s0, 0, v6
	s_and_b32 s0, vcc_lo, s0
	s_delay_alu instid0(SALU_CYCLE_1) | instskip(NEXT) | instid1(VALU_DEP_1)
	v_cndmask_b32_e64 v5, 0, 1, s0
	v_add_nc_u32_e32 v5, v4, v5
.LBB183_63:
	s_or_b32 exec_lo, exec_lo, s29
	s_mov_b32 s29, -1
	s_mov_b32 s0, 0
	global_store_b8 v[2:3], v5, off
.LBB183_64:
	s_mov_b32 s30, 0
.LBB183_65:
	s_delay_alu instid0(SALU_CYCLE_1)
	s_and_b32 vcc_lo, exec_lo, s30
	s_cbranch_vccz .LBB183_68
; %bb.66:
	s_cmp_eq_u32 s28, 29
	s_mov_b32 s0, -1
	s_cbranch_scc0 .LBB183_68
; %bb.67:
	s_wait_xcnt 0x0
	v_bfe_i32 v4, v1, 0, 8
	s_mov_b32 s29, -1
	s_mov_b32 s0, 0
	s_mov_b32 s30, 0
	s_delay_alu instid0(VALU_DEP_1)
	v_ashrrev_i32_e32 v5, 31, v4
	global_store_b64 v[2:3], v[4:5], off
	s_branch .LBB183_69
.LBB183_68:
	s_mov_b32 s30, 0
.LBB183_69:
	s_delay_alu instid0(SALU_CYCLE_1)
	s_and_b32 vcc_lo, exec_lo, s30
	s_cbranch_vccz .LBB183_85
; %bb.70:
	s_cmp_lt_i32 s28, 27
	s_mov_b32 s29, -1
	s_cbranch_scc1 .LBB183_76
; %bb.71:
	s_cmp_gt_i32 s28, 27
	s_cbranch_scc0 .LBB183_73
; %bb.72:
	s_wait_xcnt 0x0
	v_bfe_i32 v4, v1, 0, 8
	s_mov_b32 s29, 0
	global_store_b32 v[2:3], v4, off
.LBB183_73:
	s_and_not1_b32 vcc_lo, exec_lo, s29
	s_cbranch_vccnz .LBB183_75
; %bb.74:
	s_wait_xcnt 0x0
	v_bfe_i32 v4, v1, 0, 8
	global_store_b16 v[2:3], v4, off
.LBB183_75:
	s_mov_b32 s29, 0
.LBB183_76:
	s_delay_alu instid0(SALU_CYCLE_1)
	s_and_not1_b32 vcc_lo, exec_lo, s29
	s_cbranch_vccnz .LBB183_84
; %bb.77:
	s_wait_xcnt 0x0
	v_bfe_i32 v4, v1, 0, 8
	s_wait_loadcnt 0x0
	v_mov_b32_e32 v6, 0x80
	s_mov_b32 s29, exec_lo
	s_delay_alu instid0(VALU_DEP_2) | instskip(NEXT) | instid1(VALU_DEP_1)
	v_bfe_i32 v4, v4, 0, 16
	v_cvt_f32_i32_e32 v4, v4
	s_delay_alu instid0(VALU_DEP_1) | instskip(NEXT) | instid1(VALU_DEP_1)
	v_and_b32_e32 v5, 0x7fffffff, v4
	v_cmpx_gt_u32_e32 0x43800000, v5
	s_cbranch_execz .LBB183_83
; %bb.78:
	v_cmp_lt_u32_e32 vcc_lo, 0x3bffffff, v5
	s_mov_b32 s30, 0
                                        ; implicit-def: $vgpr5
	s_and_saveexec_b32 s31, vcc_lo
	s_delay_alu instid0(SALU_CYCLE_1)
	s_xor_b32 s31, exec_lo, s31
	s_cbranch_execz .LBB183_328
; %bb.79:
	v_bfe_u32 v5, v4, 20, 1
	s_mov_b32 s30, exec_lo
	s_delay_alu instid0(VALU_DEP_1) | instskip(NEXT) | instid1(VALU_DEP_1)
	v_add3_u32 v5, v4, v5, 0x487ffff
	v_lshrrev_b32_e32 v5, 20, v5
	s_and_not1_saveexec_b32 s31, s31
	s_cbranch_execnz .LBB183_329
.LBB183_80:
	s_or_b32 exec_lo, exec_lo, s31
	v_mov_b32_e32 v6, 0
	s_and_saveexec_b32 s31, s30
.LBB183_81:
	v_lshrrev_b32_e32 v4, 24, v4
	s_delay_alu instid0(VALU_DEP_1)
	v_and_or_b32 v6, 0x80, v4, v5
.LBB183_82:
	s_or_b32 exec_lo, exec_lo, s31
.LBB183_83:
	s_delay_alu instid0(SALU_CYCLE_1)
	s_or_b32 exec_lo, exec_lo, s29
	global_store_b8 v[2:3], v6, off
.LBB183_84:
	s_mov_b32 s29, -1
.LBB183_85:
	s_mov_b32 s30, 0
.LBB183_86:
	s_delay_alu instid0(SALU_CYCLE_1)
	s_and_b32 vcc_lo, exec_lo, s30
	s_cbranch_vccz .LBB183_127
; %bb.87:
	s_cmp_gt_i32 s28, 22
	s_mov_b32 s30, -1
	s_cbranch_scc0 .LBB183_119
; %bb.88:
	s_cmp_lt_i32 s28, 24
	s_mov_b32 s29, -1
	s_cbranch_scc1 .LBB183_108
; %bb.89:
	s_cmp_gt_i32 s28, 24
	s_cbranch_scc0 .LBB183_97
; %bb.90:
	s_wait_xcnt 0x0
	v_bfe_i32 v4, v1, 0, 8
	s_wait_loadcnt 0x0
	v_mov_b32_e32 v6, 0x80
	s_mov_b32 s29, exec_lo
	s_delay_alu instid0(VALU_DEP_2) | instskip(NEXT) | instid1(VALU_DEP_1)
	v_bfe_i32 v4, v4, 0, 16
	v_cvt_f32_i32_e32 v4, v4
	s_delay_alu instid0(VALU_DEP_1) | instskip(NEXT) | instid1(VALU_DEP_1)
	v_and_b32_e32 v5, 0x7fffffff, v4
	v_cmpx_gt_u32_e32 0x47800000, v5
	s_cbranch_execz .LBB183_96
; %bb.91:
	v_cmp_lt_u32_e32 vcc_lo, 0x37ffffff, v5
	s_mov_b32 s30, 0
                                        ; implicit-def: $vgpr5
	s_and_saveexec_b32 s31, vcc_lo
	s_delay_alu instid0(SALU_CYCLE_1)
	s_xor_b32 s31, exec_lo, s31
	s_cbranch_execz .LBB183_332
; %bb.92:
	v_bfe_u32 v5, v4, 21, 1
	s_mov_b32 s30, exec_lo
	s_delay_alu instid0(VALU_DEP_1) | instskip(NEXT) | instid1(VALU_DEP_1)
	v_add3_u32 v5, v4, v5, 0x88fffff
	v_lshrrev_b32_e32 v5, 21, v5
	s_and_not1_saveexec_b32 s31, s31
	s_cbranch_execnz .LBB183_333
.LBB183_93:
	s_or_b32 exec_lo, exec_lo, s31
	v_mov_b32_e32 v6, 0
	s_and_saveexec_b32 s31, s30
.LBB183_94:
	v_lshrrev_b32_e32 v4, 24, v4
	s_delay_alu instid0(VALU_DEP_1)
	v_and_or_b32 v6, 0x80, v4, v5
.LBB183_95:
	s_or_b32 exec_lo, exec_lo, s31
.LBB183_96:
	s_delay_alu instid0(SALU_CYCLE_1)
	s_or_b32 exec_lo, exec_lo, s29
	s_mov_b32 s29, 0
	global_store_b8 v[2:3], v6, off
.LBB183_97:
	s_and_b32 vcc_lo, exec_lo, s29
	s_cbranch_vccz .LBB183_107
; %bb.98:
	s_wait_xcnt 0x0
	v_bfe_i32 v4, v1, 0, 8
	s_mov_b32 s29, exec_lo
                                        ; implicit-def: $vgpr5
	s_delay_alu instid0(VALU_DEP_1) | instskip(NEXT) | instid1(VALU_DEP_1)
	v_bfe_i32 v4, v4, 0, 16
	v_cvt_f32_i32_e32 v4, v4
	s_wait_loadcnt 0x0
	s_delay_alu instid0(VALU_DEP_1) | instskip(NEXT) | instid1(VALU_DEP_1)
	v_and_b32_e32 v6, 0x7fffffff, v4
	v_cmpx_gt_u32_e32 0x43f00000, v6
	s_xor_b32 s29, exec_lo, s29
	s_cbranch_execz .LBB183_104
; %bb.99:
	s_mov_b32 s30, exec_lo
                                        ; implicit-def: $vgpr5
	v_cmpx_lt_u32_e32 0x3c7fffff, v6
	s_xor_b32 s30, exec_lo, s30
; %bb.100:
	v_bfe_u32 v5, v4, 20, 1
	s_delay_alu instid0(VALU_DEP_1) | instskip(NEXT) | instid1(VALU_DEP_1)
	v_add3_u32 v5, v4, v5, 0x407ffff
	v_and_b32_e32 v6, 0xff00000, v5
	v_lshrrev_b32_e32 v5, 20, v5
	s_delay_alu instid0(VALU_DEP_2) | instskip(NEXT) | instid1(VALU_DEP_2)
	v_cmp_ne_u32_e32 vcc_lo, 0x7f00000, v6
	v_cndmask_b32_e32 v5, 0x7e, v5, vcc_lo
; %bb.101:
	s_and_not1_saveexec_b32 s30, s30
; %bb.102:
	v_add_f32_e64 v5, 0x46800000, |v4|
; %bb.103:
	s_or_b32 exec_lo, exec_lo, s30
                                        ; implicit-def: $vgpr6
.LBB183_104:
	s_and_not1_saveexec_b32 s29, s29
; %bb.105:
	v_mov_b32_e32 v5, 0x7f
	v_cmp_lt_u32_e32 vcc_lo, 0x7f800000, v6
	s_delay_alu instid0(VALU_DEP_2)
	v_cndmask_b32_e32 v5, 0x7e, v5, vcc_lo
; %bb.106:
	s_or_b32 exec_lo, exec_lo, s29
	v_lshrrev_b32_e32 v4, 24, v4
	s_delay_alu instid0(VALU_DEP_1)
	v_and_or_b32 v4, 0x80, v4, v5
	global_store_b8 v[2:3], v4, off
.LBB183_107:
	s_mov_b32 s29, 0
.LBB183_108:
	s_delay_alu instid0(SALU_CYCLE_1)
	s_and_not1_b32 vcc_lo, exec_lo, s29
	s_cbranch_vccnz .LBB183_118
; %bb.109:
	s_wait_xcnt 0x0
	v_bfe_i32 v4, v1, 0, 8
	s_mov_b32 s29, exec_lo
                                        ; implicit-def: $vgpr5
	s_delay_alu instid0(VALU_DEP_1) | instskip(NEXT) | instid1(VALU_DEP_1)
	v_bfe_i32 v4, v4, 0, 16
	v_cvt_f32_i32_e32 v4, v4
	s_wait_loadcnt 0x0
	s_delay_alu instid0(VALU_DEP_1) | instskip(NEXT) | instid1(VALU_DEP_1)
	v_and_b32_e32 v6, 0x7fffffff, v4
	v_cmpx_gt_u32_e32 0x47800000, v6
	s_xor_b32 s29, exec_lo, s29
	s_cbranch_execz .LBB183_115
; %bb.110:
	s_mov_b32 s30, exec_lo
                                        ; implicit-def: $vgpr5
	v_cmpx_lt_u32_e32 0x387fffff, v6
	s_xor_b32 s30, exec_lo, s30
; %bb.111:
	v_bfe_u32 v5, v4, 21, 1
	s_delay_alu instid0(VALU_DEP_1) | instskip(NEXT) | instid1(VALU_DEP_1)
	v_add3_u32 v5, v4, v5, 0x80fffff
	v_lshrrev_b32_e32 v5, 21, v5
; %bb.112:
	s_and_not1_saveexec_b32 s30, s30
; %bb.113:
	v_add_f32_e64 v5, 0x43000000, |v4|
; %bb.114:
	s_or_b32 exec_lo, exec_lo, s30
                                        ; implicit-def: $vgpr6
.LBB183_115:
	s_and_not1_saveexec_b32 s29, s29
; %bb.116:
	v_mov_b32_e32 v5, 0x7f
	v_cmp_lt_u32_e32 vcc_lo, 0x7f800000, v6
	s_delay_alu instid0(VALU_DEP_2)
	v_cndmask_b32_e32 v5, 0x7c, v5, vcc_lo
; %bb.117:
	s_or_b32 exec_lo, exec_lo, s29
	v_lshrrev_b32_e32 v4, 24, v4
	s_delay_alu instid0(VALU_DEP_1)
	v_and_or_b32 v4, 0x80, v4, v5
	global_store_b8 v[2:3], v4, off
.LBB183_118:
	s_mov_b32 s30, 0
	s_mov_b32 s29, -1
.LBB183_119:
	s_and_not1_b32 vcc_lo, exec_lo, s30
	s_cbranch_vccnz .LBB183_127
; %bb.120:
	s_cmp_gt_i32 s28, 14
	s_mov_b32 s30, -1
	s_cbranch_scc0 .LBB183_124
; %bb.121:
	s_cmp_eq_u32 s28, 15
	s_mov_b32 s0, -1
	s_cbranch_scc0 .LBB183_123
; %bb.122:
	s_wait_xcnt 0x0
	v_bfe_i32 v4, v1, 0, 8
	s_mov_b32 s29, -1
	s_mov_b32 s0, 0
	s_delay_alu instid0(VALU_DEP_1) | instskip(NEXT) | instid1(VALU_DEP_1)
	v_bfe_i32 v4, v4, 0, 16
	v_cvt_f32_i32_e32 v4, v4
	s_delay_alu instid0(VALU_DEP_1) | instskip(NEXT) | instid1(VALU_DEP_1)
	v_bfe_u32 v5, v4, 16, 1
	v_add3_u32 v4, v4, v5, 0x7fff
	global_store_d16_hi_b16 v[2:3], v4, off
.LBB183_123:
	s_mov_b32 s30, 0
.LBB183_124:
	s_delay_alu instid0(SALU_CYCLE_1)
	s_and_b32 vcc_lo, exec_lo, s30
	s_cbranch_vccz .LBB183_127
; %bb.125:
	s_cmp_eq_u32 s28, 11
	s_mov_b32 s0, -1
	s_cbranch_scc0 .LBB183_127
; %bb.126:
	s_wait_xcnt 0x0
	v_and_b32_e32 v4, 0xff, v1
	s_mov_b32 s0, 0
	s_mov_b32 s29, -1
	s_delay_alu instid0(VALU_DEP_1)
	v_cmp_ne_u16_e32 vcc_lo, 0, v4
	v_cndmask_b32_e64 v4, 0, 1, vcc_lo
	global_store_b8 v[2:3], v4, off
.LBB183_127:
	s_branch .LBB183_47
.LBB183_128:
	s_and_b32 s27, 0xffff, s27
	s_mov_b32 s28, -1
	s_cmp_lt_i32 s27, 5
	s_cbranch_scc1 .LBB183_149
; %bb.129:
	s_cmp_lt_i32 s27, 8
	s_cbranch_scc1 .LBB183_139
; %bb.130:
	;; [unrolled: 3-line block ×3, first 2 shown]
	s_cmp_gt_i32 s27, 9
	s_cbranch_scc0 .LBB183_133
; %bb.132:
	s_wait_xcnt 0x0
	v_bfe_i32 v4, v1, 0, 8
	s_wait_loadcnt 0x0
	v_mov_b32_e32 v6, 0
	s_mov_b32 s28, 0
	s_delay_alu instid0(VALU_DEP_2) | instskip(NEXT) | instid1(VALU_DEP_2)
	v_bfe_i32 v4, v4, 0, 16
	v_mov_b32_e32 v7, v6
	s_delay_alu instid0(VALU_DEP_2)
	v_cvt_f64_i32_e32 v[4:5], v4
	global_store_b128 v[2:3], v[4:7], off
.LBB183_133:
	s_and_not1_b32 vcc_lo, exec_lo, s28
	s_cbranch_vccnz .LBB183_135
; %bb.134:
	s_wait_xcnt 0x0
	v_bfe_i32 v4, v1, 0, 8
	v_mov_b32_e32 v5, 0
	s_delay_alu instid0(VALU_DEP_2) | instskip(NEXT) | instid1(VALU_DEP_1)
	v_bfe_i32 v4, v4, 0, 16
	v_cvt_f32_i32_e32 v4, v4
	global_store_b64 v[2:3], v[4:5], off
.LBB183_135:
	s_mov_b32 s28, 0
.LBB183_136:
	s_delay_alu instid0(SALU_CYCLE_1)
	s_and_not1_b32 vcc_lo, exec_lo, s28
	s_cbranch_vccnz .LBB183_138
; %bb.137:
	s_wait_xcnt 0x0
	v_bfe_i32 v4, v1, 0, 8
	s_delay_alu instid0(VALU_DEP_1) | instskip(NEXT) | instid1(VALU_DEP_1)
	v_cvt_f16_i16_e32 v4, v4
	v_and_b32_e32 v4, 0xffff, v4
	global_store_b32 v[2:3], v4, off
.LBB183_138:
	s_mov_b32 s28, 0
.LBB183_139:
	s_delay_alu instid0(SALU_CYCLE_1)
	s_and_not1_b32 vcc_lo, exec_lo, s28
	s_cbranch_vccnz .LBB183_148
; %bb.140:
	s_cmp_lt_i32 s27, 6
	s_mov_b32 s28, -1
	s_cbranch_scc1 .LBB183_146
; %bb.141:
	s_cmp_gt_i32 s27, 6
	s_cbranch_scc0 .LBB183_143
; %bb.142:
	s_wait_xcnt 0x0
	v_bfe_i32 v4, v1, 0, 8
	s_mov_b32 s28, 0
	s_delay_alu instid0(VALU_DEP_1) | instskip(NEXT) | instid1(VALU_DEP_1)
	v_bfe_i32 v4, v4, 0, 16
	v_cvt_f64_i32_e32 v[4:5], v4
	global_store_b64 v[2:3], v[4:5], off
.LBB183_143:
	s_and_not1_b32 vcc_lo, exec_lo, s28
	s_cbranch_vccnz .LBB183_145
; %bb.144:
	s_wait_xcnt 0x0
	v_bfe_i32 v4, v1, 0, 8
	s_delay_alu instid0(VALU_DEP_1) | instskip(NEXT) | instid1(VALU_DEP_1)
	v_bfe_i32 v4, v4, 0, 16
	v_cvt_f32_i32_e32 v4, v4
	global_store_b32 v[2:3], v4, off
.LBB183_145:
	s_mov_b32 s28, 0
.LBB183_146:
	s_delay_alu instid0(SALU_CYCLE_1)
	s_and_not1_b32 vcc_lo, exec_lo, s28
	s_cbranch_vccnz .LBB183_148
; %bb.147:
	s_wait_xcnt 0x0
	v_bfe_i32 v4, v1, 0, 8
	s_delay_alu instid0(VALU_DEP_1)
	v_cvt_f16_i16_e32 v4, v4
	global_store_b16 v[2:3], v4, off
.LBB183_148:
	s_mov_b32 s28, 0
.LBB183_149:
	s_delay_alu instid0(SALU_CYCLE_1)
	s_and_not1_b32 vcc_lo, exec_lo, s28
	s_cbranch_vccnz .LBB183_165
; %bb.150:
	s_cmp_lt_i32 s27, 2
	s_mov_b32 s28, -1
	s_cbranch_scc1 .LBB183_160
; %bb.151:
	s_cmp_lt_i32 s27, 3
	s_cbranch_scc1 .LBB183_157
; %bb.152:
	s_cmp_gt_i32 s27, 3
	s_cbranch_scc0 .LBB183_154
; %bb.153:
	s_wait_xcnt 0x0
	v_bfe_i32 v4, v1, 0, 8
	s_mov_b32 s28, 0
	s_delay_alu instid0(VALU_DEP_1)
	v_ashrrev_i32_e32 v5, 31, v4
	global_store_b64 v[2:3], v[4:5], off
.LBB183_154:
	s_and_not1_b32 vcc_lo, exec_lo, s28
	s_cbranch_vccnz .LBB183_156
; %bb.155:
	s_wait_xcnt 0x0
	v_bfe_i32 v4, v1, 0, 8
	global_store_b32 v[2:3], v4, off
.LBB183_156:
	s_mov_b32 s28, 0
.LBB183_157:
	s_delay_alu instid0(SALU_CYCLE_1)
	s_and_not1_b32 vcc_lo, exec_lo, s28
	s_cbranch_vccnz .LBB183_159
; %bb.158:
	s_wait_xcnt 0x0
	v_bfe_i32 v4, v1, 0, 8
	global_store_b16 v[2:3], v4, off
.LBB183_159:
	s_mov_b32 s28, 0
.LBB183_160:
	s_delay_alu instid0(SALU_CYCLE_1)
	s_and_not1_b32 vcc_lo, exec_lo, s28
	s_cbranch_vccnz .LBB183_165
; %bb.161:
	s_cmp_gt_i32 s27, 0
	s_mov_b32 s27, -1
	s_cbranch_scc0 .LBB183_163
; %bb.162:
	s_mov_b32 s27, 0
	global_store_b8 v[2:3], v1, off
.LBB183_163:
	s_and_not1_b32 vcc_lo, exec_lo, s27
	s_cbranch_vccnz .LBB183_165
; %bb.164:
	global_store_b8 v[2:3], v1, off
.LBB183_165:
.LBB183_166:
	v_add_nc_u32_e32 v0, 0x80, v0
	s_mov_b32 s27, -1
	s_branch .LBB183_273
.LBB183_167:
	s_mov_b32 s26, -1
                                        ; implicit-def: $vgpr6
.LBB183_168:
	s_mov_b32 s28, 0
.LBB183_169:
	s_delay_alu instid0(SALU_CYCLE_1)
	s_and_b32 vcc_lo, exec_lo, s28
	s_cbranch_vccz .LBB183_173
; %bb.170:
	s_cmp_eq_u32 s0, 29
	s_cbranch_scc0 .LBB183_172
; %bb.171:
	global_load_b64 v[6:7], v[4:5], off
	s_mov_b32 s27, -1
	s_mov_b32 s26, 0
	s_branch .LBB183_173
.LBB183_172:
	s_mov_b32 s26, -1
                                        ; implicit-def: $vgpr6
.LBB183_173:
	s_mov_b32 s28, 0
.LBB183_174:
	s_delay_alu instid0(SALU_CYCLE_1)
	s_and_b32 vcc_lo, exec_lo, s28
	s_cbranch_vccz .LBB183_190
; %bb.175:
	s_cmp_lt_i32 s0, 27
	s_cbranch_scc1 .LBB183_178
; %bb.176:
	s_cmp_gt_i32 s0, 27
	s_cbranch_scc0 .LBB183_179
; %bb.177:
	s_wait_loadcnt 0x0
	global_load_b32 v6, v[4:5], off
	s_mov_b32 s27, 0
	s_branch .LBB183_180
.LBB183_178:
	s_mov_b32 s27, -1
                                        ; implicit-def: $vgpr6
	s_branch .LBB183_183
.LBB183_179:
	s_mov_b32 s27, -1
                                        ; implicit-def: $vgpr6
.LBB183_180:
	s_delay_alu instid0(SALU_CYCLE_1)
	s_and_not1_b32 vcc_lo, exec_lo, s27
	s_cbranch_vccnz .LBB183_182
; %bb.181:
	s_wait_loadcnt 0x0
	global_load_u16 v6, v[4:5], off
.LBB183_182:
	s_mov_b32 s27, 0
.LBB183_183:
	s_delay_alu instid0(SALU_CYCLE_1)
	s_and_not1_b32 vcc_lo, exec_lo, s27
	s_cbranch_vccnz .LBB183_189
; %bb.184:
	global_load_u8 v1, v[4:5], off
	s_mov_b32 s28, 0
	s_mov_b32 s27, exec_lo
	s_wait_loadcnt 0x0
	v_cmpx_lt_i16_e32 0x7f, v1
	s_xor_b32 s27, exec_lo, s27
	s_cbranch_execz .LBB183_200
; %bb.185:
	v_cmp_ne_u16_e32 vcc_lo, 0x80, v1
	s_and_b32 s28, vcc_lo, exec_lo
	s_and_not1_saveexec_b32 s27, s27
	s_cbranch_execnz .LBB183_201
.LBB183_186:
	s_or_b32 exec_lo, exec_lo, s27
	v_mov_b32_e32 v6, 0
	s_and_saveexec_b32 s27, s28
	s_cbranch_execz .LBB183_188
.LBB183_187:
	v_and_b32_e32 v3, 0xffff, v1
	s_delay_alu instid0(VALU_DEP_1) | instskip(SKIP_1) | instid1(VALU_DEP_2)
	v_dual_lshlrev_b32 v1, 24, v1 :: v_dual_bitop2_b32 v6, 7, v3 bitop3:0x40
	v_bfe_u32 v9, v3, 3, 4
	v_and_b32_e32 v1, 0x80000000, v1
	s_delay_alu instid0(VALU_DEP_3) | instskip(NEXT) | instid1(VALU_DEP_3)
	v_clz_i32_u32_e32 v7, v6
	v_cmp_eq_u32_e32 vcc_lo, 0, v9
	s_delay_alu instid0(VALU_DEP_2) | instskip(NEXT) | instid1(VALU_DEP_1)
	v_min_u32_e32 v7, 32, v7
	v_subrev_nc_u32_e32 v8, 28, v7
	v_sub_nc_u32_e32 v7, 29, v7
	s_delay_alu instid0(VALU_DEP_2) | instskip(NEXT) | instid1(VALU_DEP_2)
	v_lshlrev_b32_e32 v3, v8, v3
	v_cndmask_b32_e32 v7, v9, v7, vcc_lo
	s_delay_alu instid0(VALU_DEP_2) | instskip(NEXT) | instid1(VALU_DEP_1)
	v_and_b32_e32 v3, 7, v3
	v_cndmask_b32_e32 v3, v6, v3, vcc_lo
	s_delay_alu instid0(VALU_DEP_3) | instskip(NEXT) | instid1(VALU_DEP_2)
	v_lshl_add_u32 v6, v7, 23, 0x3b800000
	v_lshlrev_b32_e32 v3, 20, v3
	s_delay_alu instid0(VALU_DEP_1) | instskip(NEXT) | instid1(VALU_DEP_1)
	v_or3_b32 v1, v1, v6, v3
	v_cvt_i32_f32_e32 v6, v1
.LBB183_188:
	s_or_b32 exec_lo, exec_lo, s27
.LBB183_189:
	s_mov_b32 s27, -1
.LBB183_190:
	s_branch .LBB183_223
.LBB183_191:
	s_cmp_gt_i32 s0, 22
	s_cbranch_scc0 .LBB183_199
; %bb.192:
	s_cmp_lt_i32 s0, 24
	s_cbranch_scc1 .LBB183_202
; %bb.193:
	s_cmp_gt_i32 s0, 24
	s_cbranch_scc0 .LBB183_203
; %bb.194:
	global_load_u8 v1, v[4:5], off
	s_mov_b32 s28, 0
	s_mov_b32 s27, exec_lo
	s_wait_loadcnt 0x0
	v_cmpx_lt_i16_e32 0x7f, v1
	s_xor_b32 s27, exec_lo, s27
	s_cbranch_execz .LBB183_215
; %bb.195:
	v_cmp_ne_u16_e32 vcc_lo, 0x80, v1
	s_and_b32 s28, vcc_lo, exec_lo
	s_and_not1_saveexec_b32 s27, s27
	s_cbranch_execnz .LBB183_216
.LBB183_196:
	s_or_b32 exec_lo, exec_lo, s27
	v_mov_b32_e32 v6, 0
	s_and_saveexec_b32 s27, s28
	s_cbranch_execz .LBB183_198
.LBB183_197:
	v_and_b32_e32 v3, 0xffff, v1
	s_delay_alu instid0(VALU_DEP_1) | instskip(SKIP_1) | instid1(VALU_DEP_2)
	v_dual_lshlrev_b32 v1, 24, v1 :: v_dual_bitop2_b32 v6, 3, v3 bitop3:0x40
	v_bfe_u32 v9, v3, 2, 5
	v_and_b32_e32 v1, 0x80000000, v1
	s_delay_alu instid0(VALU_DEP_3) | instskip(NEXT) | instid1(VALU_DEP_3)
	v_clz_i32_u32_e32 v7, v6
	v_cmp_eq_u32_e32 vcc_lo, 0, v9
	s_delay_alu instid0(VALU_DEP_2) | instskip(NEXT) | instid1(VALU_DEP_1)
	v_min_u32_e32 v7, 32, v7
	v_subrev_nc_u32_e32 v8, 29, v7
	v_sub_nc_u32_e32 v7, 30, v7
	s_delay_alu instid0(VALU_DEP_2) | instskip(NEXT) | instid1(VALU_DEP_2)
	v_lshlrev_b32_e32 v3, v8, v3
	v_cndmask_b32_e32 v7, v9, v7, vcc_lo
	s_delay_alu instid0(VALU_DEP_2) | instskip(NEXT) | instid1(VALU_DEP_1)
	v_and_b32_e32 v3, 3, v3
	v_cndmask_b32_e32 v3, v6, v3, vcc_lo
	s_delay_alu instid0(VALU_DEP_3) | instskip(NEXT) | instid1(VALU_DEP_2)
	v_lshl_add_u32 v6, v7, 23, 0x37800000
	v_lshlrev_b32_e32 v3, 21, v3
	s_delay_alu instid0(VALU_DEP_1) | instskip(NEXT) | instid1(VALU_DEP_1)
	v_or3_b32 v1, v1, v6, v3
	v_cvt_i32_f32_e32 v6, v1
.LBB183_198:
	s_or_b32 exec_lo, exec_lo, s27
	s_mov_b32 s27, 0
	s_branch .LBB183_204
.LBB183_199:
	s_mov_b32 s28, -1
                                        ; implicit-def: $vgpr6
	s_branch .LBB183_210
.LBB183_200:
	s_and_not1_saveexec_b32 s27, s27
	s_cbranch_execz .LBB183_186
.LBB183_201:
	v_cmp_ne_u16_e32 vcc_lo, 0, v1
	s_and_not1_b32 s28, s28, exec_lo
	s_and_b32 s29, vcc_lo, exec_lo
	s_delay_alu instid0(SALU_CYCLE_1)
	s_or_b32 s28, s28, s29
	s_or_b32 exec_lo, exec_lo, s27
	v_mov_b32_e32 v6, 0
	s_and_saveexec_b32 s27, s28
	s_cbranch_execnz .LBB183_187
	s_branch .LBB183_188
.LBB183_202:
	s_mov_b32 s27, -1
                                        ; implicit-def: $vgpr6
	s_branch .LBB183_207
.LBB183_203:
	s_mov_b32 s27, -1
                                        ; implicit-def: $vgpr6
.LBB183_204:
	s_delay_alu instid0(SALU_CYCLE_1)
	s_and_b32 vcc_lo, exec_lo, s27
	s_cbranch_vccz .LBB183_206
; %bb.205:
	global_load_u8 v1, v[4:5], off
	s_wait_loadcnt 0x0
	v_lshlrev_b32_e32 v1, 24, v1
	s_delay_alu instid0(VALU_DEP_1) | instskip(NEXT) | instid1(VALU_DEP_1)
	v_and_b32_e32 v3, 0x7f000000, v1
	v_clz_i32_u32_e32 v6, v3
	v_cmp_ne_u32_e32 vcc_lo, 0, v3
	v_add_nc_u32_e32 v8, 0x1000000, v3
	s_delay_alu instid0(VALU_DEP_3) | instskip(NEXT) | instid1(VALU_DEP_1)
	v_min_u32_e32 v6, 32, v6
	v_sub_nc_u32_e64 v6, v6, 4 clamp
	s_delay_alu instid0(VALU_DEP_1) | instskip(NEXT) | instid1(VALU_DEP_1)
	v_dual_lshlrev_b32 v7, v6, v3 :: v_dual_lshlrev_b32 v6, 23, v6
	v_lshrrev_b32_e32 v7, 4, v7
	s_delay_alu instid0(VALU_DEP_1) | instskip(NEXT) | instid1(VALU_DEP_1)
	v_dual_sub_nc_u32 v6, v7, v6 :: v_dual_ashrrev_i32 v7, 8, v8
	v_add_nc_u32_e32 v6, 0x3c000000, v6
	s_delay_alu instid0(VALU_DEP_1) | instskip(NEXT) | instid1(VALU_DEP_1)
	v_and_or_b32 v6, 0x7f800000, v7, v6
	v_cndmask_b32_e32 v3, 0, v6, vcc_lo
	s_delay_alu instid0(VALU_DEP_1) | instskip(NEXT) | instid1(VALU_DEP_1)
	v_and_or_b32 v1, 0x80000000, v1, v3
	v_cvt_i32_f32_e32 v6, v1
.LBB183_206:
	s_mov_b32 s27, 0
.LBB183_207:
	s_delay_alu instid0(SALU_CYCLE_1)
	s_and_not1_b32 vcc_lo, exec_lo, s27
	s_cbranch_vccnz .LBB183_209
; %bb.208:
	global_load_u8 v1, v[4:5], off
	s_wait_loadcnt 0x0
	v_lshlrev_b32_e32 v3, 25, v1
	v_lshlrev_b16 v1, 8, v1
	s_delay_alu instid0(VALU_DEP_1) | instskip(SKIP_1) | instid1(VALU_DEP_2)
	v_and_or_b32 v7, 0x7f00, v1, 0.5
	v_bfe_i32 v1, v1, 0, 16
	v_add_f32_e32 v7, -0.5, v7
	v_lshrrev_b32_e32 v6, 4, v3
	v_cmp_gt_u32_e32 vcc_lo, 0x8000000, v3
	s_delay_alu instid0(VALU_DEP_2) | instskip(NEXT) | instid1(VALU_DEP_1)
	v_or_b32_e32 v6, 0x70000000, v6
	v_mul_f32_e32 v6, 0x7800000, v6
	s_delay_alu instid0(VALU_DEP_1) | instskip(NEXT) | instid1(VALU_DEP_1)
	v_cndmask_b32_e32 v3, v6, v7, vcc_lo
	v_and_or_b32 v1, 0x80000000, v1, v3
	s_delay_alu instid0(VALU_DEP_1)
	v_cvt_i32_f32_e32 v6, v1
.LBB183_209:
	s_mov_b32 s28, 0
	s_mov_b32 s27, -1
.LBB183_210:
	s_and_not1_b32 vcc_lo, exec_lo, s28
	s_cbranch_vccnz .LBB183_223
; %bb.211:
	s_cmp_gt_i32 s0, 14
	s_cbranch_scc0 .LBB183_214
; %bb.212:
	s_cmp_eq_u32 s0, 15
	s_cbranch_scc0 .LBB183_217
; %bb.213:
	global_load_u16 v1, v[4:5], off
	s_mov_b32 s27, -1
	s_mov_b32 s26, 0
	s_wait_loadcnt 0x0
	v_lshlrev_b32_e32 v1, 16, v1
	s_delay_alu instid0(VALU_DEP_1)
	v_cvt_i32_f32_e32 v6, v1
	s_branch .LBB183_218
.LBB183_214:
	s_mov_b32 s28, -1
                                        ; implicit-def: $vgpr6
	s_branch .LBB183_219
.LBB183_215:
	s_and_not1_saveexec_b32 s27, s27
	s_cbranch_execz .LBB183_196
.LBB183_216:
	v_cmp_ne_u16_e32 vcc_lo, 0, v1
	s_and_not1_b32 s28, s28, exec_lo
	s_and_b32 s29, vcc_lo, exec_lo
	s_delay_alu instid0(SALU_CYCLE_1)
	s_or_b32 s28, s28, s29
	s_or_b32 exec_lo, exec_lo, s27
	v_mov_b32_e32 v6, 0
	s_and_saveexec_b32 s27, s28
	s_cbranch_execnz .LBB183_197
	s_branch .LBB183_198
.LBB183_217:
	s_mov_b32 s26, -1
                                        ; implicit-def: $vgpr6
.LBB183_218:
	s_mov_b32 s28, 0
.LBB183_219:
	s_delay_alu instid0(SALU_CYCLE_1)
	s_and_b32 vcc_lo, exec_lo, s28
	s_cbranch_vccz .LBB183_223
; %bb.220:
	s_cmp_eq_u32 s0, 11
	s_cbranch_scc0 .LBB183_222
; %bb.221:
	global_load_u8 v1, v[4:5], off
	s_mov_b32 s26, 0
	s_mov_b32 s27, -1
	s_wait_loadcnt 0x0
	v_cmp_ne_u16_e32 vcc_lo, 0, v1
	v_cndmask_b32_e64 v6, 0, 1, vcc_lo
	s_branch .LBB183_223
.LBB183_222:
	s_mov_b32 s26, -1
                                        ; implicit-def: $vgpr6
.LBB183_223:
	s_branch .LBB183_25
.LBB183_224:
	s_cmp_lt_i32 s0, 5
	s_cbranch_scc1 .LBB183_229
; %bb.225:
	s_cmp_lt_i32 s0, 8
	s_cbranch_scc1 .LBB183_230
; %bb.226:
	s_cmp_lt_i32 s0, 9
	s_cbranch_scc1 .LBB183_231
; %bb.227:
	s_cmp_gt_i32 s0, 9
	s_cbranch_scc0 .LBB183_232
; %bb.228:
	s_wait_loadcnt 0x0
	global_load_b64 v[6:7], v[4:5], off
	s_mov_b32 s27, 0
	s_wait_loadcnt 0x0
	v_cvt_i32_f64_e32 v6, v[6:7]
	s_branch .LBB183_233
.LBB183_229:
                                        ; implicit-def: $vgpr6
	s_branch .LBB183_251
.LBB183_230:
	s_mov_b32 s27, -1
                                        ; implicit-def: $vgpr6
	s_branch .LBB183_239
.LBB183_231:
	s_mov_b32 s27, -1
                                        ; implicit-def: $vgpr6
	s_branch .LBB183_236
.LBB183_232:
	s_mov_b32 s27, -1
                                        ; implicit-def: $vgpr6
.LBB183_233:
	s_delay_alu instid0(SALU_CYCLE_1)
	s_and_not1_b32 vcc_lo, exec_lo, s27
	s_cbranch_vccnz .LBB183_235
; %bb.234:
	global_load_b32 v1, v[4:5], off
	s_wait_loadcnt 0x0
	v_cvt_i32_f32_e32 v6, v1
.LBB183_235:
	s_mov_b32 s27, 0
.LBB183_236:
	s_delay_alu instid0(SALU_CYCLE_1)
	s_and_not1_b32 vcc_lo, exec_lo, s27
	s_cbranch_vccnz .LBB183_238
; %bb.237:
	global_load_b32 v1, v[4:5], off
	s_wait_loadcnt 0x0
	v_cvt_i16_f16_e32 v6, v1
.LBB183_238:
	s_mov_b32 s27, 0
.LBB183_239:
	s_delay_alu instid0(SALU_CYCLE_1)
	s_and_not1_b32 vcc_lo, exec_lo, s27
	s_cbranch_vccnz .LBB183_250
; %bb.240:
	s_cmp_lt_i32 s0, 6
	s_cbranch_scc1 .LBB183_243
; %bb.241:
	s_cmp_gt_i32 s0, 6
	s_cbranch_scc0 .LBB183_244
; %bb.242:
	s_wait_loadcnt 0x0
	global_load_b64 v[6:7], v[4:5], off
	s_mov_b32 s27, 0
	s_wait_loadcnt 0x0
	v_cvt_i32_f64_e32 v6, v[6:7]
	s_branch .LBB183_245
.LBB183_243:
	s_mov_b32 s27, -1
                                        ; implicit-def: $vgpr6
	s_branch .LBB183_248
.LBB183_244:
	s_mov_b32 s27, -1
                                        ; implicit-def: $vgpr6
.LBB183_245:
	s_delay_alu instid0(SALU_CYCLE_1)
	s_and_not1_b32 vcc_lo, exec_lo, s27
	s_cbranch_vccnz .LBB183_247
; %bb.246:
	global_load_b32 v1, v[4:5], off
	s_wait_loadcnt 0x0
	v_cvt_i32_f32_e32 v6, v1
.LBB183_247:
	s_mov_b32 s27, 0
.LBB183_248:
	s_delay_alu instid0(SALU_CYCLE_1)
	s_and_not1_b32 vcc_lo, exec_lo, s27
	s_cbranch_vccnz .LBB183_250
; %bb.249:
	global_load_u16 v1, v[4:5], off
	s_wait_loadcnt 0x0
	v_cvt_i16_f16_e32 v6, v1
.LBB183_250:
	s_cbranch_execnz .LBB183_270
.LBB183_251:
	s_cmp_lt_i32 s0, 2
	s_cbranch_scc1 .LBB183_255
; %bb.252:
	s_cmp_lt_i32 s0, 3
	s_cbranch_scc1 .LBB183_256
; %bb.253:
	s_cmp_gt_i32 s0, 3
	s_cbranch_scc0 .LBB183_257
; %bb.254:
	s_wait_loadcnt 0x0
	global_load_b64 v[6:7], v[4:5], off
	s_mov_b32 s27, 0
	s_branch .LBB183_258
.LBB183_255:
	s_mov_b32 s27, -1
                                        ; implicit-def: $vgpr6
	s_branch .LBB183_264
.LBB183_256:
	s_mov_b32 s27, -1
                                        ; implicit-def: $vgpr6
	s_branch .LBB183_261
.LBB183_257:
	s_mov_b32 s27, -1
                                        ; implicit-def: $vgpr6
.LBB183_258:
	s_delay_alu instid0(SALU_CYCLE_1)
	s_and_not1_b32 vcc_lo, exec_lo, s27
	s_cbranch_vccnz .LBB183_260
; %bb.259:
	s_wait_loadcnt 0x0
	global_load_b32 v6, v[4:5], off
.LBB183_260:
	s_mov_b32 s27, 0
.LBB183_261:
	s_delay_alu instid0(SALU_CYCLE_1)
	s_and_not1_b32 vcc_lo, exec_lo, s27
	s_cbranch_vccnz .LBB183_263
; %bb.262:
	s_wait_loadcnt 0x0
	global_load_u16 v6, v[4:5], off
.LBB183_263:
	s_mov_b32 s27, 0
.LBB183_264:
	s_delay_alu instid0(SALU_CYCLE_1)
	s_and_not1_b32 vcc_lo, exec_lo, s27
	s_cbranch_vccnz .LBB183_270
; %bb.265:
	s_cmp_gt_i32 s0, 0
	s_mov_b32 s0, 0
	s_cbranch_scc0 .LBB183_267
; %bb.266:
	s_wait_loadcnt 0x0
	global_load_u8 v6, v[4:5], off
	s_branch .LBB183_268
.LBB183_267:
	s_mov_b32 s0, -1
                                        ; implicit-def: $vgpr6
.LBB183_268:
	s_delay_alu instid0(SALU_CYCLE_1)
	s_and_not1_b32 vcc_lo, exec_lo, s0
	s_cbranch_vccnz .LBB183_270
; %bb.269:
	s_wait_loadcnt 0x0
	global_load_u8 v6, v[4:5], off
.LBB183_270:
	s_branch .LBB183_26
.LBB183_271:
	s_mov_b32 s0, 0
.LBB183_272:
	s_mov_b32 s27, 0
                                        ; implicit-def: $vgpr0
.LBB183_273:
	s_and_b32 s42, s0, exec_lo
	s_and_b32 s43, s26, exec_lo
	s_or_not1_b32 s27, s27, exec_lo
.LBB183_274:
	s_wait_xcnt 0x0
	s_or_b32 exec_lo, exec_lo, s44
	s_mov_b32 s26, 0
	s_mov_b32 s0, 0
                                        ; implicit-def: $vgpr4_vgpr5
                                        ; implicit-def: $vgpr2
                                        ; implicit-def: $vgpr6
	s_and_saveexec_b32 s44, s27
	s_cbranch_execz .LBB183_282
; %bb.275:
	s_mov_b32 s0, -1
	s_mov_b32 s45, s43
	s_mov_b32 s46, s42
	s_mov_b32 s47, exec_lo
	v_cmpx_gt_i32_e64 s39, v0
	s_cbranch_execz .LBB183_560
; %bb.276:
	s_and_not1_b32 vcc_lo, exec_lo, s35
	s_cbranch_vccnz .LBB183_285
; %bb.277:
	s_and_not1_b32 vcc_lo, exec_lo, s41
	s_cbranch_vccnz .LBB183_286
; %bb.278:
	s_add_co_i32 s0, s40, 1
	s_cmp_eq_u32 s33, 2
	s_cbranch_scc1 .LBB183_287
; %bb.279:
	v_dual_mov_b32 v2, 0 :: v_dual_mov_b32 v4, 0
	v_mov_b32_e32 v1, v0
	s_and_b32 s26, s0, 28
	s_mov_b32 s27, 0
	s_mov_b64 s[28:29], s[2:3]
	s_mov_b64 s[30:31], s[24:25]
.LBB183_280:                            ; =>This Inner Loop Header: Depth=1
	s_clause 0x1
	s_load_b256 s[48:55], s[28:29], 0x4
	s_load_b128 s[64:67], s[28:29], 0x24
	s_load_b256 s[56:63], s[30:31], 0x0
	s_add_co_i32 s27, s27, 4
	s_wait_xcnt 0x0
	s_add_nc_u64 s[28:29], s[28:29], 48
	s_cmp_eq_u32 s26, s27
	s_add_nc_u64 s[30:31], s[30:31], 32
	s_wait_kmcnt 0x0
	v_mul_hi_u32 v3, s49, v1
	s_delay_alu instid0(VALU_DEP_1) | instskip(NEXT) | instid1(VALU_DEP_1)
	v_add_nc_u32_e32 v3, v1, v3
	v_lshrrev_b32_e32 v3, s50, v3
	s_delay_alu instid0(VALU_DEP_1) | instskip(NEXT) | instid1(VALU_DEP_1)
	v_mul_hi_u32 v5, s52, v3
	v_add_nc_u32_e32 v5, v3, v5
	s_delay_alu instid0(VALU_DEP_1) | instskip(SKIP_1) | instid1(VALU_DEP_1)
	v_lshrrev_b32_e32 v5, s53, v5
	s_wait_loadcnt 0x0
	v_mul_hi_u32 v6, s55, v5
	s_delay_alu instid0(VALU_DEP_1) | instskip(SKIP_1) | instid1(VALU_DEP_1)
	v_add_nc_u32_e32 v6, v5, v6
	v_mul_lo_u32 v7, v3, s48
	v_sub_nc_u32_e32 v1, v1, v7
	v_mul_lo_u32 v7, v5, s51
	s_delay_alu instid0(VALU_DEP_4) | instskip(NEXT) | instid1(VALU_DEP_3)
	v_lshrrev_b32_e32 v6, s64, v6
	v_mad_u32 v4, v1, s57, v4
	v_mad_u32 v1, v1, s56, v2
	s_delay_alu instid0(VALU_DEP_4) | instskip(NEXT) | instid1(VALU_DEP_4)
	v_sub_nc_u32_e32 v2, v3, v7
	v_mul_hi_u32 v8, s66, v6
	v_mul_lo_u32 v3, v6, s54
	s_delay_alu instid0(VALU_DEP_3) | instskip(SKIP_1) | instid1(VALU_DEP_3)
	v_mad_u32 v4, v2, s59, v4
	v_mad_u32 v2, v2, s58, v1
	v_dual_add_nc_u32 v7, v6, v8 :: v_dual_sub_nc_u32 v3, v5, v3
	s_delay_alu instid0(VALU_DEP_1) | instskip(NEXT) | instid1(VALU_DEP_2)
	v_lshrrev_b32_e32 v1, s67, v7
	v_mad_u32 v4, v3, s61, v4
	s_delay_alu instid0(VALU_DEP_4) | instskip(NEXT) | instid1(VALU_DEP_3)
	v_mad_u32 v2, v3, s60, v2
	v_mul_lo_u32 v5, v1, s65
	s_delay_alu instid0(VALU_DEP_1) | instskip(NEXT) | instid1(VALU_DEP_1)
	v_sub_nc_u32_e32 v3, v6, v5
	v_mad_u32 v4, v3, s63, v4
	s_delay_alu instid0(VALU_DEP_4)
	v_mad_u32 v2, v3, s62, v2
	s_cbranch_scc0 .LBB183_280
; %bb.281:
	s_delay_alu instid0(VALU_DEP_2)
	v_mov_b32_e32 v3, v4
	s_branch .LBB183_288
.LBB183_282:
	s_or_b32 exec_lo, exec_lo, s44
	s_mov_b32 s1, 0
	s_and_saveexec_b32 s6, s43
	s_cbranch_execnz .LBB183_946
.LBB183_283:
	s_or_b32 exec_lo, exec_lo, s6
	s_and_saveexec_b32 s6, s21
	s_delay_alu instid0(SALU_CYCLE_1)
	s_xor_b32 s6, exec_lo, s6
	s_cbranch_execz .LBB183_947
.LBB183_284:
	global_load_u8 v0, v[4:5], off
	s_or_b32 s0, s0, exec_lo
	s_wait_loadcnt 0x0
	v_cmp_ne_u16_e32 vcc_lo, 0, v0
	v_cndmask_b32_e64 v6, 0, 1, vcc_lo
	s_wait_xcnt 0x0
	s_or_b32 exec_lo, exec_lo, s6
	s_and_saveexec_b32 s6, s26
	s_cbranch_execz .LBB183_993
	s_branch .LBB183_948
.LBB183_285:
                                        ; implicit-def: $vgpr4
                                        ; implicit-def: $vgpr2
	s_and_not1_b32 vcc_lo, exec_lo, s0
	s_cbranch_vccnz .LBB183_295
	s_branch .LBB183_293
.LBB183_286:
	v_dual_mov_b32 v4, 0 :: v_dual_mov_b32 v2, 0
	s_branch .LBB183_292
.LBB183_287:
	v_mov_b64_e32 v[2:3], 0
	v_mov_b32_e32 v1, v0
                                        ; implicit-def: $vgpr4
.LBB183_288:
	s_and_b32 s0, s0, 3
	s_mov_b32 s27, 0
	s_cmp_eq_u32 s0, 0
	s_cbranch_scc1 .LBB183_292
; %bb.289:
	s_lshl_b32 s28, s26, 3
	s_mov_b32 s29, s27
	s_mul_u64 s[30:31], s[26:27], 12
	s_add_nc_u64 s[28:29], s[2:3], s[28:29]
	s_delay_alu instid0(SALU_CYCLE_1)
	s_add_nc_u64 s[26:27], s[28:29], 0xc4
	s_add_nc_u64 s[28:29], s[2:3], s[30:31]
.LBB183_290:                            ; =>This Inner Loop Header: Depth=1
	s_load_b96 s[48:50], s[28:29], 0x4
	s_load_b64 s[30:31], s[26:27], 0x0
	s_add_co_i32 s0, s0, -1
	s_wait_xcnt 0x0
	s_add_nc_u64 s[28:29], s[28:29], 12
	s_cmp_lg_u32 s0, 0
	s_add_nc_u64 s[26:27], s[26:27], 8
	s_wait_kmcnt 0x0
	v_mul_hi_u32 v4, s49, v1
	s_delay_alu instid0(VALU_DEP_1) | instskip(NEXT) | instid1(VALU_DEP_1)
	v_add_nc_u32_e32 v4, v1, v4
	v_lshrrev_b32_e32 v4, s50, v4
	s_delay_alu instid0(VALU_DEP_1) | instskip(NEXT) | instid1(VALU_DEP_1)
	v_mul_lo_u32 v5, v4, s48
	v_sub_nc_u32_e32 v1, v1, v5
	s_delay_alu instid0(VALU_DEP_1)
	v_mad_u32 v3, v1, s31, v3
	v_mad_u32 v2, v1, s30, v2
	v_mov_b32_e32 v1, v4
	s_cbranch_scc1 .LBB183_290
; %bb.291:
	s_delay_alu instid0(VALU_DEP_3)
	v_mov_b32_e32 v4, v3
.LBB183_292:
	s_cbranch_execnz .LBB183_295
.LBB183_293:
	v_mov_b32_e32 v1, 0
	s_and_not1_b32 vcc_lo, exec_lo, s38
	s_delay_alu instid0(VALU_DEP_1) | instskip(NEXT) | instid1(VALU_DEP_1)
	v_mul_u64_e32 v[2:3], s[20:21], v[0:1]
	v_add_nc_u32_e32 v2, v0, v3
	s_wait_loadcnt 0x0
	s_delay_alu instid0(VALU_DEP_1) | instskip(NEXT) | instid1(VALU_DEP_1)
	v_lshrrev_b32_e32 v6, s10, v2
	v_mul_lo_u32 v2, v6, s8
	s_delay_alu instid0(VALU_DEP_1) | instskip(NEXT) | instid1(VALU_DEP_1)
	v_sub_nc_u32_e32 v2, v0, v2
	v_mul_lo_u32 v4, v2, s13
	v_mul_lo_u32 v2, v2, s12
	s_cbranch_vccnz .LBB183_295
; %bb.294:
	v_mov_b32_e32 v7, v1
	s_delay_alu instid0(VALU_DEP_1) | instskip(NEXT) | instid1(VALU_DEP_1)
	v_mul_u64_e32 v[8:9], s[22:23], v[6:7]
	v_add_nc_u32_e32 v1, v6, v9
	s_delay_alu instid0(VALU_DEP_1) | instskip(NEXT) | instid1(VALU_DEP_1)
	v_lshrrev_b32_e32 v1, s1, v1
	v_mul_lo_u32 v1, v1, s11
	s_delay_alu instid0(VALU_DEP_1) | instskip(NEXT) | instid1(VALU_DEP_1)
	v_sub_nc_u32_e32 v1, v6, v1
	v_mad_u32 v2, v1, s14, v2
	v_mad_u32 v4, v1, s15, v4
.LBB183_295:
	v_mov_b32_e32 v5, 0
	s_and_b32 s0, 0xffff, s37
	s_delay_alu instid0(SALU_CYCLE_1) | instskip(NEXT) | instid1(VALU_DEP_1)
	s_cmp_lt_i32 s0, 11
	v_add_nc_u64_e32 v[4:5], s[6:7], v[4:5]
	s_cbranch_scc1 .LBB183_302
; %bb.296:
	s_cmp_gt_i32 s0, 25
	s_cbranch_scc0 .LBB183_307
; %bb.297:
	s_cmp_gt_i32 s0, 28
	s_cbranch_scc0 .LBB183_311
	;; [unrolled: 3-line block ×4, first 2 shown]
; %bb.300:
	s_cmp_eq_u32 s0, 46
	s_mov_b32 s28, 0
	s_cbranch_scc0 .LBB183_334
; %bb.301:
	global_load_b32 v1, v[4:5], off
	s_mov_b32 s27, -1
	s_mov_b32 s26, 0
	s_wait_loadcnt 0x0
	v_lshlrev_b32_e32 v1, 16, v1
	s_delay_alu instid0(VALU_DEP_1)
	v_cvt_i32_f32_e32 v6, v1
	s_branch .LBB183_336
.LBB183_302:
	s_mov_b32 s27, 0
	s_mov_b32 s26, s43
                                        ; implicit-def: $vgpr6
	s_cbranch_execnz .LBB183_509
.LBB183_303:
	s_and_not1_b32 vcc_lo, exec_lo, s27
	s_cbranch_vccnz .LBB183_557
.LBB183_304:
	s_cmp_lt_i32 s16, 1
	s_mov_b32 s0, 0
	s_cbranch_scc1 .LBB183_308
; %bb.305:
	s_cmp_eq_u32 s16, 1
	s_cbranch_scc0 .LBB183_312
; %bb.306:
	s_wait_loadcnt 0x0
	s_delay_alu instid0(VALU_DEP_1)
	v_bfe_i32 v1, v6, 0, 8
	s_bfe_i32 s27, s17, 0x80000
	s_delay_alu instid0(VALU_DEP_1) | instid1(SALU_CYCLE_1)
	v_min_i16 v1, v1, s27
	s_mov_b32 s27, 0
	s_branch .LBB183_313
.LBB183_307:
	s_mov_b32 s28, -1
	s_mov_b32 s27, 0
	s_mov_b32 s26, s43
                                        ; implicit-def: $vgpr6
	s_branch .LBB183_475
.LBB183_308:
	s_mov_b32 s27, 0
                                        ; implicit-def: $vgpr1
	s_cbranch_execnz .LBB183_314
.LBB183_309:
	s_and_not1_b32 vcc_lo, exec_lo, s27
	s_cbranch_vccnz .LBB183_315
.LBB183_310:
	s_wait_loadcnt 0x0
	s_delay_alu instid0(VALU_DEP_1)
	v_bfe_i32 v1, v6, 0, 8
	s_bfe_i32 s0, s17, 0x80000
	s_delay_alu instid0(VALU_DEP_1) | instid1(SALU_CYCLE_1)
	v_max_i16 v1, v1, s0
	s_bfe_i32 s0, s9, 0x80000
	s_delay_alu instid0(VALU_DEP_1) | instid1(SALU_CYCLE_1)
	v_min_i16 v1, v1, s0
	s_cbranch_execz .LBB183_316
	s_branch .LBB183_317
.LBB183_311:
	s_mov_b32 s28, -1
	s_mov_b32 s27, 0
	s_mov_b32 s26, s43
                                        ; implicit-def: $vgpr6
	s_branch .LBB183_458
.LBB183_312:
	s_mov_b32 s27, -1
                                        ; implicit-def: $vgpr1
.LBB183_313:
	s_branch .LBB183_309
.LBB183_314:
	s_cmp_lg_u32 s16, 0
	s_mov_b32 s0, -1
	s_cselect_b32 s27, -1, 0
	s_delay_alu instid0(SALU_CYCLE_1)
	s_and_not1_b32 vcc_lo, exec_lo, s27
	s_cbranch_vccz .LBB183_310
.LBB183_315:
	s_and_not1_b32 vcc_lo, exec_lo, s0
	s_cbranch_vccnz .LBB183_317
.LBB183_316:
	s_wait_loadcnt 0x0
	s_delay_alu instid0(VALU_DEP_1)
	v_bfe_i32 v1, v6, 0, 8
	s_bfe_i32 s0, s17, 0x80000
	s_delay_alu instid0(VALU_DEP_1) | instid1(SALU_CYCLE_1)
	v_max_i16 v1, v1, s0
.LBB183_317:
	v_mov_b32_e32 v3, 0
	s_and_b32 s27, s18, 0xff
	s_delay_alu instid0(SALU_CYCLE_1) | instskip(NEXT) | instid1(VALU_DEP_1)
	s_cmp_lt_i32 s27, 11
	v_add_nc_u64_e32 v[2:3], s[4:5], v[2:3]
	s_cbranch_scc1 .LBB183_324
; %bb.318:
	s_and_b32 s28, 0xffff, s27
	s_delay_alu instid0(SALU_CYCLE_1)
	s_cmp_gt_i32 s28, 25
	s_cbranch_scc0 .LBB183_325
; %bb.319:
	s_cmp_gt_i32 s28, 28
	s_cbranch_scc0 .LBB183_327
; %bb.320:
	;; [unrolled: 3-line block ×4, first 2 shown]
	s_mov_b32 s30, 0
	s_mov_b32 s0, -1
	s_cmp_eq_u32 s28, 46
	s_mov_b32 s29, 0
	s_cbranch_scc0 .LBB183_340
; %bb.323:
	s_wait_xcnt 0x0
	v_bfe_i32 v4, v1, 0, 8
	s_mov_b32 s29, -1
	s_mov_b32 s0, 0
	s_delay_alu instid0(VALU_DEP_1) | instskip(NEXT) | instid1(VALU_DEP_1)
	v_bfe_i32 v4, v4, 0, 16
	v_cvt_f32_i32_e32 v4, v4
	s_delay_alu instid0(VALU_DEP_1) | instskip(NEXT) | instid1(VALU_DEP_1)
	v_bfe_u32 v5, v4, 16, 1
	v_add3_u32 v4, v4, v5, 0x7fff
	s_delay_alu instid0(VALU_DEP_1)
	v_lshrrev_b32_e32 v4, 16, v4
	global_store_b32 v[2:3], v4, off
	s_branch .LBB183_340
.LBB183_324:
	s_mov_b32 s28, -1
	s_mov_b32 s29, 0
	s_mov_b32 s0, s42
	s_branch .LBB183_409
.LBB183_325:
	s_mov_b32 s30, -1
	s_mov_b32 s29, 0
	s_mov_b32 s0, s42
	s_branch .LBB183_367
.LBB183_326:
	s_mov_b32 s28, -1
	s_mov_b32 s27, 0
	s_mov_b32 s26, s43
                                        ; implicit-def: $vgpr6
	s_branch .LBB183_453
.LBB183_327:
	s_mov_b32 s30, -1
	s_mov_b32 s29, 0
	s_mov_b32 s0, s42
	s_branch .LBB183_350
.LBB183_328:
	s_and_not1_saveexec_b32 s31, s31
	s_cbranch_execz .LBB183_80
.LBB183_329:
	v_add_f32_e64 v5, 0x46000000, |v4|
	s_and_not1_b32 s30, s30, exec_lo
	s_delay_alu instid0(VALU_DEP_1) | instskip(NEXT) | instid1(VALU_DEP_1)
	v_and_b32_e32 v5, 0xff, v5
	v_cmp_ne_u32_e32 vcc_lo, 0, v5
	s_and_b32 s42, vcc_lo, exec_lo
	s_delay_alu instid0(SALU_CYCLE_1)
	s_or_b32 s30, s30, s42
	s_or_b32 exec_lo, exec_lo, s31
	v_mov_b32_e32 v6, 0
	s_and_saveexec_b32 s31, s30
	s_cbranch_execnz .LBB183_81
	s_branch .LBB183_82
.LBB183_330:
	s_mov_b32 s28, -1
	s_mov_b32 s27, 0
	s_mov_b32 s26, s43
	s_branch .LBB183_335
.LBB183_331:
	s_mov_b32 s30, -1
	s_mov_b32 s29, 0
	s_mov_b32 s0, s42
	s_branch .LBB183_346
.LBB183_332:
	s_and_not1_saveexec_b32 s31, s31
	s_cbranch_execz .LBB183_93
.LBB183_333:
	v_add_f32_e64 v5, 0x42800000, |v4|
	s_and_not1_b32 s30, s30, exec_lo
	s_delay_alu instid0(VALU_DEP_1) | instskip(NEXT) | instid1(VALU_DEP_1)
	v_and_b32_e32 v5, 0xff, v5
	v_cmp_ne_u32_e32 vcc_lo, 0, v5
	s_and_b32 s42, vcc_lo, exec_lo
	s_delay_alu instid0(SALU_CYCLE_1)
	s_or_b32 s30, s30, s42
	s_or_b32 exec_lo, exec_lo, s31
	v_mov_b32_e32 v6, 0
	s_and_saveexec_b32 s31, s30
	s_cbranch_execnz .LBB183_94
	s_branch .LBB183_95
.LBB183_334:
	s_mov_b32 s26, -1
	s_mov_b32 s27, 0
.LBB183_335:
                                        ; implicit-def: $vgpr6
.LBB183_336:
	s_and_b32 vcc_lo, exec_lo, s28
	s_cbranch_vccz .LBB183_452
; %bb.337:
	s_cmp_eq_u32 s0, 44
	s_cbranch_scc0 .LBB183_451
; %bb.338:
	global_load_u8 v1, v[4:5], off
	s_mov_b32 s26, 0
	s_mov_b32 s27, -1
	s_wait_loadcnt 0x0
	v_lshlrev_b32_e32 v3, 23, v1
	v_cmp_ne_u32_e32 vcc_lo, 0, v1
	s_delay_alu instid0(VALU_DEP_2) | instskip(NEXT) | instid1(VALU_DEP_1)
	v_cvt_i32_f32_e32 v3, v3
	v_cndmask_b32_e32 v6, 0, v3, vcc_lo
	s_branch .LBB183_452
.LBB183_339:
	s_mov_b32 s30, -1
	s_mov_b32 s29, 0
	s_mov_b32 s0, s42
.LBB183_340:
	s_and_b32 vcc_lo, exec_lo, s30
	s_cbranch_vccz .LBB183_345
; %bb.341:
	s_cmp_eq_u32 s28, 44
	s_mov_b32 s0, -1
	s_cbranch_scc0 .LBB183_345
; %bb.342:
	s_wait_xcnt 0x0
	v_bfe_i32 v4, v1, 0, 8
	v_mov_b32_e32 v5, 0xff
	s_mov_b32 s29, exec_lo
	s_delay_alu instid0(VALU_DEP_2) | instskip(NEXT) | instid1(VALU_DEP_1)
	v_bfe_i32 v4, v4, 0, 16
	v_cvt_f32_i32_e32 v4, v4
	s_wait_loadcnt 0x0
	s_delay_alu instid0(VALU_DEP_1) | instskip(NEXT) | instid1(VALU_DEP_1)
	v_bfe_u32 v6, v4, 23, 8
	v_cmpx_ne_u32_e32 0xff, v6
	s_cbranch_execz .LBB183_344
; %bb.343:
	v_and_b32_e32 v5, 0x400000, v4
	v_and_or_b32 v6, 0x3fffff, v4, v6
	v_lshrrev_b32_e32 v4, 23, v4
	s_delay_alu instid0(VALU_DEP_3) | instskip(NEXT) | instid1(VALU_DEP_3)
	v_cmp_ne_u32_e32 vcc_lo, 0, v5
	v_cmp_ne_u32_e64 s0, 0, v6
	s_and_b32 s0, vcc_lo, s0
	s_delay_alu instid0(SALU_CYCLE_1) | instskip(NEXT) | instid1(VALU_DEP_1)
	v_cndmask_b32_e64 v5, 0, 1, s0
	v_add_nc_u32_e32 v5, v4, v5
.LBB183_344:
	s_or_b32 exec_lo, exec_lo, s29
	s_mov_b32 s29, -1
	s_mov_b32 s0, 0
	global_store_b8 v[2:3], v5, off
.LBB183_345:
	s_mov_b32 s30, 0
.LBB183_346:
	s_delay_alu instid0(SALU_CYCLE_1)
	s_and_b32 vcc_lo, exec_lo, s30
	s_cbranch_vccz .LBB183_349
; %bb.347:
	s_cmp_eq_u32 s28, 29
	s_mov_b32 s0, -1
	s_cbranch_scc0 .LBB183_349
; %bb.348:
	s_wait_xcnt 0x0
	v_bfe_i32 v4, v1, 0, 8
	s_mov_b32 s29, -1
	s_mov_b32 s0, 0
	s_mov_b32 s30, 0
	s_delay_alu instid0(VALU_DEP_1)
	v_ashrrev_i32_e32 v5, 31, v4
	global_store_b64 v[2:3], v[4:5], off
	s_branch .LBB183_350
.LBB183_349:
	s_mov_b32 s30, 0
.LBB183_350:
	s_delay_alu instid0(SALU_CYCLE_1)
	s_and_b32 vcc_lo, exec_lo, s30
	s_cbranch_vccz .LBB183_366
; %bb.351:
	s_cmp_lt_i32 s28, 27
	s_mov_b32 s29, -1
	s_cbranch_scc1 .LBB183_357
; %bb.352:
	s_cmp_gt_i32 s28, 27
	s_cbranch_scc0 .LBB183_354
; %bb.353:
	s_wait_xcnt 0x0
	v_bfe_i32 v4, v1, 0, 8
	s_mov_b32 s29, 0
	global_store_b32 v[2:3], v4, off
.LBB183_354:
	s_and_not1_b32 vcc_lo, exec_lo, s29
	s_cbranch_vccnz .LBB183_356
; %bb.355:
	s_wait_xcnt 0x0
	v_bfe_i32 v4, v1, 0, 8
	global_store_b16 v[2:3], v4, off
.LBB183_356:
	s_mov_b32 s29, 0
.LBB183_357:
	s_delay_alu instid0(SALU_CYCLE_1)
	s_and_not1_b32 vcc_lo, exec_lo, s29
	s_cbranch_vccnz .LBB183_365
; %bb.358:
	s_wait_xcnt 0x0
	v_bfe_i32 v4, v1, 0, 8
	s_wait_loadcnt 0x0
	v_mov_b32_e32 v6, 0x80
	s_mov_b32 s29, exec_lo
	s_delay_alu instid0(VALU_DEP_2) | instskip(NEXT) | instid1(VALU_DEP_1)
	v_bfe_i32 v4, v4, 0, 16
	v_cvt_f32_i32_e32 v4, v4
	s_delay_alu instid0(VALU_DEP_1) | instskip(NEXT) | instid1(VALU_DEP_1)
	v_and_b32_e32 v5, 0x7fffffff, v4
	v_cmpx_gt_u32_e32 0x43800000, v5
	s_cbranch_execz .LBB183_364
; %bb.359:
	v_cmp_lt_u32_e32 vcc_lo, 0x3bffffff, v5
	s_mov_b32 s30, 0
                                        ; implicit-def: $vgpr5
	s_and_saveexec_b32 s31, vcc_lo
	s_delay_alu instid0(SALU_CYCLE_1)
	s_xor_b32 s31, exec_lo, s31
	s_cbranch_execz .LBB183_590
; %bb.360:
	v_bfe_u32 v5, v4, 20, 1
	s_mov_b32 s30, exec_lo
	s_delay_alu instid0(VALU_DEP_1) | instskip(NEXT) | instid1(VALU_DEP_1)
	v_add3_u32 v5, v4, v5, 0x487ffff
	v_lshrrev_b32_e32 v5, 20, v5
	s_and_not1_saveexec_b32 s31, s31
	s_cbranch_execnz .LBB183_591
.LBB183_361:
	s_or_b32 exec_lo, exec_lo, s31
	v_mov_b32_e32 v6, 0
	s_and_saveexec_b32 s31, s30
.LBB183_362:
	v_lshrrev_b32_e32 v4, 24, v4
	s_delay_alu instid0(VALU_DEP_1)
	v_and_or_b32 v6, 0x80, v4, v5
.LBB183_363:
	s_or_b32 exec_lo, exec_lo, s31
.LBB183_364:
	s_delay_alu instid0(SALU_CYCLE_1)
	s_or_b32 exec_lo, exec_lo, s29
	global_store_b8 v[2:3], v6, off
.LBB183_365:
	s_mov_b32 s29, -1
.LBB183_366:
	s_mov_b32 s30, 0
.LBB183_367:
	s_delay_alu instid0(SALU_CYCLE_1)
	s_and_b32 vcc_lo, exec_lo, s30
	s_cbranch_vccz .LBB183_408
; %bb.368:
	s_cmp_gt_i32 s28, 22
	s_mov_b32 s30, -1
	s_cbranch_scc0 .LBB183_400
; %bb.369:
	s_cmp_lt_i32 s28, 24
	s_mov_b32 s29, -1
	s_cbranch_scc1 .LBB183_389
; %bb.370:
	s_cmp_gt_i32 s28, 24
	s_cbranch_scc0 .LBB183_378
; %bb.371:
	s_wait_xcnt 0x0
	v_bfe_i32 v4, v1, 0, 8
	s_wait_loadcnt 0x0
	v_mov_b32_e32 v6, 0x80
	s_mov_b32 s29, exec_lo
	s_delay_alu instid0(VALU_DEP_2) | instskip(NEXT) | instid1(VALU_DEP_1)
	v_bfe_i32 v4, v4, 0, 16
	v_cvt_f32_i32_e32 v4, v4
	s_delay_alu instid0(VALU_DEP_1) | instskip(NEXT) | instid1(VALU_DEP_1)
	v_and_b32_e32 v5, 0x7fffffff, v4
	v_cmpx_gt_u32_e32 0x47800000, v5
	s_cbranch_execz .LBB183_377
; %bb.372:
	v_cmp_lt_u32_e32 vcc_lo, 0x37ffffff, v5
	s_mov_b32 s30, 0
                                        ; implicit-def: $vgpr5
	s_and_saveexec_b32 s31, vcc_lo
	s_delay_alu instid0(SALU_CYCLE_1)
	s_xor_b32 s31, exec_lo, s31
	s_cbranch_execz .LBB183_593
; %bb.373:
	v_bfe_u32 v5, v4, 21, 1
	s_mov_b32 s30, exec_lo
	s_delay_alu instid0(VALU_DEP_1) | instskip(NEXT) | instid1(VALU_DEP_1)
	v_add3_u32 v5, v4, v5, 0x88fffff
	v_lshrrev_b32_e32 v5, 21, v5
	s_and_not1_saveexec_b32 s31, s31
	s_cbranch_execnz .LBB183_594
.LBB183_374:
	s_or_b32 exec_lo, exec_lo, s31
	v_mov_b32_e32 v6, 0
	s_and_saveexec_b32 s31, s30
.LBB183_375:
	v_lshrrev_b32_e32 v4, 24, v4
	s_delay_alu instid0(VALU_DEP_1)
	v_and_or_b32 v6, 0x80, v4, v5
.LBB183_376:
	s_or_b32 exec_lo, exec_lo, s31
.LBB183_377:
	s_delay_alu instid0(SALU_CYCLE_1)
	s_or_b32 exec_lo, exec_lo, s29
	s_mov_b32 s29, 0
	global_store_b8 v[2:3], v6, off
.LBB183_378:
	s_and_b32 vcc_lo, exec_lo, s29
	s_cbranch_vccz .LBB183_388
; %bb.379:
	s_wait_xcnt 0x0
	v_bfe_i32 v4, v1, 0, 8
	s_mov_b32 s29, exec_lo
                                        ; implicit-def: $vgpr5
	s_delay_alu instid0(VALU_DEP_1) | instskip(NEXT) | instid1(VALU_DEP_1)
	v_bfe_i32 v4, v4, 0, 16
	v_cvt_f32_i32_e32 v4, v4
	s_wait_loadcnt 0x0
	s_delay_alu instid0(VALU_DEP_1) | instskip(NEXT) | instid1(VALU_DEP_1)
	v_and_b32_e32 v6, 0x7fffffff, v4
	v_cmpx_gt_u32_e32 0x43f00000, v6
	s_xor_b32 s29, exec_lo, s29
	s_cbranch_execz .LBB183_385
; %bb.380:
	s_mov_b32 s30, exec_lo
                                        ; implicit-def: $vgpr5
	v_cmpx_lt_u32_e32 0x3c7fffff, v6
	s_xor_b32 s30, exec_lo, s30
; %bb.381:
	v_bfe_u32 v5, v4, 20, 1
	s_delay_alu instid0(VALU_DEP_1) | instskip(NEXT) | instid1(VALU_DEP_1)
	v_add3_u32 v5, v4, v5, 0x407ffff
	v_and_b32_e32 v6, 0xff00000, v5
	v_lshrrev_b32_e32 v5, 20, v5
	s_delay_alu instid0(VALU_DEP_2) | instskip(NEXT) | instid1(VALU_DEP_2)
	v_cmp_ne_u32_e32 vcc_lo, 0x7f00000, v6
	v_cndmask_b32_e32 v5, 0x7e, v5, vcc_lo
; %bb.382:
	s_and_not1_saveexec_b32 s30, s30
; %bb.383:
	v_add_f32_e64 v5, 0x46800000, |v4|
; %bb.384:
	s_or_b32 exec_lo, exec_lo, s30
                                        ; implicit-def: $vgpr6
.LBB183_385:
	s_and_not1_saveexec_b32 s29, s29
; %bb.386:
	v_mov_b32_e32 v5, 0x7f
	v_cmp_lt_u32_e32 vcc_lo, 0x7f800000, v6
	s_delay_alu instid0(VALU_DEP_2)
	v_cndmask_b32_e32 v5, 0x7e, v5, vcc_lo
; %bb.387:
	s_or_b32 exec_lo, exec_lo, s29
	v_lshrrev_b32_e32 v4, 24, v4
	s_delay_alu instid0(VALU_DEP_1)
	v_and_or_b32 v4, 0x80, v4, v5
	global_store_b8 v[2:3], v4, off
.LBB183_388:
	s_mov_b32 s29, 0
.LBB183_389:
	s_delay_alu instid0(SALU_CYCLE_1)
	s_and_not1_b32 vcc_lo, exec_lo, s29
	s_cbranch_vccnz .LBB183_399
; %bb.390:
	s_wait_xcnt 0x0
	v_bfe_i32 v4, v1, 0, 8
	s_mov_b32 s29, exec_lo
                                        ; implicit-def: $vgpr5
	s_delay_alu instid0(VALU_DEP_1) | instskip(NEXT) | instid1(VALU_DEP_1)
	v_bfe_i32 v4, v4, 0, 16
	v_cvt_f32_i32_e32 v4, v4
	s_wait_loadcnt 0x0
	s_delay_alu instid0(VALU_DEP_1) | instskip(NEXT) | instid1(VALU_DEP_1)
	v_and_b32_e32 v6, 0x7fffffff, v4
	v_cmpx_gt_u32_e32 0x47800000, v6
	s_xor_b32 s29, exec_lo, s29
	s_cbranch_execz .LBB183_396
; %bb.391:
	s_mov_b32 s30, exec_lo
                                        ; implicit-def: $vgpr5
	v_cmpx_lt_u32_e32 0x387fffff, v6
	s_xor_b32 s30, exec_lo, s30
; %bb.392:
	v_bfe_u32 v5, v4, 21, 1
	s_delay_alu instid0(VALU_DEP_1) | instskip(NEXT) | instid1(VALU_DEP_1)
	v_add3_u32 v5, v4, v5, 0x80fffff
	v_lshrrev_b32_e32 v5, 21, v5
; %bb.393:
	s_and_not1_saveexec_b32 s30, s30
; %bb.394:
	v_add_f32_e64 v5, 0x43000000, |v4|
; %bb.395:
	s_or_b32 exec_lo, exec_lo, s30
                                        ; implicit-def: $vgpr6
.LBB183_396:
	s_and_not1_saveexec_b32 s29, s29
; %bb.397:
	v_mov_b32_e32 v5, 0x7f
	v_cmp_lt_u32_e32 vcc_lo, 0x7f800000, v6
	s_delay_alu instid0(VALU_DEP_2)
	v_cndmask_b32_e32 v5, 0x7c, v5, vcc_lo
; %bb.398:
	s_or_b32 exec_lo, exec_lo, s29
	v_lshrrev_b32_e32 v4, 24, v4
	s_delay_alu instid0(VALU_DEP_1)
	v_and_or_b32 v4, 0x80, v4, v5
	global_store_b8 v[2:3], v4, off
.LBB183_399:
	s_mov_b32 s30, 0
	s_mov_b32 s29, -1
.LBB183_400:
	s_and_not1_b32 vcc_lo, exec_lo, s30
	s_cbranch_vccnz .LBB183_408
; %bb.401:
	s_cmp_gt_i32 s28, 14
	s_mov_b32 s30, -1
	s_cbranch_scc0 .LBB183_405
; %bb.402:
	s_cmp_eq_u32 s28, 15
	s_mov_b32 s0, -1
	s_cbranch_scc0 .LBB183_404
; %bb.403:
	s_wait_xcnt 0x0
	v_bfe_i32 v4, v1, 0, 8
	s_mov_b32 s29, -1
	s_mov_b32 s0, 0
	s_delay_alu instid0(VALU_DEP_1) | instskip(NEXT) | instid1(VALU_DEP_1)
	v_bfe_i32 v4, v4, 0, 16
	v_cvt_f32_i32_e32 v4, v4
	s_delay_alu instid0(VALU_DEP_1) | instskip(NEXT) | instid1(VALU_DEP_1)
	v_bfe_u32 v5, v4, 16, 1
	v_add3_u32 v4, v4, v5, 0x7fff
	global_store_d16_hi_b16 v[2:3], v4, off
.LBB183_404:
	s_mov_b32 s30, 0
.LBB183_405:
	s_delay_alu instid0(SALU_CYCLE_1)
	s_and_b32 vcc_lo, exec_lo, s30
	s_cbranch_vccz .LBB183_408
; %bb.406:
	s_cmp_eq_u32 s28, 11
	s_mov_b32 s0, -1
	s_cbranch_scc0 .LBB183_408
; %bb.407:
	s_wait_xcnt 0x0
	v_and_b32_e32 v4, 0xff, v1
	s_mov_b32 s0, 0
	s_mov_b32 s29, -1
	s_delay_alu instid0(VALU_DEP_1)
	v_cmp_ne_u16_e32 vcc_lo, 0, v4
	v_cndmask_b32_e64 v4, 0, 1, vcc_lo
	global_store_b8 v[2:3], v4, off
.LBB183_408:
	s_mov_b32 s28, 0
.LBB183_409:
	s_delay_alu instid0(SALU_CYCLE_1)
	s_and_b32 vcc_lo, exec_lo, s28
	s_cbranch_vccz .LBB183_448
; %bb.410:
	s_and_b32 s27, 0xffff, s27
	s_mov_b32 s28, -1
	s_cmp_lt_i32 s27, 5
	s_cbranch_scc1 .LBB183_431
; %bb.411:
	s_cmp_lt_i32 s27, 8
	s_cbranch_scc1 .LBB183_421
; %bb.412:
	;; [unrolled: 3-line block ×3, first 2 shown]
	s_cmp_gt_i32 s27, 9
	s_cbranch_scc0 .LBB183_415
; %bb.414:
	s_wait_xcnt 0x0
	v_bfe_i32 v4, v1, 0, 8
	s_wait_loadcnt 0x0
	v_mov_b32_e32 v6, 0
	s_mov_b32 s28, 0
	s_delay_alu instid0(VALU_DEP_2) | instskip(NEXT) | instid1(VALU_DEP_2)
	v_bfe_i32 v4, v4, 0, 16
	v_mov_b32_e32 v7, v6
	s_delay_alu instid0(VALU_DEP_2)
	v_cvt_f64_i32_e32 v[4:5], v4
	global_store_b128 v[2:3], v[4:7], off
.LBB183_415:
	s_and_not1_b32 vcc_lo, exec_lo, s28
	s_cbranch_vccnz .LBB183_417
; %bb.416:
	s_wait_xcnt 0x0
	v_bfe_i32 v4, v1, 0, 8
	v_mov_b32_e32 v5, 0
	s_delay_alu instid0(VALU_DEP_2) | instskip(NEXT) | instid1(VALU_DEP_1)
	v_bfe_i32 v4, v4, 0, 16
	v_cvt_f32_i32_e32 v4, v4
	global_store_b64 v[2:3], v[4:5], off
.LBB183_417:
	s_mov_b32 s28, 0
.LBB183_418:
	s_delay_alu instid0(SALU_CYCLE_1)
	s_and_not1_b32 vcc_lo, exec_lo, s28
	s_cbranch_vccnz .LBB183_420
; %bb.419:
	s_wait_xcnt 0x0
	v_bfe_i32 v4, v1, 0, 8
	s_delay_alu instid0(VALU_DEP_1) | instskip(NEXT) | instid1(VALU_DEP_1)
	v_cvt_f16_i16_e32 v4, v4
	v_and_b32_e32 v4, 0xffff, v4
	global_store_b32 v[2:3], v4, off
.LBB183_420:
	s_mov_b32 s28, 0
.LBB183_421:
	s_delay_alu instid0(SALU_CYCLE_1)
	s_and_not1_b32 vcc_lo, exec_lo, s28
	s_cbranch_vccnz .LBB183_430
; %bb.422:
	s_cmp_lt_i32 s27, 6
	s_mov_b32 s28, -1
	s_cbranch_scc1 .LBB183_428
; %bb.423:
	s_cmp_gt_i32 s27, 6
	s_cbranch_scc0 .LBB183_425
; %bb.424:
	s_wait_xcnt 0x0
	v_bfe_i32 v4, v1, 0, 8
	s_mov_b32 s28, 0
	s_delay_alu instid0(VALU_DEP_1) | instskip(NEXT) | instid1(VALU_DEP_1)
	v_bfe_i32 v4, v4, 0, 16
	v_cvt_f64_i32_e32 v[4:5], v4
	global_store_b64 v[2:3], v[4:5], off
.LBB183_425:
	s_and_not1_b32 vcc_lo, exec_lo, s28
	s_cbranch_vccnz .LBB183_427
; %bb.426:
	s_wait_xcnt 0x0
	v_bfe_i32 v4, v1, 0, 8
	s_delay_alu instid0(VALU_DEP_1) | instskip(NEXT) | instid1(VALU_DEP_1)
	v_bfe_i32 v4, v4, 0, 16
	v_cvt_f32_i32_e32 v4, v4
	global_store_b32 v[2:3], v4, off
.LBB183_427:
	s_mov_b32 s28, 0
.LBB183_428:
	s_delay_alu instid0(SALU_CYCLE_1)
	s_and_not1_b32 vcc_lo, exec_lo, s28
	s_cbranch_vccnz .LBB183_430
; %bb.429:
	s_wait_xcnt 0x0
	v_bfe_i32 v4, v1, 0, 8
	s_delay_alu instid0(VALU_DEP_1)
	v_cvt_f16_i16_e32 v4, v4
	global_store_b16 v[2:3], v4, off
.LBB183_430:
	s_mov_b32 s28, 0
.LBB183_431:
	s_delay_alu instid0(SALU_CYCLE_1)
	s_and_not1_b32 vcc_lo, exec_lo, s28
	s_cbranch_vccnz .LBB183_447
; %bb.432:
	s_cmp_lt_i32 s27, 2
	s_mov_b32 s28, -1
	s_cbranch_scc1 .LBB183_442
; %bb.433:
	s_cmp_lt_i32 s27, 3
	s_cbranch_scc1 .LBB183_439
; %bb.434:
	s_cmp_gt_i32 s27, 3
	s_cbranch_scc0 .LBB183_436
; %bb.435:
	s_wait_xcnt 0x0
	v_bfe_i32 v4, v1, 0, 8
	s_mov_b32 s28, 0
	s_delay_alu instid0(VALU_DEP_1)
	v_ashrrev_i32_e32 v5, 31, v4
	global_store_b64 v[2:3], v[4:5], off
.LBB183_436:
	s_and_not1_b32 vcc_lo, exec_lo, s28
	s_cbranch_vccnz .LBB183_438
; %bb.437:
	s_wait_xcnt 0x0
	v_bfe_i32 v4, v1, 0, 8
	global_store_b32 v[2:3], v4, off
.LBB183_438:
	s_mov_b32 s28, 0
.LBB183_439:
	s_delay_alu instid0(SALU_CYCLE_1)
	s_and_not1_b32 vcc_lo, exec_lo, s28
	s_cbranch_vccnz .LBB183_441
; %bb.440:
	s_wait_xcnt 0x0
	v_bfe_i32 v4, v1, 0, 8
	global_store_b16 v[2:3], v4, off
.LBB183_441:
	s_mov_b32 s28, 0
.LBB183_442:
	s_delay_alu instid0(SALU_CYCLE_1)
	s_and_not1_b32 vcc_lo, exec_lo, s28
	s_cbranch_vccnz .LBB183_447
; %bb.443:
	s_cmp_gt_i32 s27, 0
	s_mov_b32 s27, -1
	s_cbranch_scc0 .LBB183_445
; %bb.444:
	s_mov_b32 s27, 0
	global_store_b8 v[2:3], v1, off
.LBB183_445:
	s_and_not1_b32 vcc_lo, exec_lo, s27
	s_cbranch_vccnz .LBB183_447
; %bb.446:
	global_store_b8 v[2:3], v1, off
.LBB183_447:
	s_mov_b32 s29, -1
.LBB183_448:
	s_delay_alu instid0(SALU_CYCLE_1)
	s_and_not1_b32 vcc_lo, exec_lo, s29
	s_cbranch_vccnz .LBB183_450
; %bb.449:
	v_add_nc_u32_e32 v0, 0x80, v0
	s_mov_b32 s27, -1
	s_branch .LBB183_559
.LBB183_450:
	s_mov_b32 s27, 0
	s_branch .LBB183_558
.LBB183_451:
	s_mov_b32 s26, -1
                                        ; implicit-def: $vgpr6
.LBB183_452:
	s_mov_b32 s28, 0
.LBB183_453:
	s_delay_alu instid0(SALU_CYCLE_1)
	s_and_b32 vcc_lo, exec_lo, s28
	s_cbranch_vccz .LBB183_457
; %bb.454:
	s_cmp_eq_u32 s0, 29
	s_cbranch_scc0 .LBB183_456
; %bb.455:
	s_wait_loadcnt 0x0
	global_load_b64 v[6:7], v[4:5], off
	s_mov_b32 s27, -1
	s_mov_b32 s26, 0
	s_branch .LBB183_457
.LBB183_456:
	s_mov_b32 s26, -1
                                        ; implicit-def: $vgpr6
.LBB183_457:
	s_mov_b32 s28, 0
.LBB183_458:
	s_delay_alu instid0(SALU_CYCLE_1)
	s_and_b32 vcc_lo, exec_lo, s28
	s_cbranch_vccz .LBB183_474
; %bb.459:
	s_cmp_lt_i32 s0, 27
	s_cbranch_scc1 .LBB183_462
; %bb.460:
	s_cmp_gt_i32 s0, 27
	s_cbranch_scc0 .LBB183_463
; %bb.461:
	s_wait_loadcnt 0x0
	global_load_b32 v6, v[4:5], off
	s_mov_b32 s27, 0
	s_branch .LBB183_464
.LBB183_462:
	s_mov_b32 s27, -1
                                        ; implicit-def: $vgpr6
	s_branch .LBB183_467
.LBB183_463:
	s_mov_b32 s27, -1
                                        ; implicit-def: $vgpr6
.LBB183_464:
	s_delay_alu instid0(SALU_CYCLE_1)
	s_and_not1_b32 vcc_lo, exec_lo, s27
	s_cbranch_vccnz .LBB183_466
; %bb.465:
	s_wait_loadcnt 0x0
	global_load_u16 v6, v[4:5], off
.LBB183_466:
	s_mov_b32 s27, 0
.LBB183_467:
	s_delay_alu instid0(SALU_CYCLE_1)
	s_and_not1_b32 vcc_lo, exec_lo, s27
	s_cbranch_vccnz .LBB183_473
; %bb.468:
	global_load_u8 v1, v[4:5], off
	s_mov_b32 s28, 0
	s_mov_b32 s27, exec_lo
	s_wait_loadcnt 0x0
	v_cmpx_lt_i16_e32 0x7f, v1
	s_xor_b32 s27, exec_lo, s27
	s_cbranch_execz .LBB183_485
; %bb.469:
	v_cmp_ne_u16_e32 vcc_lo, 0x80, v1
	s_and_b32 s28, vcc_lo, exec_lo
	s_and_not1_saveexec_b32 s27, s27
	s_cbranch_execnz .LBB183_486
.LBB183_470:
	s_or_b32 exec_lo, exec_lo, s27
	v_mov_b32_e32 v6, 0
	s_and_saveexec_b32 s27, s28
	s_cbranch_execz .LBB183_472
.LBB183_471:
	v_and_b32_e32 v3, 0xffff, v1
	s_delay_alu instid0(VALU_DEP_1) | instskip(SKIP_1) | instid1(VALU_DEP_2)
	v_dual_lshlrev_b32 v1, 24, v1 :: v_dual_bitop2_b32 v6, 7, v3 bitop3:0x40
	v_bfe_u32 v9, v3, 3, 4
	v_and_b32_e32 v1, 0x80000000, v1
	s_delay_alu instid0(VALU_DEP_3) | instskip(NEXT) | instid1(VALU_DEP_3)
	v_clz_i32_u32_e32 v7, v6
	v_cmp_eq_u32_e32 vcc_lo, 0, v9
	s_delay_alu instid0(VALU_DEP_2) | instskip(NEXT) | instid1(VALU_DEP_1)
	v_min_u32_e32 v7, 32, v7
	v_subrev_nc_u32_e32 v8, 28, v7
	v_sub_nc_u32_e32 v7, 29, v7
	s_delay_alu instid0(VALU_DEP_2) | instskip(NEXT) | instid1(VALU_DEP_2)
	v_lshlrev_b32_e32 v3, v8, v3
	v_cndmask_b32_e32 v7, v9, v7, vcc_lo
	s_delay_alu instid0(VALU_DEP_2) | instskip(NEXT) | instid1(VALU_DEP_1)
	v_and_b32_e32 v3, 7, v3
	v_cndmask_b32_e32 v3, v6, v3, vcc_lo
	s_delay_alu instid0(VALU_DEP_3) | instskip(NEXT) | instid1(VALU_DEP_2)
	v_lshl_add_u32 v6, v7, 23, 0x3b800000
	v_lshlrev_b32_e32 v3, 20, v3
	s_delay_alu instid0(VALU_DEP_1) | instskip(NEXT) | instid1(VALU_DEP_1)
	v_or3_b32 v1, v1, v6, v3
	v_cvt_i32_f32_e32 v6, v1
.LBB183_472:
	s_or_b32 exec_lo, exec_lo, s27
.LBB183_473:
	s_mov_b32 s27, -1
.LBB183_474:
	s_mov_b32 s28, 0
.LBB183_475:
	s_delay_alu instid0(SALU_CYCLE_1)
	s_and_b32 vcc_lo, exec_lo, s28
	s_cbranch_vccz .LBB183_508
; %bb.476:
	s_cmp_gt_i32 s0, 22
	s_cbranch_scc0 .LBB183_484
; %bb.477:
	s_cmp_lt_i32 s0, 24
	s_cbranch_scc1 .LBB183_487
; %bb.478:
	s_cmp_gt_i32 s0, 24
	s_cbranch_scc0 .LBB183_488
; %bb.479:
	global_load_u8 v1, v[4:5], off
	s_mov_b32 s28, 0
	s_mov_b32 s27, exec_lo
	s_wait_loadcnt 0x0
	v_cmpx_lt_i16_e32 0x7f, v1
	s_xor_b32 s27, exec_lo, s27
	s_cbranch_execz .LBB183_500
; %bb.480:
	v_cmp_ne_u16_e32 vcc_lo, 0x80, v1
	s_and_b32 s28, vcc_lo, exec_lo
	s_and_not1_saveexec_b32 s27, s27
	s_cbranch_execnz .LBB183_501
.LBB183_481:
	s_or_b32 exec_lo, exec_lo, s27
	v_mov_b32_e32 v6, 0
	s_and_saveexec_b32 s27, s28
	s_cbranch_execz .LBB183_483
.LBB183_482:
	v_and_b32_e32 v3, 0xffff, v1
	s_delay_alu instid0(VALU_DEP_1) | instskip(SKIP_1) | instid1(VALU_DEP_2)
	v_dual_lshlrev_b32 v1, 24, v1 :: v_dual_bitop2_b32 v6, 3, v3 bitop3:0x40
	v_bfe_u32 v9, v3, 2, 5
	v_and_b32_e32 v1, 0x80000000, v1
	s_delay_alu instid0(VALU_DEP_3) | instskip(NEXT) | instid1(VALU_DEP_3)
	v_clz_i32_u32_e32 v7, v6
	v_cmp_eq_u32_e32 vcc_lo, 0, v9
	s_delay_alu instid0(VALU_DEP_2) | instskip(NEXT) | instid1(VALU_DEP_1)
	v_min_u32_e32 v7, 32, v7
	v_subrev_nc_u32_e32 v8, 29, v7
	v_sub_nc_u32_e32 v7, 30, v7
	s_delay_alu instid0(VALU_DEP_2) | instskip(NEXT) | instid1(VALU_DEP_2)
	v_lshlrev_b32_e32 v3, v8, v3
	v_cndmask_b32_e32 v7, v9, v7, vcc_lo
	s_delay_alu instid0(VALU_DEP_2) | instskip(NEXT) | instid1(VALU_DEP_1)
	v_and_b32_e32 v3, 3, v3
	v_cndmask_b32_e32 v3, v6, v3, vcc_lo
	s_delay_alu instid0(VALU_DEP_3) | instskip(NEXT) | instid1(VALU_DEP_2)
	v_lshl_add_u32 v6, v7, 23, 0x37800000
	v_lshlrev_b32_e32 v3, 21, v3
	s_delay_alu instid0(VALU_DEP_1) | instskip(NEXT) | instid1(VALU_DEP_1)
	v_or3_b32 v1, v1, v6, v3
	v_cvt_i32_f32_e32 v6, v1
.LBB183_483:
	s_or_b32 exec_lo, exec_lo, s27
	s_mov_b32 s27, 0
	s_branch .LBB183_489
.LBB183_484:
	s_mov_b32 s28, -1
                                        ; implicit-def: $vgpr6
	s_branch .LBB183_495
.LBB183_485:
	s_and_not1_saveexec_b32 s27, s27
	s_cbranch_execz .LBB183_470
.LBB183_486:
	v_cmp_ne_u16_e32 vcc_lo, 0, v1
	s_and_not1_b32 s28, s28, exec_lo
	s_and_b32 s29, vcc_lo, exec_lo
	s_delay_alu instid0(SALU_CYCLE_1)
	s_or_b32 s28, s28, s29
	s_or_b32 exec_lo, exec_lo, s27
	v_mov_b32_e32 v6, 0
	s_and_saveexec_b32 s27, s28
	s_cbranch_execnz .LBB183_471
	s_branch .LBB183_472
.LBB183_487:
	s_mov_b32 s27, -1
                                        ; implicit-def: $vgpr6
	s_branch .LBB183_492
.LBB183_488:
	s_mov_b32 s27, -1
                                        ; implicit-def: $vgpr6
.LBB183_489:
	s_delay_alu instid0(SALU_CYCLE_1)
	s_and_b32 vcc_lo, exec_lo, s27
	s_cbranch_vccz .LBB183_491
; %bb.490:
	global_load_u8 v1, v[4:5], off
	s_wait_loadcnt 0x0
	v_lshlrev_b32_e32 v1, 24, v1
	s_delay_alu instid0(VALU_DEP_1) | instskip(NEXT) | instid1(VALU_DEP_1)
	v_and_b32_e32 v3, 0x7f000000, v1
	v_clz_i32_u32_e32 v6, v3
	v_cmp_ne_u32_e32 vcc_lo, 0, v3
	v_add_nc_u32_e32 v8, 0x1000000, v3
	s_delay_alu instid0(VALU_DEP_3) | instskip(NEXT) | instid1(VALU_DEP_1)
	v_min_u32_e32 v6, 32, v6
	v_sub_nc_u32_e64 v6, v6, 4 clamp
	s_delay_alu instid0(VALU_DEP_1) | instskip(NEXT) | instid1(VALU_DEP_1)
	v_dual_lshlrev_b32 v7, v6, v3 :: v_dual_lshlrev_b32 v6, 23, v6
	v_lshrrev_b32_e32 v7, 4, v7
	s_delay_alu instid0(VALU_DEP_1) | instskip(NEXT) | instid1(VALU_DEP_1)
	v_dual_sub_nc_u32 v6, v7, v6 :: v_dual_ashrrev_i32 v7, 8, v8
	v_add_nc_u32_e32 v6, 0x3c000000, v6
	s_delay_alu instid0(VALU_DEP_1) | instskip(NEXT) | instid1(VALU_DEP_1)
	v_and_or_b32 v6, 0x7f800000, v7, v6
	v_cndmask_b32_e32 v3, 0, v6, vcc_lo
	s_delay_alu instid0(VALU_DEP_1) | instskip(NEXT) | instid1(VALU_DEP_1)
	v_and_or_b32 v1, 0x80000000, v1, v3
	v_cvt_i32_f32_e32 v6, v1
.LBB183_491:
	s_mov_b32 s27, 0
.LBB183_492:
	s_delay_alu instid0(SALU_CYCLE_1)
	s_and_not1_b32 vcc_lo, exec_lo, s27
	s_cbranch_vccnz .LBB183_494
; %bb.493:
	global_load_u8 v1, v[4:5], off
	s_wait_loadcnt 0x0
	v_lshlrev_b32_e32 v3, 25, v1
	v_lshlrev_b16 v1, 8, v1
	s_delay_alu instid0(VALU_DEP_1) | instskip(SKIP_1) | instid1(VALU_DEP_2)
	v_and_or_b32 v7, 0x7f00, v1, 0.5
	v_bfe_i32 v1, v1, 0, 16
	v_add_f32_e32 v7, -0.5, v7
	v_lshrrev_b32_e32 v6, 4, v3
	v_cmp_gt_u32_e32 vcc_lo, 0x8000000, v3
	s_delay_alu instid0(VALU_DEP_2) | instskip(NEXT) | instid1(VALU_DEP_1)
	v_or_b32_e32 v6, 0x70000000, v6
	v_mul_f32_e32 v6, 0x7800000, v6
	s_delay_alu instid0(VALU_DEP_1) | instskip(NEXT) | instid1(VALU_DEP_1)
	v_cndmask_b32_e32 v3, v6, v7, vcc_lo
	v_and_or_b32 v1, 0x80000000, v1, v3
	s_delay_alu instid0(VALU_DEP_1)
	v_cvt_i32_f32_e32 v6, v1
.LBB183_494:
	s_mov_b32 s28, 0
	s_mov_b32 s27, -1
.LBB183_495:
	s_and_not1_b32 vcc_lo, exec_lo, s28
	s_cbranch_vccnz .LBB183_508
; %bb.496:
	s_cmp_gt_i32 s0, 14
	s_cbranch_scc0 .LBB183_499
; %bb.497:
	s_cmp_eq_u32 s0, 15
	s_cbranch_scc0 .LBB183_502
; %bb.498:
	global_load_u16 v1, v[4:5], off
	s_mov_b32 s27, -1
	s_mov_b32 s26, 0
	s_wait_loadcnt 0x0
	v_lshlrev_b32_e32 v1, 16, v1
	s_delay_alu instid0(VALU_DEP_1)
	v_cvt_i32_f32_e32 v6, v1
	s_branch .LBB183_503
.LBB183_499:
	s_mov_b32 s28, -1
                                        ; implicit-def: $vgpr6
	s_branch .LBB183_504
.LBB183_500:
	s_and_not1_saveexec_b32 s27, s27
	s_cbranch_execz .LBB183_481
.LBB183_501:
	v_cmp_ne_u16_e32 vcc_lo, 0, v1
	s_and_not1_b32 s28, s28, exec_lo
	s_and_b32 s29, vcc_lo, exec_lo
	s_delay_alu instid0(SALU_CYCLE_1)
	s_or_b32 s28, s28, s29
	s_or_b32 exec_lo, exec_lo, s27
	v_mov_b32_e32 v6, 0
	s_and_saveexec_b32 s27, s28
	s_cbranch_execnz .LBB183_482
	s_branch .LBB183_483
.LBB183_502:
	s_mov_b32 s26, -1
                                        ; implicit-def: $vgpr6
.LBB183_503:
	s_mov_b32 s28, 0
.LBB183_504:
	s_delay_alu instid0(SALU_CYCLE_1)
	s_and_b32 vcc_lo, exec_lo, s28
	s_cbranch_vccz .LBB183_508
; %bb.505:
	s_cmp_eq_u32 s0, 11
	s_cbranch_scc0 .LBB183_507
; %bb.506:
	global_load_u8 v1, v[4:5], off
	s_mov_b32 s26, 0
	s_mov_b32 s27, -1
	s_wait_loadcnt 0x0
	v_cmp_ne_u16_e32 vcc_lo, 0, v1
	v_cndmask_b32_e64 v6, 0, 1, vcc_lo
	s_branch .LBB183_508
.LBB183_507:
	s_mov_b32 s26, -1
                                        ; implicit-def: $vgpr6
.LBB183_508:
	s_branch .LBB183_303
.LBB183_509:
	s_cmp_lt_i32 s0, 5
	s_cbranch_scc1 .LBB183_514
; %bb.510:
	s_cmp_lt_i32 s0, 8
	s_cbranch_scc1 .LBB183_515
; %bb.511:
	;; [unrolled: 3-line block ×3, first 2 shown]
	s_cmp_gt_i32 s0, 9
	s_cbranch_scc0 .LBB183_517
; %bb.513:
	s_wait_loadcnt 0x0
	global_load_b64 v[6:7], v[4:5], off
	s_mov_b32 s27, 0
	s_wait_loadcnt 0x0
	v_cvt_i32_f64_e32 v6, v[6:7]
	s_branch .LBB183_518
.LBB183_514:
	s_mov_b32 s27, -1
                                        ; implicit-def: $vgpr6
	s_branch .LBB183_536
.LBB183_515:
	s_mov_b32 s27, -1
                                        ; implicit-def: $vgpr6
	s_branch .LBB183_524
.LBB183_516:
	s_mov_b32 s27, -1
                                        ; implicit-def: $vgpr6
	s_branch .LBB183_521
.LBB183_517:
	s_mov_b32 s27, -1
                                        ; implicit-def: $vgpr6
.LBB183_518:
	s_delay_alu instid0(SALU_CYCLE_1)
	s_and_not1_b32 vcc_lo, exec_lo, s27
	s_cbranch_vccnz .LBB183_520
; %bb.519:
	global_load_b32 v1, v[4:5], off
	s_wait_loadcnt 0x0
	v_cvt_i32_f32_e32 v6, v1
.LBB183_520:
	s_mov_b32 s27, 0
.LBB183_521:
	s_delay_alu instid0(SALU_CYCLE_1)
	s_and_not1_b32 vcc_lo, exec_lo, s27
	s_cbranch_vccnz .LBB183_523
; %bb.522:
	global_load_b32 v1, v[4:5], off
	s_wait_loadcnt 0x0
	v_cvt_i16_f16_e32 v6, v1
.LBB183_523:
	s_mov_b32 s27, 0
.LBB183_524:
	s_delay_alu instid0(SALU_CYCLE_1)
	s_and_not1_b32 vcc_lo, exec_lo, s27
	s_cbranch_vccnz .LBB183_535
; %bb.525:
	s_cmp_lt_i32 s0, 6
	s_cbranch_scc1 .LBB183_528
; %bb.526:
	s_cmp_gt_i32 s0, 6
	s_cbranch_scc0 .LBB183_529
; %bb.527:
	s_wait_loadcnt 0x0
	global_load_b64 v[6:7], v[4:5], off
	s_mov_b32 s27, 0
	s_wait_loadcnt 0x0
	v_cvt_i32_f64_e32 v6, v[6:7]
	s_branch .LBB183_530
.LBB183_528:
	s_mov_b32 s27, -1
                                        ; implicit-def: $vgpr6
	s_branch .LBB183_533
.LBB183_529:
	s_mov_b32 s27, -1
                                        ; implicit-def: $vgpr6
.LBB183_530:
	s_delay_alu instid0(SALU_CYCLE_1)
	s_and_not1_b32 vcc_lo, exec_lo, s27
	s_cbranch_vccnz .LBB183_532
; %bb.531:
	global_load_b32 v1, v[4:5], off
	s_wait_loadcnt 0x0
	v_cvt_i32_f32_e32 v6, v1
.LBB183_532:
	s_mov_b32 s27, 0
.LBB183_533:
	s_delay_alu instid0(SALU_CYCLE_1)
	s_and_not1_b32 vcc_lo, exec_lo, s27
	s_cbranch_vccnz .LBB183_535
; %bb.534:
	global_load_u16 v1, v[4:5], off
	s_wait_loadcnt 0x0
	v_cvt_i16_f16_e32 v6, v1
.LBB183_535:
	s_mov_b32 s27, 0
.LBB183_536:
	s_delay_alu instid0(SALU_CYCLE_1)
	s_and_not1_b32 vcc_lo, exec_lo, s27
	s_cbranch_vccnz .LBB183_556
; %bb.537:
	s_cmp_lt_i32 s0, 2
	s_cbranch_scc1 .LBB183_541
; %bb.538:
	s_cmp_lt_i32 s0, 3
	s_cbranch_scc1 .LBB183_542
; %bb.539:
	s_cmp_gt_i32 s0, 3
	s_cbranch_scc0 .LBB183_543
; %bb.540:
	s_wait_loadcnt 0x0
	global_load_b64 v[6:7], v[4:5], off
	s_mov_b32 s27, 0
	s_branch .LBB183_544
.LBB183_541:
	s_mov_b32 s27, -1
                                        ; implicit-def: $vgpr6
	s_branch .LBB183_550
.LBB183_542:
	s_mov_b32 s27, -1
                                        ; implicit-def: $vgpr6
	s_branch .LBB183_547
.LBB183_543:
	s_mov_b32 s27, -1
                                        ; implicit-def: $vgpr6
.LBB183_544:
	s_delay_alu instid0(SALU_CYCLE_1)
	s_and_not1_b32 vcc_lo, exec_lo, s27
	s_cbranch_vccnz .LBB183_546
; %bb.545:
	s_wait_loadcnt 0x0
	global_load_b32 v6, v[4:5], off
.LBB183_546:
	s_mov_b32 s27, 0
.LBB183_547:
	s_delay_alu instid0(SALU_CYCLE_1)
	s_and_not1_b32 vcc_lo, exec_lo, s27
	s_cbranch_vccnz .LBB183_549
; %bb.548:
	s_wait_loadcnt 0x0
	global_load_u16 v6, v[4:5], off
.LBB183_549:
	s_mov_b32 s27, 0
.LBB183_550:
	s_delay_alu instid0(SALU_CYCLE_1)
	s_and_not1_b32 vcc_lo, exec_lo, s27
	s_cbranch_vccnz .LBB183_556
; %bb.551:
	s_cmp_gt_i32 s0, 0
	s_mov_b32 s0, 0
	s_cbranch_scc0 .LBB183_553
; %bb.552:
	s_wait_loadcnt 0x0
	global_load_u8 v6, v[4:5], off
	s_branch .LBB183_554
.LBB183_553:
	s_mov_b32 s0, -1
                                        ; implicit-def: $vgpr6
.LBB183_554:
	s_delay_alu instid0(SALU_CYCLE_1)
	s_and_not1_b32 vcc_lo, exec_lo, s0
	s_cbranch_vccnz .LBB183_556
; %bb.555:
	s_wait_loadcnt 0x0
	global_load_u8 v6, v[4:5], off
.LBB183_556:
	s_branch .LBB183_304
.LBB183_557:
	s_mov_b32 s27, 0
	s_mov_b32 s0, s42
.LBB183_558:
                                        ; implicit-def: $vgpr0
.LBB183_559:
	s_and_not1_b32 s28, s42, exec_lo
	s_and_b32 s0, s0, exec_lo
	s_and_not1_b32 s29, s43, exec_lo
	s_and_b32 s26, s26, exec_lo
	s_or_b32 s46, s28, s0
	s_or_b32 s45, s29, s26
	s_or_not1_b32 s0, s27, exec_lo
.LBB183_560:
	s_wait_xcnt 0x0
	s_or_b32 exec_lo, exec_lo, s47
	s_mov_b32 s27, 0
	s_mov_b32 s26, 0
	;; [unrolled: 1-line block ×3, first 2 shown]
                                        ; implicit-def: $vgpr4_vgpr5
                                        ; implicit-def: $vgpr2
                                        ; implicit-def: $vgpr6
	s_and_saveexec_b32 s47, s0
	s_cbranch_execz .LBB183_945
; %bb.561:
	s_mov_b32 s29, -1
	s_mov_b32 s0, s45
	s_mov_b32 s30, s46
	s_mov_b32 s48, exec_lo
	v_cmpx_gt_i32_e64 s39, v0
	s_cbranch_execz .LBB183_846
; %bb.562:
	s_and_not1_b32 vcc_lo, exec_lo, s35
	s_cbranch_vccnz .LBB183_568
; %bb.563:
	s_and_not1_b32 vcc_lo, exec_lo, s41
	s_cbranch_vccnz .LBB183_569
; %bb.564:
	s_add_co_i32 s0, s40, 1
	s_cmp_eq_u32 s33, 2
	s_cbranch_scc1 .LBB183_570
; %bb.565:
	v_dual_mov_b32 v2, 0 :: v_dual_mov_b32 v4, 0
	v_mov_b32_e32 v1, v0
	s_and_b32 s26, s0, 28
	s_mov_b64 s[28:29], s[2:3]
	s_mov_b64 s[30:31], s[24:25]
.LBB183_566:                            ; =>This Inner Loop Header: Depth=1
	s_clause 0x1
	s_load_b256 s[52:59], s[28:29], 0x4
	s_load_b128 s[68:71], s[28:29], 0x24
	s_load_b256 s[60:67], s[30:31], 0x0
	s_add_co_i32 s27, s27, 4
	s_wait_xcnt 0x0
	s_add_nc_u64 s[28:29], s[28:29], 48
	s_cmp_eq_u32 s26, s27
	s_add_nc_u64 s[30:31], s[30:31], 32
	s_wait_kmcnt 0x0
	v_mul_hi_u32 v3, s53, v1
	s_delay_alu instid0(VALU_DEP_1) | instskip(NEXT) | instid1(VALU_DEP_1)
	v_add_nc_u32_e32 v3, v1, v3
	v_lshrrev_b32_e32 v3, s54, v3
	s_delay_alu instid0(VALU_DEP_1) | instskip(NEXT) | instid1(VALU_DEP_1)
	v_mul_hi_u32 v5, s56, v3
	v_add_nc_u32_e32 v5, v3, v5
	s_delay_alu instid0(VALU_DEP_1) | instskip(SKIP_1) | instid1(VALU_DEP_1)
	v_lshrrev_b32_e32 v5, s57, v5
	s_wait_loadcnt 0x0
	v_mul_hi_u32 v6, s59, v5
	s_delay_alu instid0(VALU_DEP_1) | instskip(SKIP_1) | instid1(VALU_DEP_1)
	v_add_nc_u32_e32 v6, v5, v6
	v_mul_lo_u32 v7, v3, s52
	v_sub_nc_u32_e32 v1, v1, v7
	v_mul_lo_u32 v7, v5, s55
	s_delay_alu instid0(VALU_DEP_4) | instskip(NEXT) | instid1(VALU_DEP_3)
	v_lshrrev_b32_e32 v6, s68, v6
	v_mad_u32 v4, v1, s61, v4
	v_mad_u32 v1, v1, s60, v2
	s_delay_alu instid0(VALU_DEP_4) | instskip(NEXT) | instid1(VALU_DEP_4)
	v_sub_nc_u32_e32 v2, v3, v7
	v_mul_hi_u32 v8, s70, v6
	v_mul_lo_u32 v3, v6, s58
	s_delay_alu instid0(VALU_DEP_3) | instskip(SKIP_1) | instid1(VALU_DEP_3)
	v_mad_u32 v4, v2, s63, v4
	v_mad_u32 v2, v2, s62, v1
	v_dual_add_nc_u32 v7, v6, v8 :: v_dual_sub_nc_u32 v3, v5, v3
	s_delay_alu instid0(VALU_DEP_1) | instskip(NEXT) | instid1(VALU_DEP_2)
	v_lshrrev_b32_e32 v1, s71, v7
	v_mad_u32 v4, v3, s65, v4
	s_delay_alu instid0(VALU_DEP_4) | instskip(NEXT) | instid1(VALU_DEP_3)
	v_mad_u32 v2, v3, s64, v2
	v_mul_lo_u32 v5, v1, s69
	s_delay_alu instid0(VALU_DEP_1) | instskip(NEXT) | instid1(VALU_DEP_1)
	v_sub_nc_u32_e32 v3, v6, v5
	v_mad_u32 v4, v3, s67, v4
	s_delay_alu instid0(VALU_DEP_4)
	v_mad_u32 v2, v3, s66, v2
	s_cbranch_scc0 .LBB183_566
; %bb.567:
	s_delay_alu instid0(VALU_DEP_2)
	v_mov_b32_e32 v3, v4
	s_branch .LBB183_571
.LBB183_568:
	s_mov_b32 s0, -1
                                        ; implicit-def: $vgpr4
                                        ; implicit-def: $vgpr2
	s_branch .LBB183_576
.LBB183_569:
	v_dual_mov_b32 v4, 0 :: v_dual_mov_b32 v2, 0
	s_branch .LBB183_575
.LBB183_570:
	v_mov_b64_e32 v[2:3], 0
	v_mov_b32_e32 v1, v0
                                        ; implicit-def: $vgpr4
.LBB183_571:
	s_and_b32 s0, s0, 3
	s_mov_b32 s27, 0
	s_cmp_eq_u32 s0, 0
	s_cbranch_scc1 .LBB183_575
; %bb.572:
	s_lshl_b32 s28, s26, 3
	s_mov_b32 s29, s27
	s_mul_u64 s[30:31], s[26:27], 12
	s_add_nc_u64 s[28:29], s[2:3], s[28:29]
	s_delay_alu instid0(SALU_CYCLE_1)
	s_add_nc_u64 s[26:27], s[28:29], 0xc4
	s_add_nc_u64 s[28:29], s[2:3], s[30:31]
.LBB183_573:                            ; =>This Inner Loop Header: Depth=1
	s_load_b96 s[52:54], s[28:29], 0x4
	s_load_b64 s[30:31], s[26:27], 0x0
	s_add_co_i32 s0, s0, -1
	s_wait_xcnt 0x0
	s_add_nc_u64 s[28:29], s[28:29], 12
	s_cmp_lg_u32 s0, 0
	s_add_nc_u64 s[26:27], s[26:27], 8
	s_wait_kmcnt 0x0
	v_mul_hi_u32 v4, s53, v1
	s_delay_alu instid0(VALU_DEP_1) | instskip(NEXT) | instid1(VALU_DEP_1)
	v_add_nc_u32_e32 v4, v1, v4
	v_lshrrev_b32_e32 v4, s54, v4
	s_delay_alu instid0(VALU_DEP_1) | instskip(NEXT) | instid1(VALU_DEP_1)
	v_mul_lo_u32 v5, v4, s52
	v_sub_nc_u32_e32 v1, v1, v5
	s_delay_alu instid0(VALU_DEP_1)
	v_mad_u32 v3, v1, s31, v3
	v_mad_u32 v2, v1, s30, v2
	v_mov_b32_e32 v1, v4
	s_cbranch_scc1 .LBB183_573
; %bb.574:
	s_delay_alu instid0(VALU_DEP_3)
	v_mov_b32_e32 v4, v3
.LBB183_575:
	s_mov_b32 s0, 0
.LBB183_576:
	s_delay_alu instid0(SALU_CYCLE_1)
	s_and_not1_b32 vcc_lo, exec_lo, s0
	s_cbranch_vccnz .LBB183_579
; %bb.577:
	v_mov_b32_e32 v1, 0
	s_and_not1_b32 vcc_lo, exec_lo, s38
	s_delay_alu instid0(VALU_DEP_1) | instskip(NEXT) | instid1(VALU_DEP_1)
	v_mul_u64_e32 v[2:3], s[20:21], v[0:1]
	v_add_nc_u32_e32 v2, v0, v3
	s_wait_loadcnt 0x0
	s_delay_alu instid0(VALU_DEP_1) | instskip(NEXT) | instid1(VALU_DEP_1)
	v_lshrrev_b32_e32 v6, s10, v2
	v_mul_lo_u32 v2, v6, s8
	s_delay_alu instid0(VALU_DEP_1) | instskip(NEXT) | instid1(VALU_DEP_1)
	v_sub_nc_u32_e32 v2, v0, v2
	v_mul_lo_u32 v4, v2, s13
	v_mul_lo_u32 v2, v2, s12
	s_cbranch_vccnz .LBB183_579
; %bb.578:
	v_mov_b32_e32 v7, v1
	s_delay_alu instid0(VALU_DEP_1) | instskip(NEXT) | instid1(VALU_DEP_1)
	v_mul_u64_e32 v[8:9], s[22:23], v[6:7]
	v_add_nc_u32_e32 v1, v6, v9
	s_delay_alu instid0(VALU_DEP_1) | instskip(NEXT) | instid1(VALU_DEP_1)
	v_lshrrev_b32_e32 v1, s1, v1
	v_mul_lo_u32 v1, v1, s11
	s_delay_alu instid0(VALU_DEP_1) | instskip(NEXT) | instid1(VALU_DEP_1)
	v_sub_nc_u32_e32 v1, v6, v1
	v_mad_u32 v2, v1, s14, v2
	v_mad_u32 v4, v1, s15, v4
.LBB183_579:
	v_mov_b32_e32 v5, 0
	s_and_b32 s0, 0xffff, s37
	s_delay_alu instid0(SALU_CYCLE_1) | instskip(NEXT) | instid1(VALU_DEP_1)
	s_cmp_lt_i32 s0, 11
	v_add_nc_u64_e32 v[4:5], s[6:7], v[4:5]
	s_cbranch_scc1 .LBB183_586
; %bb.580:
	s_cmp_gt_i32 s0, 25
	s_cbranch_scc0 .LBB183_587
; %bb.581:
	s_cmp_gt_i32 s0, 28
	s_cbranch_scc0 .LBB183_588
	;; [unrolled: 3-line block ×4, first 2 shown]
; %bb.584:
	s_cmp_eq_u32 s0, 46
	s_mov_b32 s28, 0
	s_cbranch_scc0 .LBB183_595
; %bb.585:
	global_load_b32 v1, v[4:5], off
	s_mov_b32 s27, -1
	s_mov_b32 s26, 0
	s_wait_loadcnt 0x0
	v_lshlrev_b32_e32 v1, 16, v1
	s_delay_alu instid0(VALU_DEP_1)
	v_cvt_i32_f32_e32 v6, v1
	s_branch .LBB183_597
.LBB183_586:
	s_mov_b32 s28, -1
	s_mov_b32 s27, 0
	s_mov_b32 s26, s45
                                        ; implicit-def: $vgpr6
	s_branch .LBB183_658
.LBB183_587:
	s_mov_b32 s28, -1
	s_mov_b32 s27, 0
	s_mov_b32 s26, s45
                                        ; implicit-def: $vgpr6
	s_branch .LBB183_624
.LBB183_588:
	s_mov_b32 s28, -1
	s_mov_b32 s27, 0
	s_mov_b32 s26, s45
                                        ; implicit-def: $vgpr6
	s_branch .LBB183_607
.LBB183_589:
	s_mov_b32 s28, -1
	s_mov_b32 s27, 0
	s_mov_b32 s26, s45
                                        ; implicit-def: $vgpr6
	s_branch .LBB183_602
.LBB183_590:
	s_and_not1_saveexec_b32 s31, s31
	s_cbranch_execz .LBB183_361
.LBB183_591:
	v_add_f32_e64 v5, 0x46000000, |v4|
	s_and_not1_b32 s30, s30, exec_lo
	s_delay_alu instid0(VALU_DEP_1) | instskip(NEXT) | instid1(VALU_DEP_1)
	v_and_b32_e32 v5, 0xff, v5
	v_cmp_ne_u32_e32 vcc_lo, 0, v5
	s_and_b32 s45, vcc_lo, exec_lo
	s_delay_alu instid0(SALU_CYCLE_1)
	s_or_b32 s30, s30, s45
	s_or_b32 exec_lo, exec_lo, s31
	v_mov_b32_e32 v6, 0
	s_and_saveexec_b32 s31, s30
	s_cbranch_execnz .LBB183_362
	s_branch .LBB183_363
.LBB183_592:
	s_mov_b32 s28, -1
	s_mov_b32 s27, 0
	s_mov_b32 s26, s45
	s_branch .LBB183_596
.LBB183_593:
	s_and_not1_saveexec_b32 s31, s31
	s_cbranch_execz .LBB183_374
.LBB183_594:
	v_add_f32_e64 v5, 0x42800000, |v4|
	s_and_not1_b32 s30, s30, exec_lo
	s_delay_alu instid0(VALU_DEP_1) | instskip(NEXT) | instid1(VALU_DEP_1)
	v_and_b32_e32 v5, 0xff, v5
	v_cmp_ne_u32_e32 vcc_lo, 0, v5
	s_and_b32 s45, vcc_lo, exec_lo
	s_delay_alu instid0(SALU_CYCLE_1)
	s_or_b32 s30, s30, s45
	s_or_b32 exec_lo, exec_lo, s31
	v_mov_b32_e32 v6, 0
	s_and_saveexec_b32 s31, s30
	s_cbranch_execnz .LBB183_375
	s_branch .LBB183_376
.LBB183_595:
	s_mov_b32 s26, -1
	s_mov_b32 s27, 0
.LBB183_596:
                                        ; implicit-def: $vgpr6
.LBB183_597:
	s_and_b32 vcc_lo, exec_lo, s28
	s_cbranch_vccz .LBB183_601
; %bb.598:
	s_cmp_eq_u32 s0, 44
	s_cbranch_scc0 .LBB183_600
; %bb.599:
	global_load_u8 v1, v[4:5], off
	s_mov_b32 s26, 0
	s_mov_b32 s27, -1
	s_wait_loadcnt 0x0
	v_lshlrev_b32_e32 v3, 23, v1
	v_cmp_ne_u32_e32 vcc_lo, 0, v1
	s_delay_alu instid0(VALU_DEP_2) | instskip(NEXT) | instid1(VALU_DEP_1)
	v_cvt_i32_f32_e32 v3, v3
	v_cndmask_b32_e32 v6, 0, v3, vcc_lo
	s_branch .LBB183_601
.LBB183_600:
	s_mov_b32 s26, -1
                                        ; implicit-def: $vgpr6
.LBB183_601:
	s_mov_b32 s28, 0
.LBB183_602:
	s_delay_alu instid0(SALU_CYCLE_1)
	s_and_b32 vcc_lo, exec_lo, s28
	s_cbranch_vccz .LBB183_606
; %bb.603:
	s_cmp_eq_u32 s0, 29
	s_cbranch_scc0 .LBB183_605
; %bb.604:
	s_wait_loadcnt 0x0
	global_load_b64 v[6:7], v[4:5], off
	s_mov_b32 s27, -1
	s_mov_b32 s26, 0
	s_branch .LBB183_606
.LBB183_605:
	s_mov_b32 s26, -1
                                        ; implicit-def: $vgpr6
.LBB183_606:
	s_mov_b32 s28, 0
.LBB183_607:
	s_delay_alu instid0(SALU_CYCLE_1)
	s_and_b32 vcc_lo, exec_lo, s28
	s_cbranch_vccz .LBB183_623
; %bb.608:
	s_cmp_lt_i32 s0, 27
	s_cbranch_scc1 .LBB183_611
; %bb.609:
	s_cmp_gt_i32 s0, 27
	s_cbranch_scc0 .LBB183_612
; %bb.610:
	s_wait_loadcnt 0x0
	global_load_b32 v6, v[4:5], off
	s_mov_b32 s27, 0
	s_branch .LBB183_613
.LBB183_611:
	s_mov_b32 s27, -1
                                        ; implicit-def: $vgpr6
	s_branch .LBB183_616
.LBB183_612:
	s_mov_b32 s27, -1
                                        ; implicit-def: $vgpr6
.LBB183_613:
	s_delay_alu instid0(SALU_CYCLE_1)
	s_and_not1_b32 vcc_lo, exec_lo, s27
	s_cbranch_vccnz .LBB183_615
; %bb.614:
	s_wait_loadcnt 0x0
	global_load_u16 v6, v[4:5], off
.LBB183_615:
	s_mov_b32 s27, 0
.LBB183_616:
	s_delay_alu instid0(SALU_CYCLE_1)
	s_and_not1_b32 vcc_lo, exec_lo, s27
	s_cbranch_vccnz .LBB183_622
; %bb.617:
	global_load_u8 v1, v[4:5], off
	s_mov_b32 s28, 0
	s_mov_b32 s27, exec_lo
	s_wait_loadcnt 0x0
	v_cmpx_lt_i16_e32 0x7f, v1
	s_xor_b32 s27, exec_lo, s27
	s_cbranch_execz .LBB183_634
; %bb.618:
	v_cmp_ne_u16_e32 vcc_lo, 0x80, v1
	s_and_b32 s28, vcc_lo, exec_lo
	s_and_not1_saveexec_b32 s27, s27
	s_cbranch_execnz .LBB183_635
.LBB183_619:
	s_or_b32 exec_lo, exec_lo, s27
	v_mov_b32_e32 v6, 0
	s_and_saveexec_b32 s27, s28
	s_cbranch_execz .LBB183_621
.LBB183_620:
	v_and_b32_e32 v3, 0xffff, v1
	s_delay_alu instid0(VALU_DEP_1) | instskip(SKIP_1) | instid1(VALU_DEP_2)
	v_dual_lshlrev_b32 v1, 24, v1 :: v_dual_bitop2_b32 v6, 7, v3 bitop3:0x40
	v_bfe_u32 v9, v3, 3, 4
	v_and_b32_e32 v1, 0x80000000, v1
	s_delay_alu instid0(VALU_DEP_3) | instskip(NEXT) | instid1(VALU_DEP_3)
	v_clz_i32_u32_e32 v7, v6
	v_cmp_eq_u32_e32 vcc_lo, 0, v9
	s_delay_alu instid0(VALU_DEP_2) | instskip(NEXT) | instid1(VALU_DEP_1)
	v_min_u32_e32 v7, 32, v7
	v_subrev_nc_u32_e32 v8, 28, v7
	v_sub_nc_u32_e32 v7, 29, v7
	s_delay_alu instid0(VALU_DEP_2) | instskip(NEXT) | instid1(VALU_DEP_2)
	v_lshlrev_b32_e32 v3, v8, v3
	v_cndmask_b32_e32 v7, v9, v7, vcc_lo
	s_delay_alu instid0(VALU_DEP_2) | instskip(NEXT) | instid1(VALU_DEP_1)
	v_and_b32_e32 v3, 7, v3
	v_cndmask_b32_e32 v3, v6, v3, vcc_lo
	s_delay_alu instid0(VALU_DEP_3) | instskip(NEXT) | instid1(VALU_DEP_2)
	v_lshl_add_u32 v6, v7, 23, 0x3b800000
	v_lshlrev_b32_e32 v3, 20, v3
	s_delay_alu instid0(VALU_DEP_1) | instskip(NEXT) | instid1(VALU_DEP_1)
	v_or3_b32 v1, v1, v6, v3
	v_cvt_i32_f32_e32 v6, v1
.LBB183_621:
	s_or_b32 exec_lo, exec_lo, s27
.LBB183_622:
	s_mov_b32 s27, -1
.LBB183_623:
	s_mov_b32 s28, 0
.LBB183_624:
	s_delay_alu instid0(SALU_CYCLE_1)
	s_and_b32 vcc_lo, exec_lo, s28
	s_cbranch_vccz .LBB183_657
; %bb.625:
	s_cmp_gt_i32 s0, 22
	s_cbranch_scc0 .LBB183_633
; %bb.626:
	s_cmp_lt_i32 s0, 24
	s_cbranch_scc1 .LBB183_636
; %bb.627:
	s_cmp_gt_i32 s0, 24
	s_cbranch_scc0 .LBB183_637
; %bb.628:
	global_load_u8 v1, v[4:5], off
	s_mov_b32 s28, 0
	s_mov_b32 s27, exec_lo
	s_wait_loadcnt 0x0
	v_cmpx_lt_i16_e32 0x7f, v1
	s_xor_b32 s27, exec_lo, s27
	s_cbranch_execz .LBB183_649
; %bb.629:
	v_cmp_ne_u16_e32 vcc_lo, 0x80, v1
	s_and_b32 s28, vcc_lo, exec_lo
	s_and_not1_saveexec_b32 s27, s27
	s_cbranch_execnz .LBB183_650
.LBB183_630:
	s_or_b32 exec_lo, exec_lo, s27
	v_mov_b32_e32 v6, 0
	s_and_saveexec_b32 s27, s28
	s_cbranch_execz .LBB183_632
.LBB183_631:
	v_and_b32_e32 v3, 0xffff, v1
	s_delay_alu instid0(VALU_DEP_1) | instskip(SKIP_1) | instid1(VALU_DEP_2)
	v_dual_lshlrev_b32 v1, 24, v1 :: v_dual_bitop2_b32 v6, 3, v3 bitop3:0x40
	v_bfe_u32 v9, v3, 2, 5
	v_and_b32_e32 v1, 0x80000000, v1
	s_delay_alu instid0(VALU_DEP_3) | instskip(NEXT) | instid1(VALU_DEP_3)
	v_clz_i32_u32_e32 v7, v6
	v_cmp_eq_u32_e32 vcc_lo, 0, v9
	s_delay_alu instid0(VALU_DEP_2) | instskip(NEXT) | instid1(VALU_DEP_1)
	v_min_u32_e32 v7, 32, v7
	v_subrev_nc_u32_e32 v8, 29, v7
	v_sub_nc_u32_e32 v7, 30, v7
	s_delay_alu instid0(VALU_DEP_2) | instskip(NEXT) | instid1(VALU_DEP_2)
	v_lshlrev_b32_e32 v3, v8, v3
	v_cndmask_b32_e32 v7, v9, v7, vcc_lo
	s_delay_alu instid0(VALU_DEP_2) | instskip(NEXT) | instid1(VALU_DEP_1)
	v_and_b32_e32 v3, 3, v3
	v_cndmask_b32_e32 v3, v6, v3, vcc_lo
	s_delay_alu instid0(VALU_DEP_3) | instskip(NEXT) | instid1(VALU_DEP_2)
	v_lshl_add_u32 v6, v7, 23, 0x37800000
	v_lshlrev_b32_e32 v3, 21, v3
	s_delay_alu instid0(VALU_DEP_1) | instskip(NEXT) | instid1(VALU_DEP_1)
	v_or3_b32 v1, v1, v6, v3
	v_cvt_i32_f32_e32 v6, v1
.LBB183_632:
	s_or_b32 exec_lo, exec_lo, s27
	s_mov_b32 s27, 0
	s_branch .LBB183_638
.LBB183_633:
	s_mov_b32 s28, -1
                                        ; implicit-def: $vgpr6
	s_branch .LBB183_644
.LBB183_634:
	s_and_not1_saveexec_b32 s27, s27
	s_cbranch_execz .LBB183_619
.LBB183_635:
	v_cmp_ne_u16_e32 vcc_lo, 0, v1
	s_and_not1_b32 s28, s28, exec_lo
	s_and_b32 s29, vcc_lo, exec_lo
	s_delay_alu instid0(SALU_CYCLE_1)
	s_or_b32 s28, s28, s29
	s_or_b32 exec_lo, exec_lo, s27
	v_mov_b32_e32 v6, 0
	s_and_saveexec_b32 s27, s28
	s_cbranch_execnz .LBB183_620
	s_branch .LBB183_621
.LBB183_636:
	s_mov_b32 s27, -1
                                        ; implicit-def: $vgpr6
	s_branch .LBB183_641
.LBB183_637:
	s_mov_b32 s27, -1
                                        ; implicit-def: $vgpr6
.LBB183_638:
	s_delay_alu instid0(SALU_CYCLE_1)
	s_and_b32 vcc_lo, exec_lo, s27
	s_cbranch_vccz .LBB183_640
; %bb.639:
	global_load_u8 v1, v[4:5], off
	s_wait_loadcnt 0x0
	v_lshlrev_b32_e32 v1, 24, v1
	s_delay_alu instid0(VALU_DEP_1) | instskip(NEXT) | instid1(VALU_DEP_1)
	v_and_b32_e32 v3, 0x7f000000, v1
	v_clz_i32_u32_e32 v6, v3
	v_cmp_ne_u32_e32 vcc_lo, 0, v3
	v_add_nc_u32_e32 v8, 0x1000000, v3
	s_delay_alu instid0(VALU_DEP_3) | instskip(NEXT) | instid1(VALU_DEP_1)
	v_min_u32_e32 v6, 32, v6
	v_sub_nc_u32_e64 v6, v6, 4 clamp
	s_delay_alu instid0(VALU_DEP_1) | instskip(NEXT) | instid1(VALU_DEP_1)
	v_dual_lshlrev_b32 v7, v6, v3 :: v_dual_lshlrev_b32 v6, 23, v6
	v_lshrrev_b32_e32 v7, 4, v7
	s_delay_alu instid0(VALU_DEP_1) | instskip(NEXT) | instid1(VALU_DEP_1)
	v_dual_sub_nc_u32 v6, v7, v6 :: v_dual_ashrrev_i32 v7, 8, v8
	v_add_nc_u32_e32 v6, 0x3c000000, v6
	s_delay_alu instid0(VALU_DEP_1) | instskip(NEXT) | instid1(VALU_DEP_1)
	v_and_or_b32 v6, 0x7f800000, v7, v6
	v_cndmask_b32_e32 v3, 0, v6, vcc_lo
	s_delay_alu instid0(VALU_DEP_1) | instskip(NEXT) | instid1(VALU_DEP_1)
	v_and_or_b32 v1, 0x80000000, v1, v3
	v_cvt_i32_f32_e32 v6, v1
.LBB183_640:
	s_mov_b32 s27, 0
.LBB183_641:
	s_delay_alu instid0(SALU_CYCLE_1)
	s_and_not1_b32 vcc_lo, exec_lo, s27
	s_cbranch_vccnz .LBB183_643
; %bb.642:
	global_load_u8 v1, v[4:5], off
	s_wait_loadcnt 0x0
	v_lshlrev_b32_e32 v3, 25, v1
	v_lshlrev_b16 v1, 8, v1
	s_delay_alu instid0(VALU_DEP_1) | instskip(SKIP_1) | instid1(VALU_DEP_2)
	v_and_or_b32 v7, 0x7f00, v1, 0.5
	v_bfe_i32 v1, v1, 0, 16
	v_add_f32_e32 v7, -0.5, v7
	v_lshrrev_b32_e32 v6, 4, v3
	v_cmp_gt_u32_e32 vcc_lo, 0x8000000, v3
	s_delay_alu instid0(VALU_DEP_2) | instskip(NEXT) | instid1(VALU_DEP_1)
	v_or_b32_e32 v6, 0x70000000, v6
	v_mul_f32_e32 v6, 0x7800000, v6
	s_delay_alu instid0(VALU_DEP_1) | instskip(NEXT) | instid1(VALU_DEP_1)
	v_cndmask_b32_e32 v3, v6, v7, vcc_lo
	v_and_or_b32 v1, 0x80000000, v1, v3
	s_delay_alu instid0(VALU_DEP_1)
	v_cvt_i32_f32_e32 v6, v1
.LBB183_643:
	s_mov_b32 s28, 0
	s_mov_b32 s27, -1
.LBB183_644:
	s_and_not1_b32 vcc_lo, exec_lo, s28
	s_cbranch_vccnz .LBB183_657
; %bb.645:
	s_cmp_gt_i32 s0, 14
	s_cbranch_scc0 .LBB183_648
; %bb.646:
	s_cmp_eq_u32 s0, 15
	s_cbranch_scc0 .LBB183_651
; %bb.647:
	global_load_u16 v1, v[4:5], off
	s_mov_b32 s27, -1
	s_mov_b32 s26, 0
	s_wait_loadcnt 0x0
	v_lshlrev_b32_e32 v1, 16, v1
	s_delay_alu instid0(VALU_DEP_1)
	v_cvt_i32_f32_e32 v6, v1
	s_branch .LBB183_652
.LBB183_648:
	s_mov_b32 s28, -1
                                        ; implicit-def: $vgpr6
	s_branch .LBB183_653
.LBB183_649:
	s_and_not1_saveexec_b32 s27, s27
	s_cbranch_execz .LBB183_630
.LBB183_650:
	v_cmp_ne_u16_e32 vcc_lo, 0, v1
	s_and_not1_b32 s28, s28, exec_lo
	s_and_b32 s29, vcc_lo, exec_lo
	s_delay_alu instid0(SALU_CYCLE_1)
	s_or_b32 s28, s28, s29
	s_or_b32 exec_lo, exec_lo, s27
	v_mov_b32_e32 v6, 0
	s_and_saveexec_b32 s27, s28
	s_cbranch_execnz .LBB183_631
	s_branch .LBB183_632
.LBB183_651:
	s_mov_b32 s26, -1
                                        ; implicit-def: $vgpr6
.LBB183_652:
	s_mov_b32 s28, 0
.LBB183_653:
	s_delay_alu instid0(SALU_CYCLE_1)
	s_and_b32 vcc_lo, exec_lo, s28
	s_cbranch_vccz .LBB183_657
; %bb.654:
	s_cmp_eq_u32 s0, 11
	s_cbranch_scc0 .LBB183_656
; %bb.655:
	global_load_u8 v1, v[4:5], off
	s_mov_b32 s26, 0
	s_mov_b32 s27, -1
	s_wait_loadcnt 0x0
	v_cmp_ne_u16_e32 vcc_lo, 0, v1
	v_cndmask_b32_e64 v6, 0, 1, vcc_lo
	s_branch .LBB183_657
.LBB183_656:
	s_mov_b32 s26, -1
                                        ; implicit-def: $vgpr6
.LBB183_657:
	s_mov_b32 s28, 0
.LBB183_658:
	s_delay_alu instid0(SALU_CYCLE_1)
	s_and_b32 vcc_lo, exec_lo, s28
	s_cbranch_vccz .LBB183_707
; %bb.659:
	s_cmp_lt_i32 s0, 5
	s_cbranch_scc1 .LBB183_664
; %bb.660:
	s_cmp_lt_i32 s0, 8
	s_cbranch_scc1 .LBB183_665
	;; [unrolled: 3-line block ×3, first 2 shown]
; %bb.662:
	s_cmp_gt_i32 s0, 9
	s_cbranch_scc0 .LBB183_667
; %bb.663:
	s_wait_loadcnt 0x0
	global_load_b64 v[6:7], v[4:5], off
	s_mov_b32 s27, 0
	s_wait_loadcnt 0x0
	v_cvt_i32_f64_e32 v6, v[6:7]
	s_branch .LBB183_668
.LBB183_664:
	s_mov_b32 s27, -1
                                        ; implicit-def: $vgpr6
	s_branch .LBB183_686
.LBB183_665:
	s_mov_b32 s27, -1
                                        ; implicit-def: $vgpr6
	s_branch .LBB183_674
.LBB183_666:
	s_mov_b32 s27, -1
                                        ; implicit-def: $vgpr6
	s_branch .LBB183_671
.LBB183_667:
	s_mov_b32 s27, -1
                                        ; implicit-def: $vgpr6
.LBB183_668:
	s_delay_alu instid0(SALU_CYCLE_1)
	s_and_not1_b32 vcc_lo, exec_lo, s27
	s_cbranch_vccnz .LBB183_670
; %bb.669:
	global_load_b32 v1, v[4:5], off
	s_wait_loadcnt 0x0
	v_cvt_i32_f32_e32 v6, v1
.LBB183_670:
	s_mov_b32 s27, 0
.LBB183_671:
	s_delay_alu instid0(SALU_CYCLE_1)
	s_and_not1_b32 vcc_lo, exec_lo, s27
	s_cbranch_vccnz .LBB183_673
; %bb.672:
	global_load_b32 v1, v[4:5], off
	s_wait_loadcnt 0x0
	v_cvt_i16_f16_e32 v6, v1
.LBB183_673:
	s_mov_b32 s27, 0
.LBB183_674:
	s_delay_alu instid0(SALU_CYCLE_1)
	s_and_not1_b32 vcc_lo, exec_lo, s27
	s_cbranch_vccnz .LBB183_685
; %bb.675:
	s_cmp_lt_i32 s0, 6
	s_cbranch_scc1 .LBB183_678
; %bb.676:
	s_cmp_gt_i32 s0, 6
	s_cbranch_scc0 .LBB183_679
; %bb.677:
	s_wait_loadcnt 0x0
	global_load_b64 v[6:7], v[4:5], off
	s_mov_b32 s27, 0
	s_wait_loadcnt 0x0
	v_cvt_i32_f64_e32 v6, v[6:7]
	s_branch .LBB183_680
.LBB183_678:
	s_mov_b32 s27, -1
                                        ; implicit-def: $vgpr6
	s_branch .LBB183_683
.LBB183_679:
	s_mov_b32 s27, -1
                                        ; implicit-def: $vgpr6
.LBB183_680:
	s_delay_alu instid0(SALU_CYCLE_1)
	s_and_not1_b32 vcc_lo, exec_lo, s27
	s_cbranch_vccnz .LBB183_682
; %bb.681:
	global_load_b32 v1, v[4:5], off
	s_wait_loadcnt 0x0
	v_cvt_i32_f32_e32 v6, v1
.LBB183_682:
	s_mov_b32 s27, 0
.LBB183_683:
	s_delay_alu instid0(SALU_CYCLE_1)
	s_and_not1_b32 vcc_lo, exec_lo, s27
	s_cbranch_vccnz .LBB183_685
; %bb.684:
	global_load_u16 v1, v[4:5], off
	s_wait_loadcnt 0x0
	v_cvt_i16_f16_e32 v6, v1
.LBB183_685:
	s_mov_b32 s27, 0
.LBB183_686:
	s_delay_alu instid0(SALU_CYCLE_1)
	s_and_not1_b32 vcc_lo, exec_lo, s27
	s_cbranch_vccnz .LBB183_706
; %bb.687:
	s_cmp_lt_i32 s0, 2
	s_cbranch_scc1 .LBB183_691
; %bb.688:
	s_cmp_lt_i32 s0, 3
	s_cbranch_scc1 .LBB183_692
; %bb.689:
	s_cmp_gt_i32 s0, 3
	s_cbranch_scc0 .LBB183_693
; %bb.690:
	s_wait_loadcnt 0x0
	global_load_b64 v[6:7], v[4:5], off
	s_mov_b32 s27, 0
	s_branch .LBB183_694
.LBB183_691:
	s_mov_b32 s27, -1
                                        ; implicit-def: $vgpr6
	s_branch .LBB183_700
.LBB183_692:
	s_mov_b32 s27, -1
                                        ; implicit-def: $vgpr6
	s_branch .LBB183_697
.LBB183_693:
	s_mov_b32 s27, -1
                                        ; implicit-def: $vgpr6
.LBB183_694:
	s_delay_alu instid0(SALU_CYCLE_1)
	s_and_not1_b32 vcc_lo, exec_lo, s27
	s_cbranch_vccnz .LBB183_696
; %bb.695:
	s_wait_loadcnt 0x0
	global_load_b32 v6, v[4:5], off
.LBB183_696:
	s_mov_b32 s27, 0
.LBB183_697:
	s_delay_alu instid0(SALU_CYCLE_1)
	s_and_not1_b32 vcc_lo, exec_lo, s27
	s_cbranch_vccnz .LBB183_699
; %bb.698:
	s_wait_loadcnt 0x0
	global_load_u16 v6, v[4:5], off
.LBB183_699:
	s_mov_b32 s27, 0
.LBB183_700:
	s_delay_alu instid0(SALU_CYCLE_1)
	s_and_not1_b32 vcc_lo, exec_lo, s27
	s_cbranch_vccnz .LBB183_706
; %bb.701:
	s_cmp_gt_i32 s0, 0
	s_mov_b32 s0, 0
	s_cbranch_scc0 .LBB183_703
; %bb.702:
	s_wait_loadcnt 0x0
	global_load_u8 v6, v[4:5], off
	s_branch .LBB183_704
.LBB183_703:
	s_mov_b32 s0, -1
                                        ; implicit-def: $vgpr6
.LBB183_704:
	s_delay_alu instid0(SALU_CYCLE_1)
	s_and_not1_b32 vcc_lo, exec_lo, s0
	s_cbranch_vccnz .LBB183_706
; %bb.705:
	s_wait_loadcnt 0x0
	global_load_u8 v6, v[4:5], off
.LBB183_706:
	s_mov_b32 s27, -1
.LBB183_707:
	s_delay_alu instid0(SALU_CYCLE_1)
	s_and_not1_b32 vcc_lo, exec_lo, s27
	s_cbranch_vccnz .LBB183_711
; %bb.708:
	s_cmp_lt_i32 s16, 1
	s_mov_b32 s0, 0
	s_cbranch_scc1 .LBB183_712
; %bb.709:
	s_cmp_eq_u32 s16, 1
	s_cbranch_scc0 .LBB183_713
; %bb.710:
	s_wait_loadcnt 0x0
	s_delay_alu instid0(VALU_DEP_1)
	v_bfe_i32 v1, v6, 0, 8
	s_bfe_i32 s27, s17, 0x80000
	s_delay_alu instid0(VALU_DEP_1) | instid1(SALU_CYCLE_1)
	v_min_i16 v1, v1, s27
	s_mov_b32 s27, 0
	s_branch .LBB183_714
.LBB183_711:
	s_mov_b32 s27, 0
	s_mov_b32 s0, s46
	s_branch .LBB183_844
.LBB183_712:
	s_mov_b32 s28, -1
	s_mov_b32 s27, 0
                                        ; implicit-def: $vgpr1
	s_branch .LBB183_715
.LBB183_713:
	s_mov_b32 s27, -1
                                        ; implicit-def: $vgpr1
.LBB183_714:
	s_mov_b32 s28, 0
.LBB183_715:
	s_delay_alu instid0(SALU_CYCLE_1)
	s_and_b32 vcc_lo, exec_lo, s28
	s_cbranch_vccz .LBB183_726
; %bb.716:
	s_cmp_lg_u32 s16, 0
	s_mov_b32 s0, -1
	s_cselect_b32 s27, -1, 0
	s_delay_alu instid0(SALU_CYCLE_1)
	s_and_not1_b32 vcc_lo, exec_lo, s27
	s_cbranch_vccz .LBB183_727
.LBB183_717:
	s_and_not1_b32 vcc_lo, exec_lo, s0
	s_cbranch_vccnz .LBB183_719
.LBB183_718:
	s_wait_loadcnt 0x0
	s_delay_alu instid0(VALU_DEP_1)
	v_bfe_i32 v1, v6, 0, 8
	s_bfe_i32 s0, s17, 0x80000
	s_delay_alu instid0(VALU_DEP_1) | instid1(SALU_CYCLE_1)
	v_max_i16 v1, v1, s0
.LBB183_719:
	v_mov_b32_e32 v3, 0
	s_and_b32 s27, s18, 0xff
	s_delay_alu instid0(SALU_CYCLE_1) | instskip(NEXT) | instid1(VALU_DEP_1)
	s_cmp_lt_i32 s27, 11
	v_add_nc_u64_e32 v[2:3], s[4:5], v[2:3]
	s_cbranch_scc1 .LBB183_728
; %bb.720:
	s_and_b32 s28, 0xffff, s27
	s_delay_alu instid0(SALU_CYCLE_1)
	s_cmp_gt_i32 s28, 25
	s_cbranch_scc0 .LBB183_729
; %bb.721:
	s_cmp_gt_i32 s28, 28
	s_cbranch_scc0 .LBB183_730
; %bb.722:
	;; [unrolled: 3-line block ×4, first 2 shown]
	s_mov_b32 s30, 0
	s_mov_b32 s0, -1
	s_cmp_eq_u32 s28, 46
	s_mov_b32 s29, 0
	s_cbranch_scc0 .LBB183_733
; %bb.725:
	s_wait_xcnt 0x0
	v_bfe_i32 v4, v1, 0, 8
	s_mov_b32 s29, -1
	s_mov_b32 s0, 0
	s_delay_alu instid0(VALU_DEP_1) | instskip(NEXT) | instid1(VALU_DEP_1)
	v_bfe_i32 v4, v4, 0, 16
	v_cvt_f32_i32_e32 v4, v4
	s_delay_alu instid0(VALU_DEP_1) | instskip(NEXT) | instid1(VALU_DEP_1)
	v_bfe_u32 v5, v4, 16, 1
	v_add3_u32 v4, v4, v5, 0x7fff
	s_delay_alu instid0(VALU_DEP_1)
	v_lshrrev_b32_e32 v4, 16, v4
	global_store_b32 v[2:3], v4, off
	s_branch .LBB183_733
.LBB183_726:
	s_and_not1_b32 vcc_lo, exec_lo, s27
	s_cbranch_vccnz .LBB183_717
.LBB183_727:
	s_wait_loadcnt 0x0
	s_delay_alu instid0(VALU_DEP_1)
	v_bfe_i32 v1, v6, 0, 8
	s_bfe_i32 s0, s17, 0x80000
	s_delay_alu instid0(VALU_DEP_1) | instid1(SALU_CYCLE_1)
	v_max_i16 v1, v1, s0
	s_bfe_i32 s0, s9, 0x80000
	s_delay_alu instid0(VALU_DEP_1) | instid1(SALU_CYCLE_1)
	v_min_i16 v1, v1, s0
	s_cbranch_execz .LBB183_718
	s_branch .LBB183_719
.LBB183_728:
	s_mov_b32 s28, -1
	s_mov_b32 s29, 0
	s_mov_b32 s0, s46
	s_branch .LBB183_802
.LBB183_729:
	s_mov_b32 s30, -1
	s_mov_b32 s29, 0
	s_mov_b32 s0, s46
	s_branch .LBB183_760
.LBB183_730:
	s_mov_b32 s30, -1
	s_mov_b32 s29, 0
	s_mov_b32 s0, s46
	s_branch .LBB183_743
.LBB183_731:
	s_mov_b32 s30, -1
	s_mov_b32 s29, 0
	s_mov_b32 s0, s46
	s_branch .LBB183_739
.LBB183_732:
	s_mov_b32 s30, -1
	s_mov_b32 s29, 0
	s_mov_b32 s0, s46
.LBB183_733:
	s_and_b32 vcc_lo, exec_lo, s30
	s_cbranch_vccz .LBB183_738
; %bb.734:
	s_cmp_eq_u32 s28, 44
	s_mov_b32 s0, -1
	s_cbranch_scc0 .LBB183_738
; %bb.735:
	s_wait_xcnt 0x0
	v_bfe_i32 v4, v1, 0, 8
	v_mov_b32_e32 v5, 0xff
	s_mov_b32 s29, exec_lo
	s_delay_alu instid0(VALU_DEP_2) | instskip(NEXT) | instid1(VALU_DEP_1)
	v_bfe_i32 v4, v4, 0, 16
	v_cvt_f32_i32_e32 v4, v4
	s_wait_loadcnt 0x0
	s_delay_alu instid0(VALU_DEP_1) | instskip(NEXT) | instid1(VALU_DEP_1)
	v_bfe_u32 v6, v4, 23, 8
	v_cmpx_ne_u32_e32 0xff, v6
	s_cbranch_execz .LBB183_737
; %bb.736:
	v_and_b32_e32 v5, 0x400000, v4
	v_and_or_b32 v6, 0x3fffff, v4, v6
	v_lshrrev_b32_e32 v4, 23, v4
	s_delay_alu instid0(VALU_DEP_3) | instskip(NEXT) | instid1(VALU_DEP_3)
	v_cmp_ne_u32_e32 vcc_lo, 0, v5
	v_cmp_ne_u32_e64 s0, 0, v6
	s_and_b32 s0, vcc_lo, s0
	s_delay_alu instid0(SALU_CYCLE_1) | instskip(NEXT) | instid1(VALU_DEP_1)
	v_cndmask_b32_e64 v5, 0, 1, s0
	v_add_nc_u32_e32 v5, v4, v5
.LBB183_737:
	s_or_b32 exec_lo, exec_lo, s29
	s_mov_b32 s29, -1
	s_mov_b32 s0, 0
	global_store_b8 v[2:3], v5, off
.LBB183_738:
	s_mov_b32 s30, 0
.LBB183_739:
	s_delay_alu instid0(SALU_CYCLE_1)
	s_and_b32 vcc_lo, exec_lo, s30
	s_cbranch_vccz .LBB183_742
; %bb.740:
	s_cmp_eq_u32 s28, 29
	s_mov_b32 s0, -1
	s_cbranch_scc0 .LBB183_742
; %bb.741:
	s_wait_xcnt 0x0
	v_bfe_i32 v4, v1, 0, 8
	s_mov_b32 s29, -1
	s_mov_b32 s0, 0
	s_mov_b32 s30, 0
	s_delay_alu instid0(VALU_DEP_1)
	v_ashrrev_i32_e32 v5, 31, v4
	global_store_b64 v[2:3], v[4:5], off
	s_branch .LBB183_743
.LBB183_742:
	s_mov_b32 s30, 0
.LBB183_743:
	s_delay_alu instid0(SALU_CYCLE_1)
	s_and_b32 vcc_lo, exec_lo, s30
	s_cbranch_vccz .LBB183_759
; %bb.744:
	s_cmp_lt_i32 s28, 27
	s_mov_b32 s29, -1
	s_cbranch_scc1 .LBB183_750
; %bb.745:
	s_cmp_gt_i32 s28, 27
	s_cbranch_scc0 .LBB183_747
; %bb.746:
	s_wait_xcnt 0x0
	v_bfe_i32 v4, v1, 0, 8
	s_mov_b32 s29, 0
	global_store_b32 v[2:3], v4, off
.LBB183_747:
	s_and_not1_b32 vcc_lo, exec_lo, s29
	s_cbranch_vccnz .LBB183_749
; %bb.748:
	s_wait_xcnt 0x0
	v_bfe_i32 v4, v1, 0, 8
	global_store_b16 v[2:3], v4, off
.LBB183_749:
	s_mov_b32 s29, 0
.LBB183_750:
	s_delay_alu instid0(SALU_CYCLE_1)
	s_and_not1_b32 vcc_lo, exec_lo, s29
	s_cbranch_vccnz .LBB183_758
; %bb.751:
	s_wait_xcnt 0x0
	v_bfe_i32 v4, v1, 0, 8
	s_wait_loadcnt 0x0
	v_mov_b32_e32 v6, 0x80
	s_mov_b32 s29, exec_lo
	s_delay_alu instid0(VALU_DEP_2) | instskip(NEXT) | instid1(VALU_DEP_1)
	v_bfe_i32 v4, v4, 0, 16
	v_cvt_f32_i32_e32 v4, v4
	s_delay_alu instid0(VALU_DEP_1) | instskip(NEXT) | instid1(VALU_DEP_1)
	v_and_b32_e32 v5, 0x7fffffff, v4
	v_cmpx_gt_u32_e32 0x43800000, v5
	s_cbranch_execz .LBB183_757
; %bb.752:
	v_cmp_lt_u32_e32 vcc_lo, 0x3bffffff, v5
	s_mov_b32 s30, 0
                                        ; implicit-def: $vgpr5
	s_and_saveexec_b32 s31, vcc_lo
	s_delay_alu instid0(SALU_CYCLE_1)
	s_xor_b32 s31, exec_lo, s31
	s_cbranch_execz .LBB183_876
; %bb.753:
	v_bfe_u32 v5, v4, 20, 1
	s_mov_b32 s30, exec_lo
	s_delay_alu instid0(VALU_DEP_1) | instskip(NEXT) | instid1(VALU_DEP_1)
	v_add3_u32 v5, v4, v5, 0x487ffff
	v_lshrrev_b32_e32 v5, 20, v5
	s_and_not1_saveexec_b32 s31, s31
	s_cbranch_execnz .LBB183_877
.LBB183_754:
	s_or_b32 exec_lo, exec_lo, s31
	v_mov_b32_e32 v6, 0
	s_and_saveexec_b32 s31, s30
.LBB183_755:
	v_lshrrev_b32_e32 v4, 24, v4
	s_delay_alu instid0(VALU_DEP_1)
	v_and_or_b32 v6, 0x80, v4, v5
.LBB183_756:
	s_or_b32 exec_lo, exec_lo, s31
.LBB183_757:
	s_delay_alu instid0(SALU_CYCLE_1)
	s_or_b32 exec_lo, exec_lo, s29
	global_store_b8 v[2:3], v6, off
.LBB183_758:
	s_mov_b32 s29, -1
.LBB183_759:
	s_mov_b32 s30, 0
.LBB183_760:
	s_delay_alu instid0(SALU_CYCLE_1)
	s_and_b32 vcc_lo, exec_lo, s30
	s_cbranch_vccz .LBB183_801
; %bb.761:
	s_cmp_gt_i32 s28, 22
	s_mov_b32 s30, -1
	s_cbranch_scc0 .LBB183_793
; %bb.762:
	s_cmp_lt_i32 s28, 24
	s_mov_b32 s29, -1
	s_cbranch_scc1 .LBB183_782
; %bb.763:
	s_cmp_gt_i32 s28, 24
	s_cbranch_scc0 .LBB183_771
; %bb.764:
	s_wait_xcnt 0x0
	v_bfe_i32 v4, v1, 0, 8
	s_wait_loadcnt 0x0
	v_mov_b32_e32 v6, 0x80
	s_mov_b32 s29, exec_lo
	s_delay_alu instid0(VALU_DEP_2) | instskip(NEXT) | instid1(VALU_DEP_1)
	v_bfe_i32 v4, v4, 0, 16
	v_cvt_f32_i32_e32 v4, v4
	s_delay_alu instid0(VALU_DEP_1) | instskip(NEXT) | instid1(VALU_DEP_1)
	v_and_b32_e32 v5, 0x7fffffff, v4
	v_cmpx_gt_u32_e32 0x47800000, v5
	s_cbranch_execz .LBB183_770
; %bb.765:
	v_cmp_lt_u32_e32 vcc_lo, 0x37ffffff, v5
	s_mov_b32 s30, 0
                                        ; implicit-def: $vgpr5
	s_and_saveexec_b32 s31, vcc_lo
	s_delay_alu instid0(SALU_CYCLE_1)
	s_xor_b32 s31, exec_lo, s31
	s_cbranch_execz .LBB183_879
; %bb.766:
	v_bfe_u32 v5, v4, 21, 1
	s_mov_b32 s30, exec_lo
	s_delay_alu instid0(VALU_DEP_1) | instskip(NEXT) | instid1(VALU_DEP_1)
	v_add3_u32 v5, v4, v5, 0x88fffff
	v_lshrrev_b32_e32 v5, 21, v5
	s_and_not1_saveexec_b32 s31, s31
	s_cbranch_execnz .LBB183_880
.LBB183_767:
	s_or_b32 exec_lo, exec_lo, s31
	v_mov_b32_e32 v6, 0
	s_and_saveexec_b32 s31, s30
.LBB183_768:
	v_lshrrev_b32_e32 v4, 24, v4
	s_delay_alu instid0(VALU_DEP_1)
	v_and_or_b32 v6, 0x80, v4, v5
.LBB183_769:
	s_or_b32 exec_lo, exec_lo, s31
.LBB183_770:
	s_delay_alu instid0(SALU_CYCLE_1)
	s_or_b32 exec_lo, exec_lo, s29
	s_mov_b32 s29, 0
	global_store_b8 v[2:3], v6, off
.LBB183_771:
	s_and_b32 vcc_lo, exec_lo, s29
	s_cbranch_vccz .LBB183_781
; %bb.772:
	s_wait_xcnt 0x0
	v_bfe_i32 v4, v1, 0, 8
	s_mov_b32 s29, exec_lo
                                        ; implicit-def: $vgpr5
	s_delay_alu instid0(VALU_DEP_1) | instskip(NEXT) | instid1(VALU_DEP_1)
	v_bfe_i32 v4, v4, 0, 16
	v_cvt_f32_i32_e32 v4, v4
	s_wait_loadcnt 0x0
	s_delay_alu instid0(VALU_DEP_1) | instskip(NEXT) | instid1(VALU_DEP_1)
	v_and_b32_e32 v6, 0x7fffffff, v4
	v_cmpx_gt_u32_e32 0x43f00000, v6
	s_xor_b32 s29, exec_lo, s29
	s_cbranch_execz .LBB183_778
; %bb.773:
	s_mov_b32 s30, exec_lo
                                        ; implicit-def: $vgpr5
	v_cmpx_lt_u32_e32 0x3c7fffff, v6
	s_xor_b32 s30, exec_lo, s30
; %bb.774:
	v_bfe_u32 v5, v4, 20, 1
	s_delay_alu instid0(VALU_DEP_1) | instskip(NEXT) | instid1(VALU_DEP_1)
	v_add3_u32 v5, v4, v5, 0x407ffff
	v_and_b32_e32 v6, 0xff00000, v5
	v_lshrrev_b32_e32 v5, 20, v5
	s_delay_alu instid0(VALU_DEP_2) | instskip(NEXT) | instid1(VALU_DEP_2)
	v_cmp_ne_u32_e32 vcc_lo, 0x7f00000, v6
	v_cndmask_b32_e32 v5, 0x7e, v5, vcc_lo
; %bb.775:
	s_and_not1_saveexec_b32 s30, s30
; %bb.776:
	v_add_f32_e64 v5, 0x46800000, |v4|
; %bb.777:
	s_or_b32 exec_lo, exec_lo, s30
                                        ; implicit-def: $vgpr6
.LBB183_778:
	s_and_not1_saveexec_b32 s29, s29
; %bb.779:
	v_mov_b32_e32 v5, 0x7f
	v_cmp_lt_u32_e32 vcc_lo, 0x7f800000, v6
	s_delay_alu instid0(VALU_DEP_2)
	v_cndmask_b32_e32 v5, 0x7e, v5, vcc_lo
; %bb.780:
	s_or_b32 exec_lo, exec_lo, s29
	v_lshrrev_b32_e32 v4, 24, v4
	s_delay_alu instid0(VALU_DEP_1)
	v_and_or_b32 v4, 0x80, v4, v5
	global_store_b8 v[2:3], v4, off
.LBB183_781:
	s_mov_b32 s29, 0
.LBB183_782:
	s_delay_alu instid0(SALU_CYCLE_1)
	s_and_not1_b32 vcc_lo, exec_lo, s29
	s_cbranch_vccnz .LBB183_792
; %bb.783:
	s_wait_xcnt 0x0
	v_bfe_i32 v4, v1, 0, 8
	s_mov_b32 s29, exec_lo
                                        ; implicit-def: $vgpr5
	s_delay_alu instid0(VALU_DEP_1) | instskip(NEXT) | instid1(VALU_DEP_1)
	v_bfe_i32 v4, v4, 0, 16
	v_cvt_f32_i32_e32 v4, v4
	s_wait_loadcnt 0x0
	s_delay_alu instid0(VALU_DEP_1) | instskip(NEXT) | instid1(VALU_DEP_1)
	v_and_b32_e32 v6, 0x7fffffff, v4
	v_cmpx_gt_u32_e32 0x47800000, v6
	s_xor_b32 s29, exec_lo, s29
	s_cbranch_execz .LBB183_789
; %bb.784:
	s_mov_b32 s30, exec_lo
                                        ; implicit-def: $vgpr5
	v_cmpx_lt_u32_e32 0x387fffff, v6
	s_xor_b32 s30, exec_lo, s30
; %bb.785:
	v_bfe_u32 v5, v4, 21, 1
	s_delay_alu instid0(VALU_DEP_1) | instskip(NEXT) | instid1(VALU_DEP_1)
	v_add3_u32 v5, v4, v5, 0x80fffff
	v_lshrrev_b32_e32 v5, 21, v5
; %bb.786:
	s_and_not1_saveexec_b32 s30, s30
; %bb.787:
	v_add_f32_e64 v5, 0x43000000, |v4|
; %bb.788:
	s_or_b32 exec_lo, exec_lo, s30
                                        ; implicit-def: $vgpr6
.LBB183_789:
	s_and_not1_saveexec_b32 s29, s29
; %bb.790:
	v_mov_b32_e32 v5, 0x7f
	v_cmp_lt_u32_e32 vcc_lo, 0x7f800000, v6
	s_delay_alu instid0(VALU_DEP_2)
	v_cndmask_b32_e32 v5, 0x7c, v5, vcc_lo
; %bb.791:
	s_or_b32 exec_lo, exec_lo, s29
	v_lshrrev_b32_e32 v4, 24, v4
	s_delay_alu instid0(VALU_DEP_1)
	v_and_or_b32 v4, 0x80, v4, v5
	global_store_b8 v[2:3], v4, off
.LBB183_792:
	s_mov_b32 s30, 0
	s_mov_b32 s29, -1
.LBB183_793:
	s_and_not1_b32 vcc_lo, exec_lo, s30
	s_cbranch_vccnz .LBB183_801
; %bb.794:
	s_cmp_gt_i32 s28, 14
	s_mov_b32 s30, -1
	s_cbranch_scc0 .LBB183_798
; %bb.795:
	s_cmp_eq_u32 s28, 15
	s_mov_b32 s0, -1
	s_cbranch_scc0 .LBB183_797
; %bb.796:
	s_wait_xcnt 0x0
	v_bfe_i32 v4, v1, 0, 8
	s_mov_b32 s29, -1
	s_mov_b32 s0, 0
	s_delay_alu instid0(VALU_DEP_1) | instskip(NEXT) | instid1(VALU_DEP_1)
	v_bfe_i32 v4, v4, 0, 16
	v_cvt_f32_i32_e32 v4, v4
	s_delay_alu instid0(VALU_DEP_1) | instskip(NEXT) | instid1(VALU_DEP_1)
	v_bfe_u32 v5, v4, 16, 1
	v_add3_u32 v4, v4, v5, 0x7fff
	global_store_d16_hi_b16 v[2:3], v4, off
.LBB183_797:
	s_mov_b32 s30, 0
.LBB183_798:
	s_delay_alu instid0(SALU_CYCLE_1)
	s_and_b32 vcc_lo, exec_lo, s30
	s_cbranch_vccz .LBB183_801
; %bb.799:
	s_cmp_eq_u32 s28, 11
	s_mov_b32 s0, -1
	s_cbranch_scc0 .LBB183_801
; %bb.800:
	s_wait_xcnt 0x0
	v_and_b32_e32 v4, 0xff, v1
	s_mov_b32 s0, 0
	s_mov_b32 s29, -1
	s_delay_alu instid0(VALU_DEP_1)
	v_cmp_ne_u16_e32 vcc_lo, 0, v4
	v_cndmask_b32_e64 v4, 0, 1, vcc_lo
	global_store_b8 v[2:3], v4, off
.LBB183_801:
	s_mov_b32 s28, 0
.LBB183_802:
	s_delay_alu instid0(SALU_CYCLE_1)
	s_and_b32 vcc_lo, exec_lo, s28
	s_cbranch_vccz .LBB183_841
; %bb.803:
	s_and_b32 s27, 0xffff, s27
	s_mov_b32 s28, -1
	s_cmp_lt_i32 s27, 5
	s_cbranch_scc1 .LBB183_824
; %bb.804:
	s_cmp_lt_i32 s27, 8
	s_cbranch_scc1 .LBB183_814
; %bb.805:
	;; [unrolled: 3-line block ×3, first 2 shown]
	s_cmp_gt_i32 s27, 9
	s_cbranch_scc0 .LBB183_808
; %bb.807:
	s_wait_xcnt 0x0
	v_bfe_i32 v4, v1, 0, 8
	s_wait_loadcnt 0x0
	v_mov_b32_e32 v6, 0
	s_mov_b32 s28, 0
	s_delay_alu instid0(VALU_DEP_2) | instskip(NEXT) | instid1(VALU_DEP_2)
	v_bfe_i32 v4, v4, 0, 16
	v_mov_b32_e32 v7, v6
	s_delay_alu instid0(VALU_DEP_2)
	v_cvt_f64_i32_e32 v[4:5], v4
	global_store_b128 v[2:3], v[4:7], off
.LBB183_808:
	s_and_not1_b32 vcc_lo, exec_lo, s28
	s_cbranch_vccnz .LBB183_810
; %bb.809:
	s_wait_xcnt 0x0
	v_bfe_i32 v4, v1, 0, 8
	v_mov_b32_e32 v5, 0
	s_delay_alu instid0(VALU_DEP_2) | instskip(NEXT) | instid1(VALU_DEP_1)
	v_bfe_i32 v4, v4, 0, 16
	v_cvt_f32_i32_e32 v4, v4
	global_store_b64 v[2:3], v[4:5], off
.LBB183_810:
	s_mov_b32 s28, 0
.LBB183_811:
	s_delay_alu instid0(SALU_CYCLE_1)
	s_and_not1_b32 vcc_lo, exec_lo, s28
	s_cbranch_vccnz .LBB183_813
; %bb.812:
	s_wait_xcnt 0x0
	v_bfe_i32 v4, v1, 0, 8
	s_delay_alu instid0(VALU_DEP_1) | instskip(NEXT) | instid1(VALU_DEP_1)
	v_cvt_f16_i16_e32 v4, v4
	v_and_b32_e32 v4, 0xffff, v4
	global_store_b32 v[2:3], v4, off
.LBB183_813:
	s_mov_b32 s28, 0
.LBB183_814:
	s_delay_alu instid0(SALU_CYCLE_1)
	s_and_not1_b32 vcc_lo, exec_lo, s28
	s_cbranch_vccnz .LBB183_823
; %bb.815:
	s_cmp_lt_i32 s27, 6
	s_mov_b32 s28, -1
	s_cbranch_scc1 .LBB183_821
; %bb.816:
	s_cmp_gt_i32 s27, 6
	s_cbranch_scc0 .LBB183_818
; %bb.817:
	s_wait_xcnt 0x0
	v_bfe_i32 v4, v1, 0, 8
	s_mov_b32 s28, 0
	s_delay_alu instid0(VALU_DEP_1) | instskip(NEXT) | instid1(VALU_DEP_1)
	v_bfe_i32 v4, v4, 0, 16
	v_cvt_f64_i32_e32 v[4:5], v4
	global_store_b64 v[2:3], v[4:5], off
.LBB183_818:
	s_and_not1_b32 vcc_lo, exec_lo, s28
	s_cbranch_vccnz .LBB183_820
; %bb.819:
	s_wait_xcnt 0x0
	v_bfe_i32 v4, v1, 0, 8
	s_delay_alu instid0(VALU_DEP_1) | instskip(NEXT) | instid1(VALU_DEP_1)
	v_bfe_i32 v4, v4, 0, 16
	v_cvt_f32_i32_e32 v4, v4
	global_store_b32 v[2:3], v4, off
.LBB183_820:
	s_mov_b32 s28, 0
.LBB183_821:
	s_delay_alu instid0(SALU_CYCLE_1)
	s_and_not1_b32 vcc_lo, exec_lo, s28
	s_cbranch_vccnz .LBB183_823
; %bb.822:
	s_wait_xcnt 0x0
	v_bfe_i32 v4, v1, 0, 8
	s_delay_alu instid0(VALU_DEP_1)
	v_cvt_f16_i16_e32 v4, v4
	global_store_b16 v[2:3], v4, off
.LBB183_823:
	s_mov_b32 s28, 0
.LBB183_824:
	s_delay_alu instid0(SALU_CYCLE_1)
	s_and_not1_b32 vcc_lo, exec_lo, s28
	s_cbranch_vccnz .LBB183_840
; %bb.825:
	s_cmp_lt_i32 s27, 2
	s_mov_b32 s28, -1
	s_cbranch_scc1 .LBB183_835
; %bb.826:
	s_cmp_lt_i32 s27, 3
	s_cbranch_scc1 .LBB183_832
; %bb.827:
	s_cmp_gt_i32 s27, 3
	s_cbranch_scc0 .LBB183_829
; %bb.828:
	s_wait_xcnt 0x0
	v_bfe_i32 v4, v1, 0, 8
	s_mov_b32 s28, 0
	s_delay_alu instid0(VALU_DEP_1)
	v_ashrrev_i32_e32 v5, 31, v4
	global_store_b64 v[2:3], v[4:5], off
.LBB183_829:
	s_and_not1_b32 vcc_lo, exec_lo, s28
	s_cbranch_vccnz .LBB183_831
; %bb.830:
	s_wait_xcnt 0x0
	v_bfe_i32 v4, v1, 0, 8
	global_store_b32 v[2:3], v4, off
.LBB183_831:
	s_mov_b32 s28, 0
.LBB183_832:
	s_delay_alu instid0(SALU_CYCLE_1)
	s_and_not1_b32 vcc_lo, exec_lo, s28
	s_cbranch_vccnz .LBB183_834
; %bb.833:
	s_wait_xcnt 0x0
	v_bfe_i32 v4, v1, 0, 8
	global_store_b16 v[2:3], v4, off
.LBB183_834:
	s_mov_b32 s28, 0
.LBB183_835:
	s_delay_alu instid0(SALU_CYCLE_1)
	s_and_not1_b32 vcc_lo, exec_lo, s28
	s_cbranch_vccnz .LBB183_840
; %bb.836:
	s_cmp_gt_i32 s27, 0
	s_mov_b32 s27, -1
	s_cbranch_scc0 .LBB183_838
; %bb.837:
	s_mov_b32 s27, 0
	global_store_b8 v[2:3], v1, off
.LBB183_838:
	s_and_not1_b32 vcc_lo, exec_lo, s27
	s_cbranch_vccnz .LBB183_840
; %bb.839:
	global_store_b8 v[2:3], v1, off
.LBB183_840:
	s_mov_b32 s29, -1
.LBB183_841:
	s_delay_alu instid0(SALU_CYCLE_1)
	s_and_not1_b32 vcc_lo, exec_lo, s29
	s_cbranch_vccnz .LBB183_843
; %bb.842:
	v_add_nc_u32_e32 v0, 0x80, v0
	s_mov_b32 s27, -1
	s_branch .LBB183_845
.LBB183_843:
	s_mov_b32 s27, 0
.LBB183_844:
                                        ; implicit-def: $vgpr0
.LBB183_845:
	s_and_not1_b32 s28, s46, exec_lo
	s_and_b32 s0, s0, exec_lo
	s_and_not1_b32 s29, s45, exec_lo
	s_and_b32 s26, s26, exec_lo
	s_or_b32 s30, s28, s0
	s_or_b32 s0, s29, s26
	s_or_not1_b32 s29, s27, exec_lo
.LBB183_846:
	s_wait_xcnt 0x0
	s_or_b32 exec_lo, exec_lo, s48
	s_mov_b32 s27, 0
	s_mov_b32 s26, 0
	;; [unrolled: 1-line block ×3, first 2 shown]
                                        ; implicit-def: $vgpr4_vgpr5
                                        ; implicit-def: $vgpr2
                                        ; implicit-def: $vgpr6
	s_and_saveexec_b32 s31, s29
	s_cbranch_execz .LBB183_944
; %bb.847:
	v_cmp_gt_i32_e32 vcc_lo, s39, v0
	s_mov_b32 s29, s0
                                        ; implicit-def: $vgpr4_vgpr5
                                        ; implicit-def: $vgpr2
                                        ; implicit-def: $vgpr6
	s_and_saveexec_b32 s39, vcc_lo
	s_cbranch_execz .LBB183_943
; %bb.848:
	s_and_not1_b32 vcc_lo, exec_lo, s35
	s_cbranch_vccnz .LBB183_854
; %bb.849:
	s_and_not1_b32 vcc_lo, exec_lo, s41
	s_cbranch_vccnz .LBB183_855
; %bb.850:
	s_add_co_i32 s40, s40, 1
	s_cmp_eq_u32 s33, 2
	s_cbranch_scc1 .LBB183_856
; %bb.851:
	v_dual_mov_b32 v2, 0 :: v_dual_mov_b32 v4, 0
	v_mov_b32_e32 v1, v0
	s_and_b32 s26, s40, 28
	s_mov_b64 s[28:29], s[2:3]
.LBB183_852:                            ; =>This Inner Loop Header: Depth=1
	s_clause 0x1
	s_load_b256 s[48:55], s[28:29], 0x4
	s_load_b128 s[64:67], s[28:29], 0x24
	s_load_b256 s[56:63], s[24:25], 0x0
	s_add_co_i32 s27, s27, 4
	s_wait_xcnt 0x0
	s_add_nc_u64 s[28:29], s[28:29], 48
	s_cmp_eq_u32 s26, s27
	s_add_nc_u64 s[24:25], s[24:25], 32
	s_wait_kmcnt 0x0
	v_mul_hi_u32 v3, s49, v1
	s_delay_alu instid0(VALU_DEP_1) | instskip(NEXT) | instid1(VALU_DEP_1)
	v_add_nc_u32_e32 v3, v1, v3
	v_lshrrev_b32_e32 v3, s50, v3
	s_delay_alu instid0(VALU_DEP_1) | instskip(NEXT) | instid1(VALU_DEP_1)
	v_mul_hi_u32 v5, s52, v3
	v_add_nc_u32_e32 v5, v3, v5
	s_delay_alu instid0(VALU_DEP_1) | instskip(SKIP_1) | instid1(VALU_DEP_1)
	v_lshrrev_b32_e32 v5, s53, v5
	s_wait_loadcnt 0x0
	v_mul_hi_u32 v6, s55, v5
	s_delay_alu instid0(VALU_DEP_1) | instskip(SKIP_1) | instid1(VALU_DEP_1)
	v_add_nc_u32_e32 v6, v5, v6
	v_mul_lo_u32 v7, v3, s48
	v_sub_nc_u32_e32 v1, v1, v7
	v_mul_lo_u32 v7, v5, s51
	s_delay_alu instid0(VALU_DEP_4) | instskip(NEXT) | instid1(VALU_DEP_3)
	v_lshrrev_b32_e32 v6, s64, v6
	v_mad_u32 v4, v1, s57, v4
	v_mad_u32 v1, v1, s56, v2
	s_delay_alu instid0(VALU_DEP_4) | instskip(NEXT) | instid1(VALU_DEP_4)
	v_sub_nc_u32_e32 v2, v3, v7
	v_mul_hi_u32 v8, s66, v6
	v_mul_lo_u32 v3, v6, s54
	s_delay_alu instid0(VALU_DEP_3) | instskip(SKIP_1) | instid1(VALU_DEP_3)
	v_mad_u32 v4, v2, s59, v4
	v_mad_u32 v2, v2, s58, v1
	v_dual_add_nc_u32 v7, v6, v8 :: v_dual_sub_nc_u32 v3, v5, v3
	s_delay_alu instid0(VALU_DEP_1) | instskip(NEXT) | instid1(VALU_DEP_2)
	v_lshrrev_b32_e32 v1, s67, v7
	v_mad_u32 v4, v3, s61, v4
	s_delay_alu instid0(VALU_DEP_4) | instskip(NEXT) | instid1(VALU_DEP_3)
	v_mad_u32 v2, v3, s60, v2
	v_mul_lo_u32 v5, v1, s65
	s_delay_alu instid0(VALU_DEP_1) | instskip(NEXT) | instid1(VALU_DEP_1)
	v_sub_nc_u32_e32 v3, v6, v5
	v_mad_u32 v4, v3, s63, v4
	s_delay_alu instid0(VALU_DEP_4)
	v_mad_u32 v2, v3, s62, v2
	s_cbranch_scc0 .LBB183_852
; %bb.853:
	s_delay_alu instid0(VALU_DEP_2)
	v_mov_b32_e32 v3, v4
	s_branch .LBB183_857
.LBB183_854:
	s_mov_b32 s24, -1
                                        ; implicit-def: $vgpr4
                                        ; implicit-def: $vgpr2
	s_branch .LBB183_862
.LBB183_855:
	v_dual_mov_b32 v4, 0 :: v_dual_mov_b32 v2, 0
	s_branch .LBB183_861
.LBB183_856:
	v_mov_b64_e32 v[2:3], 0
	v_mov_b32_e32 v1, v0
                                        ; implicit-def: $vgpr4
.LBB183_857:
	s_and_b32 s28, s40, 3
	s_mov_b32 s27, 0
	s_cmp_eq_u32 s28, 0
	s_cbranch_scc1 .LBB183_861
; %bb.858:
	s_lshl_b32 s24, s26, 3
	s_mov_b32 s25, s27
	s_mul_u64 s[26:27], s[26:27], 12
	s_add_nc_u64 s[24:25], s[2:3], s[24:25]
	s_add_nc_u64 s[26:27], s[2:3], s[26:27]
	;; [unrolled: 1-line block ×3, first 2 shown]
.LBB183_859:                            ; =>This Inner Loop Header: Depth=1
	s_load_b96 s[48:50], s[26:27], 0x4
	s_load_b64 s[40:41], s[24:25], 0x0
	s_add_co_i32 s28, s28, -1
	s_wait_xcnt 0x0
	s_add_nc_u64 s[26:27], s[26:27], 12
	s_cmp_lg_u32 s28, 0
	s_add_nc_u64 s[24:25], s[24:25], 8
	s_wait_kmcnt 0x0
	v_mul_hi_u32 v4, s49, v1
	s_delay_alu instid0(VALU_DEP_1) | instskip(NEXT) | instid1(VALU_DEP_1)
	v_add_nc_u32_e32 v4, v1, v4
	v_lshrrev_b32_e32 v4, s50, v4
	s_delay_alu instid0(VALU_DEP_1) | instskip(NEXT) | instid1(VALU_DEP_1)
	v_mul_lo_u32 v5, v4, s48
	v_sub_nc_u32_e32 v1, v1, v5
	s_delay_alu instid0(VALU_DEP_1)
	v_mad_u32 v3, v1, s41, v3
	v_mad_u32 v2, v1, s40, v2
	v_mov_b32_e32 v1, v4
	s_cbranch_scc1 .LBB183_859
; %bb.860:
	s_delay_alu instid0(VALU_DEP_3)
	v_mov_b32_e32 v4, v3
.LBB183_861:
	s_mov_b32 s24, 0
.LBB183_862:
	s_delay_alu instid0(SALU_CYCLE_1)
	s_and_not1_b32 vcc_lo, exec_lo, s24
	s_cbranch_vccnz .LBB183_865
; %bb.863:
	v_mov_b32_e32 v1, 0
	s_and_not1_b32 vcc_lo, exec_lo, s38
	s_delay_alu instid0(VALU_DEP_1) | instskip(NEXT) | instid1(VALU_DEP_1)
	v_mul_u64_e32 v[2:3], s[20:21], v[0:1]
	v_add_nc_u32_e32 v2, v0, v3
	s_wait_loadcnt 0x0
	s_delay_alu instid0(VALU_DEP_1) | instskip(NEXT) | instid1(VALU_DEP_1)
	v_lshrrev_b32_e32 v6, s10, v2
	v_mul_lo_u32 v2, v6, s8
	s_delay_alu instid0(VALU_DEP_1) | instskip(NEXT) | instid1(VALU_DEP_1)
	v_sub_nc_u32_e32 v0, v0, v2
	v_mul_lo_u32 v4, v0, s13
	v_mul_lo_u32 v2, v0, s12
	s_cbranch_vccnz .LBB183_865
; %bb.864:
	v_mov_b32_e32 v7, v1
	s_delay_alu instid0(VALU_DEP_1) | instskip(NEXT) | instid1(VALU_DEP_1)
	v_mul_u64_e32 v[0:1], s[22:23], v[6:7]
	v_add_nc_u32_e32 v0, v6, v1
	s_delay_alu instid0(VALU_DEP_1) | instskip(NEXT) | instid1(VALU_DEP_1)
	v_lshrrev_b32_e32 v0, s1, v0
	v_mul_lo_u32 v0, v0, s11
	s_delay_alu instid0(VALU_DEP_1) | instskip(NEXT) | instid1(VALU_DEP_1)
	v_sub_nc_u32_e32 v0, v6, v0
	v_mad_u32 v2, v0, s14, v2
	v_mad_u32 v4, v0, s15, v4
.LBB183_865:
	v_mov_b32_e32 v5, 0
	s_and_b32 s1, 0xffff, s37
	s_delay_alu instid0(SALU_CYCLE_1) | instskip(NEXT) | instid1(VALU_DEP_1)
	s_cmp_lt_i32 s1, 11
	v_add_nc_u64_e32 v[4:5], s[6:7], v[4:5]
	s_cbranch_scc1 .LBB183_872
; %bb.866:
	s_cmp_gt_i32 s1, 25
	s_mov_b32 s7, 0
	s_cbranch_scc0 .LBB183_873
; %bb.867:
	s_cmp_gt_i32 s1, 28
	s_cbranch_scc0 .LBB183_874
; %bb.868:
	s_cmp_gt_i32 s1, 43
	;; [unrolled: 3-line block ×3, first 2 shown]
	s_cbranch_scc0 .LBB183_878
; %bb.870:
	s_cmp_eq_u32 s1, 46
	s_mov_b32 s10, 0
	s_cbranch_scc0 .LBB183_881
; %bb.871:
	global_load_b32 v0, v[4:5], off
	s_mov_b32 s6, 0
	s_mov_b32 s8, -1
	s_wait_loadcnt 0x0
	v_lshlrev_b32_e32 v0, 16, v0
	s_delay_alu instid0(VALU_DEP_1)
	v_cvt_i32_f32_e32 v6, v0
	s_branch .LBB183_883
.LBB183_872:
	s_mov_b32 s1, -1
	s_mov_b32 s8, 0
	s_mov_b32 s7, 0
	;; [unrolled: 1-line block ×3, first 2 shown]
                                        ; implicit-def: $vgpr6
	s_branch .LBB183_942
.LBB183_873:
	s_mov_b32 s10, -1
	s_mov_b32 s8, 0
	s_mov_b32 s6, s0
                                        ; implicit-def: $vgpr6
	s_branch .LBB183_910
.LBB183_874:
	s_mov_b32 s10, -1
	s_mov_b32 s8, 0
	s_mov_b32 s6, s0
                                        ; implicit-def: $vgpr6
	s_branch .LBB183_893
.LBB183_875:
	s_mov_b32 s10, -1
	s_mov_b32 s8, 0
	s_mov_b32 s6, s0
                                        ; implicit-def: $vgpr6
	s_branch .LBB183_888
.LBB183_876:
	s_and_not1_saveexec_b32 s31, s31
	s_cbranch_execz .LBB183_754
.LBB183_877:
	v_add_f32_e64 v5, 0x46000000, |v4|
	s_and_not1_b32 s30, s30, exec_lo
	s_delay_alu instid0(VALU_DEP_1) | instskip(NEXT) | instid1(VALU_DEP_1)
	v_and_b32_e32 v5, 0xff, v5
	v_cmp_ne_u32_e32 vcc_lo, 0, v5
	s_and_b32 s49, vcc_lo, exec_lo
	s_delay_alu instid0(SALU_CYCLE_1)
	s_or_b32 s30, s30, s49
	s_or_b32 exec_lo, exec_lo, s31
	v_mov_b32_e32 v6, 0
	s_and_saveexec_b32 s31, s30
	s_cbranch_execnz .LBB183_755
	s_branch .LBB183_756
.LBB183_878:
	s_mov_b32 s10, -1
	s_mov_b32 s8, 0
	s_mov_b32 s6, s0
	s_branch .LBB183_882
.LBB183_879:
	s_and_not1_saveexec_b32 s31, s31
	s_cbranch_execz .LBB183_767
.LBB183_880:
	v_add_f32_e64 v5, 0x42800000, |v4|
	s_and_not1_b32 s30, s30, exec_lo
	s_delay_alu instid0(VALU_DEP_1) | instskip(NEXT) | instid1(VALU_DEP_1)
	v_and_b32_e32 v5, 0xff, v5
	v_cmp_ne_u32_e32 vcc_lo, 0, v5
	s_and_b32 s49, vcc_lo, exec_lo
	s_delay_alu instid0(SALU_CYCLE_1)
	s_or_b32 s30, s30, s49
	s_or_b32 exec_lo, exec_lo, s31
	v_mov_b32_e32 v6, 0
	s_and_saveexec_b32 s31, s30
	s_cbranch_execnz .LBB183_768
	s_branch .LBB183_769
.LBB183_881:
	s_mov_b32 s6, -1
	s_mov_b32 s8, 0
.LBB183_882:
                                        ; implicit-def: $vgpr6
.LBB183_883:
	s_and_b32 vcc_lo, exec_lo, s10
	s_cbranch_vccz .LBB183_887
; %bb.884:
	s_cmp_eq_u32 s1, 44
	s_cbranch_scc0 .LBB183_886
; %bb.885:
	global_load_u8 v0, v[4:5], off
	s_mov_b32 s6, 0
	s_mov_b32 s8, -1
	s_wait_loadcnt 0x0
	v_lshlrev_b32_e32 v1, 23, v0
	v_cmp_ne_u32_e32 vcc_lo, 0, v0
	s_delay_alu instid0(VALU_DEP_2) | instskip(NEXT) | instid1(VALU_DEP_1)
	v_cvt_i32_f32_e32 v1, v1
	v_cndmask_b32_e32 v6, 0, v1, vcc_lo
	s_branch .LBB183_887
.LBB183_886:
	s_mov_b32 s6, -1
                                        ; implicit-def: $vgpr6
.LBB183_887:
	s_mov_b32 s10, 0
.LBB183_888:
	s_delay_alu instid0(SALU_CYCLE_1)
	s_and_b32 vcc_lo, exec_lo, s10
	s_cbranch_vccz .LBB183_892
; %bb.889:
	s_cmp_eq_u32 s1, 29
	s_cbranch_scc0 .LBB183_891
; %bb.890:
	s_wait_loadcnt 0x0
	global_load_b64 v[6:7], v[4:5], off
	s_mov_b32 s6, 0
	s_mov_b32 s8, -1
	s_branch .LBB183_892
.LBB183_891:
	s_mov_b32 s6, -1
                                        ; implicit-def: $vgpr6
.LBB183_892:
	s_mov_b32 s10, 0
.LBB183_893:
	s_delay_alu instid0(SALU_CYCLE_1)
	s_and_b32 vcc_lo, exec_lo, s10
	s_cbranch_vccz .LBB183_909
; %bb.894:
	s_cmp_lt_i32 s1, 27
	s_cbranch_scc1 .LBB183_897
; %bb.895:
	s_cmp_gt_i32 s1, 27
	s_cbranch_scc0 .LBB183_898
; %bb.896:
	s_wait_loadcnt 0x0
	global_load_b32 v6, v[4:5], off
	s_mov_b32 s8, 0
	s_branch .LBB183_899
.LBB183_897:
	s_mov_b32 s8, -1
                                        ; implicit-def: $vgpr6
	s_branch .LBB183_902
.LBB183_898:
	s_mov_b32 s8, -1
                                        ; implicit-def: $vgpr6
.LBB183_899:
	s_delay_alu instid0(SALU_CYCLE_1)
	s_and_not1_b32 vcc_lo, exec_lo, s8
	s_cbranch_vccnz .LBB183_901
; %bb.900:
	s_wait_loadcnt 0x0
	global_load_u16 v6, v[4:5], off
.LBB183_901:
	s_mov_b32 s8, 0
.LBB183_902:
	s_delay_alu instid0(SALU_CYCLE_1)
	s_and_not1_b32 vcc_lo, exec_lo, s8
	s_cbranch_vccnz .LBB183_908
; %bb.903:
	global_load_u8 v0, v[4:5], off
	s_mov_b32 s10, 0
	s_mov_b32 s8, exec_lo
	s_wait_loadcnt 0x0
	v_cmpx_lt_i16_e32 0x7f, v0
	s_xor_b32 s8, exec_lo, s8
	s_cbranch_execz .LBB183_920
; %bb.904:
	v_cmp_ne_u16_e32 vcc_lo, 0x80, v0
	s_and_b32 s10, vcc_lo, exec_lo
	s_and_not1_saveexec_b32 s8, s8
	s_cbranch_execnz .LBB183_921
.LBB183_905:
	s_or_b32 exec_lo, exec_lo, s8
	v_mov_b32_e32 v6, 0
	s_and_saveexec_b32 s8, s10
	s_cbranch_execz .LBB183_907
.LBB183_906:
	v_and_b32_e32 v1, 0xffff, v0
	s_delay_alu instid0(VALU_DEP_1) | instskip(SKIP_1) | instid1(VALU_DEP_2)
	v_and_b32_e32 v3, 7, v1
	v_bfe_u32 v8, v1, 3, 4
	v_clz_i32_u32_e32 v6, v3
	s_delay_alu instid0(VALU_DEP_2) | instskip(NEXT) | instid1(VALU_DEP_2)
	v_cmp_eq_u32_e32 vcc_lo, 0, v8
	v_min_u32_e32 v6, 32, v6
	s_delay_alu instid0(VALU_DEP_1) | instskip(NEXT) | instid1(VALU_DEP_1)
	v_subrev_nc_u32_e32 v7, 28, v6
	v_dual_lshlrev_b32 v1, v7, v1 :: v_dual_sub_nc_u32 v6, 29, v6
	s_delay_alu instid0(VALU_DEP_1) | instskip(NEXT) | instid1(VALU_DEP_1)
	v_dual_lshlrev_b32 v0, 24, v0 :: v_dual_bitop2_b32 v1, 7, v1 bitop3:0x40
	v_dual_cndmask_b32 v6, v8, v6 :: v_dual_cndmask_b32 v1, v3, v1
	s_delay_alu instid0(VALU_DEP_2) | instskip(NEXT) | instid1(VALU_DEP_2)
	v_and_b32_e32 v0, 0x80000000, v0
	v_lshl_add_u32 v3, v6, 23, 0x3b800000
	s_delay_alu instid0(VALU_DEP_3) | instskip(NEXT) | instid1(VALU_DEP_1)
	v_lshlrev_b32_e32 v1, 20, v1
	v_or3_b32 v0, v0, v3, v1
	s_delay_alu instid0(VALU_DEP_1)
	v_cvt_i32_f32_e32 v6, v0
.LBB183_907:
	s_or_b32 exec_lo, exec_lo, s8
.LBB183_908:
	s_mov_b32 s8, -1
.LBB183_909:
	s_mov_b32 s10, 0
.LBB183_910:
	s_delay_alu instid0(SALU_CYCLE_1)
	s_and_b32 vcc_lo, exec_lo, s10
	s_cbranch_vccz .LBB183_941
; %bb.911:
	s_cmp_gt_i32 s1, 22
	s_cbranch_scc0 .LBB183_919
; %bb.912:
	s_cmp_lt_i32 s1, 24
	s_cbranch_scc1 .LBB183_922
; %bb.913:
	s_cmp_gt_i32 s1, 24
	s_cbranch_scc0 .LBB183_923
; %bb.914:
	global_load_u8 v0, v[4:5], off
	s_mov_b32 s8, 0
	s_mov_b32 s7, exec_lo
	s_wait_loadcnt 0x0
	v_cmpx_lt_i16_e32 0x7f, v0
	s_xor_b32 s7, exec_lo, s7
	s_cbranch_execz .LBB183_935
; %bb.915:
	v_cmp_ne_u16_e32 vcc_lo, 0x80, v0
	s_and_b32 s8, vcc_lo, exec_lo
	s_and_not1_saveexec_b32 s7, s7
	s_cbranch_execnz .LBB183_936
.LBB183_916:
	s_or_b32 exec_lo, exec_lo, s7
	v_mov_b32_e32 v6, 0
	s_and_saveexec_b32 s7, s8
	s_cbranch_execz .LBB183_918
.LBB183_917:
	v_and_b32_e32 v1, 0xffff, v0
	s_delay_alu instid0(VALU_DEP_1) | instskip(SKIP_1) | instid1(VALU_DEP_2)
	v_and_b32_e32 v3, 3, v1
	v_bfe_u32 v8, v1, 2, 5
	v_clz_i32_u32_e32 v6, v3
	s_delay_alu instid0(VALU_DEP_2) | instskip(NEXT) | instid1(VALU_DEP_2)
	v_cmp_eq_u32_e32 vcc_lo, 0, v8
	v_min_u32_e32 v6, 32, v6
	s_delay_alu instid0(VALU_DEP_1) | instskip(NEXT) | instid1(VALU_DEP_1)
	v_subrev_nc_u32_e32 v7, 29, v6
	v_dual_lshlrev_b32 v1, v7, v1 :: v_dual_sub_nc_u32 v6, 30, v6
	s_delay_alu instid0(VALU_DEP_1) | instskip(NEXT) | instid1(VALU_DEP_1)
	v_dual_lshlrev_b32 v0, 24, v0 :: v_dual_bitop2_b32 v1, 3, v1 bitop3:0x40
	v_dual_cndmask_b32 v6, v8, v6 :: v_dual_cndmask_b32 v1, v3, v1
	s_delay_alu instid0(VALU_DEP_2) | instskip(NEXT) | instid1(VALU_DEP_2)
	v_and_b32_e32 v0, 0x80000000, v0
	v_lshl_add_u32 v3, v6, 23, 0x37800000
	s_delay_alu instid0(VALU_DEP_3) | instskip(NEXT) | instid1(VALU_DEP_1)
	v_lshlrev_b32_e32 v1, 21, v1
	v_or3_b32 v0, v0, v3, v1
	s_delay_alu instid0(VALU_DEP_1)
	v_cvt_i32_f32_e32 v6, v0
.LBB183_918:
	s_or_b32 exec_lo, exec_lo, s7
	s_mov_b32 s7, 0
	s_branch .LBB183_924
.LBB183_919:
	s_mov_b32 s7, -1
                                        ; implicit-def: $vgpr6
	s_branch .LBB183_930
.LBB183_920:
	s_and_not1_saveexec_b32 s8, s8
	s_cbranch_execz .LBB183_905
.LBB183_921:
	v_cmp_ne_u16_e32 vcc_lo, 0, v0
	s_and_not1_b32 s10, s10, exec_lo
	s_and_b32 s11, vcc_lo, exec_lo
	s_delay_alu instid0(SALU_CYCLE_1)
	s_or_b32 s10, s10, s11
	s_or_b32 exec_lo, exec_lo, s8
	v_mov_b32_e32 v6, 0
	s_and_saveexec_b32 s8, s10
	s_cbranch_execnz .LBB183_906
	s_branch .LBB183_907
.LBB183_922:
	s_mov_b32 s7, -1
                                        ; implicit-def: $vgpr6
	s_branch .LBB183_927
.LBB183_923:
	s_mov_b32 s7, -1
                                        ; implicit-def: $vgpr6
.LBB183_924:
	s_delay_alu instid0(SALU_CYCLE_1)
	s_and_b32 vcc_lo, exec_lo, s7
	s_cbranch_vccz .LBB183_926
; %bb.925:
	global_load_u8 v0, v[4:5], off
	s_wait_loadcnt 0x0
	v_lshlrev_b32_e32 v0, 24, v0
	s_delay_alu instid0(VALU_DEP_1) | instskip(NEXT) | instid1(VALU_DEP_1)
	v_and_b32_e32 v1, 0x7f000000, v0
	v_clz_i32_u32_e32 v3, v1
	v_add_nc_u32_e32 v7, 0x1000000, v1
	v_cmp_ne_u32_e32 vcc_lo, 0, v1
	s_delay_alu instid0(VALU_DEP_3) | instskip(NEXT) | instid1(VALU_DEP_1)
	v_min_u32_e32 v3, 32, v3
	v_sub_nc_u32_e64 v3, v3, 4 clamp
	s_delay_alu instid0(VALU_DEP_1) | instskip(NEXT) | instid1(VALU_DEP_1)
	v_dual_lshlrev_b32 v6, v3, v1 :: v_dual_lshlrev_b32 v3, 23, v3
	v_lshrrev_b32_e32 v6, 4, v6
	s_delay_alu instid0(VALU_DEP_1) | instskip(SKIP_1) | instid1(VALU_DEP_2)
	v_sub_nc_u32_e32 v3, v6, v3
	v_ashrrev_i32_e32 v6, 8, v7
	v_add_nc_u32_e32 v3, 0x3c000000, v3
	s_delay_alu instid0(VALU_DEP_1) | instskip(NEXT) | instid1(VALU_DEP_1)
	v_and_or_b32 v3, 0x7f800000, v6, v3
	v_cndmask_b32_e32 v1, 0, v3, vcc_lo
	s_delay_alu instid0(VALU_DEP_1) | instskip(NEXT) | instid1(VALU_DEP_1)
	v_and_or_b32 v0, 0x80000000, v0, v1
	v_cvt_i32_f32_e32 v6, v0
.LBB183_926:
	s_mov_b32 s7, 0
.LBB183_927:
	s_delay_alu instid0(SALU_CYCLE_1)
	s_and_not1_b32 vcc_lo, exec_lo, s7
	s_cbranch_vccnz .LBB183_929
; %bb.928:
	global_load_u8 v0, v[4:5], off
	s_wait_loadcnt 0x0
	v_lshlrev_b32_e32 v1, 25, v0
	v_lshlrev_b16 v0, 8, v0
	s_delay_alu instid0(VALU_DEP_1) | instskip(SKIP_1) | instid1(VALU_DEP_2)
	v_and_or_b32 v6, 0x7f00, v0, 0.5
	v_bfe_i32 v0, v0, 0, 16
	v_dual_add_f32 v6, -0.5, v6 :: v_dual_lshrrev_b32 v3, 4, v1
	v_cmp_gt_u32_e32 vcc_lo, 0x8000000, v1
	s_delay_alu instid0(VALU_DEP_2) | instskip(NEXT) | instid1(VALU_DEP_1)
	v_or_b32_e32 v3, 0x70000000, v3
	v_mul_f32_e32 v3, 0x7800000, v3
	s_delay_alu instid0(VALU_DEP_1) | instskip(NEXT) | instid1(VALU_DEP_1)
	v_cndmask_b32_e32 v1, v3, v6, vcc_lo
	v_and_or_b32 v0, 0x80000000, v0, v1
	s_delay_alu instid0(VALU_DEP_1)
	v_cvt_i32_f32_e32 v6, v0
.LBB183_929:
	s_mov_b32 s7, 0
	s_mov_b32 s8, -1
.LBB183_930:
	s_and_not1_b32 vcc_lo, exec_lo, s7
	s_mov_b32 s7, 0
	s_cbranch_vccnz .LBB183_941
; %bb.931:
	s_cmp_gt_i32 s1, 14
	s_cbranch_scc0 .LBB183_934
; %bb.932:
	s_cmp_eq_u32 s1, 15
	s_cbranch_scc0 .LBB183_937
; %bb.933:
	global_load_u16 v0, v[4:5], off
	s_mov_b32 s6, 0
	s_mov_b32 s8, -1
	s_wait_loadcnt 0x0
	v_lshlrev_b32_e32 v0, 16, v0
	s_delay_alu instid0(VALU_DEP_1)
	v_cvt_i32_f32_e32 v6, v0
	s_branch .LBB183_939
.LBB183_934:
	s_mov_b32 s7, -1
	s_branch .LBB183_938
.LBB183_935:
	s_and_not1_saveexec_b32 s7, s7
	s_cbranch_execz .LBB183_916
.LBB183_936:
	v_cmp_ne_u16_e32 vcc_lo, 0, v0
	s_and_not1_b32 s8, s8, exec_lo
	s_and_b32 s10, vcc_lo, exec_lo
	s_delay_alu instid0(SALU_CYCLE_1)
	s_or_b32 s8, s8, s10
	s_or_b32 exec_lo, exec_lo, s7
	v_mov_b32_e32 v6, 0
	s_and_saveexec_b32 s7, s8
	s_cbranch_execnz .LBB183_917
	s_branch .LBB183_918
.LBB183_937:
	s_mov_b32 s6, -1
.LBB183_938:
                                        ; implicit-def: $vgpr6
.LBB183_939:
	s_and_b32 vcc_lo, exec_lo, s7
	s_mov_b32 s7, 0
	s_cbranch_vccz .LBB183_941
; %bb.940:
	s_cmp_lg_u32 s1, 11
	s_mov_b32 s7, -1
	s_cselect_b32 s1, -1, 0
	s_and_not1_b32 s6, s6, exec_lo
	s_and_b32 s1, s1, exec_lo
	s_delay_alu instid0(SALU_CYCLE_1)
	s_or_b32 s6, s6, s1
.LBB183_941:
	s_mov_b32 s1, 0
.LBB183_942:
	s_delay_alu instid0(SALU_CYCLE_1)
	s_and_b32 s26, s1, exec_lo
	s_and_not1_b32 s1, s0, exec_lo
	s_and_b32 s6, s6, exec_lo
	s_and_b32 s28, s8, exec_lo
	;; [unrolled: 1-line block ×3, first 2 shown]
	s_or_b32 s29, s1, s6
.LBB183_943:
	s_wait_xcnt 0x0
	s_or_b32 exec_lo, exec_lo, s39
	s_delay_alu instid0(SALU_CYCLE_1)
	s_and_not1_b32 s0, s0, exec_lo
	s_and_b32 s1, s29, exec_lo
	s_and_b32 s28, s28, exec_lo
	;; [unrolled: 1-line block ×4, first 2 shown]
	s_or_b32 s0, s0, s1
.LBB183_944:
	s_or_b32 exec_lo, exec_lo, s31
	s_delay_alu instid0(SALU_CYCLE_1)
	s_and_not1_b32 s1, s46, exec_lo
	s_and_b32 s6, s30, exec_lo
	s_and_b32 s0, s0, exec_lo
	s_or_b32 s46, s1, s6
	s_and_not1_b32 s1, s45, exec_lo
	s_and_b32 s28, s28, exec_lo
	s_and_b32 s26, s26, exec_lo
	;; [unrolled: 1-line block ×3, first 2 shown]
	s_or_b32 s45, s1, s0
.LBB183_945:
	s_or_b32 exec_lo, exec_lo, s47
	s_delay_alu instid0(SALU_CYCLE_1)
	s_and_not1_b32 s0, s42, exec_lo
	s_and_b32 s1, s46, exec_lo
	s_and_b32 s6, s45, exec_lo
	s_or_b32 s42, s0, s1
	s_and_not1_b32 s1, s43, exec_lo
	s_and_b32 s0, s28, exec_lo
	s_and_b32 s26, s26, exec_lo
	;; [unrolled: 1-line block ×3, first 2 shown]
	s_or_b32 s43, s1, s6
	s_or_b32 exec_lo, exec_lo, s44
	s_mov_b32 s1, 0
	s_and_saveexec_b32 s6, s43
	s_cbranch_execz .LBB183_283
.LBB183_946:
	s_mov_b32 s1, exec_lo
	s_and_not1_b32 s21, s21, exec_lo
	s_trap 2
	s_or_b32 exec_lo, exec_lo, s6
	s_and_saveexec_b32 s6, s21
	s_delay_alu instid0(SALU_CYCLE_1)
	s_xor_b32 s6, exec_lo, s6
	s_cbranch_execnz .LBB183_284
.LBB183_947:
	s_or_b32 exec_lo, exec_lo, s6
	s_and_saveexec_b32 s6, s26
	s_cbranch_execz .LBB183_993
.LBB183_948:
	s_sext_i32_i16 s7, s37
	s_delay_alu instid0(SALU_CYCLE_1)
	s_cmp_lt_i32 s7, 5
	s_cbranch_scc1 .LBB183_953
; %bb.949:
	s_cmp_lt_i32 s7, 8
	s_cbranch_scc1 .LBB183_954
; %bb.950:
	;; [unrolled: 3-line block ×3, first 2 shown]
	s_cmp_gt_i32 s7, 9
	s_cbranch_scc0 .LBB183_956
; %bb.952:
	global_load_b64 v[0:1], v[4:5], off
	s_mov_b32 s7, 0
	s_wait_loadcnt 0x0
	v_cvt_i32_f64_e32 v6, v[0:1]
	s_branch .LBB183_957
.LBB183_953:
                                        ; implicit-def: $vgpr6
	s_branch .LBB183_974
.LBB183_954:
                                        ; implicit-def: $vgpr6
	s_branch .LBB183_963
.LBB183_955:
	s_mov_b32 s7, -1
                                        ; implicit-def: $vgpr6
	s_branch .LBB183_960
.LBB183_956:
	s_mov_b32 s7, -1
                                        ; implicit-def: $vgpr6
.LBB183_957:
	s_delay_alu instid0(SALU_CYCLE_1)
	s_and_not1_b32 vcc_lo, exec_lo, s7
	s_cbranch_vccnz .LBB183_959
; %bb.958:
	global_load_b32 v0, v[4:5], off
	s_wait_loadcnt 0x0
	v_cvt_i32_f32_e32 v6, v0
.LBB183_959:
	s_mov_b32 s7, 0
.LBB183_960:
	s_delay_alu instid0(SALU_CYCLE_1)
	s_and_not1_b32 vcc_lo, exec_lo, s7
	s_cbranch_vccnz .LBB183_962
; %bb.961:
	global_load_b32 v0, v[4:5], off
	s_wait_loadcnt 0x0
	v_cvt_i16_f16_e32 v6, v0
.LBB183_962:
	s_cbranch_execnz .LBB183_973
.LBB183_963:
	s_sext_i32_i16 s7, s37
	s_delay_alu instid0(SALU_CYCLE_1)
	s_cmp_lt_i32 s7, 6
	s_cbranch_scc1 .LBB183_966
; %bb.964:
	s_cmp_gt_i32 s7, 6
	s_cbranch_scc0 .LBB183_967
; %bb.965:
	global_load_b64 v[0:1], v[4:5], off
	s_mov_b32 s7, 0
	s_wait_loadcnt 0x0
	v_cvt_i32_f64_e32 v6, v[0:1]
	s_branch .LBB183_968
.LBB183_966:
	s_mov_b32 s7, -1
                                        ; implicit-def: $vgpr6
	s_branch .LBB183_971
.LBB183_967:
	s_mov_b32 s7, -1
                                        ; implicit-def: $vgpr6
.LBB183_968:
	s_delay_alu instid0(SALU_CYCLE_1)
	s_and_not1_b32 vcc_lo, exec_lo, s7
	s_cbranch_vccnz .LBB183_970
; %bb.969:
	global_load_b32 v0, v[4:5], off
	s_wait_loadcnt 0x0
	v_cvt_i32_f32_e32 v6, v0
.LBB183_970:
	s_mov_b32 s7, 0
.LBB183_971:
	s_delay_alu instid0(SALU_CYCLE_1)
	s_and_not1_b32 vcc_lo, exec_lo, s7
	s_cbranch_vccnz .LBB183_973
; %bb.972:
	global_load_u16 v0, v[4:5], off
	s_wait_loadcnt 0x0
	v_cvt_i16_f16_e32 v6, v0
.LBB183_973:
	s_cbranch_execnz .LBB183_992
.LBB183_974:
	s_sext_i32_i16 s7, s37
	s_delay_alu instid0(SALU_CYCLE_1)
	s_cmp_lt_i32 s7, 2
	s_cbranch_scc1 .LBB183_978
; %bb.975:
	s_cmp_lt_i32 s7, 3
	s_cbranch_scc1 .LBB183_979
; %bb.976:
	s_cmp_gt_i32 s7, 3
	s_cbranch_scc0 .LBB183_980
; %bb.977:
	s_wait_loadcnt 0x0
	global_load_b64 v[6:7], v[4:5], off
	s_mov_b32 s7, 0
	s_branch .LBB183_981
.LBB183_978:
                                        ; implicit-def: $vgpr6
	s_branch .LBB183_987
.LBB183_979:
	s_mov_b32 s7, -1
                                        ; implicit-def: $vgpr6
	s_branch .LBB183_984
.LBB183_980:
	s_mov_b32 s7, -1
                                        ; implicit-def: $vgpr6
.LBB183_981:
	s_delay_alu instid0(SALU_CYCLE_1)
	s_and_not1_b32 vcc_lo, exec_lo, s7
	s_cbranch_vccnz .LBB183_983
; %bb.982:
	s_wait_loadcnt 0x0
	global_load_b32 v6, v[4:5], off
.LBB183_983:
	s_mov_b32 s7, 0
.LBB183_984:
	s_delay_alu instid0(SALU_CYCLE_1)
	s_and_not1_b32 vcc_lo, exec_lo, s7
	s_cbranch_vccnz .LBB183_986
; %bb.985:
	s_wait_loadcnt 0x0
	global_load_u16 v6, v[4:5], off
.LBB183_986:
	s_cbranch_execnz .LBB183_992
.LBB183_987:
	s_sext_i32_i16 s7, s37
	s_delay_alu instid0(SALU_CYCLE_1)
	s_cmp_gt_i32 s7, 0
	s_mov_b32 s7, 0
	s_cbranch_scc0 .LBB183_989
; %bb.988:
	s_wait_loadcnt 0x0
	global_load_u8 v6, v[4:5], off
	s_branch .LBB183_990
.LBB183_989:
	s_mov_b32 s7, -1
                                        ; implicit-def: $vgpr6
.LBB183_990:
	s_delay_alu instid0(SALU_CYCLE_1)
	s_and_not1_b32 vcc_lo, exec_lo, s7
	s_cbranch_vccnz .LBB183_992
; %bb.991:
	s_wait_loadcnt 0x0
	global_load_u8 v6, v[4:5], off
.LBB183_992:
	s_or_b32 s0, s0, exec_lo
.LBB183_993:
	s_wait_xcnt 0x0
	s_or_b32 exec_lo, exec_lo, s6
	s_mov_b32 s10, 0
	s_mov_b32 s8, 0
                                        ; implicit-def: $sgpr6
                                        ; implicit-def: $vgpr0_vgpr1
                                        ; implicit-def: $vgpr4
	s_and_saveexec_b32 s7, s0
	s_cbranch_execz .LBB183_997
; %bb.994:
	s_cmp_lt_i32 s16, 1
	s_mov_b32 s0, 0
	s_cbranch_scc1 .LBB183_1000
; %bb.995:
	s_cmp_eq_u32 s16, 1
	s_cbranch_scc0 .LBB183_1014
; %bb.996:
	s_wait_loadcnt 0x0
	s_delay_alu instid0(VALU_DEP_1)
	v_bfe_i32 v0, v6, 0, 8
	s_bfe_i32 s6, s17, 0x80000
	s_delay_alu instid0(VALU_DEP_1) | instid1(SALU_CYCLE_1)
	v_min_i16 v4, v0, s6
	s_mov_b32 s6, 0
	s_and_b32 vcc_lo, exec_lo, s8
	s_cbranch_vccnz .LBB183_1001
	s_branch .LBB183_1002
.LBB183_997:
	s_or_b32 exec_lo, exec_lo, s7
	s_and_saveexec_b32 s0, s42
	s_cbranch_execnz .LBB183_1084
.LBB183_998:
	s_or_b32 exec_lo, exec_lo, s0
	s_and_saveexec_b32 s0, s10
	s_delay_alu instid0(SALU_CYCLE_1)
	s_xor_b32 s0, exec_lo, s0
	s_cbranch_execz .LBB183_1085
.LBB183_999:
	v_and_b32_e32 v2, 0xff, v4
	s_delay_alu instid0(VALU_DEP_1)
	v_cmp_ne_u16_e32 vcc_lo, 0, v2
	v_cndmask_b32_e64 v2, 0, 1, vcc_lo
	global_store_b8 v[0:1], v2, off
	s_wait_xcnt 0x0
	s_or_b32 exec_lo, exec_lo, s0
	s_and_saveexec_b32 s0, s8
	s_delay_alu instid0(SALU_CYCLE_1)
	s_xor_b32 s0, exec_lo, s0
	s_cbranch_execz .LBB183_1123
	s_branch .LBB183_1086
.LBB183_1000:
	s_mov_b32 s6, 0
                                        ; implicit-def: $vgpr4
	s_cbranch_execz .LBB183_1002
.LBB183_1001:
	s_cmp_lg_u32 s16, 0
	s_mov_b32 s0, -1
	s_cselect_b32 s6, -1, 0
.LBB183_1002:
	s_wait_loadcnt 0x0
	s_delay_alu instid0(VALU_DEP_1)
	v_bfe_i32 v0, v6, 0, 8
	s_and_not1_b32 vcc_lo, exec_lo, s6
	s_cbranch_vccnz .LBB183_1004
; %bb.1003:
	s_bfe_i32 s0, s17, 0x80000
	s_delay_alu instid0(VALU_DEP_1) | instid1(SALU_CYCLE_1)
	v_max_i16 v1, v0, s0
	s_bfe_i32 s0, s9, 0x80000
	s_delay_alu instid0(VALU_DEP_1) | instid1(SALU_CYCLE_1)
	v_min_i16 v4, v1, s0
	s_cbranch_execz .LBB183_1005
	s_branch .LBB183_1006
.LBB183_1004:
	s_and_not1_b32 vcc_lo, exec_lo, s0
	s_cbranch_vccnz .LBB183_1006
.LBB183_1005:
	s_bfe_i32 s0, s17, 0x80000
	s_delay_alu instid0(SALU_CYCLE_1)
	v_max_i16 v4, v0, s0
.LBB183_1006:
	v_mov_b32_e32 v3, 0
	s_and_b32 s6, s18, 0xff
	s_delay_alu instid0(SALU_CYCLE_1) | instskip(NEXT) | instid1(VALU_DEP_1)
	s_cmp_lt_i32 s6, 11
	v_add_nc_u64_e32 v[0:1], s[4:5], v[2:3]
	s_cbranch_scc1 .LBB183_1013
; %bb.1007:
	s_and_b32 s4, 0xffff, s6
	s_mov_b32 s5, -1
	s_cmp_gt_i32 s4, 25
	s_mov_b32 s0, s42
	s_cbranch_scc0 .LBB183_1042
; %bb.1008:
	s_cmp_gt_i32 s4, 28
	s_mov_b32 s0, s42
	s_cbranch_scc0 .LBB183_1026
; %bb.1009:
	;; [unrolled: 4-line block ×4, first 2 shown]
	s_cmp_eq_u32 s4, 46
	s_mov_b32 s0, -1
	s_cbranch_scc0 .LBB183_1015
; %bb.1012:
	v_bfe_i32 v2, v4, 0, 8
	s_mov_b32 s0, 0
	s_mov_b32 s5, 0
	s_delay_alu instid0(VALU_DEP_1) | instskip(NEXT) | instid1(VALU_DEP_1)
	v_bfe_i32 v2, v2, 0, 16
	v_cvt_f32_i32_e32 v2, v2
	s_delay_alu instid0(VALU_DEP_1) | instskip(NEXT) | instid1(VALU_DEP_1)
	v_bfe_u32 v3, v2, 16, 1
	v_add3_u32 v2, v2, v3, 0x7fff
	s_delay_alu instid0(VALU_DEP_1)
	v_lshrrev_b32_e32 v2, 16, v2
	global_store_b32 v[0:1], v2, off
	s_branch .LBB183_1016
.LBB183_1013:
	s_mov_b32 s9, 0
	s_mov_b32 s5, -1
	s_mov_b32 s0, s42
	s_branch .LBB183_1083
.LBB183_1014:
	s_mov_b32 s6, -1
                                        ; implicit-def: $vgpr4
	s_and_b32 vcc_lo, exec_lo, s8
	s_cbranch_vccnz .LBB183_1001
	s_branch .LBB183_1002
.LBB183_1015:
	s_mov_b32 s5, 0
.LBB183_1016:
	s_delay_alu instid0(SALU_CYCLE_1)
	s_and_b32 vcc_lo, exec_lo, s5
	s_cbranch_vccz .LBB183_1021
; %bb.1017:
	s_cmp_eq_u32 s4, 44
	s_mov_b32 s0, -1
	s_cbranch_scc0 .LBB183_1021
; %bb.1018:
	s_wait_xcnt 0x0
	v_bfe_i32 v2, v4, 0, 8
	v_mov_b32_e32 v3, 0xff
	s_mov_b32 s5, exec_lo
	s_delay_alu instid0(VALU_DEP_2) | instskip(NEXT) | instid1(VALU_DEP_1)
	v_bfe_i32 v2, v2, 0, 16
	v_cvt_f32_i32_e32 v2, v2
	s_delay_alu instid0(VALU_DEP_1) | instskip(NEXT) | instid1(VALU_DEP_1)
	v_bfe_u32 v5, v2, 23, 8
	v_cmpx_ne_u32_e32 0xff, v5
	s_cbranch_execz .LBB183_1020
; %bb.1019:
	v_and_b32_e32 v3, 0x400000, v2
	v_and_or_b32 v5, 0x3fffff, v2, v5
	v_lshrrev_b32_e32 v2, 23, v2
	s_delay_alu instid0(VALU_DEP_3) | instskip(NEXT) | instid1(VALU_DEP_3)
	v_cmp_ne_u32_e32 vcc_lo, 0, v3
	v_cmp_ne_u32_e64 s0, 0, v5
	s_and_b32 s0, vcc_lo, s0
	s_delay_alu instid0(SALU_CYCLE_1) | instskip(NEXT) | instid1(VALU_DEP_1)
	v_cndmask_b32_e64 v3, 0, 1, s0
	v_add_nc_u32_e32 v3, v2, v3
.LBB183_1020:
	s_or_b32 exec_lo, exec_lo, s5
	s_mov_b32 s0, 0
	global_store_b8 v[0:1], v3, off
.LBB183_1021:
	s_mov_b32 s5, 0
.LBB183_1022:
	s_delay_alu instid0(SALU_CYCLE_1)
	s_and_b32 vcc_lo, exec_lo, s5
	s_cbranch_vccz .LBB183_1025
; %bb.1023:
	s_cmp_eq_u32 s4, 29
	s_mov_b32 s0, -1
	s_cbranch_scc0 .LBB183_1025
; %bb.1024:
	s_wait_xcnt 0x0
	v_bfe_i32 v2, v4, 0, 8
	s_mov_b32 s0, 0
	s_mov_b32 s5, 0
	s_delay_alu instid0(VALU_DEP_1)
	v_ashrrev_i32_e32 v3, 31, v2
	global_store_b64 v[0:1], v[2:3], off
	s_branch .LBB183_1026
.LBB183_1025:
	s_mov_b32 s5, 0
.LBB183_1026:
	s_delay_alu instid0(SALU_CYCLE_1)
	s_and_b32 vcc_lo, exec_lo, s5
	s_cbranch_vccz .LBB183_1041
; %bb.1027:
	s_cmp_lt_i32 s4, 27
	s_mov_b32 s5, -1
	s_cbranch_scc1 .LBB183_1033
; %bb.1028:
	s_cmp_gt_i32 s4, 27
	s_cbranch_scc0 .LBB183_1030
; %bb.1029:
	s_wait_xcnt 0x0
	v_bfe_i32 v2, v4, 0, 8
	s_mov_b32 s5, 0
	global_store_b32 v[0:1], v2, off
.LBB183_1030:
	s_and_not1_b32 vcc_lo, exec_lo, s5
	s_cbranch_vccnz .LBB183_1032
; %bb.1031:
	s_wait_xcnt 0x0
	v_bfe_i32 v2, v4, 0, 8
	global_store_b16 v[0:1], v2, off
.LBB183_1032:
	s_mov_b32 s5, 0
.LBB183_1033:
	s_delay_alu instid0(SALU_CYCLE_1)
	s_and_not1_b32 vcc_lo, exec_lo, s5
	s_cbranch_vccnz .LBB183_1041
; %bb.1034:
	s_wait_xcnt 0x0
	v_bfe_i32 v2, v4, 0, 8
	v_mov_b32_e32 v5, 0x80
	s_mov_b32 s5, exec_lo
	s_delay_alu instid0(VALU_DEP_2) | instskip(NEXT) | instid1(VALU_DEP_1)
	v_bfe_i32 v2, v2, 0, 16
	v_cvt_f32_i32_e32 v2, v2
	s_delay_alu instid0(VALU_DEP_1) | instskip(NEXT) | instid1(VALU_DEP_1)
	v_and_b32_e32 v3, 0x7fffffff, v2
	v_cmpx_gt_u32_e32 0x43800000, v3
	s_cbranch_execz .LBB183_1040
; %bb.1035:
	v_cmp_lt_u32_e32 vcc_lo, 0x3bffffff, v3
	s_mov_b32 s8, 0
                                        ; implicit-def: $vgpr3
	s_and_saveexec_b32 s9, vcc_lo
	s_delay_alu instid0(SALU_CYCLE_1)
	s_xor_b32 s9, exec_lo, s9
	s_cbranch_execz .LBB183_1198
; %bb.1036:
	v_bfe_u32 v3, v2, 20, 1
	s_mov_b32 s8, exec_lo
	s_delay_alu instid0(VALU_DEP_1) | instskip(NEXT) | instid1(VALU_DEP_1)
	v_add3_u32 v3, v2, v3, 0x487ffff
	v_lshrrev_b32_e32 v3, 20, v3
	s_and_not1_saveexec_b32 s9, s9
	s_cbranch_execnz .LBB183_1199
.LBB183_1037:
	s_or_b32 exec_lo, exec_lo, s9
	v_mov_b32_e32 v5, 0
	s_and_saveexec_b32 s9, s8
.LBB183_1038:
	v_lshrrev_b32_e32 v2, 24, v2
	s_delay_alu instid0(VALU_DEP_1)
	v_and_or_b32 v5, 0x80, v2, v3
.LBB183_1039:
	s_or_b32 exec_lo, exec_lo, s9
.LBB183_1040:
	s_delay_alu instid0(SALU_CYCLE_1)
	s_or_b32 exec_lo, exec_lo, s5
	global_store_b8 v[0:1], v5, off
.LBB183_1041:
	s_mov_b32 s5, 0
.LBB183_1042:
	s_delay_alu instid0(SALU_CYCLE_1)
	s_and_b32 vcc_lo, exec_lo, s5
	s_mov_b32 s5, 0
	s_cbranch_vccz .LBB183_1082
; %bb.1043:
	s_cmp_gt_i32 s4, 22
	s_mov_b32 s8, -1
	s_cbranch_scc0 .LBB183_1075
; %bb.1044:
	s_cmp_lt_i32 s4, 24
	s_cbranch_scc1 .LBB183_1064
; %bb.1045:
	s_cmp_gt_i32 s4, 24
	s_cbranch_scc0 .LBB183_1053
; %bb.1046:
	s_wait_xcnt 0x0
	v_bfe_i32 v2, v4, 0, 8
	v_mov_b32_e32 v5, 0x80
	s_mov_b32 s8, exec_lo
	s_delay_alu instid0(VALU_DEP_2) | instskip(NEXT) | instid1(VALU_DEP_1)
	v_bfe_i32 v2, v2, 0, 16
	v_cvt_f32_i32_e32 v2, v2
	s_delay_alu instid0(VALU_DEP_1) | instskip(NEXT) | instid1(VALU_DEP_1)
	v_and_b32_e32 v3, 0x7fffffff, v2
	v_cmpx_gt_u32_e32 0x47800000, v3
	s_cbranch_execz .LBB183_1052
; %bb.1047:
	v_cmp_lt_u32_e32 vcc_lo, 0x37ffffff, v3
	s_mov_b32 s9, 0
                                        ; implicit-def: $vgpr3
	s_and_saveexec_b32 s10, vcc_lo
	s_delay_alu instid0(SALU_CYCLE_1)
	s_xor_b32 s10, exec_lo, s10
	s_cbranch_execz .LBB183_1329
; %bb.1048:
	v_bfe_u32 v3, v2, 21, 1
	s_mov_b32 s9, exec_lo
	s_delay_alu instid0(VALU_DEP_1) | instskip(NEXT) | instid1(VALU_DEP_1)
	v_add3_u32 v3, v2, v3, 0x88fffff
	v_lshrrev_b32_e32 v3, 21, v3
	s_and_not1_saveexec_b32 s10, s10
	s_cbranch_execnz .LBB183_1330
.LBB183_1049:
	s_or_b32 exec_lo, exec_lo, s10
	v_mov_b32_e32 v5, 0
	s_and_saveexec_b32 s10, s9
.LBB183_1050:
	v_lshrrev_b32_e32 v2, 24, v2
	s_delay_alu instid0(VALU_DEP_1)
	v_and_or_b32 v5, 0x80, v2, v3
.LBB183_1051:
	s_or_b32 exec_lo, exec_lo, s10
.LBB183_1052:
	s_delay_alu instid0(SALU_CYCLE_1)
	s_or_b32 exec_lo, exec_lo, s8
	s_mov_b32 s8, 0
	global_store_b8 v[0:1], v5, off
.LBB183_1053:
	s_and_b32 vcc_lo, exec_lo, s8
	s_cbranch_vccz .LBB183_1063
; %bb.1054:
	s_wait_xcnt 0x0
	v_bfe_i32 v2, v4, 0, 8
	s_mov_b32 s8, exec_lo
                                        ; implicit-def: $vgpr3
	s_delay_alu instid0(VALU_DEP_1) | instskip(NEXT) | instid1(VALU_DEP_1)
	v_bfe_i32 v2, v2, 0, 16
	v_cvt_f32_i32_e32 v2, v2
	s_delay_alu instid0(VALU_DEP_1) | instskip(NEXT) | instid1(VALU_DEP_1)
	v_and_b32_e32 v5, 0x7fffffff, v2
	v_cmpx_gt_u32_e32 0x43f00000, v5
	s_xor_b32 s8, exec_lo, s8
	s_cbranch_execz .LBB183_1060
; %bb.1055:
	s_mov_b32 s9, exec_lo
                                        ; implicit-def: $vgpr3
	v_cmpx_lt_u32_e32 0x3c7fffff, v5
	s_xor_b32 s9, exec_lo, s9
; %bb.1056:
	v_bfe_u32 v3, v2, 20, 1
	s_delay_alu instid0(VALU_DEP_1) | instskip(NEXT) | instid1(VALU_DEP_1)
	v_add3_u32 v3, v2, v3, 0x407ffff
	v_and_b32_e32 v5, 0xff00000, v3
	v_lshrrev_b32_e32 v3, 20, v3
	s_delay_alu instid0(VALU_DEP_2) | instskip(NEXT) | instid1(VALU_DEP_2)
	v_cmp_ne_u32_e32 vcc_lo, 0x7f00000, v5
	v_cndmask_b32_e32 v3, 0x7e, v3, vcc_lo
; %bb.1057:
	s_and_not1_saveexec_b32 s9, s9
; %bb.1058:
	v_add_f32_e64 v3, 0x46800000, |v2|
; %bb.1059:
	s_or_b32 exec_lo, exec_lo, s9
                                        ; implicit-def: $vgpr5
.LBB183_1060:
	s_and_not1_saveexec_b32 s8, s8
; %bb.1061:
	v_mov_b32_e32 v3, 0x7f
	v_cmp_lt_u32_e32 vcc_lo, 0x7f800000, v5
	s_delay_alu instid0(VALU_DEP_2)
	v_cndmask_b32_e32 v3, 0x7e, v3, vcc_lo
; %bb.1062:
	s_or_b32 exec_lo, exec_lo, s8
	v_lshrrev_b32_e32 v2, 24, v2
	s_delay_alu instid0(VALU_DEP_1)
	v_and_or_b32 v2, 0x80, v2, v3
	global_store_b8 v[0:1], v2, off
.LBB183_1063:
	s_mov_b32 s8, 0
.LBB183_1064:
	s_delay_alu instid0(SALU_CYCLE_1)
	s_and_not1_b32 vcc_lo, exec_lo, s8
	s_cbranch_vccnz .LBB183_1074
; %bb.1065:
	s_wait_xcnt 0x0
	v_bfe_i32 v2, v4, 0, 8
	s_mov_b32 s8, exec_lo
                                        ; implicit-def: $vgpr3
	s_delay_alu instid0(VALU_DEP_1) | instskip(NEXT) | instid1(VALU_DEP_1)
	v_bfe_i32 v2, v2, 0, 16
	v_cvt_f32_i32_e32 v2, v2
	s_delay_alu instid0(VALU_DEP_1) | instskip(NEXT) | instid1(VALU_DEP_1)
	v_and_b32_e32 v5, 0x7fffffff, v2
	v_cmpx_gt_u32_e32 0x47800000, v5
	s_xor_b32 s8, exec_lo, s8
	s_cbranch_execz .LBB183_1071
; %bb.1066:
	s_mov_b32 s9, exec_lo
                                        ; implicit-def: $vgpr3
	v_cmpx_lt_u32_e32 0x387fffff, v5
	s_xor_b32 s9, exec_lo, s9
; %bb.1067:
	v_bfe_u32 v3, v2, 21, 1
	s_delay_alu instid0(VALU_DEP_1) | instskip(NEXT) | instid1(VALU_DEP_1)
	v_add3_u32 v3, v2, v3, 0x80fffff
	v_lshrrev_b32_e32 v3, 21, v3
; %bb.1068:
	s_and_not1_saveexec_b32 s9, s9
; %bb.1069:
	v_add_f32_e64 v3, 0x43000000, |v2|
; %bb.1070:
	s_or_b32 exec_lo, exec_lo, s9
                                        ; implicit-def: $vgpr5
.LBB183_1071:
	s_and_not1_saveexec_b32 s8, s8
; %bb.1072:
	v_mov_b32_e32 v3, 0x7f
	v_cmp_lt_u32_e32 vcc_lo, 0x7f800000, v5
	s_delay_alu instid0(VALU_DEP_2)
	v_cndmask_b32_e32 v3, 0x7c, v3, vcc_lo
; %bb.1073:
	s_or_b32 exec_lo, exec_lo, s8
	v_lshrrev_b32_e32 v2, 24, v2
	s_delay_alu instid0(VALU_DEP_1)
	v_and_or_b32 v2, 0x80, v2, v3
	global_store_b8 v[0:1], v2, off
.LBB183_1074:
	s_mov_b32 s8, 0
.LBB183_1075:
	s_delay_alu instid0(SALU_CYCLE_1)
	s_and_not1_b32 vcc_lo, exec_lo, s8
	s_mov_b32 s9, 0
	s_cbranch_vccnz .LBB183_1083
; %bb.1076:
	s_cmp_gt_i32 s4, 14
	s_mov_b32 s8, -1
	s_cbranch_scc0 .LBB183_1080
; %bb.1077:
	s_cmp_eq_u32 s4, 15
	s_mov_b32 s0, -1
	s_cbranch_scc0 .LBB183_1079
; %bb.1078:
	s_wait_xcnt 0x0
	v_bfe_i32 v2, v4, 0, 8
	s_mov_b32 s0, 0
	s_delay_alu instid0(VALU_DEP_1) | instskip(NEXT) | instid1(VALU_DEP_1)
	v_bfe_i32 v2, v2, 0, 16
	v_cvt_f32_i32_e32 v2, v2
	s_delay_alu instid0(VALU_DEP_1) | instskip(NEXT) | instid1(VALU_DEP_1)
	v_bfe_u32 v3, v2, 16, 1
	v_add3_u32 v2, v2, v3, 0x7fff
	global_store_d16_hi_b16 v[0:1], v2, off
.LBB183_1079:
	s_mov_b32 s8, 0
.LBB183_1080:
	s_delay_alu instid0(SALU_CYCLE_1)
	s_and_b32 vcc_lo, exec_lo, s8
	s_cbranch_vccz .LBB183_1083
; %bb.1081:
	s_cmp_lg_u32 s4, 11
	s_mov_b32 s9, -1
	s_cselect_b32 s4, -1, 0
	s_and_not1_b32 s0, s0, exec_lo
	s_and_b32 s4, s4, exec_lo
	s_delay_alu instid0(SALU_CYCLE_1)
	s_or_b32 s0, s0, s4
	s_branch .LBB183_1083
.LBB183_1082:
	s_mov_b32 s9, 0
.LBB183_1083:
	s_and_not1_b32 s4, s42, exec_lo
	s_and_b32 s0, s0, exec_lo
	s_and_b32 s8, s5, exec_lo
	s_and_b32 s10, s9, exec_lo
	s_or_b32 s42, s4, s0
	s_wait_xcnt 0x0
	s_or_b32 exec_lo, exec_lo, s7
	s_and_saveexec_b32 s0, s42
	s_cbranch_execz .LBB183_998
.LBB183_1084:
	s_or_b32 s1, s1, exec_lo
	s_and_not1_b32 s10, s10, exec_lo
	s_trap 2
	s_or_b32 exec_lo, exec_lo, s0
	s_and_saveexec_b32 s0, s10
	s_delay_alu instid0(SALU_CYCLE_1)
	s_xor_b32 s0, exec_lo, s0
	s_cbranch_execnz .LBB183_999
.LBB183_1085:
	s_or_b32 exec_lo, exec_lo, s0
	s_and_saveexec_b32 s0, s8
	s_delay_alu instid0(SALU_CYCLE_1)
	s_xor_b32 s0, exec_lo, s0
	s_cbranch_execz .LBB183_1123
.LBB183_1086:
	s_sext_i32_i16 s5, s6
	s_mov_b32 s4, -1
	s_cmp_lt_i32 s5, 5
	s_cbranch_scc1 .LBB183_1107
; %bb.1087:
	s_cmp_lt_i32 s5, 8
	s_cbranch_scc1 .LBB183_1097
; %bb.1088:
	;; [unrolled: 3-line block ×3, first 2 shown]
	s_cmp_gt_i32 s5, 9
	s_cbranch_scc0 .LBB183_1091
; %bb.1090:
	v_bfe_i32 v2, v4, 0, 8
	v_mov_b32_e32 v8, 0
	s_mov_b32 s4, 0
	s_delay_alu instid0(VALU_DEP_2) | instskip(NEXT) | instid1(VALU_DEP_2)
	v_bfe_i32 v2, v2, 0, 16
	v_mov_b32_e32 v9, v8
	s_wait_loadcnt 0x0
	s_delay_alu instid0(VALU_DEP_2)
	v_cvt_f64_i32_e32 v[6:7], v2
	global_store_b128 v[0:1], v[6:9], off
.LBB183_1091:
	s_and_not1_b32 vcc_lo, exec_lo, s4
	s_cbranch_vccnz .LBB183_1093
; %bb.1092:
	v_bfe_i32 v2, v4, 0, 8
	v_mov_b32_e32 v3, 0
	s_delay_alu instid0(VALU_DEP_2) | instskip(NEXT) | instid1(VALU_DEP_1)
	v_bfe_i32 v2, v2, 0, 16
	v_cvt_f32_i32_e32 v2, v2
	global_store_b64 v[0:1], v[2:3], off
.LBB183_1093:
	s_mov_b32 s4, 0
.LBB183_1094:
	s_delay_alu instid0(SALU_CYCLE_1)
	s_and_not1_b32 vcc_lo, exec_lo, s4
	s_cbranch_vccnz .LBB183_1096
; %bb.1095:
	s_wait_xcnt 0x0
	v_bfe_i32 v2, v4, 0, 8
	s_delay_alu instid0(VALU_DEP_1) | instskip(NEXT) | instid1(VALU_DEP_1)
	v_cvt_f16_i16_e32 v2, v2
	v_and_b32_e32 v2, 0xffff, v2
	global_store_b32 v[0:1], v2, off
.LBB183_1096:
	s_mov_b32 s4, 0
.LBB183_1097:
	s_delay_alu instid0(SALU_CYCLE_1)
	s_and_not1_b32 vcc_lo, exec_lo, s4
	s_cbranch_vccnz .LBB183_1106
; %bb.1098:
	s_sext_i32_i16 s5, s6
	s_mov_b32 s4, -1
	s_cmp_lt_i32 s5, 6
	s_cbranch_scc1 .LBB183_1104
; %bb.1099:
	s_cmp_gt_i32 s5, 6
	s_cbranch_scc0 .LBB183_1101
; %bb.1100:
	s_wait_xcnt 0x0
	v_bfe_i32 v2, v4, 0, 8
	s_mov_b32 s4, 0
	s_delay_alu instid0(VALU_DEP_1) | instskip(NEXT) | instid1(VALU_DEP_1)
	v_bfe_i32 v2, v2, 0, 16
	v_cvt_f64_i32_e32 v[2:3], v2
	global_store_b64 v[0:1], v[2:3], off
.LBB183_1101:
	s_and_not1_b32 vcc_lo, exec_lo, s4
	s_cbranch_vccnz .LBB183_1103
; %bb.1102:
	s_wait_xcnt 0x0
	v_bfe_i32 v2, v4, 0, 8
	s_delay_alu instid0(VALU_DEP_1) | instskip(NEXT) | instid1(VALU_DEP_1)
	v_bfe_i32 v2, v2, 0, 16
	v_cvt_f32_i32_e32 v2, v2
	global_store_b32 v[0:1], v2, off
.LBB183_1103:
	s_mov_b32 s4, 0
.LBB183_1104:
	s_delay_alu instid0(SALU_CYCLE_1)
	s_and_not1_b32 vcc_lo, exec_lo, s4
	s_cbranch_vccnz .LBB183_1106
; %bb.1105:
	s_wait_xcnt 0x0
	v_bfe_i32 v2, v4, 0, 8
	s_delay_alu instid0(VALU_DEP_1)
	v_cvt_f16_i16_e32 v2, v2
	global_store_b16 v[0:1], v2, off
.LBB183_1106:
	s_mov_b32 s4, 0
.LBB183_1107:
	s_delay_alu instid0(SALU_CYCLE_1)
	s_and_not1_b32 vcc_lo, exec_lo, s4
	s_cbranch_vccnz .LBB183_1123
; %bb.1108:
	s_sext_i32_i16 s5, s6
	s_mov_b32 s4, -1
	s_cmp_lt_i32 s5, 2
	s_cbranch_scc1 .LBB183_1118
; %bb.1109:
	s_cmp_lt_i32 s5, 3
	s_cbranch_scc1 .LBB183_1115
; %bb.1110:
	s_cmp_gt_i32 s5, 3
	s_cbranch_scc0 .LBB183_1112
; %bb.1111:
	s_wait_xcnt 0x0
	v_bfe_i32 v2, v4, 0, 8
	s_mov_b32 s4, 0
	s_delay_alu instid0(VALU_DEP_1)
	v_ashrrev_i32_e32 v3, 31, v2
	global_store_b64 v[0:1], v[2:3], off
.LBB183_1112:
	s_and_not1_b32 vcc_lo, exec_lo, s4
	s_cbranch_vccnz .LBB183_1114
; %bb.1113:
	s_wait_xcnt 0x0
	v_bfe_i32 v2, v4, 0, 8
	global_store_b32 v[0:1], v2, off
.LBB183_1114:
	s_mov_b32 s4, 0
.LBB183_1115:
	s_delay_alu instid0(SALU_CYCLE_1)
	s_and_not1_b32 vcc_lo, exec_lo, s4
	s_cbranch_vccnz .LBB183_1117
; %bb.1116:
	s_wait_xcnt 0x0
	v_bfe_i32 v2, v4, 0, 8
	global_store_b16 v[0:1], v2, off
.LBB183_1117:
	s_mov_b32 s4, 0
.LBB183_1118:
	s_delay_alu instid0(SALU_CYCLE_1)
	s_and_not1_b32 vcc_lo, exec_lo, s4
	s_cbranch_vccnz .LBB183_1123
; %bb.1119:
	s_sext_i32_i16 s4, s6
	s_delay_alu instid0(SALU_CYCLE_1)
	s_cmp_gt_i32 s4, 0
	s_mov_b32 s4, -1
	s_cbranch_scc0 .LBB183_1121
; %bb.1120:
	s_mov_b32 s4, 0
	global_store_b8 v[0:1], v4, off
.LBB183_1121:
	s_and_not1_b32 vcc_lo, exec_lo, s4
	s_cbranch_vccnz .LBB183_1123
; %bb.1122:
	global_store_b8 v[0:1], v4, off
.LBB183_1123:
	s_wait_xcnt 0x0
	s_or_b32 exec_lo, exec_lo, s0
	s_delay_alu instid0(SALU_CYCLE_1)
	s_and_b32 s8, s1, exec_lo
                                        ; implicit-def: $vgpr9
                                        ; implicit-def: $vgpr0
.LBB183_1124:
	s_or_saveexec_b32 s9, s36
	s_mov_b32 s0, 0
                                        ; implicit-def: $vgpr2_vgpr3
                                        ; implicit-def: $sgpr1
                                        ; implicit-def: $vgpr8
	s_xor_b32 exec_lo, exec_lo, s9
	s_cbranch_execz .LBB183_1721
; %bb.1125:
	v_cndmask_b32_e64 v1, 0, 1, s35
	s_and_not1_b32 vcc_lo, exec_lo, s35
	s_cbranch_vccnz .LBB183_1131
; %bb.1126:
	s_cmp_lg_u32 s19, 0
	s_mov_b32 s10, 0
	s_cbranch_scc0 .LBB183_1132
; %bb.1127:
	s_min_u32 s1, s33, 15
	s_delay_alu instid0(SALU_CYCLE_1)
	s_add_co_i32 s1, s1, 1
	s_cmp_eq_u32 s33, 2
	s_cbranch_scc1 .LBB183_1133
; %bb.1128:
	s_wait_loadcnt 0x0
	v_dual_mov_b32 v6, 0 :: v_dual_mov_b32 v14, 0
	v_mov_b32_e32 v2, v0
	s_and_b32 s0, s1, 28
	s_add_nc_u64 s[4:5], s[2:3], 0xc4
	s_mov_b32 s11, 0
	s_mov_b64 s[6:7], s[2:3]
.LBB183_1129:                           ; =>This Inner Loop Header: Depth=1
	s_clause 0x1
	s_load_b256 s[20:27], s[6:7], 0x4
	s_load_b128 s[12:15], s[6:7], 0x24
	s_load_b256 s[36:43], s[4:5], 0x0
	s_add_co_i32 s11, s11, 4
	s_wait_xcnt 0x0
	s_add_nc_u64 s[6:7], s[6:7], 48
	s_cmp_lg_u32 s0, s11
	s_add_nc_u64 s[4:5], s[4:5], 32
	s_wait_kmcnt 0x0
	v_mul_hi_u32 v3, s21, v2
	s_delay_alu instid0(VALU_DEP_1) | instskip(NEXT) | instid1(VALU_DEP_1)
	v_add_nc_u32_e32 v3, v2, v3
	v_lshrrev_b32_e32 v3, s22, v3
	s_delay_alu instid0(VALU_DEP_1) | instskip(NEXT) | instid1(VALU_DEP_1)
	v_mul_hi_u32 v4, s24, v3
	v_add_nc_u32_e32 v4, v3, v4
	s_delay_alu instid0(VALU_DEP_1) | instskip(NEXT) | instid1(VALU_DEP_1)
	v_lshrrev_b32_e32 v4, s25, v4
	v_mul_hi_u32 v5, s27, v4
	s_delay_alu instid0(VALU_DEP_1) | instskip(SKIP_1) | instid1(VALU_DEP_1)
	v_add_nc_u32_e32 v5, v4, v5
	v_mul_lo_u32 v7, v3, s20
	v_sub_nc_u32_e32 v2, v2, v7
	v_mul_lo_u32 v7, v4, s23
	s_delay_alu instid0(VALU_DEP_4) | instskip(NEXT) | instid1(VALU_DEP_3)
	v_lshrrev_b32_e32 v5, s12, v5
	v_mad_u32 v10, v2, s37, v14
	v_mad_u32 v2, v2, s36, v6
	s_delay_alu instid0(VALU_DEP_4) | instskip(NEXT) | instid1(VALU_DEP_4)
	v_sub_nc_u32_e32 v3, v3, v7
	v_mul_hi_u32 v8, s14, v5
	v_mul_lo_u32 v6, v5, s26
	s_delay_alu instid0(VALU_DEP_1) | instskip(NEXT) | instid1(VALU_DEP_4)
	v_dual_add_nc_u32 v7, v5, v8 :: v_dual_sub_nc_u32 v4, v4, v6
	v_mad_u32 v8, v3, s39, v10
	v_mad_u32 v3, v3, s38, v2
	s_delay_alu instid0(VALU_DEP_3) | instskip(NEXT) | instid1(VALU_DEP_1)
	v_lshrrev_b32_e32 v2, s15, v7
	v_mul_lo_u32 v6, v2, s13
	s_delay_alu instid0(VALU_DEP_4) | instskip(NEXT) | instid1(VALU_DEP_4)
	v_mad_u32 v7, v4, s41, v8
	v_mad_u32 v3, v4, s40, v3
	s_delay_alu instid0(VALU_DEP_3) | instskip(NEXT) | instid1(VALU_DEP_1)
	v_sub_nc_u32_e32 v4, v5, v6
	v_mad_u32 v14, v4, s43, v7
	s_delay_alu instid0(VALU_DEP_3)
	v_mad_u32 v6, v4, s42, v3
	s_cbranch_scc1 .LBB183_1129
; %bb.1130:
	s_delay_alu instid0(VALU_DEP_2)
	v_mov_b32_e32 v7, v14
	s_and_b32 s6, s1, 3
	s_mov_b32 s1, 0
	s_cmp_eq_u32 s6, 0
	s_cbranch_scc0 .LBB183_1134
	s_branch .LBB183_1137
.LBB183_1131:
	s_mov_b32 s10, -1
                                        ; implicit-def: $vgpr14
                                        ; implicit-def: $vgpr6
	s_branch .LBB183_1137
.LBB183_1132:
	s_wait_loadcnt 0x0
	v_dual_mov_b32 v14, 0 :: v_dual_mov_b32 v6, 0
	s_branch .LBB183_1137
.LBB183_1133:
	s_wait_loadcnt 0x0
	v_mov_b64_e32 v[6:7], 0
	v_mov_b32_e32 v2, v0
                                        ; implicit-def: $vgpr14
	s_and_b32 s6, s1, 3
	s_mov_b32 s1, 0
	s_cmp_eq_u32 s6, 0
	s_cbranch_scc1 .LBB183_1137
.LBB183_1134:
	s_lshl_b32 s4, s0, 3
	s_mov_b32 s5, s1
	s_mul_u64 s[12:13], s[0:1], 12
	s_add_nc_u64 s[4:5], s[2:3], s[4:5]
	s_delay_alu instid0(SALU_CYCLE_1)
	s_add_nc_u64 s[0:1], s[4:5], 0xc4
	s_add_nc_u64 s[4:5], s[2:3], s[12:13]
.LBB183_1135:                           ; =>This Inner Loop Header: Depth=1
	s_load_b96 s[12:14], s[4:5], 0x4
	s_add_co_i32 s6, s6, -1
	s_wait_xcnt 0x0
	s_add_nc_u64 s[4:5], s[4:5], 12
	s_cmp_lg_u32 s6, 0
	s_wait_kmcnt 0x0
	v_mul_hi_u32 v3, s13, v2
	s_delay_alu instid0(VALU_DEP_1) | instskip(NEXT) | instid1(VALU_DEP_1)
	v_add_nc_u32_e32 v3, v2, v3
	v_lshrrev_b32_e32 v3, s14, v3
	s_load_b64 s[14:15], s[0:1], 0x0
	s_wait_xcnt 0x0
	s_add_nc_u64 s[0:1], s[0:1], 8
	s_delay_alu instid0(VALU_DEP_1) | instskip(NEXT) | instid1(VALU_DEP_1)
	v_mul_lo_u32 v4, v3, s12
	v_sub_nc_u32_e32 v2, v2, v4
	s_wait_kmcnt 0x0
	s_delay_alu instid0(VALU_DEP_1)
	v_mad_u32 v7, v2, s15, v7
	v_mad_u32 v6, v2, s14, v6
	v_mov_b32_e32 v2, v3
	s_cbranch_scc1 .LBB183_1135
; %bb.1136:
	s_delay_alu instid0(VALU_DEP_3)
	v_mov_b32_e32 v14, v7
.LBB183_1137:
	s_and_not1_b32 vcc_lo, exec_lo, s10
	s_cbranch_vccnz .LBB183_1140
; %bb.1138:
	s_clause 0x1
	s_load_b96 s[4:6], s[2:3], 0x4
	s_load_b64 s[0:1], s[2:3], 0xc4
	s_cmp_lt_u32 s19, 2
	s_wait_kmcnt 0x0
	v_mul_hi_u32 v2, s5, v0
	s_delay_alu instid0(VALU_DEP_1) | instskip(NEXT) | instid1(VALU_DEP_1)
	v_add_nc_u32_e32 v2, v0, v2
	v_lshrrev_b32_e32 v2, s6, v2
	s_delay_alu instid0(VALU_DEP_1) | instskip(NEXT) | instid1(VALU_DEP_1)
	v_mul_lo_u32 v3, v2, s4
	v_sub_nc_u32_e32 v3, v0, v3
	s_delay_alu instid0(VALU_DEP_1)
	v_mul_lo_u32 v14, v3, s1
	s_wait_loadcnt 0x0
	v_mul_lo_u32 v6, v3, s0
	s_cbranch_scc1 .LBB183_1140
; %bb.1139:
	s_clause 0x1
	s_load_b96 s[4:6], s[2:3], 0x10
	s_load_b64 s[0:1], s[2:3], 0xcc
	s_wait_kmcnt 0x0
	v_mul_hi_u32 v3, s5, v2
	s_delay_alu instid0(VALU_DEP_1) | instskip(NEXT) | instid1(VALU_DEP_1)
	v_add_nc_u32_e32 v3, v2, v3
	v_lshrrev_b32_e32 v3, s6, v3
	s_delay_alu instid0(VALU_DEP_1) | instskip(NEXT) | instid1(VALU_DEP_1)
	v_mul_lo_u32 v3, v3, s4
	v_sub_nc_u32_e32 v2, v2, v3
	s_delay_alu instid0(VALU_DEP_1)
	v_mad_u32 v6, v2, s0, v6
	v_mad_u32 v14, v2, s1, v14
.LBB183_1140:
	v_cmp_ne_u32_e32 vcc_lo, 1, v1
	v_add_nc_u32_e32 v2, 0x80, v0
	s_cbranch_vccnz .LBB183_1146
; %bb.1141:
	s_cmp_lg_u32 s19, 0
	s_mov_b32 s10, 0
	s_cbranch_scc0 .LBB183_1147
; %bb.1142:
	s_min_u32 s1, s33, 15
	s_delay_alu instid0(SALU_CYCLE_1)
	s_add_co_i32 s1, s1, 1
	s_cmp_eq_u32 s33, 2
	s_cbranch_scc1 .LBB183_1148
; %bb.1143:
	v_dual_mov_b32 v4, 0 :: v_dual_mov_b32 v12, 0
	v_mov_b32_e32 v3, v2
	s_and_b32 s0, s1, 28
	s_add_nc_u64 s[4:5], s[2:3], 0xc4
	s_mov_b32 s11, 0
	s_mov_b64 s[6:7], s[2:3]
.LBB183_1144:                           ; =>This Inner Loop Header: Depth=1
	s_clause 0x1
	s_load_b256 s[20:27], s[6:7], 0x4
	s_load_b128 s[12:15], s[6:7], 0x24
	s_load_b256 s[36:43], s[4:5], 0x0
	s_add_co_i32 s11, s11, 4
	s_wait_xcnt 0x0
	s_add_nc_u64 s[6:7], s[6:7], 48
	s_cmp_lg_u32 s0, s11
	s_add_nc_u64 s[4:5], s[4:5], 32
	s_wait_kmcnt 0x0
	v_mul_hi_u32 v5, s21, v3
	s_delay_alu instid0(VALU_DEP_1) | instskip(NEXT) | instid1(VALU_DEP_1)
	v_add_nc_u32_e32 v5, v3, v5
	v_lshrrev_b32_e32 v5, s22, v5
	s_wait_loadcnt 0x0
	s_delay_alu instid0(VALU_DEP_1) | instskip(NEXT) | instid1(VALU_DEP_1)
	v_mul_hi_u32 v7, s24, v5
	v_add_nc_u32_e32 v7, v5, v7
	s_delay_alu instid0(VALU_DEP_1) | instskip(NEXT) | instid1(VALU_DEP_1)
	v_lshrrev_b32_e32 v7, s25, v7
	v_mul_hi_u32 v8, s27, v7
	s_delay_alu instid0(VALU_DEP_1) | instskip(SKIP_1) | instid1(VALU_DEP_1)
	v_add_nc_u32_e32 v8, v7, v8
	v_mul_lo_u32 v10, v5, s20
	v_sub_nc_u32_e32 v3, v3, v10
	v_mul_lo_u32 v10, v7, s23
	s_delay_alu instid0(VALU_DEP_4) | instskip(NEXT) | instid1(VALU_DEP_3)
	v_lshrrev_b32_e32 v8, s12, v8
	v_mad_u32 v12, v3, s37, v12
	v_mad_u32 v3, v3, s36, v4
	s_delay_alu instid0(VALU_DEP_4) | instskip(NEXT) | instid1(VALU_DEP_4)
	v_sub_nc_u32_e32 v4, v5, v10
	v_mul_hi_u32 v11, s14, v8
	v_mul_lo_u32 v5, v8, s26
	s_delay_alu instid0(VALU_DEP_1) | instskip(NEXT) | instid1(VALU_DEP_4)
	v_dual_add_nc_u32 v10, v8, v11 :: v_dual_sub_nc_u32 v5, v7, v5
	v_mad_u32 v11, v4, s39, v12
	v_mad_u32 v4, v4, s38, v3
	s_delay_alu instid0(VALU_DEP_3) | instskip(NEXT) | instid1(VALU_DEP_1)
	v_lshrrev_b32_e32 v3, s15, v10
	v_mul_lo_u32 v7, v3, s13
	s_delay_alu instid0(VALU_DEP_4) | instskip(NEXT) | instid1(VALU_DEP_4)
	v_mad_u32 v10, v5, s41, v11
	v_mad_u32 v4, v5, s40, v4
	s_delay_alu instid0(VALU_DEP_3) | instskip(NEXT) | instid1(VALU_DEP_1)
	v_sub_nc_u32_e32 v5, v8, v7
	v_mad_u32 v12, v5, s43, v10
	s_delay_alu instid0(VALU_DEP_3)
	v_mad_u32 v4, v5, s42, v4
	s_cbranch_scc1 .LBB183_1144
; %bb.1145:
	s_delay_alu instid0(VALU_DEP_2)
	v_mov_b32_e32 v5, v12
	s_and_b32 s6, s1, 3
	s_mov_b32 s1, 0
	s_cmp_eq_u32 s6, 0
	s_cbranch_scc0 .LBB183_1149
	s_branch .LBB183_1152
.LBB183_1146:
	s_mov_b32 s10, -1
                                        ; implicit-def: $vgpr12
                                        ; implicit-def: $vgpr4
	s_branch .LBB183_1152
.LBB183_1147:
	v_dual_mov_b32 v12, 0 :: v_dual_mov_b32 v4, 0
	s_branch .LBB183_1152
.LBB183_1148:
	v_mov_b64_e32 v[4:5], 0
	v_mov_b32_e32 v3, v2
	s_mov_b32 s0, 0
                                        ; implicit-def: $vgpr12
	s_and_b32 s6, s1, 3
	s_mov_b32 s1, 0
	s_cmp_eq_u32 s6, 0
	s_cbranch_scc1 .LBB183_1152
.LBB183_1149:
	s_lshl_b32 s4, s0, 3
	s_mov_b32 s5, s1
	s_mul_u64 s[12:13], s[0:1], 12
	s_add_nc_u64 s[4:5], s[2:3], s[4:5]
	s_delay_alu instid0(SALU_CYCLE_1)
	s_add_nc_u64 s[0:1], s[4:5], 0xc4
	s_add_nc_u64 s[4:5], s[2:3], s[12:13]
.LBB183_1150:                           ; =>This Inner Loop Header: Depth=1
	s_load_b96 s[12:14], s[4:5], 0x4
	s_add_co_i32 s6, s6, -1
	s_wait_xcnt 0x0
	s_add_nc_u64 s[4:5], s[4:5], 12
	s_cmp_lg_u32 s6, 0
	s_wait_loadcnt 0x0
	s_wait_kmcnt 0x0
	v_mul_hi_u32 v7, s13, v3
	s_delay_alu instid0(VALU_DEP_1) | instskip(NEXT) | instid1(VALU_DEP_1)
	v_add_nc_u32_e32 v7, v3, v7
	v_lshrrev_b32_e32 v7, s14, v7
	s_load_b64 s[14:15], s[0:1], 0x0
	s_wait_xcnt 0x0
	s_add_nc_u64 s[0:1], s[0:1], 8
	s_delay_alu instid0(VALU_DEP_1) | instskip(NEXT) | instid1(VALU_DEP_1)
	v_mul_lo_u32 v8, v7, s12
	v_sub_nc_u32_e32 v3, v3, v8
	s_wait_kmcnt 0x0
	s_delay_alu instid0(VALU_DEP_1)
	v_mad_u32 v5, v3, s15, v5
	v_mad_u32 v4, v3, s14, v4
	v_mov_b32_e32 v3, v7
	s_cbranch_scc1 .LBB183_1150
; %bb.1151:
	s_delay_alu instid0(VALU_DEP_3)
	v_mov_b32_e32 v12, v5
.LBB183_1152:
	s_and_not1_b32 vcc_lo, exec_lo, s10
	s_cbranch_vccnz .LBB183_1155
; %bb.1153:
	s_clause 0x1
	s_load_b96 s[4:6], s[2:3], 0x4
	s_load_b64 s[0:1], s[2:3], 0xc4
	s_cmp_lt_u32 s19, 2
	s_wait_kmcnt 0x0
	v_mul_hi_u32 v3, s5, v2
	s_delay_alu instid0(VALU_DEP_1) | instskip(NEXT) | instid1(VALU_DEP_1)
	v_add_nc_u32_e32 v3, v2, v3
	v_lshrrev_b32_e32 v3, s6, v3
	s_delay_alu instid0(VALU_DEP_1) | instskip(NEXT) | instid1(VALU_DEP_1)
	v_mul_lo_u32 v4, v3, s4
	v_sub_nc_u32_e32 v2, v2, v4
	s_delay_alu instid0(VALU_DEP_1)
	v_mul_lo_u32 v12, v2, s1
	v_mul_lo_u32 v4, v2, s0
	s_cbranch_scc1 .LBB183_1155
; %bb.1154:
	s_clause 0x1
	s_load_b96 s[4:6], s[2:3], 0x10
	s_load_b64 s[0:1], s[2:3], 0xcc
	s_wait_kmcnt 0x0
	v_mul_hi_u32 v2, s5, v3
	s_delay_alu instid0(VALU_DEP_1) | instskip(NEXT) | instid1(VALU_DEP_1)
	v_add_nc_u32_e32 v2, v3, v2
	v_lshrrev_b32_e32 v2, s6, v2
	s_delay_alu instid0(VALU_DEP_1) | instskip(NEXT) | instid1(VALU_DEP_1)
	v_mul_lo_u32 v2, v2, s4
	v_sub_nc_u32_e32 v2, v3, v2
	s_delay_alu instid0(VALU_DEP_1)
	v_mad_u32 v4, v2, s0, v4
	v_mad_u32 v12, v2, s1, v12
.LBB183_1155:
	v_cmp_ne_u32_e32 vcc_lo, 1, v1
	v_add_nc_u32_e32 v0, 0x100, v0
	s_cbranch_vccnz .LBB183_1161
; %bb.1156:
	s_cmp_lg_u32 s19, 0
	s_mov_b32 s10, 0
	s_cbranch_scc0 .LBB183_1162
; %bb.1157:
	s_min_u32 s1, s33, 15
	s_delay_alu instid0(SALU_CYCLE_1)
	s_add_co_i32 s1, s1, 1
	s_cmp_eq_u32 s33, 2
	s_cbranch_scc1 .LBB183_1163
; %bb.1158:
	v_dual_mov_b32 v2, 0 :: v_dual_mov_b32 v10, 0
	v_mov_b32_e32 v5, v0
	s_and_b32 s0, s1, 28
	s_add_nc_u64 s[4:5], s[2:3], 0xc4
	s_mov_b32 s11, 0
	s_mov_b64 s[6:7], s[2:3]
.LBB183_1159:                           ; =>This Inner Loop Header: Depth=1
	s_clause 0x1
	s_load_b256 s[20:27], s[6:7], 0x4
	s_load_b128 s[12:15], s[6:7], 0x24
	s_load_b256 s[36:43], s[4:5], 0x0
	s_add_co_i32 s11, s11, 4
	s_wait_xcnt 0x0
	s_add_nc_u64 s[6:7], s[6:7], 48
	s_cmp_lg_u32 s0, s11
	s_add_nc_u64 s[4:5], s[4:5], 32
	s_wait_kmcnt 0x0
	v_mul_hi_u32 v3, s21, v5
	s_delay_alu instid0(VALU_DEP_1) | instskip(NEXT) | instid1(VALU_DEP_1)
	v_add_nc_u32_e32 v3, v5, v3
	v_lshrrev_b32_e32 v3, s22, v3
	s_wait_loadcnt 0x0
	s_delay_alu instid0(VALU_DEP_1) | instskip(NEXT) | instid1(VALU_DEP_1)
	v_mul_hi_u32 v7, s24, v3
	v_add_nc_u32_e32 v7, v3, v7
	s_delay_alu instid0(VALU_DEP_1) | instskip(NEXT) | instid1(VALU_DEP_1)
	v_lshrrev_b32_e32 v7, s25, v7
	v_mul_hi_u32 v8, s27, v7
	s_delay_alu instid0(VALU_DEP_1) | instskip(NEXT) | instid1(VALU_DEP_1)
	v_add_nc_u32_e32 v8, v7, v8
	v_lshrrev_b32_e32 v8, s12, v8
	v_mul_lo_u32 v11, v3, s20
	s_delay_alu instid0(VALU_DEP_2) | instskip(NEXT) | instid1(VALU_DEP_2)
	v_mul_hi_u32 v13, s14, v8
	v_sub_nc_u32_e32 v5, v5, v11
	s_delay_alu instid0(VALU_DEP_1) | instskip(SKIP_1) | instid1(VALU_DEP_4)
	v_mad_u32 v10, v5, s37, v10
	v_mad_u32 v2, v5, s36, v2
	v_add_nc_u32_e32 v5, v8, v13
	s_delay_alu instid0(VALU_DEP_1) | instskip(SKIP_1) | instid1(VALU_DEP_1)
	v_lshrrev_b32_e32 v5, s15, v5
	v_mul_lo_u32 v11, v7, s23
	v_sub_nc_u32_e32 v3, v3, v11
	v_mul_lo_u32 v11, v8, s26
	s_delay_alu instid0(VALU_DEP_2) | instskip(SKIP_1) | instid1(VALU_DEP_3)
	v_mad_u32 v10, v3, s39, v10
	v_mad_u32 v2, v3, s38, v2
	v_sub_nc_u32_e32 v3, v7, v11
	v_mul_lo_u32 v7, v5, s13
	s_delay_alu instid0(VALU_DEP_2) | instskip(NEXT) | instid1(VALU_DEP_4)
	v_mad_u32 v10, v3, s41, v10
	v_mad_u32 v2, v3, s40, v2
	s_delay_alu instid0(VALU_DEP_3) | instskip(NEXT) | instid1(VALU_DEP_1)
	v_sub_nc_u32_e32 v3, v8, v7
	v_mad_u32 v10, v3, s43, v10
	s_delay_alu instid0(VALU_DEP_3)
	v_mad_u32 v2, v3, s42, v2
	s_cbranch_scc1 .LBB183_1159
; %bb.1160:
	s_delay_alu instid0(VALU_DEP_2)
	v_mov_b32_e32 v3, v10
	s_and_b32 s6, s1, 3
	s_mov_b32 s1, 0
	s_cmp_eq_u32 s6, 0
	s_cbranch_scc0 .LBB183_1164
	s_branch .LBB183_1167
.LBB183_1161:
	s_mov_b32 s10, -1
                                        ; implicit-def: $vgpr10
                                        ; implicit-def: $vgpr2
	s_branch .LBB183_1167
.LBB183_1162:
	v_dual_mov_b32 v10, 0 :: v_dual_mov_b32 v2, 0
	s_branch .LBB183_1167
.LBB183_1163:
	v_mov_b64_e32 v[2:3], 0
	v_mov_b32_e32 v5, v0
	s_mov_b32 s0, 0
                                        ; implicit-def: $vgpr10
	s_and_b32 s6, s1, 3
	s_mov_b32 s1, 0
	s_cmp_eq_u32 s6, 0
	s_cbranch_scc1 .LBB183_1167
.LBB183_1164:
	s_lshl_b32 s4, s0, 3
	s_mov_b32 s5, s1
	s_mul_u64 s[12:13], s[0:1], 12
	s_add_nc_u64 s[4:5], s[2:3], s[4:5]
	s_delay_alu instid0(SALU_CYCLE_1)
	s_add_nc_u64 s[0:1], s[4:5], 0xc4
	s_add_nc_u64 s[4:5], s[2:3], s[12:13]
.LBB183_1165:                           ; =>This Inner Loop Header: Depth=1
	s_load_b96 s[12:14], s[4:5], 0x4
	s_add_co_i32 s6, s6, -1
	s_wait_xcnt 0x0
	s_add_nc_u64 s[4:5], s[4:5], 12
	s_cmp_lg_u32 s6, 0
	s_wait_loadcnt 0x0
	s_wait_kmcnt 0x0
	v_mul_hi_u32 v7, s13, v5
	s_delay_alu instid0(VALU_DEP_1) | instskip(NEXT) | instid1(VALU_DEP_1)
	v_add_nc_u32_e32 v7, v5, v7
	v_lshrrev_b32_e32 v7, s14, v7
	s_load_b64 s[14:15], s[0:1], 0x0
	s_wait_xcnt 0x0
	s_add_nc_u64 s[0:1], s[0:1], 8
	s_delay_alu instid0(VALU_DEP_1) | instskip(NEXT) | instid1(VALU_DEP_1)
	v_mul_lo_u32 v8, v7, s12
	v_sub_nc_u32_e32 v5, v5, v8
	s_wait_kmcnt 0x0
	s_delay_alu instid0(VALU_DEP_1)
	v_mad_u32 v3, v5, s15, v3
	v_mad_u32 v2, v5, s14, v2
	v_mov_b32_e32 v5, v7
	s_cbranch_scc1 .LBB183_1165
; %bb.1166:
	s_delay_alu instid0(VALU_DEP_3)
	v_mov_b32_e32 v10, v3
.LBB183_1167:
	s_and_not1_b32 vcc_lo, exec_lo, s10
	s_cbranch_vccnz .LBB183_1170
; %bb.1168:
	s_clause 0x1
	s_load_b96 s[4:6], s[2:3], 0x4
	s_load_b64 s[0:1], s[2:3], 0xc4
	s_cmp_lt_u32 s19, 2
	s_wait_kmcnt 0x0
	v_mul_hi_u32 v2, s5, v0
	s_delay_alu instid0(VALU_DEP_1) | instskip(NEXT) | instid1(VALU_DEP_1)
	v_add_nc_u32_e32 v2, v0, v2
	v_lshrrev_b32_e32 v3, s6, v2
	s_delay_alu instid0(VALU_DEP_1) | instskip(NEXT) | instid1(VALU_DEP_1)
	v_mul_lo_u32 v2, v3, s4
	v_sub_nc_u32_e32 v0, v0, v2
	s_delay_alu instid0(VALU_DEP_1)
	v_mul_lo_u32 v10, v0, s1
	v_mul_lo_u32 v2, v0, s0
	s_cbranch_scc1 .LBB183_1170
; %bb.1169:
	s_clause 0x1
	s_load_b96 s[4:6], s[2:3], 0x10
	s_load_b64 s[0:1], s[2:3], 0xcc
	s_wait_kmcnt 0x0
	v_mul_hi_u32 v0, s5, v3
	s_delay_alu instid0(VALU_DEP_1) | instskip(NEXT) | instid1(VALU_DEP_1)
	v_add_nc_u32_e32 v0, v3, v0
	v_lshrrev_b32_e32 v0, s6, v0
	s_delay_alu instid0(VALU_DEP_1) | instskip(NEXT) | instid1(VALU_DEP_1)
	v_mul_lo_u32 v0, v0, s4
	v_sub_nc_u32_e32 v0, v3, v0
	s_delay_alu instid0(VALU_DEP_1)
	v_mad_u32 v2, v0, s0, v2
	v_mad_u32 v10, v0, s1, v10
.LBB183_1170:
	v_cmp_ne_u32_e32 vcc_lo, 1, v1
	s_cbranch_vccnz .LBB183_1176
; %bb.1171:
	s_cmp_lg_u32 s19, 0
	s_mov_b32 s10, 0
	s_cbranch_scc0 .LBB183_1177
; %bb.1172:
	s_min_u32 s1, s33, 15
	s_delay_alu instid0(SALU_CYCLE_1)
	s_add_co_i32 s1, s1, 1
	s_cmp_eq_u32 s33, 2
	s_cbranch_scc1 .LBB183_1178
; %bb.1173:
	v_dual_mov_b32 v0, 0 :: v_dual_mov_b32 v8, 0
	v_mov_b32_e32 v3, v9
	s_and_b32 s0, s1, 28
	s_add_nc_u64 s[4:5], s[2:3], 0xc4
	s_mov_b32 s11, 0
	s_mov_b64 s[6:7], s[2:3]
.LBB183_1174:                           ; =>This Inner Loop Header: Depth=1
	s_clause 0x1
	s_load_b256 s[20:27], s[6:7], 0x4
	s_load_b128 s[12:15], s[6:7], 0x24
	s_load_b256 s[36:43], s[4:5], 0x0
	s_add_co_i32 s11, s11, 4
	s_wait_xcnt 0x0
	s_add_nc_u64 s[6:7], s[6:7], 48
	s_cmp_lg_u32 s0, s11
	s_add_nc_u64 s[4:5], s[4:5], 32
	s_wait_kmcnt 0x0
	v_mul_hi_u32 v1, s21, v3
	s_delay_alu instid0(VALU_DEP_1) | instskip(NEXT) | instid1(VALU_DEP_1)
	v_add_nc_u32_e32 v1, v3, v1
	v_lshrrev_b32_e32 v1, s22, v1
	s_delay_alu instid0(VALU_DEP_1) | instskip(NEXT) | instid1(VALU_DEP_1)
	v_mul_lo_u32 v11, v1, s20
	v_sub_nc_u32_e32 v3, v3, v11
	v_mul_hi_u32 v5, s24, v1
	s_delay_alu instid0(VALU_DEP_2) | instskip(SKIP_1) | instid1(VALU_DEP_3)
	v_mad_u32 v8, v3, s37, v8
	v_mad_u32 v0, v3, s36, v0
	v_add_nc_u32_e32 v5, v1, v5
	s_delay_alu instid0(VALU_DEP_1) | instskip(NEXT) | instid1(VALU_DEP_1)
	v_lshrrev_b32_e32 v5, s25, v5
	v_mul_lo_u32 v11, v5, s23
	s_delay_alu instid0(VALU_DEP_1) | instskip(SKIP_2) | instid1(VALU_DEP_2)
	v_sub_nc_u32_e32 v1, v1, v11
	s_wait_loadcnt 0x0
	v_mul_hi_u32 v7, s27, v5
	v_mad_u32 v8, v1, s39, v8
	v_mad_u32 v0, v1, s38, v0
	s_delay_alu instid0(VALU_DEP_3) | instskip(NEXT) | instid1(VALU_DEP_1)
	v_add_nc_u32_e32 v7, v5, v7
	v_lshrrev_b32_e32 v7, s12, v7
	s_delay_alu instid0(VALU_DEP_1) | instskip(SKIP_1) | instid1(VALU_DEP_1)
	v_mul_hi_u32 v13, s14, v7
	v_mul_lo_u32 v11, v7, s26
	v_dual_add_nc_u32 v3, v7, v13 :: v_dual_sub_nc_u32 v1, v5, v11
	s_delay_alu instid0(VALU_DEP_1) | instskip(NEXT) | instid1(VALU_DEP_2)
	v_lshrrev_b32_e32 v3, s15, v3
	v_mad_u32 v8, v1, s41, v8
	v_mad_u32 v0, v1, s40, v0
	s_delay_alu instid0(VALU_DEP_3) | instskip(NEXT) | instid1(VALU_DEP_1)
	v_mul_lo_u32 v5, v3, s13
	v_sub_nc_u32_e32 v1, v7, v5
	s_delay_alu instid0(VALU_DEP_1) | instskip(NEXT) | instid1(VALU_DEP_4)
	v_mad_u32 v8, v1, s43, v8
	v_mad_u32 v0, v1, s42, v0
	s_cbranch_scc1 .LBB183_1174
; %bb.1175:
	s_delay_alu instid0(VALU_DEP_2)
	v_mov_b32_e32 v1, v8
	s_and_b32 s6, s1, 3
	s_mov_b32 s1, 0
	s_cmp_eq_u32 s6, 0
	s_cbranch_scc0 .LBB183_1179
	s_branch .LBB183_1182
.LBB183_1176:
	s_mov_b32 s10, -1
                                        ; implicit-def: $vgpr8
                                        ; implicit-def: $vgpr0
	s_branch .LBB183_1182
.LBB183_1177:
	v_dual_mov_b32 v8, 0 :: v_dual_mov_b32 v0, 0
	s_branch .LBB183_1182
.LBB183_1178:
	v_mov_b64_e32 v[0:1], 0
	v_mov_b32_e32 v3, v9
	s_mov_b32 s0, 0
                                        ; implicit-def: $vgpr8
	s_and_b32 s6, s1, 3
	s_mov_b32 s1, 0
	s_cmp_eq_u32 s6, 0
	s_cbranch_scc1 .LBB183_1182
.LBB183_1179:
	s_lshl_b32 s4, s0, 3
	s_mov_b32 s5, s1
	s_mul_u64 s[12:13], s[0:1], 12
	s_add_nc_u64 s[4:5], s[2:3], s[4:5]
	s_delay_alu instid0(SALU_CYCLE_1)
	s_add_nc_u64 s[0:1], s[4:5], 0xc4
	s_add_nc_u64 s[4:5], s[2:3], s[12:13]
.LBB183_1180:                           ; =>This Inner Loop Header: Depth=1
	s_load_b96 s[12:14], s[4:5], 0x4
	s_add_co_i32 s6, s6, -1
	s_wait_xcnt 0x0
	s_add_nc_u64 s[4:5], s[4:5], 12
	s_cmp_lg_u32 s6, 0
	s_wait_kmcnt 0x0
	v_mul_hi_u32 v5, s13, v3
	s_delay_alu instid0(VALU_DEP_1) | instskip(NEXT) | instid1(VALU_DEP_1)
	v_add_nc_u32_e32 v5, v3, v5
	v_lshrrev_b32_e32 v5, s14, v5
	s_load_b64 s[14:15], s[0:1], 0x0
	s_wait_xcnt 0x0
	s_add_nc_u64 s[0:1], s[0:1], 8
	s_wait_loadcnt 0x0
	v_mul_lo_u32 v7, v5, s12
	s_delay_alu instid0(VALU_DEP_1) | instskip(SKIP_1) | instid1(VALU_DEP_1)
	v_sub_nc_u32_e32 v3, v3, v7
	s_wait_kmcnt 0x0
	v_mad_u32 v1, v3, s15, v1
	v_mad_u32 v0, v3, s14, v0
	v_mov_b32_e32 v3, v5
	s_cbranch_scc1 .LBB183_1180
; %bb.1181:
	s_delay_alu instid0(VALU_DEP_3)
	v_mov_b32_e32 v8, v1
.LBB183_1182:
	s_and_not1_b32 vcc_lo, exec_lo, s10
	s_cbranch_vccnz .LBB183_1185
; %bb.1183:
	s_clause 0x1
	s_load_b96 s[4:6], s[2:3], 0x4
	s_load_b64 s[0:1], s[2:3], 0xc4
	s_cmp_lt_u32 s19, 2
	s_wait_kmcnt 0x0
	v_mul_hi_u32 v0, s5, v9
	s_delay_alu instid0(VALU_DEP_1) | instskip(NEXT) | instid1(VALU_DEP_1)
	v_add_nc_u32_e32 v0, v9, v0
	v_lshrrev_b32_e32 v1, s6, v0
	s_delay_alu instid0(VALU_DEP_1) | instskip(NEXT) | instid1(VALU_DEP_1)
	v_mul_lo_u32 v0, v1, s4
	v_sub_nc_u32_e32 v0, v9, v0
	s_delay_alu instid0(VALU_DEP_1)
	v_mul_lo_u32 v8, v0, s1
	v_mul_lo_u32 v0, v0, s0
	s_cbranch_scc1 .LBB183_1185
; %bb.1184:
	s_clause 0x1
	s_load_b96 s[4:6], s[2:3], 0x10
	s_load_b64 s[0:1], s[2:3], 0xcc
	s_wait_kmcnt 0x0
	v_mul_hi_u32 v3, s5, v1
	s_delay_alu instid0(VALU_DEP_1) | instskip(NEXT) | instid1(VALU_DEP_1)
	v_add_nc_u32_e32 v3, v1, v3
	v_lshrrev_b32_e32 v3, s6, v3
	s_delay_alu instid0(VALU_DEP_1) | instskip(NEXT) | instid1(VALU_DEP_1)
	v_mul_lo_u32 v3, v3, s4
	v_sub_nc_u32_e32 v1, v1, v3
	s_delay_alu instid0(VALU_DEP_1)
	v_mad_u32 v0, v1, s0, v0
	v_mad_u32 v8, v1, s1, v8
.LBB183_1185:
	v_mov_b32_e32 v15, 0
	s_load_b128 s[4:7], s[2:3], 0x148
	global_load_u8 v1, v15, s[2:3] offset:353
	s_wait_kmcnt 0x0
	v_add_nc_u64_e32 v[14:15], s[6:7], v[14:15]
	s_wait_loadcnt 0x0
	v_and_b32_e32 v3, 0xffff, v1
	v_readfirstlane_b32 s11, v1
	s_delay_alu instid0(VALU_DEP_2)
	v_cmp_gt_i32_e32 vcc_lo, 11, v3
	s_cbranch_vccnz .LBB183_1192
; %bb.1186:
	s_and_b32 s0, 0xffff, s11
	s_mov_b32 s12, 0
	s_cmp_gt_i32 s0, 25
	s_cbranch_scc0 .LBB183_1194
; %bb.1187:
	s_cmp_gt_i32 s0, 28
	s_cbranch_scc0 .LBB183_1195
; %bb.1188:
	;; [unrolled: 3-line block ×4, first 2 shown]
	s_cmp_eq_u32 s0, 46
	s_mov_b32 s10, 0
	s_cbranch_scc0 .LBB183_1200
; %bb.1191:
	global_load_b32 v1, v[14:15], off
	s_mov_b32 s1, 0
	s_mov_b32 s13, -1
	s_wait_loadcnt 0x0
	v_lshlrev_b32_e32 v1, 16, v1
	s_delay_alu instid0(VALU_DEP_1)
	v_cvt_i32_f32_e32 v16, v1
	s_branch .LBB183_1202
.LBB183_1192:
	s_mov_b32 s13, 0
	s_mov_b32 s10, s8
                                        ; implicit-def: $vgpr16
	s_cbranch_execnz .LBB183_1260
.LBB183_1193:
	s_and_not1_b32 vcc_lo, exec_lo, s13
	s_cbranch_vccz .LBB183_1305
	s_branch .LBB183_1719
.LBB183_1194:
	s_mov_b32 s13, 0
	s_mov_b32 s1, 0
                                        ; implicit-def: $vgpr16
	s_cbranch_execnz .LBB183_1227
	s_branch .LBB183_1256
.LBB183_1195:
	s_mov_b32 s13, 0
	s_mov_b32 s1, 0
                                        ; implicit-def: $vgpr16
	s_cbranch_execz .LBB183_1226
	s_branch .LBB183_1211
.LBB183_1196:
	s_mov_b32 s13, 0
	s_mov_b32 s1, 0
                                        ; implicit-def: $vgpr16
	s_cbranch_execnz .LBB183_1207
	s_branch .LBB183_1210
.LBB183_1197:
	s_mov_b32 s10, -1
	s_mov_b32 s13, 0
	s_mov_b32 s1, 0
	s_branch .LBB183_1201
.LBB183_1198:
	s_and_not1_saveexec_b32 s9, s9
	s_cbranch_execz .LBB183_1037
.LBB183_1199:
	v_add_f32_e64 v3, 0x46000000, |v2|
	s_and_not1_b32 s8, s8, exec_lo
	s_delay_alu instid0(VALU_DEP_1) | instskip(NEXT) | instid1(VALU_DEP_1)
	v_and_b32_e32 v3, 0xff, v3
	v_cmp_ne_u32_e32 vcc_lo, 0, v3
	s_and_b32 s10, vcc_lo, exec_lo
	s_delay_alu instid0(SALU_CYCLE_1)
	s_or_b32 s8, s8, s10
	s_or_b32 exec_lo, exec_lo, s9
	v_mov_b32_e32 v5, 0
	s_and_saveexec_b32 s9, s8
	s_cbranch_execnz .LBB183_1038
	s_branch .LBB183_1039
.LBB183_1200:
	s_mov_b32 s1, -1
	s_mov_b32 s13, 0
.LBB183_1201:
                                        ; implicit-def: $vgpr16
.LBB183_1202:
	s_and_b32 vcc_lo, exec_lo, s10
	s_cbranch_vccz .LBB183_1205
; %bb.1203:
	s_cmp_eq_u32 s0, 44
	s_cbranch_scc0 .LBB183_1206
; %bb.1204:
	global_load_u8 v1, v[14:15], off
	s_mov_b32 s1, 0
	s_mov_b32 s13, -1
	s_wait_loadcnt 0x0
	v_lshlrev_b32_e32 v3, 23, v1
	v_cmp_ne_u32_e32 vcc_lo, 0, v1
	s_delay_alu instid0(VALU_DEP_2) | instskip(NEXT) | instid1(VALU_DEP_1)
	v_cvt_i32_f32_e32 v3, v3
	v_cndmask_b32_e32 v16, 0, v3, vcc_lo
.LBB183_1205:
	s_branch .LBB183_1210
.LBB183_1206:
	s_mov_b32 s1, -1
                                        ; implicit-def: $vgpr16
	s_branch .LBB183_1210
.LBB183_1207:
	s_cmp_eq_u32 s0, 29
	s_cbranch_scc0 .LBB183_1209
; %bb.1208:
	global_load_b64 v[16:17], v[14:15], off
	s_mov_b32 s1, 0
	s_mov_b32 s13, -1
	s_branch .LBB183_1210
.LBB183_1209:
	s_mov_b32 s1, -1
                                        ; implicit-def: $vgpr16
.LBB183_1210:
	s_branch .LBB183_1226
.LBB183_1211:
	s_cmp_lt_i32 s0, 27
	s_cbranch_scc1 .LBB183_1214
; %bb.1212:
	s_cmp_gt_i32 s0, 27
	s_cbranch_scc0 .LBB183_1215
; %bb.1213:
	s_wait_loadcnt 0x0
	global_load_b32 v16, v[14:15], off
	s_mov_b32 s10, 0
	s_branch .LBB183_1216
.LBB183_1214:
	s_mov_b32 s10, -1
                                        ; implicit-def: $vgpr16
	s_branch .LBB183_1219
.LBB183_1215:
	s_mov_b32 s10, -1
                                        ; implicit-def: $vgpr16
.LBB183_1216:
	s_delay_alu instid0(SALU_CYCLE_1)
	s_and_not1_b32 vcc_lo, exec_lo, s10
	s_cbranch_vccnz .LBB183_1218
; %bb.1217:
	s_wait_loadcnt 0x0
	global_load_u16 v16, v[14:15], off
.LBB183_1218:
	s_mov_b32 s10, 0
.LBB183_1219:
	s_delay_alu instid0(SALU_CYCLE_1)
	s_and_not1_b32 vcc_lo, exec_lo, s10
	s_cbranch_vccnz .LBB183_1225
; %bb.1220:
	global_load_u8 v1, v[14:15], off
	s_mov_b32 s13, 0
	s_mov_b32 s10, exec_lo
	s_wait_loadcnt 0x0
	v_cmpx_lt_i16_e32 0x7f, v1
	s_xor_b32 s10, exec_lo, s10
	s_cbranch_execz .LBB183_1236
; %bb.1221:
	v_cmp_ne_u16_e32 vcc_lo, 0x80, v1
	s_and_b32 s13, vcc_lo, exec_lo
	s_and_not1_saveexec_b32 s10, s10
	s_cbranch_execnz .LBB183_1237
.LBB183_1222:
	s_or_b32 exec_lo, exec_lo, s10
	v_mov_b32_e32 v16, 0
	s_and_saveexec_b32 s10, s13
	s_cbranch_execz .LBB183_1224
.LBB183_1223:
	v_and_b32_e32 v3, 0xffff, v1
	s_delay_alu instid0(VALU_DEP_1) | instskip(SKIP_1) | instid1(VALU_DEP_2)
	v_dual_lshlrev_b32 v1, 24, v1 :: v_dual_bitop2_b32 v5, 7, v3 bitop3:0x40
	v_bfe_u32 v11, v3, 3, 4
	v_and_b32_e32 v1, 0x80000000, v1
	s_delay_alu instid0(VALU_DEP_3) | instskip(NEXT) | instid1(VALU_DEP_3)
	v_clz_i32_u32_e32 v7, v5
	v_cmp_eq_u32_e32 vcc_lo, 0, v11
	s_delay_alu instid0(VALU_DEP_2) | instskip(NEXT) | instid1(VALU_DEP_1)
	v_min_u32_e32 v7, 32, v7
	v_subrev_nc_u32_e32 v9, 28, v7
	v_sub_nc_u32_e32 v7, 29, v7
	s_delay_alu instid0(VALU_DEP_2) | instskip(NEXT) | instid1(VALU_DEP_2)
	v_lshlrev_b32_e32 v3, v9, v3
	v_cndmask_b32_e32 v7, v11, v7, vcc_lo
	s_delay_alu instid0(VALU_DEP_2) | instskip(NEXT) | instid1(VALU_DEP_1)
	v_and_b32_e32 v3, 7, v3
	v_cndmask_b32_e32 v3, v5, v3, vcc_lo
	s_delay_alu instid0(VALU_DEP_3) | instskip(NEXT) | instid1(VALU_DEP_2)
	v_lshl_add_u32 v5, v7, 23, 0x3b800000
	v_lshlrev_b32_e32 v3, 20, v3
	s_delay_alu instid0(VALU_DEP_1) | instskip(NEXT) | instid1(VALU_DEP_1)
	v_or3_b32 v1, v1, v5, v3
	v_cvt_i32_f32_e32 v16, v1
.LBB183_1224:
	s_or_b32 exec_lo, exec_lo, s10
.LBB183_1225:
	s_mov_b32 s13, -1
.LBB183_1226:
	s_branch .LBB183_1256
.LBB183_1227:
	s_cmp_gt_i32 s0, 22
	s_cbranch_scc0 .LBB183_1235
; %bb.1228:
	s_cmp_lt_i32 s0, 24
	s_cbranch_scc1 .LBB183_1238
; %bb.1229:
	s_cmp_gt_i32 s0, 24
	s_cbranch_scc0 .LBB183_1239
; %bb.1230:
	global_load_u8 v1, v[14:15], off
	s_mov_b32 s10, exec_lo
	s_wait_loadcnt 0x0
	v_cmpx_lt_i16_e32 0x7f, v1
	s_xor_b32 s10, exec_lo, s10
	s_cbranch_execz .LBB183_1250
; %bb.1231:
	v_cmp_ne_u16_e32 vcc_lo, 0x80, v1
	s_and_b32 s12, vcc_lo, exec_lo
	s_and_not1_saveexec_b32 s10, s10
	s_cbranch_execnz .LBB183_1251
.LBB183_1232:
	s_or_b32 exec_lo, exec_lo, s10
	v_mov_b32_e32 v16, 0
	s_and_saveexec_b32 s10, s12
	s_cbranch_execz .LBB183_1234
.LBB183_1233:
	v_and_b32_e32 v3, 0xffff, v1
	s_delay_alu instid0(VALU_DEP_1) | instskip(SKIP_1) | instid1(VALU_DEP_2)
	v_dual_lshlrev_b32 v1, 24, v1 :: v_dual_bitop2_b32 v5, 3, v3 bitop3:0x40
	v_bfe_u32 v11, v3, 2, 5
	v_and_b32_e32 v1, 0x80000000, v1
	s_delay_alu instid0(VALU_DEP_3) | instskip(NEXT) | instid1(VALU_DEP_3)
	v_clz_i32_u32_e32 v7, v5
	v_cmp_eq_u32_e32 vcc_lo, 0, v11
	s_delay_alu instid0(VALU_DEP_2) | instskip(NEXT) | instid1(VALU_DEP_1)
	v_min_u32_e32 v7, 32, v7
	v_subrev_nc_u32_e32 v9, 29, v7
	v_sub_nc_u32_e32 v7, 30, v7
	s_delay_alu instid0(VALU_DEP_2) | instskip(NEXT) | instid1(VALU_DEP_2)
	v_lshlrev_b32_e32 v3, v9, v3
	v_cndmask_b32_e32 v7, v11, v7, vcc_lo
	s_delay_alu instid0(VALU_DEP_2) | instskip(NEXT) | instid1(VALU_DEP_1)
	v_and_b32_e32 v3, 3, v3
	v_cndmask_b32_e32 v3, v5, v3, vcc_lo
	s_delay_alu instid0(VALU_DEP_3) | instskip(NEXT) | instid1(VALU_DEP_2)
	v_lshl_add_u32 v5, v7, 23, 0x37800000
	v_lshlrev_b32_e32 v3, 21, v3
	s_delay_alu instid0(VALU_DEP_1) | instskip(NEXT) | instid1(VALU_DEP_1)
	v_or3_b32 v1, v1, v5, v3
	v_cvt_i32_f32_e32 v16, v1
.LBB183_1234:
	s_or_b32 exec_lo, exec_lo, s10
	s_mov_b32 s10, 0
	s_branch .LBB183_1240
.LBB183_1235:
                                        ; implicit-def: $vgpr16
	s_mov_b32 s12, 0
	s_branch .LBB183_1246
.LBB183_1236:
	s_and_not1_saveexec_b32 s10, s10
	s_cbranch_execz .LBB183_1222
.LBB183_1237:
	v_cmp_ne_u16_e32 vcc_lo, 0, v1
	s_and_not1_b32 s13, s13, exec_lo
	s_and_b32 s14, vcc_lo, exec_lo
	s_delay_alu instid0(SALU_CYCLE_1)
	s_or_b32 s13, s13, s14
	s_or_b32 exec_lo, exec_lo, s10
	v_mov_b32_e32 v16, 0
	s_and_saveexec_b32 s10, s13
	s_cbranch_execnz .LBB183_1223
	s_branch .LBB183_1224
.LBB183_1238:
	s_mov_b32 s10, -1
                                        ; implicit-def: $vgpr16
	s_branch .LBB183_1243
.LBB183_1239:
	s_mov_b32 s10, -1
                                        ; implicit-def: $vgpr16
.LBB183_1240:
	s_delay_alu instid0(SALU_CYCLE_1)
	s_and_b32 vcc_lo, exec_lo, s10
	s_cbranch_vccz .LBB183_1242
; %bb.1241:
	global_load_u8 v1, v[14:15], off
	s_wait_loadcnt 0x0
	v_lshlrev_b32_e32 v1, 24, v1
	s_delay_alu instid0(VALU_DEP_1) | instskip(NEXT) | instid1(VALU_DEP_1)
	v_and_b32_e32 v3, 0x7f000000, v1
	v_clz_i32_u32_e32 v5, v3
	v_add_nc_u32_e32 v9, 0x1000000, v3
	v_cmp_ne_u32_e32 vcc_lo, 0, v3
	s_delay_alu instid0(VALU_DEP_3) | instskip(NEXT) | instid1(VALU_DEP_1)
	v_min_u32_e32 v5, 32, v5
	v_sub_nc_u32_e64 v5, v5, 4 clamp
	s_delay_alu instid0(VALU_DEP_1) | instskip(NEXT) | instid1(VALU_DEP_1)
	v_dual_lshlrev_b32 v7, v5, v3 :: v_dual_lshlrev_b32 v5, 23, v5
	v_lshrrev_b32_e32 v7, 4, v7
	s_delay_alu instid0(VALU_DEP_1) | instskip(SKIP_1) | instid1(VALU_DEP_2)
	v_sub_nc_u32_e32 v5, v7, v5
	v_ashrrev_i32_e32 v7, 8, v9
	v_add_nc_u32_e32 v5, 0x3c000000, v5
	s_delay_alu instid0(VALU_DEP_1) | instskip(NEXT) | instid1(VALU_DEP_1)
	v_and_or_b32 v5, 0x7f800000, v7, v5
	v_cndmask_b32_e32 v3, 0, v5, vcc_lo
	s_delay_alu instid0(VALU_DEP_1) | instskip(NEXT) | instid1(VALU_DEP_1)
	v_and_or_b32 v1, 0x80000000, v1, v3
	v_cvt_i32_f32_e32 v16, v1
.LBB183_1242:
	s_mov_b32 s10, 0
.LBB183_1243:
	s_delay_alu instid0(SALU_CYCLE_1)
	s_and_not1_b32 vcc_lo, exec_lo, s10
	s_cbranch_vccnz .LBB183_1245
; %bb.1244:
	global_load_u8 v1, v[14:15], off
	s_wait_loadcnt 0x0
	v_lshlrev_b32_e32 v3, 25, v1
	v_lshlrev_b16 v1, 8, v1
	s_delay_alu instid0(VALU_DEP_1) | instskip(SKIP_1) | instid1(VALU_DEP_2)
	v_and_or_b32 v7, 0x7f00, v1, 0.5
	v_bfe_i32 v1, v1, 0, 16
	v_add_f32_e32 v7, -0.5, v7
	v_lshrrev_b32_e32 v5, 4, v3
	v_cmp_gt_u32_e32 vcc_lo, 0x8000000, v3
	s_delay_alu instid0(VALU_DEP_2) | instskip(NEXT) | instid1(VALU_DEP_1)
	v_or_b32_e32 v5, 0x70000000, v5
	v_mul_f32_e32 v5, 0x7800000, v5
	s_delay_alu instid0(VALU_DEP_1) | instskip(NEXT) | instid1(VALU_DEP_1)
	v_cndmask_b32_e32 v3, v5, v7, vcc_lo
	v_and_or_b32 v1, 0x80000000, v1, v3
	s_delay_alu instid0(VALU_DEP_1)
	v_cvt_i32_f32_e32 v16, v1
.LBB183_1245:
	s_mov_b32 s13, -1
	s_mov_b32 s12, 0
	s_cbranch_execnz .LBB183_1256
.LBB183_1246:
	s_cmp_gt_i32 s0, 14
	s_cbranch_scc0 .LBB183_1249
; %bb.1247:
	s_cmp_eq_u32 s0, 15
	s_cbranch_scc0 .LBB183_1252
; %bb.1248:
	global_load_u16 v1, v[14:15], off
	s_mov_b32 s1, 0
	s_mov_b32 s13, -1
	s_wait_loadcnt 0x0
	v_lshlrev_b32_e32 v1, 16, v1
	s_delay_alu instid0(VALU_DEP_1)
	v_cvt_i32_f32_e32 v16, v1
	s_branch .LBB183_1253
.LBB183_1249:
	s_mov_b32 s10, -1
                                        ; implicit-def: $vgpr16
	s_branch .LBB183_1254
.LBB183_1250:
	s_and_not1_saveexec_b32 s10, s10
	s_cbranch_execz .LBB183_1232
.LBB183_1251:
	v_cmp_ne_u16_e32 vcc_lo, 0, v1
	s_and_not1_b32 s12, s12, exec_lo
	s_and_b32 s13, vcc_lo, exec_lo
	s_delay_alu instid0(SALU_CYCLE_1)
	s_or_b32 s12, s12, s13
	s_or_b32 exec_lo, exec_lo, s10
	v_mov_b32_e32 v16, 0
	s_and_saveexec_b32 s10, s12
	s_cbranch_execnz .LBB183_1233
	s_branch .LBB183_1234
.LBB183_1252:
	s_mov_b32 s1, -1
                                        ; implicit-def: $vgpr16
.LBB183_1253:
	s_mov_b32 s10, 0
.LBB183_1254:
	s_delay_alu instid0(SALU_CYCLE_1)
	s_and_b32 vcc_lo, exec_lo, s10
	s_cbranch_vccz .LBB183_1256
; %bb.1255:
	s_cmp_lg_u32 s0, 11
	s_mov_b32 s12, -1
	s_cselect_b32 s1, -1, 0
.LBB183_1256:
	s_delay_alu instid0(SALU_CYCLE_1)
	s_and_b32 vcc_lo, exec_lo, s1
	s_mov_b32 s10, s8
	s_cbranch_vccnz .LBB183_1327
; %bb.1257:
	s_and_not1_b32 vcc_lo, exec_lo, s12
	s_cbranch_vccnz .LBB183_1259
.LBB183_1258:
	global_load_u8 v1, v[14:15], off
	s_mov_b32 s13, -1
	s_wait_loadcnt 0x0
	v_cmp_ne_u16_e32 vcc_lo, 0, v1
	v_cndmask_b32_e64 v16, 0, 1, vcc_lo
.LBB183_1259:
	s_branch .LBB183_1193
.LBB183_1260:
	s_and_b32 s0, 0xffff, s11
	s_delay_alu instid0(SALU_CYCLE_1)
	s_cmp_lt_i32 s0, 5
	s_cbranch_scc1 .LBB183_1265
; %bb.1261:
	s_cmp_lt_i32 s0, 8
	s_cbranch_scc1 .LBB183_1266
; %bb.1262:
	;; [unrolled: 3-line block ×3, first 2 shown]
	s_cmp_gt_i32 s0, 9
	s_cbranch_scc0 .LBB183_1268
; %bb.1264:
	s_wait_loadcnt 0x0
	global_load_b64 v[16:17], v[14:15], off
	s_mov_b32 s1, 0
	s_wait_loadcnt 0x0
	v_cvt_i32_f64_e32 v16, v[16:17]
	s_branch .LBB183_1269
.LBB183_1265:
                                        ; implicit-def: $vgpr16
	s_branch .LBB183_1286
.LBB183_1266:
                                        ; implicit-def: $vgpr16
	s_branch .LBB183_1275
.LBB183_1267:
	s_mov_b32 s1, -1
                                        ; implicit-def: $vgpr16
	s_branch .LBB183_1272
.LBB183_1268:
	s_mov_b32 s1, -1
                                        ; implicit-def: $vgpr16
.LBB183_1269:
	s_delay_alu instid0(SALU_CYCLE_1)
	s_and_not1_b32 vcc_lo, exec_lo, s1
	s_cbranch_vccnz .LBB183_1271
; %bb.1270:
	global_load_b32 v1, v[14:15], off
	s_wait_loadcnt 0x0
	v_cvt_i32_f32_e32 v16, v1
.LBB183_1271:
	s_mov_b32 s1, 0
.LBB183_1272:
	s_delay_alu instid0(SALU_CYCLE_1)
	s_and_not1_b32 vcc_lo, exec_lo, s1
	s_cbranch_vccnz .LBB183_1274
; %bb.1273:
	global_load_b32 v1, v[14:15], off
	s_wait_loadcnt 0x0
	v_cvt_i16_f16_e32 v16, v1
.LBB183_1274:
	s_cbranch_execnz .LBB183_1285
.LBB183_1275:
	s_cmp_lt_i32 s0, 6
	s_cbranch_scc1 .LBB183_1278
; %bb.1276:
	s_cmp_gt_i32 s0, 6
	s_cbranch_scc0 .LBB183_1279
; %bb.1277:
	s_wait_loadcnt 0x0
	global_load_b64 v[16:17], v[14:15], off
	s_mov_b32 s1, 0
	s_wait_loadcnt 0x0
	v_cvt_i32_f64_e32 v16, v[16:17]
	s_branch .LBB183_1280
.LBB183_1278:
	s_mov_b32 s1, -1
                                        ; implicit-def: $vgpr16
	s_branch .LBB183_1283
.LBB183_1279:
	s_mov_b32 s1, -1
                                        ; implicit-def: $vgpr16
.LBB183_1280:
	s_delay_alu instid0(SALU_CYCLE_1)
	s_and_not1_b32 vcc_lo, exec_lo, s1
	s_cbranch_vccnz .LBB183_1282
; %bb.1281:
	global_load_b32 v1, v[14:15], off
	s_wait_loadcnt 0x0
	v_cvt_i32_f32_e32 v16, v1
.LBB183_1282:
	s_mov_b32 s1, 0
.LBB183_1283:
	s_delay_alu instid0(SALU_CYCLE_1)
	s_and_not1_b32 vcc_lo, exec_lo, s1
	s_cbranch_vccnz .LBB183_1285
; %bb.1284:
	global_load_u16 v1, v[14:15], off
	s_wait_loadcnt 0x0
	v_cvt_i16_f16_e32 v16, v1
.LBB183_1285:
	s_cbranch_execnz .LBB183_1304
.LBB183_1286:
	s_cmp_lt_i32 s0, 2
	s_cbranch_scc1 .LBB183_1290
; %bb.1287:
	s_cmp_lt_i32 s0, 3
	s_cbranch_scc1 .LBB183_1291
; %bb.1288:
	s_cmp_gt_i32 s0, 3
	s_cbranch_scc0 .LBB183_1292
; %bb.1289:
	s_wait_loadcnt 0x0
	global_load_b64 v[16:17], v[14:15], off
	s_mov_b32 s1, 0
	s_branch .LBB183_1293
.LBB183_1290:
                                        ; implicit-def: $vgpr16
	s_branch .LBB183_1299
.LBB183_1291:
	s_mov_b32 s1, -1
                                        ; implicit-def: $vgpr16
	s_branch .LBB183_1296
.LBB183_1292:
	s_mov_b32 s1, -1
                                        ; implicit-def: $vgpr16
.LBB183_1293:
	s_delay_alu instid0(SALU_CYCLE_1)
	s_and_not1_b32 vcc_lo, exec_lo, s1
	s_cbranch_vccnz .LBB183_1295
; %bb.1294:
	s_wait_loadcnt 0x0
	global_load_b32 v16, v[14:15], off
.LBB183_1295:
	s_mov_b32 s1, 0
.LBB183_1296:
	s_delay_alu instid0(SALU_CYCLE_1)
	s_and_not1_b32 vcc_lo, exec_lo, s1
	s_cbranch_vccnz .LBB183_1298
; %bb.1297:
	s_wait_loadcnt 0x0
	global_load_u16 v16, v[14:15], off
.LBB183_1298:
	s_cbranch_execnz .LBB183_1304
.LBB183_1299:
	s_cmp_gt_i32 s0, 0
	s_mov_b32 s0, 0
	s_cbranch_scc0 .LBB183_1301
; %bb.1300:
	s_wait_loadcnt 0x0
	global_load_u8 v16, v[14:15], off
	s_branch .LBB183_1302
.LBB183_1301:
	s_mov_b32 s0, -1
                                        ; implicit-def: $vgpr16
.LBB183_1302:
	s_delay_alu instid0(SALU_CYCLE_1)
	s_and_not1_b32 vcc_lo, exec_lo, s0
	s_cbranch_vccnz .LBB183_1304
; %bb.1303:
	s_wait_loadcnt 0x0
	global_load_u8 v16, v[14:15], off
.LBB183_1304:
.LBB183_1305:
	s_load_b64 s[0:1], s[2:3], 0x158
	s_mov_b32 s12, 0
	s_wait_kmcnt 0x0
	s_cmp_lt_i32 s0, 1
	s_cbranch_scc1 .LBB183_1308
; %bb.1306:
	s_cmp_eq_u32 s0, 1
	s_cbranch_scc0 .LBB183_1323
; %bb.1307:
	s_wait_loadcnt 0x0
	s_delay_alu instid0(VALU_DEP_1)
	v_bfe_i32 v1, v16, 0, 8
	s_bfe_i32 s13, s1, 0x80000
	s_delay_alu instid0(VALU_DEP_1) | instid1(SALU_CYCLE_1)
	v_min_i16 v1, v1, s13
	s_mov_b32 s13, 0
	s_branch .LBB183_1310
.LBB183_1308:
	s_mov_b32 s13, 0
                                        ; implicit-def: $vgpr1
	s_cbranch_execz .LBB183_1310
; %bb.1309:
	s_cmp_lg_u32 s0, 0
	s_mov_b32 s12, -1
	s_cselect_b32 s13, -1, 0
.LBB183_1310:
	s_wait_loadcnt 0x0
	s_delay_alu instid0(VALU_DEP_1)
	v_bfe_i32 v3, v16, 0, 8
	s_and_not1_b32 vcc_lo, exec_lo, s13
	s_cbranch_vccnz .LBB183_1312
; %bb.1311:
	v_mov_b32_e32 v1, 0
	s_bfe_i32 s12, s1, 0x80000
	s_delay_alu instid0(SALU_CYCLE_1)
	v_max_i16 v5, v3, s12
	global_load_i8 v1, v1, s[2:3] offset:349
	s_wait_loadcnt 0x0
	v_min_i16 v1, v5, v1
	s_cbranch_execz .LBB183_1313
	s_branch .LBB183_1314
.LBB183_1312:
	s_and_not1_b32 vcc_lo, exec_lo, s12
	s_cbranch_vccnz .LBB183_1314
.LBB183_1313:
	s_bfe_i32 s12, s1, 0x80000
	s_delay_alu instid0(SALU_CYCLE_1)
	v_max_i16 v1, v3, s12
.LBB183_1314:
	v_mov_b32_e32 v13, 0
	s_and_b32 s11, 0xffff, s11
	s_delay_alu instid0(SALU_CYCLE_1) | instskip(NEXT) | instid1(VALU_DEP_1)
	s_cmp_lt_i32 s11, 11
	v_add_nc_u64_e32 v[12:13], s[6:7], v[12:13]
	s_cbranch_scc1 .LBB183_1321
; %bb.1315:
	s_cmp_gt_i32 s11, 25
	s_mov_b32 s13, 0
	s_cbranch_scc0 .LBB183_1324
; %bb.1316:
	s_cmp_gt_i32 s11, 28
	s_cbranch_scc0 .LBB183_1325
; %bb.1317:
	s_cmp_gt_i32 s11, 43
	;; [unrolled: 3-line block ×3, first 2 shown]
	s_cbranch_scc0 .LBB183_1328
; %bb.1319:
	s_cmp_eq_u32 s11, 46
	s_mov_b32 s15, 0
	s_cbranch_scc0 .LBB183_1331
; %bb.1320:
	global_load_b32 v3, v[12:13], off
	s_mov_b32 s12, 0
	s_mov_b32 s14, -1
	s_wait_loadcnt 0x0
	v_lshlrev_b32_e32 v3, 16, v3
	s_delay_alu instid0(VALU_DEP_1)
	v_cvt_i32_f32_e32 v14, v3
	s_branch .LBB183_1333
.LBB183_1321:
	s_mov_b32 s14, 0
                                        ; implicit-def: $vgpr14
	s_cbranch_execnz .LBB183_1394
.LBB183_1322:
	s_and_not1_b32 vcc_lo, exec_lo, s14
	s_cbranch_vccnz .LBB183_1719
	s_branch .LBB183_1441
.LBB183_1323:
	s_mov_b32 s13, -1
                                        ; implicit-def: $vgpr1
	s_branch .LBB183_1310
.LBB183_1324:
	s_mov_b32 s14, 0
	s_mov_b32 s12, 0
                                        ; implicit-def: $vgpr14
	s_cbranch_execnz .LBB183_1360
	s_branch .LBB183_1390
.LBB183_1325:
	s_mov_b32 s15, -1
	s_mov_b32 s14, 0
	s_mov_b32 s12, 0
                                        ; implicit-def: $vgpr14
	s_branch .LBB183_1343
.LBB183_1326:
	s_mov_b32 s15, -1
	s_mov_b32 s14, 0
	s_mov_b32 s12, 0
                                        ; implicit-def: $vgpr14
	s_branch .LBB183_1338
.LBB183_1327:
	s_or_b32 s10, s8, exec_lo
	s_trap 2
	s_cbranch_execz .LBB183_1258
	s_branch .LBB183_1259
.LBB183_1328:
	s_mov_b32 s15, -1
	s_mov_b32 s14, 0
	s_mov_b32 s12, 0
	s_branch .LBB183_1332
.LBB183_1329:
	s_and_not1_saveexec_b32 s10, s10
	s_cbranch_execz .LBB183_1049
.LBB183_1330:
	v_add_f32_e64 v3, 0x42800000, |v2|
	s_and_not1_b32 s9, s9, exec_lo
	s_delay_alu instid0(VALU_DEP_1) | instskip(NEXT) | instid1(VALU_DEP_1)
	v_and_b32_e32 v3, 0xff, v3
	v_cmp_ne_u32_e32 vcc_lo, 0, v3
	s_and_b32 s11, vcc_lo, exec_lo
	s_delay_alu instid0(SALU_CYCLE_1)
	s_or_b32 s9, s9, s11
	s_or_b32 exec_lo, exec_lo, s10
	v_mov_b32_e32 v5, 0
	s_and_saveexec_b32 s10, s9
	s_cbranch_execnz .LBB183_1050
	s_branch .LBB183_1051
.LBB183_1331:
	s_mov_b32 s12, -1
	s_mov_b32 s14, 0
.LBB183_1332:
                                        ; implicit-def: $vgpr14
.LBB183_1333:
	s_and_b32 vcc_lo, exec_lo, s15
	s_cbranch_vccz .LBB183_1337
; %bb.1334:
	s_cmp_eq_u32 s11, 44
	s_cbranch_scc0 .LBB183_1336
; %bb.1335:
	global_load_u8 v3, v[12:13], off
	s_mov_b32 s12, 0
	s_mov_b32 s14, -1
	s_wait_loadcnt 0x0
	v_lshlrev_b32_e32 v5, 23, v3
	v_cmp_ne_u32_e32 vcc_lo, 0, v3
	s_delay_alu instid0(VALU_DEP_2) | instskip(NEXT) | instid1(VALU_DEP_1)
	v_cvt_i32_f32_e32 v5, v5
	v_cndmask_b32_e32 v14, 0, v5, vcc_lo
	s_branch .LBB183_1337
.LBB183_1336:
	s_mov_b32 s12, -1
                                        ; implicit-def: $vgpr14
.LBB183_1337:
	s_mov_b32 s15, 0
.LBB183_1338:
	s_delay_alu instid0(SALU_CYCLE_1)
	s_and_b32 vcc_lo, exec_lo, s15
	s_cbranch_vccz .LBB183_1342
; %bb.1339:
	s_cmp_eq_u32 s11, 29
	s_cbranch_scc0 .LBB183_1341
; %bb.1340:
	global_load_b64 v[14:15], v[12:13], off
	s_mov_b32 s12, 0
	s_mov_b32 s14, -1
	s_branch .LBB183_1342
.LBB183_1341:
	s_mov_b32 s12, -1
                                        ; implicit-def: $vgpr14
.LBB183_1342:
	s_mov_b32 s15, 0
.LBB183_1343:
	s_delay_alu instid0(SALU_CYCLE_1)
	s_and_b32 vcc_lo, exec_lo, s15
	s_cbranch_vccz .LBB183_1359
; %bb.1344:
	s_cmp_lt_i32 s11, 27
	s_cbranch_scc1 .LBB183_1347
; %bb.1345:
	s_cmp_gt_i32 s11, 27
	s_cbranch_scc0 .LBB183_1348
; %bb.1346:
	s_wait_loadcnt 0x0
	global_load_b32 v14, v[12:13], off
	s_mov_b32 s14, 0
	s_branch .LBB183_1349
.LBB183_1347:
	s_mov_b32 s14, -1
                                        ; implicit-def: $vgpr14
	s_branch .LBB183_1352
.LBB183_1348:
	s_mov_b32 s14, -1
                                        ; implicit-def: $vgpr14
.LBB183_1349:
	s_delay_alu instid0(SALU_CYCLE_1)
	s_and_not1_b32 vcc_lo, exec_lo, s14
	s_cbranch_vccnz .LBB183_1351
; %bb.1350:
	s_wait_loadcnt 0x0
	global_load_u16 v14, v[12:13], off
.LBB183_1351:
	s_mov_b32 s14, 0
.LBB183_1352:
	s_delay_alu instid0(SALU_CYCLE_1)
	s_and_not1_b32 vcc_lo, exec_lo, s14
	s_cbranch_vccnz .LBB183_1358
; %bb.1353:
	global_load_u8 v3, v[12:13], off
	s_mov_b32 s15, 0
	s_mov_b32 s14, exec_lo
	s_wait_loadcnt 0x0
	v_cmpx_lt_i16_e32 0x7f, v3
	s_xor_b32 s14, exec_lo, s14
	s_cbranch_execz .LBB183_1369
; %bb.1354:
	v_cmp_ne_u16_e32 vcc_lo, 0x80, v3
	s_and_b32 s15, vcc_lo, exec_lo
	s_and_not1_saveexec_b32 s14, s14
	s_cbranch_execnz .LBB183_1370
.LBB183_1355:
	s_or_b32 exec_lo, exec_lo, s14
	v_mov_b32_e32 v14, 0
	s_and_saveexec_b32 s14, s15
	s_cbranch_execz .LBB183_1357
.LBB183_1356:
	v_and_b32_e32 v5, 0xffff, v3
	s_delay_alu instid0(VALU_DEP_1) | instskip(SKIP_1) | instid1(VALU_DEP_2)
	v_dual_lshlrev_b32 v3, 24, v3 :: v_dual_bitop2_b32 v7, 7, v5 bitop3:0x40
	v_bfe_u32 v14, v5, 3, 4
	v_and_b32_e32 v3, 0x80000000, v3
	s_delay_alu instid0(VALU_DEP_3) | instskip(NEXT) | instid1(VALU_DEP_3)
	v_clz_i32_u32_e32 v9, v7
	v_cmp_eq_u32_e32 vcc_lo, 0, v14
	s_delay_alu instid0(VALU_DEP_2) | instskip(NEXT) | instid1(VALU_DEP_1)
	v_min_u32_e32 v9, 32, v9
	v_subrev_nc_u32_e32 v11, 28, v9
	v_sub_nc_u32_e32 v9, 29, v9
	s_delay_alu instid0(VALU_DEP_2) | instskip(NEXT) | instid1(VALU_DEP_2)
	v_lshlrev_b32_e32 v5, v11, v5
	v_cndmask_b32_e32 v9, v14, v9, vcc_lo
	s_delay_alu instid0(VALU_DEP_2) | instskip(NEXT) | instid1(VALU_DEP_1)
	v_and_b32_e32 v5, 7, v5
	v_cndmask_b32_e32 v5, v7, v5, vcc_lo
	s_delay_alu instid0(VALU_DEP_3) | instskip(NEXT) | instid1(VALU_DEP_2)
	v_lshl_add_u32 v7, v9, 23, 0x3b800000
	v_lshlrev_b32_e32 v5, 20, v5
	s_delay_alu instid0(VALU_DEP_1) | instskip(NEXT) | instid1(VALU_DEP_1)
	v_or3_b32 v3, v3, v7, v5
	v_cvt_i32_f32_e32 v14, v3
.LBB183_1357:
	s_or_b32 exec_lo, exec_lo, s14
.LBB183_1358:
	s_mov_b32 s14, -1
.LBB183_1359:
	s_branch .LBB183_1390
.LBB183_1360:
	s_cmp_gt_i32 s11, 22
	s_cbranch_scc0 .LBB183_1368
; %bb.1361:
	s_cmp_lt_i32 s11, 24
	s_cbranch_scc1 .LBB183_1371
; %bb.1362:
	s_cmp_gt_i32 s11, 24
	s_cbranch_scc0 .LBB183_1372
; %bb.1363:
	global_load_u8 v3, v[12:13], off
	s_mov_b32 s14, 0
	s_mov_b32 s13, exec_lo
	s_wait_loadcnt 0x0
	v_cmpx_lt_i16_e32 0x7f, v3
	s_xor_b32 s13, exec_lo, s13
	s_cbranch_execz .LBB183_1384
; %bb.1364:
	v_cmp_ne_u16_e32 vcc_lo, 0x80, v3
	s_and_b32 s14, vcc_lo, exec_lo
	s_and_not1_saveexec_b32 s13, s13
	s_cbranch_execnz .LBB183_1385
.LBB183_1365:
	s_or_b32 exec_lo, exec_lo, s13
	v_mov_b32_e32 v14, 0
	s_and_saveexec_b32 s13, s14
	s_cbranch_execz .LBB183_1367
.LBB183_1366:
	v_and_b32_e32 v5, 0xffff, v3
	s_delay_alu instid0(VALU_DEP_1) | instskip(SKIP_1) | instid1(VALU_DEP_2)
	v_dual_lshlrev_b32 v3, 24, v3 :: v_dual_bitop2_b32 v7, 3, v5 bitop3:0x40
	v_bfe_u32 v14, v5, 2, 5
	v_and_b32_e32 v3, 0x80000000, v3
	s_delay_alu instid0(VALU_DEP_3) | instskip(NEXT) | instid1(VALU_DEP_3)
	v_clz_i32_u32_e32 v9, v7
	v_cmp_eq_u32_e32 vcc_lo, 0, v14
	s_delay_alu instid0(VALU_DEP_2) | instskip(NEXT) | instid1(VALU_DEP_1)
	v_min_u32_e32 v9, 32, v9
	v_subrev_nc_u32_e32 v11, 29, v9
	v_sub_nc_u32_e32 v9, 30, v9
	s_delay_alu instid0(VALU_DEP_2) | instskip(NEXT) | instid1(VALU_DEP_2)
	v_lshlrev_b32_e32 v5, v11, v5
	v_cndmask_b32_e32 v9, v14, v9, vcc_lo
	s_delay_alu instid0(VALU_DEP_2) | instskip(NEXT) | instid1(VALU_DEP_1)
	v_and_b32_e32 v5, 3, v5
	v_cndmask_b32_e32 v5, v7, v5, vcc_lo
	s_delay_alu instid0(VALU_DEP_3) | instskip(NEXT) | instid1(VALU_DEP_2)
	v_lshl_add_u32 v7, v9, 23, 0x37800000
	v_lshlrev_b32_e32 v5, 21, v5
	s_delay_alu instid0(VALU_DEP_1) | instskip(NEXT) | instid1(VALU_DEP_1)
	v_or3_b32 v3, v3, v7, v5
	v_cvt_i32_f32_e32 v14, v3
.LBB183_1367:
	s_or_b32 exec_lo, exec_lo, s13
	s_mov_b32 s13, 0
	s_branch .LBB183_1373
.LBB183_1368:
	s_mov_b32 s13, -1
                                        ; implicit-def: $vgpr14
	s_branch .LBB183_1379
.LBB183_1369:
	s_and_not1_saveexec_b32 s14, s14
	s_cbranch_execz .LBB183_1355
.LBB183_1370:
	v_cmp_ne_u16_e32 vcc_lo, 0, v3
	s_and_not1_b32 s15, s15, exec_lo
	s_and_b32 s16, vcc_lo, exec_lo
	s_delay_alu instid0(SALU_CYCLE_1)
	s_or_b32 s15, s15, s16
	s_or_b32 exec_lo, exec_lo, s14
	v_mov_b32_e32 v14, 0
	s_and_saveexec_b32 s14, s15
	s_cbranch_execnz .LBB183_1356
	s_branch .LBB183_1357
.LBB183_1371:
	s_mov_b32 s13, -1
                                        ; implicit-def: $vgpr14
	s_branch .LBB183_1376
.LBB183_1372:
	s_mov_b32 s13, -1
                                        ; implicit-def: $vgpr14
.LBB183_1373:
	s_delay_alu instid0(SALU_CYCLE_1)
	s_and_b32 vcc_lo, exec_lo, s13
	s_cbranch_vccz .LBB183_1375
; %bb.1374:
	global_load_u8 v3, v[12:13], off
	s_wait_loadcnt 0x0
	v_lshlrev_b32_e32 v3, 24, v3
	s_delay_alu instid0(VALU_DEP_1) | instskip(NEXT) | instid1(VALU_DEP_1)
	v_and_b32_e32 v5, 0x7f000000, v3
	v_clz_i32_u32_e32 v7, v5
	v_add_nc_u32_e32 v11, 0x1000000, v5
	v_cmp_ne_u32_e32 vcc_lo, 0, v5
	s_delay_alu instid0(VALU_DEP_3) | instskip(NEXT) | instid1(VALU_DEP_1)
	v_min_u32_e32 v7, 32, v7
	v_sub_nc_u32_e64 v7, v7, 4 clamp
	s_delay_alu instid0(VALU_DEP_1) | instskip(NEXT) | instid1(VALU_DEP_1)
	v_dual_lshlrev_b32 v9, v7, v5 :: v_dual_lshlrev_b32 v7, 23, v7
	v_lshrrev_b32_e32 v9, 4, v9
	s_delay_alu instid0(VALU_DEP_1) | instskip(SKIP_1) | instid1(VALU_DEP_2)
	v_sub_nc_u32_e32 v7, v9, v7
	v_ashrrev_i32_e32 v9, 8, v11
	v_add_nc_u32_e32 v7, 0x3c000000, v7
	s_delay_alu instid0(VALU_DEP_1) | instskip(NEXT) | instid1(VALU_DEP_1)
	v_and_or_b32 v7, 0x7f800000, v9, v7
	v_cndmask_b32_e32 v5, 0, v7, vcc_lo
	s_delay_alu instid0(VALU_DEP_1) | instskip(NEXT) | instid1(VALU_DEP_1)
	v_and_or_b32 v3, 0x80000000, v3, v5
	v_cvt_i32_f32_e32 v14, v3
.LBB183_1375:
	s_mov_b32 s13, 0
.LBB183_1376:
	s_delay_alu instid0(SALU_CYCLE_1)
	s_and_not1_b32 vcc_lo, exec_lo, s13
	s_cbranch_vccnz .LBB183_1378
; %bb.1377:
	global_load_u8 v3, v[12:13], off
	s_wait_loadcnt 0x0
	v_lshlrev_b32_e32 v5, 25, v3
	v_lshlrev_b16 v3, 8, v3
	s_delay_alu instid0(VALU_DEP_1) | instskip(SKIP_1) | instid1(VALU_DEP_2)
	v_and_or_b32 v9, 0x7f00, v3, 0.5
	v_bfe_i32 v3, v3, 0, 16
	v_add_f32_e32 v9, -0.5, v9
	v_lshrrev_b32_e32 v7, 4, v5
	v_cmp_gt_u32_e32 vcc_lo, 0x8000000, v5
	s_delay_alu instid0(VALU_DEP_2) | instskip(NEXT) | instid1(VALU_DEP_1)
	v_or_b32_e32 v7, 0x70000000, v7
	v_mul_f32_e32 v7, 0x7800000, v7
	s_delay_alu instid0(VALU_DEP_1) | instskip(NEXT) | instid1(VALU_DEP_1)
	v_cndmask_b32_e32 v5, v7, v9, vcc_lo
	v_and_or_b32 v3, 0x80000000, v3, v5
	s_delay_alu instid0(VALU_DEP_1)
	v_cvt_i32_f32_e32 v14, v3
.LBB183_1378:
	s_mov_b32 s13, 0
	s_mov_b32 s14, -1
.LBB183_1379:
	s_and_not1_b32 vcc_lo, exec_lo, s13
	s_mov_b32 s13, 0
	s_cbranch_vccnz .LBB183_1390
; %bb.1380:
	s_cmp_gt_i32 s11, 14
	s_cbranch_scc0 .LBB183_1383
; %bb.1381:
	s_cmp_eq_u32 s11, 15
	s_cbranch_scc0 .LBB183_1386
; %bb.1382:
	global_load_u16 v3, v[12:13], off
	s_mov_b32 s12, 0
	s_mov_b32 s14, -1
	s_wait_loadcnt 0x0
	v_lshlrev_b32_e32 v3, 16, v3
	s_delay_alu instid0(VALU_DEP_1)
	v_cvt_i32_f32_e32 v14, v3
	s_branch .LBB183_1388
.LBB183_1383:
	s_mov_b32 s13, -1
	s_branch .LBB183_1387
.LBB183_1384:
	s_and_not1_saveexec_b32 s13, s13
	s_cbranch_execz .LBB183_1365
.LBB183_1385:
	v_cmp_ne_u16_e32 vcc_lo, 0, v3
	s_and_not1_b32 s14, s14, exec_lo
	s_and_b32 s15, vcc_lo, exec_lo
	s_delay_alu instid0(SALU_CYCLE_1)
	s_or_b32 s14, s14, s15
	s_or_b32 exec_lo, exec_lo, s13
	v_mov_b32_e32 v14, 0
	s_and_saveexec_b32 s13, s14
	s_cbranch_execnz .LBB183_1366
	s_branch .LBB183_1367
.LBB183_1386:
	s_mov_b32 s12, -1
.LBB183_1387:
                                        ; implicit-def: $vgpr14
.LBB183_1388:
	s_and_b32 vcc_lo, exec_lo, s13
	s_mov_b32 s13, 0
	s_cbranch_vccz .LBB183_1390
; %bb.1389:
	s_cmp_lg_u32 s11, 11
	s_mov_b32 s13, -1
	s_cselect_b32 s12, -1, 0
.LBB183_1390:
	s_delay_alu instid0(SALU_CYCLE_1)
	s_and_b32 vcc_lo, exec_lo, s12
	s_cbranch_vccnz .LBB183_1464
; %bb.1391:
	s_and_not1_b32 vcc_lo, exec_lo, s13
	s_cbranch_vccnz .LBB183_1393
.LBB183_1392:
	global_load_u8 v3, v[12:13], off
	s_mov_b32 s14, -1
	s_wait_loadcnt 0x0
	v_cmp_ne_u16_e32 vcc_lo, 0, v3
	v_cndmask_b32_e64 v14, 0, 1, vcc_lo
.LBB183_1393:
	s_branch .LBB183_1322
.LBB183_1394:
	s_cmp_lt_i32 s11, 5
	s_cbranch_scc1 .LBB183_1399
; %bb.1395:
	s_cmp_lt_i32 s11, 8
	s_cbranch_scc1 .LBB183_1400
; %bb.1396:
	;; [unrolled: 3-line block ×3, first 2 shown]
	s_cmp_gt_i32 s11, 9
	s_cbranch_scc0 .LBB183_1402
; %bb.1398:
	s_wait_loadcnt 0x0
	global_load_b64 v[14:15], v[12:13], off
	s_mov_b32 s12, 0
	s_wait_loadcnt 0x0
	v_cvt_i32_f64_e32 v14, v[14:15]
	s_branch .LBB183_1403
.LBB183_1399:
                                        ; implicit-def: $vgpr14
	s_branch .LBB183_1421
.LBB183_1400:
	s_mov_b32 s12, -1
                                        ; implicit-def: $vgpr14
	s_branch .LBB183_1409
.LBB183_1401:
	s_mov_b32 s12, -1
                                        ; implicit-def: $vgpr14
	s_branch .LBB183_1406
.LBB183_1402:
	s_mov_b32 s12, -1
                                        ; implicit-def: $vgpr14
.LBB183_1403:
	s_delay_alu instid0(SALU_CYCLE_1)
	s_and_not1_b32 vcc_lo, exec_lo, s12
	s_cbranch_vccnz .LBB183_1405
; %bb.1404:
	global_load_b32 v3, v[12:13], off
	s_wait_loadcnt 0x0
	v_cvt_i32_f32_e32 v14, v3
.LBB183_1405:
	s_mov_b32 s12, 0
.LBB183_1406:
	s_delay_alu instid0(SALU_CYCLE_1)
	s_and_not1_b32 vcc_lo, exec_lo, s12
	s_cbranch_vccnz .LBB183_1408
; %bb.1407:
	global_load_b32 v3, v[12:13], off
	s_wait_loadcnt 0x0
	v_cvt_i16_f16_e32 v14, v3
.LBB183_1408:
	s_mov_b32 s12, 0
.LBB183_1409:
	s_delay_alu instid0(SALU_CYCLE_1)
	s_and_not1_b32 vcc_lo, exec_lo, s12
	s_cbranch_vccnz .LBB183_1420
; %bb.1410:
	s_cmp_lt_i32 s11, 6
	s_cbranch_scc1 .LBB183_1413
; %bb.1411:
	s_cmp_gt_i32 s11, 6
	s_cbranch_scc0 .LBB183_1414
; %bb.1412:
	s_wait_loadcnt 0x0
	global_load_b64 v[14:15], v[12:13], off
	s_mov_b32 s12, 0
	s_wait_loadcnt 0x0
	v_cvt_i32_f64_e32 v14, v[14:15]
	s_branch .LBB183_1415
.LBB183_1413:
	s_mov_b32 s12, -1
                                        ; implicit-def: $vgpr14
	s_branch .LBB183_1418
.LBB183_1414:
	s_mov_b32 s12, -1
                                        ; implicit-def: $vgpr14
.LBB183_1415:
	s_delay_alu instid0(SALU_CYCLE_1)
	s_and_not1_b32 vcc_lo, exec_lo, s12
	s_cbranch_vccnz .LBB183_1417
; %bb.1416:
	global_load_b32 v3, v[12:13], off
	s_wait_loadcnt 0x0
	v_cvt_i32_f32_e32 v14, v3
.LBB183_1417:
	s_mov_b32 s12, 0
.LBB183_1418:
	s_delay_alu instid0(SALU_CYCLE_1)
	s_and_not1_b32 vcc_lo, exec_lo, s12
	s_cbranch_vccnz .LBB183_1420
; %bb.1419:
	global_load_u16 v3, v[12:13], off
	s_wait_loadcnt 0x0
	v_cvt_i16_f16_e32 v14, v3
.LBB183_1420:
	s_cbranch_execnz .LBB183_1440
.LBB183_1421:
	s_cmp_lt_i32 s11, 2
	s_cbranch_scc1 .LBB183_1425
; %bb.1422:
	s_cmp_lt_i32 s11, 3
	s_cbranch_scc1 .LBB183_1426
; %bb.1423:
	s_cmp_gt_i32 s11, 3
	s_cbranch_scc0 .LBB183_1427
; %bb.1424:
	s_wait_loadcnt 0x0
	global_load_b64 v[14:15], v[12:13], off
	s_mov_b32 s12, 0
	s_branch .LBB183_1428
.LBB183_1425:
	s_mov_b32 s12, -1
                                        ; implicit-def: $vgpr14
	s_branch .LBB183_1434
.LBB183_1426:
	s_mov_b32 s12, -1
                                        ; implicit-def: $vgpr14
	s_branch .LBB183_1431
.LBB183_1427:
	s_mov_b32 s12, -1
                                        ; implicit-def: $vgpr14
.LBB183_1428:
	s_delay_alu instid0(SALU_CYCLE_1)
	s_and_not1_b32 vcc_lo, exec_lo, s12
	s_cbranch_vccnz .LBB183_1430
; %bb.1429:
	s_wait_loadcnt 0x0
	global_load_b32 v14, v[12:13], off
.LBB183_1430:
	s_mov_b32 s12, 0
.LBB183_1431:
	s_delay_alu instid0(SALU_CYCLE_1)
	s_and_not1_b32 vcc_lo, exec_lo, s12
	s_cbranch_vccnz .LBB183_1433
; %bb.1432:
	s_wait_loadcnt 0x0
	global_load_u16 v14, v[12:13], off
.LBB183_1433:
	s_mov_b32 s12, 0
.LBB183_1434:
	s_delay_alu instid0(SALU_CYCLE_1)
	s_and_not1_b32 vcc_lo, exec_lo, s12
	s_cbranch_vccnz .LBB183_1440
; %bb.1435:
	s_cmp_gt_i32 s11, 0
	s_mov_b32 s12, 0
	s_cbranch_scc0 .LBB183_1437
; %bb.1436:
	s_wait_loadcnt 0x0
	global_load_u8 v14, v[12:13], off
	s_branch .LBB183_1438
.LBB183_1437:
	s_mov_b32 s12, -1
                                        ; implicit-def: $vgpr14
.LBB183_1438:
	s_delay_alu instid0(SALU_CYCLE_1)
	s_and_not1_b32 vcc_lo, exec_lo, s12
	s_cbranch_vccnz .LBB183_1440
; %bb.1439:
	s_wait_loadcnt 0x0
	global_load_u8 v14, v[12:13], off
.LBB183_1440:
.LBB183_1441:
	s_cmp_lt_i32 s0, 1
	s_mov_b32 s12, 0
	s_cbranch_scc1 .LBB183_1444
; %bb.1442:
	s_cmp_eq_u32 s0, 1
	s_cbranch_scc0 .LBB183_1445
; %bb.1443:
	s_wait_loadcnt 0x0
	s_delay_alu instid0(VALU_DEP_1)
	v_bfe_i32 v3, v14, 0, 8
	s_bfe_i32 s13, s1, 0x80000
	s_delay_alu instid0(VALU_DEP_1) | instid1(SALU_CYCLE_1)
	v_min_i16 v3, v3, s13
	s_mov_b32 s13, 0
	s_branch .LBB183_1446
.LBB183_1444:
	s_mov_b32 s13, 0
                                        ; implicit-def: $vgpr3
	s_cbranch_execnz .LBB183_1447
	s_branch .LBB183_1448
.LBB183_1445:
	s_mov_b32 s13, -1
                                        ; implicit-def: $vgpr3
.LBB183_1446:
	s_branch .LBB183_1448
.LBB183_1447:
	s_cmp_lg_u32 s0, 0
	s_mov_b32 s12, -1
	s_cselect_b32 s13, -1, 0
.LBB183_1448:
	s_delay_alu instid0(SALU_CYCLE_1)
	s_and_not1_b32 vcc_lo, exec_lo, s13
	s_cbranch_vccnz .LBB183_1457
; %bb.1449:
	v_mov_b32_e32 v3, 0
	s_wait_loadcnt 0x0
	s_delay_alu instid0(VALU_DEP_2) | instskip(SKIP_4) | instid1(VALU_DEP_1)
	v_bfe_i32 v5, v14, 0, 8
	s_bfe_i32 s12, s1, 0x80000
	global_load_i8 v3, v3, s[2:3] offset:349
	v_max_i16 v5, v5, s12
	s_wait_loadcnt 0x0
	v_min_i16 v3, v5, v3
	s_cbranch_execz .LBB183_1458
.LBB183_1450:
	v_mov_b32_e32 v11, 0
	s_cmp_lt_i32 s11, 11
	s_delay_alu instid0(VALU_DEP_1)
	v_add_nc_u64_e32 v[10:11], s[6:7], v[10:11]
	s_cbranch_scc1 .LBB183_1459
.LBB183_1451:
	s_cmp_gt_i32 s11, 25
	s_mov_b32 s13, 0
	s_cbranch_scc0 .LBB183_1461
; %bb.1452:
	s_cmp_gt_i32 s11, 28
	s_cbranch_scc0 .LBB183_1462
; %bb.1453:
	s_cmp_gt_i32 s11, 43
	;; [unrolled: 3-line block ×3, first 2 shown]
	s_cbranch_scc0 .LBB183_1465
; %bb.1455:
	s_cmp_eq_u32 s11, 46
	s_mov_b32 s15, 0
	s_cbranch_scc0 .LBB183_1466
; %bb.1456:
	global_load_b32 v5, v[10:11], off
	s_mov_b32 s12, 0
	s_mov_b32 s14, -1
	s_wait_loadcnt 0x0
	v_lshlrev_b32_e32 v5, 16, v5
	s_wait_xcnt 0x1
	s_delay_alu instid0(VALU_DEP_1)
	v_cvt_i32_f32_e32 v12, v5
	s_branch .LBB183_1468
.LBB183_1457:
	s_and_not1_b32 vcc_lo, exec_lo, s12
	s_cbranch_vccnz .LBB183_1450
.LBB183_1458:
	s_wait_loadcnt 0x0
	s_delay_alu instid0(VALU_DEP_1)
	v_bfe_i32 v3, v14, 0, 8
	s_bfe_i32 s12, s1, 0x80000
	s_delay_alu instid0(VALU_DEP_1) | instid1(SALU_CYCLE_1)
	v_max_i16 v3, v3, s12
	v_mov_b32_e32 v11, 0
	s_cmp_lt_i32 s11, 11
	s_delay_alu instid0(VALU_DEP_1)
	v_add_nc_u64_e32 v[10:11], s[6:7], v[10:11]
	s_cbranch_scc0 .LBB183_1451
.LBB183_1459:
	s_mov_b32 s14, 0
                                        ; implicit-def: $vgpr12
	s_cbranch_execnz .LBB183_1530
.LBB183_1460:
	s_and_not1_b32 vcc_lo, exec_lo, s14
	s_cbranch_vccnz .LBB183_1719
	s_branch .LBB183_1578
.LBB183_1461:
	s_mov_b32 s15, -1
	s_mov_b32 s14, 0
	s_mov_b32 s12, 0
                                        ; implicit-def: $vgpr12
	s_branch .LBB183_1495
.LBB183_1462:
	s_mov_b32 s15, -1
	s_mov_b32 s14, 0
	s_mov_b32 s12, 0
                                        ; implicit-def: $vgpr12
	s_branch .LBB183_1478
.LBB183_1463:
	s_mov_b32 s15, -1
	s_mov_b32 s14, 0
	s_mov_b32 s12, 0
                                        ; implicit-def: $vgpr12
	s_branch .LBB183_1473
.LBB183_1464:
	s_or_b32 s10, s10, exec_lo
	s_trap 2
	s_cbranch_execz .LBB183_1392
	s_branch .LBB183_1393
.LBB183_1465:
	s_mov_b32 s15, -1
	s_mov_b32 s14, 0
	s_mov_b32 s12, 0
	s_branch .LBB183_1467
.LBB183_1466:
	s_mov_b32 s12, -1
	s_mov_b32 s14, 0
.LBB183_1467:
                                        ; implicit-def: $vgpr12
.LBB183_1468:
	s_and_b32 vcc_lo, exec_lo, s15
	s_cbranch_vccz .LBB183_1472
; %bb.1469:
	s_cmp_eq_u32 s11, 44
	s_cbranch_scc0 .LBB183_1471
; %bb.1470:
	global_load_u8 v5, v[10:11], off
	s_mov_b32 s12, 0
	s_mov_b32 s14, -1
	s_wait_loadcnt 0x0
	v_lshlrev_b32_e32 v7, 23, v5
	v_cmp_ne_u32_e32 vcc_lo, 0, v5
	s_delay_alu instid0(VALU_DEP_2) | instskip(SKIP_1) | instid1(VALU_DEP_1)
	v_cvt_i32_f32_e32 v7, v7
	s_wait_xcnt 0x1
	v_cndmask_b32_e32 v12, 0, v7, vcc_lo
	s_branch .LBB183_1472
.LBB183_1471:
	s_mov_b32 s12, -1
                                        ; implicit-def: $vgpr12
.LBB183_1472:
	s_mov_b32 s15, 0
.LBB183_1473:
	s_delay_alu instid0(SALU_CYCLE_1)
	s_and_b32 vcc_lo, exec_lo, s15
	s_cbranch_vccz .LBB183_1477
; %bb.1474:
	s_cmp_eq_u32 s11, 29
	s_cbranch_scc0 .LBB183_1476
; %bb.1475:
	global_load_b64 v[12:13], v[10:11], off
	s_mov_b32 s12, 0
	s_mov_b32 s14, -1
	s_branch .LBB183_1477
.LBB183_1476:
	s_mov_b32 s12, -1
                                        ; implicit-def: $vgpr12
.LBB183_1477:
	s_mov_b32 s15, 0
.LBB183_1478:
	s_delay_alu instid0(SALU_CYCLE_1)
	s_and_b32 vcc_lo, exec_lo, s15
	s_cbranch_vccz .LBB183_1494
; %bb.1479:
	s_cmp_lt_i32 s11, 27
	s_cbranch_scc1 .LBB183_1482
; %bb.1480:
	s_cmp_gt_i32 s11, 27
	s_cbranch_scc0 .LBB183_1483
; %bb.1481:
	s_wait_loadcnt 0x0
	global_load_b32 v12, v[10:11], off
	s_mov_b32 s14, 0
	s_branch .LBB183_1484
.LBB183_1482:
	s_mov_b32 s14, -1
                                        ; implicit-def: $vgpr12
	s_branch .LBB183_1487
.LBB183_1483:
	s_mov_b32 s14, -1
                                        ; implicit-def: $vgpr12
.LBB183_1484:
	s_delay_alu instid0(SALU_CYCLE_1)
	s_and_not1_b32 vcc_lo, exec_lo, s14
	s_cbranch_vccnz .LBB183_1486
; %bb.1485:
	s_wait_loadcnt 0x0
	global_load_u16 v12, v[10:11], off
.LBB183_1486:
	s_mov_b32 s14, 0
.LBB183_1487:
	s_delay_alu instid0(SALU_CYCLE_1)
	s_and_not1_b32 vcc_lo, exec_lo, s14
	s_cbranch_vccnz .LBB183_1493
; %bb.1488:
	global_load_u8 v5, v[10:11], off
	s_mov_b32 s15, 0
	s_mov_b32 s14, exec_lo
	s_wait_loadcnt 0x0
	v_cmpx_lt_i16_e32 0x7f, v5
	s_xor_b32 s14, exec_lo, s14
	s_cbranch_execz .LBB183_1505
; %bb.1489:
	v_cmp_ne_u16_e32 vcc_lo, 0x80, v5
	s_and_b32 s15, vcc_lo, exec_lo
	s_and_not1_saveexec_b32 s14, s14
	s_cbranch_execnz .LBB183_1506
.LBB183_1490:
	s_or_b32 exec_lo, exec_lo, s14
	v_mov_b32_e32 v12, 0
	s_and_saveexec_b32 s14, s15
	s_cbranch_execz .LBB183_1492
.LBB183_1491:
	v_and_b32_e32 v7, 0xffff, v5
	s_delay_alu instid0(VALU_DEP_1) | instskip(SKIP_1) | instid1(VALU_DEP_2)
	v_and_b32_e32 v9, 7, v7
	v_bfe_u32 v14, v7, 3, 4
	v_clz_i32_u32_e32 v12, v9
	s_delay_alu instid0(VALU_DEP_2) | instskip(NEXT) | instid1(VALU_DEP_2)
	v_cmp_eq_u32_e32 vcc_lo, 0, v14
	v_min_u32_e32 v12, 32, v12
	s_delay_alu instid0(VALU_DEP_1) | instskip(NEXT) | instid1(VALU_DEP_1)
	v_subrev_nc_u32_e32 v13, 28, v12
	v_dual_lshlrev_b32 v7, v13, v7 :: v_dual_sub_nc_u32 v12, 29, v12
	s_delay_alu instid0(VALU_DEP_1) | instskip(NEXT) | instid1(VALU_DEP_1)
	v_dual_lshlrev_b32 v5, 24, v5 :: v_dual_bitop2_b32 v7, 7, v7 bitop3:0x40
	v_dual_cndmask_b32 v12, v14, v12 :: v_dual_cndmask_b32 v7, v9, v7
	s_delay_alu instid0(VALU_DEP_2) | instskip(NEXT) | instid1(VALU_DEP_2)
	v_and_b32_e32 v5, 0x80000000, v5
	v_lshl_add_u32 v9, v12, 23, 0x3b800000
	s_delay_alu instid0(VALU_DEP_3) | instskip(NEXT) | instid1(VALU_DEP_1)
	v_lshlrev_b32_e32 v7, 20, v7
	v_or3_b32 v5, v5, v9, v7
	s_delay_alu instid0(VALU_DEP_1)
	v_cvt_i32_f32_e32 v12, v5
.LBB183_1492:
	s_or_b32 exec_lo, exec_lo, s14
.LBB183_1493:
	s_mov_b32 s14, -1
.LBB183_1494:
	s_mov_b32 s15, 0
.LBB183_1495:
	s_delay_alu instid0(SALU_CYCLE_1)
	s_and_b32 vcc_lo, exec_lo, s15
	s_cbranch_vccz .LBB183_1526
; %bb.1496:
	s_cmp_gt_i32 s11, 22
	s_cbranch_scc0 .LBB183_1504
; %bb.1497:
	s_cmp_lt_i32 s11, 24
	s_cbranch_scc1 .LBB183_1507
; %bb.1498:
	s_cmp_gt_i32 s11, 24
	s_cbranch_scc0 .LBB183_1508
; %bb.1499:
	global_load_u8 v5, v[10:11], off
	s_mov_b32 s14, 0
	s_mov_b32 s13, exec_lo
	s_wait_loadcnt 0x0
	v_cmpx_lt_i16_e32 0x7f, v5
	s_xor_b32 s13, exec_lo, s13
	s_cbranch_execz .LBB183_1520
; %bb.1500:
	v_cmp_ne_u16_e32 vcc_lo, 0x80, v5
	s_and_b32 s14, vcc_lo, exec_lo
	s_and_not1_saveexec_b32 s13, s13
	s_cbranch_execnz .LBB183_1521
.LBB183_1501:
	s_or_b32 exec_lo, exec_lo, s13
	v_mov_b32_e32 v12, 0
	s_and_saveexec_b32 s13, s14
	s_cbranch_execz .LBB183_1503
.LBB183_1502:
	v_and_b32_e32 v7, 0xffff, v5
	s_delay_alu instid0(VALU_DEP_1) | instskip(SKIP_1) | instid1(VALU_DEP_2)
	v_and_b32_e32 v9, 3, v7
	v_bfe_u32 v14, v7, 2, 5
	v_clz_i32_u32_e32 v12, v9
	s_delay_alu instid0(VALU_DEP_2) | instskip(NEXT) | instid1(VALU_DEP_2)
	v_cmp_eq_u32_e32 vcc_lo, 0, v14
	v_min_u32_e32 v12, 32, v12
	s_delay_alu instid0(VALU_DEP_1) | instskip(NEXT) | instid1(VALU_DEP_1)
	v_subrev_nc_u32_e32 v13, 29, v12
	v_dual_lshlrev_b32 v7, v13, v7 :: v_dual_sub_nc_u32 v12, 30, v12
	s_delay_alu instid0(VALU_DEP_1) | instskip(NEXT) | instid1(VALU_DEP_1)
	v_dual_lshlrev_b32 v5, 24, v5 :: v_dual_bitop2_b32 v7, 3, v7 bitop3:0x40
	v_dual_cndmask_b32 v12, v14, v12 :: v_dual_cndmask_b32 v7, v9, v7
	s_delay_alu instid0(VALU_DEP_2) | instskip(NEXT) | instid1(VALU_DEP_2)
	v_and_b32_e32 v5, 0x80000000, v5
	v_lshl_add_u32 v9, v12, 23, 0x37800000
	s_delay_alu instid0(VALU_DEP_3) | instskip(NEXT) | instid1(VALU_DEP_1)
	v_lshlrev_b32_e32 v7, 21, v7
	v_or3_b32 v5, v5, v9, v7
	s_delay_alu instid0(VALU_DEP_1)
	v_cvt_i32_f32_e32 v12, v5
.LBB183_1503:
	s_or_b32 exec_lo, exec_lo, s13
	s_mov_b32 s13, 0
	s_branch .LBB183_1509
.LBB183_1504:
	s_mov_b32 s13, -1
                                        ; implicit-def: $vgpr12
	s_branch .LBB183_1515
.LBB183_1505:
	s_and_not1_saveexec_b32 s14, s14
	s_cbranch_execz .LBB183_1490
.LBB183_1506:
	v_cmp_ne_u16_e32 vcc_lo, 0, v5
	s_and_not1_b32 s15, s15, exec_lo
	s_and_b32 s16, vcc_lo, exec_lo
	s_delay_alu instid0(SALU_CYCLE_1)
	s_or_b32 s15, s15, s16
	s_or_b32 exec_lo, exec_lo, s14
	v_mov_b32_e32 v12, 0
	s_and_saveexec_b32 s14, s15
	s_cbranch_execnz .LBB183_1491
	s_branch .LBB183_1492
.LBB183_1507:
	s_mov_b32 s13, -1
                                        ; implicit-def: $vgpr12
	s_branch .LBB183_1512
.LBB183_1508:
	s_mov_b32 s13, -1
                                        ; implicit-def: $vgpr12
.LBB183_1509:
	s_delay_alu instid0(SALU_CYCLE_1)
	s_and_b32 vcc_lo, exec_lo, s13
	s_cbranch_vccz .LBB183_1511
; %bb.1510:
	global_load_u8 v5, v[10:11], off
	s_wait_loadcnt 0x0
	v_lshlrev_b32_e32 v5, 24, v5
	s_delay_alu instid0(VALU_DEP_1) | instskip(NEXT) | instid1(VALU_DEP_1)
	v_and_b32_e32 v7, 0x7f000000, v5
	v_clz_i32_u32_e32 v9, v7
	s_wait_xcnt 0x1
	v_add_nc_u32_e32 v13, 0x1000000, v7
	v_cmp_ne_u32_e32 vcc_lo, 0, v7
	s_delay_alu instid0(VALU_DEP_3) | instskip(NEXT) | instid1(VALU_DEP_1)
	v_min_u32_e32 v9, 32, v9
	v_sub_nc_u32_e64 v9, v9, 4 clamp
	s_delay_alu instid0(VALU_DEP_1) | instskip(NEXT) | instid1(VALU_DEP_1)
	v_dual_lshlrev_b32 v12, v9, v7 :: v_dual_lshlrev_b32 v9, 23, v9
	v_lshrrev_b32_e32 v12, 4, v12
	s_delay_alu instid0(VALU_DEP_1) | instskip(SKIP_1) | instid1(VALU_DEP_2)
	v_sub_nc_u32_e32 v9, v12, v9
	v_ashrrev_i32_e32 v12, 8, v13
	v_add_nc_u32_e32 v9, 0x3c000000, v9
	s_delay_alu instid0(VALU_DEP_1) | instskip(NEXT) | instid1(VALU_DEP_1)
	v_and_or_b32 v9, 0x7f800000, v12, v9
	v_cndmask_b32_e32 v7, 0, v9, vcc_lo
	s_delay_alu instid0(VALU_DEP_1) | instskip(NEXT) | instid1(VALU_DEP_1)
	v_and_or_b32 v5, 0x80000000, v5, v7
	v_cvt_i32_f32_e32 v12, v5
.LBB183_1511:
	s_mov_b32 s13, 0
.LBB183_1512:
	s_delay_alu instid0(SALU_CYCLE_1)
	s_and_not1_b32 vcc_lo, exec_lo, s13
	s_cbranch_vccnz .LBB183_1514
; %bb.1513:
	global_load_u8 v5, v[10:11], off
	s_wait_loadcnt 0x0
	v_lshlrev_b32_e32 v7, 25, v5
	v_lshlrev_b16 v5, 8, v5
	s_wait_xcnt 0x1
	s_delay_alu instid0(VALU_DEP_1) | instskip(SKIP_1) | instid1(VALU_DEP_2)
	v_and_or_b32 v12, 0x7f00, v5, 0.5
	v_bfe_i32 v5, v5, 0, 16
	v_dual_add_f32 v12, -0.5, v12 :: v_dual_lshrrev_b32 v9, 4, v7
	v_cmp_gt_u32_e32 vcc_lo, 0x8000000, v7
	s_delay_alu instid0(VALU_DEP_2) | instskip(NEXT) | instid1(VALU_DEP_1)
	v_or_b32_e32 v9, 0x70000000, v9
	v_mul_f32_e32 v9, 0x7800000, v9
	s_delay_alu instid0(VALU_DEP_1) | instskip(NEXT) | instid1(VALU_DEP_1)
	v_cndmask_b32_e32 v7, v9, v12, vcc_lo
	v_and_or_b32 v5, 0x80000000, v5, v7
	s_delay_alu instid0(VALU_DEP_1)
	v_cvt_i32_f32_e32 v12, v5
.LBB183_1514:
	s_mov_b32 s13, 0
	s_mov_b32 s14, -1
.LBB183_1515:
	s_and_not1_b32 vcc_lo, exec_lo, s13
	s_mov_b32 s13, 0
	s_cbranch_vccnz .LBB183_1526
; %bb.1516:
	s_cmp_gt_i32 s11, 14
	s_cbranch_scc0 .LBB183_1519
; %bb.1517:
	s_cmp_eq_u32 s11, 15
	s_cbranch_scc0 .LBB183_1522
; %bb.1518:
	global_load_u16 v5, v[10:11], off
	s_mov_b32 s12, 0
	s_mov_b32 s14, -1
	s_wait_loadcnt 0x0
	v_lshlrev_b32_e32 v5, 16, v5
	s_wait_xcnt 0x1
	s_delay_alu instid0(VALU_DEP_1)
	v_cvt_i32_f32_e32 v12, v5
	s_branch .LBB183_1524
.LBB183_1519:
	s_mov_b32 s13, -1
	s_branch .LBB183_1523
.LBB183_1520:
	s_and_not1_saveexec_b32 s13, s13
	s_cbranch_execz .LBB183_1501
.LBB183_1521:
	v_cmp_ne_u16_e32 vcc_lo, 0, v5
	s_and_not1_b32 s14, s14, exec_lo
	s_and_b32 s15, vcc_lo, exec_lo
	s_delay_alu instid0(SALU_CYCLE_1)
	s_or_b32 s14, s14, s15
	s_or_b32 exec_lo, exec_lo, s13
	v_mov_b32_e32 v12, 0
	s_and_saveexec_b32 s13, s14
	s_cbranch_execnz .LBB183_1502
	s_branch .LBB183_1503
.LBB183_1522:
	s_mov_b32 s12, -1
.LBB183_1523:
                                        ; implicit-def: $vgpr12
.LBB183_1524:
	s_and_b32 vcc_lo, exec_lo, s13
	s_mov_b32 s13, 0
	s_cbranch_vccz .LBB183_1526
; %bb.1525:
	s_cmp_lg_u32 s11, 11
	s_mov_b32 s13, -1
	s_cselect_b32 s12, -1, 0
.LBB183_1526:
	s_delay_alu instid0(SALU_CYCLE_1)
	s_and_b32 vcc_lo, exec_lo, s12
	s_cbranch_vccnz .LBB183_1600
; %bb.1527:
	s_and_not1_b32 vcc_lo, exec_lo, s13
	s_cbranch_vccnz .LBB183_1529
.LBB183_1528:
	global_load_u8 v5, v[10:11], off
	s_mov_b32 s14, -1
	s_wait_loadcnt 0x0
	v_cmp_ne_u16_e32 vcc_lo, 0, v5
	s_wait_xcnt 0x1
	v_cndmask_b32_e64 v12, 0, 1, vcc_lo
.LBB183_1529:
	s_branch .LBB183_1460
.LBB183_1530:
	s_cmp_lt_i32 s11, 5
	s_cbranch_scc1 .LBB183_1535
; %bb.1531:
	s_cmp_lt_i32 s11, 8
	s_cbranch_scc1 .LBB183_1536
; %bb.1532:
	;; [unrolled: 3-line block ×3, first 2 shown]
	s_cmp_gt_i32 s11, 9
	s_cbranch_scc0 .LBB183_1538
; %bb.1534:
	s_wait_loadcnt 0x0
	global_load_b64 v[12:13], v[10:11], off
	s_mov_b32 s12, 0
	s_wait_loadcnt 0x0
	v_cvt_i32_f64_e32 v12, v[12:13]
	s_branch .LBB183_1539
.LBB183_1535:
	s_mov_b32 s12, -1
                                        ; implicit-def: $vgpr12
	s_branch .LBB183_1557
.LBB183_1536:
	s_mov_b32 s12, -1
                                        ; implicit-def: $vgpr12
	s_branch .LBB183_1545
.LBB183_1537:
	s_mov_b32 s12, -1
                                        ; implicit-def: $vgpr12
	s_branch .LBB183_1542
.LBB183_1538:
	s_mov_b32 s12, -1
                                        ; implicit-def: $vgpr12
.LBB183_1539:
	s_delay_alu instid0(SALU_CYCLE_1)
	s_and_not1_b32 vcc_lo, exec_lo, s12
	s_cbranch_vccnz .LBB183_1541
; %bb.1540:
	global_load_b32 v5, v[10:11], off
	s_wait_loadcnt 0x0
	s_wait_xcnt 0x1
	v_cvt_i32_f32_e32 v12, v5
.LBB183_1541:
	s_mov_b32 s12, 0
.LBB183_1542:
	s_delay_alu instid0(SALU_CYCLE_1)
	s_and_not1_b32 vcc_lo, exec_lo, s12
	s_cbranch_vccnz .LBB183_1544
; %bb.1543:
	global_load_b32 v5, v[10:11], off
	s_wait_loadcnt 0x0
	s_wait_xcnt 0x1
	v_cvt_i16_f16_e32 v12, v5
.LBB183_1544:
	s_mov_b32 s12, 0
.LBB183_1545:
	s_delay_alu instid0(SALU_CYCLE_1)
	s_and_not1_b32 vcc_lo, exec_lo, s12
	s_cbranch_vccnz .LBB183_1556
; %bb.1546:
	s_cmp_lt_i32 s11, 6
	s_cbranch_scc1 .LBB183_1549
; %bb.1547:
	s_cmp_gt_i32 s11, 6
	s_cbranch_scc0 .LBB183_1550
; %bb.1548:
	s_wait_loadcnt 0x0
	global_load_b64 v[12:13], v[10:11], off
	s_mov_b32 s12, 0
	s_wait_loadcnt 0x0
	v_cvt_i32_f64_e32 v12, v[12:13]
	s_branch .LBB183_1551
.LBB183_1549:
	s_mov_b32 s12, -1
                                        ; implicit-def: $vgpr12
	s_branch .LBB183_1554
.LBB183_1550:
	s_mov_b32 s12, -1
                                        ; implicit-def: $vgpr12
.LBB183_1551:
	s_delay_alu instid0(SALU_CYCLE_1)
	s_and_not1_b32 vcc_lo, exec_lo, s12
	s_cbranch_vccnz .LBB183_1553
; %bb.1552:
	global_load_b32 v5, v[10:11], off
	s_wait_loadcnt 0x0
	s_wait_xcnt 0x1
	v_cvt_i32_f32_e32 v12, v5
.LBB183_1553:
	s_mov_b32 s12, 0
.LBB183_1554:
	s_delay_alu instid0(SALU_CYCLE_1)
	s_and_not1_b32 vcc_lo, exec_lo, s12
	s_cbranch_vccnz .LBB183_1556
; %bb.1555:
	global_load_u16 v5, v[10:11], off
	s_wait_loadcnt 0x0
	s_wait_xcnt 0x1
	v_cvt_i16_f16_e32 v12, v5
.LBB183_1556:
	s_mov_b32 s12, 0
.LBB183_1557:
	s_delay_alu instid0(SALU_CYCLE_1)
	s_and_not1_b32 vcc_lo, exec_lo, s12
	s_cbranch_vccnz .LBB183_1577
; %bb.1558:
	s_cmp_lt_i32 s11, 2
	s_cbranch_scc1 .LBB183_1562
; %bb.1559:
	s_cmp_lt_i32 s11, 3
	s_cbranch_scc1 .LBB183_1563
; %bb.1560:
	s_cmp_gt_i32 s11, 3
	s_cbranch_scc0 .LBB183_1564
; %bb.1561:
	s_wait_loadcnt 0x0
	global_load_b64 v[12:13], v[10:11], off
	s_mov_b32 s12, 0
	s_branch .LBB183_1565
.LBB183_1562:
	s_mov_b32 s12, -1
                                        ; implicit-def: $vgpr12
	s_branch .LBB183_1571
.LBB183_1563:
	s_mov_b32 s12, -1
                                        ; implicit-def: $vgpr12
	s_branch .LBB183_1568
.LBB183_1564:
	s_mov_b32 s12, -1
                                        ; implicit-def: $vgpr12
.LBB183_1565:
	s_delay_alu instid0(SALU_CYCLE_1)
	s_and_not1_b32 vcc_lo, exec_lo, s12
	s_cbranch_vccnz .LBB183_1567
; %bb.1566:
	s_wait_loadcnt 0x0
	global_load_b32 v12, v[10:11], off
.LBB183_1567:
	s_mov_b32 s12, 0
.LBB183_1568:
	s_delay_alu instid0(SALU_CYCLE_1)
	s_and_not1_b32 vcc_lo, exec_lo, s12
	s_cbranch_vccnz .LBB183_1570
; %bb.1569:
	s_wait_loadcnt 0x0
	global_load_u16 v12, v[10:11], off
.LBB183_1570:
	s_mov_b32 s12, 0
.LBB183_1571:
	s_delay_alu instid0(SALU_CYCLE_1)
	s_and_not1_b32 vcc_lo, exec_lo, s12
	s_cbranch_vccnz .LBB183_1577
; %bb.1572:
	s_cmp_gt_i32 s11, 0
	s_mov_b32 s12, 0
	s_cbranch_scc0 .LBB183_1574
; %bb.1573:
	s_wait_loadcnt 0x0
	global_load_u8 v12, v[10:11], off
	s_branch .LBB183_1575
.LBB183_1574:
	s_mov_b32 s12, -1
                                        ; implicit-def: $vgpr12
.LBB183_1575:
	s_delay_alu instid0(SALU_CYCLE_1)
	s_and_not1_b32 vcc_lo, exec_lo, s12
	s_cbranch_vccnz .LBB183_1577
; %bb.1576:
	s_wait_loadcnt 0x0
	global_load_u8 v12, v[10:11], off
.LBB183_1577:
.LBB183_1578:
	s_cmp_lt_i32 s0, 1
	s_mov_b32 s12, 0
	s_cbranch_scc1 .LBB183_1581
; %bb.1579:
	s_cmp_eq_u32 s0, 1
	s_cbranch_scc0 .LBB183_1591
; %bb.1580:
	s_wait_loadcnt 0x0
	s_delay_alu instid0(VALU_DEP_1) | instskip(SKIP_2) | instid1(VALU_DEP_1)
	v_bfe_i32 v5, v12, 0, 8
	s_bfe_i32 s13, s1, 0x80000
	s_wait_xcnt 0x0
	v_min_i16 v13, v5, s13
	s_mov_b32 s13, 0
	s_branch .LBB183_1592
.LBB183_1581:
	s_mov_b32 s13, 0
                                        ; implicit-def: $vgpr13
	s_cbranch_execnz .LBB183_1593
.LBB183_1582:
	s_and_not1_b32 vcc_lo, exec_lo, s13
	s_cbranch_vccnz .LBB183_1594
.LBB183_1583:
	v_mov_b32_e32 v5, 0
	s_wait_loadcnt 0x0
	s_delay_alu instid0(VALU_DEP_2)
	v_bfe_i32 v7, v12, 0, 8
	s_bfe_i32 s12, s1, 0x80000
	global_load_i8 v5, v5, s[2:3] offset:349
	v_max_i16 v7, v7, s12
	s_wait_loadcnt 0x0
	s_wait_xcnt 0x1
	s_delay_alu instid0(VALU_DEP_1)
	v_min_i16 v13, v7, v5
	s_cbranch_execz .LBB183_1595
.LBB183_1584:
	v_mov_b32_e32 v9, 0
	s_cmp_lt_i32 s11, 11
	s_delay_alu instid0(VALU_DEP_1)
	v_add_nc_u64_e32 v[8:9], s[6:7], v[8:9]
	s_cbranch_scc1 .LBB183_1596
.LBB183_1585:
	s_cmp_gt_i32 s11, 25
	s_mov_b32 s7, 0
	s_cbranch_scc0 .LBB183_1597
; %bb.1586:
	s_cmp_gt_i32 s11, 28
	s_cbranch_scc0 .LBB183_1598
; %bb.1587:
	s_cmp_gt_i32 s11, 43
	;; [unrolled: 3-line block ×3, first 2 shown]
	s_cbranch_scc0 .LBB183_1601
; %bb.1589:
	s_cmp_eq_u32 s11, 46
	s_mov_b32 s13, 0
	s_cbranch_scc0 .LBB183_1602
; %bb.1590:
	global_load_b32 v5, v[8:9], off
	s_mov_b32 s6, 0
	s_mov_b32 s12, -1
	s_wait_loadcnt 0x0
	v_lshlrev_b32_e32 v5, 16, v5
	s_delay_alu instid0(VALU_DEP_1)
	v_cvt_i32_f32_e32 v10, v5
	s_branch .LBB183_1604
.LBB183_1591:
	s_mov_b32 s13, -1
                                        ; implicit-def: $vgpr13
.LBB183_1592:
	s_branch .LBB183_1582
.LBB183_1593:
	s_cmp_lg_u32 s0, 0
	s_mov_b32 s12, -1
	s_cselect_b32 s13, -1, 0
	s_delay_alu instid0(SALU_CYCLE_1)
	s_and_not1_b32 vcc_lo, exec_lo, s13
	s_cbranch_vccz .LBB183_1583
.LBB183_1594:
	s_and_not1_b32 vcc_lo, exec_lo, s12
	s_cbranch_vccnz .LBB183_1584
.LBB183_1595:
	s_wait_loadcnt 0x0
	s_delay_alu instid0(VALU_DEP_1)
	v_bfe_i32 v5, v12, 0, 8
	s_bfe_i32 s12, s1, 0x80000
	s_delay_alu instid0(VALU_DEP_1) | instid1(SALU_CYCLE_1)
	v_max_i16 v13, v5, s12
	v_mov_b32_e32 v9, 0
	s_cmp_lt_i32 s11, 11
	s_delay_alu instid0(VALU_DEP_1)
	v_add_nc_u64_e32 v[8:9], s[6:7], v[8:9]
	s_cbranch_scc0 .LBB183_1585
.LBB183_1596:
	s_mov_b32 s6, -1
	s_mov_b32 s12, 0
                                        ; implicit-def: $vgpr10
	s_branch .LBB183_1666
.LBB183_1597:
	s_mov_b32 s13, -1
	s_mov_b32 s12, 0
	s_mov_b32 s6, 0
                                        ; implicit-def: $vgpr10
	s_branch .LBB183_1631
.LBB183_1598:
	s_mov_b32 s13, -1
	s_mov_b32 s12, 0
	s_mov_b32 s6, 0
                                        ; implicit-def: $vgpr10
	s_branch .LBB183_1614
.LBB183_1599:
	s_mov_b32 s13, -1
	s_mov_b32 s12, 0
	s_mov_b32 s6, 0
                                        ; implicit-def: $vgpr10
	s_branch .LBB183_1609
.LBB183_1600:
	s_or_b32 s10, s10, exec_lo
	s_trap 2
	s_cbranch_execz .LBB183_1528
	s_branch .LBB183_1529
.LBB183_1601:
	s_mov_b32 s13, -1
	s_mov_b32 s12, 0
	s_mov_b32 s6, 0
	s_branch .LBB183_1603
.LBB183_1602:
	s_mov_b32 s6, -1
	s_mov_b32 s12, 0
.LBB183_1603:
                                        ; implicit-def: $vgpr10
.LBB183_1604:
	s_and_b32 vcc_lo, exec_lo, s13
	s_cbranch_vccz .LBB183_1608
; %bb.1605:
	s_cmp_eq_u32 s11, 44
	s_cbranch_scc0 .LBB183_1607
; %bb.1606:
	global_load_u8 v5, v[8:9], off
	s_mov_b32 s6, 0
	s_mov_b32 s12, -1
	s_wait_loadcnt 0x0
	v_lshlrev_b32_e32 v7, 23, v5
	v_cmp_ne_u32_e32 vcc_lo, 0, v5
	s_delay_alu instid0(VALU_DEP_2) | instskip(NEXT) | instid1(VALU_DEP_1)
	v_cvt_i32_f32_e32 v7, v7
	v_cndmask_b32_e32 v10, 0, v7, vcc_lo
	s_branch .LBB183_1608
.LBB183_1607:
	s_mov_b32 s6, -1
                                        ; implicit-def: $vgpr10
.LBB183_1608:
	s_mov_b32 s13, 0
.LBB183_1609:
	s_delay_alu instid0(SALU_CYCLE_1)
	s_and_b32 vcc_lo, exec_lo, s13
	s_cbranch_vccz .LBB183_1613
; %bb.1610:
	s_cmp_eq_u32 s11, 29
	s_cbranch_scc0 .LBB183_1612
; %bb.1611:
	global_load_b64 v[10:11], v[8:9], off
	s_mov_b32 s6, 0
	s_mov_b32 s12, -1
	s_branch .LBB183_1613
.LBB183_1612:
	s_mov_b32 s6, -1
                                        ; implicit-def: $vgpr10
.LBB183_1613:
	s_mov_b32 s13, 0
.LBB183_1614:
	s_delay_alu instid0(SALU_CYCLE_1)
	s_and_b32 vcc_lo, exec_lo, s13
	s_cbranch_vccz .LBB183_1630
; %bb.1615:
	s_cmp_lt_i32 s11, 27
	s_cbranch_scc1 .LBB183_1618
; %bb.1616:
	s_cmp_gt_i32 s11, 27
	s_cbranch_scc0 .LBB183_1619
; %bb.1617:
	s_wait_loadcnt 0x0
	global_load_b32 v10, v[8:9], off
	s_mov_b32 s12, 0
	s_branch .LBB183_1620
.LBB183_1618:
	s_mov_b32 s12, -1
                                        ; implicit-def: $vgpr10
	s_branch .LBB183_1623
.LBB183_1619:
	s_mov_b32 s12, -1
                                        ; implicit-def: $vgpr10
.LBB183_1620:
	s_delay_alu instid0(SALU_CYCLE_1)
	s_and_not1_b32 vcc_lo, exec_lo, s12
	s_cbranch_vccnz .LBB183_1622
; %bb.1621:
	s_wait_loadcnt 0x0
	global_load_u16 v10, v[8:9], off
.LBB183_1622:
	s_mov_b32 s12, 0
.LBB183_1623:
	s_delay_alu instid0(SALU_CYCLE_1)
	s_and_not1_b32 vcc_lo, exec_lo, s12
	s_cbranch_vccnz .LBB183_1629
; %bb.1624:
	global_load_u8 v5, v[8:9], off
	s_mov_b32 s13, 0
	s_mov_b32 s12, exec_lo
	s_wait_loadcnt 0x0
	v_cmpx_lt_i16_e32 0x7f, v5
	s_xor_b32 s12, exec_lo, s12
	s_cbranch_execz .LBB183_1641
; %bb.1625:
	v_cmp_ne_u16_e32 vcc_lo, 0x80, v5
	s_and_b32 s13, vcc_lo, exec_lo
	s_and_not1_saveexec_b32 s12, s12
	s_cbranch_execnz .LBB183_1642
.LBB183_1626:
	s_or_b32 exec_lo, exec_lo, s12
	v_mov_b32_e32 v10, 0
	s_and_saveexec_b32 s12, s13
	s_cbranch_execz .LBB183_1628
.LBB183_1627:
	v_and_b32_e32 v7, 0xffff, v5
	s_delay_alu instid0(VALU_DEP_1) | instskip(SKIP_1) | instid1(VALU_DEP_2)
	v_dual_lshlrev_b32 v5, 24, v5 :: v_dual_bitop2_b32 v10, 7, v7 bitop3:0x40
	v_bfe_u32 v14, v7, 3, 4
	v_and_b32_e32 v5, 0x80000000, v5
	s_delay_alu instid0(VALU_DEP_3) | instskip(NEXT) | instid1(VALU_DEP_3)
	v_clz_i32_u32_e32 v11, v10
	v_cmp_eq_u32_e32 vcc_lo, 0, v14
	s_delay_alu instid0(VALU_DEP_2) | instskip(NEXT) | instid1(VALU_DEP_1)
	v_min_u32_e32 v11, 32, v11
	v_subrev_nc_u32_e32 v12, 28, v11
	v_sub_nc_u32_e32 v11, 29, v11
	s_delay_alu instid0(VALU_DEP_2) | instskip(NEXT) | instid1(VALU_DEP_2)
	v_lshlrev_b32_e32 v7, v12, v7
	v_cndmask_b32_e32 v11, v14, v11, vcc_lo
	s_delay_alu instid0(VALU_DEP_2) | instskip(NEXT) | instid1(VALU_DEP_1)
	v_and_b32_e32 v7, 7, v7
	v_cndmask_b32_e32 v7, v10, v7, vcc_lo
	s_delay_alu instid0(VALU_DEP_3) | instskip(NEXT) | instid1(VALU_DEP_2)
	v_lshl_add_u32 v10, v11, 23, 0x3b800000
	v_lshlrev_b32_e32 v7, 20, v7
	s_delay_alu instid0(VALU_DEP_1) | instskip(NEXT) | instid1(VALU_DEP_1)
	v_or3_b32 v5, v5, v10, v7
	v_cvt_i32_f32_e32 v10, v5
.LBB183_1628:
	s_or_b32 exec_lo, exec_lo, s12
.LBB183_1629:
	s_mov_b32 s12, -1
.LBB183_1630:
	s_mov_b32 s13, 0
.LBB183_1631:
	s_delay_alu instid0(SALU_CYCLE_1)
	s_and_b32 vcc_lo, exec_lo, s13
	s_cbranch_vccz .LBB183_1662
; %bb.1632:
	s_cmp_gt_i32 s11, 22
	s_cbranch_scc0 .LBB183_1640
; %bb.1633:
	s_cmp_lt_i32 s11, 24
	s_cbranch_scc1 .LBB183_1643
; %bb.1634:
	s_cmp_gt_i32 s11, 24
	s_cbranch_scc0 .LBB183_1644
; %bb.1635:
	global_load_u8 v5, v[8:9], off
	s_mov_b32 s12, 0
	s_mov_b32 s7, exec_lo
	s_wait_loadcnt 0x0
	v_cmpx_lt_i16_e32 0x7f, v5
	s_xor_b32 s7, exec_lo, s7
	s_cbranch_execz .LBB183_1656
; %bb.1636:
	v_cmp_ne_u16_e32 vcc_lo, 0x80, v5
	s_and_b32 s12, vcc_lo, exec_lo
	s_and_not1_saveexec_b32 s7, s7
	s_cbranch_execnz .LBB183_1657
.LBB183_1637:
	s_or_b32 exec_lo, exec_lo, s7
	v_mov_b32_e32 v10, 0
	s_and_saveexec_b32 s7, s12
	s_cbranch_execz .LBB183_1639
.LBB183_1638:
	v_and_b32_e32 v7, 0xffff, v5
	s_delay_alu instid0(VALU_DEP_1) | instskip(SKIP_1) | instid1(VALU_DEP_2)
	v_dual_lshlrev_b32 v5, 24, v5 :: v_dual_bitop2_b32 v10, 3, v7 bitop3:0x40
	v_bfe_u32 v14, v7, 2, 5
	v_and_b32_e32 v5, 0x80000000, v5
	s_delay_alu instid0(VALU_DEP_3) | instskip(NEXT) | instid1(VALU_DEP_3)
	v_clz_i32_u32_e32 v11, v10
	v_cmp_eq_u32_e32 vcc_lo, 0, v14
	s_delay_alu instid0(VALU_DEP_2) | instskip(NEXT) | instid1(VALU_DEP_1)
	v_min_u32_e32 v11, 32, v11
	v_subrev_nc_u32_e32 v12, 29, v11
	v_sub_nc_u32_e32 v11, 30, v11
	s_delay_alu instid0(VALU_DEP_2) | instskip(NEXT) | instid1(VALU_DEP_2)
	v_lshlrev_b32_e32 v7, v12, v7
	v_cndmask_b32_e32 v11, v14, v11, vcc_lo
	s_delay_alu instid0(VALU_DEP_2) | instskip(NEXT) | instid1(VALU_DEP_1)
	v_and_b32_e32 v7, 3, v7
	v_cndmask_b32_e32 v7, v10, v7, vcc_lo
	s_delay_alu instid0(VALU_DEP_3) | instskip(NEXT) | instid1(VALU_DEP_2)
	v_lshl_add_u32 v10, v11, 23, 0x37800000
	v_lshlrev_b32_e32 v7, 21, v7
	s_delay_alu instid0(VALU_DEP_1) | instskip(NEXT) | instid1(VALU_DEP_1)
	v_or3_b32 v5, v5, v10, v7
	v_cvt_i32_f32_e32 v10, v5
.LBB183_1639:
	s_or_b32 exec_lo, exec_lo, s7
	s_mov_b32 s7, 0
	s_branch .LBB183_1645
.LBB183_1640:
	s_mov_b32 s7, -1
                                        ; implicit-def: $vgpr10
	s_branch .LBB183_1651
.LBB183_1641:
	s_and_not1_saveexec_b32 s12, s12
	s_cbranch_execz .LBB183_1626
.LBB183_1642:
	v_cmp_ne_u16_e32 vcc_lo, 0, v5
	s_and_not1_b32 s13, s13, exec_lo
	s_and_b32 s14, vcc_lo, exec_lo
	s_delay_alu instid0(SALU_CYCLE_1)
	s_or_b32 s13, s13, s14
	s_or_b32 exec_lo, exec_lo, s12
	v_mov_b32_e32 v10, 0
	s_and_saveexec_b32 s12, s13
	s_cbranch_execnz .LBB183_1627
	s_branch .LBB183_1628
.LBB183_1643:
	s_mov_b32 s7, -1
                                        ; implicit-def: $vgpr10
	s_branch .LBB183_1648
.LBB183_1644:
	s_mov_b32 s7, -1
                                        ; implicit-def: $vgpr10
.LBB183_1645:
	s_delay_alu instid0(SALU_CYCLE_1)
	s_and_b32 vcc_lo, exec_lo, s7
	s_cbranch_vccz .LBB183_1647
; %bb.1646:
	global_load_u8 v5, v[8:9], off
	s_wait_loadcnt 0x0
	v_lshlrev_b32_e32 v5, 24, v5
	s_delay_alu instid0(VALU_DEP_1) | instskip(NEXT) | instid1(VALU_DEP_1)
	v_and_b32_e32 v7, 0x7f000000, v5
	v_clz_i32_u32_e32 v10, v7
	v_cmp_ne_u32_e32 vcc_lo, 0, v7
	v_add_nc_u32_e32 v12, 0x1000000, v7
	s_delay_alu instid0(VALU_DEP_3) | instskip(NEXT) | instid1(VALU_DEP_1)
	v_min_u32_e32 v10, 32, v10
	v_sub_nc_u32_e64 v10, v10, 4 clamp
	s_delay_alu instid0(VALU_DEP_1) | instskip(NEXT) | instid1(VALU_DEP_1)
	v_dual_lshlrev_b32 v11, v10, v7 :: v_dual_lshlrev_b32 v10, 23, v10
	v_lshrrev_b32_e32 v11, 4, v11
	s_delay_alu instid0(VALU_DEP_1) | instskip(NEXT) | instid1(VALU_DEP_1)
	v_dual_sub_nc_u32 v10, v11, v10 :: v_dual_ashrrev_i32 v11, 8, v12
	v_add_nc_u32_e32 v10, 0x3c000000, v10
	s_delay_alu instid0(VALU_DEP_1) | instskip(NEXT) | instid1(VALU_DEP_1)
	v_and_or_b32 v10, 0x7f800000, v11, v10
	v_cndmask_b32_e32 v7, 0, v10, vcc_lo
	s_delay_alu instid0(VALU_DEP_1) | instskip(NEXT) | instid1(VALU_DEP_1)
	v_and_or_b32 v5, 0x80000000, v5, v7
	v_cvt_i32_f32_e32 v10, v5
.LBB183_1647:
	s_mov_b32 s7, 0
.LBB183_1648:
	s_delay_alu instid0(SALU_CYCLE_1)
	s_and_not1_b32 vcc_lo, exec_lo, s7
	s_cbranch_vccnz .LBB183_1650
; %bb.1649:
	global_load_u8 v5, v[8:9], off
	s_wait_loadcnt 0x0
	v_lshlrev_b32_e32 v7, 25, v5
	v_lshlrev_b16 v5, 8, v5
	s_delay_alu instid0(VALU_DEP_1) | instskip(SKIP_1) | instid1(VALU_DEP_2)
	v_and_or_b32 v11, 0x7f00, v5, 0.5
	v_bfe_i32 v5, v5, 0, 16
	v_add_f32_e32 v11, -0.5, v11
	v_lshrrev_b32_e32 v10, 4, v7
	v_cmp_gt_u32_e32 vcc_lo, 0x8000000, v7
	s_delay_alu instid0(VALU_DEP_2) | instskip(NEXT) | instid1(VALU_DEP_1)
	v_or_b32_e32 v10, 0x70000000, v10
	v_mul_f32_e32 v10, 0x7800000, v10
	s_delay_alu instid0(VALU_DEP_1) | instskip(NEXT) | instid1(VALU_DEP_1)
	v_cndmask_b32_e32 v7, v10, v11, vcc_lo
	v_and_or_b32 v5, 0x80000000, v5, v7
	s_delay_alu instid0(VALU_DEP_1)
	v_cvt_i32_f32_e32 v10, v5
.LBB183_1650:
	s_mov_b32 s7, 0
	s_mov_b32 s12, -1
.LBB183_1651:
	s_and_not1_b32 vcc_lo, exec_lo, s7
	s_mov_b32 s7, 0
	s_cbranch_vccnz .LBB183_1662
; %bb.1652:
	s_cmp_gt_i32 s11, 14
	s_cbranch_scc0 .LBB183_1655
; %bb.1653:
	s_cmp_eq_u32 s11, 15
	s_cbranch_scc0 .LBB183_1658
; %bb.1654:
	global_load_u16 v5, v[8:9], off
	s_mov_b32 s6, 0
	s_mov_b32 s12, -1
	s_wait_loadcnt 0x0
	v_lshlrev_b32_e32 v5, 16, v5
	s_delay_alu instid0(VALU_DEP_1)
	v_cvt_i32_f32_e32 v10, v5
	s_branch .LBB183_1660
.LBB183_1655:
	s_mov_b32 s7, -1
	s_branch .LBB183_1659
.LBB183_1656:
	s_and_not1_saveexec_b32 s7, s7
	s_cbranch_execz .LBB183_1637
.LBB183_1657:
	v_cmp_ne_u16_e32 vcc_lo, 0, v5
	s_and_not1_b32 s12, s12, exec_lo
	s_and_b32 s13, vcc_lo, exec_lo
	s_delay_alu instid0(SALU_CYCLE_1)
	s_or_b32 s12, s12, s13
	s_or_b32 exec_lo, exec_lo, s7
	v_mov_b32_e32 v10, 0
	s_and_saveexec_b32 s7, s12
	s_cbranch_execnz .LBB183_1638
	s_branch .LBB183_1639
.LBB183_1658:
	s_mov_b32 s6, -1
.LBB183_1659:
                                        ; implicit-def: $vgpr10
.LBB183_1660:
	s_and_b32 vcc_lo, exec_lo, s7
	s_mov_b32 s7, 0
	s_cbranch_vccz .LBB183_1662
; %bb.1661:
	s_cmp_lg_u32 s11, 11
	s_mov_b32 s7, -1
	s_cselect_b32 s6, -1, 0
.LBB183_1662:
	s_delay_alu instid0(SALU_CYCLE_1)
	s_and_b32 vcc_lo, exec_lo, s6
	s_cbranch_vccnz .LBB183_2208
; %bb.1663:
	s_and_not1_b32 vcc_lo, exec_lo, s7
	s_cbranch_vccnz .LBB183_1665
.LBB183_1664:
	global_load_u8 v5, v[8:9], off
	s_mov_b32 s12, -1
	s_wait_loadcnt 0x0
	v_cmp_ne_u16_e32 vcc_lo, 0, v5
	v_cndmask_b32_e64 v10, 0, 1, vcc_lo
.LBB183_1665:
	s_mov_b32 s6, 0
.LBB183_1666:
	s_delay_alu instid0(SALU_CYCLE_1)
	s_and_b32 vcc_lo, exec_lo, s6
	s_cbranch_vccz .LBB183_1715
; %bb.1667:
	s_cmp_lt_i32 s11, 5
	s_cbranch_scc1 .LBB183_1672
; %bb.1668:
	s_cmp_lt_i32 s11, 8
	s_cbranch_scc1 .LBB183_1673
	;; [unrolled: 3-line block ×3, first 2 shown]
; %bb.1670:
	s_cmp_gt_i32 s11, 9
	s_cbranch_scc0 .LBB183_1675
; %bb.1671:
	s_wait_loadcnt 0x0
	global_load_b64 v[10:11], v[8:9], off
	s_mov_b32 s6, 0
	s_wait_loadcnt 0x0
	v_cvt_i32_f64_e32 v10, v[10:11]
	s_branch .LBB183_1676
.LBB183_1672:
	s_mov_b32 s6, -1
                                        ; implicit-def: $vgpr10
	s_branch .LBB183_1694
.LBB183_1673:
	s_mov_b32 s6, -1
                                        ; implicit-def: $vgpr10
	s_branch .LBB183_1682
.LBB183_1674:
	s_mov_b32 s6, -1
                                        ; implicit-def: $vgpr10
	s_branch .LBB183_1679
.LBB183_1675:
	s_mov_b32 s6, -1
                                        ; implicit-def: $vgpr10
.LBB183_1676:
	s_delay_alu instid0(SALU_CYCLE_1)
	s_and_not1_b32 vcc_lo, exec_lo, s6
	s_cbranch_vccnz .LBB183_1678
; %bb.1677:
	global_load_b32 v5, v[8:9], off
	s_wait_loadcnt 0x0
	v_cvt_i32_f32_e32 v10, v5
.LBB183_1678:
	s_mov_b32 s6, 0
.LBB183_1679:
	s_delay_alu instid0(SALU_CYCLE_1)
	s_and_not1_b32 vcc_lo, exec_lo, s6
	s_cbranch_vccnz .LBB183_1681
; %bb.1680:
	global_load_b32 v5, v[8:9], off
	s_wait_loadcnt 0x0
	v_cvt_i16_f16_e32 v10, v5
.LBB183_1681:
	s_mov_b32 s6, 0
.LBB183_1682:
	s_delay_alu instid0(SALU_CYCLE_1)
	s_and_not1_b32 vcc_lo, exec_lo, s6
	s_cbranch_vccnz .LBB183_1693
; %bb.1683:
	s_cmp_lt_i32 s11, 6
	s_cbranch_scc1 .LBB183_1686
; %bb.1684:
	s_cmp_gt_i32 s11, 6
	s_cbranch_scc0 .LBB183_1687
; %bb.1685:
	s_wait_loadcnt 0x0
	global_load_b64 v[10:11], v[8:9], off
	s_mov_b32 s6, 0
	s_wait_loadcnt 0x0
	v_cvt_i32_f64_e32 v10, v[10:11]
	s_branch .LBB183_1688
.LBB183_1686:
	s_mov_b32 s6, -1
                                        ; implicit-def: $vgpr10
	s_branch .LBB183_1691
.LBB183_1687:
	s_mov_b32 s6, -1
                                        ; implicit-def: $vgpr10
.LBB183_1688:
	s_delay_alu instid0(SALU_CYCLE_1)
	s_and_not1_b32 vcc_lo, exec_lo, s6
	s_cbranch_vccnz .LBB183_1690
; %bb.1689:
	global_load_b32 v5, v[8:9], off
	s_wait_loadcnt 0x0
	v_cvt_i32_f32_e32 v10, v5
.LBB183_1690:
	s_mov_b32 s6, 0
.LBB183_1691:
	s_delay_alu instid0(SALU_CYCLE_1)
	s_and_not1_b32 vcc_lo, exec_lo, s6
	s_cbranch_vccnz .LBB183_1693
; %bb.1692:
	global_load_u16 v5, v[8:9], off
	s_wait_loadcnt 0x0
	v_cvt_i16_f16_e32 v10, v5
.LBB183_1693:
	s_mov_b32 s6, 0
.LBB183_1694:
	s_delay_alu instid0(SALU_CYCLE_1)
	s_and_not1_b32 vcc_lo, exec_lo, s6
	s_cbranch_vccnz .LBB183_1714
; %bb.1695:
	s_cmp_lt_i32 s11, 2
	s_cbranch_scc1 .LBB183_1699
; %bb.1696:
	s_cmp_lt_i32 s11, 3
	s_cbranch_scc1 .LBB183_1700
; %bb.1697:
	s_cmp_gt_i32 s11, 3
	s_cbranch_scc0 .LBB183_1701
; %bb.1698:
	s_wait_loadcnt 0x0
	global_load_b64 v[10:11], v[8:9], off
	s_mov_b32 s6, 0
	s_branch .LBB183_1702
.LBB183_1699:
	s_mov_b32 s6, -1
                                        ; implicit-def: $vgpr10
	s_branch .LBB183_1708
.LBB183_1700:
	s_mov_b32 s6, -1
                                        ; implicit-def: $vgpr10
	s_branch .LBB183_1705
.LBB183_1701:
	s_mov_b32 s6, -1
                                        ; implicit-def: $vgpr10
.LBB183_1702:
	s_delay_alu instid0(SALU_CYCLE_1)
	s_and_not1_b32 vcc_lo, exec_lo, s6
	s_cbranch_vccnz .LBB183_1704
; %bb.1703:
	s_wait_loadcnt 0x0
	global_load_b32 v10, v[8:9], off
.LBB183_1704:
	s_mov_b32 s6, 0
.LBB183_1705:
	s_delay_alu instid0(SALU_CYCLE_1)
	s_and_not1_b32 vcc_lo, exec_lo, s6
	s_cbranch_vccnz .LBB183_1707
; %bb.1706:
	s_wait_loadcnt 0x0
	global_load_u16 v10, v[8:9], off
.LBB183_1707:
	s_mov_b32 s6, 0
.LBB183_1708:
	s_delay_alu instid0(SALU_CYCLE_1)
	s_and_not1_b32 vcc_lo, exec_lo, s6
	s_cbranch_vccnz .LBB183_1714
; %bb.1709:
	s_cmp_gt_i32 s11, 0
	s_mov_b32 s6, 0
	s_cbranch_scc0 .LBB183_1711
; %bb.1710:
	s_wait_loadcnt 0x0
	global_load_u8 v10, v[8:9], off
	s_branch .LBB183_1712
.LBB183_1711:
	s_mov_b32 s6, -1
                                        ; implicit-def: $vgpr10
.LBB183_1712:
	s_delay_alu instid0(SALU_CYCLE_1)
	s_and_not1_b32 vcc_lo, exec_lo, s6
	s_cbranch_vccnz .LBB183_1714
; %bb.1713:
	s_wait_loadcnt 0x0
	global_load_u8 v10, v[8:9], off
.LBB183_1714:
	s_mov_b32 s12, -1
.LBB183_1715:
	s_delay_alu instid0(SALU_CYCLE_1)
	s_and_not1_b32 vcc_lo, exec_lo, s12
	s_cbranch_vccnz .LBB183_1719
; %bb.1716:
	s_cmp_lt_i32 s0, 1
	s_mov_b32 s6, 0
	s_cbranch_scc1 .LBB183_1764
; %bb.1717:
	s_cmp_eq_u32 s0, 1
	s_cbranch_scc0 .LBB183_1765
; %bb.1718:
	s_wait_loadcnt 0x0
	s_delay_alu instid0(VALU_DEP_1)
	v_bfe_i32 v5, v10, 0, 8
	s_bfe_i32 s7, s1, 0x80000
	s_delay_alu instid0(VALU_DEP_1) | instid1(SALU_CYCLE_1)
	v_min_i16 v8, v5, s7
	s_mov_b32 s7, 0
	s_branch .LBB183_1766
.LBB183_1719:
	s_mov_b32 s0, 0
	s_wait_xcnt 0x0
	s_mov_b32 s3, 0
                                        ; implicit-def: $vgpr2_vgpr3
                                        ; implicit-def: $sgpr1
                                        ; implicit-def: $vgpr8
.LBB183_1720:
	s_and_not1_b32 s2, s8, exec_lo
	s_and_b32 s4, s10, exec_lo
	s_and_b32 s0, s0, exec_lo
	s_and_b32 s34, s3, exec_lo
	s_or_b32 s8, s2, s4
.LBB183_1721:
	s_wait_xcnt 0x0
	s_or_b32 exec_lo, exec_lo, s9
	s_and_saveexec_b32 s2, s8
	s_cbranch_execz .LBB183_1724
; %bb.1722:
	; divergent unreachable
	s_or_b32 exec_lo, exec_lo, s2
	s_and_saveexec_b32 s2, s34
	s_delay_alu instid0(SALU_CYCLE_1)
	s_xor_b32 s2, exec_lo, s2
	s_cbranch_execnz .LBB183_1725
.LBB183_1723:
	s_or_b32 exec_lo, exec_lo, s2
	s_and_saveexec_b32 s2, s0
	s_cbranch_execnz .LBB183_1726
	s_branch .LBB183_1763
.LBB183_1724:
	s_or_b32 exec_lo, exec_lo, s2
	s_and_saveexec_b32 s2, s34
	s_delay_alu instid0(SALU_CYCLE_1)
	s_xor_b32 s2, exec_lo, s2
	s_cbranch_execz .LBB183_1723
.LBB183_1725:
	v_and_b32_e32 v0, 0xff, v8
	s_delay_alu instid0(VALU_DEP_1)
	v_cmp_ne_u16_e32 vcc_lo, 0, v0
	v_cndmask_b32_e64 v0, 0, 1, vcc_lo
	global_store_b8 v[2:3], v0, off
	s_wait_xcnt 0x0
	s_or_b32 exec_lo, exec_lo, s2
	s_and_saveexec_b32 s2, s0
	s_cbranch_execz .LBB183_1763
.LBB183_1726:
	s_sext_i32_i16 s2, s1
	s_mov_b32 s0, -1
	s_cmp_lt_i32 s2, 5
	s_cbranch_scc1 .LBB183_1747
; %bb.1727:
	s_cmp_lt_i32 s2, 8
	s_cbranch_scc1 .LBB183_1737
; %bb.1728:
	;; [unrolled: 3-line block ×3, first 2 shown]
	s_cmp_gt_i32 s2, 9
	s_cbranch_scc0 .LBB183_1731
; %bb.1730:
	v_bfe_i32 v0, v8, 0, 8
	s_wait_loadcnt 0x0
	v_mov_b32_e32 v6, 0
	s_mov_b32 s0, 0
	s_delay_alu instid0(VALU_DEP_2) | instskip(NEXT) | instid1(VALU_DEP_2)
	v_bfe_i32 v0, v0, 0, 16
	v_mov_b32_e32 v7, v6
	s_delay_alu instid0(VALU_DEP_2)
	v_cvt_f64_i32_e32 v[4:5], v0
	global_store_b128 v[2:3], v[4:7], off
.LBB183_1731:
	s_and_not1_b32 vcc_lo, exec_lo, s0
	s_cbranch_vccnz .LBB183_1733
; %bb.1732:
	v_bfe_i32 v0, v8, 0, 8
	v_mov_b32_e32 v1, 0
	s_delay_alu instid0(VALU_DEP_2) | instskip(NEXT) | instid1(VALU_DEP_1)
	v_bfe_i32 v0, v0, 0, 16
	v_cvt_f32_i32_e32 v0, v0
	global_store_b64 v[2:3], v[0:1], off
.LBB183_1733:
	s_mov_b32 s0, 0
.LBB183_1734:
	s_delay_alu instid0(SALU_CYCLE_1)
	s_and_not1_b32 vcc_lo, exec_lo, s0
	s_cbranch_vccnz .LBB183_1736
; %bb.1735:
	s_wait_xcnt 0x0
	v_bfe_i32 v0, v8, 0, 8
	s_delay_alu instid0(VALU_DEP_1) | instskip(NEXT) | instid1(VALU_DEP_1)
	v_cvt_f16_i16_e32 v0, v0
	v_and_b32_e32 v0, 0xffff, v0
	global_store_b32 v[2:3], v0, off
.LBB183_1736:
	s_mov_b32 s0, 0
.LBB183_1737:
	s_delay_alu instid0(SALU_CYCLE_1)
	s_and_not1_b32 vcc_lo, exec_lo, s0
	s_cbranch_vccnz .LBB183_1746
; %bb.1738:
	s_sext_i32_i16 s2, s1
	s_mov_b32 s0, -1
	s_cmp_lt_i32 s2, 6
	s_cbranch_scc1 .LBB183_1744
; %bb.1739:
	s_cmp_gt_i32 s2, 6
	s_cbranch_scc0 .LBB183_1741
; %bb.1740:
	s_wait_xcnt 0x0
	v_bfe_i32 v0, v8, 0, 8
	s_mov_b32 s0, 0
	s_delay_alu instid0(VALU_DEP_1) | instskip(NEXT) | instid1(VALU_DEP_1)
	v_bfe_i32 v0, v0, 0, 16
	v_cvt_f64_i32_e32 v[0:1], v0
	global_store_b64 v[2:3], v[0:1], off
.LBB183_1741:
	s_and_not1_b32 vcc_lo, exec_lo, s0
	s_cbranch_vccnz .LBB183_1743
; %bb.1742:
	s_wait_xcnt 0x0
	v_bfe_i32 v0, v8, 0, 8
	s_delay_alu instid0(VALU_DEP_1) | instskip(NEXT) | instid1(VALU_DEP_1)
	v_bfe_i32 v0, v0, 0, 16
	v_cvt_f32_i32_e32 v0, v0
	global_store_b32 v[2:3], v0, off
.LBB183_1743:
	s_mov_b32 s0, 0
.LBB183_1744:
	s_delay_alu instid0(SALU_CYCLE_1)
	s_and_not1_b32 vcc_lo, exec_lo, s0
	s_cbranch_vccnz .LBB183_1746
; %bb.1745:
	s_wait_xcnt 0x0
	v_bfe_i32 v0, v8, 0, 8
	s_delay_alu instid0(VALU_DEP_1)
	v_cvt_f16_i16_e32 v0, v0
	global_store_b16 v[2:3], v0, off
.LBB183_1746:
	s_mov_b32 s0, 0
.LBB183_1747:
	s_delay_alu instid0(SALU_CYCLE_1)
	s_and_not1_b32 vcc_lo, exec_lo, s0
	s_cbranch_vccnz .LBB183_1763
; %bb.1748:
	s_sext_i32_i16 s2, s1
	s_mov_b32 s0, -1
	s_cmp_lt_i32 s2, 2
	s_cbranch_scc1 .LBB183_1758
; %bb.1749:
	s_cmp_lt_i32 s2, 3
	s_cbranch_scc1 .LBB183_1755
; %bb.1750:
	s_cmp_gt_i32 s2, 3
	s_cbranch_scc0 .LBB183_1752
; %bb.1751:
	s_wait_xcnt 0x0
	v_bfe_i32 v0, v8, 0, 8
	s_mov_b32 s0, 0
	s_delay_alu instid0(VALU_DEP_1)
	v_ashrrev_i32_e32 v1, 31, v0
	global_store_b64 v[2:3], v[0:1], off
.LBB183_1752:
	s_and_not1_b32 vcc_lo, exec_lo, s0
	s_cbranch_vccnz .LBB183_1754
; %bb.1753:
	s_wait_xcnt 0x0
	v_bfe_i32 v0, v8, 0, 8
	global_store_b32 v[2:3], v0, off
.LBB183_1754:
	s_mov_b32 s0, 0
.LBB183_1755:
	s_delay_alu instid0(SALU_CYCLE_1)
	s_and_not1_b32 vcc_lo, exec_lo, s0
	s_cbranch_vccnz .LBB183_1757
; %bb.1756:
	s_wait_xcnt 0x0
	v_bfe_i32 v0, v8, 0, 8
	global_store_b16 v[2:3], v0, off
.LBB183_1757:
	s_mov_b32 s0, 0
.LBB183_1758:
	s_delay_alu instid0(SALU_CYCLE_1)
	s_and_not1_b32 vcc_lo, exec_lo, s0
	s_cbranch_vccnz .LBB183_1763
; %bb.1759:
	s_sext_i32_i16 s0, s1
	s_delay_alu instid0(SALU_CYCLE_1)
	s_cmp_gt_i32 s0, 0
	s_mov_b32 s0, -1
	s_cbranch_scc0 .LBB183_1761
; %bb.1760:
	s_mov_b32 s0, 0
	global_store_b8 v[2:3], v8, off
.LBB183_1761:
	s_and_not1_b32 vcc_lo, exec_lo, s0
	s_cbranch_vccnz .LBB183_1763
; %bb.1762:
	global_store_b8 v[2:3], v8, off
	s_endpgm
.LBB183_1763:
	s_endpgm
.LBB183_1764:
	s_mov_b32 s11, -1
	s_mov_b32 s7, 0
                                        ; implicit-def: $vgpr8
	s_branch .LBB183_1767
.LBB183_1765:
	s_mov_b32 s7, -1
                                        ; implicit-def: $vgpr8
.LBB183_1766:
	s_mov_b32 s11, 0
.LBB183_1767:
	s_delay_alu instid0(SALU_CYCLE_1)
	s_and_b32 vcc_lo, exec_lo, s11
	s_cbranch_vccz .LBB183_1849
; %bb.1768:
	s_cmp_lg_u32 s0, 0
	s_mov_b32 s6, -1
	s_cselect_b32 s7, -1, 0
	s_delay_alu instid0(SALU_CYCLE_1)
	s_and_not1_b32 vcc_lo, exec_lo, s7
	s_cbranch_vccz .LBB183_1850
.LBB183_1769:
	s_and_not1_b32 vcc_lo, exec_lo, s6
	s_cbranch_vccnz .LBB183_1771
.LBB183_1770:
	s_wait_loadcnt 0x0
	s_delay_alu instid0(VALU_DEP_1)
	v_bfe_i32 v5, v10, 0, 8
	s_bfe_i32 s0, s1, 0x80000
	s_delay_alu instid0(VALU_DEP_1) | instid1(SALU_CYCLE_1)
	v_max_i16 v8, v5, s0
.LBB183_1771:
	s_load_b32 s0, s[2:3], 0x160
	v_mov_b32_e32 v7, 0
	s_delay_alu instid0(VALU_DEP_1) | instskip(SKIP_2) | instid1(SALU_CYCLE_1)
	v_add_nc_u64_e32 v[6:7], s[4:5], v[6:7]
	s_wait_kmcnt 0x0
	s_and_b32 s1, s0, 0xff
	s_cmp_lt_i32 s1, 11
	s_cbranch_scc1 .LBB183_1851
; %bb.1772:
	s_and_b32 s2, 0xffff, s1
	s_mov_b32 s7, -1
	s_mov_b32 s3, 0
	s_cmp_gt_i32 s2, 25
	s_mov_b32 s6, 0
	s_mov_b32 s0, 0
	s_cbranch_scc0 .LBB183_1805
; %bb.1773:
	s_cmp_gt_i32 s2, 28
	s_cbranch_scc0 .LBB183_1788
; %bb.1774:
	s_cmp_gt_i32 s2, 43
	;; [unrolled: 3-line block ×3, first 2 shown]
	s_cbranch_scc0 .LBB183_1778
; %bb.1776:
	s_mov_b32 s0, -1
	s_mov_b32 s7, 0
	s_cmp_eq_u32 s2, 46
	s_cbranch_scc0 .LBB183_1778
; %bb.1777:
	v_bfe_i32 v5, v1, 0, 8
	s_mov_b32 s0, 0
	s_mov_b32 s6, -1
	s_delay_alu instid0(VALU_DEP_1) | instskip(NEXT) | instid1(VALU_DEP_1)
	v_bfe_i32 v5, v5, 0, 16
	v_cvt_f32_i32_e32 v5, v5
	s_delay_alu instid0(VALU_DEP_1) | instskip(NEXT) | instid1(VALU_DEP_1)
	v_bfe_u32 v9, v5, 16, 1
	v_add3_u32 v5, v5, v9, 0x7fff
	s_delay_alu instid0(VALU_DEP_1)
	v_lshrrev_b32_e32 v5, 16, v5
	global_store_b32 v[6:7], v5, off
.LBB183_1778:
	s_and_b32 vcc_lo, exec_lo, s7
	s_cbranch_vccz .LBB183_1783
; %bb.1779:
	s_cmp_eq_u32 s2, 44
	s_mov_b32 s0, -1
	s_cbranch_scc0 .LBB183_1783
; %bb.1780:
	s_wait_xcnt 0x0
	v_bfe_i32 v5, v1, 0, 8
	v_mov_b32_e32 v9, 0xff
	s_mov_b32 s6, exec_lo
	s_delay_alu instid0(VALU_DEP_2) | instskip(NEXT) | instid1(VALU_DEP_1)
	v_bfe_i32 v5, v5, 0, 16
	v_cvt_f32_i32_e32 v5, v5
	s_wait_loadcnt 0x0
	s_delay_alu instid0(VALU_DEP_1) | instskip(NEXT) | instid1(VALU_DEP_1)
	v_bfe_u32 v10, v5, 23, 8
	v_cmpx_ne_u32_e32 0xff, v10
	s_cbranch_execz .LBB183_1782
; %bb.1781:
	v_and_b32_e32 v9, 0x400000, v5
	v_and_or_b32 v10, 0x3fffff, v5, v10
	v_lshrrev_b32_e32 v5, 23, v5
	s_delay_alu instid0(VALU_DEP_3) | instskip(NEXT) | instid1(VALU_DEP_3)
	v_cmp_ne_u32_e32 vcc_lo, 0, v9
	v_cmp_ne_u32_e64 s0, 0, v10
	s_and_b32 s0, vcc_lo, s0
	s_delay_alu instid0(SALU_CYCLE_1) | instskip(NEXT) | instid1(VALU_DEP_1)
	v_cndmask_b32_e64 v9, 0, 1, s0
	v_add_nc_u32_e32 v9, v5, v9
.LBB183_1782:
	s_or_b32 exec_lo, exec_lo, s6
	s_mov_b32 s0, 0
	s_mov_b32 s6, -1
	global_store_b8 v[6:7], v9, off
.LBB183_1783:
	s_mov_b32 s7, 0
.LBB183_1784:
	s_delay_alu instid0(SALU_CYCLE_1)
	s_and_b32 vcc_lo, exec_lo, s7
	s_cbranch_vccz .LBB183_1787
; %bb.1785:
	s_cmp_eq_u32 s2, 29
	s_mov_b32 s0, -1
	s_cbranch_scc0 .LBB183_1787
; %bb.1786:
	s_wait_loadcnt 0x0
	v_bfe_i32 v10, v1, 0, 8
	s_mov_b32 s0, 0
	s_mov_b32 s6, -1
	s_delay_alu instid0(VALU_DEP_1)
	v_ashrrev_i32_e32 v11, 31, v10
	global_store_b64 v[6:7], v[10:11], off
.LBB183_1787:
	s_mov_b32 s7, 0
.LBB183_1788:
	s_delay_alu instid0(SALU_CYCLE_1)
	s_and_b32 vcc_lo, exec_lo, s7
	s_cbranch_vccz .LBB183_1804
; %bb.1789:
	s_cmp_lt_i32 s2, 27
	s_mov_b32 s6, -1
	s_cbranch_scc1 .LBB183_1795
; %bb.1790:
	s_cmp_gt_i32 s2, 27
	s_cbranch_scc0 .LBB183_1792
; %bb.1791:
	s_wait_xcnt 0x0
	v_bfe_i32 v5, v1, 0, 8
	s_mov_b32 s6, 0
	global_store_b32 v[6:7], v5, off
.LBB183_1792:
	s_and_not1_b32 vcc_lo, exec_lo, s6
	s_cbranch_vccnz .LBB183_1794
; %bb.1793:
	s_wait_xcnt 0x0
	v_bfe_i32 v5, v1, 0, 8
	global_store_b16 v[6:7], v5, off
.LBB183_1794:
	s_mov_b32 s6, 0
.LBB183_1795:
	s_delay_alu instid0(SALU_CYCLE_1)
	s_and_not1_b32 vcc_lo, exec_lo, s6
	s_cbranch_vccnz .LBB183_1803
; %bb.1796:
	s_wait_xcnt 0x0
	v_bfe_i32 v5, v1, 0, 8
	s_wait_loadcnt 0x0
	v_mov_b32_e32 v10, 0x80
	s_mov_b32 s6, exec_lo
	s_delay_alu instid0(VALU_DEP_2) | instskip(NEXT) | instid1(VALU_DEP_1)
	v_bfe_i32 v5, v5, 0, 16
	v_cvt_f32_i32_e32 v5, v5
	s_delay_alu instid0(VALU_DEP_1) | instskip(NEXT) | instid1(VALU_DEP_1)
	v_and_b32_e32 v9, 0x7fffffff, v5
	v_cmpx_gt_u32_e32 0x43800000, v9
	s_cbranch_execz .LBB183_1802
; %bb.1797:
	v_cmp_lt_u32_e32 vcc_lo, 0x3bffffff, v9
	s_mov_b32 s7, 0
                                        ; implicit-def: $vgpr9
	s_and_saveexec_b32 s11, vcc_lo
	s_delay_alu instid0(SALU_CYCLE_1)
	s_xor_b32 s11, exec_lo, s11
	s_cbranch_execz .LBB183_2209
; %bb.1798:
	v_bfe_u32 v9, v5, 20, 1
	s_mov_b32 s7, exec_lo
	s_delay_alu instid0(VALU_DEP_1) | instskip(NEXT) | instid1(VALU_DEP_1)
	v_add3_u32 v9, v5, v9, 0x487ffff
	v_lshrrev_b32_e32 v9, 20, v9
	s_and_not1_saveexec_b32 s11, s11
	s_cbranch_execnz .LBB183_2210
.LBB183_1799:
	s_or_b32 exec_lo, exec_lo, s11
	v_mov_b32_e32 v10, 0
	s_and_saveexec_b32 s11, s7
.LBB183_1800:
	v_lshrrev_b32_e32 v5, 24, v5
	s_delay_alu instid0(VALU_DEP_1)
	v_and_or_b32 v10, 0x80, v5, v9
.LBB183_1801:
	s_or_b32 exec_lo, exec_lo, s11
.LBB183_1802:
	s_delay_alu instid0(SALU_CYCLE_1)
	s_or_b32 exec_lo, exec_lo, s6
	global_store_b8 v[6:7], v10, off
.LBB183_1803:
	s_mov_b32 s6, -1
.LBB183_1804:
	s_mov_b32 s7, 0
.LBB183_1805:
	s_delay_alu instid0(SALU_CYCLE_1)
	s_and_b32 vcc_lo, exec_lo, s7
	s_cbranch_vccz .LBB183_1845
; %bb.1806:
	s_cmp_gt_i32 s2, 22
	s_mov_b32 s3, -1
	s_cbranch_scc0 .LBB183_1838
; %bb.1807:
	s_cmp_lt_i32 s2, 24
	s_cbranch_scc1 .LBB183_1827
; %bb.1808:
	s_cmp_gt_i32 s2, 24
	s_cbranch_scc0 .LBB183_1816
; %bb.1809:
	s_wait_xcnt 0x0
	v_bfe_i32 v5, v1, 0, 8
	s_wait_loadcnt 0x0
	v_mov_b32_e32 v10, 0x80
	s_mov_b32 s3, exec_lo
	s_delay_alu instid0(VALU_DEP_2) | instskip(NEXT) | instid1(VALU_DEP_1)
	v_bfe_i32 v5, v5, 0, 16
	v_cvt_f32_i32_e32 v5, v5
	s_delay_alu instid0(VALU_DEP_1) | instskip(NEXT) | instid1(VALU_DEP_1)
	v_and_b32_e32 v9, 0x7fffffff, v5
	v_cmpx_gt_u32_e32 0x47800000, v9
	s_cbranch_execz .LBB183_1815
; %bb.1810:
	v_cmp_lt_u32_e32 vcc_lo, 0x37ffffff, v9
	s_mov_b32 s6, 0
                                        ; implicit-def: $vgpr9
	s_and_saveexec_b32 s7, vcc_lo
	s_delay_alu instid0(SALU_CYCLE_1)
	s_xor_b32 s7, exec_lo, s7
	s_cbranch_execz .LBB183_2212
; %bb.1811:
	v_bfe_u32 v9, v5, 21, 1
	s_mov_b32 s6, exec_lo
	s_delay_alu instid0(VALU_DEP_1) | instskip(NEXT) | instid1(VALU_DEP_1)
	v_add3_u32 v9, v5, v9, 0x88fffff
	v_lshrrev_b32_e32 v9, 21, v9
	s_and_not1_saveexec_b32 s7, s7
	s_cbranch_execnz .LBB183_2213
.LBB183_1812:
	s_or_b32 exec_lo, exec_lo, s7
	v_mov_b32_e32 v10, 0
	s_and_saveexec_b32 s7, s6
.LBB183_1813:
	v_lshrrev_b32_e32 v5, 24, v5
	s_delay_alu instid0(VALU_DEP_1)
	v_and_or_b32 v10, 0x80, v5, v9
.LBB183_1814:
	s_or_b32 exec_lo, exec_lo, s7
.LBB183_1815:
	s_delay_alu instid0(SALU_CYCLE_1)
	s_or_b32 exec_lo, exec_lo, s3
	s_mov_b32 s3, 0
	global_store_b8 v[6:7], v10, off
.LBB183_1816:
	s_and_b32 vcc_lo, exec_lo, s3
	s_cbranch_vccz .LBB183_1826
; %bb.1817:
	s_wait_xcnt 0x0
	v_bfe_i32 v5, v1, 0, 8
	s_mov_b32 s3, exec_lo
                                        ; implicit-def: $vgpr9
	s_delay_alu instid0(VALU_DEP_1) | instskip(NEXT) | instid1(VALU_DEP_1)
	v_bfe_i32 v5, v5, 0, 16
	v_cvt_f32_i32_e32 v5, v5
	s_wait_loadcnt 0x0
	s_delay_alu instid0(VALU_DEP_1) | instskip(NEXT) | instid1(VALU_DEP_1)
	v_and_b32_e32 v10, 0x7fffffff, v5
	v_cmpx_gt_u32_e32 0x43f00000, v10
	s_xor_b32 s3, exec_lo, s3
	s_cbranch_execz .LBB183_1823
; %bb.1818:
	s_mov_b32 s6, exec_lo
                                        ; implicit-def: $vgpr9
	v_cmpx_lt_u32_e32 0x3c7fffff, v10
	s_xor_b32 s6, exec_lo, s6
; %bb.1819:
	v_bfe_u32 v9, v5, 20, 1
	s_delay_alu instid0(VALU_DEP_1) | instskip(NEXT) | instid1(VALU_DEP_1)
	v_add3_u32 v9, v5, v9, 0x407ffff
	v_and_b32_e32 v10, 0xff00000, v9
	v_lshrrev_b32_e32 v9, 20, v9
	s_delay_alu instid0(VALU_DEP_2) | instskip(NEXT) | instid1(VALU_DEP_2)
	v_cmp_ne_u32_e32 vcc_lo, 0x7f00000, v10
	v_cndmask_b32_e32 v9, 0x7e, v9, vcc_lo
; %bb.1820:
	s_and_not1_saveexec_b32 s6, s6
; %bb.1821:
	v_add_f32_e64 v9, 0x46800000, |v5|
; %bb.1822:
	s_or_b32 exec_lo, exec_lo, s6
                                        ; implicit-def: $vgpr10
.LBB183_1823:
	s_and_not1_saveexec_b32 s3, s3
; %bb.1824:
	v_mov_b32_e32 v9, 0x7f
	v_cmp_lt_u32_e32 vcc_lo, 0x7f800000, v10
	s_delay_alu instid0(VALU_DEP_2)
	v_cndmask_b32_e32 v9, 0x7e, v9, vcc_lo
; %bb.1825:
	s_or_b32 exec_lo, exec_lo, s3
	v_lshrrev_b32_e32 v5, 24, v5
	s_delay_alu instid0(VALU_DEP_1)
	v_and_or_b32 v5, 0x80, v5, v9
	global_store_b8 v[6:7], v5, off
.LBB183_1826:
	s_mov_b32 s3, 0
.LBB183_1827:
	s_delay_alu instid0(SALU_CYCLE_1)
	s_and_not1_b32 vcc_lo, exec_lo, s3
	s_cbranch_vccnz .LBB183_1837
; %bb.1828:
	s_wait_xcnt 0x0
	v_bfe_i32 v5, v1, 0, 8
	s_mov_b32 s3, exec_lo
                                        ; implicit-def: $vgpr9
	s_delay_alu instid0(VALU_DEP_1) | instskip(NEXT) | instid1(VALU_DEP_1)
	v_bfe_i32 v5, v5, 0, 16
	v_cvt_f32_i32_e32 v5, v5
	s_wait_loadcnt 0x0
	s_delay_alu instid0(VALU_DEP_1) | instskip(NEXT) | instid1(VALU_DEP_1)
	v_and_b32_e32 v10, 0x7fffffff, v5
	v_cmpx_gt_u32_e32 0x47800000, v10
	s_xor_b32 s3, exec_lo, s3
	s_cbranch_execz .LBB183_1834
; %bb.1829:
	s_mov_b32 s6, exec_lo
                                        ; implicit-def: $vgpr9
	v_cmpx_lt_u32_e32 0x387fffff, v10
	s_xor_b32 s6, exec_lo, s6
; %bb.1830:
	v_bfe_u32 v9, v5, 21, 1
	s_delay_alu instid0(VALU_DEP_1) | instskip(NEXT) | instid1(VALU_DEP_1)
	v_add3_u32 v9, v5, v9, 0x80fffff
	v_lshrrev_b32_e32 v9, 21, v9
; %bb.1831:
	s_and_not1_saveexec_b32 s6, s6
; %bb.1832:
	v_add_f32_e64 v9, 0x43000000, |v5|
; %bb.1833:
	s_or_b32 exec_lo, exec_lo, s6
                                        ; implicit-def: $vgpr10
.LBB183_1834:
	s_and_not1_saveexec_b32 s3, s3
; %bb.1835:
	v_mov_b32_e32 v9, 0x7f
	v_cmp_lt_u32_e32 vcc_lo, 0x7f800000, v10
	s_delay_alu instid0(VALU_DEP_2)
	v_cndmask_b32_e32 v9, 0x7c, v9, vcc_lo
; %bb.1836:
	s_or_b32 exec_lo, exec_lo, s3
	v_lshrrev_b32_e32 v5, 24, v5
	s_delay_alu instid0(VALU_DEP_1)
	v_and_or_b32 v5, 0x80, v5, v9
	global_store_b8 v[6:7], v5, off
.LBB183_1837:
	s_mov_b32 s3, 0
	s_mov_b32 s6, -1
.LBB183_1838:
	s_and_not1_b32 vcc_lo, exec_lo, s3
	s_mov_b32 s3, 0
	s_cbranch_vccnz .LBB183_1845
; %bb.1839:
	s_cmp_gt_i32 s2, 14
	s_mov_b32 s3, -1
	s_cbranch_scc0 .LBB183_1843
; %bb.1840:
	s_cmp_eq_u32 s2, 15
	s_mov_b32 s0, -1
	s_cbranch_scc0 .LBB183_1842
; %bb.1841:
	s_wait_xcnt 0x0
	v_bfe_i32 v5, v1, 0, 8
	s_mov_b32 s0, 0
	s_mov_b32 s6, -1
	s_delay_alu instid0(VALU_DEP_1) | instskip(NEXT) | instid1(VALU_DEP_1)
	v_bfe_i32 v5, v5, 0, 16
	v_cvt_f32_i32_e32 v5, v5
	s_delay_alu instid0(VALU_DEP_1) | instskip(NEXT) | instid1(VALU_DEP_1)
	v_bfe_u32 v9, v5, 16, 1
	v_add3_u32 v5, v5, v9, 0x7fff
	global_store_d16_hi_b16 v[6:7], v5, off
.LBB183_1842:
	s_mov_b32 s3, 0
.LBB183_1843:
	s_delay_alu instid0(SALU_CYCLE_1)
	s_and_b32 vcc_lo, exec_lo, s3
	s_mov_b32 s3, 0
	s_cbranch_vccz .LBB183_1845
; %bb.1844:
	s_cmp_lg_u32 s2, 11
	s_mov_b32 s3, -1
	s_cselect_b32 s0, -1, 0
.LBB183_1845:
	s_delay_alu instid0(SALU_CYCLE_1)
	s_and_b32 vcc_lo, exec_lo, s0
	s_cbranch_vccnz .LBB183_2211
; %bb.1846:
	s_and_not1_b32 vcc_lo, exec_lo, s3
	s_cbranch_vccnz .LBB183_1848
.LBB183_1847:
	s_wait_xcnt 0x0
	v_and_b32_e32 v5, 0xff, v1
	s_mov_b32 s6, -1
	s_delay_alu instid0(VALU_DEP_1)
	v_cmp_ne_u16_e32 vcc_lo, 0, v5
	v_cndmask_b32_e64 v5, 0, 1, vcc_lo
	global_store_b8 v[6:7], v5, off
.LBB183_1848:
	s_mov_b32 s0, 0
	s_branch .LBB183_1852
.LBB183_1849:
	s_and_not1_b32 vcc_lo, exec_lo, s7
	s_cbranch_vccnz .LBB183_1769
.LBB183_1850:
	s_wait_xcnt 0x0
	v_mov_b32_e32 v5, 0
	s_wait_loadcnt 0x0
	s_delay_alu instid0(VALU_DEP_2) | instskip(SKIP_4) | instid1(VALU_DEP_1)
	v_bfe_i32 v7, v10, 0, 8
	s_bfe_i32 s0, s1, 0x80000
	global_load_i8 v5, v5, s[2:3] offset:349
	v_max_i16 v7, v7, s0
	s_wait_loadcnt 0x0
	v_min_i16 v8, v7, v5
	s_cbranch_execz .LBB183_1770
	s_branch .LBB183_1771
.LBB183_1851:
	s_mov_b32 s0, -1
	s_mov_b32 s6, 0
.LBB183_1852:
	s_and_b32 vcc_lo, exec_lo, s0
	s_cbranch_vccz .LBB183_1891
; %bb.1853:
	s_and_b32 s0, 0xffff, s1
	s_mov_b32 s2, -1
	s_cmp_lt_i32 s0, 5
	s_cbranch_scc1 .LBB183_1874
; %bb.1854:
	s_cmp_lt_i32 s0, 8
	s_cbranch_scc1 .LBB183_1864
; %bb.1855:
	;; [unrolled: 3-line block ×3, first 2 shown]
	s_cmp_gt_i32 s0, 9
	s_cbranch_scc0 .LBB183_1858
; %bb.1857:
	s_wait_xcnt 0x0
	v_bfe_i32 v5, v1, 0, 8
	v_mov_b32_e32 v16, 0
	s_mov_b32 s2, 0
	s_delay_alu instid0(VALU_DEP_2) | instskip(NEXT) | instid1(VALU_DEP_2)
	v_bfe_i32 v5, v5, 0, 16
	v_mov_b32_e32 v17, v16
	s_wait_loadcnt 0x0
	s_delay_alu instid0(VALU_DEP_2)
	v_cvt_f64_i32_e32 v[14:15], v5
	global_store_b128 v[6:7], v[14:17], off
.LBB183_1858:
	s_and_not1_b32 vcc_lo, exec_lo, s2
	s_cbranch_vccnz .LBB183_1860
; %bb.1859:
	s_wait_xcnt 0x0
	v_bfe_i32 v5, v1, 0, 8
	s_wait_loadcnt 0x0
	v_mov_b32_e32 v11, 0
	s_delay_alu instid0(VALU_DEP_2) | instskip(NEXT) | instid1(VALU_DEP_1)
	v_bfe_i32 v5, v5, 0, 16
	v_cvt_f32_i32_e32 v10, v5
	global_store_b64 v[6:7], v[10:11], off
.LBB183_1860:
	s_mov_b32 s2, 0
.LBB183_1861:
	s_delay_alu instid0(SALU_CYCLE_1)
	s_and_not1_b32 vcc_lo, exec_lo, s2
	s_cbranch_vccnz .LBB183_1863
; %bb.1862:
	s_wait_xcnt 0x0
	v_bfe_i32 v5, v1, 0, 8
	s_delay_alu instid0(VALU_DEP_1) | instskip(NEXT) | instid1(VALU_DEP_1)
	v_cvt_f16_i16_e32 v5, v5
	v_and_b32_e32 v5, 0xffff, v5
	global_store_b32 v[6:7], v5, off
.LBB183_1863:
	s_mov_b32 s2, 0
.LBB183_1864:
	s_delay_alu instid0(SALU_CYCLE_1)
	s_and_not1_b32 vcc_lo, exec_lo, s2
	s_cbranch_vccnz .LBB183_1873
; %bb.1865:
	s_cmp_lt_i32 s0, 6
	s_mov_b32 s2, -1
	s_cbranch_scc1 .LBB183_1871
; %bb.1866:
	s_cmp_gt_i32 s0, 6
	s_cbranch_scc0 .LBB183_1868
; %bb.1867:
	s_wait_xcnt 0x0
	v_bfe_i32 v5, v1, 0, 8
	s_mov_b32 s2, 0
	s_delay_alu instid0(VALU_DEP_1) | instskip(SKIP_1) | instid1(VALU_DEP_1)
	v_bfe_i32 v5, v5, 0, 16
	s_wait_loadcnt 0x0
	v_cvt_f64_i32_e32 v[10:11], v5
	global_store_b64 v[6:7], v[10:11], off
.LBB183_1868:
	s_and_not1_b32 vcc_lo, exec_lo, s2
	s_cbranch_vccnz .LBB183_1870
; %bb.1869:
	s_wait_xcnt 0x0
	v_bfe_i32 v5, v1, 0, 8
	s_delay_alu instid0(VALU_DEP_1) | instskip(NEXT) | instid1(VALU_DEP_1)
	v_bfe_i32 v5, v5, 0, 16
	v_cvt_f32_i32_e32 v5, v5
	global_store_b32 v[6:7], v5, off
.LBB183_1870:
	s_mov_b32 s2, 0
.LBB183_1871:
	s_delay_alu instid0(SALU_CYCLE_1)
	s_and_not1_b32 vcc_lo, exec_lo, s2
	s_cbranch_vccnz .LBB183_1873
; %bb.1872:
	s_wait_xcnt 0x0
	v_bfe_i32 v5, v1, 0, 8
	s_delay_alu instid0(VALU_DEP_1)
	v_cvt_f16_i16_e32 v5, v5
	global_store_b16 v[6:7], v5, off
.LBB183_1873:
	s_mov_b32 s2, 0
.LBB183_1874:
	s_delay_alu instid0(SALU_CYCLE_1)
	s_and_not1_b32 vcc_lo, exec_lo, s2
	s_cbranch_vccnz .LBB183_1890
; %bb.1875:
	s_cmp_lt_i32 s0, 2
	s_mov_b32 s2, -1
	s_cbranch_scc1 .LBB183_1885
; %bb.1876:
	s_cmp_lt_i32 s0, 3
	s_cbranch_scc1 .LBB183_1882
; %bb.1877:
	s_cmp_gt_i32 s0, 3
	s_cbranch_scc0 .LBB183_1879
; %bb.1878:
	s_wait_loadcnt 0x0
	v_bfe_i32 v10, v1, 0, 8
	s_mov_b32 s2, 0
	s_delay_alu instid0(VALU_DEP_1)
	v_ashrrev_i32_e32 v11, 31, v10
	global_store_b64 v[6:7], v[10:11], off
.LBB183_1879:
	s_and_not1_b32 vcc_lo, exec_lo, s2
	s_cbranch_vccnz .LBB183_1881
; %bb.1880:
	s_wait_xcnt 0x0
	v_bfe_i32 v5, v1, 0, 8
	global_store_b32 v[6:7], v5, off
.LBB183_1881:
	s_mov_b32 s2, 0
.LBB183_1882:
	s_delay_alu instid0(SALU_CYCLE_1)
	s_and_not1_b32 vcc_lo, exec_lo, s2
	s_cbranch_vccnz .LBB183_1884
; %bb.1883:
	s_wait_xcnt 0x0
	v_bfe_i32 v5, v1, 0, 8
	global_store_b16 v[6:7], v5, off
.LBB183_1884:
	s_mov_b32 s2, 0
.LBB183_1885:
	s_delay_alu instid0(SALU_CYCLE_1)
	s_and_not1_b32 vcc_lo, exec_lo, s2
	s_cbranch_vccnz .LBB183_1890
; %bb.1886:
	s_cmp_gt_i32 s0, 0
	s_mov_b32 s0, -1
	s_cbranch_scc0 .LBB183_1888
; %bb.1887:
	s_mov_b32 s0, 0
	global_store_b8 v[6:7], v1, off
.LBB183_1888:
	s_and_not1_b32 vcc_lo, exec_lo, s0
	s_cbranch_vccnz .LBB183_1890
; %bb.1889:
	global_store_b8 v[6:7], v1, off
.LBB183_1890:
	s_mov_b32 s6, -1
.LBB183_1891:
	s_delay_alu instid0(SALU_CYCLE_1)
	s_and_not1_b32 vcc_lo, exec_lo, s6
	s_cbranch_vccnz .LBB183_2206
; %bb.1892:
	s_wait_xcnt 0x0
	v_mov_b32_e32 v5, 0
	s_and_b32 s2, 0xffff, s1
	s_delay_alu instid0(SALU_CYCLE_1) | instskip(NEXT) | instid1(VALU_DEP_1)
	s_cmp_lt_i32 s2, 11
	v_add_nc_u64_e32 v[4:5], s[4:5], v[4:5]
	s_cbranch_scc1 .LBB183_1970
; %bb.1893:
	s_mov_b32 s7, -1
	s_mov_b32 s3, 0
	s_cmp_gt_i32 s2, 25
	s_mov_b32 s6, 0
	s_mov_b32 s0, 0
	s_cbranch_scc0 .LBB183_1926
; %bb.1894:
	s_cmp_gt_i32 s2, 28
	s_cbranch_scc0 .LBB183_1909
; %bb.1895:
	s_cmp_gt_i32 s2, 43
	;; [unrolled: 3-line block ×3, first 2 shown]
	s_cbranch_scc0 .LBB183_1899
; %bb.1897:
	s_mov_b32 s0, -1
	s_mov_b32 s7, 0
	s_cmp_eq_u32 s2, 46
	s_cbranch_scc0 .LBB183_1899
; %bb.1898:
	v_bfe_i32 v1, v3, 0, 8
	s_mov_b32 s0, 0
	s_mov_b32 s6, -1
	s_delay_alu instid0(VALU_DEP_1) | instskip(NEXT) | instid1(VALU_DEP_1)
	v_bfe_i32 v1, v1, 0, 16
	v_cvt_f32_i32_e32 v1, v1
	s_delay_alu instid0(VALU_DEP_1) | instskip(NEXT) | instid1(VALU_DEP_1)
	v_bfe_u32 v6, v1, 16, 1
	v_add3_u32 v1, v1, v6, 0x7fff
	s_delay_alu instid0(VALU_DEP_1)
	v_lshrrev_b32_e32 v1, 16, v1
	global_store_b32 v[4:5], v1, off
.LBB183_1899:
	s_and_b32 vcc_lo, exec_lo, s7
	s_cbranch_vccz .LBB183_1904
; %bb.1900:
	s_cmp_eq_u32 s2, 44
	s_mov_b32 s0, -1
	s_cbranch_scc0 .LBB183_1904
; %bb.1901:
	s_wait_xcnt 0x0
	v_bfe_i32 v1, v3, 0, 8
	v_mov_b32_e32 v6, 0xff
	s_mov_b32 s6, exec_lo
	s_delay_alu instid0(VALU_DEP_2) | instskip(NEXT) | instid1(VALU_DEP_1)
	v_bfe_i32 v1, v1, 0, 16
	v_cvt_f32_i32_e32 v1, v1
	s_delay_alu instid0(VALU_DEP_1) | instskip(NEXT) | instid1(VALU_DEP_1)
	v_bfe_u32 v7, v1, 23, 8
	v_cmpx_ne_u32_e32 0xff, v7
	s_cbranch_execz .LBB183_1903
; %bb.1902:
	v_and_b32_e32 v6, 0x400000, v1
	v_and_or_b32 v7, 0x3fffff, v1, v7
	v_lshrrev_b32_e32 v1, 23, v1
	s_delay_alu instid0(VALU_DEP_3) | instskip(NEXT) | instid1(VALU_DEP_3)
	v_cmp_ne_u32_e32 vcc_lo, 0, v6
	v_cmp_ne_u32_e64 s0, 0, v7
	s_and_b32 s0, vcc_lo, s0
	s_delay_alu instid0(SALU_CYCLE_1) | instskip(NEXT) | instid1(VALU_DEP_1)
	v_cndmask_b32_e64 v6, 0, 1, s0
	v_add_nc_u32_e32 v6, v1, v6
.LBB183_1903:
	s_or_b32 exec_lo, exec_lo, s6
	s_mov_b32 s0, 0
	s_mov_b32 s6, -1
	global_store_b8 v[4:5], v6, off
.LBB183_1904:
	s_mov_b32 s7, 0
.LBB183_1905:
	s_delay_alu instid0(SALU_CYCLE_1)
	s_and_b32 vcc_lo, exec_lo, s7
	s_cbranch_vccz .LBB183_1908
; %bb.1906:
	s_cmp_eq_u32 s2, 29
	s_mov_b32 s0, -1
	s_cbranch_scc0 .LBB183_1908
; %bb.1907:
	s_wait_xcnt 0x0
	v_bfe_i32 v6, v3, 0, 8
	s_mov_b32 s0, 0
	s_mov_b32 s6, -1
	s_delay_alu instid0(VALU_DEP_1)
	v_ashrrev_i32_e32 v7, 31, v6
	global_store_b64 v[4:5], v[6:7], off
.LBB183_1908:
	s_mov_b32 s7, 0
.LBB183_1909:
	s_delay_alu instid0(SALU_CYCLE_1)
	s_and_b32 vcc_lo, exec_lo, s7
	s_cbranch_vccz .LBB183_1925
; %bb.1910:
	s_cmp_lt_i32 s2, 27
	s_mov_b32 s6, -1
	s_cbranch_scc1 .LBB183_1916
; %bb.1911:
	s_cmp_gt_i32 s2, 27
	s_cbranch_scc0 .LBB183_1913
; %bb.1912:
	s_wait_xcnt 0x0
	v_bfe_i32 v1, v3, 0, 8
	s_mov_b32 s6, 0
	global_store_b32 v[4:5], v1, off
.LBB183_1913:
	s_and_not1_b32 vcc_lo, exec_lo, s6
	s_cbranch_vccnz .LBB183_1915
; %bb.1914:
	s_wait_xcnt 0x0
	v_bfe_i32 v1, v3, 0, 8
	global_store_b16 v[4:5], v1, off
.LBB183_1915:
	s_mov_b32 s6, 0
.LBB183_1916:
	s_delay_alu instid0(SALU_CYCLE_1)
	s_and_not1_b32 vcc_lo, exec_lo, s6
	s_cbranch_vccnz .LBB183_1924
; %bb.1917:
	s_wait_xcnt 0x0
	v_bfe_i32 v1, v3, 0, 8
	v_mov_b32_e32 v7, 0x80
	s_mov_b32 s6, exec_lo
	s_delay_alu instid0(VALU_DEP_2) | instskip(NEXT) | instid1(VALU_DEP_1)
	v_bfe_i32 v1, v1, 0, 16
	v_cvt_f32_i32_e32 v1, v1
	s_delay_alu instid0(VALU_DEP_1) | instskip(NEXT) | instid1(VALU_DEP_1)
	v_and_b32_e32 v6, 0x7fffffff, v1
	v_cmpx_gt_u32_e32 0x43800000, v6
	s_cbranch_execz .LBB183_1923
; %bb.1918:
	v_cmp_lt_u32_e32 vcc_lo, 0x3bffffff, v6
	s_mov_b32 s7, 0
                                        ; implicit-def: $vgpr6
	s_and_saveexec_b32 s11, vcc_lo
	s_delay_alu instid0(SALU_CYCLE_1)
	s_xor_b32 s11, exec_lo, s11
	s_cbranch_execz .LBB183_2214
; %bb.1919:
	v_bfe_u32 v6, v1, 20, 1
	s_mov_b32 s7, exec_lo
	s_delay_alu instid0(VALU_DEP_1) | instskip(NEXT) | instid1(VALU_DEP_1)
	v_add3_u32 v6, v1, v6, 0x487ffff
	v_lshrrev_b32_e32 v6, 20, v6
	s_and_not1_saveexec_b32 s11, s11
	s_cbranch_execnz .LBB183_2215
.LBB183_1920:
	s_or_b32 exec_lo, exec_lo, s11
	v_mov_b32_e32 v7, 0
	s_and_saveexec_b32 s11, s7
.LBB183_1921:
	v_lshrrev_b32_e32 v1, 24, v1
	s_delay_alu instid0(VALU_DEP_1)
	v_and_or_b32 v7, 0x80, v1, v6
.LBB183_1922:
	s_or_b32 exec_lo, exec_lo, s11
.LBB183_1923:
	s_delay_alu instid0(SALU_CYCLE_1)
	s_or_b32 exec_lo, exec_lo, s6
	global_store_b8 v[4:5], v7, off
.LBB183_1924:
	s_mov_b32 s6, -1
.LBB183_1925:
	s_mov_b32 s7, 0
.LBB183_1926:
	s_delay_alu instid0(SALU_CYCLE_1)
	s_and_b32 vcc_lo, exec_lo, s7
	s_cbranch_vccz .LBB183_1966
; %bb.1927:
	s_cmp_gt_i32 s2, 22
	s_mov_b32 s3, -1
	s_cbranch_scc0 .LBB183_1959
; %bb.1928:
	s_cmp_lt_i32 s2, 24
	s_cbranch_scc1 .LBB183_1948
; %bb.1929:
	s_cmp_gt_i32 s2, 24
	s_cbranch_scc0 .LBB183_1937
; %bb.1930:
	s_wait_xcnt 0x0
	v_bfe_i32 v1, v3, 0, 8
	v_mov_b32_e32 v7, 0x80
	s_mov_b32 s3, exec_lo
	s_delay_alu instid0(VALU_DEP_2) | instskip(NEXT) | instid1(VALU_DEP_1)
	v_bfe_i32 v1, v1, 0, 16
	v_cvt_f32_i32_e32 v1, v1
	s_delay_alu instid0(VALU_DEP_1) | instskip(NEXT) | instid1(VALU_DEP_1)
	v_and_b32_e32 v6, 0x7fffffff, v1
	v_cmpx_gt_u32_e32 0x47800000, v6
	s_cbranch_execz .LBB183_1936
; %bb.1931:
	v_cmp_lt_u32_e32 vcc_lo, 0x37ffffff, v6
	s_mov_b32 s6, 0
                                        ; implicit-def: $vgpr6
	s_and_saveexec_b32 s7, vcc_lo
	s_delay_alu instid0(SALU_CYCLE_1)
	s_xor_b32 s7, exec_lo, s7
	s_cbranch_execz .LBB183_2217
; %bb.1932:
	v_bfe_u32 v6, v1, 21, 1
	s_mov_b32 s6, exec_lo
	s_delay_alu instid0(VALU_DEP_1) | instskip(NEXT) | instid1(VALU_DEP_1)
	v_add3_u32 v6, v1, v6, 0x88fffff
	v_lshrrev_b32_e32 v6, 21, v6
	s_and_not1_saveexec_b32 s7, s7
	s_cbranch_execnz .LBB183_2218
.LBB183_1933:
	s_or_b32 exec_lo, exec_lo, s7
	v_mov_b32_e32 v7, 0
	s_and_saveexec_b32 s7, s6
.LBB183_1934:
	v_lshrrev_b32_e32 v1, 24, v1
	s_delay_alu instid0(VALU_DEP_1)
	v_and_or_b32 v7, 0x80, v1, v6
.LBB183_1935:
	s_or_b32 exec_lo, exec_lo, s7
.LBB183_1936:
	s_delay_alu instid0(SALU_CYCLE_1)
	s_or_b32 exec_lo, exec_lo, s3
	s_mov_b32 s3, 0
	global_store_b8 v[4:5], v7, off
.LBB183_1937:
	s_and_b32 vcc_lo, exec_lo, s3
	s_cbranch_vccz .LBB183_1947
; %bb.1938:
	s_wait_xcnt 0x0
	v_bfe_i32 v1, v3, 0, 8
	s_mov_b32 s3, exec_lo
                                        ; implicit-def: $vgpr6
	s_delay_alu instid0(VALU_DEP_1) | instskip(NEXT) | instid1(VALU_DEP_1)
	v_bfe_i32 v1, v1, 0, 16
	v_cvt_f32_i32_e32 v1, v1
	s_delay_alu instid0(VALU_DEP_1) | instskip(NEXT) | instid1(VALU_DEP_1)
	v_and_b32_e32 v7, 0x7fffffff, v1
	v_cmpx_gt_u32_e32 0x43f00000, v7
	s_xor_b32 s3, exec_lo, s3
	s_cbranch_execz .LBB183_1944
; %bb.1939:
	s_mov_b32 s6, exec_lo
                                        ; implicit-def: $vgpr6
	v_cmpx_lt_u32_e32 0x3c7fffff, v7
	s_xor_b32 s6, exec_lo, s6
; %bb.1940:
	v_bfe_u32 v6, v1, 20, 1
	s_delay_alu instid0(VALU_DEP_1) | instskip(NEXT) | instid1(VALU_DEP_1)
	v_add3_u32 v6, v1, v6, 0x407ffff
	v_and_b32_e32 v7, 0xff00000, v6
	v_lshrrev_b32_e32 v6, 20, v6
	s_delay_alu instid0(VALU_DEP_2) | instskip(NEXT) | instid1(VALU_DEP_2)
	v_cmp_ne_u32_e32 vcc_lo, 0x7f00000, v7
	v_cndmask_b32_e32 v6, 0x7e, v6, vcc_lo
; %bb.1941:
	s_and_not1_saveexec_b32 s6, s6
; %bb.1942:
	v_add_f32_e64 v6, 0x46800000, |v1|
; %bb.1943:
	s_or_b32 exec_lo, exec_lo, s6
                                        ; implicit-def: $vgpr7
.LBB183_1944:
	s_and_not1_saveexec_b32 s3, s3
; %bb.1945:
	v_mov_b32_e32 v6, 0x7f
	v_cmp_lt_u32_e32 vcc_lo, 0x7f800000, v7
	s_delay_alu instid0(VALU_DEP_2)
	v_cndmask_b32_e32 v6, 0x7e, v6, vcc_lo
; %bb.1946:
	s_or_b32 exec_lo, exec_lo, s3
	v_lshrrev_b32_e32 v1, 24, v1
	s_delay_alu instid0(VALU_DEP_1)
	v_and_or_b32 v1, 0x80, v1, v6
	global_store_b8 v[4:5], v1, off
.LBB183_1947:
	s_mov_b32 s3, 0
.LBB183_1948:
	s_delay_alu instid0(SALU_CYCLE_1)
	s_and_not1_b32 vcc_lo, exec_lo, s3
	s_cbranch_vccnz .LBB183_1958
; %bb.1949:
	s_wait_xcnt 0x0
	v_bfe_i32 v1, v3, 0, 8
	s_mov_b32 s3, exec_lo
                                        ; implicit-def: $vgpr6
	s_delay_alu instid0(VALU_DEP_1) | instskip(NEXT) | instid1(VALU_DEP_1)
	v_bfe_i32 v1, v1, 0, 16
	v_cvt_f32_i32_e32 v1, v1
	s_delay_alu instid0(VALU_DEP_1) | instskip(NEXT) | instid1(VALU_DEP_1)
	v_and_b32_e32 v7, 0x7fffffff, v1
	v_cmpx_gt_u32_e32 0x47800000, v7
	s_xor_b32 s3, exec_lo, s3
	s_cbranch_execz .LBB183_1955
; %bb.1950:
	s_mov_b32 s6, exec_lo
                                        ; implicit-def: $vgpr6
	v_cmpx_lt_u32_e32 0x387fffff, v7
	s_xor_b32 s6, exec_lo, s6
; %bb.1951:
	v_bfe_u32 v6, v1, 21, 1
	s_delay_alu instid0(VALU_DEP_1) | instskip(NEXT) | instid1(VALU_DEP_1)
	v_add3_u32 v6, v1, v6, 0x80fffff
	v_lshrrev_b32_e32 v6, 21, v6
; %bb.1952:
	s_and_not1_saveexec_b32 s6, s6
; %bb.1953:
	v_add_f32_e64 v6, 0x43000000, |v1|
; %bb.1954:
	s_or_b32 exec_lo, exec_lo, s6
                                        ; implicit-def: $vgpr7
.LBB183_1955:
	s_and_not1_saveexec_b32 s3, s3
; %bb.1956:
	v_mov_b32_e32 v6, 0x7f
	v_cmp_lt_u32_e32 vcc_lo, 0x7f800000, v7
	s_delay_alu instid0(VALU_DEP_2)
	v_cndmask_b32_e32 v6, 0x7c, v6, vcc_lo
; %bb.1957:
	s_or_b32 exec_lo, exec_lo, s3
	v_lshrrev_b32_e32 v1, 24, v1
	s_delay_alu instid0(VALU_DEP_1)
	v_and_or_b32 v1, 0x80, v1, v6
	global_store_b8 v[4:5], v1, off
.LBB183_1958:
	s_mov_b32 s3, 0
	s_mov_b32 s6, -1
.LBB183_1959:
	s_and_not1_b32 vcc_lo, exec_lo, s3
	s_mov_b32 s3, 0
	s_cbranch_vccnz .LBB183_1966
; %bb.1960:
	s_cmp_gt_i32 s2, 14
	s_mov_b32 s3, -1
	s_cbranch_scc0 .LBB183_1964
; %bb.1961:
	s_cmp_eq_u32 s2, 15
	s_mov_b32 s0, -1
	s_cbranch_scc0 .LBB183_1963
; %bb.1962:
	s_wait_xcnt 0x0
	v_bfe_i32 v1, v3, 0, 8
	s_mov_b32 s0, 0
	s_mov_b32 s6, -1
	s_delay_alu instid0(VALU_DEP_1) | instskip(NEXT) | instid1(VALU_DEP_1)
	v_bfe_i32 v1, v1, 0, 16
	v_cvt_f32_i32_e32 v1, v1
	s_delay_alu instid0(VALU_DEP_1) | instskip(NEXT) | instid1(VALU_DEP_1)
	v_bfe_u32 v6, v1, 16, 1
	v_add3_u32 v1, v1, v6, 0x7fff
	global_store_d16_hi_b16 v[4:5], v1, off
.LBB183_1963:
	s_mov_b32 s3, 0
.LBB183_1964:
	s_delay_alu instid0(SALU_CYCLE_1)
	s_and_b32 vcc_lo, exec_lo, s3
	s_mov_b32 s3, 0
	s_cbranch_vccz .LBB183_1966
; %bb.1965:
	s_cmp_lg_u32 s2, 11
	s_mov_b32 s3, -1
	s_cselect_b32 s0, -1, 0
.LBB183_1966:
	s_delay_alu instid0(SALU_CYCLE_1)
	s_and_b32 vcc_lo, exec_lo, s0
	s_cbranch_vccnz .LBB183_2216
; %bb.1967:
	s_and_not1_b32 vcc_lo, exec_lo, s3
	s_cbranch_vccnz .LBB183_1969
.LBB183_1968:
	s_wait_xcnt 0x0
	v_and_b32_e32 v1, 0xff, v3
	s_mov_b32 s6, -1
	s_delay_alu instid0(VALU_DEP_1)
	v_cmp_ne_u16_e32 vcc_lo, 0, v1
	v_cndmask_b32_e64 v1, 0, 1, vcc_lo
	global_store_b8 v[4:5], v1, off
.LBB183_1969:
	s_mov_b32 s0, 0
	s_branch .LBB183_1971
.LBB183_1970:
	s_mov_b32 s0, -1
	s_mov_b32 s6, 0
.LBB183_1971:
	s_and_b32 vcc_lo, exec_lo, s0
	s_cbranch_vccz .LBB183_2010
; %bb.1972:
	s_cmp_lt_i32 s2, 5
	s_mov_b32 s0, -1
	s_cbranch_scc1 .LBB183_1993
; %bb.1973:
	s_cmp_lt_i32 s2, 8
	s_cbranch_scc1 .LBB183_1983
; %bb.1974:
	s_cmp_lt_i32 s2, 9
	s_cbranch_scc1 .LBB183_1980
; %bb.1975:
	s_cmp_gt_i32 s2, 9
	s_cbranch_scc0 .LBB183_1977
; %bb.1976:
	s_wait_xcnt 0x0
	v_bfe_i32 v1, v3, 0, 8
	v_mov_b32_e32 v16, 0
	s_mov_b32 s0, 0
	s_delay_alu instid0(VALU_DEP_2) | instskip(NEXT) | instid1(VALU_DEP_2)
	v_bfe_i32 v1, v1, 0, 16
	v_mov_b32_e32 v17, v16
	s_wait_loadcnt 0x0
	s_delay_alu instid0(VALU_DEP_2)
	v_cvt_f64_i32_e32 v[14:15], v1
	global_store_b128 v[4:5], v[14:17], off
.LBB183_1977:
	s_and_not1_b32 vcc_lo, exec_lo, s0
	s_cbranch_vccnz .LBB183_1979
; %bb.1978:
	s_wait_xcnt 0x0
	v_bfe_i32 v1, v3, 0, 8
	v_mov_b32_e32 v7, 0
	s_delay_alu instid0(VALU_DEP_2) | instskip(NEXT) | instid1(VALU_DEP_1)
	v_bfe_i32 v1, v1, 0, 16
	v_cvt_f32_i32_e32 v6, v1
	global_store_b64 v[4:5], v[6:7], off
.LBB183_1979:
	s_mov_b32 s0, 0
.LBB183_1980:
	s_delay_alu instid0(SALU_CYCLE_1)
	s_and_not1_b32 vcc_lo, exec_lo, s0
	s_cbranch_vccnz .LBB183_1982
; %bb.1981:
	s_wait_xcnt 0x0
	v_bfe_i32 v1, v3, 0, 8
	s_delay_alu instid0(VALU_DEP_1) | instskip(NEXT) | instid1(VALU_DEP_1)
	v_cvt_f16_i16_e32 v1, v1
	v_and_b32_e32 v1, 0xffff, v1
	global_store_b32 v[4:5], v1, off
.LBB183_1982:
	s_mov_b32 s0, 0
.LBB183_1983:
	s_delay_alu instid0(SALU_CYCLE_1)
	s_and_not1_b32 vcc_lo, exec_lo, s0
	s_cbranch_vccnz .LBB183_1992
; %bb.1984:
	s_cmp_lt_i32 s2, 6
	s_mov_b32 s0, -1
	s_cbranch_scc1 .LBB183_1990
; %bb.1985:
	s_cmp_gt_i32 s2, 6
	s_cbranch_scc0 .LBB183_1987
; %bb.1986:
	s_wait_xcnt 0x0
	v_bfe_i32 v1, v3, 0, 8
	s_mov_b32 s0, 0
	s_delay_alu instid0(VALU_DEP_1) | instskip(NEXT) | instid1(VALU_DEP_1)
	v_bfe_i32 v1, v1, 0, 16
	v_cvt_f64_i32_e32 v[6:7], v1
	global_store_b64 v[4:5], v[6:7], off
.LBB183_1987:
	s_and_not1_b32 vcc_lo, exec_lo, s0
	s_cbranch_vccnz .LBB183_1989
; %bb.1988:
	s_wait_xcnt 0x0
	v_bfe_i32 v1, v3, 0, 8
	s_delay_alu instid0(VALU_DEP_1) | instskip(NEXT) | instid1(VALU_DEP_1)
	v_bfe_i32 v1, v1, 0, 16
	v_cvt_f32_i32_e32 v1, v1
	global_store_b32 v[4:5], v1, off
.LBB183_1989:
	s_mov_b32 s0, 0
.LBB183_1990:
	s_delay_alu instid0(SALU_CYCLE_1)
	s_and_not1_b32 vcc_lo, exec_lo, s0
	s_cbranch_vccnz .LBB183_1992
; %bb.1991:
	s_wait_xcnt 0x0
	v_bfe_i32 v1, v3, 0, 8
	s_delay_alu instid0(VALU_DEP_1)
	v_cvt_f16_i16_e32 v1, v1
	global_store_b16 v[4:5], v1, off
.LBB183_1992:
	s_mov_b32 s0, 0
.LBB183_1993:
	s_delay_alu instid0(SALU_CYCLE_1)
	s_and_not1_b32 vcc_lo, exec_lo, s0
	s_cbranch_vccnz .LBB183_2009
; %bb.1994:
	s_cmp_lt_i32 s2, 2
	s_mov_b32 s0, -1
	s_cbranch_scc1 .LBB183_2004
; %bb.1995:
	s_cmp_lt_i32 s2, 3
	s_cbranch_scc1 .LBB183_2001
; %bb.1996:
	s_cmp_gt_i32 s2, 3
	s_cbranch_scc0 .LBB183_1998
; %bb.1997:
	s_wait_xcnt 0x0
	v_bfe_i32 v6, v3, 0, 8
	s_mov_b32 s0, 0
	s_delay_alu instid0(VALU_DEP_1)
	v_ashrrev_i32_e32 v7, 31, v6
	global_store_b64 v[4:5], v[6:7], off
.LBB183_1998:
	s_and_not1_b32 vcc_lo, exec_lo, s0
	s_cbranch_vccnz .LBB183_2000
; %bb.1999:
	s_wait_xcnt 0x0
	v_bfe_i32 v1, v3, 0, 8
	global_store_b32 v[4:5], v1, off
.LBB183_2000:
	s_mov_b32 s0, 0
.LBB183_2001:
	s_delay_alu instid0(SALU_CYCLE_1)
	s_and_not1_b32 vcc_lo, exec_lo, s0
	s_cbranch_vccnz .LBB183_2003
; %bb.2002:
	s_wait_xcnt 0x0
	v_bfe_i32 v1, v3, 0, 8
	global_store_b16 v[4:5], v1, off
.LBB183_2003:
	s_mov_b32 s0, 0
.LBB183_2004:
	s_delay_alu instid0(SALU_CYCLE_1)
	s_and_not1_b32 vcc_lo, exec_lo, s0
	s_cbranch_vccnz .LBB183_2009
; %bb.2005:
	s_cmp_gt_i32 s2, 0
	s_mov_b32 s0, -1
	s_cbranch_scc0 .LBB183_2007
; %bb.2006:
	s_mov_b32 s0, 0
	global_store_b8 v[4:5], v3, off
.LBB183_2007:
	s_and_not1_b32 vcc_lo, exec_lo, s0
	s_cbranch_vccnz .LBB183_2009
; %bb.2008:
	global_store_b8 v[4:5], v3, off
.LBB183_2009:
	s_mov_b32 s6, -1
.LBB183_2010:
	s_delay_alu instid0(SALU_CYCLE_1)
	s_and_not1_b32 vcc_lo, exec_lo, s6
	s_cbranch_vccnz .LBB183_2206
; %bb.2011:
	s_wait_xcnt 0x0
	v_mov_b32_e32 v3, 0
	s_cmp_lt_i32 s2, 11
	s_delay_alu instid0(VALU_DEP_1)
	v_add_nc_u64_e32 v[2:3], s[4:5], v[2:3]
	s_cbranch_scc1 .LBB183_2089
; %bb.2012:
	s_mov_b32 s7, -1
	s_mov_b32 s3, 0
	s_cmp_gt_i32 s2, 25
	s_mov_b32 s6, 0
	s_mov_b32 s0, 0
	s_cbranch_scc0 .LBB183_2045
; %bb.2013:
	s_cmp_gt_i32 s2, 28
	s_cbranch_scc0 .LBB183_2028
; %bb.2014:
	s_cmp_gt_i32 s2, 43
	;; [unrolled: 3-line block ×3, first 2 shown]
	s_cbranch_scc0 .LBB183_2018
; %bb.2016:
	s_mov_b32 s0, -1
	s_mov_b32 s7, 0
	s_cmp_eq_u32 s2, 46
	s_cbranch_scc0 .LBB183_2018
; %bb.2017:
	s_wait_loadcnt 0x0
	v_bfe_i32 v1, v13, 0, 8
	s_mov_b32 s0, 0
	s_mov_b32 s6, -1
	s_delay_alu instid0(VALU_DEP_1) | instskip(NEXT) | instid1(VALU_DEP_1)
	v_bfe_i32 v1, v1, 0, 16
	v_cvt_f32_i32_e32 v1, v1
	s_delay_alu instid0(VALU_DEP_1) | instskip(NEXT) | instid1(VALU_DEP_1)
	v_bfe_u32 v4, v1, 16, 1
	v_add3_u32 v1, v1, v4, 0x7fff
	s_delay_alu instid0(VALU_DEP_1)
	v_lshrrev_b32_e32 v1, 16, v1
	global_store_b32 v[2:3], v1, off
.LBB183_2018:
	s_and_b32 vcc_lo, exec_lo, s7
	s_cbranch_vccz .LBB183_2023
; %bb.2019:
	s_cmp_eq_u32 s2, 44
	s_mov_b32 s0, -1
	s_cbranch_scc0 .LBB183_2023
; %bb.2020:
	s_wait_loadcnt 0x0
	v_bfe_i32 v1, v13, 0, 8
	v_mov_b32_e32 v4, 0xff
	s_mov_b32 s6, exec_lo
	s_delay_alu instid0(VALU_DEP_2) | instskip(NEXT) | instid1(VALU_DEP_1)
	v_bfe_i32 v1, v1, 0, 16
	v_cvt_f32_i32_e32 v1, v1
	s_delay_alu instid0(VALU_DEP_1) | instskip(NEXT) | instid1(VALU_DEP_1)
	v_bfe_u32 v5, v1, 23, 8
	v_cmpx_ne_u32_e32 0xff, v5
	s_cbranch_execz .LBB183_2022
; %bb.2021:
	v_and_b32_e32 v4, 0x400000, v1
	v_and_or_b32 v5, 0x3fffff, v1, v5
	v_lshrrev_b32_e32 v1, 23, v1
	s_delay_alu instid0(VALU_DEP_3) | instskip(NEXT) | instid1(VALU_DEP_3)
	v_cmp_ne_u32_e32 vcc_lo, 0, v4
	v_cmp_ne_u32_e64 s0, 0, v5
	s_and_b32 s0, vcc_lo, s0
	s_delay_alu instid0(SALU_CYCLE_1) | instskip(NEXT) | instid1(VALU_DEP_1)
	v_cndmask_b32_e64 v4, 0, 1, s0
	v_add_nc_u32_e32 v4, v1, v4
.LBB183_2022:
	s_or_b32 exec_lo, exec_lo, s6
	s_mov_b32 s0, 0
	s_mov_b32 s6, -1
	global_store_b8 v[2:3], v4, off
.LBB183_2023:
	s_mov_b32 s7, 0
.LBB183_2024:
	s_delay_alu instid0(SALU_CYCLE_1)
	s_and_b32 vcc_lo, exec_lo, s7
	s_cbranch_vccz .LBB183_2027
; %bb.2025:
	s_cmp_eq_u32 s2, 29
	s_mov_b32 s0, -1
	s_cbranch_scc0 .LBB183_2027
; %bb.2026:
	s_wait_loadcnt 0x0
	v_bfe_i32 v4, v13, 0, 8
	s_mov_b32 s0, 0
	s_mov_b32 s6, -1
	s_delay_alu instid0(VALU_DEP_1)
	v_ashrrev_i32_e32 v5, 31, v4
	global_store_b64 v[2:3], v[4:5], off
.LBB183_2027:
	s_mov_b32 s7, 0
.LBB183_2028:
	s_delay_alu instid0(SALU_CYCLE_1)
	s_and_b32 vcc_lo, exec_lo, s7
	s_cbranch_vccz .LBB183_2044
; %bb.2029:
	s_cmp_lt_i32 s2, 27
	s_mov_b32 s6, -1
	s_cbranch_scc1 .LBB183_2035
; %bb.2030:
	s_cmp_gt_i32 s2, 27
	s_cbranch_scc0 .LBB183_2032
; %bb.2031:
	s_wait_loadcnt 0x0
	v_bfe_i32 v1, v13, 0, 8
	s_mov_b32 s6, 0
	global_store_b32 v[2:3], v1, off
.LBB183_2032:
	s_and_not1_b32 vcc_lo, exec_lo, s6
	s_cbranch_vccnz .LBB183_2034
; %bb.2033:
	s_wait_loadcnt 0x0
	v_bfe_i32 v1, v13, 0, 8
	global_store_b16 v[2:3], v1, off
.LBB183_2034:
	s_mov_b32 s6, 0
.LBB183_2035:
	s_delay_alu instid0(SALU_CYCLE_1)
	s_and_not1_b32 vcc_lo, exec_lo, s6
	s_cbranch_vccnz .LBB183_2043
; %bb.2036:
	s_wait_loadcnt 0x0
	v_bfe_i32 v1, v13, 0, 8
	v_mov_b32_e32 v5, 0x80
	s_mov_b32 s6, exec_lo
	s_delay_alu instid0(VALU_DEP_2) | instskip(NEXT) | instid1(VALU_DEP_1)
	v_bfe_i32 v1, v1, 0, 16
	v_cvt_f32_i32_e32 v1, v1
	s_delay_alu instid0(VALU_DEP_1) | instskip(NEXT) | instid1(VALU_DEP_1)
	v_and_b32_e32 v4, 0x7fffffff, v1
	v_cmpx_gt_u32_e32 0x43800000, v4
	s_cbranch_execz .LBB183_2042
; %bb.2037:
	v_cmp_lt_u32_e32 vcc_lo, 0x3bffffff, v4
	s_mov_b32 s7, 0
                                        ; implicit-def: $vgpr4
	s_and_saveexec_b32 s11, vcc_lo
	s_delay_alu instid0(SALU_CYCLE_1)
	s_xor_b32 s11, exec_lo, s11
	s_cbranch_execz .LBB183_2219
; %bb.2038:
	v_bfe_u32 v4, v1, 20, 1
	s_mov_b32 s7, exec_lo
	s_delay_alu instid0(VALU_DEP_1) | instskip(NEXT) | instid1(VALU_DEP_1)
	v_add3_u32 v4, v1, v4, 0x487ffff
	v_lshrrev_b32_e32 v4, 20, v4
	s_and_not1_saveexec_b32 s11, s11
	s_cbranch_execnz .LBB183_2220
.LBB183_2039:
	s_or_b32 exec_lo, exec_lo, s11
	v_mov_b32_e32 v5, 0
	s_and_saveexec_b32 s11, s7
.LBB183_2040:
	v_lshrrev_b32_e32 v1, 24, v1
	s_delay_alu instid0(VALU_DEP_1)
	v_and_or_b32 v5, 0x80, v1, v4
.LBB183_2041:
	s_or_b32 exec_lo, exec_lo, s11
.LBB183_2042:
	s_delay_alu instid0(SALU_CYCLE_1)
	s_or_b32 exec_lo, exec_lo, s6
	global_store_b8 v[2:3], v5, off
.LBB183_2043:
	s_mov_b32 s6, -1
.LBB183_2044:
	s_mov_b32 s7, 0
.LBB183_2045:
	s_delay_alu instid0(SALU_CYCLE_1)
	s_and_b32 vcc_lo, exec_lo, s7
	s_cbranch_vccz .LBB183_2085
; %bb.2046:
	s_cmp_gt_i32 s2, 22
	s_mov_b32 s3, -1
	s_cbranch_scc0 .LBB183_2078
; %bb.2047:
	s_cmp_lt_i32 s2, 24
	s_cbranch_scc1 .LBB183_2067
; %bb.2048:
	s_cmp_gt_i32 s2, 24
	s_cbranch_scc0 .LBB183_2056
; %bb.2049:
	s_wait_loadcnt 0x0
	v_bfe_i32 v1, v13, 0, 8
	v_mov_b32_e32 v5, 0x80
	s_mov_b32 s3, exec_lo
	s_delay_alu instid0(VALU_DEP_2) | instskip(NEXT) | instid1(VALU_DEP_1)
	v_bfe_i32 v1, v1, 0, 16
	v_cvt_f32_i32_e32 v1, v1
	s_delay_alu instid0(VALU_DEP_1) | instskip(NEXT) | instid1(VALU_DEP_1)
	v_and_b32_e32 v4, 0x7fffffff, v1
	v_cmpx_gt_u32_e32 0x47800000, v4
	s_cbranch_execz .LBB183_2055
; %bb.2050:
	v_cmp_lt_u32_e32 vcc_lo, 0x37ffffff, v4
	s_mov_b32 s6, 0
                                        ; implicit-def: $vgpr4
	s_and_saveexec_b32 s7, vcc_lo
	s_delay_alu instid0(SALU_CYCLE_1)
	s_xor_b32 s7, exec_lo, s7
	s_cbranch_execz .LBB183_2222
; %bb.2051:
	v_bfe_u32 v4, v1, 21, 1
	s_mov_b32 s6, exec_lo
	s_delay_alu instid0(VALU_DEP_1) | instskip(NEXT) | instid1(VALU_DEP_1)
	v_add3_u32 v4, v1, v4, 0x88fffff
	v_lshrrev_b32_e32 v4, 21, v4
	s_and_not1_saveexec_b32 s7, s7
	s_cbranch_execnz .LBB183_2223
.LBB183_2052:
	s_or_b32 exec_lo, exec_lo, s7
	v_mov_b32_e32 v5, 0
	s_and_saveexec_b32 s7, s6
.LBB183_2053:
	v_lshrrev_b32_e32 v1, 24, v1
	s_delay_alu instid0(VALU_DEP_1)
	v_and_or_b32 v5, 0x80, v1, v4
.LBB183_2054:
	s_or_b32 exec_lo, exec_lo, s7
.LBB183_2055:
	s_delay_alu instid0(SALU_CYCLE_1)
	s_or_b32 exec_lo, exec_lo, s3
	s_mov_b32 s3, 0
	global_store_b8 v[2:3], v5, off
.LBB183_2056:
	s_and_b32 vcc_lo, exec_lo, s3
	s_cbranch_vccz .LBB183_2066
; %bb.2057:
	s_wait_loadcnt 0x0
	v_bfe_i32 v1, v13, 0, 8
	s_mov_b32 s3, exec_lo
                                        ; implicit-def: $vgpr4
	s_delay_alu instid0(VALU_DEP_1) | instskip(NEXT) | instid1(VALU_DEP_1)
	v_bfe_i32 v1, v1, 0, 16
	v_cvt_f32_i32_e32 v1, v1
	s_delay_alu instid0(VALU_DEP_1) | instskip(NEXT) | instid1(VALU_DEP_1)
	v_and_b32_e32 v5, 0x7fffffff, v1
	v_cmpx_gt_u32_e32 0x43f00000, v5
	s_xor_b32 s3, exec_lo, s3
	s_cbranch_execz .LBB183_2063
; %bb.2058:
	s_mov_b32 s6, exec_lo
                                        ; implicit-def: $vgpr4
	v_cmpx_lt_u32_e32 0x3c7fffff, v5
	s_xor_b32 s6, exec_lo, s6
; %bb.2059:
	v_bfe_u32 v4, v1, 20, 1
	s_delay_alu instid0(VALU_DEP_1) | instskip(NEXT) | instid1(VALU_DEP_1)
	v_add3_u32 v4, v1, v4, 0x407ffff
	v_and_b32_e32 v5, 0xff00000, v4
	v_lshrrev_b32_e32 v4, 20, v4
	s_delay_alu instid0(VALU_DEP_2) | instskip(NEXT) | instid1(VALU_DEP_2)
	v_cmp_ne_u32_e32 vcc_lo, 0x7f00000, v5
	v_cndmask_b32_e32 v4, 0x7e, v4, vcc_lo
; %bb.2060:
	s_and_not1_saveexec_b32 s6, s6
; %bb.2061:
	v_add_f32_e64 v4, 0x46800000, |v1|
; %bb.2062:
	s_or_b32 exec_lo, exec_lo, s6
                                        ; implicit-def: $vgpr5
.LBB183_2063:
	s_and_not1_saveexec_b32 s3, s3
; %bb.2064:
	v_mov_b32_e32 v4, 0x7f
	v_cmp_lt_u32_e32 vcc_lo, 0x7f800000, v5
	s_delay_alu instid0(VALU_DEP_2)
	v_cndmask_b32_e32 v4, 0x7e, v4, vcc_lo
; %bb.2065:
	s_or_b32 exec_lo, exec_lo, s3
	v_lshrrev_b32_e32 v1, 24, v1
	s_delay_alu instid0(VALU_DEP_1)
	v_and_or_b32 v1, 0x80, v1, v4
	global_store_b8 v[2:3], v1, off
.LBB183_2066:
	s_mov_b32 s3, 0
.LBB183_2067:
	s_delay_alu instid0(SALU_CYCLE_1)
	s_and_not1_b32 vcc_lo, exec_lo, s3
	s_cbranch_vccnz .LBB183_2077
; %bb.2068:
	s_wait_loadcnt 0x0
	v_bfe_i32 v1, v13, 0, 8
	s_mov_b32 s3, exec_lo
                                        ; implicit-def: $vgpr4
	s_delay_alu instid0(VALU_DEP_1) | instskip(NEXT) | instid1(VALU_DEP_1)
	v_bfe_i32 v1, v1, 0, 16
	v_cvt_f32_i32_e32 v1, v1
	s_delay_alu instid0(VALU_DEP_1) | instskip(NEXT) | instid1(VALU_DEP_1)
	v_and_b32_e32 v5, 0x7fffffff, v1
	v_cmpx_gt_u32_e32 0x47800000, v5
	s_xor_b32 s3, exec_lo, s3
	s_cbranch_execz .LBB183_2074
; %bb.2069:
	s_mov_b32 s6, exec_lo
                                        ; implicit-def: $vgpr4
	v_cmpx_lt_u32_e32 0x387fffff, v5
	s_xor_b32 s6, exec_lo, s6
; %bb.2070:
	v_bfe_u32 v4, v1, 21, 1
	s_delay_alu instid0(VALU_DEP_1) | instskip(NEXT) | instid1(VALU_DEP_1)
	v_add3_u32 v4, v1, v4, 0x80fffff
	v_lshrrev_b32_e32 v4, 21, v4
; %bb.2071:
	s_and_not1_saveexec_b32 s6, s6
; %bb.2072:
	v_add_f32_e64 v4, 0x43000000, |v1|
; %bb.2073:
	s_or_b32 exec_lo, exec_lo, s6
                                        ; implicit-def: $vgpr5
.LBB183_2074:
	s_and_not1_saveexec_b32 s3, s3
; %bb.2075:
	v_mov_b32_e32 v4, 0x7f
	v_cmp_lt_u32_e32 vcc_lo, 0x7f800000, v5
	s_delay_alu instid0(VALU_DEP_2)
	v_cndmask_b32_e32 v4, 0x7c, v4, vcc_lo
; %bb.2076:
	s_or_b32 exec_lo, exec_lo, s3
	v_lshrrev_b32_e32 v1, 24, v1
	s_delay_alu instid0(VALU_DEP_1)
	v_and_or_b32 v1, 0x80, v1, v4
	global_store_b8 v[2:3], v1, off
.LBB183_2077:
	s_mov_b32 s3, 0
	s_mov_b32 s6, -1
.LBB183_2078:
	s_and_not1_b32 vcc_lo, exec_lo, s3
	s_mov_b32 s3, 0
	s_cbranch_vccnz .LBB183_2085
; %bb.2079:
	s_cmp_gt_i32 s2, 14
	s_mov_b32 s3, -1
	s_cbranch_scc0 .LBB183_2083
; %bb.2080:
	s_cmp_eq_u32 s2, 15
	s_mov_b32 s0, -1
	s_cbranch_scc0 .LBB183_2082
; %bb.2081:
	s_wait_loadcnt 0x0
	v_bfe_i32 v1, v13, 0, 8
	s_mov_b32 s0, 0
	s_mov_b32 s6, -1
	s_delay_alu instid0(VALU_DEP_1) | instskip(NEXT) | instid1(VALU_DEP_1)
	v_bfe_i32 v1, v1, 0, 16
	v_cvt_f32_i32_e32 v1, v1
	s_delay_alu instid0(VALU_DEP_1) | instskip(NEXT) | instid1(VALU_DEP_1)
	v_bfe_u32 v4, v1, 16, 1
	v_add3_u32 v1, v1, v4, 0x7fff
	global_store_d16_hi_b16 v[2:3], v1, off
.LBB183_2082:
	s_mov_b32 s3, 0
.LBB183_2083:
	s_delay_alu instid0(SALU_CYCLE_1)
	s_and_b32 vcc_lo, exec_lo, s3
	s_mov_b32 s3, 0
	s_cbranch_vccz .LBB183_2085
; %bb.2084:
	s_cmp_lg_u32 s2, 11
	s_mov_b32 s3, -1
	s_cselect_b32 s0, -1, 0
.LBB183_2085:
	s_delay_alu instid0(SALU_CYCLE_1)
	s_and_b32 vcc_lo, exec_lo, s0
	s_cbranch_vccnz .LBB183_2221
; %bb.2086:
	s_and_not1_b32 vcc_lo, exec_lo, s3
	s_cbranch_vccnz .LBB183_2088
.LBB183_2087:
	s_wait_loadcnt 0x0
	v_and_b32_e32 v1, 0xff, v13
	s_mov_b32 s6, -1
	s_delay_alu instid0(VALU_DEP_1)
	v_cmp_ne_u16_e32 vcc_lo, 0, v1
	v_cndmask_b32_e64 v1, 0, 1, vcc_lo
	global_store_b8 v[2:3], v1, off
.LBB183_2088:
	s_mov_b32 s0, 0
	s_branch .LBB183_2090
.LBB183_2089:
	s_mov_b32 s0, -1
	s_mov_b32 s6, 0
.LBB183_2090:
	s_and_b32 vcc_lo, exec_lo, s0
	s_cbranch_vccz .LBB183_2129
; %bb.2091:
	s_cmp_lt_i32 s2, 5
	s_mov_b32 s0, -1
	s_cbranch_scc1 .LBB183_2112
; %bb.2092:
	s_cmp_lt_i32 s2, 8
	s_cbranch_scc1 .LBB183_2102
; %bb.2093:
	s_cmp_lt_i32 s2, 9
	s_cbranch_scc1 .LBB183_2099
; %bb.2094:
	s_cmp_gt_i32 s2, 9
	s_cbranch_scc0 .LBB183_2096
; %bb.2095:
	s_wait_loadcnt 0x0
	v_bfe_i32 v1, v13, 0, 8
	v_mov_b32_e32 v6, 0
	s_mov_b32 s0, 0
	s_delay_alu instid0(VALU_DEP_2) | instskip(NEXT) | instid1(VALU_DEP_2)
	v_bfe_i32 v1, v1, 0, 16
	v_mov_b32_e32 v7, v6
	s_delay_alu instid0(VALU_DEP_2)
	v_cvt_f64_i32_e32 v[4:5], v1
	global_store_b128 v[2:3], v[4:7], off
.LBB183_2096:
	s_and_not1_b32 vcc_lo, exec_lo, s0
	s_cbranch_vccnz .LBB183_2098
; %bb.2097:
	s_wait_loadcnt 0x0
	v_bfe_i32 v1, v13, 0, 8
	v_mov_b32_e32 v5, 0
	s_delay_alu instid0(VALU_DEP_2) | instskip(NEXT) | instid1(VALU_DEP_1)
	v_bfe_i32 v1, v1, 0, 16
	v_cvt_f32_i32_e32 v4, v1
	global_store_b64 v[2:3], v[4:5], off
.LBB183_2098:
	s_mov_b32 s0, 0
.LBB183_2099:
	s_delay_alu instid0(SALU_CYCLE_1)
	s_and_not1_b32 vcc_lo, exec_lo, s0
	s_cbranch_vccnz .LBB183_2101
; %bb.2100:
	s_wait_loadcnt 0x0
	v_bfe_i32 v1, v13, 0, 8
	s_delay_alu instid0(VALU_DEP_1) | instskip(NEXT) | instid1(VALU_DEP_1)
	v_cvt_f16_i16_e32 v1, v1
	v_and_b32_e32 v1, 0xffff, v1
	global_store_b32 v[2:3], v1, off
.LBB183_2101:
	s_mov_b32 s0, 0
.LBB183_2102:
	s_delay_alu instid0(SALU_CYCLE_1)
	s_and_not1_b32 vcc_lo, exec_lo, s0
	s_cbranch_vccnz .LBB183_2111
; %bb.2103:
	s_cmp_lt_i32 s2, 6
	s_mov_b32 s0, -1
	s_cbranch_scc1 .LBB183_2109
; %bb.2104:
	s_cmp_gt_i32 s2, 6
	s_cbranch_scc0 .LBB183_2106
; %bb.2105:
	s_wait_loadcnt 0x0
	v_bfe_i32 v1, v13, 0, 8
	s_mov_b32 s0, 0
	s_delay_alu instid0(VALU_DEP_1) | instskip(NEXT) | instid1(VALU_DEP_1)
	v_bfe_i32 v1, v1, 0, 16
	v_cvt_f64_i32_e32 v[4:5], v1
	global_store_b64 v[2:3], v[4:5], off
.LBB183_2106:
	s_and_not1_b32 vcc_lo, exec_lo, s0
	s_cbranch_vccnz .LBB183_2108
; %bb.2107:
	s_wait_loadcnt 0x0
	v_bfe_i32 v1, v13, 0, 8
	s_delay_alu instid0(VALU_DEP_1) | instskip(NEXT) | instid1(VALU_DEP_1)
	v_bfe_i32 v1, v1, 0, 16
	v_cvt_f32_i32_e32 v1, v1
	global_store_b32 v[2:3], v1, off
.LBB183_2108:
	s_mov_b32 s0, 0
.LBB183_2109:
	s_delay_alu instid0(SALU_CYCLE_1)
	s_and_not1_b32 vcc_lo, exec_lo, s0
	s_cbranch_vccnz .LBB183_2111
; %bb.2110:
	s_wait_loadcnt 0x0
	v_bfe_i32 v1, v13, 0, 8
	s_delay_alu instid0(VALU_DEP_1)
	v_cvt_f16_i16_e32 v1, v1
	global_store_b16 v[2:3], v1, off
.LBB183_2111:
	s_mov_b32 s0, 0
.LBB183_2112:
	s_delay_alu instid0(SALU_CYCLE_1)
	s_and_not1_b32 vcc_lo, exec_lo, s0
	s_cbranch_vccnz .LBB183_2128
; %bb.2113:
	s_cmp_lt_i32 s2, 2
	s_mov_b32 s0, -1
	s_cbranch_scc1 .LBB183_2123
; %bb.2114:
	s_cmp_lt_i32 s2, 3
	s_cbranch_scc1 .LBB183_2120
; %bb.2115:
	s_cmp_gt_i32 s2, 3
	s_cbranch_scc0 .LBB183_2117
; %bb.2116:
	s_wait_loadcnt 0x0
	v_bfe_i32 v4, v13, 0, 8
	s_mov_b32 s0, 0
	s_delay_alu instid0(VALU_DEP_1)
	v_ashrrev_i32_e32 v5, 31, v4
	global_store_b64 v[2:3], v[4:5], off
.LBB183_2117:
	s_and_not1_b32 vcc_lo, exec_lo, s0
	s_cbranch_vccnz .LBB183_2119
; %bb.2118:
	s_wait_loadcnt 0x0
	v_bfe_i32 v1, v13, 0, 8
	global_store_b32 v[2:3], v1, off
.LBB183_2119:
	s_mov_b32 s0, 0
.LBB183_2120:
	s_delay_alu instid0(SALU_CYCLE_1)
	s_and_not1_b32 vcc_lo, exec_lo, s0
	s_cbranch_vccnz .LBB183_2122
; %bb.2121:
	s_wait_loadcnt 0x0
	v_bfe_i32 v1, v13, 0, 8
	global_store_b16 v[2:3], v1, off
.LBB183_2122:
	s_mov_b32 s0, 0
.LBB183_2123:
	s_delay_alu instid0(SALU_CYCLE_1)
	s_and_not1_b32 vcc_lo, exec_lo, s0
	s_cbranch_vccnz .LBB183_2128
; %bb.2124:
	s_cmp_gt_i32 s2, 0
	s_mov_b32 s0, -1
	s_cbranch_scc0 .LBB183_2126
; %bb.2125:
	s_mov_b32 s0, 0
	s_wait_loadcnt 0x0
	global_store_b8 v[2:3], v13, off
.LBB183_2126:
	s_and_not1_b32 vcc_lo, exec_lo, s0
	s_cbranch_vccnz .LBB183_2128
; %bb.2127:
	s_wait_loadcnt 0x0
	global_store_b8 v[2:3], v13, off
.LBB183_2128:
	s_mov_b32 s6, -1
.LBB183_2129:
	s_delay_alu instid0(SALU_CYCLE_1)
	s_and_not1_b32 vcc_lo, exec_lo, s6
	s_cbranch_vccnz .LBB183_2206
; %bb.2130:
	s_wait_xcnt 0x0
	v_mov_b32_e32 v1, 0
	s_cmp_lt_i32 s2, 11
	s_delay_alu instid0(VALU_DEP_1)
	v_add_nc_u64_e32 v[2:3], s[4:5], v[0:1]
	s_cbranch_scc1 .LBB183_2207
; %bb.2131:
	s_mov_b32 s4, -1
	s_mov_b32 s3, 0
	s_cmp_gt_i32 s2, 25
	s_mov_b32 s0, 0
	s_cbranch_scc0 .LBB183_2164
; %bb.2132:
	s_cmp_gt_i32 s2, 28
	s_cbranch_scc0 .LBB183_2148
; %bb.2133:
	s_cmp_gt_i32 s2, 43
	;; [unrolled: 3-line block ×3, first 2 shown]
	s_cbranch_scc0 .LBB183_2138
; %bb.2135:
	s_cmp_eq_u32 s2, 46
	s_mov_b32 s0, -1
	s_cbranch_scc0 .LBB183_2137
; %bb.2136:
	v_bfe_i32 v0, v8, 0, 8
	s_mov_b32 s0, 0
	s_delay_alu instid0(VALU_DEP_1) | instskip(NEXT) | instid1(VALU_DEP_1)
	v_bfe_i32 v0, v0, 0, 16
	v_cvt_f32_i32_e32 v0, v0
	s_delay_alu instid0(VALU_DEP_1) | instskip(NEXT) | instid1(VALU_DEP_1)
	v_bfe_u32 v1, v0, 16, 1
	v_add3_u32 v0, v0, v1, 0x7fff
	s_delay_alu instid0(VALU_DEP_1)
	v_lshrrev_b32_e32 v0, 16, v0
	global_store_b32 v[2:3], v0, off
.LBB183_2137:
	s_mov_b32 s4, 0
.LBB183_2138:
	s_delay_alu instid0(SALU_CYCLE_1)
	s_and_b32 vcc_lo, exec_lo, s4
	s_cbranch_vccz .LBB183_2143
; %bb.2139:
	s_cmp_eq_u32 s2, 44
	s_mov_b32 s0, -1
	s_cbranch_scc0 .LBB183_2143
; %bb.2140:
	s_wait_xcnt 0x0
	v_bfe_i32 v0, v8, 0, 8
	v_mov_b32_e32 v1, 0xff
	s_mov_b32 s4, exec_lo
	s_delay_alu instid0(VALU_DEP_2) | instskip(NEXT) | instid1(VALU_DEP_1)
	v_bfe_i32 v0, v0, 0, 16
	v_cvt_f32_i32_e32 v0, v0
	s_delay_alu instid0(VALU_DEP_1) | instskip(NEXT) | instid1(VALU_DEP_1)
	v_bfe_u32 v4, v0, 23, 8
	v_cmpx_ne_u32_e32 0xff, v4
	s_cbranch_execz .LBB183_2142
; %bb.2141:
	v_and_b32_e32 v1, 0x400000, v0
	v_and_or_b32 v4, 0x3fffff, v0, v4
	v_lshrrev_b32_e32 v0, 23, v0
	s_delay_alu instid0(VALU_DEP_3) | instskip(NEXT) | instid1(VALU_DEP_3)
	v_cmp_ne_u32_e32 vcc_lo, 0, v1
	v_cmp_ne_u32_e64 s0, 0, v4
	s_and_b32 s0, vcc_lo, s0
	s_delay_alu instid0(SALU_CYCLE_1) | instskip(NEXT) | instid1(VALU_DEP_1)
	v_cndmask_b32_e64 v1, 0, 1, s0
	v_add_nc_u32_e32 v1, v0, v1
.LBB183_2142:
	s_or_b32 exec_lo, exec_lo, s4
	s_mov_b32 s0, 0
	global_store_b8 v[2:3], v1, off
.LBB183_2143:
	s_mov_b32 s4, 0
.LBB183_2144:
	s_delay_alu instid0(SALU_CYCLE_1)
	s_and_b32 vcc_lo, exec_lo, s4
	s_cbranch_vccz .LBB183_2147
; %bb.2145:
	s_cmp_eq_u32 s2, 29
	s_mov_b32 s0, -1
	s_cbranch_scc0 .LBB183_2147
; %bb.2146:
	s_wait_xcnt 0x0
	v_bfe_i32 v0, v8, 0, 8
	s_mov_b32 s0, 0
	s_delay_alu instid0(VALU_DEP_1)
	v_ashrrev_i32_e32 v1, 31, v0
	global_store_b64 v[2:3], v[0:1], off
.LBB183_2147:
	s_mov_b32 s4, 0
.LBB183_2148:
	s_delay_alu instid0(SALU_CYCLE_1)
	s_and_b32 vcc_lo, exec_lo, s4
	s_cbranch_vccz .LBB183_2163
; %bb.2149:
	s_cmp_lt_i32 s2, 27
	s_mov_b32 s4, -1
	s_cbranch_scc1 .LBB183_2155
; %bb.2150:
	s_cmp_gt_i32 s2, 27
	s_cbranch_scc0 .LBB183_2152
; %bb.2151:
	s_wait_xcnt 0x0
	v_bfe_i32 v0, v8, 0, 8
	s_mov_b32 s4, 0
	global_store_b32 v[2:3], v0, off
.LBB183_2152:
	s_and_not1_b32 vcc_lo, exec_lo, s4
	s_cbranch_vccnz .LBB183_2154
; %bb.2153:
	s_wait_xcnt 0x0
	v_bfe_i32 v0, v8, 0, 8
	global_store_b16 v[2:3], v0, off
.LBB183_2154:
	s_mov_b32 s4, 0
.LBB183_2155:
	s_delay_alu instid0(SALU_CYCLE_1)
	s_and_not1_b32 vcc_lo, exec_lo, s4
	s_cbranch_vccnz .LBB183_2163
; %bb.2156:
	s_wait_xcnt 0x0
	v_bfe_i32 v0, v8, 0, 8
	v_mov_b32_e32 v4, 0x80
	s_mov_b32 s4, exec_lo
	s_delay_alu instid0(VALU_DEP_2) | instskip(NEXT) | instid1(VALU_DEP_1)
	v_bfe_i32 v0, v0, 0, 16
	v_cvt_f32_i32_e32 v0, v0
	s_delay_alu instid0(VALU_DEP_1) | instskip(NEXT) | instid1(VALU_DEP_1)
	v_and_b32_e32 v1, 0x7fffffff, v0
	v_cmpx_gt_u32_e32 0x43800000, v1
	s_cbranch_execz .LBB183_2162
; %bb.2157:
	v_cmp_lt_u32_e32 vcc_lo, 0x3bffffff, v1
	s_mov_b32 s5, 0
                                        ; implicit-def: $vgpr1
	s_and_saveexec_b32 s6, vcc_lo
	s_delay_alu instid0(SALU_CYCLE_1)
	s_xor_b32 s6, exec_lo, s6
	s_cbranch_execz .LBB183_2224
; %bb.2158:
	v_bfe_u32 v1, v0, 20, 1
	s_mov_b32 s5, exec_lo
	s_delay_alu instid0(VALU_DEP_1) | instskip(NEXT) | instid1(VALU_DEP_1)
	v_add3_u32 v1, v0, v1, 0x487ffff
	v_lshrrev_b32_e32 v1, 20, v1
	s_and_not1_saveexec_b32 s6, s6
	s_cbranch_execnz .LBB183_2225
.LBB183_2159:
	s_or_b32 exec_lo, exec_lo, s6
	v_mov_b32_e32 v4, 0
	s_and_saveexec_b32 s6, s5
.LBB183_2160:
	v_lshrrev_b32_e32 v0, 24, v0
	s_delay_alu instid0(VALU_DEP_1)
	v_and_or_b32 v4, 0x80, v0, v1
.LBB183_2161:
	s_or_b32 exec_lo, exec_lo, s6
.LBB183_2162:
	s_delay_alu instid0(SALU_CYCLE_1)
	s_or_b32 exec_lo, exec_lo, s4
	global_store_b8 v[2:3], v4, off
.LBB183_2163:
	s_mov_b32 s4, 0
.LBB183_2164:
	s_delay_alu instid0(SALU_CYCLE_1)
	s_and_b32 vcc_lo, exec_lo, s4
	s_cbranch_vccz .LBB183_2204
; %bb.2165:
	s_cmp_gt_i32 s2, 22
	s_mov_b32 s3, -1
	s_cbranch_scc0 .LBB183_2197
; %bb.2166:
	s_cmp_lt_i32 s2, 24
	s_cbranch_scc1 .LBB183_2186
; %bb.2167:
	s_cmp_gt_i32 s2, 24
	s_cbranch_scc0 .LBB183_2175
; %bb.2168:
	s_wait_xcnt 0x0
	v_bfe_i32 v0, v8, 0, 8
	v_mov_b32_e32 v4, 0x80
	s_mov_b32 s3, exec_lo
	s_delay_alu instid0(VALU_DEP_2) | instskip(NEXT) | instid1(VALU_DEP_1)
	v_bfe_i32 v0, v0, 0, 16
	v_cvt_f32_i32_e32 v0, v0
	s_delay_alu instid0(VALU_DEP_1) | instskip(NEXT) | instid1(VALU_DEP_1)
	v_and_b32_e32 v1, 0x7fffffff, v0
	v_cmpx_gt_u32_e32 0x47800000, v1
	s_cbranch_execz .LBB183_2174
; %bb.2169:
	v_cmp_lt_u32_e32 vcc_lo, 0x37ffffff, v1
	s_mov_b32 s4, 0
                                        ; implicit-def: $vgpr1
	s_and_saveexec_b32 s5, vcc_lo
	s_delay_alu instid0(SALU_CYCLE_1)
	s_xor_b32 s5, exec_lo, s5
	s_cbranch_execz .LBB183_2227
; %bb.2170:
	v_bfe_u32 v1, v0, 21, 1
	s_mov_b32 s4, exec_lo
	s_delay_alu instid0(VALU_DEP_1) | instskip(NEXT) | instid1(VALU_DEP_1)
	v_add3_u32 v1, v0, v1, 0x88fffff
	v_lshrrev_b32_e32 v1, 21, v1
	s_and_not1_saveexec_b32 s5, s5
	s_cbranch_execnz .LBB183_2228
.LBB183_2171:
	s_or_b32 exec_lo, exec_lo, s5
	v_mov_b32_e32 v4, 0
	s_and_saveexec_b32 s5, s4
.LBB183_2172:
	v_lshrrev_b32_e32 v0, 24, v0
	s_delay_alu instid0(VALU_DEP_1)
	v_and_or_b32 v4, 0x80, v0, v1
.LBB183_2173:
	s_or_b32 exec_lo, exec_lo, s5
.LBB183_2174:
	s_delay_alu instid0(SALU_CYCLE_1)
	s_or_b32 exec_lo, exec_lo, s3
	s_mov_b32 s3, 0
	global_store_b8 v[2:3], v4, off
.LBB183_2175:
	s_and_b32 vcc_lo, exec_lo, s3
	s_cbranch_vccz .LBB183_2185
; %bb.2176:
	s_wait_xcnt 0x0
	v_bfe_i32 v0, v8, 0, 8
	s_mov_b32 s3, exec_lo
                                        ; implicit-def: $vgpr1
	s_delay_alu instid0(VALU_DEP_1) | instskip(NEXT) | instid1(VALU_DEP_1)
	v_bfe_i32 v0, v0, 0, 16
	v_cvt_f32_i32_e32 v0, v0
	s_delay_alu instid0(VALU_DEP_1) | instskip(NEXT) | instid1(VALU_DEP_1)
	v_and_b32_e32 v4, 0x7fffffff, v0
	v_cmpx_gt_u32_e32 0x43f00000, v4
	s_xor_b32 s3, exec_lo, s3
	s_cbranch_execz .LBB183_2182
; %bb.2177:
	s_mov_b32 s4, exec_lo
                                        ; implicit-def: $vgpr1
	v_cmpx_lt_u32_e32 0x3c7fffff, v4
	s_xor_b32 s4, exec_lo, s4
; %bb.2178:
	v_bfe_u32 v1, v0, 20, 1
	s_delay_alu instid0(VALU_DEP_1) | instskip(NEXT) | instid1(VALU_DEP_1)
	v_add3_u32 v1, v0, v1, 0x407ffff
	v_and_b32_e32 v4, 0xff00000, v1
	v_lshrrev_b32_e32 v1, 20, v1
	s_delay_alu instid0(VALU_DEP_2) | instskip(NEXT) | instid1(VALU_DEP_2)
	v_cmp_ne_u32_e32 vcc_lo, 0x7f00000, v4
	v_cndmask_b32_e32 v1, 0x7e, v1, vcc_lo
; %bb.2179:
	s_and_not1_saveexec_b32 s4, s4
; %bb.2180:
	v_add_f32_e64 v1, 0x46800000, |v0|
; %bb.2181:
	s_or_b32 exec_lo, exec_lo, s4
                                        ; implicit-def: $vgpr4
.LBB183_2182:
	s_and_not1_saveexec_b32 s3, s3
; %bb.2183:
	v_mov_b32_e32 v1, 0x7f
	v_cmp_lt_u32_e32 vcc_lo, 0x7f800000, v4
	s_delay_alu instid0(VALU_DEP_2)
	v_cndmask_b32_e32 v1, 0x7e, v1, vcc_lo
; %bb.2184:
	s_or_b32 exec_lo, exec_lo, s3
	v_lshrrev_b32_e32 v0, 24, v0
	s_delay_alu instid0(VALU_DEP_1)
	v_and_or_b32 v0, 0x80, v0, v1
	global_store_b8 v[2:3], v0, off
.LBB183_2185:
	s_mov_b32 s3, 0
.LBB183_2186:
	s_delay_alu instid0(SALU_CYCLE_1)
	s_and_not1_b32 vcc_lo, exec_lo, s3
	s_cbranch_vccnz .LBB183_2196
; %bb.2187:
	s_wait_xcnt 0x0
	v_bfe_i32 v0, v8, 0, 8
	s_mov_b32 s3, exec_lo
                                        ; implicit-def: $vgpr1
	s_delay_alu instid0(VALU_DEP_1) | instskip(NEXT) | instid1(VALU_DEP_1)
	v_bfe_i32 v0, v0, 0, 16
	v_cvt_f32_i32_e32 v0, v0
	s_delay_alu instid0(VALU_DEP_1) | instskip(NEXT) | instid1(VALU_DEP_1)
	v_and_b32_e32 v4, 0x7fffffff, v0
	v_cmpx_gt_u32_e32 0x47800000, v4
	s_xor_b32 s3, exec_lo, s3
	s_cbranch_execz .LBB183_2193
; %bb.2188:
	s_mov_b32 s4, exec_lo
                                        ; implicit-def: $vgpr1
	v_cmpx_lt_u32_e32 0x387fffff, v4
	s_xor_b32 s4, exec_lo, s4
; %bb.2189:
	v_bfe_u32 v1, v0, 21, 1
	s_delay_alu instid0(VALU_DEP_1) | instskip(NEXT) | instid1(VALU_DEP_1)
	v_add3_u32 v1, v0, v1, 0x80fffff
	v_lshrrev_b32_e32 v1, 21, v1
; %bb.2190:
	s_and_not1_saveexec_b32 s4, s4
; %bb.2191:
	v_add_f32_e64 v1, 0x43000000, |v0|
; %bb.2192:
	s_or_b32 exec_lo, exec_lo, s4
                                        ; implicit-def: $vgpr4
.LBB183_2193:
	s_and_not1_saveexec_b32 s3, s3
; %bb.2194:
	v_mov_b32_e32 v1, 0x7f
	v_cmp_lt_u32_e32 vcc_lo, 0x7f800000, v4
	s_delay_alu instid0(VALU_DEP_2)
	v_cndmask_b32_e32 v1, 0x7c, v1, vcc_lo
; %bb.2195:
	s_or_b32 exec_lo, exec_lo, s3
	v_lshrrev_b32_e32 v0, 24, v0
	s_delay_alu instid0(VALU_DEP_1)
	v_and_or_b32 v0, 0x80, v0, v1
	global_store_b8 v[2:3], v0, off
.LBB183_2196:
	s_mov_b32 s3, 0
.LBB183_2197:
	s_delay_alu instid0(SALU_CYCLE_1)
	s_and_not1_b32 vcc_lo, exec_lo, s3
	s_mov_b32 s3, 0
	s_cbranch_vccnz .LBB183_2204
; %bb.2198:
	s_cmp_gt_i32 s2, 14
	s_mov_b32 s3, -1
	s_cbranch_scc0 .LBB183_2202
; %bb.2199:
	s_cmp_eq_u32 s2, 15
	s_mov_b32 s0, -1
	s_cbranch_scc0 .LBB183_2201
; %bb.2200:
	s_wait_xcnt 0x0
	v_bfe_i32 v0, v8, 0, 8
	s_mov_b32 s0, 0
	s_delay_alu instid0(VALU_DEP_1) | instskip(NEXT) | instid1(VALU_DEP_1)
	v_bfe_i32 v0, v0, 0, 16
	v_cvt_f32_i32_e32 v0, v0
	s_delay_alu instid0(VALU_DEP_1) | instskip(NEXT) | instid1(VALU_DEP_1)
	v_bfe_u32 v1, v0, 16, 1
	v_add3_u32 v0, v0, v1, 0x7fff
	global_store_d16_hi_b16 v[2:3], v0, off
.LBB183_2201:
	s_mov_b32 s3, 0
.LBB183_2202:
	s_delay_alu instid0(SALU_CYCLE_1)
	s_and_b32 vcc_lo, exec_lo, s3
	s_mov_b32 s3, 0
	s_cbranch_vccz .LBB183_2204
; %bb.2203:
	s_cmp_lg_u32 s2, 11
	s_mov_b32 s3, -1
	s_cselect_b32 s0, -1, 0
.LBB183_2204:
	s_delay_alu instid0(SALU_CYCLE_1)
	s_and_b32 vcc_lo, exec_lo, s0
	s_cbranch_vccnz .LBB183_2226
.LBB183_2205:
	s_mov_b32 s0, 0
	s_branch .LBB183_1720
.LBB183_2206:
	s_mov_b32 s0, 0
	s_mov_b32 s3, 0
                                        ; implicit-def: $vgpr2_vgpr3
                                        ; implicit-def: $sgpr1
	s_branch .LBB183_1720
.LBB183_2207:
	s_mov_b32 s3, 0
	s_mov_b32 s0, -1
	s_branch .LBB183_1720
.LBB183_2208:
	s_or_b32 s10, s10, exec_lo
	s_trap 2
	s_cbranch_execz .LBB183_1664
	s_branch .LBB183_1665
.LBB183_2209:
	s_and_not1_saveexec_b32 s11, s11
	s_cbranch_execz .LBB183_1799
.LBB183_2210:
	v_add_f32_e64 v9, 0x46000000, |v5|
	s_and_not1_b32 s7, s7, exec_lo
	s_delay_alu instid0(VALU_DEP_1) | instskip(NEXT) | instid1(VALU_DEP_1)
	v_and_b32_e32 v9, 0xff, v9
	v_cmp_ne_u32_e32 vcc_lo, 0, v9
	s_and_b32 s12, vcc_lo, exec_lo
	s_delay_alu instid0(SALU_CYCLE_1)
	s_or_b32 s7, s7, s12
	s_or_b32 exec_lo, exec_lo, s11
	v_mov_b32_e32 v10, 0
	s_and_saveexec_b32 s11, s7
	s_cbranch_execnz .LBB183_1800
	s_branch .LBB183_1801
.LBB183_2211:
	s_or_b32 s10, s10, exec_lo
	s_trap 2
	s_cbranch_execz .LBB183_1847
	s_branch .LBB183_1848
.LBB183_2212:
	s_and_not1_saveexec_b32 s7, s7
	s_cbranch_execz .LBB183_1812
.LBB183_2213:
	v_add_f32_e64 v9, 0x42800000, |v5|
	s_and_not1_b32 s6, s6, exec_lo
	s_delay_alu instid0(VALU_DEP_1) | instskip(NEXT) | instid1(VALU_DEP_1)
	v_and_b32_e32 v9, 0xff, v9
	v_cmp_ne_u32_e32 vcc_lo, 0, v9
	s_and_b32 s11, vcc_lo, exec_lo
	s_delay_alu instid0(SALU_CYCLE_1)
	s_or_b32 s6, s6, s11
	s_or_b32 exec_lo, exec_lo, s7
	v_mov_b32_e32 v10, 0
	s_and_saveexec_b32 s7, s6
	s_cbranch_execnz .LBB183_1813
	s_branch .LBB183_1814
.LBB183_2214:
	s_and_not1_saveexec_b32 s11, s11
	s_cbranch_execz .LBB183_1920
.LBB183_2215:
	v_add_f32_e64 v6, 0x46000000, |v1|
	s_and_not1_b32 s7, s7, exec_lo
	s_delay_alu instid0(VALU_DEP_1) | instskip(NEXT) | instid1(VALU_DEP_1)
	v_and_b32_e32 v6, 0xff, v6
	v_cmp_ne_u32_e32 vcc_lo, 0, v6
	s_and_b32 s12, vcc_lo, exec_lo
	s_delay_alu instid0(SALU_CYCLE_1)
	s_or_b32 s7, s7, s12
	s_or_b32 exec_lo, exec_lo, s11
	v_mov_b32_e32 v7, 0
	s_and_saveexec_b32 s11, s7
	s_cbranch_execnz .LBB183_1921
	s_branch .LBB183_1922
.LBB183_2216:
	s_or_b32 s10, s10, exec_lo
	s_trap 2
	s_cbranch_execz .LBB183_1968
	s_branch .LBB183_1969
.LBB183_2217:
	s_and_not1_saveexec_b32 s7, s7
	s_cbranch_execz .LBB183_1933
.LBB183_2218:
	v_add_f32_e64 v6, 0x42800000, |v1|
	s_and_not1_b32 s6, s6, exec_lo
	s_delay_alu instid0(VALU_DEP_1) | instskip(NEXT) | instid1(VALU_DEP_1)
	v_and_b32_e32 v6, 0xff, v6
	v_cmp_ne_u32_e32 vcc_lo, 0, v6
	s_and_b32 s11, vcc_lo, exec_lo
	s_delay_alu instid0(SALU_CYCLE_1)
	s_or_b32 s6, s6, s11
	s_or_b32 exec_lo, exec_lo, s7
	v_mov_b32_e32 v7, 0
	s_and_saveexec_b32 s7, s6
	s_cbranch_execnz .LBB183_1934
	s_branch .LBB183_1935
.LBB183_2219:
	s_and_not1_saveexec_b32 s11, s11
	s_cbranch_execz .LBB183_2039
.LBB183_2220:
	v_add_f32_e64 v4, 0x46000000, |v1|
	s_and_not1_b32 s7, s7, exec_lo
	s_delay_alu instid0(VALU_DEP_1) | instskip(NEXT) | instid1(VALU_DEP_1)
	v_and_b32_e32 v4, 0xff, v4
	v_cmp_ne_u32_e32 vcc_lo, 0, v4
	s_and_b32 s12, vcc_lo, exec_lo
	s_delay_alu instid0(SALU_CYCLE_1)
	s_or_b32 s7, s7, s12
	s_or_b32 exec_lo, exec_lo, s11
	v_mov_b32_e32 v5, 0
	s_and_saveexec_b32 s11, s7
	s_cbranch_execnz .LBB183_2040
	s_branch .LBB183_2041
.LBB183_2221:
	s_or_b32 s10, s10, exec_lo
	s_trap 2
	s_cbranch_execz .LBB183_2087
	s_branch .LBB183_2088
.LBB183_2222:
	s_and_not1_saveexec_b32 s7, s7
	s_cbranch_execz .LBB183_2052
.LBB183_2223:
	v_add_f32_e64 v4, 0x42800000, |v1|
	s_and_not1_b32 s6, s6, exec_lo
	s_delay_alu instid0(VALU_DEP_1) | instskip(NEXT) | instid1(VALU_DEP_1)
	v_and_b32_e32 v4, 0xff, v4
	v_cmp_ne_u32_e32 vcc_lo, 0, v4
	s_and_b32 s11, vcc_lo, exec_lo
	s_delay_alu instid0(SALU_CYCLE_1)
	s_or_b32 s6, s6, s11
	s_or_b32 exec_lo, exec_lo, s7
	v_mov_b32_e32 v5, 0
	s_and_saveexec_b32 s7, s6
	s_cbranch_execnz .LBB183_2053
	s_branch .LBB183_2054
.LBB183_2224:
	s_and_not1_saveexec_b32 s6, s6
	s_cbranch_execz .LBB183_2159
.LBB183_2225:
	v_add_f32_e64 v1, 0x46000000, |v0|
	s_and_not1_b32 s5, s5, exec_lo
	s_delay_alu instid0(VALU_DEP_1) | instskip(NEXT) | instid1(VALU_DEP_1)
	v_and_b32_e32 v1, 0xff, v1
	v_cmp_ne_u32_e32 vcc_lo, 0, v1
	s_and_b32 s7, vcc_lo, exec_lo
	s_delay_alu instid0(SALU_CYCLE_1)
	s_or_b32 s5, s5, s7
	s_or_b32 exec_lo, exec_lo, s6
	v_mov_b32_e32 v4, 0
	s_and_saveexec_b32 s6, s5
	s_cbranch_execnz .LBB183_2160
	s_branch .LBB183_2161
.LBB183_2226:
	s_mov_b32 s3, 0
	s_or_b32 s10, s10, exec_lo
	s_trap 2
	s_branch .LBB183_2205
.LBB183_2227:
	s_and_not1_saveexec_b32 s5, s5
	s_cbranch_execz .LBB183_2171
.LBB183_2228:
	v_add_f32_e64 v1, 0x42800000, |v0|
	s_and_not1_b32 s4, s4, exec_lo
	s_delay_alu instid0(VALU_DEP_1) | instskip(NEXT) | instid1(VALU_DEP_1)
	v_and_b32_e32 v1, 0xff, v1
	v_cmp_ne_u32_e32 vcc_lo, 0, v1
	s_and_b32 s6, vcc_lo, exec_lo
	s_delay_alu instid0(SALU_CYCLE_1)
	s_or_b32 s4, s4, s6
	s_or_b32 exec_lo, exec_lo, s5
	v_mov_b32_e32 v4, 0
	s_and_saveexec_b32 s5, s4
	s_cbranch_execnz .LBB183_2172
	s_branch .LBB183_2173
	.section	.rodata,"a",@progbits
	.p2align	6, 0x0
	.amdhsa_kernel _ZN2at6native32elementwise_kernel_manual_unrollILi128ELi4EZNS0_15gpu_kernel_implIZZZNS0_12_GLOBAL__N_119launch_clamp_scalarERNS_18TensorIteratorBaseEN3c106ScalarES7_NS0_6detail11ClampLimitsEENKUlvE_clEvENKUlvE0_clEvEUlaE_EEvS5_RKT_EUlibE0_EEviT1_
		.amdhsa_group_segment_fixed_size 0
		.amdhsa_private_segment_fixed_size 0
		.amdhsa_kernarg_size 368
		.amdhsa_user_sgpr_count 2
		.amdhsa_user_sgpr_dispatch_ptr 0
		.amdhsa_user_sgpr_queue_ptr 0
		.amdhsa_user_sgpr_kernarg_segment_ptr 1
		.amdhsa_user_sgpr_dispatch_id 0
		.amdhsa_user_sgpr_kernarg_preload_length 0
		.amdhsa_user_sgpr_kernarg_preload_offset 0
		.amdhsa_user_sgpr_private_segment_size 0
		.amdhsa_wavefront_size32 1
		.amdhsa_uses_dynamic_stack 0
		.amdhsa_enable_private_segment 0
		.amdhsa_system_sgpr_workgroup_id_x 1
		.amdhsa_system_sgpr_workgroup_id_y 0
		.amdhsa_system_sgpr_workgroup_id_z 0
		.amdhsa_system_sgpr_workgroup_info 0
		.amdhsa_system_vgpr_workitem_id 0
		.amdhsa_next_free_vgpr 18
		.amdhsa_next_free_sgpr 72
		.amdhsa_named_barrier_count 0
		.amdhsa_reserve_vcc 1
		.amdhsa_float_round_mode_32 0
		.amdhsa_float_round_mode_16_64 0
		.amdhsa_float_denorm_mode_32 3
		.amdhsa_float_denorm_mode_16_64 3
		.amdhsa_fp16_overflow 0
		.amdhsa_memory_ordered 1
		.amdhsa_forward_progress 1
		.amdhsa_inst_pref_size 255
		.amdhsa_round_robin_scheduling 0
		.amdhsa_exception_fp_ieee_invalid_op 0
		.amdhsa_exception_fp_denorm_src 0
		.amdhsa_exception_fp_ieee_div_zero 0
		.amdhsa_exception_fp_ieee_overflow 0
		.amdhsa_exception_fp_ieee_underflow 0
		.amdhsa_exception_fp_ieee_inexact 0
		.amdhsa_exception_int_div_zero 0
	.end_amdhsa_kernel
	.section	.text._ZN2at6native32elementwise_kernel_manual_unrollILi128ELi4EZNS0_15gpu_kernel_implIZZZNS0_12_GLOBAL__N_119launch_clamp_scalarERNS_18TensorIteratorBaseEN3c106ScalarES7_NS0_6detail11ClampLimitsEENKUlvE_clEvENKUlvE0_clEvEUlaE_EEvS5_RKT_EUlibE0_EEviT1_,"axG",@progbits,_ZN2at6native32elementwise_kernel_manual_unrollILi128ELi4EZNS0_15gpu_kernel_implIZZZNS0_12_GLOBAL__N_119launch_clamp_scalarERNS_18TensorIteratorBaseEN3c106ScalarES7_NS0_6detail11ClampLimitsEENKUlvE_clEvENKUlvE0_clEvEUlaE_EEvS5_RKT_EUlibE0_EEviT1_,comdat
.Lfunc_end183:
	.size	_ZN2at6native32elementwise_kernel_manual_unrollILi128ELi4EZNS0_15gpu_kernel_implIZZZNS0_12_GLOBAL__N_119launch_clamp_scalarERNS_18TensorIteratorBaseEN3c106ScalarES7_NS0_6detail11ClampLimitsEENKUlvE_clEvENKUlvE0_clEvEUlaE_EEvS5_RKT_EUlibE0_EEviT1_, .Lfunc_end183-_ZN2at6native32elementwise_kernel_manual_unrollILi128ELi4EZNS0_15gpu_kernel_implIZZZNS0_12_GLOBAL__N_119launch_clamp_scalarERNS_18TensorIteratorBaseEN3c106ScalarES7_NS0_6detail11ClampLimitsEENKUlvE_clEvENKUlvE0_clEvEUlaE_EEvS5_RKT_EUlibE0_EEviT1_
                                        ; -- End function
	.set _ZN2at6native32elementwise_kernel_manual_unrollILi128ELi4EZNS0_15gpu_kernel_implIZZZNS0_12_GLOBAL__N_119launch_clamp_scalarERNS_18TensorIteratorBaseEN3c106ScalarES7_NS0_6detail11ClampLimitsEENKUlvE_clEvENKUlvE0_clEvEUlaE_EEvS5_RKT_EUlibE0_EEviT1_.num_vgpr, 18
	.set _ZN2at6native32elementwise_kernel_manual_unrollILi128ELi4EZNS0_15gpu_kernel_implIZZZNS0_12_GLOBAL__N_119launch_clamp_scalarERNS_18TensorIteratorBaseEN3c106ScalarES7_NS0_6detail11ClampLimitsEENKUlvE_clEvENKUlvE0_clEvEUlaE_EEvS5_RKT_EUlibE0_EEviT1_.num_agpr, 0
	.set _ZN2at6native32elementwise_kernel_manual_unrollILi128ELi4EZNS0_15gpu_kernel_implIZZZNS0_12_GLOBAL__N_119launch_clamp_scalarERNS_18TensorIteratorBaseEN3c106ScalarES7_NS0_6detail11ClampLimitsEENKUlvE_clEvENKUlvE0_clEvEUlaE_EEvS5_RKT_EUlibE0_EEviT1_.numbered_sgpr, 72
	.set _ZN2at6native32elementwise_kernel_manual_unrollILi128ELi4EZNS0_15gpu_kernel_implIZZZNS0_12_GLOBAL__N_119launch_clamp_scalarERNS_18TensorIteratorBaseEN3c106ScalarES7_NS0_6detail11ClampLimitsEENKUlvE_clEvENKUlvE0_clEvEUlaE_EEvS5_RKT_EUlibE0_EEviT1_.num_named_barrier, 0
	.set _ZN2at6native32elementwise_kernel_manual_unrollILi128ELi4EZNS0_15gpu_kernel_implIZZZNS0_12_GLOBAL__N_119launch_clamp_scalarERNS_18TensorIteratorBaseEN3c106ScalarES7_NS0_6detail11ClampLimitsEENKUlvE_clEvENKUlvE0_clEvEUlaE_EEvS5_RKT_EUlibE0_EEviT1_.private_seg_size, 0
	.set _ZN2at6native32elementwise_kernel_manual_unrollILi128ELi4EZNS0_15gpu_kernel_implIZZZNS0_12_GLOBAL__N_119launch_clamp_scalarERNS_18TensorIteratorBaseEN3c106ScalarES7_NS0_6detail11ClampLimitsEENKUlvE_clEvENKUlvE0_clEvEUlaE_EEvS5_RKT_EUlibE0_EEviT1_.uses_vcc, 1
	.set _ZN2at6native32elementwise_kernel_manual_unrollILi128ELi4EZNS0_15gpu_kernel_implIZZZNS0_12_GLOBAL__N_119launch_clamp_scalarERNS_18TensorIteratorBaseEN3c106ScalarES7_NS0_6detail11ClampLimitsEENKUlvE_clEvENKUlvE0_clEvEUlaE_EEvS5_RKT_EUlibE0_EEviT1_.uses_flat_scratch, 0
	.set _ZN2at6native32elementwise_kernel_manual_unrollILi128ELi4EZNS0_15gpu_kernel_implIZZZNS0_12_GLOBAL__N_119launch_clamp_scalarERNS_18TensorIteratorBaseEN3c106ScalarES7_NS0_6detail11ClampLimitsEENKUlvE_clEvENKUlvE0_clEvEUlaE_EEvS5_RKT_EUlibE0_EEviT1_.has_dyn_sized_stack, 0
	.set _ZN2at6native32elementwise_kernel_manual_unrollILi128ELi4EZNS0_15gpu_kernel_implIZZZNS0_12_GLOBAL__N_119launch_clamp_scalarERNS_18TensorIteratorBaseEN3c106ScalarES7_NS0_6detail11ClampLimitsEENKUlvE_clEvENKUlvE0_clEvEUlaE_EEvS5_RKT_EUlibE0_EEviT1_.has_recursion, 0
	.set _ZN2at6native32elementwise_kernel_manual_unrollILi128ELi4EZNS0_15gpu_kernel_implIZZZNS0_12_GLOBAL__N_119launch_clamp_scalarERNS_18TensorIteratorBaseEN3c106ScalarES7_NS0_6detail11ClampLimitsEENKUlvE_clEvENKUlvE0_clEvEUlaE_EEvS5_RKT_EUlibE0_EEviT1_.has_indirect_call, 0
	.section	.AMDGPU.csdata,"",@progbits
; Kernel info:
; codeLenInByte = 44224
; TotalNumSgprs: 74
; NumVgprs: 18
; ScratchSize: 0
; MemoryBound: 1
; FloatMode: 240
; IeeeMode: 1
; LDSByteSize: 0 bytes/workgroup (compile time only)
; SGPRBlocks: 0
; VGPRBlocks: 1
; NumSGPRsForWavesPerEU: 74
; NumVGPRsForWavesPerEU: 18
; NamedBarCnt: 0
; Occupancy: 16
; WaveLimiterHint : 1
; COMPUTE_PGM_RSRC2:SCRATCH_EN: 0
; COMPUTE_PGM_RSRC2:USER_SGPR: 2
; COMPUTE_PGM_RSRC2:TRAP_HANDLER: 0
; COMPUTE_PGM_RSRC2:TGID_X_EN: 1
; COMPUTE_PGM_RSRC2:TGID_Y_EN: 0
; COMPUTE_PGM_RSRC2:TGID_Z_EN: 0
; COMPUTE_PGM_RSRC2:TIDIG_COMP_CNT: 0
	.section	.text._ZN2at6native29vectorized_elementwise_kernelILi16EZZZNS0_12_GLOBAL__N_119launch_clamp_scalarERNS_18TensorIteratorBaseEN3c106ScalarES6_NS0_6detail11ClampLimitsEENKUlvE_clEvENKUlvE1_clEvEUliE_St5arrayIPcLm2EEEEviT0_T1_,"axG",@progbits,_ZN2at6native29vectorized_elementwise_kernelILi16EZZZNS0_12_GLOBAL__N_119launch_clamp_scalarERNS_18TensorIteratorBaseEN3c106ScalarES6_NS0_6detail11ClampLimitsEENKUlvE_clEvENKUlvE1_clEvEUliE_St5arrayIPcLm2EEEEviT0_T1_,comdat
	.globl	_ZN2at6native29vectorized_elementwise_kernelILi16EZZZNS0_12_GLOBAL__N_119launch_clamp_scalarERNS_18TensorIteratorBaseEN3c106ScalarES6_NS0_6detail11ClampLimitsEENKUlvE_clEvENKUlvE1_clEvEUliE_St5arrayIPcLm2EEEEviT0_T1_ ; -- Begin function _ZN2at6native29vectorized_elementwise_kernelILi16EZZZNS0_12_GLOBAL__N_119launch_clamp_scalarERNS_18TensorIteratorBaseEN3c106ScalarES6_NS0_6detail11ClampLimitsEENKUlvE_clEvENKUlvE1_clEvEUliE_St5arrayIPcLm2EEEEviT0_T1_
	.p2align	8
	.type	_ZN2at6native29vectorized_elementwise_kernelILi16EZZZNS0_12_GLOBAL__N_119launch_clamp_scalarERNS_18TensorIteratorBaseEN3c106ScalarES6_NS0_6detail11ClampLimitsEENKUlvE_clEvENKUlvE1_clEvEUliE_St5arrayIPcLm2EEEEviT0_T1_,@function
_ZN2at6native29vectorized_elementwise_kernelILi16EZZZNS0_12_GLOBAL__N_119launch_clamp_scalarERNS_18TensorIteratorBaseEN3c106ScalarES6_NS0_6detail11ClampLimitsEENKUlvE_clEvENKUlvE1_clEvEUliE_St5arrayIPcLm2EEEEviT0_T1_: ; @_ZN2at6native29vectorized_elementwise_kernelILi16EZZZNS0_12_GLOBAL__N_119launch_clamp_scalarERNS_18TensorIteratorBaseEN3c106ScalarES6_NS0_6detail11ClampLimitsEENKUlvE_clEvENKUlvE1_clEvEUliE_St5arrayIPcLm2EEEEviT0_T1_
; %bb.0:
	s_load_b256 s[4:11], s[0:1], 0x0
	s_wait_xcnt 0x0
	s_bfe_u32 s0, ttmp6, 0x4000c
	s_and_b32 s1, ttmp6, 15
	s_add_co_i32 s0, s0, 1
	s_getreg_b32 s2, hwreg(HW_REG_IB_STS2, 6, 4)
	s_mul_i32 s0, ttmp9, s0
	s_mov_b32 s12, 0
	s_add_co_i32 s1, s1, s0
	s_cmp_eq_u32 s2, 0
	s_cselect_b32 s0, ttmp9, s1
	s_delay_alu instid0(SALU_CYCLE_1) | instskip(SKIP_3) | instid1(SALU_CYCLE_1)
	s_lshl_b32 s2, s0, 10
	s_mov_b32 s0, -1
	s_wait_kmcnt 0x0
	s_sub_co_i32 s4, s4, s2
	s_cmp_gt_i32 s4, 0x3ff
	s_cbranch_scc0 .LBB184_45
; %bb.1:
	s_ashr_i32 s3, s2, 31
	s_delay_alu instid0(SALU_CYCLE_1)
	s_lshl_b64 s[0:1], s[2:3], 2
	s_cmp_lt_i32 s5, 1
	s_add_nc_u64 s[14:15], s[10:11], s[0:1]
	global_load_b128 v[2:5], v0, s[14:15] scale_offset
	s_cbranch_scc1 .LBB184_4
; %bb.2:
	s_cmp_eq_u32 s5, 1
	s_cbranch_scc0 .LBB184_5
; %bb.3:
	s_wait_loadcnt 0x0
	v_min_i32_e32 v6, s6, v2
	s_branch .LBB184_6
.LBB184_4:
                                        ; implicit-def: $vgpr6
	s_mov_b32 s3, 0
	s_cbranch_execnz .LBB184_7
	s_branch .LBB184_8
.LBB184_5:
	s_mov_b32 s12, -1
                                        ; implicit-def: $vgpr6
.LBB184_6:
	s_mov_b32 s3, 0
	s_branch .LBB184_8
.LBB184_7:
	s_cmp_lg_u32 s5, 0
	s_mov_b32 s3, -1
	s_cselect_b32 s12, -1, 0
.LBB184_8:
	s_delay_alu instid0(SALU_CYCLE_1)
	s_and_not1_b32 vcc_lo, exec_lo, s12
	s_cbranch_vccz .LBB184_13
; %bb.9:
	s_and_not1_b32 vcc_lo, exec_lo, s3
	s_cbranch_vccz .LBB184_14
.LBB184_10:
	s_cmp_lt_i32 s5, 1
	s_mov_b32 s3, 0
	s_cbranch_scc1 .LBB184_15
.LBB184_11:
	s_cmp_eq_u32 s5, 1
	s_cbranch_scc0 .LBB184_16
; %bb.12:
	s_wait_loadcnt 0x0
	v_min_i32_e32 v7, s6, v3
	s_mov_b32 s12, 0
	s_branch .LBB184_17
.LBB184_13:
	s_wait_loadcnt 0x0
	v_maxmin_i32 v6, v2, s6, s7
	s_cbranch_execnz .LBB184_10
.LBB184_14:
	s_wait_loadcnt 0x0
	v_max_i32_e32 v6, s6, v2
	s_cmp_lt_i32 s5, 1
	s_mov_b32 s3, 0
	s_cbranch_scc0 .LBB184_11
.LBB184_15:
	s_mov_b32 s12, 0
	s_cbranch_execnz .LBB184_18
	s_branch .LBB184_19
.LBB184_16:
	s_mov_b32 s12, -1
.LBB184_17:
	s_branch .LBB184_19
.LBB184_18:
	s_cmp_lg_u32 s5, 0
	s_mov_b32 s3, -1
	s_cselect_b32 s12, -1, 0
.LBB184_19:
	s_delay_alu instid0(SALU_CYCLE_1)
	s_and_not1_b32 vcc_lo, exec_lo, s12
	s_cbranch_vccz .LBB184_24
; %bb.20:
	s_and_not1_b32 vcc_lo, exec_lo, s3
	s_cbranch_vccz .LBB184_25
.LBB184_21:
	s_cmp_lt_i32 s5, 1
	s_mov_b32 s3, 0
	s_cbranch_scc1 .LBB184_26
.LBB184_22:
	s_cmp_eq_u32 s5, 1
	s_cbranch_scc0 .LBB184_27
; %bb.23:
	s_wait_loadcnt 0x0
	v_min_i32_e32 v8, s6, v4
	s_mov_b32 s12, 0
	s_branch .LBB184_28
.LBB184_24:
	s_wait_loadcnt 0x0
	v_maxmin_i32 v7, v3, s6, s7
	s_cbranch_execnz .LBB184_21
.LBB184_25:
	s_wait_loadcnt 0x0
	v_max_i32_e32 v7, s6, v3
	s_cmp_lt_i32 s5, 1
	s_mov_b32 s3, 0
	s_cbranch_scc0 .LBB184_22
.LBB184_26:
	s_mov_b32 s12, 0
	s_cbranch_execnz .LBB184_29
	s_branch .LBB184_30
.LBB184_27:
	s_mov_b32 s12, -1
.LBB184_28:
	s_branch .LBB184_30
.LBB184_29:
	s_cmp_lg_u32 s5, 0
	s_mov_b32 s3, -1
	s_cselect_b32 s12, -1, 0
.LBB184_30:
	;; [unrolled: 41-line block ×3, first 2 shown]
	s_delay_alu instid0(SALU_CYCLE_1)
	s_and_not1_b32 vcc_lo, exec_lo, s12
	s_cbranch_vccz .LBB184_58
; %bb.42:
	s_and_not1_b32 vcc_lo, exec_lo, s3
	s_cbranch_vccnz .LBB184_44
.LBB184_43:
	s_wait_loadcnt 0x0
	v_max_i32_e32 v9, s6, v5
.LBB184_44:
	s_add_nc_u64 s[12:13], s[8:9], s[0:1]
	s_mov_b32 s0, 0
	global_store_b128 v0, v[6:9], s[12:13] scale_offset
.LBB184_45:
	s_and_b32 vcc_lo, exec_lo, s0
	s_cbranch_vccz .LBB184_109
; %bb.46:
	v_cmp_gt_i32_e64 s0, s4, v0
	s_wait_loadcnt 0x0
	v_dual_mov_b32 v2, 0 :: v_dual_bitop2_b32 v8, s2, v0 bitop3:0x54
	v_or_b32_e32 v9, 0x100, v0
	v_dual_mov_b32 v6, 0 :: v_dual_mov_b32 v5, 0
	v_dual_mov_b32 v10, 0 :: v_dual_mov_b32 v11, 0
	s_and_saveexec_b32 s1, s0
	s_cbranch_execz .LBB184_54
; %bb.47:
	global_load_b32 v11, v8, s[10:11] scale_offset
	v_or_b32_e32 v1, 0x100, v0
	v_dual_mov_b32 v10, 0 :: v_dual_mov_b32 v5, 0
	v_mov_b32_e32 v6, 0
	s_mov_b32 s3, exec_lo
	s_wait_xcnt 0x0
	v_cmpx_gt_u32_e64 s4, v1
	s_cbranch_execz .LBB184_53
; %bb.48:
	v_dual_mov_b32 v5, 0 :: v_dual_add_nc_u32 v4, s2, v0
	v_or_b32_e32 v1, 0x200, v0
	v_mov_b32_e32 v6, 0
	s_mov_b32 s12, exec_lo
	global_load_b32 v10, v4, s[10:11] offset:1024 scale_offset
	s_wait_xcnt 0x0
	v_cmpx_gt_u32_e64 s4, v1
	s_cbranch_execz .LBB184_52
; %bb.49:
	v_lshl_add_u64 v[6:7], v[4:5], 2, s[10:11]
	v_or_b32_e32 v3, 0x300, v0
	s_mov_b32 s10, exec_lo
	global_load_b32 v1, v[6:7], off offset:2048
	s_wait_xcnt 0x0
	v_cmpx_gt_u32_e64 s4, v3
	s_cbranch_execz .LBB184_51
; %bb.50:
	global_load_b32 v5, v[6:7], off offset:3072
.LBB184_51:
	s_wait_xcnt 0x0
	s_or_b32 exec_lo, exec_lo, s10
	s_wait_loadcnt 0x0
	v_dual_mov_b32 v6, v5 :: v_dual_mov_b32 v5, v1
.LBB184_52:
	s_or_b32 exec_lo, exec_lo, s12
.LBB184_53:
	s_delay_alu instid0(SALU_CYCLE_1)
	s_or_b32 exec_lo, exec_lo, s3
.LBB184_54:
	s_delay_alu instid0(SALU_CYCLE_1)
	s_or_b32 exec_lo, exec_lo, s1
	v_dual_mov_b32 v1, v2 :: v_dual_mov_b32 v4, v2
	v_mov_b32_e32 v3, v2
	s_and_saveexec_b32 s1, s0
	s_cbranch_execz .LBB184_67
; %bb.55:
	s_cmp_lt_i32 s5, 1
	s_mov_b32 s3, 0
	s_cbranch_scc1 .LBB184_59
; %bb.56:
	s_cmp_eq_u32 s5, 1
	s_cbranch_scc0 .LBB184_60
; %bb.57:
	s_wait_loadcnt 0x0
	v_min_i32_e32 v2, s6, v11
	s_mov_b32 s10, 0
	s_branch .LBB184_61
.LBB184_58:
	s_wait_loadcnt 0x0
	v_maxmin_i32 v9, v5, s6, s7
	s_cbranch_execz .LBB184_43
	s_branch .LBB184_44
.LBB184_59:
	s_mov_b32 s10, 0
                                        ; implicit-def: $vgpr2
	s_cbranch_execnz .LBB184_62
	s_branch .LBB184_63
.LBB184_60:
	s_mov_b32 s10, -1
                                        ; implicit-def: $vgpr2
.LBB184_61:
	s_branch .LBB184_63
.LBB184_62:
	s_cmp_lg_u32 s5, 0
	s_mov_b32 s3, -1
	s_cselect_b32 s10, -1, 0
.LBB184_63:
	s_delay_alu instid0(SALU_CYCLE_1)
	s_and_not1_b32 vcc_lo, exec_lo, s10
	s_cbranch_vccz .LBB184_71
; %bb.64:
	s_and_not1_b32 vcc_lo, exec_lo, s3
	s_cbranch_vccnz .LBB184_66
.LBB184_65:
	s_wait_loadcnt 0x0
	v_max_i32_e32 v2, s6, v11
.LBB184_66:
	v_mov_b32_e32 v1, 0
	s_delay_alu instid0(VALU_DEP_1)
	v_dual_mov_b32 v4, v1 :: v_dual_mov_b32 v3, v1
.LBB184_67:
	s_or_b32 exec_lo, exec_lo, s1
	s_delay_alu instid0(SALU_CYCLE_1)
	s_mov_b32 s1, exec_lo
	v_cmpx_gt_i32_e64 s4, v9
	s_cbranch_execz .LBB184_79
; %bb.68:
	s_cmp_lt_i32 s5, 1
	s_mov_b32 s3, 0
	s_cbranch_scc1 .LBB184_72
; %bb.69:
	s_cmp_eq_u32 s5, 1
	s_cbranch_scc0 .LBB184_73
; %bb.70:
	s_wait_loadcnt 0x0
	v_min_i32_e32 v1, s6, v10
	s_mov_b32 s10, 0
	s_branch .LBB184_74
.LBB184_71:
	s_wait_loadcnt 0x0
	v_maxmin_i32 v2, v11, s6, s7
	s_cbranch_execz .LBB184_65
	s_branch .LBB184_66
.LBB184_72:
	s_mov_b32 s10, 0
                                        ; implicit-def: $vgpr1
	s_cbranch_execnz .LBB184_75
	s_branch .LBB184_76
.LBB184_73:
	s_mov_b32 s10, -1
                                        ; implicit-def: $vgpr1
.LBB184_74:
	s_branch .LBB184_76
.LBB184_75:
	s_cmp_lg_u32 s5, 0
	s_mov_b32 s3, -1
	s_cselect_b32 s10, -1, 0
.LBB184_76:
	s_delay_alu instid0(SALU_CYCLE_1)
	s_and_not1_b32 vcc_lo, exec_lo, s10
	s_cbranch_vccz .LBB184_83
; %bb.77:
	s_and_not1_b32 vcc_lo, exec_lo, s3
	s_cbranch_vccnz .LBB184_79
.LBB184_78:
	s_wait_loadcnt 0x0
	v_max_i32_e32 v1, s6, v10
.LBB184_79:
	s_or_b32 exec_lo, exec_lo, s1
	v_or_b32_e32 v7, 0x200, v0
	s_mov_b32 s1, exec_lo
	s_delay_alu instid0(VALU_DEP_1)
	v_cmpx_gt_i32_e64 s4, v7
	s_cbranch_execz .LBB184_91
; %bb.80:
	s_cmp_lt_i32 s5, 1
	s_mov_b32 s3, 0
	s_cbranch_scc1 .LBB184_84
; %bb.81:
	s_cmp_eq_u32 s5, 1
	s_cbranch_scc0 .LBB184_85
; %bb.82:
	v_min_i32_e32 v4, s6, v5
	s_mov_b32 s10, 0
	s_branch .LBB184_86
.LBB184_83:
	s_wait_loadcnt 0x0
	v_maxmin_i32 v1, v10, s6, s7
	s_cbranch_execz .LBB184_78
	s_branch .LBB184_79
.LBB184_84:
	s_mov_b32 s10, 0
                                        ; implicit-def: $vgpr4
	s_cbranch_execnz .LBB184_87
	s_branch .LBB184_88
.LBB184_85:
	s_mov_b32 s10, -1
                                        ; implicit-def: $vgpr4
.LBB184_86:
	s_branch .LBB184_88
.LBB184_87:
	s_cmp_lg_u32 s5, 0
	s_mov_b32 s3, -1
	s_cselect_b32 s10, -1, 0
.LBB184_88:
	s_delay_alu instid0(SALU_CYCLE_1)
	s_and_not1_b32 vcc_lo, exec_lo, s10
	s_cbranch_vccz .LBB184_95
; %bb.89:
	s_and_not1_b32 vcc_lo, exec_lo, s3
	s_cbranch_vccnz .LBB184_91
.LBB184_90:
	v_max_i32_e32 v4, s6, v5
.LBB184_91:
	s_or_b32 exec_lo, exec_lo, s1
	v_or_b32_e32 v5, 0x300, v0
	s_mov_b32 s1, exec_lo
	s_delay_alu instid0(VALU_DEP_1)
	v_cmpx_gt_i32_e64 s4, v5
	s_cbranch_execz .LBB184_103
; %bb.92:
	s_cmp_lt_i32 s5, 1
	s_mov_b32 s3, 0
	s_cbranch_scc1 .LBB184_96
; %bb.93:
	s_cmp_eq_u32 s5, 1
	s_cbranch_scc0 .LBB184_97
; %bb.94:
	v_min_i32_e32 v3, s6, v6
	s_mov_b32 s10, 0
	s_branch .LBB184_98
.LBB184_95:
	v_maxmin_i32 v4, v5, s6, s7
	s_cbranch_execz .LBB184_90
	s_branch .LBB184_91
.LBB184_96:
	s_mov_b32 s10, 0
                                        ; implicit-def: $vgpr3
	s_cbranch_execnz .LBB184_99
	s_branch .LBB184_100
.LBB184_97:
	s_mov_b32 s10, -1
                                        ; implicit-def: $vgpr3
.LBB184_98:
	s_branch .LBB184_100
.LBB184_99:
	s_cmp_lg_u32 s5, 0
	s_mov_b32 s3, -1
	s_cselect_b32 s10, -1, 0
.LBB184_100:
	s_delay_alu instid0(SALU_CYCLE_1)
	s_and_not1_b32 vcc_lo, exec_lo, s10
	s_cbranch_vccz .LBB184_112
; %bb.101:
	s_and_not1_b32 vcc_lo, exec_lo, s3
	s_cbranch_vccnz .LBB184_103
.LBB184_102:
	v_max_i32_e32 v3, s6, v6
.LBB184_103:
	s_or_b32 exec_lo, exec_lo, s1
	s_and_saveexec_b32 s1, s0
	s_delay_alu instid0(SALU_CYCLE_1)
	s_xor_b32 s0, exec_lo, s1
	s_cbranch_execz .LBB184_105
; %bb.104:
	v_mov_b32_e32 v0, v9
	global_store_b32 v8, v2, s[8:9] scale_offset
.LBB184_105:
	s_wait_xcnt 0x0
	s_or_b32 exec_lo, exec_lo, s0
	s_delay_alu instid0(SALU_CYCLE_1)
	s_mov_b32 s0, exec_lo
	v_cmpx_gt_i32_e64 s4, v0
	s_cbranch_execnz .LBB184_110
; %bb.106:
	s_or_b32 exec_lo, exec_lo, s0
	s_delay_alu instid0(SALU_CYCLE_1)
	s_mov_b32 s0, exec_lo
	v_cmpx_gt_i32_e64 s4, v0
	s_cbranch_execnz .LBB184_111
.LBB184_107:
	s_or_b32 exec_lo, exec_lo, s0
	s_delay_alu instid0(SALU_CYCLE_1)
	s_mov_b32 s0, exec_lo
	v_cmpx_gt_i32_e64 s4, v0
	s_cbranch_execz .LBB184_109
.LBB184_108:
	v_add_nc_u32_e32 v0, s2, v0
	global_store_b32 v0, v3, s[8:9] scale_offset
.LBB184_109:
	s_endpgm
.LBB184_110:
	v_add_nc_u32_e32 v2, s2, v0
	v_add_nc_u32_e32 v0, 0x100, v0
	global_store_b32 v2, v1, s[8:9] scale_offset
	s_wait_xcnt 0x0
	s_or_b32 exec_lo, exec_lo, s0
	s_delay_alu instid0(SALU_CYCLE_1)
	s_mov_b32 s0, exec_lo
	v_cmpx_gt_i32_e64 s4, v0
	s_cbranch_execz .LBB184_107
.LBB184_111:
	v_add_nc_u32_e32 v1, s2, v0
	v_add_nc_u32_e32 v0, 0x100, v0
	global_store_b32 v1, v4, s[8:9] scale_offset
	s_wait_xcnt 0x0
	s_or_b32 exec_lo, exec_lo, s0
	s_delay_alu instid0(SALU_CYCLE_1)
	s_mov_b32 s0, exec_lo
	v_cmpx_gt_i32_e64 s4, v0
	s_cbranch_execnz .LBB184_108
	s_branch .LBB184_109
.LBB184_112:
	v_maxmin_i32 v3, v6, s6, s7
	s_cbranch_execz .LBB184_102
	s_branch .LBB184_103
	.section	.rodata,"a",@progbits
	.p2align	6, 0x0
	.amdhsa_kernel _ZN2at6native29vectorized_elementwise_kernelILi16EZZZNS0_12_GLOBAL__N_119launch_clamp_scalarERNS_18TensorIteratorBaseEN3c106ScalarES6_NS0_6detail11ClampLimitsEENKUlvE_clEvENKUlvE1_clEvEUliE_St5arrayIPcLm2EEEEviT0_T1_
		.amdhsa_group_segment_fixed_size 0
		.amdhsa_private_segment_fixed_size 0
		.amdhsa_kernarg_size 32
		.amdhsa_user_sgpr_count 2
		.amdhsa_user_sgpr_dispatch_ptr 0
		.amdhsa_user_sgpr_queue_ptr 0
		.amdhsa_user_sgpr_kernarg_segment_ptr 1
		.amdhsa_user_sgpr_dispatch_id 0
		.amdhsa_user_sgpr_kernarg_preload_length 0
		.amdhsa_user_sgpr_kernarg_preload_offset 0
		.amdhsa_user_sgpr_private_segment_size 0
		.amdhsa_wavefront_size32 1
		.amdhsa_uses_dynamic_stack 0
		.amdhsa_enable_private_segment 0
		.amdhsa_system_sgpr_workgroup_id_x 1
		.amdhsa_system_sgpr_workgroup_id_y 0
		.amdhsa_system_sgpr_workgroup_id_z 0
		.amdhsa_system_sgpr_workgroup_info 0
		.amdhsa_system_vgpr_workitem_id 0
		.amdhsa_next_free_vgpr 12
		.amdhsa_next_free_sgpr 16
		.amdhsa_named_barrier_count 0
		.amdhsa_reserve_vcc 1
		.amdhsa_float_round_mode_32 0
		.amdhsa_float_round_mode_16_64 0
		.amdhsa_float_denorm_mode_32 3
		.amdhsa_float_denorm_mode_16_64 3
		.amdhsa_fp16_overflow 0
		.amdhsa_memory_ordered 1
		.amdhsa_forward_progress 1
		.amdhsa_inst_pref_size 14
		.amdhsa_round_robin_scheduling 0
		.amdhsa_exception_fp_ieee_invalid_op 0
		.amdhsa_exception_fp_denorm_src 0
		.amdhsa_exception_fp_ieee_div_zero 0
		.amdhsa_exception_fp_ieee_overflow 0
		.amdhsa_exception_fp_ieee_underflow 0
		.amdhsa_exception_fp_ieee_inexact 0
		.amdhsa_exception_int_div_zero 0
	.end_amdhsa_kernel
	.section	.text._ZN2at6native29vectorized_elementwise_kernelILi16EZZZNS0_12_GLOBAL__N_119launch_clamp_scalarERNS_18TensorIteratorBaseEN3c106ScalarES6_NS0_6detail11ClampLimitsEENKUlvE_clEvENKUlvE1_clEvEUliE_St5arrayIPcLm2EEEEviT0_T1_,"axG",@progbits,_ZN2at6native29vectorized_elementwise_kernelILi16EZZZNS0_12_GLOBAL__N_119launch_clamp_scalarERNS_18TensorIteratorBaseEN3c106ScalarES6_NS0_6detail11ClampLimitsEENKUlvE_clEvENKUlvE1_clEvEUliE_St5arrayIPcLm2EEEEviT0_T1_,comdat
.Lfunc_end184:
	.size	_ZN2at6native29vectorized_elementwise_kernelILi16EZZZNS0_12_GLOBAL__N_119launch_clamp_scalarERNS_18TensorIteratorBaseEN3c106ScalarES6_NS0_6detail11ClampLimitsEENKUlvE_clEvENKUlvE1_clEvEUliE_St5arrayIPcLm2EEEEviT0_T1_, .Lfunc_end184-_ZN2at6native29vectorized_elementwise_kernelILi16EZZZNS0_12_GLOBAL__N_119launch_clamp_scalarERNS_18TensorIteratorBaseEN3c106ScalarES6_NS0_6detail11ClampLimitsEENKUlvE_clEvENKUlvE1_clEvEUliE_St5arrayIPcLm2EEEEviT0_T1_
                                        ; -- End function
	.set _ZN2at6native29vectorized_elementwise_kernelILi16EZZZNS0_12_GLOBAL__N_119launch_clamp_scalarERNS_18TensorIteratorBaseEN3c106ScalarES6_NS0_6detail11ClampLimitsEENKUlvE_clEvENKUlvE1_clEvEUliE_St5arrayIPcLm2EEEEviT0_T1_.num_vgpr, 12
	.set _ZN2at6native29vectorized_elementwise_kernelILi16EZZZNS0_12_GLOBAL__N_119launch_clamp_scalarERNS_18TensorIteratorBaseEN3c106ScalarES6_NS0_6detail11ClampLimitsEENKUlvE_clEvENKUlvE1_clEvEUliE_St5arrayIPcLm2EEEEviT0_T1_.num_agpr, 0
	.set _ZN2at6native29vectorized_elementwise_kernelILi16EZZZNS0_12_GLOBAL__N_119launch_clamp_scalarERNS_18TensorIteratorBaseEN3c106ScalarES6_NS0_6detail11ClampLimitsEENKUlvE_clEvENKUlvE1_clEvEUliE_St5arrayIPcLm2EEEEviT0_T1_.numbered_sgpr, 16
	.set _ZN2at6native29vectorized_elementwise_kernelILi16EZZZNS0_12_GLOBAL__N_119launch_clamp_scalarERNS_18TensorIteratorBaseEN3c106ScalarES6_NS0_6detail11ClampLimitsEENKUlvE_clEvENKUlvE1_clEvEUliE_St5arrayIPcLm2EEEEviT0_T1_.num_named_barrier, 0
	.set _ZN2at6native29vectorized_elementwise_kernelILi16EZZZNS0_12_GLOBAL__N_119launch_clamp_scalarERNS_18TensorIteratorBaseEN3c106ScalarES6_NS0_6detail11ClampLimitsEENKUlvE_clEvENKUlvE1_clEvEUliE_St5arrayIPcLm2EEEEviT0_T1_.private_seg_size, 0
	.set _ZN2at6native29vectorized_elementwise_kernelILi16EZZZNS0_12_GLOBAL__N_119launch_clamp_scalarERNS_18TensorIteratorBaseEN3c106ScalarES6_NS0_6detail11ClampLimitsEENKUlvE_clEvENKUlvE1_clEvEUliE_St5arrayIPcLm2EEEEviT0_T1_.uses_vcc, 1
	.set _ZN2at6native29vectorized_elementwise_kernelILi16EZZZNS0_12_GLOBAL__N_119launch_clamp_scalarERNS_18TensorIteratorBaseEN3c106ScalarES6_NS0_6detail11ClampLimitsEENKUlvE_clEvENKUlvE1_clEvEUliE_St5arrayIPcLm2EEEEviT0_T1_.uses_flat_scratch, 0
	.set _ZN2at6native29vectorized_elementwise_kernelILi16EZZZNS0_12_GLOBAL__N_119launch_clamp_scalarERNS_18TensorIteratorBaseEN3c106ScalarES6_NS0_6detail11ClampLimitsEENKUlvE_clEvENKUlvE1_clEvEUliE_St5arrayIPcLm2EEEEviT0_T1_.has_dyn_sized_stack, 0
	.set _ZN2at6native29vectorized_elementwise_kernelILi16EZZZNS0_12_GLOBAL__N_119launch_clamp_scalarERNS_18TensorIteratorBaseEN3c106ScalarES6_NS0_6detail11ClampLimitsEENKUlvE_clEvENKUlvE1_clEvEUliE_St5arrayIPcLm2EEEEviT0_T1_.has_recursion, 0
	.set _ZN2at6native29vectorized_elementwise_kernelILi16EZZZNS0_12_GLOBAL__N_119launch_clamp_scalarERNS_18TensorIteratorBaseEN3c106ScalarES6_NS0_6detail11ClampLimitsEENKUlvE_clEvENKUlvE1_clEvEUliE_St5arrayIPcLm2EEEEviT0_T1_.has_indirect_call, 0
	.section	.AMDGPU.csdata,"",@progbits
; Kernel info:
; codeLenInByte = 1688
; TotalNumSgprs: 18
; NumVgprs: 12
; ScratchSize: 0
; MemoryBound: 0
; FloatMode: 240
; IeeeMode: 1
; LDSByteSize: 0 bytes/workgroup (compile time only)
; SGPRBlocks: 0
; VGPRBlocks: 0
; NumSGPRsForWavesPerEU: 18
; NumVGPRsForWavesPerEU: 12
; NamedBarCnt: 0
; Occupancy: 16
; WaveLimiterHint : 0
; COMPUTE_PGM_RSRC2:SCRATCH_EN: 0
; COMPUTE_PGM_RSRC2:USER_SGPR: 2
; COMPUTE_PGM_RSRC2:TRAP_HANDLER: 0
; COMPUTE_PGM_RSRC2:TGID_X_EN: 1
; COMPUTE_PGM_RSRC2:TGID_Y_EN: 0
; COMPUTE_PGM_RSRC2:TGID_Z_EN: 0
; COMPUTE_PGM_RSRC2:TIDIG_COMP_CNT: 0
	.section	.text._ZN2at6native29vectorized_elementwise_kernelILi8EZZZNS0_12_GLOBAL__N_119launch_clamp_scalarERNS_18TensorIteratorBaseEN3c106ScalarES6_NS0_6detail11ClampLimitsEENKUlvE_clEvENKUlvE1_clEvEUliE_St5arrayIPcLm2EEEEviT0_T1_,"axG",@progbits,_ZN2at6native29vectorized_elementwise_kernelILi8EZZZNS0_12_GLOBAL__N_119launch_clamp_scalarERNS_18TensorIteratorBaseEN3c106ScalarES6_NS0_6detail11ClampLimitsEENKUlvE_clEvENKUlvE1_clEvEUliE_St5arrayIPcLm2EEEEviT0_T1_,comdat
	.globl	_ZN2at6native29vectorized_elementwise_kernelILi8EZZZNS0_12_GLOBAL__N_119launch_clamp_scalarERNS_18TensorIteratorBaseEN3c106ScalarES6_NS0_6detail11ClampLimitsEENKUlvE_clEvENKUlvE1_clEvEUliE_St5arrayIPcLm2EEEEviT0_T1_ ; -- Begin function _ZN2at6native29vectorized_elementwise_kernelILi8EZZZNS0_12_GLOBAL__N_119launch_clamp_scalarERNS_18TensorIteratorBaseEN3c106ScalarES6_NS0_6detail11ClampLimitsEENKUlvE_clEvENKUlvE1_clEvEUliE_St5arrayIPcLm2EEEEviT0_T1_
	.p2align	8
	.type	_ZN2at6native29vectorized_elementwise_kernelILi8EZZZNS0_12_GLOBAL__N_119launch_clamp_scalarERNS_18TensorIteratorBaseEN3c106ScalarES6_NS0_6detail11ClampLimitsEENKUlvE_clEvENKUlvE1_clEvEUliE_St5arrayIPcLm2EEEEviT0_T1_,@function
_ZN2at6native29vectorized_elementwise_kernelILi8EZZZNS0_12_GLOBAL__N_119launch_clamp_scalarERNS_18TensorIteratorBaseEN3c106ScalarES6_NS0_6detail11ClampLimitsEENKUlvE_clEvENKUlvE1_clEvEUliE_St5arrayIPcLm2EEEEviT0_T1_: ; @_ZN2at6native29vectorized_elementwise_kernelILi8EZZZNS0_12_GLOBAL__N_119launch_clamp_scalarERNS_18TensorIteratorBaseEN3c106ScalarES6_NS0_6detail11ClampLimitsEENKUlvE_clEvENKUlvE1_clEvEUliE_St5arrayIPcLm2EEEEviT0_T1_
; %bb.0:
	s_load_b256 s[4:11], s[0:1], 0x0
	s_wait_xcnt 0x0
	s_bfe_u32 s0, ttmp6, 0x4000c
	s_and_b32 s1, ttmp6, 15
	s_add_co_i32 s0, s0, 1
	s_getreg_b32 s2, hwreg(HW_REG_IB_STS2, 6, 4)
	s_mul_i32 s0, ttmp9, s0
	s_mov_b32 s12, 0
	s_add_co_i32 s1, s1, s0
	s_cmp_eq_u32 s2, 0
	s_cselect_b32 s0, ttmp9, s1
	s_delay_alu instid0(SALU_CYCLE_1) | instskip(SKIP_3) | instid1(SALU_CYCLE_1)
	s_lshl_b32 s2, s0, 10
	s_mov_b32 s0, -1
	s_wait_kmcnt 0x0
	s_sub_co_i32 s4, s4, s2
	s_cmp_gt_i32 s4, 0x3ff
	s_cbranch_scc0 .LBB185_45
; %bb.1:
	s_ashr_i32 s3, s2, 31
	s_delay_alu instid0(SALU_CYCLE_1)
	s_lshl_b64 s[0:1], s[2:3], 2
	s_cmp_lt_i32 s5, 1
	s_add_nc_u64 s[14:15], s[10:11], s[0:1]
	global_load_b128 v[2:5], v0, s[14:15] scale_offset
	s_cbranch_scc1 .LBB185_4
; %bb.2:
	s_cmp_eq_u32 s5, 1
	s_cbranch_scc0 .LBB185_5
; %bb.3:
	s_wait_loadcnt 0x0
	v_min_i32_e32 v6, s6, v2
	s_branch .LBB185_6
.LBB185_4:
                                        ; implicit-def: $vgpr6
	s_mov_b32 s3, 0
	s_cbranch_execnz .LBB185_7
	s_branch .LBB185_8
.LBB185_5:
	s_mov_b32 s12, -1
                                        ; implicit-def: $vgpr6
.LBB185_6:
	s_mov_b32 s3, 0
	s_branch .LBB185_8
.LBB185_7:
	s_cmp_lg_u32 s5, 0
	s_mov_b32 s3, -1
	s_cselect_b32 s12, -1, 0
.LBB185_8:
	s_delay_alu instid0(SALU_CYCLE_1)
	s_and_not1_b32 vcc_lo, exec_lo, s12
	s_cbranch_vccz .LBB185_13
; %bb.9:
	s_and_not1_b32 vcc_lo, exec_lo, s3
	s_cbranch_vccz .LBB185_14
.LBB185_10:
	s_cmp_lt_i32 s5, 1
	s_mov_b32 s3, 0
	s_cbranch_scc1 .LBB185_15
.LBB185_11:
	s_cmp_eq_u32 s5, 1
	s_cbranch_scc0 .LBB185_16
; %bb.12:
	s_wait_loadcnt 0x0
	v_min_i32_e32 v7, s6, v3
	s_mov_b32 s12, 0
	s_branch .LBB185_17
.LBB185_13:
	s_wait_loadcnt 0x0
	v_maxmin_i32 v6, v2, s6, s7
	s_cbranch_execnz .LBB185_10
.LBB185_14:
	s_wait_loadcnt 0x0
	v_max_i32_e32 v6, s6, v2
	s_cmp_lt_i32 s5, 1
	s_mov_b32 s3, 0
	s_cbranch_scc0 .LBB185_11
.LBB185_15:
	s_mov_b32 s12, 0
	s_cbranch_execnz .LBB185_18
	s_branch .LBB185_19
.LBB185_16:
	s_mov_b32 s12, -1
.LBB185_17:
	s_branch .LBB185_19
.LBB185_18:
	s_cmp_lg_u32 s5, 0
	s_mov_b32 s3, -1
	s_cselect_b32 s12, -1, 0
.LBB185_19:
	s_delay_alu instid0(SALU_CYCLE_1)
	s_and_not1_b32 vcc_lo, exec_lo, s12
	s_cbranch_vccz .LBB185_24
; %bb.20:
	s_and_not1_b32 vcc_lo, exec_lo, s3
	s_cbranch_vccz .LBB185_25
.LBB185_21:
	s_cmp_lt_i32 s5, 1
	s_mov_b32 s3, 0
	s_cbranch_scc1 .LBB185_26
.LBB185_22:
	s_cmp_eq_u32 s5, 1
	s_cbranch_scc0 .LBB185_27
; %bb.23:
	s_wait_loadcnt 0x0
	v_min_i32_e32 v8, s6, v4
	s_mov_b32 s12, 0
	s_branch .LBB185_28
.LBB185_24:
	s_wait_loadcnt 0x0
	v_maxmin_i32 v7, v3, s6, s7
	s_cbranch_execnz .LBB185_21
.LBB185_25:
	s_wait_loadcnt 0x0
	v_max_i32_e32 v7, s6, v3
	s_cmp_lt_i32 s5, 1
	s_mov_b32 s3, 0
	s_cbranch_scc0 .LBB185_22
.LBB185_26:
	s_mov_b32 s12, 0
	s_cbranch_execnz .LBB185_29
	s_branch .LBB185_30
.LBB185_27:
	s_mov_b32 s12, -1
.LBB185_28:
	s_branch .LBB185_30
.LBB185_29:
	s_cmp_lg_u32 s5, 0
	s_mov_b32 s3, -1
	s_cselect_b32 s12, -1, 0
.LBB185_30:
	;; [unrolled: 41-line block ×3, first 2 shown]
	s_delay_alu instid0(SALU_CYCLE_1)
	s_and_not1_b32 vcc_lo, exec_lo, s12
	s_cbranch_vccz .LBB185_58
; %bb.42:
	s_and_not1_b32 vcc_lo, exec_lo, s3
	s_cbranch_vccnz .LBB185_44
.LBB185_43:
	s_wait_loadcnt 0x0
	v_max_i32_e32 v9, s6, v5
.LBB185_44:
	s_add_nc_u64 s[12:13], s[8:9], s[0:1]
	s_mov_b32 s0, 0
	global_store_b128 v0, v[6:9], s[12:13] scale_offset
.LBB185_45:
	s_and_b32 vcc_lo, exec_lo, s0
	s_cbranch_vccz .LBB185_109
; %bb.46:
	v_cmp_gt_i32_e64 s0, s4, v0
	s_wait_loadcnt 0x0
	v_dual_mov_b32 v2, 0 :: v_dual_bitop2_b32 v8, s2, v0 bitop3:0x54
	v_or_b32_e32 v9, 0x100, v0
	v_dual_mov_b32 v6, 0 :: v_dual_mov_b32 v5, 0
	v_dual_mov_b32 v10, 0 :: v_dual_mov_b32 v11, 0
	s_and_saveexec_b32 s1, s0
	s_cbranch_execz .LBB185_54
; %bb.47:
	global_load_b32 v11, v8, s[10:11] scale_offset
	v_or_b32_e32 v1, 0x100, v0
	v_dual_mov_b32 v10, 0 :: v_dual_mov_b32 v5, 0
	v_mov_b32_e32 v6, 0
	s_mov_b32 s3, exec_lo
	s_wait_xcnt 0x0
	v_cmpx_gt_u32_e64 s4, v1
	s_cbranch_execz .LBB185_53
; %bb.48:
	v_dual_mov_b32 v5, 0 :: v_dual_add_nc_u32 v4, s2, v0
	v_or_b32_e32 v1, 0x200, v0
	v_mov_b32_e32 v6, 0
	s_mov_b32 s12, exec_lo
	global_load_b32 v10, v4, s[10:11] offset:1024 scale_offset
	s_wait_xcnt 0x0
	v_cmpx_gt_u32_e64 s4, v1
	s_cbranch_execz .LBB185_52
; %bb.49:
	v_lshl_add_u64 v[6:7], v[4:5], 2, s[10:11]
	v_or_b32_e32 v3, 0x300, v0
	s_mov_b32 s10, exec_lo
	global_load_b32 v1, v[6:7], off offset:2048
	s_wait_xcnt 0x0
	v_cmpx_gt_u32_e64 s4, v3
	s_cbranch_execz .LBB185_51
; %bb.50:
	global_load_b32 v5, v[6:7], off offset:3072
.LBB185_51:
	s_wait_xcnt 0x0
	s_or_b32 exec_lo, exec_lo, s10
	s_wait_loadcnt 0x0
	v_dual_mov_b32 v6, v5 :: v_dual_mov_b32 v5, v1
.LBB185_52:
	s_or_b32 exec_lo, exec_lo, s12
.LBB185_53:
	s_delay_alu instid0(SALU_CYCLE_1)
	s_or_b32 exec_lo, exec_lo, s3
.LBB185_54:
	s_delay_alu instid0(SALU_CYCLE_1)
	s_or_b32 exec_lo, exec_lo, s1
	v_dual_mov_b32 v1, v2 :: v_dual_mov_b32 v4, v2
	v_mov_b32_e32 v3, v2
	s_and_saveexec_b32 s1, s0
	s_cbranch_execz .LBB185_67
; %bb.55:
	s_cmp_lt_i32 s5, 1
	s_mov_b32 s3, 0
	s_cbranch_scc1 .LBB185_59
; %bb.56:
	s_cmp_eq_u32 s5, 1
	s_cbranch_scc0 .LBB185_60
; %bb.57:
	s_wait_loadcnt 0x0
	v_min_i32_e32 v2, s6, v11
	s_mov_b32 s10, 0
	s_branch .LBB185_61
.LBB185_58:
	s_wait_loadcnt 0x0
	v_maxmin_i32 v9, v5, s6, s7
	s_cbranch_execz .LBB185_43
	s_branch .LBB185_44
.LBB185_59:
	s_mov_b32 s10, 0
                                        ; implicit-def: $vgpr2
	s_cbranch_execnz .LBB185_62
	s_branch .LBB185_63
.LBB185_60:
	s_mov_b32 s10, -1
                                        ; implicit-def: $vgpr2
.LBB185_61:
	s_branch .LBB185_63
.LBB185_62:
	s_cmp_lg_u32 s5, 0
	s_mov_b32 s3, -1
	s_cselect_b32 s10, -1, 0
.LBB185_63:
	s_delay_alu instid0(SALU_CYCLE_1)
	s_and_not1_b32 vcc_lo, exec_lo, s10
	s_cbranch_vccz .LBB185_71
; %bb.64:
	s_and_not1_b32 vcc_lo, exec_lo, s3
	s_cbranch_vccnz .LBB185_66
.LBB185_65:
	s_wait_loadcnt 0x0
	v_max_i32_e32 v2, s6, v11
.LBB185_66:
	v_mov_b32_e32 v1, 0
	s_delay_alu instid0(VALU_DEP_1)
	v_dual_mov_b32 v4, v1 :: v_dual_mov_b32 v3, v1
.LBB185_67:
	s_or_b32 exec_lo, exec_lo, s1
	s_delay_alu instid0(SALU_CYCLE_1)
	s_mov_b32 s1, exec_lo
	v_cmpx_gt_i32_e64 s4, v9
	s_cbranch_execz .LBB185_79
; %bb.68:
	s_cmp_lt_i32 s5, 1
	s_mov_b32 s3, 0
	s_cbranch_scc1 .LBB185_72
; %bb.69:
	s_cmp_eq_u32 s5, 1
	s_cbranch_scc0 .LBB185_73
; %bb.70:
	s_wait_loadcnt 0x0
	v_min_i32_e32 v1, s6, v10
	s_mov_b32 s10, 0
	s_branch .LBB185_74
.LBB185_71:
	s_wait_loadcnt 0x0
	v_maxmin_i32 v2, v11, s6, s7
	s_cbranch_execz .LBB185_65
	s_branch .LBB185_66
.LBB185_72:
	s_mov_b32 s10, 0
                                        ; implicit-def: $vgpr1
	s_cbranch_execnz .LBB185_75
	s_branch .LBB185_76
.LBB185_73:
	s_mov_b32 s10, -1
                                        ; implicit-def: $vgpr1
.LBB185_74:
	s_branch .LBB185_76
.LBB185_75:
	s_cmp_lg_u32 s5, 0
	s_mov_b32 s3, -1
	s_cselect_b32 s10, -1, 0
.LBB185_76:
	s_delay_alu instid0(SALU_CYCLE_1)
	s_and_not1_b32 vcc_lo, exec_lo, s10
	s_cbranch_vccz .LBB185_83
; %bb.77:
	s_and_not1_b32 vcc_lo, exec_lo, s3
	s_cbranch_vccnz .LBB185_79
.LBB185_78:
	s_wait_loadcnt 0x0
	v_max_i32_e32 v1, s6, v10
.LBB185_79:
	s_or_b32 exec_lo, exec_lo, s1
	v_or_b32_e32 v7, 0x200, v0
	s_mov_b32 s1, exec_lo
	s_delay_alu instid0(VALU_DEP_1)
	v_cmpx_gt_i32_e64 s4, v7
	s_cbranch_execz .LBB185_91
; %bb.80:
	s_cmp_lt_i32 s5, 1
	s_mov_b32 s3, 0
	s_cbranch_scc1 .LBB185_84
; %bb.81:
	s_cmp_eq_u32 s5, 1
	s_cbranch_scc0 .LBB185_85
; %bb.82:
	v_min_i32_e32 v4, s6, v5
	s_mov_b32 s10, 0
	s_branch .LBB185_86
.LBB185_83:
	s_wait_loadcnt 0x0
	v_maxmin_i32 v1, v10, s6, s7
	s_cbranch_execz .LBB185_78
	s_branch .LBB185_79
.LBB185_84:
	s_mov_b32 s10, 0
                                        ; implicit-def: $vgpr4
	s_cbranch_execnz .LBB185_87
	s_branch .LBB185_88
.LBB185_85:
	s_mov_b32 s10, -1
                                        ; implicit-def: $vgpr4
.LBB185_86:
	s_branch .LBB185_88
.LBB185_87:
	s_cmp_lg_u32 s5, 0
	s_mov_b32 s3, -1
	s_cselect_b32 s10, -1, 0
.LBB185_88:
	s_delay_alu instid0(SALU_CYCLE_1)
	s_and_not1_b32 vcc_lo, exec_lo, s10
	s_cbranch_vccz .LBB185_95
; %bb.89:
	s_and_not1_b32 vcc_lo, exec_lo, s3
	s_cbranch_vccnz .LBB185_91
.LBB185_90:
	v_max_i32_e32 v4, s6, v5
.LBB185_91:
	s_or_b32 exec_lo, exec_lo, s1
	v_or_b32_e32 v5, 0x300, v0
	s_mov_b32 s1, exec_lo
	s_delay_alu instid0(VALU_DEP_1)
	v_cmpx_gt_i32_e64 s4, v5
	s_cbranch_execz .LBB185_103
; %bb.92:
	s_cmp_lt_i32 s5, 1
	s_mov_b32 s3, 0
	s_cbranch_scc1 .LBB185_96
; %bb.93:
	s_cmp_eq_u32 s5, 1
	s_cbranch_scc0 .LBB185_97
; %bb.94:
	v_min_i32_e32 v3, s6, v6
	s_mov_b32 s10, 0
	s_branch .LBB185_98
.LBB185_95:
	v_maxmin_i32 v4, v5, s6, s7
	s_cbranch_execz .LBB185_90
	s_branch .LBB185_91
.LBB185_96:
	s_mov_b32 s10, 0
                                        ; implicit-def: $vgpr3
	s_cbranch_execnz .LBB185_99
	s_branch .LBB185_100
.LBB185_97:
	s_mov_b32 s10, -1
                                        ; implicit-def: $vgpr3
.LBB185_98:
	s_branch .LBB185_100
.LBB185_99:
	s_cmp_lg_u32 s5, 0
	s_mov_b32 s3, -1
	s_cselect_b32 s10, -1, 0
.LBB185_100:
	s_delay_alu instid0(SALU_CYCLE_1)
	s_and_not1_b32 vcc_lo, exec_lo, s10
	s_cbranch_vccz .LBB185_112
; %bb.101:
	s_and_not1_b32 vcc_lo, exec_lo, s3
	s_cbranch_vccnz .LBB185_103
.LBB185_102:
	v_max_i32_e32 v3, s6, v6
.LBB185_103:
	s_or_b32 exec_lo, exec_lo, s1
	s_and_saveexec_b32 s1, s0
	s_delay_alu instid0(SALU_CYCLE_1)
	s_xor_b32 s0, exec_lo, s1
	s_cbranch_execz .LBB185_105
; %bb.104:
	v_mov_b32_e32 v0, v9
	global_store_b32 v8, v2, s[8:9] scale_offset
.LBB185_105:
	s_wait_xcnt 0x0
	s_or_b32 exec_lo, exec_lo, s0
	s_delay_alu instid0(SALU_CYCLE_1)
	s_mov_b32 s0, exec_lo
	v_cmpx_gt_i32_e64 s4, v0
	s_cbranch_execnz .LBB185_110
; %bb.106:
	s_or_b32 exec_lo, exec_lo, s0
	s_delay_alu instid0(SALU_CYCLE_1)
	s_mov_b32 s0, exec_lo
	v_cmpx_gt_i32_e64 s4, v0
	s_cbranch_execnz .LBB185_111
.LBB185_107:
	s_or_b32 exec_lo, exec_lo, s0
	s_delay_alu instid0(SALU_CYCLE_1)
	s_mov_b32 s0, exec_lo
	v_cmpx_gt_i32_e64 s4, v0
	s_cbranch_execz .LBB185_109
.LBB185_108:
	v_add_nc_u32_e32 v0, s2, v0
	global_store_b32 v0, v3, s[8:9] scale_offset
.LBB185_109:
	s_endpgm
.LBB185_110:
	v_add_nc_u32_e32 v2, s2, v0
	v_add_nc_u32_e32 v0, 0x100, v0
	global_store_b32 v2, v1, s[8:9] scale_offset
	s_wait_xcnt 0x0
	s_or_b32 exec_lo, exec_lo, s0
	s_delay_alu instid0(SALU_CYCLE_1)
	s_mov_b32 s0, exec_lo
	v_cmpx_gt_i32_e64 s4, v0
	s_cbranch_execz .LBB185_107
.LBB185_111:
	v_add_nc_u32_e32 v1, s2, v0
	v_add_nc_u32_e32 v0, 0x100, v0
	global_store_b32 v1, v4, s[8:9] scale_offset
	s_wait_xcnt 0x0
	s_or_b32 exec_lo, exec_lo, s0
	s_delay_alu instid0(SALU_CYCLE_1)
	s_mov_b32 s0, exec_lo
	v_cmpx_gt_i32_e64 s4, v0
	s_cbranch_execnz .LBB185_108
	s_branch .LBB185_109
.LBB185_112:
	v_maxmin_i32 v3, v6, s6, s7
	s_cbranch_execz .LBB185_102
	s_branch .LBB185_103
	.section	.rodata,"a",@progbits
	.p2align	6, 0x0
	.amdhsa_kernel _ZN2at6native29vectorized_elementwise_kernelILi8EZZZNS0_12_GLOBAL__N_119launch_clamp_scalarERNS_18TensorIteratorBaseEN3c106ScalarES6_NS0_6detail11ClampLimitsEENKUlvE_clEvENKUlvE1_clEvEUliE_St5arrayIPcLm2EEEEviT0_T1_
		.amdhsa_group_segment_fixed_size 0
		.amdhsa_private_segment_fixed_size 0
		.amdhsa_kernarg_size 32
		.amdhsa_user_sgpr_count 2
		.amdhsa_user_sgpr_dispatch_ptr 0
		.amdhsa_user_sgpr_queue_ptr 0
		.amdhsa_user_sgpr_kernarg_segment_ptr 1
		.amdhsa_user_sgpr_dispatch_id 0
		.amdhsa_user_sgpr_kernarg_preload_length 0
		.amdhsa_user_sgpr_kernarg_preload_offset 0
		.amdhsa_user_sgpr_private_segment_size 0
		.amdhsa_wavefront_size32 1
		.amdhsa_uses_dynamic_stack 0
		.amdhsa_enable_private_segment 0
		.amdhsa_system_sgpr_workgroup_id_x 1
		.amdhsa_system_sgpr_workgroup_id_y 0
		.amdhsa_system_sgpr_workgroup_id_z 0
		.amdhsa_system_sgpr_workgroup_info 0
		.amdhsa_system_vgpr_workitem_id 0
		.amdhsa_next_free_vgpr 12
		.amdhsa_next_free_sgpr 16
		.amdhsa_named_barrier_count 0
		.amdhsa_reserve_vcc 1
		.amdhsa_float_round_mode_32 0
		.amdhsa_float_round_mode_16_64 0
		.amdhsa_float_denorm_mode_32 3
		.amdhsa_float_denorm_mode_16_64 3
		.amdhsa_fp16_overflow 0
		.amdhsa_memory_ordered 1
		.amdhsa_forward_progress 1
		.amdhsa_inst_pref_size 14
		.amdhsa_round_robin_scheduling 0
		.amdhsa_exception_fp_ieee_invalid_op 0
		.amdhsa_exception_fp_denorm_src 0
		.amdhsa_exception_fp_ieee_div_zero 0
		.amdhsa_exception_fp_ieee_overflow 0
		.amdhsa_exception_fp_ieee_underflow 0
		.amdhsa_exception_fp_ieee_inexact 0
		.amdhsa_exception_int_div_zero 0
	.end_amdhsa_kernel
	.section	.text._ZN2at6native29vectorized_elementwise_kernelILi8EZZZNS0_12_GLOBAL__N_119launch_clamp_scalarERNS_18TensorIteratorBaseEN3c106ScalarES6_NS0_6detail11ClampLimitsEENKUlvE_clEvENKUlvE1_clEvEUliE_St5arrayIPcLm2EEEEviT0_T1_,"axG",@progbits,_ZN2at6native29vectorized_elementwise_kernelILi8EZZZNS0_12_GLOBAL__N_119launch_clamp_scalarERNS_18TensorIteratorBaseEN3c106ScalarES6_NS0_6detail11ClampLimitsEENKUlvE_clEvENKUlvE1_clEvEUliE_St5arrayIPcLm2EEEEviT0_T1_,comdat
.Lfunc_end185:
	.size	_ZN2at6native29vectorized_elementwise_kernelILi8EZZZNS0_12_GLOBAL__N_119launch_clamp_scalarERNS_18TensorIteratorBaseEN3c106ScalarES6_NS0_6detail11ClampLimitsEENKUlvE_clEvENKUlvE1_clEvEUliE_St5arrayIPcLm2EEEEviT0_T1_, .Lfunc_end185-_ZN2at6native29vectorized_elementwise_kernelILi8EZZZNS0_12_GLOBAL__N_119launch_clamp_scalarERNS_18TensorIteratorBaseEN3c106ScalarES6_NS0_6detail11ClampLimitsEENKUlvE_clEvENKUlvE1_clEvEUliE_St5arrayIPcLm2EEEEviT0_T1_
                                        ; -- End function
	.set _ZN2at6native29vectorized_elementwise_kernelILi8EZZZNS0_12_GLOBAL__N_119launch_clamp_scalarERNS_18TensorIteratorBaseEN3c106ScalarES6_NS0_6detail11ClampLimitsEENKUlvE_clEvENKUlvE1_clEvEUliE_St5arrayIPcLm2EEEEviT0_T1_.num_vgpr, 12
	.set _ZN2at6native29vectorized_elementwise_kernelILi8EZZZNS0_12_GLOBAL__N_119launch_clamp_scalarERNS_18TensorIteratorBaseEN3c106ScalarES6_NS0_6detail11ClampLimitsEENKUlvE_clEvENKUlvE1_clEvEUliE_St5arrayIPcLm2EEEEviT0_T1_.num_agpr, 0
	.set _ZN2at6native29vectorized_elementwise_kernelILi8EZZZNS0_12_GLOBAL__N_119launch_clamp_scalarERNS_18TensorIteratorBaseEN3c106ScalarES6_NS0_6detail11ClampLimitsEENKUlvE_clEvENKUlvE1_clEvEUliE_St5arrayIPcLm2EEEEviT0_T1_.numbered_sgpr, 16
	.set _ZN2at6native29vectorized_elementwise_kernelILi8EZZZNS0_12_GLOBAL__N_119launch_clamp_scalarERNS_18TensorIteratorBaseEN3c106ScalarES6_NS0_6detail11ClampLimitsEENKUlvE_clEvENKUlvE1_clEvEUliE_St5arrayIPcLm2EEEEviT0_T1_.num_named_barrier, 0
	.set _ZN2at6native29vectorized_elementwise_kernelILi8EZZZNS0_12_GLOBAL__N_119launch_clamp_scalarERNS_18TensorIteratorBaseEN3c106ScalarES6_NS0_6detail11ClampLimitsEENKUlvE_clEvENKUlvE1_clEvEUliE_St5arrayIPcLm2EEEEviT0_T1_.private_seg_size, 0
	.set _ZN2at6native29vectorized_elementwise_kernelILi8EZZZNS0_12_GLOBAL__N_119launch_clamp_scalarERNS_18TensorIteratorBaseEN3c106ScalarES6_NS0_6detail11ClampLimitsEENKUlvE_clEvENKUlvE1_clEvEUliE_St5arrayIPcLm2EEEEviT0_T1_.uses_vcc, 1
	.set _ZN2at6native29vectorized_elementwise_kernelILi8EZZZNS0_12_GLOBAL__N_119launch_clamp_scalarERNS_18TensorIteratorBaseEN3c106ScalarES6_NS0_6detail11ClampLimitsEENKUlvE_clEvENKUlvE1_clEvEUliE_St5arrayIPcLm2EEEEviT0_T1_.uses_flat_scratch, 0
	.set _ZN2at6native29vectorized_elementwise_kernelILi8EZZZNS0_12_GLOBAL__N_119launch_clamp_scalarERNS_18TensorIteratorBaseEN3c106ScalarES6_NS0_6detail11ClampLimitsEENKUlvE_clEvENKUlvE1_clEvEUliE_St5arrayIPcLm2EEEEviT0_T1_.has_dyn_sized_stack, 0
	.set _ZN2at6native29vectorized_elementwise_kernelILi8EZZZNS0_12_GLOBAL__N_119launch_clamp_scalarERNS_18TensorIteratorBaseEN3c106ScalarES6_NS0_6detail11ClampLimitsEENKUlvE_clEvENKUlvE1_clEvEUliE_St5arrayIPcLm2EEEEviT0_T1_.has_recursion, 0
	.set _ZN2at6native29vectorized_elementwise_kernelILi8EZZZNS0_12_GLOBAL__N_119launch_clamp_scalarERNS_18TensorIteratorBaseEN3c106ScalarES6_NS0_6detail11ClampLimitsEENKUlvE_clEvENKUlvE1_clEvEUliE_St5arrayIPcLm2EEEEviT0_T1_.has_indirect_call, 0
	.section	.AMDGPU.csdata,"",@progbits
; Kernel info:
; codeLenInByte = 1688
; TotalNumSgprs: 18
; NumVgprs: 12
; ScratchSize: 0
; MemoryBound: 0
; FloatMode: 240
; IeeeMode: 1
; LDSByteSize: 0 bytes/workgroup (compile time only)
; SGPRBlocks: 0
; VGPRBlocks: 0
; NumSGPRsForWavesPerEU: 18
; NumVGPRsForWavesPerEU: 12
; NamedBarCnt: 0
; Occupancy: 16
; WaveLimiterHint : 0
; COMPUTE_PGM_RSRC2:SCRATCH_EN: 0
; COMPUTE_PGM_RSRC2:USER_SGPR: 2
; COMPUTE_PGM_RSRC2:TRAP_HANDLER: 0
; COMPUTE_PGM_RSRC2:TGID_X_EN: 1
; COMPUTE_PGM_RSRC2:TGID_Y_EN: 0
; COMPUTE_PGM_RSRC2:TGID_Z_EN: 0
; COMPUTE_PGM_RSRC2:TIDIG_COMP_CNT: 0
	.section	.text._ZN2at6native29vectorized_elementwise_kernelILi4EZZZNS0_12_GLOBAL__N_119launch_clamp_scalarERNS_18TensorIteratorBaseEN3c106ScalarES6_NS0_6detail11ClampLimitsEENKUlvE_clEvENKUlvE1_clEvEUliE_St5arrayIPcLm2EEEEviT0_T1_,"axG",@progbits,_ZN2at6native29vectorized_elementwise_kernelILi4EZZZNS0_12_GLOBAL__N_119launch_clamp_scalarERNS_18TensorIteratorBaseEN3c106ScalarES6_NS0_6detail11ClampLimitsEENKUlvE_clEvENKUlvE1_clEvEUliE_St5arrayIPcLm2EEEEviT0_T1_,comdat
	.globl	_ZN2at6native29vectorized_elementwise_kernelILi4EZZZNS0_12_GLOBAL__N_119launch_clamp_scalarERNS_18TensorIteratorBaseEN3c106ScalarES6_NS0_6detail11ClampLimitsEENKUlvE_clEvENKUlvE1_clEvEUliE_St5arrayIPcLm2EEEEviT0_T1_ ; -- Begin function _ZN2at6native29vectorized_elementwise_kernelILi4EZZZNS0_12_GLOBAL__N_119launch_clamp_scalarERNS_18TensorIteratorBaseEN3c106ScalarES6_NS0_6detail11ClampLimitsEENKUlvE_clEvENKUlvE1_clEvEUliE_St5arrayIPcLm2EEEEviT0_T1_
	.p2align	8
	.type	_ZN2at6native29vectorized_elementwise_kernelILi4EZZZNS0_12_GLOBAL__N_119launch_clamp_scalarERNS_18TensorIteratorBaseEN3c106ScalarES6_NS0_6detail11ClampLimitsEENKUlvE_clEvENKUlvE1_clEvEUliE_St5arrayIPcLm2EEEEviT0_T1_,@function
_ZN2at6native29vectorized_elementwise_kernelILi4EZZZNS0_12_GLOBAL__N_119launch_clamp_scalarERNS_18TensorIteratorBaseEN3c106ScalarES6_NS0_6detail11ClampLimitsEENKUlvE_clEvENKUlvE1_clEvEUliE_St5arrayIPcLm2EEEEviT0_T1_: ; @_ZN2at6native29vectorized_elementwise_kernelILi4EZZZNS0_12_GLOBAL__N_119launch_clamp_scalarERNS_18TensorIteratorBaseEN3c106ScalarES6_NS0_6detail11ClampLimitsEENKUlvE_clEvENKUlvE1_clEvEUliE_St5arrayIPcLm2EEEEviT0_T1_
; %bb.0:
	s_load_b256 s[4:11], s[0:1], 0x0
	s_wait_xcnt 0x0
	s_bfe_u32 s0, ttmp6, 0x4000c
	s_and_b32 s1, ttmp6, 15
	s_add_co_i32 s0, s0, 1
	s_getreg_b32 s2, hwreg(HW_REG_IB_STS2, 6, 4)
	s_mul_i32 s0, ttmp9, s0
	s_mov_b32 s12, 0
	s_add_co_i32 s1, s1, s0
	s_cmp_eq_u32 s2, 0
	s_cselect_b32 s0, ttmp9, s1
	s_delay_alu instid0(SALU_CYCLE_1) | instskip(SKIP_3) | instid1(SALU_CYCLE_1)
	s_lshl_b32 s2, s0, 10
	s_mov_b32 s0, -1
	s_wait_kmcnt 0x0
	s_sub_co_i32 s4, s4, s2
	s_cmp_gt_i32 s4, 0x3ff
	s_cbranch_scc0 .LBB186_45
; %bb.1:
	s_ashr_i32 s3, s2, 31
	s_delay_alu instid0(SALU_CYCLE_1)
	s_lshl_b64 s[0:1], s[2:3], 2
	s_cmp_lt_i32 s5, 1
	s_add_nc_u64 s[14:15], s[10:11], s[0:1]
	global_load_b128 v[2:5], v0, s[14:15] scale_offset
	s_cbranch_scc1 .LBB186_4
; %bb.2:
	s_cmp_eq_u32 s5, 1
	s_cbranch_scc0 .LBB186_5
; %bb.3:
	s_wait_loadcnt 0x0
	v_min_i32_e32 v6, s6, v2
	s_branch .LBB186_6
.LBB186_4:
                                        ; implicit-def: $vgpr6
	s_mov_b32 s3, 0
	s_cbranch_execnz .LBB186_7
	s_branch .LBB186_8
.LBB186_5:
	s_mov_b32 s12, -1
                                        ; implicit-def: $vgpr6
.LBB186_6:
	s_mov_b32 s3, 0
	s_branch .LBB186_8
.LBB186_7:
	s_cmp_lg_u32 s5, 0
	s_mov_b32 s3, -1
	s_cselect_b32 s12, -1, 0
.LBB186_8:
	s_delay_alu instid0(SALU_CYCLE_1)
	s_and_not1_b32 vcc_lo, exec_lo, s12
	s_cbranch_vccz .LBB186_13
; %bb.9:
	s_and_not1_b32 vcc_lo, exec_lo, s3
	s_cbranch_vccz .LBB186_14
.LBB186_10:
	s_cmp_lt_i32 s5, 1
	s_mov_b32 s3, 0
	s_cbranch_scc1 .LBB186_15
.LBB186_11:
	s_cmp_eq_u32 s5, 1
	s_cbranch_scc0 .LBB186_16
; %bb.12:
	s_wait_loadcnt 0x0
	v_min_i32_e32 v7, s6, v3
	s_mov_b32 s12, 0
	s_branch .LBB186_17
.LBB186_13:
	s_wait_loadcnt 0x0
	v_maxmin_i32 v6, v2, s6, s7
	s_cbranch_execnz .LBB186_10
.LBB186_14:
	s_wait_loadcnt 0x0
	v_max_i32_e32 v6, s6, v2
	s_cmp_lt_i32 s5, 1
	s_mov_b32 s3, 0
	s_cbranch_scc0 .LBB186_11
.LBB186_15:
	s_mov_b32 s12, 0
	s_cbranch_execnz .LBB186_18
	s_branch .LBB186_19
.LBB186_16:
	s_mov_b32 s12, -1
.LBB186_17:
	s_branch .LBB186_19
.LBB186_18:
	s_cmp_lg_u32 s5, 0
	s_mov_b32 s3, -1
	s_cselect_b32 s12, -1, 0
.LBB186_19:
	s_delay_alu instid0(SALU_CYCLE_1)
	s_and_not1_b32 vcc_lo, exec_lo, s12
	s_cbranch_vccz .LBB186_24
; %bb.20:
	s_and_not1_b32 vcc_lo, exec_lo, s3
	s_cbranch_vccz .LBB186_25
.LBB186_21:
	s_cmp_lt_i32 s5, 1
	s_mov_b32 s3, 0
	s_cbranch_scc1 .LBB186_26
.LBB186_22:
	s_cmp_eq_u32 s5, 1
	s_cbranch_scc0 .LBB186_27
; %bb.23:
	s_wait_loadcnt 0x0
	v_min_i32_e32 v8, s6, v4
	s_mov_b32 s12, 0
	s_branch .LBB186_28
.LBB186_24:
	s_wait_loadcnt 0x0
	v_maxmin_i32 v7, v3, s6, s7
	s_cbranch_execnz .LBB186_21
.LBB186_25:
	s_wait_loadcnt 0x0
	v_max_i32_e32 v7, s6, v3
	s_cmp_lt_i32 s5, 1
	s_mov_b32 s3, 0
	s_cbranch_scc0 .LBB186_22
.LBB186_26:
	s_mov_b32 s12, 0
	s_cbranch_execnz .LBB186_29
	s_branch .LBB186_30
.LBB186_27:
	s_mov_b32 s12, -1
.LBB186_28:
	s_branch .LBB186_30
.LBB186_29:
	s_cmp_lg_u32 s5, 0
	s_mov_b32 s3, -1
	s_cselect_b32 s12, -1, 0
.LBB186_30:
	;; [unrolled: 41-line block ×3, first 2 shown]
	s_delay_alu instid0(SALU_CYCLE_1)
	s_and_not1_b32 vcc_lo, exec_lo, s12
	s_cbranch_vccz .LBB186_58
; %bb.42:
	s_and_not1_b32 vcc_lo, exec_lo, s3
	s_cbranch_vccnz .LBB186_44
.LBB186_43:
	s_wait_loadcnt 0x0
	v_max_i32_e32 v9, s6, v5
.LBB186_44:
	s_add_nc_u64 s[12:13], s[8:9], s[0:1]
	s_mov_b32 s0, 0
	global_store_b128 v0, v[6:9], s[12:13] scale_offset
.LBB186_45:
	s_and_b32 vcc_lo, exec_lo, s0
	s_cbranch_vccz .LBB186_109
; %bb.46:
	v_cmp_gt_i32_e64 s0, s4, v0
	s_wait_loadcnt 0x0
	v_dual_mov_b32 v2, 0 :: v_dual_bitop2_b32 v8, s2, v0 bitop3:0x54
	v_or_b32_e32 v9, 0x100, v0
	v_dual_mov_b32 v6, 0 :: v_dual_mov_b32 v5, 0
	v_dual_mov_b32 v10, 0 :: v_dual_mov_b32 v11, 0
	s_and_saveexec_b32 s1, s0
	s_cbranch_execz .LBB186_54
; %bb.47:
	global_load_b32 v11, v8, s[10:11] scale_offset
	v_or_b32_e32 v1, 0x100, v0
	v_dual_mov_b32 v10, 0 :: v_dual_mov_b32 v5, 0
	v_mov_b32_e32 v6, 0
	s_mov_b32 s3, exec_lo
	s_wait_xcnt 0x0
	v_cmpx_gt_u32_e64 s4, v1
	s_cbranch_execz .LBB186_53
; %bb.48:
	v_dual_mov_b32 v5, 0 :: v_dual_add_nc_u32 v4, s2, v0
	v_or_b32_e32 v1, 0x200, v0
	v_mov_b32_e32 v6, 0
	s_mov_b32 s12, exec_lo
	global_load_b32 v10, v4, s[10:11] offset:1024 scale_offset
	s_wait_xcnt 0x0
	v_cmpx_gt_u32_e64 s4, v1
	s_cbranch_execz .LBB186_52
; %bb.49:
	v_lshl_add_u64 v[6:7], v[4:5], 2, s[10:11]
	v_or_b32_e32 v3, 0x300, v0
	s_mov_b32 s10, exec_lo
	global_load_b32 v1, v[6:7], off offset:2048
	s_wait_xcnt 0x0
	v_cmpx_gt_u32_e64 s4, v3
	s_cbranch_execz .LBB186_51
; %bb.50:
	global_load_b32 v5, v[6:7], off offset:3072
.LBB186_51:
	s_wait_xcnt 0x0
	s_or_b32 exec_lo, exec_lo, s10
	s_wait_loadcnt 0x0
	v_dual_mov_b32 v6, v5 :: v_dual_mov_b32 v5, v1
.LBB186_52:
	s_or_b32 exec_lo, exec_lo, s12
.LBB186_53:
	s_delay_alu instid0(SALU_CYCLE_1)
	s_or_b32 exec_lo, exec_lo, s3
.LBB186_54:
	s_delay_alu instid0(SALU_CYCLE_1)
	s_or_b32 exec_lo, exec_lo, s1
	v_dual_mov_b32 v1, v2 :: v_dual_mov_b32 v4, v2
	v_mov_b32_e32 v3, v2
	s_and_saveexec_b32 s1, s0
	s_cbranch_execz .LBB186_67
; %bb.55:
	s_cmp_lt_i32 s5, 1
	s_mov_b32 s3, 0
	s_cbranch_scc1 .LBB186_59
; %bb.56:
	s_cmp_eq_u32 s5, 1
	s_cbranch_scc0 .LBB186_60
; %bb.57:
	s_wait_loadcnt 0x0
	v_min_i32_e32 v2, s6, v11
	s_mov_b32 s10, 0
	s_branch .LBB186_61
.LBB186_58:
	s_wait_loadcnt 0x0
	v_maxmin_i32 v9, v5, s6, s7
	s_cbranch_execz .LBB186_43
	s_branch .LBB186_44
.LBB186_59:
	s_mov_b32 s10, 0
                                        ; implicit-def: $vgpr2
	s_cbranch_execnz .LBB186_62
	s_branch .LBB186_63
.LBB186_60:
	s_mov_b32 s10, -1
                                        ; implicit-def: $vgpr2
.LBB186_61:
	s_branch .LBB186_63
.LBB186_62:
	s_cmp_lg_u32 s5, 0
	s_mov_b32 s3, -1
	s_cselect_b32 s10, -1, 0
.LBB186_63:
	s_delay_alu instid0(SALU_CYCLE_1)
	s_and_not1_b32 vcc_lo, exec_lo, s10
	s_cbranch_vccz .LBB186_71
; %bb.64:
	s_and_not1_b32 vcc_lo, exec_lo, s3
	s_cbranch_vccnz .LBB186_66
.LBB186_65:
	s_wait_loadcnt 0x0
	v_max_i32_e32 v2, s6, v11
.LBB186_66:
	v_mov_b32_e32 v1, 0
	s_delay_alu instid0(VALU_DEP_1)
	v_dual_mov_b32 v4, v1 :: v_dual_mov_b32 v3, v1
.LBB186_67:
	s_or_b32 exec_lo, exec_lo, s1
	s_delay_alu instid0(SALU_CYCLE_1)
	s_mov_b32 s1, exec_lo
	v_cmpx_gt_i32_e64 s4, v9
	s_cbranch_execz .LBB186_79
; %bb.68:
	s_cmp_lt_i32 s5, 1
	s_mov_b32 s3, 0
	s_cbranch_scc1 .LBB186_72
; %bb.69:
	s_cmp_eq_u32 s5, 1
	s_cbranch_scc0 .LBB186_73
; %bb.70:
	s_wait_loadcnt 0x0
	v_min_i32_e32 v1, s6, v10
	s_mov_b32 s10, 0
	s_branch .LBB186_74
.LBB186_71:
	s_wait_loadcnt 0x0
	v_maxmin_i32 v2, v11, s6, s7
	s_cbranch_execz .LBB186_65
	s_branch .LBB186_66
.LBB186_72:
	s_mov_b32 s10, 0
                                        ; implicit-def: $vgpr1
	s_cbranch_execnz .LBB186_75
	s_branch .LBB186_76
.LBB186_73:
	s_mov_b32 s10, -1
                                        ; implicit-def: $vgpr1
.LBB186_74:
	s_branch .LBB186_76
.LBB186_75:
	s_cmp_lg_u32 s5, 0
	s_mov_b32 s3, -1
	s_cselect_b32 s10, -1, 0
.LBB186_76:
	s_delay_alu instid0(SALU_CYCLE_1)
	s_and_not1_b32 vcc_lo, exec_lo, s10
	s_cbranch_vccz .LBB186_83
; %bb.77:
	s_and_not1_b32 vcc_lo, exec_lo, s3
	s_cbranch_vccnz .LBB186_79
.LBB186_78:
	s_wait_loadcnt 0x0
	v_max_i32_e32 v1, s6, v10
.LBB186_79:
	s_or_b32 exec_lo, exec_lo, s1
	v_or_b32_e32 v7, 0x200, v0
	s_mov_b32 s1, exec_lo
	s_delay_alu instid0(VALU_DEP_1)
	v_cmpx_gt_i32_e64 s4, v7
	s_cbranch_execz .LBB186_91
; %bb.80:
	s_cmp_lt_i32 s5, 1
	s_mov_b32 s3, 0
	s_cbranch_scc1 .LBB186_84
; %bb.81:
	s_cmp_eq_u32 s5, 1
	s_cbranch_scc0 .LBB186_85
; %bb.82:
	v_min_i32_e32 v4, s6, v5
	s_mov_b32 s10, 0
	s_branch .LBB186_86
.LBB186_83:
	s_wait_loadcnt 0x0
	v_maxmin_i32 v1, v10, s6, s7
	s_cbranch_execz .LBB186_78
	s_branch .LBB186_79
.LBB186_84:
	s_mov_b32 s10, 0
                                        ; implicit-def: $vgpr4
	s_cbranch_execnz .LBB186_87
	s_branch .LBB186_88
.LBB186_85:
	s_mov_b32 s10, -1
                                        ; implicit-def: $vgpr4
.LBB186_86:
	s_branch .LBB186_88
.LBB186_87:
	s_cmp_lg_u32 s5, 0
	s_mov_b32 s3, -1
	s_cselect_b32 s10, -1, 0
.LBB186_88:
	s_delay_alu instid0(SALU_CYCLE_1)
	s_and_not1_b32 vcc_lo, exec_lo, s10
	s_cbranch_vccz .LBB186_95
; %bb.89:
	s_and_not1_b32 vcc_lo, exec_lo, s3
	s_cbranch_vccnz .LBB186_91
.LBB186_90:
	v_max_i32_e32 v4, s6, v5
.LBB186_91:
	s_or_b32 exec_lo, exec_lo, s1
	v_or_b32_e32 v5, 0x300, v0
	s_mov_b32 s1, exec_lo
	s_delay_alu instid0(VALU_DEP_1)
	v_cmpx_gt_i32_e64 s4, v5
	s_cbranch_execz .LBB186_103
; %bb.92:
	s_cmp_lt_i32 s5, 1
	s_mov_b32 s3, 0
	s_cbranch_scc1 .LBB186_96
; %bb.93:
	s_cmp_eq_u32 s5, 1
	s_cbranch_scc0 .LBB186_97
; %bb.94:
	v_min_i32_e32 v3, s6, v6
	s_mov_b32 s10, 0
	s_branch .LBB186_98
.LBB186_95:
	v_maxmin_i32 v4, v5, s6, s7
	s_cbranch_execz .LBB186_90
	s_branch .LBB186_91
.LBB186_96:
	s_mov_b32 s10, 0
                                        ; implicit-def: $vgpr3
	s_cbranch_execnz .LBB186_99
	s_branch .LBB186_100
.LBB186_97:
	s_mov_b32 s10, -1
                                        ; implicit-def: $vgpr3
.LBB186_98:
	s_branch .LBB186_100
.LBB186_99:
	s_cmp_lg_u32 s5, 0
	s_mov_b32 s3, -1
	s_cselect_b32 s10, -1, 0
.LBB186_100:
	s_delay_alu instid0(SALU_CYCLE_1)
	s_and_not1_b32 vcc_lo, exec_lo, s10
	s_cbranch_vccz .LBB186_112
; %bb.101:
	s_and_not1_b32 vcc_lo, exec_lo, s3
	s_cbranch_vccnz .LBB186_103
.LBB186_102:
	v_max_i32_e32 v3, s6, v6
.LBB186_103:
	s_or_b32 exec_lo, exec_lo, s1
	s_and_saveexec_b32 s1, s0
	s_delay_alu instid0(SALU_CYCLE_1)
	s_xor_b32 s0, exec_lo, s1
	s_cbranch_execz .LBB186_105
; %bb.104:
	v_mov_b32_e32 v0, v9
	global_store_b32 v8, v2, s[8:9] scale_offset
.LBB186_105:
	s_wait_xcnt 0x0
	s_or_b32 exec_lo, exec_lo, s0
	s_delay_alu instid0(SALU_CYCLE_1)
	s_mov_b32 s0, exec_lo
	v_cmpx_gt_i32_e64 s4, v0
	s_cbranch_execnz .LBB186_110
; %bb.106:
	s_or_b32 exec_lo, exec_lo, s0
	s_delay_alu instid0(SALU_CYCLE_1)
	s_mov_b32 s0, exec_lo
	v_cmpx_gt_i32_e64 s4, v0
	s_cbranch_execnz .LBB186_111
.LBB186_107:
	s_or_b32 exec_lo, exec_lo, s0
	s_delay_alu instid0(SALU_CYCLE_1)
	s_mov_b32 s0, exec_lo
	v_cmpx_gt_i32_e64 s4, v0
	s_cbranch_execz .LBB186_109
.LBB186_108:
	v_add_nc_u32_e32 v0, s2, v0
	global_store_b32 v0, v3, s[8:9] scale_offset
.LBB186_109:
	s_endpgm
.LBB186_110:
	v_add_nc_u32_e32 v2, s2, v0
	v_add_nc_u32_e32 v0, 0x100, v0
	global_store_b32 v2, v1, s[8:9] scale_offset
	s_wait_xcnt 0x0
	s_or_b32 exec_lo, exec_lo, s0
	s_delay_alu instid0(SALU_CYCLE_1)
	s_mov_b32 s0, exec_lo
	v_cmpx_gt_i32_e64 s4, v0
	s_cbranch_execz .LBB186_107
.LBB186_111:
	v_add_nc_u32_e32 v1, s2, v0
	v_add_nc_u32_e32 v0, 0x100, v0
	global_store_b32 v1, v4, s[8:9] scale_offset
	s_wait_xcnt 0x0
	s_or_b32 exec_lo, exec_lo, s0
	s_delay_alu instid0(SALU_CYCLE_1)
	s_mov_b32 s0, exec_lo
	v_cmpx_gt_i32_e64 s4, v0
	s_cbranch_execnz .LBB186_108
	s_branch .LBB186_109
.LBB186_112:
	v_maxmin_i32 v3, v6, s6, s7
	s_cbranch_execz .LBB186_102
	s_branch .LBB186_103
	.section	.rodata,"a",@progbits
	.p2align	6, 0x0
	.amdhsa_kernel _ZN2at6native29vectorized_elementwise_kernelILi4EZZZNS0_12_GLOBAL__N_119launch_clamp_scalarERNS_18TensorIteratorBaseEN3c106ScalarES6_NS0_6detail11ClampLimitsEENKUlvE_clEvENKUlvE1_clEvEUliE_St5arrayIPcLm2EEEEviT0_T1_
		.amdhsa_group_segment_fixed_size 0
		.amdhsa_private_segment_fixed_size 0
		.amdhsa_kernarg_size 32
		.amdhsa_user_sgpr_count 2
		.amdhsa_user_sgpr_dispatch_ptr 0
		.amdhsa_user_sgpr_queue_ptr 0
		.amdhsa_user_sgpr_kernarg_segment_ptr 1
		.amdhsa_user_sgpr_dispatch_id 0
		.amdhsa_user_sgpr_kernarg_preload_length 0
		.amdhsa_user_sgpr_kernarg_preload_offset 0
		.amdhsa_user_sgpr_private_segment_size 0
		.amdhsa_wavefront_size32 1
		.amdhsa_uses_dynamic_stack 0
		.amdhsa_enable_private_segment 0
		.amdhsa_system_sgpr_workgroup_id_x 1
		.amdhsa_system_sgpr_workgroup_id_y 0
		.amdhsa_system_sgpr_workgroup_id_z 0
		.amdhsa_system_sgpr_workgroup_info 0
		.amdhsa_system_vgpr_workitem_id 0
		.amdhsa_next_free_vgpr 12
		.amdhsa_next_free_sgpr 16
		.amdhsa_named_barrier_count 0
		.amdhsa_reserve_vcc 1
		.amdhsa_float_round_mode_32 0
		.amdhsa_float_round_mode_16_64 0
		.amdhsa_float_denorm_mode_32 3
		.amdhsa_float_denorm_mode_16_64 3
		.amdhsa_fp16_overflow 0
		.amdhsa_memory_ordered 1
		.amdhsa_forward_progress 1
		.amdhsa_inst_pref_size 14
		.amdhsa_round_robin_scheduling 0
		.amdhsa_exception_fp_ieee_invalid_op 0
		.amdhsa_exception_fp_denorm_src 0
		.amdhsa_exception_fp_ieee_div_zero 0
		.amdhsa_exception_fp_ieee_overflow 0
		.amdhsa_exception_fp_ieee_underflow 0
		.amdhsa_exception_fp_ieee_inexact 0
		.amdhsa_exception_int_div_zero 0
	.end_amdhsa_kernel
	.section	.text._ZN2at6native29vectorized_elementwise_kernelILi4EZZZNS0_12_GLOBAL__N_119launch_clamp_scalarERNS_18TensorIteratorBaseEN3c106ScalarES6_NS0_6detail11ClampLimitsEENKUlvE_clEvENKUlvE1_clEvEUliE_St5arrayIPcLm2EEEEviT0_T1_,"axG",@progbits,_ZN2at6native29vectorized_elementwise_kernelILi4EZZZNS0_12_GLOBAL__N_119launch_clamp_scalarERNS_18TensorIteratorBaseEN3c106ScalarES6_NS0_6detail11ClampLimitsEENKUlvE_clEvENKUlvE1_clEvEUliE_St5arrayIPcLm2EEEEviT0_T1_,comdat
.Lfunc_end186:
	.size	_ZN2at6native29vectorized_elementwise_kernelILi4EZZZNS0_12_GLOBAL__N_119launch_clamp_scalarERNS_18TensorIteratorBaseEN3c106ScalarES6_NS0_6detail11ClampLimitsEENKUlvE_clEvENKUlvE1_clEvEUliE_St5arrayIPcLm2EEEEviT0_T1_, .Lfunc_end186-_ZN2at6native29vectorized_elementwise_kernelILi4EZZZNS0_12_GLOBAL__N_119launch_clamp_scalarERNS_18TensorIteratorBaseEN3c106ScalarES6_NS0_6detail11ClampLimitsEENKUlvE_clEvENKUlvE1_clEvEUliE_St5arrayIPcLm2EEEEviT0_T1_
                                        ; -- End function
	.set _ZN2at6native29vectorized_elementwise_kernelILi4EZZZNS0_12_GLOBAL__N_119launch_clamp_scalarERNS_18TensorIteratorBaseEN3c106ScalarES6_NS0_6detail11ClampLimitsEENKUlvE_clEvENKUlvE1_clEvEUliE_St5arrayIPcLm2EEEEviT0_T1_.num_vgpr, 12
	.set _ZN2at6native29vectorized_elementwise_kernelILi4EZZZNS0_12_GLOBAL__N_119launch_clamp_scalarERNS_18TensorIteratorBaseEN3c106ScalarES6_NS0_6detail11ClampLimitsEENKUlvE_clEvENKUlvE1_clEvEUliE_St5arrayIPcLm2EEEEviT0_T1_.num_agpr, 0
	.set _ZN2at6native29vectorized_elementwise_kernelILi4EZZZNS0_12_GLOBAL__N_119launch_clamp_scalarERNS_18TensorIteratorBaseEN3c106ScalarES6_NS0_6detail11ClampLimitsEENKUlvE_clEvENKUlvE1_clEvEUliE_St5arrayIPcLm2EEEEviT0_T1_.numbered_sgpr, 16
	.set _ZN2at6native29vectorized_elementwise_kernelILi4EZZZNS0_12_GLOBAL__N_119launch_clamp_scalarERNS_18TensorIteratorBaseEN3c106ScalarES6_NS0_6detail11ClampLimitsEENKUlvE_clEvENKUlvE1_clEvEUliE_St5arrayIPcLm2EEEEviT0_T1_.num_named_barrier, 0
	.set _ZN2at6native29vectorized_elementwise_kernelILi4EZZZNS0_12_GLOBAL__N_119launch_clamp_scalarERNS_18TensorIteratorBaseEN3c106ScalarES6_NS0_6detail11ClampLimitsEENKUlvE_clEvENKUlvE1_clEvEUliE_St5arrayIPcLm2EEEEviT0_T1_.private_seg_size, 0
	.set _ZN2at6native29vectorized_elementwise_kernelILi4EZZZNS0_12_GLOBAL__N_119launch_clamp_scalarERNS_18TensorIteratorBaseEN3c106ScalarES6_NS0_6detail11ClampLimitsEENKUlvE_clEvENKUlvE1_clEvEUliE_St5arrayIPcLm2EEEEviT0_T1_.uses_vcc, 1
	.set _ZN2at6native29vectorized_elementwise_kernelILi4EZZZNS0_12_GLOBAL__N_119launch_clamp_scalarERNS_18TensorIteratorBaseEN3c106ScalarES6_NS0_6detail11ClampLimitsEENKUlvE_clEvENKUlvE1_clEvEUliE_St5arrayIPcLm2EEEEviT0_T1_.uses_flat_scratch, 0
	.set _ZN2at6native29vectorized_elementwise_kernelILi4EZZZNS0_12_GLOBAL__N_119launch_clamp_scalarERNS_18TensorIteratorBaseEN3c106ScalarES6_NS0_6detail11ClampLimitsEENKUlvE_clEvENKUlvE1_clEvEUliE_St5arrayIPcLm2EEEEviT0_T1_.has_dyn_sized_stack, 0
	.set _ZN2at6native29vectorized_elementwise_kernelILi4EZZZNS0_12_GLOBAL__N_119launch_clamp_scalarERNS_18TensorIteratorBaseEN3c106ScalarES6_NS0_6detail11ClampLimitsEENKUlvE_clEvENKUlvE1_clEvEUliE_St5arrayIPcLm2EEEEviT0_T1_.has_recursion, 0
	.set _ZN2at6native29vectorized_elementwise_kernelILi4EZZZNS0_12_GLOBAL__N_119launch_clamp_scalarERNS_18TensorIteratorBaseEN3c106ScalarES6_NS0_6detail11ClampLimitsEENKUlvE_clEvENKUlvE1_clEvEUliE_St5arrayIPcLm2EEEEviT0_T1_.has_indirect_call, 0
	.section	.AMDGPU.csdata,"",@progbits
; Kernel info:
; codeLenInByte = 1688
; TotalNumSgprs: 18
; NumVgprs: 12
; ScratchSize: 0
; MemoryBound: 0
; FloatMode: 240
; IeeeMode: 1
; LDSByteSize: 0 bytes/workgroup (compile time only)
; SGPRBlocks: 0
; VGPRBlocks: 0
; NumSGPRsForWavesPerEU: 18
; NumVGPRsForWavesPerEU: 12
; NamedBarCnt: 0
; Occupancy: 16
; WaveLimiterHint : 0
; COMPUTE_PGM_RSRC2:SCRATCH_EN: 0
; COMPUTE_PGM_RSRC2:USER_SGPR: 2
; COMPUTE_PGM_RSRC2:TRAP_HANDLER: 0
; COMPUTE_PGM_RSRC2:TGID_X_EN: 1
; COMPUTE_PGM_RSRC2:TGID_Y_EN: 0
; COMPUTE_PGM_RSRC2:TGID_Z_EN: 0
; COMPUTE_PGM_RSRC2:TIDIG_COMP_CNT: 0
	.section	.text._ZN2at6native29vectorized_elementwise_kernelILi2EZZZNS0_12_GLOBAL__N_119launch_clamp_scalarERNS_18TensorIteratorBaseEN3c106ScalarES6_NS0_6detail11ClampLimitsEENKUlvE_clEvENKUlvE1_clEvEUliE_St5arrayIPcLm2EEEEviT0_T1_,"axG",@progbits,_ZN2at6native29vectorized_elementwise_kernelILi2EZZZNS0_12_GLOBAL__N_119launch_clamp_scalarERNS_18TensorIteratorBaseEN3c106ScalarES6_NS0_6detail11ClampLimitsEENKUlvE_clEvENKUlvE1_clEvEUliE_St5arrayIPcLm2EEEEviT0_T1_,comdat
	.globl	_ZN2at6native29vectorized_elementwise_kernelILi2EZZZNS0_12_GLOBAL__N_119launch_clamp_scalarERNS_18TensorIteratorBaseEN3c106ScalarES6_NS0_6detail11ClampLimitsEENKUlvE_clEvENKUlvE1_clEvEUliE_St5arrayIPcLm2EEEEviT0_T1_ ; -- Begin function _ZN2at6native29vectorized_elementwise_kernelILi2EZZZNS0_12_GLOBAL__N_119launch_clamp_scalarERNS_18TensorIteratorBaseEN3c106ScalarES6_NS0_6detail11ClampLimitsEENKUlvE_clEvENKUlvE1_clEvEUliE_St5arrayIPcLm2EEEEviT0_T1_
	.p2align	8
	.type	_ZN2at6native29vectorized_elementwise_kernelILi2EZZZNS0_12_GLOBAL__N_119launch_clamp_scalarERNS_18TensorIteratorBaseEN3c106ScalarES6_NS0_6detail11ClampLimitsEENKUlvE_clEvENKUlvE1_clEvEUliE_St5arrayIPcLm2EEEEviT0_T1_,@function
_ZN2at6native29vectorized_elementwise_kernelILi2EZZZNS0_12_GLOBAL__N_119launch_clamp_scalarERNS_18TensorIteratorBaseEN3c106ScalarES6_NS0_6detail11ClampLimitsEENKUlvE_clEvENKUlvE1_clEvEUliE_St5arrayIPcLm2EEEEviT0_T1_: ; @_ZN2at6native29vectorized_elementwise_kernelILi2EZZZNS0_12_GLOBAL__N_119launch_clamp_scalarERNS_18TensorIteratorBaseEN3c106ScalarES6_NS0_6detail11ClampLimitsEENKUlvE_clEvENKUlvE1_clEvEUliE_St5arrayIPcLm2EEEEviT0_T1_
; %bb.0:
	s_load_b256 s[4:11], s[0:1], 0x0
	s_wait_xcnt 0x0
	s_bfe_u32 s0, ttmp6, 0x4000c
	s_and_b32 s1, ttmp6, 15
	s_add_co_i32 s0, s0, 1
	s_getreg_b32 s2, hwreg(HW_REG_IB_STS2, 6, 4)
	s_mul_i32 s0, ttmp9, s0
	s_mov_b32 s12, 0
	s_add_co_i32 s1, s1, s0
	s_cmp_eq_u32 s2, 0
	s_cselect_b32 s0, ttmp9, s1
	s_delay_alu instid0(SALU_CYCLE_1) | instskip(SKIP_3) | instid1(SALU_CYCLE_1)
	s_lshl_b32 s2, s0, 10
	s_mov_b32 s0, -1
	s_wait_kmcnt 0x0
	s_sub_co_i32 s4, s4, s2
	s_cmp_gt_i32 s4, 0x3ff
	s_cbranch_scc0 .LBB187_45
; %bb.1:
	s_ashr_i32 s3, s2, 31
	s_delay_alu instid0(SALU_CYCLE_1)
	s_lshl_b64 s[0:1], s[2:3], 2
	s_cmp_lt_i32 s5, 1
	s_add_nc_u64 s[14:15], s[10:11], s[0:1]
	s_clause 0x1
	global_load_b64 v[6:7], v0, s[14:15] scale_offset
	global_load_b64 v[2:3], v0, s[14:15] offset:2048 scale_offset
	s_cbranch_scc1 .LBB187_4
; %bb.2:
	s_cmp_eq_u32 s5, 1
	s_cbranch_scc0 .LBB187_5
; %bb.3:
	s_wait_loadcnt 0x1
	v_min_i32_e32 v4, s6, v6
	s_branch .LBB187_6
.LBB187_4:
                                        ; implicit-def: $vgpr4
	s_mov_b32 s3, 0
	s_cbranch_execnz .LBB187_7
	s_branch .LBB187_8
.LBB187_5:
	s_mov_b32 s12, -1
                                        ; implicit-def: $vgpr4
.LBB187_6:
	s_mov_b32 s3, 0
	s_branch .LBB187_8
.LBB187_7:
	s_cmp_lg_u32 s5, 0
	s_mov_b32 s3, -1
	s_cselect_b32 s12, -1, 0
.LBB187_8:
	s_delay_alu instid0(SALU_CYCLE_1)
	s_and_not1_b32 vcc_lo, exec_lo, s12
	s_cbranch_vccz .LBB187_13
; %bb.9:
	s_and_not1_b32 vcc_lo, exec_lo, s3
	s_cbranch_vccz .LBB187_14
.LBB187_10:
	s_cmp_lt_i32 s5, 1
	s_mov_b32 s3, 0
	s_cbranch_scc1 .LBB187_15
.LBB187_11:
	s_cmp_eq_u32 s5, 1
	s_cbranch_scc0 .LBB187_16
; %bb.12:
	s_wait_loadcnt 0x1
	v_min_i32_e32 v5, s6, v7
	s_mov_b32 s12, 0
	s_branch .LBB187_17
.LBB187_13:
	s_wait_loadcnt 0x1
	v_maxmin_i32 v4, v6, s6, s7
	s_cbranch_execnz .LBB187_10
.LBB187_14:
	s_wait_loadcnt 0x1
	v_max_i32_e32 v4, s6, v6
	s_cmp_lt_i32 s5, 1
	s_mov_b32 s3, 0
	s_cbranch_scc0 .LBB187_11
.LBB187_15:
	s_mov_b32 s12, 0
	s_cbranch_execnz .LBB187_18
	s_branch .LBB187_19
.LBB187_16:
	s_mov_b32 s12, -1
.LBB187_17:
	s_branch .LBB187_19
.LBB187_18:
	s_cmp_lg_u32 s5, 0
	s_mov_b32 s3, -1
	s_cselect_b32 s12, -1, 0
.LBB187_19:
	s_delay_alu instid0(SALU_CYCLE_1)
	s_and_not1_b32 vcc_lo, exec_lo, s12
	s_cbranch_vccz .LBB187_24
; %bb.20:
	s_and_not1_b32 vcc_lo, exec_lo, s3
	s_cbranch_vccz .LBB187_25
.LBB187_21:
	s_cmp_lt_i32 s5, 1
	s_mov_b32 s3, 0
	s_cbranch_scc1 .LBB187_26
.LBB187_22:
	s_cmp_eq_u32 s5, 1
	s_cbranch_scc0 .LBB187_27
; %bb.23:
	s_wait_loadcnt 0x0
	v_min_i32_e32 v6, s6, v2
	s_mov_b32 s12, 0
	s_branch .LBB187_28
.LBB187_24:
	s_wait_loadcnt 0x1
	v_maxmin_i32 v5, v7, s6, s7
	s_cbranch_execnz .LBB187_21
.LBB187_25:
	s_wait_loadcnt 0x1
	v_max_i32_e32 v5, s6, v7
	s_cmp_lt_i32 s5, 1
	s_mov_b32 s3, 0
	s_cbranch_scc0 .LBB187_22
.LBB187_26:
	s_mov_b32 s12, 0
                                        ; implicit-def: $vgpr6
	s_cbranch_execnz .LBB187_29
	s_branch .LBB187_30
.LBB187_27:
	s_mov_b32 s12, -1
                                        ; implicit-def: $vgpr6
.LBB187_28:
	s_branch .LBB187_30
.LBB187_29:
	s_cmp_lg_u32 s5, 0
	s_mov_b32 s3, -1
	s_cselect_b32 s12, -1, 0
.LBB187_30:
	s_delay_alu instid0(SALU_CYCLE_1)
	s_and_not1_b32 vcc_lo, exec_lo, s12
	s_cbranch_vccz .LBB187_35
; %bb.31:
	s_and_not1_b32 vcc_lo, exec_lo, s3
	s_cbranch_vccz .LBB187_36
.LBB187_32:
	s_cmp_lt_i32 s5, 1
	s_mov_b32 s3, 0
	s_cbranch_scc1 .LBB187_37
.LBB187_33:
	s_cmp_eq_u32 s5, 1
	s_cbranch_scc0 .LBB187_38
; %bb.34:
	s_wait_loadcnt 0x0
	v_min_i32_e32 v7, s6, v3
	s_mov_b32 s12, 0
	s_branch .LBB187_39
.LBB187_35:
	s_wait_loadcnt 0x0
	v_maxmin_i32 v6, v2, s6, s7
	s_cbranch_execnz .LBB187_32
.LBB187_36:
	s_wait_loadcnt 0x0
	v_max_i32_e32 v6, s6, v2
	s_cmp_lt_i32 s5, 1
	s_mov_b32 s3, 0
	s_cbranch_scc0 .LBB187_33
.LBB187_37:
	s_mov_b32 s12, 0
	s_cbranch_execnz .LBB187_40
	s_branch .LBB187_41
.LBB187_38:
	s_mov_b32 s12, -1
.LBB187_39:
	s_branch .LBB187_41
.LBB187_40:
	s_cmp_lg_u32 s5, 0
	s_mov_b32 s3, -1
	s_cselect_b32 s12, -1, 0
.LBB187_41:
	s_delay_alu instid0(SALU_CYCLE_1)
	s_and_not1_b32 vcc_lo, exec_lo, s12
	s_cbranch_vccz .LBB187_58
; %bb.42:
	s_and_not1_b32 vcc_lo, exec_lo, s3
	s_cbranch_vccnz .LBB187_44
.LBB187_43:
	s_wait_loadcnt 0x0
	v_max_i32_e32 v7, s6, v3
.LBB187_44:
	s_add_nc_u64 s[12:13], s[8:9], s[0:1]
	s_mov_b32 s0, 0
	global_store_b64 v0, v[4:5], s[12:13] scale_offset
	s_wait_loadcnt 0x1
	global_store_b64 v0, v[6:7], s[12:13] offset:2048 scale_offset
.LBB187_45:
	s_and_b32 vcc_lo, exec_lo, s0
	s_cbranch_vccz .LBB187_109
; %bb.46:
	v_cmp_gt_i32_e64 s0, s4, v0
	s_wait_loadcnt 0x0
	v_dual_mov_b32 v2, 0 :: v_dual_bitop2_b32 v8, s2, v0 bitop3:0x54
	v_or_b32_e32 v9, 0x100, v0
	s_wait_xcnt 0x0
	v_dual_mov_b32 v6, 0 :: v_dual_mov_b32 v5, 0
	v_dual_mov_b32 v10, 0 :: v_dual_mov_b32 v11, 0
	s_and_saveexec_b32 s1, s0
	s_cbranch_execz .LBB187_54
; %bb.47:
	global_load_b32 v11, v8, s[10:11] scale_offset
	v_or_b32_e32 v1, 0x100, v0
	v_dual_mov_b32 v10, 0 :: v_dual_mov_b32 v5, 0
	v_mov_b32_e32 v6, 0
	s_mov_b32 s3, exec_lo
	s_wait_xcnt 0x0
	v_cmpx_gt_u32_e64 s4, v1
	s_cbranch_execz .LBB187_53
; %bb.48:
	v_dual_mov_b32 v5, 0 :: v_dual_add_nc_u32 v4, s2, v0
	v_or_b32_e32 v1, 0x200, v0
	v_mov_b32_e32 v6, 0
	s_mov_b32 s12, exec_lo
	global_load_b32 v10, v4, s[10:11] offset:1024 scale_offset
	s_wait_xcnt 0x0
	v_cmpx_gt_u32_e64 s4, v1
	s_cbranch_execz .LBB187_52
; %bb.49:
	v_lshl_add_u64 v[6:7], v[4:5], 2, s[10:11]
	v_or_b32_e32 v3, 0x300, v0
	s_mov_b32 s10, exec_lo
	global_load_b32 v1, v[6:7], off offset:2048
	s_wait_xcnt 0x0
	v_cmpx_gt_u32_e64 s4, v3
	s_cbranch_execz .LBB187_51
; %bb.50:
	global_load_b32 v5, v[6:7], off offset:3072
.LBB187_51:
	s_wait_xcnt 0x0
	s_or_b32 exec_lo, exec_lo, s10
	s_wait_loadcnt 0x0
	v_dual_mov_b32 v6, v5 :: v_dual_mov_b32 v5, v1
.LBB187_52:
	s_or_b32 exec_lo, exec_lo, s12
.LBB187_53:
	s_delay_alu instid0(SALU_CYCLE_1)
	s_or_b32 exec_lo, exec_lo, s3
.LBB187_54:
	s_delay_alu instid0(SALU_CYCLE_1)
	s_or_b32 exec_lo, exec_lo, s1
	v_dual_mov_b32 v1, v2 :: v_dual_mov_b32 v4, v2
	v_mov_b32_e32 v3, v2
	s_and_saveexec_b32 s1, s0
	s_cbranch_execz .LBB187_67
; %bb.55:
	s_cmp_lt_i32 s5, 1
	s_mov_b32 s3, 0
	s_cbranch_scc1 .LBB187_59
; %bb.56:
	s_cmp_eq_u32 s5, 1
	s_cbranch_scc0 .LBB187_60
; %bb.57:
	s_wait_loadcnt 0x0
	v_min_i32_e32 v2, s6, v11
	s_mov_b32 s10, 0
	s_branch .LBB187_61
.LBB187_58:
	s_wait_loadcnt 0x0
	v_maxmin_i32 v7, v3, s6, s7
	s_cbranch_execz .LBB187_43
	s_branch .LBB187_44
.LBB187_59:
	s_mov_b32 s10, 0
                                        ; implicit-def: $vgpr2
	s_cbranch_execnz .LBB187_62
	s_branch .LBB187_63
.LBB187_60:
	s_mov_b32 s10, -1
                                        ; implicit-def: $vgpr2
.LBB187_61:
	s_branch .LBB187_63
.LBB187_62:
	s_cmp_lg_u32 s5, 0
	s_mov_b32 s3, -1
	s_cselect_b32 s10, -1, 0
.LBB187_63:
	s_delay_alu instid0(SALU_CYCLE_1)
	s_and_not1_b32 vcc_lo, exec_lo, s10
	s_cbranch_vccz .LBB187_71
; %bb.64:
	s_and_not1_b32 vcc_lo, exec_lo, s3
	s_cbranch_vccnz .LBB187_66
.LBB187_65:
	s_wait_loadcnt 0x0
	v_max_i32_e32 v2, s6, v11
.LBB187_66:
	v_mov_b32_e32 v1, 0
	s_delay_alu instid0(VALU_DEP_1)
	v_dual_mov_b32 v4, v1 :: v_dual_mov_b32 v3, v1
.LBB187_67:
	s_or_b32 exec_lo, exec_lo, s1
	s_delay_alu instid0(SALU_CYCLE_1)
	s_mov_b32 s1, exec_lo
	v_cmpx_gt_i32_e64 s4, v9
	s_cbranch_execz .LBB187_79
; %bb.68:
	s_cmp_lt_i32 s5, 1
	s_mov_b32 s3, 0
	s_cbranch_scc1 .LBB187_72
; %bb.69:
	s_cmp_eq_u32 s5, 1
	s_cbranch_scc0 .LBB187_73
; %bb.70:
	s_wait_loadcnt 0x0
	v_min_i32_e32 v1, s6, v10
	s_mov_b32 s10, 0
	s_branch .LBB187_74
.LBB187_71:
	s_wait_loadcnt 0x0
	v_maxmin_i32 v2, v11, s6, s7
	s_cbranch_execz .LBB187_65
	s_branch .LBB187_66
.LBB187_72:
	s_mov_b32 s10, 0
                                        ; implicit-def: $vgpr1
	s_cbranch_execnz .LBB187_75
	s_branch .LBB187_76
.LBB187_73:
	s_mov_b32 s10, -1
                                        ; implicit-def: $vgpr1
.LBB187_74:
	s_branch .LBB187_76
.LBB187_75:
	s_cmp_lg_u32 s5, 0
	s_mov_b32 s3, -1
	s_cselect_b32 s10, -1, 0
.LBB187_76:
	s_delay_alu instid0(SALU_CYCLE_1)
	s_and_not1_b32 vcc_lo, exec_lo, s10
	s_cbranch_vccz .LBB187_83
; %bb.77:
	s_and_not1_b32 vcc_lo, exec_lo, s3
	s_cbranch_vccnz .LBB187_79
.LBB187_78:
	s_wait_loadcnt 0x0
	v_max_i32_e32 v1, s6, v10
.LBB187_79:
	s_or_b32 exec_lo, exec_lo, s1
	v_or_b32_e32 v7, 0x200, v0
	s_mov_b32 s1, exec_lo
	s_delay_alu instid0(VALU_DEP_1)
	v_cmpx_gt_i32_e64 s4, v7
	s_cbranch_execz .LBB187_91
; %bb.80:
	s_cmp_lt_i32 s5, 1
	s_mov_b32 s3, 0
	s_cbranch_scc1 .LBB187_84
; %bb.81:
	s_cmp_eq_u32 s5, 1
	s_cbranch_scc0 .LBB187_85
; %bb.82:
	v_min_i32_e32 v4, s6, v5
	s_mov_b32 s10, 0
	s_branch .LBB187_86
.LBB187_83:
	s_wait_loadcnt 0x0
	v_maxmin_i32 v1, v10, s6, s7
	s_cbranch_execz .LBB187_78
	s_branch .LBB187_79
.LBB187_84:
	s_mov_b32 s10, 0
                                        ; implicit-def: $vgpr4
	s_cbranch_execnz .LBB187_87
	s_branch .LBB187_88
.LBB187_85:
	s_mov_b32 s10, -1
                                        ; implicit-def: $vgpr4
.LBB187_86:
	s_branch .LBB187_88
.LBB187_87:
	s_cmp_lg_u32 s5, 0
	s_mov_b32 s3, -1
	s_cselect_b32 s10, -1, 0
.LBB187_88:
	s_delay_alu instid0(SALU_CYCLE_1)
	s_and_not1_b32 vcc_lo, exec_lo, s10
	s_cbranch_vccz .LBB187_95
; %bb.89:
	s_and_not1_b32 vcc_lo, exec_lo, s3
	s_cbranch_vccnz .LBB187_91
.LBB187_90:
	v_max_i32_e32 v4, s6, v5
.LBB187_91:
	s_or_b32 exec_lo, exec_lo, s1
	v_or_b32_e32 v5, 0x300, v0
	s_mov_b32 s1, exec_lo
	s_delay_alu instid0(VALU_DEP_1)
	v_cmpx_gt_i32_e64 s4, v5
	s_cbranch_execz .LBB187_103
; %bb.92:
	s_cmp_lt_i32 s5, 1
	s_mov_b32 s3, 0
	s_cbranch_scc1 .LBB187_96
; %bb.93:
	s_cmp_eq_u32 s5, 1
	s_cbranch_scc0 .LBB187_97
; %bb.94:
	v_min_i32_e32 v3, s6, v6
	s_mov_b32 s10, 0
	s_branch .LBB187_98
.LBB187_95:
	v_maxmin_i32 v4, v5, s6, s7
	s_cbranch_execz .LBB187_90
	s_branch .LBB187_91
.LBB187_96:
	s_mov_b32 s10, 0
                                        ; implicit-def: $vgpr3
	s_cbranch_execnz .LBB187_99
	s_branch .LBB187_100
.LBB187_97:
	s_mov_b32 s10, -1
                                        ; implicit-def: $vgpr3
.LBB187_98:
	s_branch .LBB187_100
.LBB187_99:
	s_cmp_lg_u32 s5, 0
	s_mov_b32 s3, -1
	s_cselect_b32 s10, -1, 0
.LBB187_100:
	s_delay_alu instid0(SALU_CYCLE_1)
	s_and_not1_b32 vcc_lo, exec_lo, s10
	s_cbranch_vccz .LBB187_112
; %bb.101:
	s_and_not1_b32 vcc_lo, exec_lo, s3
	s_cbranch_vccnz .LBB187_103
.LBB187_102:
	v_max_i32_e32 v3, s6, v6
.LBB187_103:
	s_or_b32 exec_lo, exec_lo, s1
	s_and_saveexec_b32 s1, s0
	s_delay_alu instid0(SALU_CYCLE_1)
	s_xor_b32 s0, exec_lo, s1
	s_cbranch_execz .LBB187_105
; %bb.104:
	v_mov_b32_e32 v0, v9
	global_store_b32 v8, v2, s[8:9] scale_offset
.LBB187_105:
	s_wait_xcnt 0x0
	s_or_b32 exec_lo, exec_lo, s0
	s_delay_alu instid0(SALU_CYCLE_1)
	s_mov_b32 s0, exec_lo
	v_cmpx_gt_i32_e64 s4, v0
	s_cbranch_execnz .LBB187_110
; %bb.106:
	s_or_b32 exec_lo, exec_lo, s0
	s_delay_alu instid0(SALU_CYCLE_1)
	s_mov_b32 s0, exec_lo
	v_cmpx_gt_i32_e64 s4, v0
	s_cbranch_execnz .LBB187_111
.LBB187_107:
	s_or_b32 exec_lo, exec_lo, s0
	s_delay_alu instid0(SALU_CYCLE_1)
	s_mov_b32 s0, exec_lo
	v_cmpx_gt_i32_e64 s4, v0
	s_cbranch_execz .LBB187_109
.LBB187_108:
	v_add_nc_u32_e32 v0, s2, v0
	global_store_b32 v0, v3, s[8:9] scale_offset
.LBB187_109:
	s_endpgm
.LBB187_110:
	v_add_nc_u32_e32 v2, s2, v0
	v_add_nc_u32_e32 v0, 0x100, v0
	global_store_b32 v2, v1, s[8:9] scale_offset
	s_wait_xcnt 0x0
	s_or_b32 exec_lo, exec_lo, s0
	s_delay_alu instid0(SALU_CYCLE_1)
	s_mov_b32 s0, exec_lo
	v_cmpx_gt_i32_e64 s4, v0
	s_cbranch_execz .LBB187_107
.LBB187_111:
	v_add_nc_u32_e32 v1, s2, v0
	v_add_nc_u32_e32 v0, 0x100, v0
	global_store_b32 v1, v4, s[8:9] scale_offset
	s_wait_xcnt 0x0
	s_or_b32 exec_lo, exec_lo, s0
	s_delay_alu instid0(SALU_CYCLE_1)
	s_mov_b32 s0, exec_lo
	v_cmpx_gt_i32_e64 s4, v0
	s_cbranch_execnz .LBB187_108
	s_branch .LBB187_109
.LBB187_112:
	v_maxmin_i32 v3, v6, s6, s7
	s_cbranch_execz .LBB187_102
	s_branch .LBB187_103
	.section	.rodata,"a",@progbits
	.p2align	6, 0x0
	.amdhsa_kernel _ZN2at6native29vectorized_elementwise_kernelILi2EZZZNS0_12_GLOBAL__N_119launch_clamp_scalarERNS_18TensorIteratorBaseEN3c106ScalarES6_NS0_6detail11ClampLimitsEENKUlvE_clEvENKUlvE1_clEvEUliE_St5arrayIPcLm2EEEEviT0_T1_
		.amdhsa_group_segment_fixed_size 0
		.amdhsa_private_segment_fixed_size 0
		.amdhsa_kernarg_size 32
		.amdhsa_user_sgpr_count 2
		.amdhsa_user_sgpr_dispatch_ptr 0
		.amdhsa_user_sgpr_queue_ptr 0
		.amdhsa_user_sgpr_kernarg_segment_ptr 1
		.amdhsa_user_sgpr_dispatch_id 0
		.amdhsa_user_sgpr_kernarg_preload_length 0
		.amdhsa_user_sgpr_kernarg_preload_offset 0
		.amdhsa_user_sgpr_private_segment_size 0
		.amdhsa_wavefront_size32 1
		.amdhsa_uses_dynamic_stack 0
		.amdhsa_enable_private_segment 0
		.amdhsa_system_sgpr_workgroup_id_x 1
		.amdhsa_system_sgpr_workgroup_id_y 0
		.amdhsa_system_sgpr_workgroup_id_z 0
		.amdhsa_system_sgpr_workgroup_info 0
		.amdhsa_system_vgpr_workitem_id 0
		.amdhsa_next_free_vgpr 12
		.amdhsa_next_free_sgpr 16
		.amdhsa_named_barrier_count 0
		.amdhsa_reserve_vcc 1
		.amdhsa_float_round_mode_32 0
		.amdhsa_float_round_mode_16_64 0
		.amdhsa_float_denorm_mode_32 3
		.amdhsa_float_denorm_mode_16_64 3
		.amdhsa_fp16_overflow 0
		.amdhsa_memory_ordered 1
		.amdhsa_forward_progress 1
		.amdhsa_inst_pref_size 14
		.amdhsa_round_robin_scheduling 0
		.amdhsa_exception_fp_ieee_invalid_op 0
		.amdhsa_exception_fp_denorm_src 0
		.amdhsa_exception_fp_ieee_div_zero 0
		.amdhsa_exception_fp_ieee_overflow 0
		.amdhsa_exception_fp_ieee_underflow 0
		.amdhsa_exception_fp_ieee_inexact 0
		.amdhsa_exception_int_div_zero 0
	.end_amdhsa_kernel
	.section	.text._ZN2at6native29vectorized_elementwise_kernelILi2EZZZNS0_12_GLOBAL__N_119launch_clamp_scalarERNS_18TensorIteratorBaseEN3c106ScalarES6_NS0_6detail11ClampLimitsEENKUlvE_clEvENKUlvE1_clEvEUliE_St5arrayIPcLm2EEEEviT0_T1_,"axG",@progbits,_ZN2at6native29vectorized_elementwise_kernelILi2EZZZNS0_12_GLOBAL__N_119launch_clamp_scalarERNS_18TensorIteratorBaseEN3c106ScalarES6_NS0_6detail11ClampLimitsEENKUlvE_clEvENKUlvE1_clEvEUliE_St5arrayIPcLm2EEEEviT0_T1_,comdat
.Lfunc_end187:
	.size	_ZN2at6native29vectorized_elementwise_kernelILi2EZZZNS0_12_GLOBAL__N_119launch_clamp_scalarERNS_18TensorIteratorBaseEN3c106ScalarES6_NS0_6detail11ClampLimitsEENKUlvE_clEvENKUlvE1_clEvEUliE_St5arrayIPcLm2EEEEviT0_T1_, .Lfunc_end187-_ZN2at6native29vectorized_elementwise_kernelILi2EZZZNS0_12_GLOBAL__N_119launch_clamp_scalarERNS_18TensorIteratorBaseEN3c106ScalarES6_NS0_6detail11ClampLimitsEENKUlvE_clEvENKUlvE1_clEvEUliE_St5arrayIPcLm2EEEEviT0_T1_
                                        ; -- End function
	.set _ZN2at6native29vectorized_elementwise_kernelILi2EZZZNS0_12_GLOBAL__N_119launch_clamp_scalarERNS_18TensorIteratorBaseEN3c106ScalarES6_NS0_6detail11ClampLimitsEENKUlvE_clEvENKUlvE1_clEvEUliE_St5arrayIPcLm2EEEEviT0_T1_.num_vgpr, 12
	.set _ZN2at6native29vectorized_elementwise_kernelILi2EZZZNS0_12_GLOBAL__N_119launch_clamp_scalarERNS_18TensorIteratorBaseEN3c106ScalarES6_NS0_6detail11ClampLimitsEENKUlvE_clEvENKUlvE1_clEvEUliE_St5arrayIPcLm2EEEEviT0_T1_.num_agpr, 0
	.set _ZN2at6native29vectorized_elementwise_kernelILi2EZZZNS0_12_GLOBAL__N_119launch_clamp_scalarERNS_18TensorIteratorBaseEN3c106ScalarES6_NS0_6detail11ClampLimitsEENKUlvE_clEvENKUlvE1_clEvEUliE_St5arrayIPcLm2EEEEviT0_T1_.numbered_sgpr, 16
	.set _ZN2at6native29vectorized_elementwise_kernelILi2EZZZNS0_12_GLOBAL__N_119launch_clamp_scalarERNS_18TensorIteratorBaseEN3c106ScalarES6_NS0_6detail11ClampLimitsEENKUlvE_clEvENKUlvE1_clEvEUliE_St5arrayIPcLm2EEEEviT0_T1_.num_named_barrier, 0
	.set _ZN2at6native29vectorized_elementwise_kernelILi2EZZZNS0_12_GLOBAL__N_119launch_clamp_scalarERNS_18TensorIteratorBaseEN3c106ScalarES6_NS0_6detail11ClampLimitsEENKUlvE_clEvENKUlvE1_clEvEUliE_St5arrayIPcLm2EEEEviT0_T1_.private_seg_size, 0
	.set _ZN2at6native29vectorized_elementwise_kernelILi2EZZZNS0_12_GLOBAL__N_119launch_clamp_scalarERNS_18TensorIteratorBaseEN3c106ScalarES6_NS0_6detail11ClampLimitsEENKUlvE_clEvENKUlvE1_clEvEUliE_St5arrayIPcLm2EEEEviT0_T1_.uses_vcc, 1
	.set _ZN2at6native29vectorized_elementwise_kernelILi2EZZZNS0_12_GLOBAL__N_119launch_clamp_scalarERNS_18TensorIteratorBaseEN3c106ScalarES6_NS0_6detail11ClampLimitsEENKUlvE_clEvENKUlvE1_clEvEUliE_St5arrayIPcLm2EEEEviT0_T1_.uses_flat_scratch, 0
	.set _ZN2at6native29vectorized_elementwise_kernelILi2EZZZNS0_12_GLOBAL__N_119launch_clamp_scalarERNS_18TensorIteratorBaseEN3c106ScalarES6_NS0_6detail11ClampLimitsEENKUlvE_clEvENKUlvE1_clEvEUliE_St5arrayIPcLm2EEEEviT0_T1_.has_dyn_sized_stack, 0
	.set _ZN2at6native29vectorized_elementwise_kernelILi2EZZZNS0_12_GLOBAL__N_119launch_clamp_scalarERNS_18TensorIteratorBaseEN3c106ScalarES6_NS0_6detail11ClampLimitsEENKUlvE_clEvENKUlvE1_clEvEUliE_St5arrayIPcLm2EEEEviT0_T1_.has_recursion, 0
	.set _ZN2at6native29vectorized_elementwise_kernelILi2EZZZNS0_12_GLOBAL__N_119launch_clamp_scalarERNS_18TensorIteratorBaseEN3c106ScalarES6_NS0_6detail11ClampLimitsEENKUlvE_clEvENKUlvE1_clEvEUliE_St5arrayIPcLm2EEEEviT0_T1_.has_indirect_call, 0
	.section	.AMDGPU.csdata,"",@progbits
; Kernel info:
; codeLenInByte = 1724
; TotalNumSgprs: 18
; NumVgprs: 12
; ScratchSize: 0
; MemoryBound: 0
; FloatMode: 240
; IeeeMode: 1
; LDSByteSize: 0 bytes/workgroup (compile time only)
; SGPRBlocks: 0
; VGPRBlocks: 0
; NumSGPRsForWavesPerEU: 18
; NumVGPRsForWavesPerEU: 12
; NamedBarCnt: 0
; Occupancy: 16
; WaveLimiterHint : 1
; COMPUTE_PGM_RSRC2:SCRATCH_EN: 0
; COMPUTE_PGM_RSRC2:USER_SGPR: 2
; COMPUTE_PGM_RSRC2:TRAP_HANDLER: 0
; COMPUTE_PGM_RSRC2:TGID_X_EN: 1
; COMPUTE_PGM_RSRC2:TGID_Y_EN: 0
; COMPUTE_PGM_RSRC2:TGID_Z_EN: 0
; COMPUTE_PGM_RSRC2:TIDIG_COMP_CNT: 0
	.section	.text._ZN2at6native27unrolled_elementwise_kernelIZZZNS0_12_GLOBAL__N_119launch_clamp_scalarERNS_18TensorIteratorBaseEN3c106ScalarES6_NS0_6detail11ClampLimitsEENKUlvE_clEvENKUlvE1_clEvEUliE_St5arrayIPcLm2EELi4E23TrivialOffsetCalculatorILi1EjESG_NS0_6memory15LoadWithoutCastENSH_16StoreWithoutCastEEEviT_T0_T2_T3_T4_T5_,"axG",@progbits,_ZN2at6native27unrolled_elementwise_kernelIZZZNS0_12_GLOBAL__N_119launch_clamp_scalarERNS_18TensorIteratorBaseEN3c106ScalarES6_NS0_6detail11ClampLimitsEENKUlvE_clEvENKUlvE1_clEvEUliE_St5arrayIPcLm2EELi4E23TrivialOffsetCalculatorILi1EjESG_NS0_6memory15LoadWithoutCastENSH_16StoreWithoutCastEEEviT_T0_T2_T3_T4_T5_,comdat
	.globl	_ZN2at6native27unrolled_elementwise_kernelIZZZNS0_12_GLOBAL__N_119launch_clamp_scalarERNS_18TensorIteratorBaseEN3c106ScalarES6_NS0_6detail11ClampLimitsEENKUlvE_clEvENKUlvE1_clEvEUliE_St5arrayIPcLm2EELi4E23TrivialOffsetCalculatorILi1EjESG_NS0_6memory15LoadWithoutCastENSH_16StoreWithoutCastEEEviT_T0_T2_T3_T4_T5_ ; -- Begin function _ZN2at6native27unrolled_elementwise_kernelIZZZNS0_12_GLOBAL__N_119launch_clamp_scalarERNS_18TensorIteratorBaseEN3c106ScalarES6_NS0_6detail11ClampLimitsEENKUlvE_clEvENKUlvE1_clEvEUliE_St5arrayIPcLm2EELi4E23TrivialOffsetCalculatorILi1EjESG_NS0_6memory15LoadWithoutCastENSH_16StoreWithoutCastEEEviT_T0_T2_T3_T4_T5_
	.p2align	8
	.type	_ZN2at6native27unrolled_elementwise_kernelIZZZNS0_12_GLOBAL__N_119launch_clamp_scalarERNS_18TensorIteratorBaseEN3c106ScalarES6_NS0_6detail11ClampLimitsEENKUlvE_clEvENKUlvE1_clEvEUliE_St5arrayIPcLm2EELi4E23TrivialOffsetCalculatorILi1EjESG_NS0_6memory15LoadWithoutCastENSH_16StoreWithoutCastEEEviT_T0_T2_T3_T4_T5_,@function
_ZN2at6native27unrolled_elementwise_kernelIZZZNS0_12_GLOBAL__N_119launch_clamp_scalarERNS_18TensorIteratorBaseEN3c106ScalarES6_NS0_6detail11ClampLimitsEENKUlvE_clEvENKUlvE1_clEvEUliE_St5arrayIPcLm2EELi4E23TrivialOffsetCalculatorILi1EjESG_NS0_6memory15LoadWithoutCastENSH_16StoreWithoutCastEEEviT_T0_T2_T3_T4_T5_: ; @_ZN2at6native27unrolled_elementwise_kernelIZZZNS0_12_GLOBAL__N_119launch_clamp_scalarERNS_18TensorIteratorBaseEN3c106ScalarES6_NS0_6detail11ClampLimitsEENKUlvE_clEvENKUlvE1_clEvEUliE_St5arrayIPcLm2EELi4E23TrivialOffsetCalculatorILi1EjESG_NS0_6memory15LoadWithoutCastENSH_16StoreWithoutCastEEEviT_T0_T2_T3_T4_T5_
; %bb.0:
	s_load_b256 s[4:11], s[0:1], 0x0
	s_wait_xcnt 0x0
	s_bfe_u32 s1, ttmp6, 0x4000c
	s_and_b32 s0, ttmp6, 15
	s_add_co_i32 s1, s1, 1
	s_getreg_b32 s2, hwreg(HW_REG_IB_STS2, 6, 4)
	s_mul_i32 s1, ttmp9, s1
	v_dual_mov_b32 v2, 0 :: v_dual_mov_b32 v7, 0
	s_add_co_i32 s0, s0, s1
	s_cmp_eq_u32 s2, 0
	v_dual_mov_b32 v8, 0 :: v_dual_mov_b32 v9, 0
	s_cselect_b32 s0, ttmp9, s0
	v_or_b32_e32 v5, 0x100, v0
	s_lshl_b32 s1, s0, 10
	s_delay_alu instid0(SALU_CYCLE_1) | instskip(SKIP_2) | instid1(SALU_CYCLE_1)
	v_dual_mov_b32 v10, 0 :: v_dual_bitop2_b32 v6, s1, v0 bitop3:0x54
	s_wait_kmcnt 0x0
	s_sub_co_i32 s2, s4, s1
	v_cmp_gt_i32_e64 s0, s2, v0
	s_and_saveexec_b32 s3, s0
	s_cbranch_execz .LBB188_8
; %bb.1:
	global_load_b32 v10, v6, s[10:11] scale_offset
	v_or_b32_e32 v1, 0x100, v0
	v_dual_mov_b32 v9, 0 :: v_dual_mov_b32 v8, 0
	v_mov_b32_e32 v7, 0
	s_mov_b32 s4, exec_lo
	s_wait_xcnt 0x0
	v_cmpx_gt_u32_e64 s2, v1
	s_cbranch_execz .LBB188_7
; %bb.2:
	v_dual_mov_b32 v8, 0 :: v_dual_add_nc_u32 v1, s1, v1
	v_mov_b32_e32 v7, 0
	s_mov_b32 s12, exec_lo
	global_load_b32 v9, v1, s[10:11] scale_offset
	s_wait_xcnt 0x0
	v_or_b32_e32 v1, 0x200, v0
	s_delay_alu instid0(VALU_DEP_1)
	v_cmpx_gt_u32_e64 s2, v1
	s_cbranch_execz .LBB188_6
; %bb.3:
	v_dual_add_nc_u32 v1, s1, v1 :: v_dual_mov_b32 v7, 0
	s_mov_b32 s13, exec_lo
	global_load_b32 v8, v1, s[10:11] scale_offset
	s_wait_xcnt 0x0
	v_or_b32_e32 v1, 0x300, v0
	s_delay_alu instid0(VALU_DEP_1)
	v_cmpx_gt_u32_e64 s2, v1
	s_cbranch_execz .LBB188_5
; %bb.4:
	v_add_nc_u32_e32 v1, s1, v1
	global_load_b32 v7, v1, s[10:11] scale_offset
.LBB188_5:
	s_wait_xcnt 0x0
	s_or_b32 exec_lo, exec_lo, s13
.LBB188_6:
	s_delay_alu instid0(SALU_CYCLE_1)
	s_or_b32 exec_lo, exec_lo, s12
.LBB188_7:
	s_delay_alu instid0(SALU_CYCLE_1)
	s_or_b32 exec_lo, exec_lo, s4
.LBB188_8:
	s_delay_alu instid0(SALU_CYCLE_1)
	s_or_b32 exec_lo, exec_lo, s3
	v_dual_mov_b32 v1, v2 :: v_dual_mov_b32 v4, v2
	v_mov_b32_e32 v3, v2
	s_and_saveexec_b32 s3, s0
	s_cbranch_execz .LBB188_20
; %bb.9:
	s_cmp_lt_i32 s5, 1
	s_mov_b32 s4, 0
	s_cbranch_scc1 .LBB188_12
; %bb.10:
	s_cmp_eq_u32 s5, 1
	s_cbranch_scc0 .LBB188_13
; %bb.11:
	s_wait_loadcnt 0x0
	v_min_i32_e32 v2, s6, v10
	s_mov_b32 s10, 0
	s_branch .LBB188_14
.LBB188_12:
	s_mov_b32 s10, 0
                                        ; implicit-def: $vgpr2
	s_cbranch_execnz .LBB188_15
	s_branch .LBB188_16
.LBB188_13:
	s_mov_b32 s10, -1
                                        ; implicit-def: $vgpr2
.LBB188_14:
	s_branch .LBB188_16
.LBB188_15:
	s_cmp_lg_u32 s5, 0
	s_mov_b32 s4, -1
	s_cselect_b32 s10, -1, 0
.LBB188_16:
	s_delay_alu instid0(SALU_CYCLE_1)
	s_and_not1_b32 vcc_lo, exec_lo, s10
	s_cbranch_vccz .LBB188_24
; %bb.17:
	s_and_not1_b32 vcc_lo, exec_lo, s4
	s_cbranch_vccnz .LBB188_19
.LBB188_18:
	s_wait_loadcnt 0x0
	v_max_i32_e32 v2, s6, v10
.LBB188_19:
	v_mov_b32_e32 v1, 0
	s_delay_alu instid0(VALU_DEP_1)
	v_dual_mov_b32 v4, v1 :: v_dual_mov_b32 v3, v1
.LBB188_20:
	s_or_b32 exec_lo, exec_lo, s3
	s_delay_alu instid0(SALU_CYCLE_1)
	s_mov_b32 s3, exec_lo
	v_cmpx_gt_i32_e64 s2, v5
	s_cbranch_execz .LBB188_32
; %bb.21:
	s_cmp_lt_i32 s5, 1
	s_mov_b32 s4, 0
	s_cbranch_scc1 .LBB188_25
; %bb.22:
	s_cmp_eq_u32 s5, 1
	s_cbranch_scc0 .LBB188_26
; %bb.23:
	s_wait_loadcnt 0x0
	v_min_i32_e32 v1, s6, v9
	s_mov_b32 s10, 0
	s_branch .LBB188_27
.LBB188_24:
	s_wait_loadcnt 0x0
	v_maxmin_i32 v2, v10, s6, s7
	s_cbranch_execz .LBB188_18
	s_branch .LBB188_19
.LBB188_25:
	s_mov_b32 s10, 0
                                        ; implicit-def: $vgpr1
	s_cbranch_execnz .LBB188_28
	s_branch .LBB188_29
.LBB188_26:
	s_mov_b32 s10, -1
                                        ; implicit-def: $vgpr1
.LBB188_27:
	s_branch .LBB188_29
.LBB188_28:
	s_cmp_lg_u32 s5, 0
	s_mov_b32 s4, -1
	s_cselect_b32 s10, -1, 0
.LBB188_29:
	s_delay_alu instid0(SALU_CYCLE_1)
	s_and_not1_b32 vcc_lo, exec_lo, s10
	s_cbranch_vccz .LBB188_36
; %bb.30:
	s_and_not1_b32 vcc_lo, exec_lo, s4
	s_cbranch_vccnz .LBB188_32
.LBB188_31:
	s_wait_loadcnt 0x0
	v_max_i32_e32 v1, s6, v9
.LBB188_32:
	s_or_b32 exec_lo, exec_lo, s3
	s_wait_loadcnt 0x0
	v_or_b32_e32 v9, 0x200, v0
	s_mov_b32 s3, exec_lo
	s_delay_alu instid0(VALU_DEP_1)
	v_cmpx_gt_i32_e64 s2, v9
	s_cbranch_execz .LBB188_44
; %bb.33:
	s_cmp_lt_i32 s5, 1
	s_mov_b32 s4, 0
	s_cbranch_scc1 .LBB188_37
; %bb.34:
	s_cmp_eq_u32 s5, 1
	s_cbranch_scc0 .LBB188_38
; %bb.35:
	v_min_i32_e32 v4, s6, v8
	s_mov_b32 s10, 0
	s_branch .LBB188_39
.LBB188_36:
	s_wait_loadcnt 0x0
	v_maxmin_i32 v1, v9, s6, s7
	s_cbranch_execz .LBB188_31
	s_branch .LBB188_32
.LBB188_37:
	s_mov_b32 s10, 0
                                        ; implicit-def: $vgpr4
	s_cbranch_execnz .LBB188_40
	s_branch .LBB188_41
.LBB188_38:
	s_mov_b32 s10, -1
                                        ; implicit-def: $vgpr4
.LBB188_39:
	s_branch .LBB188_41
.LBB188_40:
	s_cmp_lg_u32 s5, 0
	s_mov_b32 s4, -1
	s_cselect_b32 s10, -1, 0
.LBB188_41:
	s_delay_alu instid0(SALU_CYCLE_1)
	s_and_not1_b32 vcc_lo, exec_lo, s10
	s_cbranch_vccz .LBB188_48
; %bb.42:
	s_and_not1_b32 vcc_lo, exec_lo, s4
	s_cbranch_vccnz .LBB188_44
.LBB188_43:
	v_max_i32_e32 v4, s6, v8
.LBB188_44:
	s_or_b32 exec_lo, exec_lo, s3
	v_or_b32_e32 v8, 0x300, v0
	s_mov_b32 s3, exec_lo
	s_delay_alu instid0(VALU_DEP_1)
	v_cmpx_gt_i32_e64 s2, v8
	s_cbranch_execz .LBB188_56
; %bb.45:
	s_cmp_lt_i32 s5, 1
	s_mov_b32 s4, 0
	s_cbranch_scc1 .LBB188_49
; %bb.46:
	s_cmp_eq_u32 s5, 1
	s_cbranch_scc0 .LBB188_50
; %bb.47:
	v_min_i32_e32 v3, s6, v7
	s_mov_b32 s10, 0
	s_branch .LBB188_51
.LBB188_48:
	v_maxmin_i32 v4, v8, s6, s7
	s_cbranch_execz .LBB188_43
	s_branch .LBB188_44
.LBB188_49:
	s_mov_b32 s10, 0
                                        ; implicit-def: $vgpr3
	s_cbranch_execnz .LBB188_52
	s_branch .LBB188_53
.LBB188_50:
	s_mov_b32 s10, -1
                                        ; implicit-def: $vgpr3
.LBB188_51:
	s_branch .LBB188_53
.LBB188_52:
	s_cmp_lg_u32 s5, 0
	s_mov_b32 s4, -1
	s_cselect_b32 s10, -1, 0
.LBB188_53:
	s_delay_alu instid0(SALU_CYCLE_1)
	s_and_not1_b32 vcc_lo, exec_lo, s10
	s_cbranch_vccz .LBB188_65
; %bb.54:
	s_and_not1_b32 vcc_lo, exec_lo, s4
	s_cbranch_vccnz .LBB188_56
.LBB188_55:
	v_max_i32_e32 v3, s6, v7
.LBB188_56:
	s_or_b32 exec_lo, exec_lo, s3
	s_and_saveexec_b32 s3, s0
	s_delay_alu instid0(SALU_CYCLE_1)
	s_xor_b32 s0, exec_lo, s3
	s_cbranch_execz .LBB188_58
; %bb.57:
	v_mov_b32_e32 v0, v5
	global_store_b32 v6, v2, s[8:9] scale_offset
.LBB188_58:
	s_wait_xcnt 0x0
	s_or_b32 exec_lo, exec_lo, s0
	s_delay_alu instid0(SALU_CYCLE_1)
	s_mov_b32 s0, exec_lo
	v_cmpx_gt_i32_e64 s2, v0
	s_cbranch_execnz .LBB188_62
; %bb.59:
	s_or_b32 exec_lo, exec_lo, s0
	s_delay_alu instid0(SALU_CYCLE_1)
	s_mov_b32 s0, exec_lo
	v_cmpx_gt_i32_e64 s2, v0
	s_cbranch_execnz .LBB188_63
.LBB188_60:
	s_or_b32 exec_lo, exec_lo, s0
	s_delay_alu instid0(SALU_CYCLE_1)
	s_mov_b32 s0, exec_lo
	v_cmpx_gt_i32_e64 s2, v0
	s_cbranch_execnz .LBB188_64
.LBB188_61:
	s_endpgm
.LBB188_62:
	v_add_nc_u32_e32 v2, 0x100, v0
	s_delay_alu instid0(VALU_DEP_1) | instskip(SKIP_3) | instid1(SALU_CYCLE_1)
	v_dual_mov_b32 v0, v2 :: v_dual_add_nc_u32 v5, s1, v0
	global_store_b32 v5, v1, s[8:9] scale_offset
	s_wait_xcnt 0x0
	s_or_b32 exec_lo, exec_lo, s0
	s_mov_b32 s0, exec_lo
	v_cmpx_gt_i32_e64 s2, v0
	s_cbranch_execz .LBB188_60
.LBB188_63:
	v_add_nc_u32_e32 v1, 0x100, v0
	s_delay_alu instid0(VALU_DEP_1) | instskip(SKIP_3) | instid1(SALU_CYCLE_1)
	v_dual_add_nc_u32 v2, s1, v0 :: v_dual_mov_b32 v0, v1
	global_store_b32 v2, v4, s[8:9] scale_offset
	s_wait_xcnt 0x0
	s_or_b32 exec_lo, exec_lo, s0
	s_mov_b32 s0, exec_lo
	v_cmpx_gt_i32_e64 s2, v0
	s_cbranch_execz .LBB188_61
.LBB188_64:
	v_add_nc_u32_e32 v0, s1, v0
	global_store_b32 v0, v3, s[8:9] scale_offset
	s_endpgm
.LBB188_65:
	v_maxmin_i32 v3, v7, s6, s7
	s_cbranch_execz .LBB188_55
	s_branch .LBB188_56
	.section	.rodata,"a",@progbits
	.p2align	6, 0x0
	.amdhsa_kernel _ZN2at6native27unrolled_elementwise_kernelIZZZNS0_12_GLOBAL__N_119launch_clamp_scalarERNS_18TensorIteratorBaseEN3c106ScalarES6_NS0_6detail11ClampLimitsEENKUlvE_clEvENKUlvE1_clEvEUliE_St5arrayIPcLm2EELi4E23TrivialOffsetCalculatorILi1EjESG_NS0_6memory15LoadWithoutCastENSH_16StoreWithoutCastEEEviT_T0_T2_T3_T4_T5_
		.amdhsa_group_segment_fixed_size 0
		.amdhsa_private_segment_fixed_size 0
		.amdhsa_kernarg_size 36
		.amdhsa_user_sgpr_count 2
		.amdhsa_user_sgpr_dispatch_ptr 0
		.amdhsa_user_sgpr_queue_ptr 0
		.amdhsa_user_sgpr_kernarg_segment_ptr 1
		.amdhsa_user_sgpr_dispatch_id 0
		.amdhsa_user_sgpr_kernarg_preload_length 0
		.amdhsa_user_sgpr_kernarg_preload_offset 0
		.amdhsa_user_sgpr_private_segment_size 0
		.amdhsa_wavefront_size32 1
		.amdhsa_uses_dynamic_stack 0
		.amdhsa_enable_private_segment 0
		.amdhsa_system_sgpr_workgroup_id_x 1
		.amdhsa_system_sgpr_workgroup_id_y 0
		.amdhsa_system_sgpr_workgroup_id_z 0
		.amdhsa_system_sgpr_workgroup_info 0
		.amdhsa_system_vgpr_workitem_id 0
		.amdhsa_next_free_vgpr 11
		.amdhsa_next_free_sgpr 14
		.amdhsa_named_barrier_count 0
		.amdhsa_reserve_vcc 1
		.amdhsa_float_round_mode_32 0
		.amdhsa_float_round_mode_16_64 0
		.amdhsa_float_denorm_mode_32 3
		.amdhsa_float_denorm_mode_16_64 3
		.amdhsa_fp16_overflow 0
		.amdhsa_memory_ordered 1
		.amdhsa_forward_progress 1
		.amdhsa_inst_pref_size 9
		.amdhsa_round_robin_scheduling 0
		.amdhsa_exception_fp_ieee_invalid_op 0
		.amdhsa_exception_fp_denorm_src 0
		.amdhsa_exception_fp_ieee_div_zero 0
		.amdhsa_exception_fp_ieee_overflow 0
		.amdhsa_exception_fp_ieee_underflow 0
		.amdhsa_exception_fp_ieee_inexact 0
		.amdhsa_exception_int_div_zero 0
	.end_amdhsa_kernel
	.section	.text._ZN2at6native27unrolled_elementwise_kernelIZZZNS0_12_GLOBAL__N_119launch_clamp_scalarERNS_18TensorIteratorBaseEN3c106ScalarES6_NS0_6detail11ClampLimitsEENKUlvE_clEvENKUlvE1_clEvEUliE_St5arrayIPcLm2EELi4E23TrivialOffsetCalculatorILi1EjESG_NS0_6memory15LoadWithoutCastENSH_16StoreWithoutCastEEEviT_T0_T2_T3_T4_T5_,"axG",@progbits,_ZN2at6native27unrolled_elementwise_kernelIZZZNS0_12_GLOBAL__N_119launch_clamp_scalarERNS_18TensorIteratorBaseEN3c106ScalarES6_NS0_6detail11ClampLimitsEENKUlvE_clEvENKUlvE1_clEvEUliE_St5arrayIPcLm2EELi4E23TrivialOffsetCalculatorILi1EjESG_NS0_6memory15LoadWithoutCastENSH_16StoreWithoutCastEEEviT_T0_T2_T3_T4_T5_,comdat
.Lfunc_end188:
	.size	_ZN2at6native27unrolled_elementwise_kernelIZZZNS0_12_GLOBAL__N_119launch_clamp_scalarERNS_18TensorIteratorBaseEN3c106ScalarES6_NS0_6detail11ClampLimitsEENKUlvE_clEvENKUlvE1_clEvEUliE_St5arrayIPcLm2EELi4E23TrivialOffsetCalculatorILi1EjESG_NS0_6memory15LoadWithoutCastENSH_16StoreWithoutCastEEEviT_T0_T2_T3_T4_T5_, .Lfunc_end188-_ZN2at6native27unrolled_elementwise_kernelIZZZNS0_12_GLOBAL__N_119launch_clamp_scalarERNS_18TensorIteratorBaseEN3c106ScalarES6_NS0_6detail11ClampLimitsEENKUlvE_clEvENKUlvE1_clEvEUliE_St5arrayIPcLm2EELi4E23TrivialOffsetCalculatorILi1EjESG_NS0_6memory15LoadWithoutCastENSH_16StoreWithoutCastEEEviT_T0_T2_T3_T4_T5_
                                        ; -- End function
	.set _ZN2at6native27unrolled_elementwise_kernelIZZZNS0_12_GLOBAL__N_119launch_clamp_scalarERNS_18TensorIteratorBaseEN3c106ScalarES6_NS0_6detail11ClampLimitsEENKUlvE_clEvENKUlvE1_clEvEUliE_St5arrayIPcLm2EELi4E23TrivialOffsetCalculatorILi1EjESG_NS0_6memory15LoadWithoutCastENSH_16StoreWithoutCastEEEviT_T0_T2_T3_T4_T5_.num_vgpr, 11
	.set _ZN2at6native27unrolled_elementwise_kernelIZZZNS0_12_GLOBAL__N_119launch_clamp_scalarERNS_18TensorIteratorBaseEN3c106ScalarES6_NS0_6detail11ClampLimitsEENKUlvE_clEvENKUlvE1_clEvEUliE_St5arrayIPcLm2EELi4E23TrivialOffsetCalculatorILi1EjESG_NS0_6memory15LoadWithoutCastENSH_16StoreWithoutCastEEEviT_T0_T2_T3_T4_T5_.num_agpr, 0
	.set _ZN2at6native27unrolled_elementwise_kernelIZZZNS0_12_GLOBAL__N_119launch_clamp_scalarERNS_18TensorIteratorBaseEN3c106ScalarES6_NS0_6detail11ClampLimitsEENKUlvE_clEvENKUlvE1_clEvEUliE_St5arrayIPcLm2EELi4E23TrivialOffsetCalculatorILi1EjESG_NS0_6memory15LoadWithoutCastENSH_16StoreWithoutCastEEEviT_T0_T2_T3_T4_T5_.numbered_sgpr, 14
	.set _ZN2at6native27unrolled_elementwise_kernelIZZZNS0_12_GLOBAL__N_119launch_clamp_scalarERNS_18TensorIteratorBaseEN3c106ScalarES6_NS0_6detail11ClampLimitsEENKUlvE_clEvENKUlvE1_clEvEUliE_St5arrayIPcLm2EELi4E23TrivialOffsetCalculatorILi1EjESG_NS0_6memory15LoadWithoutCastENSH_16StoreWithoutCastEEEviT_T0_T2_T3_T4_T5_.num_named_barrier, 0
	.set _ZN2at6native27unrolled_elementwise_kernelIZZZNS0_12_GLOBAL__N_119launch_clamp_scalarERNS_18TensorIteratorBaseEN3c106ScalarES6_NS0_6detail11ClampLimitsEENKUlvE_clEvENKUlvE1_clEvEUliE_St5arrayIPcLm2EELi4E23TrivialOffsetCalculatorILi1EjESG_NS0_6memory15LoadWithoutCastENSH_16StoreWithoutCastEEEviT_T0_T2_T3_T4_T5_.private_seg_size, 0
	.set _ZN2at6native27unrolled_elementwise_kernelIZZZNS0_12_GLOBAL__N_119launch_clamp_scalarERNS_18TensorIteratorBaseEN3c106ScalarES6_NS0_6detail11ClampLimitsEENKUlvE_clEvENKUlvE1_clEvEUliE_St5arrayIPcLm2EELi4E23TrivialOffsetCalculatorILi1EjESG_NS0_6memory15LoadWithoutCastENSH_16StoreWithoutCastEEEviT_T0_T2_T3_T4_T5_.uses_vcc, 1
	.set _ZN2at6native27unrolled_elementwise_kernelIZZZNS0_12_GLOBAL__N_119launch_clamp_scalarERNS_18TensorIteratorBaseEN3c106ScalarES6_NS0_6detail11ClampLimitsEENKUlvE_clEvENKUlvE1_clEvEUliE_St5arrayIPcLm2EELi4E23TrivialOffsetCalculatorILi1EjESG_NS0_6memory15LoadWithoutCastENSH_16StoreWithoutCastEEEviT_T0_T2_T3_T4_T5_.uses_flat_scratch, 0
	.set _ZN2at6native27unrolled_elementwise_kernelIZZZNS0_12_GLOBAL__N_119launch_clamp_scalarERNS_18TensorIteratorBaseEN3c106ScalarES6_NS0_6detail11ClampLimitsEENKUlvE_clEvENKUlvE1_clEvEUliE_St5arrayIPcLm2EELi4E23TrivialOffsetCalculatorILi1EjESG_NS0_6memory15LoadWithoutCastENSH_16StoreWithoutCastEEEviT_T0_T2_T3_T4_T5_.has_dyn_sized_stack, 0
	.set _ZN2at6native27unrolled_elementwise_kernelIZZZNS0_12_GLOBAL__N_119launch_clamp_scalarERNS_18TensorIteratorBaseEN3c106ScalarES6_NS0_6detail11ClampLimitsEENKUlvE_clEvENKUlvE1_clEvEUliE_St5arrayIPcLm2EELi4E23TrivialOffsetCalculatorILi1EjESG_NS0_6memory15LoadWithoutCastENSH_16StoreWithoutCastEEEviT_T0_T2_T3_T4_T5_.has_recursion, 0
	.set _ZN2at6native27unrolled_elementwise_kernelIZZZNS0_12_GLOBAL__N_119launch_clamp_scalarERNS_18TensorIteratorBaseEN3c106ScalarES6_NS0_6detail11ClampLimitsEENKUlvE_clEvENKUlvE1_clEvEUliE_St5arrayIPcLm2EELi4E23TrivialOffsetCalculatorILi1EjESG_NS0_6memory15LoadWithoutCastENSH_16StoreWithoutCastEEEviT_T0_T2_T3_T4_T5_.has_indirect_call, 0
	.section	.AMDGPU.csdata,"",@progbits
; Kernel info:
; codeLenInByte = 1148
; TotalNumSgprs: 16
; NumVgprs: 11
; ScratchSize: 0
; MemoryBound: 0
; FloatMode: 240
; IeeeMode: 1
; LDSByteSize: 0 bytes/workgroup (compile time only)
; SGPRBlocks: 0
; VGPRBlocks: 0
; NumSGPRsForWavesPerEU: 16
; NumVGPRsForWavesPerEU: 11
; NamedBarCnt: 0
; Occupancy: 16
; WaveLimiterHint : 0
; COMPUTE_PGM_RSRC2:SCRATCH_EN: 0
; COMPUTE_PGM_RSRC2:USER_SGPR: 2
; COMPUTE_PGM_RSRC2:TRAP_HANDLER: 0
; COMPUTE_PGM_RSRC2:TGID_X_EN: 1
; COMPUTE_PGM_RSRC2:TGID_Y_EN: 0
; COMPUTE_PGM_RSRC2:TGID_Z_EN: 0
; COMPUTE_PGM_RSRC2:TIDIG_COMP_CNT: 0
	.section	.text._ZN2at6native32elementwise_kernel_manual_unrollILi128ELi4EZNS0_22gpu_kernel_impl_nocastIZZZNS0_12_GLOBAL__N_119launch_clamp_scalarERNS_18TensorIteratorBaseEN3c106ScalarES7_NS0_6detail11ClampLimitsEENKUlvE_clEvENKUlvE1_clEvEUliE_EEvS5_RKT_EUlibE_EEviT1_,"axG",@progbits,_ZN2at6native32elementwise_kernel_manual_unrollILi128ELi4EZNS0_22gpu_kernel_impl_nocastIZZZNS0_12_GLOBAL__N_119launch_clamp_scalarERNS_18TensorIteratorBaseEN3c106ScalarES7_NS0_6detail11ClampLimitsEENKUlvE_clEvENKUlvE1_clEvEUliE_EEvS5_RKT_EUlibE_EEviT1_,comdat
	.globl	_ZN2at6native32elementwise_kernel_manual_unrollILi128ELi4EZNS0_22gpu_kernel_impl_nocastIZZZNS0_12_GLOBAL__N_119launch_clamp_scalarERNS_18TensorIteratorBaseEN3c106ScalarES7_NS0_6detail11ClampLimitsEENKUlvE_clEvENKUlvE1_clEvEUliE_EEvS5_RKT_EUlibE_EEviT1_ ; -- Begin function _ZN2at6native32elementwise_kernel_manual_unrollILi128ELi4EZNS0_22gpu_kernel_impl_nocastIZZZNS0_12_GLOBAL__N_119launch_clamp_scalarERNS_18TensorIteratorBaseEN3c106ScalarES7_NS0_6detail11ClampLimitsEENKUlvE_clEvENKUlvE1_clEvEUliE_EEvS5_RKT_EUlibE_EEviT1_
	.p2align	8
	.type	_ZN2at6native32elementwise_kernel_manual_unrollILi128ELi4EZNS0_22gpu_kernel_impl_nocastIZZZNS0_12_GLOBAL__N_119launch_clamp_scalarERNS_18TensorIteratorBaseEN3c106ScalarES7_NS0_6detail11ClampLimitsEENKUlvE_clEvENKUlvE1_clEvEUliE_EEvS5_RKT_EUlibE_EEviT1_,@function
_ZN2at6native32elementwise_kernel_manual_unrollILi128ELi4EZNS0_22gpu_kernel_impl_nocastIZZZNS0_12_GLOBAL__N_119launch_clamp_scalarERNS_18TensorIteratorBaseEN3c106ScalarES7_NS0_6detail11ClampLimitsEENKUlvE_clEvENKUlvE1_clEvEUliE_EEvS5_RKT_EUlibE_EEviT1_: ; @_ZN2at6native32elementwise_kernel_manual_unrollILi128ELi4EZNS0_22gpu_kernel_impl_nocastIZZZNS0_12_GLOBAL__N_119launch_clamp_scalarERNS_18TensorIteratorBaseEN3c106ScalarES7_NS0_6detail11ClampLimitsEENKUlvE_clEvENKUlvE1_clEvEUliE_EEvS5_RKT_EUlibE_EEviT1_
; %bb.0:
	s_clause 0x1
	s_load_b32 s15, s[0:1], 0x8
	s_load_b32 s37, s[0:1], 0x0
	s_bfe_u32 s2, ttmp6, 0x4000c
	s_and_b32 s3, ttmp6, 15
	s_add_co_i32 s2, s2, 1
	s_getreg_b32 s4, hwreg(HW_REG_IB_STS2, 6, 4)
	s_mul_i32 s2, ttmp9, s2
	s_add_nc_u64 s[16:17], s[0:1], 8
	s_add_co_i32 s3, s3, s2
	s_cmp_eq_u32 s4, 0
	s_mov_b32 s21, 0
	s_cselect_b32 s2, ttmp9, s3
	s_wait_xcnt 0x0
	s_mov_b32 s0, exec_lo
	v_lshl_or_b32 v0, s2, 9, v0
	s_delay_alu instid0(VALU_DEP_1) | instskip(SKIP_2) | instid1(SALU_CYCLE_1)
	v_or_b32_e32 v8, 0x180, v0
	s_wait_kmcnt 0x0
	s_add_co_i32 s33, s15, -1
	s_cmp_gt_u32 s33, 1
	s_cselect_b32 s34, -1, 0
	v_cmpx_le_i32_e64 s37, v8
	s_xor_b32 s35, exec_lo, s0
	s_cbranch_execz .LBB189_109
; %bb.1:
	s_clause 0x4
	s_load_b128 s[4:7], s[16:17], 0x4
	s_load_b64 s[18:19], s[16:17], 0x14
	s_load_b128 s[8:11], s[16:17], 0xc4
	s_load_b128 s[0:3], s[16:17], 0x148
	s_load_b96 s[12:14], s[16:17], 0x158
	s_cmp_lg_u32 s15, 0
	s_add_nc_u64 s[24:25], s[16:17], 0xc4
	s_cselect_b32 s39, -1, 0
	s_min_u32 s38, s33, 15
	s_cmp_gt_u32 s15, 1
	s_mov_b32 s23, s21
	s_cselect_b32 s36, -1, 0
	s_wait_kmcnt 0x0
	s_mov_b32 s20, s5
	s_mov_b32 s22, s18
	s_mov_b32 s5, exec_lo
	v_cmpx_gt_i32_e64 s37, v0
	s_cbranch_execnz .LBB189_5
; %bb.2:
	s_or_b32 exec_lo, exec_lo, s5
	s_delay_alu instid0(SALU_CYCLE_1)
	s_mov_b32 s5, exec_lo
	v_cmpx_gt_i32_e64 s37, v0
	s_cbranch_execnz .LBB189_30
.LBB189_3:
	s_or_b32 exec_lo, exec_lo, s5
	s_delay_alu instid0(SALU_CYCLE_1)
	s_mov_b32 s5, exec_lo
	v_cmpx_gt_i32_e64 s37, v0
	s_cbranch_execnz .LBB189_56
.LBB189_4:
	s_or_b32 exec_lo, exec_lo, s5
	s_delay_alu instid0(SALU_CYCLE_1)
	s_mov_b32 s5, exec_lo
	v_cmpx_gt_i32_e64 s37, v0
	s_cbranch_execnz .LBB189_82
	s_branch .LBB189_108
.LBB189_5:
	s_and_not1_b32 vcc_lo, exec_lo, s34
	s_cbranch_vccnz .LBB189_10
; %bb.6:
	s_and_not1_b32 vcc_lo, exec_lo, s39
	s_cbranch_vccnz .LBB189_11
; %bb.7:
	s_add_co_i32 s18, s38, 1
	s_cmp_eq_u32 s33, 2
	s_cbranch_scc1 .LBB189_12
; %bb.8:
	v_dual_mov_b32 v2, 0 :: v_dual_mov_b32 v3, 0
	v_mov_b32_e32 v1, v0
	s_and_b32 s26, s18, 28
	s_mov_b32 s27, 0
	s_mov_b64 s[28:29], s[16:17]
	s_mov_b64 s[30:31], s[24:25]
.LBB189_9:                              ; =>This Inner Loop Header: Depth=1
	s_clause 0x1
	s_load_b256 s[40:47], s[28:29], 0x4
	s_load_b128 s[56:59], s[28:29], 0x24
	s_load_b256 s[48:55], s[30:31], 0x0
	s_add_co_i32 s27, s27, 4
	s_wait_xcnt 0x0
	s_add_nc_u64 s[28:29], s[28:29], 48
	s_cmp_lg_u32 s26, s27
	s_add_nc_u64 s[30:31], s[30:31], 32
	s_wait_kmcnt 0x0
	v_mul_hi_u32 v4, s41, v1
	s_delay_alu instid0(VALU_DEP_1) | instskip(NEXT) | instid1(VALU_DEP_1)
	v_add_nc_u32_e32 v4, v1, v4
	v_lshrrev_b32_e32 v4, s42, v4
	s_delay_alu instid0(VALU_DEP_1) | instskip(NEXT) | instid1(VALU_DEP_1)
	v_mul_hi_u32 v5, s44, v4
	v_add_nc_u32_e32 v5, v4, v5
	s_delay_alu instid0(VALU_DEP_1) | instskip(NEXT) | instid1(VALU_DEP_1)
	v_lshrrev_b32_e32 v5, s45, v5
	v_mul_hi_u32 v6, s47, v5
	s_delay_alu instid0(VALU_DEP_1) | instskip(SKIP_1) | instid1(VALU_DEP_1)
	v_add_nc_u32_e32 v6, v5, v6
	v_mul_lo_u32 v7, v4, s40
	v_sub_nc_u32_e32 v1, v1, v7
	v_mul_lo_u32 v7, v5, s43
	s_delay_alu instid0(VALU_DEP_4) | instskip(NEXT) | instid1(VALU_DEP_3)
	v_lshrrev_b32_e32 v6, s56, v6
	v_mad_u32 v3, v1, s49, v3
	v_mad_u32 v1, v1, s48, v2
	s_delay_alu instid0(VALU_DEP_4) | instskip(NEXT) | instid1(VALU_DEP_4)
	v_sub_nc_u32_e32 v2, v4, v7
	v_mul_hi_u32 v8, s58, v6
	v_mul_lo_u32 v4, v6, s46
	s_delay_alu instid0(VALU_DEP_3) | instskip(SKIP_1) | instid1(VALU_DEP_4)
	v_mad_u32 v3, v2, s51, v3
	v_mad_u32 v2, v2, s50, v1
	v_add_nc_u32_e32 v7, v6, v8
	s_delay_alu instid0(VALU_DEP_1) | instskip(NEXT) | instid1(VALU_DEP_1)
	v_dual_sub_nc_u32 v4, v5, v4 :: v_dual_lshrrev_b32 v1, s59, v7
	v_mad_u32 v3, v4, s53, v3
	s_delay_alu instid0(VALU_DEP_4) | instskip(NEXT) | instid1(VALU_DEP_3)
	v_mad_u32 v2, v4, s52, v2
	v_mul_lo_u32 v5, v1, s57
	s_delay_alu instid0(VALU_DEP_1) | instskip(NEXT) | instid1(VALU_DEP_1)
	v_sub_nc_u32_e32 v4, v6, v5
	v_mad_u32 v3, v4, s55, v3
	s_delay_alu instid0(VALU_DEP_4)
	v_mad_u32 v2, v4, s54, v2
	s_cbranch_scc1 .LBB189_9
	s_branch .LBB189_13
.LBB189_10:
                                        ; implicit-def: $vgpr3
	s_branch .LBB189_17
.LBB189_11:
	v_dual_mov_b32 v3, 0 :: v_dual_mov_b32 v2, 0
	s_branch .LBB189_16
.LBB189_12:
	v_mov_b64_e32 v[2:3], 0
	v_mov_b32_e32 v1, v0
	s_mov_b32 s26, 0
.LBB189_13:
	s_and_b32 s18, s18, 3
	s_mov_b32 s27, 0
	s_cmp_eq_u32 s18, 0
	s_cbranch_scc1 .LBB189_16
; %bb.14:
	s_lshl_b32 s28, s26, 3
	s_mov_b32 s29, s27
	s_mul_u64 s[30:31], s[26:27], 12
	s_add_nc_u64 s[28:29], s[16:17], s[28:29]
	s_delay_alu instid0(SALU_CYCLE_1)
	s_add_nc_u64 s[26:27], s[28:29], 0xc4
	s_add_nc_u64 s[28:29], s[16:17], s[30:31]
.LBB189_15:                             ; =>This Inner Loop Header: Depth=1
	s_load_b96 s[40:42], s[28:29], 0x4
	s_load_b64 s[30:31], s[26:27], 0x0
	s_add_co_i32 s18, s18, -1
	s_wait_xcnt 0x0
	s_add_nc_u64 s[28:29], s[28:29], 12
	s_cmp_lg_u32 s18, 0
	s_add_nc_u64 s[26:27], s[26:27], 8
	s_wait_kmcnt 0x0
	v_mul_hi_u32 v4, s41, v1
	s_delay_alu instid0(VALU_DEP_1) | instskip(NEXT) | instid1(VALU_DEP_1)
	v_add_nc_u32_e32 v4, v1, v4
	v_lshrrev_b32_e32 v4, s42, v4
	s_delay_alu instid0(VALU_DEP_1) | instskip(NEXT) | instid1(VALU_DEP_1)
	v_mul_lo_u32 v5, v4, s40
	v_sub_nc_u32_e32 v1, v1, v5
	s_delay_alu instid0(VALU_DEP_1)
	v_mad_u32 v3, v1, s31, v3
	v_mad_u32 v2, v1, s30, v2
	v_mov_b32_e32 v1, v4
	s_cbranch_scc1 .LBB189_15
.LBB189_16:
	s_cbranch_execnz .LBB189_19
.LBB189_17:
	v_mov_b32_e32 v1, 0
	s_and_not1_b32 vcc_lo, exec_lo, s36
	s_delay_alu instid0(VALU_DEP_1) | instskip(NEXT) | instid1(VALU_DEP_1)
	v_mul_u64_e32 v[2:3], s[20:21], v[0:1]
	v_add_nc_u32_e32 v2, v0, v3
	s_delay_alu instid0(VALU_DEP_1) | instskip(NEXT) | instid1(VALU_DEP_1)
	v_lshrrev_b32_e32 v4, s6, v2
	v_mul_lo_u32 v2, v4, s4
	s_delay_alu instid0(VALU_DEP_1) | instskip(NEXT) | instid1(VALU_DEP_1)
	v_sub_nc_u32_e32 v2, v0, v2
	v_mul_lo_u32 v3, v2, s9
	v_mul_lo_u32 v2, v2, s8
	s_cbranch_vccnz .LBB189_19
; %bb.18:
	v_mov_b32_e32 v5, v1
	s_delay_alu instid0(VALU_DEP_1) | instskip(NEXT) | instid1(VALU_DEP_1)
	v_mul_u64_e32 v[6:7], s[22:23], v[4:5]
	v_add_nc_u32_e32 v1, v4, v7
	s_delay_alu instid0(VALU_DEP_1) | instskip(NEXT) | instid1(VALU_DEP_1)
	v_lshrrev_b32_e32 v1, s19, v1
	v_mul_lo_u32 v1, v1, s7
	s_delay_alu instid0(VALU_DEP_1) | instskip(NEXT) | instid1(VALU_DEP_1)
	v_sub_nc_u32_e32 v1, v4, v1
	v_mad_u32 v2, v1, s10, v2
	v_mad_u32 v3, v1, s11, v3
.LBB189_19:
	global_load_b32 v1, v3, s[2:3]
	s_cmp_lt_i32 s12, 1
	s_mov_b32 s18, 0
	s_cbranch_scc1 .LBB189_22
; %bb.20:
	s_cmp_eq_u32 s12, 1
	s_cbranch_scc0 .LBB189_23
; %bb.21:
	s_wait_loadcnt 0x0
	v_min_i32_e32 v3, s13, v1
	s_mov_b32 s26, 0
	s_branch .LBB189_24
.LBB189_22:
	s_mov_b32 s26, 0
                                        ; implicit-def: $vgpr3
	s_cbranch_execnz .LBB189_25
	s_branch .LBB189_26
.LBB189_23:
	s_mov_b32 s26, -1
                                        ; implicit-def: $vgpr3
.LBB189_24:
	s_branch .LBB189_26
.LBB189_25:
	s_cmp_lg_u32 s12, 0
	s_mov_b32 s18, -1
	s_cselect_b32 s26, -1, 0
.LBB189_26:
	s_delay_alu instid0(SALU_CYCLE_1)
	s_and_not1_b32 vcc_lo, exec_lo, s26
	s_cbranch_vccz .LBB189_35
; %bb.27:
	s_and_not1_b32 vcc_lo, exec_lo, s18
	s_cbranch_vccnz .LBB189_29
.LBB189_28:
	s_wait_loadcnt 0x0
	v_max_i32_e32 v3, s13, v1
.LBB189_29:
	v_add_nc_u32_e32 v0, 0x80, v0
	global_store_b32 v2, v3, s[0:1]
	s_wait_xcnt 0x0
	s_or_b32 exec_lo, exec_lo, s5
	s_delay_alu instid0(SALU_CYCLE_1)
	s_mov_b32 s5, exec_lo
	v_cmpx_gt_i32_e64 s37, v0
	s_cbranch_execz .LBB189_3
.LBB189_30:
	s_and_not1_b32 vcc_lo, exec_lo, s34
	s_cbranch_vccnz .LBB189_36
; %bb.31:
	s_and_not1_b32 vcc_lo, exec_lo, s39
	s_cbranch_vccnz .LBB189_37
; %bb.32:
	s_add_co_i32 s18, s38, 1
	s_cmp_eq_u32 s33, 2
	s_cbranch_scc1 .LBB189_38
; %bb.33:
	v_dual_mov_b32 v2, 0 :: v_dual_mov_b32 v3, 0
	s_wait_loadcnt 0x0
	v_mov_b32_e32 v1, v0
	s_and_b32 s26, s18, 28
	s_mov_b32 s27, 0
	s_mov_b64 s[28:29], s[16:17]
	s_mov_b64 s[30:31], s[24:25]
.LBB189_34:                             ; =>This Inner Loop Header: Depth=1
	s_clause 0x1
	s_load_b256 s[40:47], s[28:29], 0x4
	s_load_b128 s[56:59], s[28:29], 0x24
	s_load_b256 s[48:55], s[30:31], 0x0
	s_add_co_i32 s27, s27, 4
	s_wait_xcnt 0x0
	s_add_nc_u64 s[28:29], s[28:29], 48
	s_cmp_eq_u32 s26, s27
	s_add_nc_u64 s[30:31], s[30:31], 32
	s_wait_kmcnt 0x0
	v_mul_hi_u32 v4, s41, v1
	s_delay_alu instid0(VALU_DEP_1) | instskip(NEXT) | instid1(VALU_DEP_1)
	v_add_nc_u32_e32 v4, v1, v4
	v_lshrrev_b32_e32 v4, s42, v4
	s_delay_alu instid0(VALU_DEP_1) | instskip(NEXT) | instid1(VALU_DEP_1)
	v_mul_hi_u32 v5, s44, v4
	v_add_nc_u32_e32 v5, v4, v5
	s_delay_alu instid0(VALU_DEP_1) | instskip(NEXT) | instid1(VALU_DEP_1)
	v_lshrrev_b32_e32 v5, s45, v5
	v_mul_hi_u32 v6, s47, v5
	s_delay_alu instid0(VALU_DEP_1) | instskip(SKIP_1) | instid1(VALU_DEP_1)
	v_add_nc_u32_e32 v6, v5, v6
	v_mul_lo_u32 v7, v4, s40
	v_sub_nc_u32_e32 v1, v1, v7
	v_mul_lo_u32 v7, v5, s43
	s_delay_alu instid0(VALU_DEP_4) | instskip(NEXT) | instid1(VALU_DEP_3)
	v_lshrrev_b32_e32 v6, s56, v6
	v_mad_u32 v3, v1, s49, v3
	v_mad_u32 v1, v1, s48, v2
	s_delay_alu instid0(VALU_DEP_4) | instskip(NEXT) | instid1(VALU_DEP_4)
	v_sub_nc_u32_e32 v2, v4, v7
	v_mul_hi_u32 v8, s58, v6
	v_mul_lo_u32 v4, v6, s46
	s_delay_alu instid0(VALU_DEP_3) | instskip(SKIP_1) | instid1(VALU_DEP_4)
	v_mad_u32 v3, v2, s51, v3
	v_mad_u32 v2, v2, s50, v1
	v_add_nc_u32_e32 v7, v6, v8
	s_delay_alu instid0(VALU_DEP_1) | instskip(NEXT) | instid1(VALU_DEP_1)
	v_dual_sub_nc_u32 v4, v5, v4 :: v_dual_lshrrev_b32 v1, s59, v7
	v_mad_u32 v3, v4, s53, v3
	s_delay_alu instid0(VALU_DEP_4) | instskip(NEXT) | instid1(VALU_DEP_3)
	v_mad_u32 v2, v4, s52, v2
	v_mul_lo_u32 v5, v1, s57
	s_delay_alu instid0(VALU_DEP_1) | instskip(NEXT) | instid1(VALU_DEP_1)
	v_sub_nc_u32_e32 v4, v6, v5
	v_mad_u32 v3, v4, s55, v3
	s_delay_alu instid0(VALU_DEP_4)
	v_mad_u32 v2, v4, s54, v2
	s_cbranch_scc0 .LBB189_34
	s_branch .LBB189_39
.LBB189_35:
	s_wait_loadcnt 0x0
	v_maxmin_i32 v3, v1, s13, s14
	s_cbranch_execz .LBB189_28
	s_branch .LBB189_29
.LBB189_36:
                                        ; implicit-def: $vgpr3
	s_branch .LBB189_43
.LBB189_37:
	v_dual_mov_b32 v3, 0 :: v_dual_mov_b32 v2, 0
	s_branch .LBB189_42
.LBB189_38:
	v_mov_b64_e32 v[2:3], 0
	s_wait_loadcnt 0x0
	v_mov_b32_e32 v1, v0
	s_mov_b32 s26, 0
.LBB189_39:
	s_and_b32 s18, s18, 3
	s_mov_b32 s27, 0
	s_cmp_eq_u32 s18, 0
	s_cbranch_scc1 .LBB189_42
; %bb.40:
	s_lshl_b32 s28, s26, 3
	s_mov_b32 s29, s27
	s_mul_u64 s[30:31], s[26:27], 12
	s_add_nc_u64 s[28:29], s[16:17], s[28:29]
	s_delay_alu instid0(SALU_CYCLE_1)
	s_add_nc_u64 s[26:27], s[28:29], 0xc4
	s_add_nc_u64 s[28:29], s[16:17], s[30:31]
.LBB189_41:                             ; =>This Inner Loop Header: Depth=1
	s_load_b96 s[40:42], s[28:29], 0x4
	s_load_b64 s[30:31], s[26:27], 0x0
	s_add_co_i32 s18, s18, -1
	s_wait_xcnt 0x0
	s_add_nc_u64 s[28:29], s[28:29], 12
	s_cmp_lg_u32 s18, 0
	s_add_nc_u64 s[26:27], s[26:27], 8
	s_wait_kmcnt 0x0
	v_mul_hi_u32 v4, s41, v1
	s_delay_alu instid0(VALU_DEP_1) | instskip(NEXT) | instid1(VALU_DEP_1)
	v_add_nc_u32_e32 v4, v1, v4
	v_lshrrev_b32_e32 v4, s42, v4
	s_delay_alu instid0(VALU_DEP_1) | instskip(NEXT) | instid1(VALU_DEP_1)
	v_mul_lo_u32 v5, v4, s40
	v_sub_nc_u32_e32 v1, v1, v5
	s_delay_alu instid0(VALU_DEP_1)
	v_mad_u32 v3, v1, s31, v3
	v_mad_u32 v2, v1, s30, v2
	v_mov_b32_e32 v1, v4
	s_cbranch_scc1 .LBB189_41
.LBB189_42:
	s_cbranch_execnz .LBB189_45
.LBB189_43:
	s_wait_loadcnt 0x0
	v_mov_b32_e32 v1, 0
	s_and_not1_b32 vcc_lo, exec_lo, s36
	s_delay_alu instid0(VALU_DEP_1) | instskip(NEXT) | instid1(VALU_DEP_1)
	v_mul_u64_e32 v[2:3], s[20:21], v[0:1]
	v_add_nc_u32_e32 v2, v0, v3
	s_delay_alu instid0(VALU_DEP_1) | instskip(NEXT) | instid1(VALU_DEP_1)
	v_lshrrev_b32_e32 v4, s6, v2
	v_mul_lo_u32 v2, v4, s4
	s_delay_alu instid0(VALU_DEP_1) | instskip(NEXT) | instid1(VALU_DEP_1)
	v_sub_nc_u32_e32 v2, v0, v2
	v_mul_lo_u32 v3, v2, s9
	v_mul_lo_u32 v2, v2, s8
	s_cbranch_vccnz .LBB189_45
; %bb.44:
	v_mov_b32_e32 v5, v1
	s_delay_alu instid0(VALU_DEP_1) | instskip(NEXT) | instid1(VALU_DEP_1)
	v_mul_u64_e32 v[6:7], s[22:23], v[4:5]
	v_add_nc_u32_e32 v1, v4, v7
	s_delay_alu instid0(VALU_DEP_1) | instskip(NEXT) | instid1(VALU_DEP_1)
	v_lshrrev_b32_e32 v1, s19, v1
	v_mul_lo_u32 v1, v1, s7
	s_delay_alu instid0(VALU_DEP_1) | instskip(NEXT) | instid1(VALU_DEP_1)
	v_sub_nc_u32_e32 v1, v4, v1
	v_mad_u32 v2, v1, s10, v2
	v_mad_u32 v3, v1, s11, v3
.LBB189_45:
	s_wait_loadcnt 0x0
	global_load_b32 v1, v3, s[2:3]
	s_cmp_lt_i32 s12, 1
	s_mov_b32 s18, 0
	s_cbranch_scc1 .LBB189_48
; %bb.46:
	s_cmp_eq_u32 s12, 1
	s_cbranch_scc0 .LBB189_49
; %bb.47:
	s_wait_loadcnt 0x0
	v_min_i32_e32 v3, s13, v1
	s_mov_b32 s26, 0
	s_branch .LBB189_50
.LBB189_48:
	s_mov_b32 s26, 0
                                        ; implicit-def: $vgpr3
	s_cbranch_execnz .LBB189_51
	s_branch .LBB189_52
.LBB189_49:
	s_mov_b32 s26, -1
                                        ; implicit-def: $vgpr3
.LBB189_50:
	s_branch .LBB189_52
.LBB189_51:
	s_cmp_lg_u32 s12, 0
	s_mov_b32 s18, -1
	s_cselect_b32 s26, -1, 0
.LBB189_52:
	s_delay_alu instid0(SALU_CYCLE_1)
	s_and_not1_b32 vcc_lo, exec_lo, s26
	s_cbranch_vccz .LBB189_61
; %bb.53:
	s_and_not1_b32 vcc_lo, exec_lo, s18
	s_cbranch_vccnz .LBB189_55
.LBB189_54:
	s_wait_loadcnt 0x0
	v_max_i32_e32 v3, s13, v1
.LBB189_55:
	v_add_nc_u32_e32 v0, 0x80, v0
	global_store_b32 v2, v3, s[0:1]
	s_wait_xcnt 0x0
	s_or_b32 exec_lo, exec_lo, s5
	s_delay_alu instid0(SALU_CYCLE_1)
	s_mov_b32 s5, exec_lo
	v_cmpx_gt_i32_e64 s37, v0
	s_cbranch_execz .LBB189_4
.LBB189_56:
	s_and_not1_b32 vcc_lo, exec_lo, s34
	s_cbranch_vccnz .LBB189_62
; %bb.57:
	s_and_not1_b32 vcc_lo, exec_lo, s39
	s_cbranch_vccnz .LBB189_63
; %bb.58:
	s_add_co_i32 s18, s38, 1
	s_cmp_eq_u32 s33, 2
	s_cbranch_scc1 .LBB189_64
; %bb.59:
	v_dual_mov_b32 v2, 0 :: v_dual_mov_b32 v3, 0
	s_wait_loadcnt 0x0
	v_mov_b32_e32 v1, v0
	s_and_b32 s26, s18, 28
	s_mov_b32 s27, 0
	s_mov_b64 s[28:29], s[16:17]
	s_mov_b64 s[30:31], s[24:25]
.LBB189_60:                             ; =>This Inner Loop Header: Depth=1
	s_clause 0x1
	s_load_b256 s[40:47], s[28:29], 0x4
	s_load_b128 s[56:59], s[28:29], 0x24
	s_load_b256 s[48:55], s[30:31], 0x0
	s_add_co_i32 s27, s27, 4
	s_wait_xcnt 0x0
	s_add_nc_u64 s[28:29], s[28:29], 48
	s_cmp_eq_u32 s26, s27
	s_add_nc_u64 s[30:31], s[30:31], 32
	s_wait_kmcnt 0x0
	v_mul_hi_u32 v4, s41, v1
	s_delay_alu instid0(VALU_DEP_1) | instskip(NEXT) | instid1(VALU_DEP_1)
	v_add_nc_u32_e32 v4, v1, v4
	v_lshrrev_b32_e32 v4, s42, v4
	s_delay_alu instid0(VALU_DEP_1) | instskip(NEXT) | instid1(VALU_DEP_1)
	v_mul_hi_u32 v5, s44, v4
	v_add_nc_u32_e32 v5, v4, v5
	s_delay_alu instid0(VALU_DEP_1) | instskip(NEXT) | instid1(VALU_DEP_1)
	v_lshrrev_b32_e32 v5, s45, v5
	v_mul_hi_u32 v6, s47, v5
	s_delay_alu instid0(VALU_DEP_1) | instskip(SKIP_1) | instid1(VALU_DEP_1)
	v_add_nc_u32_e32 v6, v5, v6
	v_mul_lo_u32 v7, v4, s40
	v_sub_nc_u32_e32 v1, v1, v7
	v_mul_lo_u32 v7, v5, s43
	s_delay_alu instid0(VALU_DEP_4) | instskip(NEXT) | instid1(VALU_DEP_3)
	v_lshrrev_b32_e32 v6, s56, v6
	v_mad_u32 v3, v1, s49, v3
	v_mad_u32 v1, v1, s48, v2
	s_delay_alu instid0(VALU_DEP_4) | instskip(NEXT) | instid1(VALU_DEP_4)
	v_sub_nc_u32_e32 v2, v4, v7
	v_mul_hi_u32 v8, s58, v6
	v_mul_lo_u32 v4, v6, s46
	s_delay_alu instid0(VALU_DEP_3) | instskip(SKIP_1) | instid1(VALU_DEP_4)
	v_mad_u32 v3, v2, s51, v3
	v_mad_u32 v2, v2, s50, v1
	v_add_nc_u32_e32 v7, v6, v8
	s_delay_alu instid0(VALU_DEP_1) | instskip(NEXT) | instid1(VALU_DEP_1)
	v_dual_sub_nc_u32 v4, v5, v4 :: v_dual_lshrrev_b32 v1, s59, v7
	v_mad_u32 v3, v4, s53, v3
	s_delay_alu instid0(VALU_DEP_4) | instskip(NEXT) | instid1(VALU_DEP_3)
	v_mad_u32 v2, v4, s52, v2
	v_mul_lo_u32 v5, v1, s57
	s_delay_alu instid0(VALU_DEP_1) | instskip(NEXT) | instid1(VALU_DEP_1)
	v_sub_nc_u32_e32 v4, v6, v5
	v_mad_u32 v3, v4, s55, v3
	s_delay_alu instid0(VALU_DEP_4)
	v_mad_u32 v2, v4, s54, v2
	s_cbranch_scc0 .LBB189_60
	s_branch .LBB189_65
.LBB189_61:
	s_wait_loadcnt 0x0
	v_maxmin_i32 v3, v1, s13, s14
	s_cbranch_execz .LBB189_54
	s_branch .LBB189_55
.LBB189_62:
                                        ; implicit-def: $vgpr3
	s_branch .LBB189_69
.LBB189_63:
	v_dual_mov_b32 v3, 0 :: v_dual_mov_b32 v2, 0
	s_branch .LBB189_68
.LBB189_64:
	v_mov_b64_e32 v[2:3], 0
	s_wait_loadcnt 0x0
	v_mov_b32_e32 v1, v0
	s_mov_b32 s26, 0
.LBB189_65:
	s_and_b32 s18, s18, 3
	s_mov_b32 s27, 0
	s_cmp_eq_u32 s18, 0
	s_cbranch_scc1 .LBB189_68
; %bb.66:
	s_lshl_b32 s28, s26, 3
	s_mov_b32 s29, s27
	s_mul_u64 s[30:31], s[26:27], 12
	s_add_nc_u64 s[28:29], s[16:17], s[28:29]
	s_delay_alu instid0(SALU_CYCLE_1)
	s_add_nc_u64 s[26:27], s[28:29], 0xc4
	s_add_nc_u64 s[28:29], s[16:17], s[30:31]
.LBB189_67:                             ; =>This Inner Loop Header: Depth=1
	s_load_b96 s[40:42], s[28:29], 0x4
	s_load_b64 s[30:31], s[26:27], 0x0
	s_add_co_i32 s18, s18, -1
	s_wait_xcnt 0x0
	s_add_nc_u64 s[28:29], s[28:29], 12
	s_cmp_lg_u32 s18, 0
	s_add_nc_u64 s[26:27], s[26:27], 8
	s_wait_kmcnt 0x0
	v_mul_hi_u32 v4, s41, v1
	s_delay_alu instid0(VALU_DEP_1) | instskip(NEXT) | instid1(VALU_DEP_1)
	v_add_nc_u32_e32 v4, v1, v4
	v_lshrrev_b32_e32 v4, s42, v4
	s_delay_alu instid0(VALU_DEP_1) | instskip(NEXT) | instid1(VALU_DEP_1)
	v_mul_lo_u32 v5, v4, s40
	v_sub_nc_u32_e32 v1, v1, v5
	s_delay_alu instid0(VALU_DEP_1)
	v_mad_u32 v3, v1, s31, v3
	v_mad_u32 v2, v1, s30, v2
	v_mov_b32_e32 v1, v4
	s_cbranch_scc1 .LBB189_67
.LBB189_68:
	s_cbranch_execnz .LBB189_71
.LBB189_69:
	s_wait_loadcnt 0x0
	v_mov_b32_e32 v1, 0
	s_and_not1_b32 vcc_lo, exec_lo, s36
	s_delay_alu instid0(VALU_DEP_1) | instskip(NEXT) | instid1(VALU_DEP_1)
	v_mul_u64_e32 v[2:3], s[20:21], v[0:1]
	v_add_nc_u32_e32 v2, v0, v3
	s_delay_alu instid0(VALU_DEP_1) | instskip(NEXT) | instid1(VALU_DEP_1)
	v_lshrrev_b32_e32 v4, s6, v2
	v_mul_lo_u32 v2, v4, s4
	s_delay_alu instid0(VALU_DEP_1) | instskip(NEXT) | instid1(VALU_DEP_1)
	v_sub_nc_u32_e32 v2, v0, v2
	v_mul_lo_u32 v3, v2, s9
	v_mul_lo_u32 v2, v2, s8
	s_cbranch_vccnz .LBB189_71
; %bb.70:
	v_mov_b32_e32 v5, v1
	s_delay_alu instid0(VALU_DEP_1) | instskip(NEXT) | instid1(VALU_DEP_1)
	v_mul_u64_e32 v[6:7], s[22:23], v[4:5]
	v_add_nc_u32_e32 v1, v4, v7
	s_delay_alu instid0(VALU_DEP_1) | instskip(NEXT) | instid1(VALU_DEP_1)
	v_lshrrev_b32_e32 v1, s19, v1
	v_mul_lo_u32 v1, v1, s7
	s_delay_alu instid0(VALU_DEP_1) | instskip(NEXT) | instid1(VALU_DEP_1)
	v_sub_nc_u32_e32 v1, v4, v1
	v_mad_u32 v2, v1, s10, v2
	v_mad_u32 v3, v1, s11, v3
.LBB189_71:
	s_wait_loadcnt 0x0
	global_load_b32 v1, v3, s[2:3]
	s_cmp_lt_i32 s12, 1
	s_mov_b32 s18, 0
	s_cbranch_scc1 .LBB189_74
; %bb.72:
	s_cmp_eq_u32 s12, 1
	s_cbranch_scc0 .LBB189_75
; %bb.73:
	s_wait_loadcnt 0x0
	v_min_i32_e32 v3, s13, v1
	s_mov_b32 s26, 0
	s_branch .LBB189_76
.LBB189_74:
	s_mov_b32 s26, 0
                                        ; implicit-def: $vgpr3
	s_cbranch_execnz .LBB189_77
	s_branch .LBB189_78
.LBB189_75:
	s_mov_b32 s26, -1
                                        ; implicit-def: $vgpr3
.LBB189_76:
	s_branch .LBB189_78
.LBB189_77:
	s_cmp_lg_u32 s12, 0
	s_mov_b32 s18, -1
	s_cselect_b32 s26, -1, 0
.LBB189_78:
	s_delay_alu instid0(SALU_CYCLE_1)
	s_and_not1_b32 vcc_lo, exec_lo, s26
	s_cbranch_vccz .LBB189_87
; %bb.79:
	s_and_not1_b32 vcc_lo, exec_lo, s18
	s_cbranch_vccnz .LBB189_81
.LBB189_80:
	s_wait_loadcnt 0x0
	v_max_i32_e32 v3, s13, v1
.LBB189_81:
	v_add_nc_u32_e32 v0, 0x80, v0
	global_store_b32 v2, v3, s[0:1]
	s_wait_xcnt 0x0
	s_or_b32 exec_lo, exec_lo, s5
	s_delay_alu instid0(SALU_CYCLE_1)
	s_mov_b32 s5, exec_lo
	v_cmpx_gt_i32_e64 s37, v0
	s_cbranch_execz .LBB189_108
.LBB189_82:
	s_and_not1_b32 vcc_lo, exec_lo, s34
	s_cbranch_vccnz .LBB189_88
; %bb.83:
	s_and_not1_b32 vcc_lo, exec_lo, s39
	s_cbranch_vccnz .LBB189_89
; %bb.84:
	s_add_co_i32 s38, s38, 1
	s_cmp_eq_u32 s33, 2
	s_cbranch_scc1 .LBB189_90
; %bb.85:
	v_dual_mov_b32 v2, 0 :: v_dual_mov_b32 v3, 0
	s_wait_loadcnt 0x0
	v_mov_b32_e32 v1, v0
	s_and_b32 s26, s38, 28
	s_mov_b32 s18, 0
	s_mov_b64 s[28:29], s[16:17]
.LBB189_86:                             ; =>This Inner Loop Header: Depth=1
	s_clause 0x1
	s_load_b256 s[40:47], s[28:29], 0x4
	s_load_b128 s[56:59], s[28:29], 0x24
	s_load_b256 s[48:55], s[24:25], 0x0
	s_add_co_i32 s18, s18, 4
	s_wait_xcnt 0x0
	s_add_nc_u64 s[28:29], s[28:29], 48
	s_cmp_eq_u32 s26, s18
	s_add_nc_u64 s[24:25], s[24:25], 32
	s_wait_kmcnt 0x0
	v_mul_hi_u32 v4, s41, v1
	s_delay_alu instid0(VALU_DEP_1) | instskip(NEXT) | instid1(VALU_DEP_1)
	v_add_nc_u32_e32 v4, v1, v4
	v_lshrrev_b32_e32 v4, s42, v4
	s_delay_alu instid0(VALU_DEP_1) | instskip(NEXT) | instid1(VALU_DEP_1)
	v_mul_hi_u32 v5, s44, v4
	v_add_nc_u32_e32 v5, v4, v5
	s_delay_alu instid0(VALU_DEP_1) | instskip(NEXT) | instid1(VALU_DEP_1)
	v_lshrrev_b32_e32 v5, s45, v5
	v_mul_hi_u32 v6, s47, v5
	s_delay_alu instid0(VALU_DEP_1) | instskip(SKIP_1) | instid1(VALU_DEP_1)
	v_add_nc_u32_e32 v6, v5, v6
	v_mul_lo_u32 v7, v4, s40
	v_sub_nc_u32_e32 v1, v1, v7
	v_mul_lo_u32 v7, v5, s43
	s_delay_alu instid0(VALU_DEP_4) | instskip(NEXT) | instid1(VALU_DEP_3)
	v_lshrrev_b32_e32 v6, s56, v6
	v_mad_u32 v3, v1, s49, v3
	v_mad_u32 v1, v1, s48, v2
	s_delay_alu instid0(VALU_DEP_4) | instskip(NEXT) | instid1(VALU_DEP_4)
	v_sub_nc_u32_e32 v2, v4, v7
	v_mul_hi_u32 v8, s58, v6
	v_mul_lo_u32 v4, v6, s46
	s_delay_alu instid0(VALU_DEP_3) | instskip(SKIP_1) | instid1(VALU_DEP_4)
	v_mad_u32 v3, v2, s51, v3
	v_mad_u32 v2, v2, s50, v1
	v_add_nc_u32_e32 v7, v6, v8
	s_delay_alu instid0(VALU_DEP_1) | instskip(NEXT) | instid1(VALU_DEP_1)
	v_dual_sub_nc_u32 v4, v5, v4 :: v_dual_lshrrev_b32 v1, s59, v7
	v_mad_u32 v3, v4, s53, v3
	s_delay_alu instid0(VALU_DEP_4) | instskip(NEXT) | instid1(VALU_DEP_3)
	v_mad_u32 v2, v4, s52, v2
	v_mul_lo_u32 v5, v1, s57
	s_delay_alu instid0(VALU_DEP_1) | instskip(NEXT) | instid1(VALU_DEP_1)
	v_sub_nc_u32_e32 v4, v6, v5
	v_mad_u32 v3, v4, s55, v3
	s_delay_alu instid0(VALU_DEP_4)
	v_mad_u32 v2, v4, s54, v2
	s_cbranch_scc0 .LBB189_86
	s_branch .LBB189_91
.LBB189_87:
	s_wait_loadcnt 0x0
	v_maxmin_i32 v3, v1, s13, s14
	s_cbranch_execz .LBB189_80
	s_branch .LBB189_81
.LBB189_88:
                                        ; implicit-def: $vgpr3
	s_branch .LBB189_95
.LBB189_89:
	v_dual_mov_b32 v3, 0 :: v_dual_mov_b32 v2, 0
	s_branch .LBB189_94
.LBB189_90:
	v_mov_b64_e32 v[2:3], 0
	s_wait_loadcnt 0x0
	v_mov_b32_e32 v1, v0
	s_mov_b32 s26, 0
.LBB189_91:
	s_and_b32 s18, s38, 3
	s_mov_b32 s27, 0
	s_cmp_eq_u32 s18, 0
	s_cbranch_scc1 .LBB189_94
; %bb.92:
	s_lshl_b32 s24, s26, 3
	s_mov_b32 s25, s27
	s_mul_u64 s[26:27], s[26:27], 12
	s_add_nc_u64 s[24:25], s[16:17], s[24:25]
	s_add_nc_u64 s[26:27], s[16:17], s[26:27]
	;; [unrolled: 1-line block ×3, first 2 shown]
.LBB189_93:                             ; =>This Inner Loop Header: Depth=1
	s_load_b96 s[28:30], s[26:27], 0x4
	s_add_co_i32 s18, s18, -1
	s_wait_xcnt 0x0
	s_add_nc_u64 s[26:27], s[26:27], 12
	s_cmp_lg_u32 s18, 0
	s_wait_kmcnt 0x0
	v_mul_hi_u32 v4, s29, v1
	s_delay_alu instid0(VALU_DEP_1) | instskip(NEXT) | instid1(VALU_DEP_1)
	v_add_nc_u32_e32 v4, v1, v4
	v_lshrrev_b32_e32 v4, s30, v4
	s_load_b64 s[30:31], s[24:25], 0x0
	s_wait_xcnt 0x0
	s_add_nc_u64 s[24:25], s[24:25], 8
	s_delay_alu instid0(VALU_DEP_1) | instskip(NEXT) | instid1(VALU_DEP_1)
	v_mul_lo_u32 v5, v4, s28
	v_sub_nc_u32_e32 v1, v1, v5
	s_wait_kmcnt 0x0
	s_delay_alu instid0(VALU_DEP_1)
	v_mad_u32 v3, v1, s31, v3
	v_mad_u32 v2, v1, s30, v2
	v_mov_b32_e32 v1, v4
	s_cbranch_scc1 .LBB189_93
.LBB189_94:
	s_cbranch_execnz .LBB189_97
.LBB189_95:
	s_wait_loadcnt 0x0
	v_mov_b32_e32 v1, 0
	s_and_not1_b32 vcc_lo, exec_lo, s36
	s_delay_alu instid0(VALU_DEP_1) | instskip(NEXT) | instid1(VALU_DEP_1)
	v_mul_u64_e32 v[2:3], s[20:21], v[0:1]
	v_add_nc_u32_e32 v2, v0, v3
	s_delay_alu instid0(VALU_DEP_1) | instskip(NEXT) | instid1(VALU_DEP_1)
	v_lshrrev_b32_e32 v4, s6, v2
	v_mul_lo_u32 v2, v4, s4
	s_delay_alu instid0(VALU_DEP_1) | instskip(NEXT) | instid1(VALU_DEP_1)
	v_sub_nc_u32_e32 v0, v0, v2
	v_mul_lo_u32 v3, v0, s9
	v_mul_lo_u32 v2, v0, s8
	s_cbranch_vccnz .LBB189_97
; %bb.96:
	v_mov_b32_e32 v5, v1
	s_delay_alu instid0(VALU_DEP_1) | instskip(NEXT) | instid1(VALU_DEP_1)
	v_mul_u64_e32 v[0:1], s[22:23], v[4:5]
	v_add_nc_u32_e32 v0, v4, v1
	s_delay_alu instid0(VALU_DEP_1) | instskip(NEXT) | instid1(VALU_DEP_1)
	v_lshrrev_b32_e32 v0, s19, v0
	v_mul_lo_u32 v0, v0, s7
	s_delay_alu instid0(VALU_DEP_1) | instskip(NEXT) | instid1(VALU_DEP_1)
	v_sub_nc_u32_e32 v0, v4, v0
	v_mad_u32 v2, v0, s10, v2
	v_mad_u32 v3, v0, s11, v3
.LBB189_97:
	global_load_b32 v0, v3, s[2:3]
	s_cmp_lt_i32 s12, 1
	s_wait_xcnt 0x0
	s_mov_b32 s2, 0
	s_cbranch_scc1 .LBB189_100
; %bb.98:
	s_cmp_eq_u32 s12, 1
	s_cbranch_scc0 .LBB189_101
; %bb.99:
	s_wait_loadcnt 0x0
	v_min_i32_e32 v1, s13, v0
	s_mov_b32 s3, 0
	s_branch .LBB189_102
.LBB189_100:
	s_mov_b32 s3, 0
                                        ; implicit-def: $vgpr1
	s_cbranch_execnz .LBB189_103
	s_branch .LBB189_104
.LBB189_101:
	s_mov_b32 s3, -1
                                        ; implicit-def: $vgpr1
.LBB189_102:
	s_branch .LBB189_104
.LBB189_103:
	s_cmp_lg_u32 s12, 0
	s_mov_b32 s2, -1
	s_cselect_b32 s3, -1, 0
.LBB189_104:
	s_delay_alu instid0(SALU_CYCLE_1)
	s_and_not1_b32 vcc_lo, exec_lo, s3
	s_cbranch_vccz .LBB189_118
; %bb.105:
	s_and_not1_b32 vcc_lo, exec_lo, s2
	s_cbranch_vccnz .LBB189_107
.LBB189_106:
	s_wait_loadcnt 0x0
	v_max_i32_e32 v1, s13, v0
.LBB189_107:
	s_wait_loadcnt 0x1
	global_store_b32 v2, v1, s[0:1]
.LBB189_108:
	s_wait_xcnt 0x0
	s_or_b32 exec_lo, exec_lo, s5
                                        ; implicit-def: $vgpr8
                                        ; implicit-def: $vgpr0
.LBB189_109:
	s_and_not1_saveexec_b32 s0, s35
	s_cbranch_execz .LBB189_116
; %bb.110:
	v_cndmask_b32_e64 v6, 0, 1, s34
	s_and_not1_b32 vcc_lo, exec_lo, s34
	s_cbranch_vccnz .LBB189_117
; %bb.111:
	s_cmp_lg_u32 s15, 0
	s_mov_b32 s6, 0
	s_cbranch_scc0 .LBB189_119
; %bb.112:
	s_min_u32 s1, s33, 15
	s_delay_alu instid0(SALU_CYCLE_1)
	s_add_co_i32 s1, s1, 1
	s_cmp_eq_u32 s33, 2
	s_cbranch_scc1 .LBB189_120
; %bb.113:
	v_dual_mov_b32 v2, 0 :: v_dual_mov_b32 v3, 0
	s_wait_loadcnt 0x0
	v_mov_b32_e32 v1, v0
	s_and_b32 s0, s1, 28
	s_add_nc_u64 s[2:3], s[16:17], 0xc4
	s_mov_b32 s7, 0
	s_mov_b64 s[4:5], s[16:17]
.LBB189_114:                            ; =>This Inner Loop Header: Depth=1
	s_clause 0x1
	s_load_b256 s[20:27], s[4:5], 0x4
	s_load_b128 s[8:11], s[4:5], 0x24
	s_load_b256 s[36:43], s[2:3], 0x0
	s_add_co_i32 s7, s7, 4
	s_wait_xcnt 0x0
	s_add_nc_u64 s[4:5], s[4:5], 48
	s_cmp_lg_u32 s0, s7
	s_add_nc_u64 s[2:3], s[2:3], 32
	s_wait_kmcnt 0x0
	v_mul_hi_u32 v4, s21, v1
	s_delay_alu instid0(VALU_DEP_1) | instskip(NEXT) | instid1(VALU_DEP_1)
	v_add_nc_u32_e32 v4, v1, v4
	v_lshrrev_b32_e32 v4, s22, v4
	s_delay_alu instid0(VALU_DEP_1) | instskip(NEXT) | instid1(VALU_DEP_1)
	v_mul_hi_u32 v5, s24, v4
	v_add_nc_u32_e32 v5, v4, v5
	s_delay_alu instid0(VALU_DEP_1) | instskip(NEXT) | instid1(VALU_DEP_1)
	v_lshrrev_b32_e32 v5, s25, v5
	v_mul_hi_u32 v7, s27, v5
	s_delay_alu instid0(VALU_DEP_1) | instskip(SKIP_1) | instid1(VALU_DEP_2)
	v_add_nc_u32_e32 v7, v5, v7
	v_mul_lo_u32 v9, v4, s20
	v_lshrrev_b32_e32 v7, s8, v7
	s_delay_alu instid0(VALU_DEP_1) | instskip(NEXT) | instid1(VALU_DEP_3)
	v_mul_hi_u32 v10, s10, v7
	v_sub_nc_u32_e32 v1, v1, v9
	v_mul_lo_u32 v9, v5, s23
	s_delay_alu instid0(VALU_DEP_2) | instskip(SKIP_1) | instid1(VALU_DEP_3)
	v_mad_u32 v3, v1, s37, v3
	v_mad_u32 v1, v1, s36, v2
	v_sub_nc_u32_e32 v2, v4, v9
	v_mul_lo_u32 v4, v7, s26
	v_add_nc_u32_e32 v9, v7, v10
	s_delay_alu instid0(VALU_DEP_3) | instskip(SKIP_1) | instid1(VALU_DEP_3)
	v_mad_u32 v3, v2, s39, v3
	v_mad_u32 v2, v2, s38, v1
	v_dual_sub_nc_u32 v4, v5, v4 :: v_dual_lshrrev_b32 v1, s11, v9
	s_delay_alu instid0(VALU_DEP_1) | instskip(NEXT) | instid1(VALU_DEP_2)
	v_mad_u32 v3, v4, s41, v3
	v_mul_lo_u32 v5, v1, s9
	s_delay_alu instid0(VALU_DEP_4) | instskip(NEXT) | instid1(VALU_DEP_2)
	v_mad_u32 v2, v4, s40, v2
	v_sub_nc_u32_e32 v4, v7, v5
	s_delay_alu instid0(VALU_DEP_1) | instskip(NEXT) | instid1(VALU_DEP_3)
	v_mad_u32 v3, v4, s43, v3
	v_mad_u32 v2, v4, s42, v2
	s_cbranch_scc1 .LBB189_114
; %bb.115:
	s_and_b32 s4, s1, 3
	s_mov_b32 s1, 0
	s_cmp_eq_u32 s4, 0
	s_cbranch_scc0 .LBB189_121
	s_branch .LBB189_123
.LBB189_116:
	s_endpgm
.LBB189_117:
	s_mov_b32 s6, -1
                                        ; implicit-def: $vgpr3
	s_branch .LBB189_123
.LBB189_118:
	s_wait_loadcnt 0x0
	v_maxmin_i32 v1, v0, s13, s14
	s_cbranch_execz .LBB189_106
	s_branch .LBB189_107
.LBB189_119:
	v_dual_mov_b32 v3, 0 :: v_dual_mov_b32 v2, 0
	s_branch .LBB189_123
.LBB189_120:
	v_mov_b64_e32 v[2:3], 0
	s_wait_loadcnt 0x0
	v_mov_b32_e32 v1, v0
	s_mov_b32 s0, 0
	s_and_b32 s4, s1, 3
	s_mov_b32 s1, 0
	s_cmp_eq_u32 s4, 0
	s_cbranch_scc1 .LBB189_123
.LBB189_121:
	s_lshl_b32 s2, s0, 3
	s_mov_b32 s3, s1
	s_mul_u64 s[8:9], s[0:1], 12
	s_add_nc_u64 s[2:3], s[16:17], s[2:3]
	s_delay_alu instid0(SALU_CYCLE_1)
	s_add_nc_u64 s[0:1], s[2:3], 0xc4
	s_add_nc_u64 s[2:3], s[16:17], s[8:9]
.LBB189_122:                            ; =>This Inner Loop Header: Depth=1
	s_load_b96 s[8:10], s[2:3], 0x4
	s_add_co_i32 s4, s4, -1
	s_wait_xcnt 0x0
	s_add_nc_u64 s[2:3], s[2:3], 12
	s_cmp_lg_u32 s4, 0
	s_wait_kmcnt 0x0
	v_mul_hi_u32 v4, s9, v1
	s_delay_alu instid0(VALU_DEP_1) | instskip(NEXT) | instid1(VALU_DEP_1)
	v_add_nc_u32_e32 v4, v1, v4
	v_lshrrev_b32_e32 v4, s10, v4
	s_load_b64 s[10:11], s[0:1], 0x0
	s_wait_xcnt 0x0
	s_add_nc_u64 s[0:1], s[0:1], 8
	s_delay_alu instid0(VALU_DEP_1) | instskip(NEXT) | instid1(VALU_DEP_1)
	v_mul_lo_u32 v5, v4, s8
	v_sub_nc_u32_e32 v1, v1, v5
	s_wait_kmcnt 0x0
	s_delay_alu instid0(VALU_DEP_1)
	v_mad_u32 v3, v1, s11, v3
	v_mad_u32 v2, v1, s10, v2
	v_mov_b32_e32 v1, v4
	s_cbranch_scc1 .LBB189_122
.LBB189_123:
	s_and_not1_b32 vcc_lo, exec_lo, s6
	s_cbranch_vccnz .LBB189_126
; %bb.124:
	s_clause 0x1
	s_load_b96 s[0:2], s[16:17], 0x4
	s_load_b64 s[4:5], s[16:17], 0xc4
	s_cmp_lt_u32 s15, 2
	s_wait_loadcnt 0x0
	s_wait_kmcnt 0x0
	v_mul_hi_u32 v1, s1, v0
	s_delay_alu instid0(VALU_DEP_1) | instskip(NEXT) | instid1(VALU_DEP_1)
	v_add_nc_u32_e32 v1, v0, v1
	v_lshrrev_b32_e32 v1, s2, v1
	s_delay_alu instid0(VALU_DEP_1) | instskip(NEXT) | instid1(VALU_DEP_1)
	v_mul_lo_u32 v2, v1, s0
	v_sub_nc_u32_e32 v2, v0, v2
	s_delay_alu instid0(VALU_DEP_1)
	v_mul_lo_u32 v3, v2, s5
	v_mul_lo_u32 v2, v2, s4
	s_cbranch_scc1 .LBB189_126
; %bb.125:
	s_clause 0x1
	s_load_b96 s[0:2], s[16:17], 0x10
	s_load_b64 s[4:5], s[16:17], 0xcc
	s_wait_kmcnt 0x0
	v_mul_hi_u32 v4, s1, v1
	s_delay_alu instid0(VALU_DEP_1) | instskip(NEXT) | instid1(VALU_DEP_1)
	v_add_nc_u32_e32 v4, v1, v4
	v_lshrrev_b32_e32 v4, s2, v4
	s_delay_alu instid0(VALU_DEP_1) | instskip(NEXT) | instid1(VALU_DEP_1)
	v_mul_lo_u32 v4, v4, s0
	v_sub_nc_u32_e32 v1, v1, v4
	s_delay_alu instid0(VALU_DEP_1)
	v_mad_u32 v2, v1, s4, v2
	v_mad_u32 v3, v1, s5, v3
.LBB189_126:
	v_cmp_ne_u32_e32 vcc_lo, 1, v6
	s_wait_loadcnt 0x0
	v_add_nc_u32_e32 v1, 0x80, v0
	s_cbranch_vccnz .LBB189_132
; %bb.127:
	s_cmp_lg_u32 s15, 0
	s_mov_b32 s6, 0
	s_cbranch_scc0 .LBB189_133
; %bb.128:
	s_min_u32 s1, s33, 15
	s_delay_alu instid0(SALU_CYCLE_1)
	s_add_co_i32 s1, s1, 1
	s_cmp_eq_u32 s33, 2
	s_cbranch_scc1 .LBB189_134
; %bb.129:
	v_dual_mov_b32 v4, 0 :: v_dual_mov_b32 v5, 0
	v_mov_b32_e32 v7, v1
	s_and_b32 s0, s1, 28
	s_add_nc_u64 s[2:3], s[16:17], 0xc4
	s_mov_b32 s7, 0
	s_mov_b64 s[4:5], s[16:17]
.LBB189_130:                            ; =>This Inner Loop Header: Depth=1
	s_clause 0x1
	s_load_b256 s[20:27], s[4:5], 0x4
	s_load_b128 s[8:11], s[4:5], 0x24
	s_load_b256 s[36:43], s[2:3], 0x0
	s_add_co_i32 s7, s7, 4
	s_wait_xcnt 0x0
	s_add_nc_u64 s[4:5], s[4:5], 48
	s_cmp_lg_u32 s0, s7
	s_add_nc_u64 s[2:3], s[2:3], 32
	s_wait_kmcnt 0x0
	v_mul_hi_u32 v9, s21, v7
	s_delay_alu instid0(VALU_DEP_1) | instskip(NEXT) | instid1(VALU_DEP_1)
	v_add_nc_u32_e32 v9, v7, v9
	v_lshrrev_b32_e32 v9, s22, v9
	s_delay_alu instid0(VALU_DEP_1) | instskip(NEXT) | instid1(VALU_DEP_1)
	v_mul_hi_u32 v10, s24, v9
	v_add_nc_u32_e32 v10, v9, v10
	s_delay_alu instid0(VALU_DEP_1) | instskip(NEXT) | instid1(VALU_DEP_1)
	v_lshrrev_b32_e32 v10, s25, v10
	v_mul_hi_u32 v11, s27, v10
	s_delay_alu instid0(VALU_DEP_1) | instskip(SKIP_1) | instid1(VALU_DEP_1)
	v_add_nc_u32_e32 v11, v10, v11
	v_mul_lo_u32 v12, v9, s20
	v_sub_nc_u32_e32 v7, v7, v12
	v_mul_lo_u32 v12, v10, s23
	s_delay_alu instid0(VALU_DEP_4) | instskip(NEXT) | instid1(VALU_DEP_3)
	v_lshrrev_b32_e32 v11, s8, v11
	v_mad_u32 v5, v7, s37, v5
	v_mad_u32 v4, v7, s36, v4
	s_delay_alu instid0(VALU_DEP_4) | instskip(NEXT) | instid1(VALU_DEP_4)
	v_sub_nc_u32_e32 v7, v9, v12
	v_mul_hi_u32 v13, s10, v11
	v_mul_lo_u32 v9, v11, s26
	s_delay_alu instid0(VALU_DEP_3) | instskip(SKIP_1) | instid1(VALU_DEP_4)
	v_mad_u32 v5, v7, s39, v5
	v_mad_u32 v4, v7, s38, v4
	v_add_nc_u32_e32 v12, v11, v13
	s_delay_alu instid0(VALU_DEP_1) | instskip(NEXT) | instid1(VALU_DEP_1)
	v_dual_sub_nc_u32 v9, v10, v9 :: v_dual_lshrrev_b32 v7, s11, v12
	v_mad_u32 v5, v9, s41, v5
	s_delay_alu instid0(VALU_DEP_4) | instskip(NEXT) | instid1(VALU_DEP_3)
	v_mad_u32 v4, v9, s40, v4
	v_mul_lo_u32 v10, v7, s9
	s_delay_alu instid0(VALU_DEP_1) | instskip(NEXT) | instid1(VALU_DEP_1)
	v_sub_nc_u32_e32 v9, v11, v10
	v_mad_u32 v5, v9, s43, v5
	s_delay_alu instid0(VALU_DEP_4)
	v_mad_u32 v4, v9, s42, v4
	s_cbranch_scc1 .LBB189_130
; %bb.131:
	s_and_b32 s4, s1, 3
	s_mov_b32 s1, 0
	s_cmp_eq_u32 s4, 0
	s_cbranch_scc0 .LBB189_135
	s_branch .LBB189_137
.LBB189_132:
	s_mov_b32 s6, -1
                                        ; implicit-def: $vgpr5
	s_branch .LBB189_137
.LBB189_133:
	v_dual_mov_b32 v5, 0 :: v_dual_mov_b32 v4, 0
	s_branch .LBB189_137
.LBB189_134:
	v_mov_b64_e32 v[4:5], 0
	v_mov_b32_e32 v7, v1
	s_mov_b32 s0, 0
	s_and_b32 s4, s1, 3
	s_mov_b32 s1, 0
	s_cmp_eq_u32 s4, 0
	s_cbranch_scc1 .LBB189_137
.LBB189_135:
	s_lshl_b32 s2, s0, 3
	s_mov_b32 s3, s1
	s_mul_u64 s[8:9], s[0:1], 12
	s_add_nc_u64 s[2:3], s[16:17], s[2:3]
	s_delay_alu instid0(SALU_CYCLE_1)
	s_add_nc_u64 s[0:1], s[2:3], 0xc4
	s_add_nc_u64 s[2:3], s[16:17], s[8:9]
.LBB189_136:                            ; =>This Inner Loop Header: Depth=1
	s_load_b96 s[8:10], s[2:3], 0x4
	s_add_co_i32 s4, s4, -1
	s_wait_xcnt 0x0
	s_add_nc_u64 s[2:3], s[2:3], 12
	s_cmp_lg_u32 s4, 0
	s_wait_kmcnt 0x0
	v_mul_hi_u32 v9, s9, v7
	s_delay_alu instid0(VALU_DEP_1) | instskip(NEXT) | instid1(VALU_DEP_1)
	v_add_nc_u32_e32 v9, v7, v9
	v_lshrrev_b32_e32 v9, s10, v9
	s_load_b64 s[10:11], s[0:1], 0x0
	s_wait_xcnt 0x0
	s_add_nc_u64 s[0:1], s[0:1], 8
	s_delay_alu instid0(VALU_DEP_1) | instskip(NEXT) | instid1(VALU_DEP_1)
	v_mul_lo_u32 v10, v9, s8
	v_sub_nc_u32_e32 v7, v7, v10
	s_wait_kmcnt 0x0
	s_delay_alu instid0(VALU_DEP_1)
	v_mad_u32 v5, v7, s11, v5
	v_mad_u32 v4, v7, s10, v4
	v_mov_b32_e32 v7, v9
	s_cbranch_scc1 .LBB189_136
.LBB189_137:
	s_and_not1_b32 vcc_lo, exec_lo, s6
	s_cbranch_vccnz .LBB189_140
; %bb.138:
	s_clause 0x1
	s_load_b96 s[0:2], s[16:17], 0x4
	s_load_b64 s[4:5], s[16:17], 0xc4
	s_cmp_lt_u32 s15, 2
	s_wait_kmcnt 0x0
	v_mul_hi_u32 v4, s1, v1
	s_delay_alu instid0(VALU_DEP_1) | instskip(NEXT) | instid1(VALU_DEP_1)
	v_add_nc_u32_e32 v4, v1, v4
	v_lshrrev_b32_e32 v7, s2, v4
	s_delay_alu instid0(VALU_DEP_1) | instskip(NEXT) | instid1(VALU_DEP_1)
	v_mul_lo_u32 v4, v7, s0
	v_sub_nc_u32_e32 v1, v1, v4
	s_delay_alu instid0(VALU_DEP_1)
	v_mul_lo_u32 v5, v1, s5
	v_mul_lo_u32 v4, v1, s4
	s_cbranch_scc1 .LBB189_140
; %bb.139:
	s_clause 0x1
	s_load_b96 s[0:2], s[16:17], 0x10
	s_load_b64 s[4:5], s[16:17], 0xcc
	s_wait_kmcnt 0x0
	v_mul_hi_u32 v1, s1, v7
	s_delay_alu instid0(VALU_DEP_1) | instskip(NEXT) | instid1(VALU_DEP_1)
	v_add_nc_u32_e32 v1, v7, v1
	v_lshrrev_b32_e32 v1, s2, v1
	s_delay_alu instid0(VALU_DEP_1) | instskip(NEXT) | instid1(VALU_DEP_1)
	v_mul_lo_u32 v1, v1, s0
	v_sub_nc_u32_e32 v1, v7, v1
	s_delay_alu instid0(VALU_DEP_1)
	v_mad_u32 v4, v1, s4, v4
	v_mad_u32 v5, v1, s5, v5
.LBB189_140:
	v_cmp_ne_u32_e32 vcc_lo, 1, v6
	v_add_nc_u32_e32 v7, 0x100, v0
	s_cbranch_vccnz .LBB189_146
; %bb.141:
	s_cmp_lg_u32 s15, 0
	s_mov_b32 s6, 0
	s_cbranch_scc0 .LBB189_147
; %bb.142:
	s_min_u32 s1, s33, 15
	s_delay_alu instid0(SALU_CYCLE_1)
	s_add_co_i32 s1, s1, 1
	s_cmp_eq_u32 s33, 2
	s_cbranch_scc1 .LBB189_148
; %bb.143:
	v_dual_mov_b32 v0, 0 :: v_dual_mov_b32 v1, 0
	v_mov_b32_e32 v9, v7
	s_and_b32 s0, s1, 28
	s_add_nc_u64 s[2:3], s[16:17], 0xc4
	s_mov_b32 s7, 0
	s_mov_b64 s[4:5], s[16:17]
.LBB189_144:                            ; =>This Inner Loop Header: Depth=1
	s_clause 0x1
	s_load_b256 s[20:27], s[4:5], 0x4
	s_load_b128 s[8:11], s[4:5], 0x24
	s_load_b256 s[36:43], s[2:3], 0x0
	s_add_co_i32 s7, s7, 4
	s_wait_xcnt 0x0
	s_add_nc_u64 s[4:5], s[4:5], 48
	s_cmp_lg_u32 s0, s7
	s_add_nc_u64 s[2:3], s[2:3], 32
	s_wait_kmcnt 0x0
	v_mul_hi_u32 v10, s21, v9
	s_delay_alu instid0(VALU_DEP_1) | instskip(NEXT) | instid1(VALU_DEP_1)
	v_add_nc_u32_e32 v10, v9, v10
	v_lshrrev_b32_e32 v10, s22, v10
	s_delay_alu instid0(VALU_DEP_1) | instskip(NEXT) | instid1(VALU_DEP_1)
	v_mul_hi_u32 v11, s24, v10
	v_add_nc_u32_e32 v11, v10, v11
	s_delay_alu instid0(VALU_DEP_1) | instskip(NEXT) | instid1(VALU_DEP_1)
	v_lshrrev_b32_e32 v11, s25, v11
	v_mul_hi_u32 v12, s27, v11
	s_delay_alu instid0(VALU_DEP_1) | instskip(SKIP_1) | instid1(VALU_DEP_1)
	v_add_nc_u32_e32 v12, v11, v12
	v_mul_lo_u32 v13, v10, s20
	v_sub_nc_u32_e32 v9, v9, v13
	v_mul_lo_u32 v13, v11, s23
	s_delay_alu instid0(VALU_DEP_4) | instskip(NEXT) | instid1(VALU_DEP_3)
	v_lshrrev_b32_e32 v12, s8, v12
	v_mad_u32 v1, v9, s37, v1
	v_mad_u32 v0, v9, s36, v0
	s_delay_alu instid0(VALU_DEP_4) | instskip(NEXT) | instid1(VALU_DEP_4)
	v_sub_nc_u32_e32 v9, v10, v13
	v_mul_hi_u32 v14, s10, v12
	v_mul_lo_u32 v10, v12, s26
	s_delay_alu instid0(VALU_DEP_3) | instskip(SKIP_1) | instid1(VALU_DEP_4)
	v_mad_u32 v1, v9, s39, v1
	v_mad_u32 v0, v9, s38, v0
	v_add_nc_u32_e32 v13, v12, v14
	s_delay_alu instid0(VALU_DEP_1) | instskip(NEXT) | instid1(VALU_DEP_1)
	v_dual_sub_nc_u32 v10, v11, v10 :: v_dual_lshrrev_b32 v9, s11, v13
	v_mad_u32 v1, v10, s41, v1
	s_delay_alu instid0(VALU_DEP_4) | instskip(NEXT) | instid1(VALU_DEP_3)
	v_mad_u32 v0, v10, s40, v0
	v_mul_lo_u32 v11, v9, s9
	s_delay_alu instid0(VALU_DEP_1) | instskip(NEXT) | instid1(VALU_DEP_1)
	v_sub_nc_u32_e32 v10, v12, v11
	v_mad_u32 v1, v10, s43, v1
	s_delay_alu instid0(VALU_DEP_4)
	v_mad_u32 v0, v10, s42, v0
	s_cbranch_scc1 .LBB189_144
; %bb.145:
	s_and_b32 s4, s1, 3
	s_mov_b32 s1, 0
	s_cmp_eq_u32 s4, 0
	s_cbranch_scc0 .LBB189_149
	s_branch .LBB189_151
.LBB189_146:
	s_mov_b32 s6, -1
                                        ; implicit-def: $vgpr1
	s_branch .LBB189_151
.LBB189_147:
	v_dual_mov_b32 v1, 0 :: v_dual_mov_b32 v0, 0
	s_branch .LBB189_151
.LBB189_148:
	v_mov_b64_e32 v[0:1], 0
	v_mov_b32_e32 v9, v7
	s_mov_b32 s0, 0
	s_and_b32 s4, s1, 3
	s_mov_b32 s1, 0
	s_cmp_eq_u32 s4, 0
	s_cbranch_scc1 .LBB189_151
.LBB189_149:
	s_lshl_b32 s2, s0, 3
	s_mov_b32 s3, s1
	s_mul_u64 s[8:9], s[0:1], 12
	s_add_nc_u64 s[2:3], s[16:17], s[2:3]
	s_delay_alu instid0(SALU_CYCLE_1)
	s_add_nc_u64 s[0:1], s[2:3], 0xc4
	s_add_nc_u64 s[2:3], s[16:17], s[8:9]
.LBB189_150:                            ; =>This Inner Loop Header: Depth=1
	s_load_b96 s[8:10], s[2:3], 0x4
	s_add_co_i32 s4, s4, -1
	s_wait_xcnt 0x0
	s_add_nc_u64 s[2:3], s[2:3], 12
	s_cmp_lg_u32 s4, 0
	s_wait_kmcnt 0x0
	v_mul_hi_u32 v10, s9, v9
	s_delay_alu instid0(VALU_DEP_1) | instskip(NEXT) | instid1(VALU_DEP_1)
	v_add_nc_u32_e32 v10, v9, v10
	v_lshrrev_b32_e32 v10, s10, v10
	s_load_b64 s[10:11], s[0:1], 0x0
	s_wait_xcnt 0x0
	s_add_nc_u64 s[0:1], s[0:1], 8
	s_delay_alu instid0(VALU_DEP_1) | instskip(NEXT) | instid1(VALU_DEP_1)
	v_mul_lo_u32 v11, v10, s8
	v_sub_nc_u32_e32 v9, v9, v11
	s_wait_kmcnt 0x0
	s_delay_alu instid0(VALU_DEP_1)
	v_mad_u32 v1, v9, s11, v1
	v_mad_u32 v0, v9, s10, v0
	v_mov_b32_e32 v9, v10
	s_cbranch_scc1 .LBB189_150
.LBB189_151:
	s_and_not1_b32 vcc_lo, exec_lo, s6
	s_cbranch_vccnz .LBB189_154
; %bb.152:
	s_clause 0x1
	s_load_b96 s[0:2], s[16:17], 0x4
	s_load_b64 s[4:5], s[16:17], 0xc4
	s_cmp_lt_u32 s15, 2
	s_wait_kmcnt 0x0
	v_mul_hi_u32 v0, s1, v7
	s_delay_alu instid0(VALU_DEP_1) | instskip(NEXT) | instid1(VALU_DEP_1)
	v_add_nc_u32_e32 v0, v7, v0
	v_lshrrev_b32_e32 v9, s2, v0
	s_delay_alu instid0(VALU_DEP_1) | instskip(NEXT) | instid1(VALU_DEP_1)
	v_mul_lo_u32 v0, v9, s0
	v_sub_nc_u32_e32 v0, v7, v0
	s_delay_alu instid0(VALU_DEP_1)
	v_mul_lo_u32 v1, v0, s5
	v_mul_lo_u32 v0, v0, s4
	s_cbranch_scc1 .LBB189_154
; %bb.153:
	s_clause 0x1
	s_load_b96 s[0:2], s[16:17], 0x10
	s_load_b64 s[4:5], s[16:17], 0xcc
	s_wait_kmcnt 0x0
	v_mul_hi_u32 v7, s1, v9
	s_delay_alu instid0(VALU_DEP_1) | instskip(NEXT) | instid1(VALU_DEP_1)
	v_add_nc_u32_e32 v7, v9, v7
	v_lshrrev_b32_e32 v7, s2, v7
	s_delay_alu instid0(VALU_DEP_1) | instskip(NEXT) | instid1(VALU_DEP_1)
	v_mul_lo_u32 v7, v7, s0
	v_sub_nc_u32_e32 v7, v9, v7
	s_delay_alu instid0(VALU_DEP_1)
	v_mad_u32 v0, v7, s4, v0
	v_mad_u32 v1, v7, s5, v1
.LBB189_154:
	v_cmp_ne_u32_e32 vcc_lo, 1, v6
	s_cbranch_vccnz .LBB189_160
; %bb.155:
	s_cmp_lg_u32 s15, 0
	s_mov_b32 s6, 0
	s_cbranch_scc0 .LBB189_161
; %bb.156:
	s_min_u32 s1, s33, 15
	s_delay_alu instid0(SALU_CYCLE_1)
	s_add_co_i32 s1, s1, 1
	s_cmp_eq_u32 s33, 2
	s_cbranch_scc1 .LBB189_162
; %bb.157:
	v_dual_mov_b32 v6, 0 :: v_dual_mov_b32 v7, 0
	v_mov_b32_e32 v9, v8
	s_and_b32 s0, s1, 28
	s_add_nc_u64 s[2:3], s[16:17], 0xc4
	s_mov_b32 s7, 0
	s_mov_b64 s[4:5], s[16:17]
.LBB189_158:                            ; =>This Inner Loop Header: Depth=1
	s_clause 0x1
	s_load_b256 s[20:27], s[4:5], 0x4
	s_load_b128 s[8:11], s[4:5], 0x24
	s_load_b256 s[36:43], s[2:3], 0x0
	s_add_co_i32 s7, s7, 4
	s_wait_xcnt 0x0
	s_add_nc_u64 s[4:5], s[4:5], 48
	s_cmp_lg_u32 s0, s7
	s_add_nc_u64 s[2:3], s[2:3], 32
	s_wait_kmcnt 0x0
	v_mul_hi_u32 v10, s21, v9
	s_delay_alu instid0(VALU_DEP_1) | instskip(NEXT) | instid1(VALU_DEP_1)
	v_add_nc_u32_e32 v10, v9, v10
	v_lshrrev_b32_e32 v10, s22, v10
	s_delay_alu instid0(VALU_DEP_1) | instskip(NEXT) | instid1(VALU_DEP_1)
	v_mul_hi_u32 v11, s24, v10
	v_add_nc_u32_e32 v11, v10, v11
	s_delay_alu instid0(VALU_DEP_1) | instskip(NEXT) | instid1(VALU_DEP_1)
	v_lshrrev_b32_e32 v11, s25, v11
	v_mul_hi_u32 v12, s27, v11
	s_delay_alu instid0(VALU_DEP_1) | instskip(SKIP_1) | instid1(VALU_DEP_1)
	v_add_nc_u32_e32 v12, v11, v12
	v_mul_lo_u32 v13, v10, s20
	v_sub_nc_u32_e32 v9, v9, v13
	v_mul_lo_u32 v13, v11, s23
	s_delay_alu instid0(VALU_DEP_4) | instskip(NEXT) | instid1(VALU_DEP_3)
	v_lshrrev_b32_e32 v12, s8, v12
	v_mad_u32 v7, v9, s37, v7
	v_mad_u32 v6, v9, s36, v6
	s_delay_alu instid0(VALU_DEP_4) | instskip(NEXT) | instid1(VALU_DEP_4)
	v_sub_nc_u32_e32 v9, v10, v13
	v_mul_hi_u32 v14, s10, v12
	v_mul_lo_u32 v10, v12, s26
	s_delay_alu instid0(VALU_DEP_3) | instskip(SKIP_1) | instid1(VALU_DEP_4)
	v_mad_u32 v7, v9, s39, v7
	v_mad_u32 v6, v9, s38, v6
	v_add_nc_u32_e32 v13, v12, v14
	s_delay_alu instid0(VALU_DEP_1) | instskip(NEXT) | instid1(VALU_DEP_1)
	v_dual_sub_nc_u32 v10, v11, v10 :: v_dual_lshrrev_b32 v9, s11, v13
	v_mad_u32 v7, v10, s41, v7
	s_delay_alu instid0(VALU_DEP_4) | instskip(NEXT) | instid1(VALU_DEP_3)
	v_mad_u32 v6, v10, s40, v6
	v_mul_lo_u32 v11, v9, s9
	s_delay_alu instid0(VALU_DEP_1) | instskip(NEXT) | instid1(VALU_DEP_1)
	v_sub_nc_u32_e32 v10, v12, v11
	v_mad_u32 v7, v10, s43, v7
	s_delay_alu instid0(VALU_DEP_4)
	v_mad_u32 v6, v10, s42, v6
	s_cbranch_scc1 .LBB189_158
; %bb.159:
	s_and_b32 s4, s1, 3
	s_mov_b32 s1, 0
	s_cmp_eq_u32 s4, 0
	s_cbranch_scc0 .LBB189_163
	s_branch .LBB189_165
.LBB189_160:
	s_mov_b32 s6, -1
                                        ; implicit-def: $vgpr7
	s_branch .LBB189_165
.LBB189_161:
	v_dual_mov_b32 v7, 0 :: v_dual_mov_b32 v6, 0
	s_branch .LBB189_165
.LBB189_162:
	v_mov_b64_e32 v[6:7], 0
	v_mov_b32_e32 v9, v8
	s_mov_b32 s0, 0
	s_and_b32 s4, s1, 3
	s_mov_b32 s1, 0
	s_cmp_eq_u32 s4, 0
	s_cbranch_scc1 .LBB189_165
.LBB189_163:
	s_lshl_b32 s2, s0, 3
	s_mov_b32 s3, s1
	s_mul_u64 s[8:9], s[0:1], 12
	s_add_nc_u64 s[2:3], s[16:17], s[2:3]
	s_delay_alu instid0(SALU_CYCLE_1)
	s_add_nc_u64 s[0:1], s[2:3], 0xc4
	s_add_nc_u64 s[2:3], s[16:17], s[8:9]
.LBB189_164:                            ; =>This Inner Loop Header: Depth=1
	s_load_b96 s[8:10], s[2:3], 0x4
	s_add_co_i32 s4, s4, -1
	s_wait_xcnt 0x0
	s_add_nc_u64 s[2:3], s[2:3], 12
	s_cmp_lg_u32 s4, 0
	s_wait_kmcnt 0x0
	v_mul_hi_u32 v10, s9, v9
	s_delay_alu instid0(VALU_DEP_1) | instskip(NEXT) | instid1(VALU_DEP_1)
	v_add_nc_u32_e32 v10, v9, v10
	v_lshrrev_b32_e32 v10, s10, v10
	s_load_b64 s[10:11], s[0:1], 0x0
	s_wait_xcnt 0x0
	s_add_nc_u64 s[0:1], s[0:1], 8
	s_delay_alu instid0(VALU_DEP_1) | instskip(NEXT) | instid1(VALU_DEP_1)
	v_mul_lo_u32 v11, v10, s8
	v_sub_nc_u32_e32 v9, v9, v11
	s_wait_kmcnt 0x0
	s_delay_alu instid0(VALU_DEP_1)
	v_mad_u32 v7, v9, s11, v7
	v_mad_u32 v6, v9, s10, v6
	v_mov_b32_e32 v9, v10
	s_cbranch_scc1 .LBB189_164
.LBB189_165:
	s_and_not1_b32 vcc_lo, exec_lo, s6
	s_cbranch_vccnz .LBB189_168
; %bb.166:
	s_clause 0x1
	s_load_b96 s[0:2], s[16:17], 0x4
	s_load_b64 s[4:5], s[16:17], 0xc4
	s_cmp_lt_u32 s15, 2
	s_wait_kmcnt 0x0
	v_mul_hi_u32 v6, s1, v8
	s_delay_alu instid0(VALU_DEP_1) | instskip(NEXT) | instid1(VALU_DEP_1)
	v_add_nc_u32_e32 v6, v8, v6
	v_lshrrev_b32_e32 v9, s2, v6
	s_delay_alu instid0(VALU_DEP_1) | instskip(NEXT) | instid1(VALU_DEP_1)
	v_mul_lo_u32 v6, v9, s0
	v_sub_nc_u32_e32 v6, v8, v6
	s_delay_alu instid0(VALU_DEP_1)
	v_mul_lo_u32 v7, v6, s5
	v_mul_lo_u32 v6, v6, s4
	s_cbranch_scc1 .LBB189_168
; %bb.167:
	s_clause 0x1
	s_load_b96 s[0:2], s[16:17], 0x10
	s_load_b64 s[4:5], s[16:17], 0xcc
	s_wait_kmcnt 0x0
	v_mul_hi_u32 v8, s1, v9
	s_delay_alu instid0(VALU_DEP_1) | instskip(NEXT) | instid1(VALU_DEP_1)
	v_add_nc_u32_e32 v8, v9, v8
	v_lshrrev_b32_e32 v8, s2, v8
	s_delay_alu instid0(VALU_DEP_1) | instskip(NEXT) | instid1(VALU_DEP_1)
	v_mul_lo_u32 v8, v8, s0
	v_sub_nc_u32_e32 v8, v9, v8
	s_delay_alu instid0(VALU_DEP_1)
	v_mad_u32 v6, v8, s4, v6
	v_mad_u32 v7, v8, s5, v7
.LBB189_168:
	s_clause 0x1
	s_load_b128 s[0:3], s[16:17], 0x148
	s_load_b64 s[4:5], s[16:17], 0x158
	s_mov_b32 s6, 0
	s_wait_kmcnt 0x0
	global_load_b32 v8, v3, s[2:3]
	s_cmp_lt_i32 s4, 1
	s_cbranch_scc1 .LBB189_171
; %bb.169:
	s_cmp_eq_u32 s4, 1
	s_cbranch_scc0 .LBB189_172
; %bb.170:
	s_wait_loadcnt 0x0
	v_min_i32_e32 v3, s5, v8
	s_mov_b32 s7, 0
	s_branch .LBB189_173
.LBB189_171:
	s_mov_b32 s7, 0
                                        ; implicit-def: $vgpr3
	s_cbranch_execnz .LBB189_174
	s_branch .LBB189_175
.LBB189_172:
	s_mov_b32 s7, -1
                                        ; implicit-def: $vgpr3
.LBB189_173:
	s_branch .LBB189_175
.LBB189_174:
	s_cmp_lg_u32 s4, 0
	s_mov_b32 s6, -1
	s_cselect_b32 s7, -1, 0
.LBB189_175:
	s_delay_alu instid0(SALU_CYCLE_1)
	s_and_not1_b32 vcc_lo, exec_lo, s7
	s_cbranch_vccz .LBB189_180
; %bb.176:
	s_and_not1_b32 vcc_lo, exec_lo, s6
	s_cbranch_vccz .LBB189_181
.LBB189_177:
	s_wait_loadcnt 0x0
	global_load_b32 v8, v5, s[2:3]
	s_cmp_lt_i32 s4, 1
	s_mov_b32 s6, 0
	s_cbranch_scc1 .LBB189_182
.LBB189_178:
	s_cmp_eq_u32 s4, 1
	s_cbranch_scc0 .LBB189_183
; %bb.179:
	s_wait_loadcnt 0x0
	v_min_i32_e32 v5, s5, v8
	s_mov_b32 s7, 0
	s_branch .LBB189_184
.LBB189_180:
	s_load_b32 s6, s[16:17], 0x160
	s_wait_loadcnt 0x0
	s_wait_kmcnt 0x0
	v_maxmin_i32 v3, v8, s5, s6
	s_cbranch_execnz .LBB189_177
.LBB189_181:
	s_wait_loadcnt 0x0
	v_max_i32_e32 v3, s5, v8
	global_load_b32 v8, v5, s[2:3]
	s_cmp_lt_i32 s4, 1
	s_mov_b32 s6, 0
	s_cbranch_scc0 .LBB189_178
.LBB189_182:
	s_mov_b32 s7, 0
                                        ; implicit-def: $vgpr5
	s_cbranch_execnz .LBB189_185
	s_branch .LBB189_186
.LBB189_183:
	s_mov_b32 s7, -1
                                        ; implicit-def: $vgpr5
.LBB189_184:
	s_branch .LBB189_186
.LBB189_185:
	s_cmp_lg_u32 s4, 0
	s_mov_b32 s6, -1
	s_cselect_b32 s7, -1, 0
.LBB189_186:
	s_delay_alu instid0(SALU_CYCLE_1)
	s_and_not1_b32 vcc_lo, exec_lo, s7
	s_cbranch_vccz .LBB189_191
; %bb.187:
	s_and_not1_b32 vcc_lo, exec_lo, s6
	s_cbranch_vccz .LBB189_192
.LBB189_188:
	s_wait_loadcnt 0x0
	global_load_b32 v8, v1, s[2:3]
	s_cmp_lt_i32 s4, 1
	s_mov_b32 s6, 0
	s_cbranch_scc1 .LBB189_193
.LBB189_189:
	s_cmp_eq_u32 s4, 1
	s_cbranch_scc0 .LBB189_194
; %bb.190:
	s_wait_loadcnt 0x0
	v_min_i32_e32 v1, s5, v8
	s_mov_b32 s7, 0
	s_branch .LBB189_195
.LBB189_191:
	s_load_b32 s6, s[16:17], 0x160
	s_wait_loadcnt 0x0
	s_wait_kmcnt 0x0
	v_maxmin_i32 v5, v8, s5, s6
	s_cbranch_execnz .LBB189_188
.LBB189_192:
	s_wait_loadcnt 0x0
	v_max_i32_e32 v5, s5, v8
	global_load_b32 v8, v1, s[2:3]
	s_cmp_lt_i32 s4, 1
	s_mov_b32 s6, 0
	s_cbranch_scc0 .LBB189_189
.LBB189_193:
	s_mov_b32 s7, 0
                                        ; implicit-def: $vgpr1
	s_cbranch_execnz .LBB189_196
	s_branch .LBB189_197
.LBB189_194:
	s_mov_b32 s7, -1
                                        ; implicit-def: $vgpr1
.LBB189_195:
	s_branch .LBB189_197
.LBB189_196:
	s_cmp_lg_u32 s4, 0
	s_mov_b32 s6, -1
	s_cselect_b32 s7, -1, 0
.LBB189_197:
	s_delay_alu instid0(SALU_CYCLE_1)
	s_and_not1_b32 vcc_lo, exec_lo, s7
	s_cbranch_vccz .LBB189_202
; %bb.198:
	s_and_not1_b32 vcc_lo, exec_lo, s6
	s_cbranch_vccz .LBB189_203
.LBB189_199:
	global_load_b32 v7, v7, s[2:3]
	s_cmp_lt_i32 s4, 1
	s_wait_xcnt 0x0
	s_mov_b32 s2, 0
	s_cbranch_scc1 .LBB189_204
.LBB189_200:
	s_cmp_eq_u32 s4, 1
	s_cbranch_scc0 .LBB189_205
; %bb.201:
	s_wait_loadcnt 0x0
	v_min_i32_e32 v8, s5, v7
	s_mov_b32 s3, 0
	s_branch .LBB189_206
.LBB189_202:
	s_load_b32 s6, s[16:17], 0x160
	s_wait_loadcnt 0x0
	s_wait_kmcnt 0x0
	v_maxmin_i32 v1, v8, s5, s6
	s_cbranch_execnz .LBB189_199
.LBB189_203:
	s_wait_loadcnt 0x0
	v_max_i32_e32 v1, s5, v8
	global_load_b32 v7, v7, s[2:3]
	s_cmp_lt_i32 s4, 1
	s_wait_xcnt 0x0
	s_mov_b32 s2, 0
	s_cbranch_scc0 .LBB189_200
.LBB189_204:
	s_mov_b32 s3, 0
                                        ; implicit-def: $vgpr8
	s_cbranch_execnz .LBB189_207
	s_branch .LBB189_208
.LBB189_205:
	s_mov_b32 s3, -1
                                        ; implicit-def: $vgpr8
.LBB189_206:
	s_branch .LBB189_208
.LBB189_207:
	s_cmp_lg_u32 s4, 0
	s_mov_b32 s2, -1
	s_cselect_b32 s3, -1, 0
.LBB189_208:
	s_delay_alu instid0(SALU_CYCLE_1)
	s_and_not1_b32 vcc_lo, exec_lo, s3
	s_cbranch_vccz .LBB189_212
; %bb.209:
	s_and_not1_b32 vcc_lo, exec_lo, s2
	s_cbranch_vccnz .LBB189_211
.LBB189_210:
	s_wait_loadcnt 0x0
	v_max_i32_e32 v8, s5, v7
.LBB189_211:
	s_clause 0x2
	global_store_b32 v2, v3, s[0:1]
	global_store_b32 v4, v5, s[0:1]
	;; [unrolled: 1-line block ×3, first 2 shown]
	s_wait_loadcnt 0x1
	global_store_b32 v6, v8, s[0:1]
	s_endpgm
.LBB189_212:
	s_load_b32 s2, s[16:17], 0x160
	s_wait_loadcnt 0x0
	s_wait_kmcnt 0x0
	v_maxmin_i32 v8, v7, s5, s2
	s_cbranch_execz .LBB189_210
	s_branch .LBB189_211
	.section	.rodata,"a",@progbits
	.p2align	6, 0x0
	.amdhsa_kernel _ZN2at6native32elementwise_kernel_manual_unrollILi128ELi4EZNS0_22gpu_kernel_impl_nocastIZZZNS0_12_GLOBAL__N_119launch_clamp_scalarERNS_18TensorIteratorBaseEN3c106ScalarES7_NS0_6detail11ClampLimitsEENKUlvE_clEvENKUlvE1_clEvEUliE_EEvS5_RKT_EUlibE_EEviT1_
		.amdhsa_group_segment_fixed_size 0
		.amdhsa_private_segment_fixed_size 0
		.amdhsa_kernarg_size 368
		.amdhsa_user_sgpr_count 2
		.amdhsa_user_sgpr_dispatch_ptr 0
		.amdhsa_user_sgpr_queue_ptr 0
		.amdhsa_user_sgpr_kernarg_segment_ptr 1
		.amdhsa_user_sgpr_dispatch_id 0
		.amdhsa_user_sgpr_kernarg_preload_length 0
		.amdhsa_user_sgpr_kernarg_preload_offset 0
		.amdhsa_user_sgpr_private_segment_size 0
		.amdhsa_wavefront_size32 1
		.amdhsa_uses_dynamic_stack 0
		.amdhsa_enable_private_segment 0
		.amdhsa_system_sgpr_workgroup_id_x 1
		.amdhsa_system_sgpr_workgroup_id_y 0
		.amdhsa_system_sgpr_workgroup_id_z 0
		.amdhsa_system_sgpr_workgroup_info 0
		.amdhsa_system_vgpr_workitem_id 0
		.amdhsa_next_free_vgpr 15
		.amdhsa_next_free_sgpr 60
		.amdhsa_named_barrier_count 0
		.amdhsa_reserve_vcc 1
		.amdhsa_float_round_mode_32 0
		.amdhsa_float_round_mode_16_64 0
		.amdhsa_float_denorm_mode_32 3
		.amdhsa_float_denorm_mode_16_64 3
		.amdhsa_fp16_overflow 0
		.amdhsa_memory_ordered 1
		.amdhsa_forward_progress 1
		.amdhsa_inst_pref_size 58
		.amdhsa_round_robin_scheduling 0
		.amdhsa_exception_fp_ieee_invalid_op 0
		.amdhsa_exception_fp_denorm_src 0
		.amdhsa_exception_fp_ieee_div_zero 0
		.amdhsa_exception_fp_ieee_overflow 0
		.amdhsa_exception_fp_ieee_underflow 0
		.amdhsa_exception_fp_ieee_inexact 0
		.amdhsa_exception_int_div_zero 0
	.end_amdhsa_kernel
	.section	.text._ZN2at6native32elementwise_kernel_manual_unrollILi128ELi4EZNS0_22gpu_kernel_impl_nocastIZZZNS0_12_GLOBAL__N_119launch_clamp_scalarERNS_18TensorIteratorBaseEN3c106ScalarES7_NS0_6detail11ClampLimitsEENKUlvE_clEvENKUlvE1_clEvEUliE_EEvS5_RKT_EUlibE_EEviT1_,"axG",@progbits,_ZN2at6native32elementwise_kernel_manual_unrollILi128ELi4EZNS0_22gpu_kernel_impl_nocastIZZZNS0_12_GLOBAL__N_119launch_clamp_scalarERNS_18TensorIteratorBaseEN3c106ScalarES7_NS0_6detail11ClampLimitsEENKUlvE_clEvENKUlvE1_clEvEUliE_EEvS5_RKT_EUlibE_EEviT1_,comdat
.Lfunc_end189:
	.size	_ZN2at6native32elementwise_kernel_manual_unrollILi128ELi4EZNS0_22gpu_kernel_impl_nocastIZZZNS0_12_GLOBAL__N_119launch_clamp_scalarERNS_18TensorIteratorBaseEN3c106ScalarES7_NS0_6detail11ClampLimitsEENKUlvE_clEvENKUlvE1_clEvEUliE_EEvS5_RKT_EUlibE_EEviT1_, .Lfunc_end189-_ZN2at6native32elementwise_kernel_manual_unrollILi128ELi4EZNS0_22gpu_kernel_impl_nocastIZZZNS0_12_GLOBAL__N_119launch_clamp_scalarERNS_18TensorIteratorBaseEN3c106ScalarES7_NS0_6detail11ClampLimitsEENKUlvE_clEvENKUlvE1_clEvEUliE_EEvS5_RKT_EUlibE_EEviT1_
                                        ; -- End function
	.set _ZN2at6native32elementwise_kernel_manual_unrollILi128ELi4EZNS0_22gpu_kernel_impl_nocastIZZZNS0_12_GLOBAL__N_119launch_clamp_scalarERNS_18TensorIteratorBaseEN3c106ScalarES7_NS0_6detail11ClampLimitsEENKUlvE_clEvENKUlvE1_clEvEUliE_EEvS5_RKT_EUlibE_EEviT1_.num_vgpr, 15
	.set _ZN2at6native32elementwise_kernel_manual_unrollILi128ELi4EZNS0_22gpu_kernel_impl_nocastIZZZNS0_12_GLOBAL__N_119launch_clamp_scalarERNS_18TensorIteratorBaseEN3c106ScalarES7_NS0_6detail11ClampLimitsEENKUlvE_clEvENKUlvE1_clEvEUliE_EEvS5_RKT_EUlibE_EEviT1_.num_agpr, 0
	.set _ZN2at6native32elementwise_kernel_manual_unrollILi128ELi4EZNS0_22gpu_kernel_impl_nocastIZZZNS0_12_GLOBAL__N_119launch_clamp_scalarERNS_18TensorIteratorBaseEN3c106ScalarES7_NS0_6detail11ClampLimitsEENKUlvE_clEvENKUlvE1_clEvEUliE_EEvS5_RKT_EUlibE_EEviT1_.numbered_sgpr, 60
	.set _ZN2at6native32elementwise_kernel_manual_unrollILi128ELi4EZNS0_22gpu_kernel_impl_nocastIZZZNS0_12_GLOBAL__N_119launch_clamp_scalarERNS_18TensorIteratorBaseEN3c106ScalarES7_NS0_6detail11ClampLimitsEENKUlvE_clEvENKUlvE1_clEvEUliE_EEvS5_RKT_EUlibE_EEviT1_.num_named_barrier, 0
	.set _ZN2at6native32elementwise_kernel_manual_unrollILi128ELi4EZNS0_22gpu_kernel_impl_nocastIZZZNS0_12_GLOBAL__N_119launch_clamp_scalarERNS_18TensorIteratorBaseEN3c106ScalarES7_NS0_6detail11ClampLimitsEENKUlvE_clEvENKUlvE1_clEvEUliE_EEvS5_RKT_EUlibE_EEviT1_.private_seg_size, 0
	.set _ZN2at6native32elementwise_kernel_manual_unrollILi128ELi4EZNS0_22gpu_kernel_impl_nocastIZZZNS0_12_GLOBAL__N_119launch_clamp_scalarERNS_18TensorIteratorBaseEN3c106ScalarES7_NS0_6detail11ClampLimitsEENKUlvE_clEvENKUlvE1_clEvEUliE_EEvS5_RKT_EUlibE_EEviT1_.uses_vcc, 1
	.set _ZN2at6native32elementwise_kernel_manual_unrollILi128ELi4EZNS0_22gpu_kernel_impl_nocastIZZZNS0_12_GLOBAL__N_119launch_clamp_scalarERNS_18TensorIteratorBaseEN3c106ScalarES7_NS0_6detail11ClampLimitsEENKUlvE_clEvENKUlvE1_clEvEUliE_EEvS5_RKT_EUlibE_EEviT1_.uses_flat_scratch, 0
	.set _ZN2at6native32elementwise_kernel_manual_unrollILi128ELi4EZNS0_22gpu_kernel_impl_nocastIZZZNS0_12_GLOBAL__N_119launch_clamp_scalarERNS_18TensorIteratorBaseEN3c106ScalarES7_NS0_6detail11ClampLimitsEENKUlvE_clEvENKUlvE1_clEvEUliE_EEvS5_RKT_EUlibE_EEviT1_.has_dyn_sized_stack, 0
	.set _ZN2at6native32elementwise_kernel_manual_unrollILi128ELi4EZNS0_22gpu_kernel_impl_nocastIZZZNS0_12_GLOBAL__N_119launch_clamp_scalarERNS_18TensorIteratorBaseEN3c106ScalarES7_NS0_6detail11ClampLimitsEENKUlvE_clEvENKUlvE1_clEvEUliE_EEvS5_RKT_EUlibE_EEviT1_.has_recursion, 0
	.set _ZN2at6native32elementwise_kernel_manual_unrollILi128ELi4EZNS0_22gpu_kernel_impl_nocastIZZZNS0_12_GLOBAL__N_119launch_clamp_scalarERNS_18TensorIteratorBaseEN3c106ScalarES7_NS0_6detail11ClampLimitsEENKUlvE_clEvENKUlvE1_clEvEUliE_EEvS5_RKT_EUlibE_EEviT1_.has_indirect_call, 0
	.section	.AMDGPU.csdata,"",@progbits
; Kernel info:
; codeLenInByte = 7336
; TotalNumSgprs: 62
; NumVgprs: 15
; ScratchSize: 0
; MemoryBound: 0
; FloatMode: 240
; IeeeMode: 1
; LDSByteSize: 0 bytes/workgroup (compile time only)
; SGPRBlocks: 0
; VGPRBlocks: 0
; NumSGPRsForWavesPerEU: 62
; NumVGPRsForWavesPerEU: 15
; NamedBarCnt: 0
; Occupancy: 16
; WaveLimiterHint : 1
; COMPUTE_PGM_RSRC2:SCRATCH_EN: 0
; COMPUTE_PGM_RSRC2:USER_SGPR: 2
; COMPUTE_PGM_RSRC2:TRAP_HANDLER: 0
; COMPUTE_PGM_RSRC2:TGID_X_EN: 1
; COMPUTE_PGM_RSRC2:TGID_Y_EN: 0
; COMPUTE_PGM_RSRC2:TGID_Z_EN: 0
; COMPUTE_PGM_RSRC2:TIDIG_COMP_CNT: 0
	.section	.text._ZN2at6native32elementwise_kernel_manual_unrollILi128ELi4EZNS0_15gpu_kernel_implIZZZNS0_12_GLOBAL__N_119launch_clamp_scalarERNS_18TensorIteratorBaseEN3c106ScalarES7_NS0_6detail11ClampLimitsEENKUlvE_clEvENKUlvE1_clEvEUliE_EEvS5_RKT_EUlibE_EEviT1_,"axG",@progbits,_ZN2at6native32elementwise_kernel_manual_unrollILi128ELi4EZNS0_15gpu_kernel_implIZZZNS0_12_GLOBAL__N_119launch_clamp_scalarERNS_18TensorIteratorBaseEN3c106ScalarES7_NS0_6detail11ClampLimitsEENKUlvE_clEvENKUlvE1_clEvEUliE_EEvS5_RKT_EUlibE_EEviT1_,comdat
	.globl	_ZN2at6native32elementwise_kernel_manual_unrollILi128ELi4EZNS0_15gpu_kernel_implIZZZNS0_12_GLOBAL__N_119launch_clamp_scalarERNS_18TensorIteratorBaseEN3c106ScalarES7_NS0_6detail11ClampLimitsEENKUlvE_clEvENKUlvE1_clEvEUliE_EEvS5_RKT_EUlibE_EEviT1_ ; -- Begin function _ZN2at6native32elementwise_kernel_manual_unrollILi128ELi4EZNS0_15gpu_kernel_implIZZZNS0_12_GLOBAL__N_119launch_clamp_scalarERNS_18TensorIteratorBaseEN3c106ScalarES7_NS0_6detail11ClampLimitsEENKUlvE_clEvENKUlvE1_clEvEUliE_EEvS5_RKT_EUlibE_EEviT1_
	.p2align	8
	.type	_ZN2at6native32elementwise_kernel_manual_unrollILi128ELi4EZNS0_15gpu_kernel_implIZZZNS0_12_GLOBAL__N_119launch_clamp_scalarERNS_18TensorIteratorBaseEN3c106ScalarES7_NS0_6detail11ClampLimitsEENKUlvE_clEvENKUlvE1_clEvEUliE_EEvS5_RKT_EUlibE_EEviT1_,@function
_ZN2at6native32elementwise_kernel_manual_unrollILi128ELi4EZNS0_15gpu_kernel_implIZZZNS0_12_GLOBAL__N_119launch_clamp_scalarERNS_18TensorIteratorBaseEN3c106ScalarES7_NS0_6detail11ClampLimitsEENKUlvE_clEvENKUlvE1_clEvEUliE_EEvS5_RKT_EUlibE_EEviT1_: ; @_ZN2at6native32elementwise_kernel_manual_unrollILi128ELi4EZNS0_15gpu_kernel_implIZZZNS0_12_GLOBAL__N_119launch_clamp_scalarERNS_18TensorIteratorBaseEN3c106ScalarES7_NS0_6detail11ClampLimitsEENKUlvE_clEvENKUlvE1_clEvEUliE_EEvS5_RKT_EUlibE_EEviT1_
; %bb.0:
	s_load_b64 s[2:3], s[0:1], 0x28
	s_bfe_u32 s4, ttmp6, 0x4000c
	s_load_b32 s15, s[0:1], 0x0
	s_add_co_i32 s12, s4, 1
	s_load_b256 s[4:11], s[0:1], 0x8
	s_and_b32 s13, ttmp6, 15
	s_wait_xcnt 0x0
	s_mul_i32 s0, ttmp9, s12
	s_getreg_b32 s14, hwreg(HW_REG_IB_STS2, 6, 4)
	s_add_co_i32 s13, s13, s0
	s_mov_b32 s1, 0
	s_wait_kmcnt 0x0
	s_bfe_u32 s12, s3, 0x80008
	s_cmp_eq_u32 s14, 0
	s_mov_b32 s14, 0
	s_cselect_b32 s0, ttmp9, s13
	s_delay_alu instid0(SALU_CYCLE_1) | instskip(SKIP_1) | instid1(VALU_DEP_1)
	v_lshl_or_b32 v8, s0, 9, v0
	s_mov_b32 s0, exec_lo
	v_or_b32_e32 v0, 0x180, v8
	s_delay_alu instid0(VALU_DEP_1)
	v_cmpx_le_i32_e64 s15, v0
	s_xor_b32 s13, exec_lo, s0
	s_cbranch_execz .LBB190_1059
; %bb.1:
	s_mov_b32 s20, -1
	s_mov_b32 s18, 0
	s_mov_b32 s16, 0
	s_mov_b32 s17, exec_lo
	v_cmpx_gt_i32_e64 s15, v8
	s_cbranch_execz .LBB190_259
; %bb.2:
	v_mul_lo_u32 v0, v8, s9
	s_and_b32 s0, 0xffff, s12
	s_delay_alu instid0(SALU_CYCLE_1) | instskip(NEXT) | instid1(VALU_DEP_1)
	s_cmp_lt_i32 s0, 11
	v_ashrrev_i32_e32 v1, 31, v0
	s_delay_alu instid0(VALU_DEP_1)
	v_add_nc_u64_e32 v[0:1], s[6:7], v[0:1]
	s_cbranch_scc1 .LBB190_9
; %bb.3:
	s_cmp_gt_i32 s0, 25
	s_cbranch_scc0 .LBB190_14
; %bb.4:
	s_cmp_gt_i32 s0, 28
	s_cbranch_scc0 .LBB190_16
; %bb.5:
	s_cmp_gt_i32 s0, 43
	s_cbranch_scc0 .LBB190_34
; %bb.6:
	s_cmp_gt_i32 s0, 45
	s_cbranch_scc0 .LBB190_36
; %bb.7:
	s_cmp_eq_u32 s0, 46
	s_mov_b32 s19, 0
	s_cbranch_scc0 .LBB190_38
; %bb.8:
	global_load_b32 v2, v[0:1], off
	s_mov_b32 s14, -1
	s_wait_loadcnt 0x0
	v_lshlrev_b32_e32 v2, 16, v2
	s_delay_alu instid0(VALU_DEP_1)
	v_cvt_i32_f32_e32 v2, v2
	s_branch .LBB190_40
.LBB190_9:
                                        ; implicit-def: $vgpr2
	s_cbranch_execnz .LBB190_209
.LBB190_10:
	s_and_not1_b32 vcc_lo, exec_lo, s14
	s_cbranch_vccnz .LBB190_256
.LBB190_11:
	s_cmp_lt_i32 s10, 1
	s_mov_b32 s0, 0
	s_cbranch_scc1 .LBB190_15
; %bb.12:
	s_cmp_eq_u32 s10, 1
	s_cbranch_scc0 .LBB190_17
; %bb.13:
	s_wait_loadcnt 0x0
	s_delay_alu instid0(VALU_DEP_1)
	v_min_i32_e32 v0, s11, v2
	s_mov_b32 s14, 0
	s_branch .LBB190_18
.LBB190_14:
                                        ; implicit-def: $vgpr2
	s_cbranch_execnz .LBB190_176
	s_branch .LBB190_208
.LBB190_15:
	s_mov_b32 s14, 0
                                        ; implicit-def: $vgpr0
	s_cbranch_execnz .LBB190_19
	s_branch .LBB190_20
.LBB190_16:
	s_mov_b32 s19, -1
                                        ; implicit-def: $vgpr2
	s_branch .LBB190_159
.LBB190_17:
	s_mov_b32 s14, -1
                                        ; implicit-def: $vgpr0
.LBB190_18:
	s_branch .LBB190_20
.LBB190_19:
	s_cmp_lg_u32 s10, 0
	s_mov_b32 s0, -1
	s_cselect_b32 s14, -1, 0
.LBB190_20:
	s_delay_alu instid0(SALU_CYCLE_1)
	s_and_not1_b32 vcc_lo, exec_lo, s14
	s_cbranch_vccnz .LBB190_22
; %bb.21:
	s_wait_loadcnt 0x0
	s_delay_alu instid0(VALU_DEP_1)
	v_maxmin_i32 v0, v2, s11, s2
	s_cbranch_execz .LBB190_23
	s_branch .LBB190_24
.LBB190_22:
	s_and_not1_b32 vcc_lo, exec_lo, s0
	s_cbranch_vccnz .LBB190_24
.LBB190_23:
	s_wait_loadcnt 0x0
	s_delay_alu instid0(VALU_DEP_1)
	v_max_i32_e32 v0, s11, v2
.LBB190_24:
	s_wait_loadcnt 0x0
	v_mul_lo_u32 v2, v8, s8
	s_and_b32 s14, s3, 0xff
	s_delay_alu instid0(SALU_CYCLE_1) | instskip(NEXT) | instid1(VALU_DEP_1)
	s_cmp_lt_i32 s14, 11
	v_ashrrev_i32_e32 v3, 31, v2
	s_delay_alu instid0(VALU_DEP_1)
	v_add_nc_u64_e32 v[2:3], s[4:5], v[2:3]
	s_cbranch_scc1 .LBB190_31
; %bb.25:
	s_and_b32 s19, 0xffff, s14
	s_delay_alu instid0(SALU_CYCLE_1)
	s_cmp_gt_i32 s19, 25
	s_cbranch_scc0 .LBB190_33
; %bb.26:
	s_cmp_gt_i32 s19, 28
	s_cbranch_scc0 .LBB190_35
; %bb.27:
	;; [unrolled: 3-line block ×4, first 2 shown]
	s_mov_b32 s21, 0
	s_mov_b32 s0, -1
	s_cmp_eq_u32 s19, 46
	s_mov_b32 s20, 0
	s_cbranch_scc0 .LBB190_44
; %bb.30:
	v_cvt_f32_i32_e32 v1, v0
	s_mov_b32 s20, -1
	s_mov_b32 s0, 0
	s_delay_alu instid0(VALU_DEP_1) | instskip(NEXT) | instid1(VALU_DEP_1)
	v_bfe_u32 v4, v1, 16, 1
	v_add3_u32 v1, v1, v4, 0x7fff
	s_delay_alu instid0(VALU_DEP_1)
	v_lshrrev_b32_e32 v1, 16, v1
	global_store_b32 v[2:3], v1, off
	s_branch .LBB190_44
.LBB190_31:
	s_mov_b32 s0, 0
	s_mov_b32 s20, 0
	s_cbranch_execnz .LBB190_113
.LBB190_32:
	s_and_not1_b32 vcc_lo, exec_lo, s20
	s_cbranch_vccnz .LBB190_257
	s_branch .LBB190_151
.LBB190_33:
	s_mov_b32 s21, -1
	s_mov_b32 s0, 0
	s_mov_b32 s20, 0
	s_branch .LBB190_71
.LBB190_34:
	s_mov_b32 s19, -1
                                        ; implicit-def: $vgpr2
	s_branch .LBB190_154
.LBB190_35:
	s_mov_b32 s21, -1
	s_mov_b32 s0, 0
	s_mov_b32 s20, 0
	s_branch .LBB190_54
.LBB190_36:
	s_mov_b32 s19, -1
	s_branch .LBB190_39
.LBB190_37:
	s_mov_b32 s21, -1
	s_mov_b32 s0, 0
	s_mov_b32 s20, 0
	s_branch .LBB190_50
.LBB190_38:
	s_mov_b32 s16, -1
.LBB190_39:
                                        ; implicit-def: $vgpr2
.LBB190_40:
	s_and_b32 vcc_lo, exec_lo, s19
	s_cbranch_vccz .LBB190_153
; %bb.41:
	s_cmp_eq_u32 s0, 44
	s_cbranch_scc0 .LBB190_152
; %bb.42:
	global_load_u8 v2, v[0:1], off
	s_mov_b32 s16, 0
	s_mov_b32 s14, -1
	s_wait_loadcnt 0x0
	v_lshlrev_b32_e32 v3, 23, v2
	v_cmp_ne_u32_e32 vcc_lo, 0, v2
	s_delay_alu instid0(VALU_DEP_2) | instskip(NEXT) | instid1(VALU_DEP_1)
	v_cvt_i32_f32_e32 v3, v3
	v_cndmask_b32_e32 v2, 0, v3, vcc_lo
	s_branch .LBB190_153
.LBB190_43:
	s_mov_b32 s21, -1
	s_mov_b32 s0, 0
	s_mov_b32 s20, 0
.LBB190_44:
	s_and_b32 vcc_lo, exec_lo, s21
	s_cbranch_vccz .LBB190_49
; %bb.45:
	s_cmp_eq_u32 s19, 44
	s_mov_b32 s0, -1
	s_cbranch_scc0 .LBB190_49
; %bb.46:
	s_wait_xcnt 0x0
	v_cvt_f32_i32_e32 v1, v0
	v_mov_b32_e32 v4, 0xff
	s_mov_b32 s20, exec_lo
	s_delay_alu instid0(VALU_DEP_2) | instskip(NEXT) | instid1(VALU_DEP_1)
	v_bfe_u32 v5, v1, 23, 8
	v_cmpx_ne_u32_e32 0xff, v5
	s_cbranch_execz .LBB190_48
; %bb.47:
	v_and_b32_e32 v4, 0x400000, v1
	v_and_or_b32 v5, 0x3fffff, v1, v5
	v_lshrrev_b32_e32 v1, 23, v1
	s_delay_alu instid0(VALU_DEP_3) | instskip(NEXT) | instid1(VALU_DEP_3)
	v_cmp_ne_u32_e32 vcc_lo, 0, v4
	v_cmp_ne_u32_e64 s0, 0, v5
	s_and_b32 s0, vcc_lo, s0
	s_delay_alu instid0(SALU_CYCLE_1) | instskip(NEXT) | instid1(VALU_DEP_1)
	v_cndmask_b32_e64 v4, 0, 1, s0
	v_add_nc_u32_e32 v4, v1, v4
.LBB190_48:
	s_or_b32 exec_lo, exec_lo, s20
	s_mov_b32 s20, -1
	s_mov_b32 s0, 0
	global_store_b8 v[2:3], v4, off
.LBB190_49:
	s_mov_b32 s21, 0
.LBB190_50:
	s_delay_alu instid0(SALU_CYCLE_1)
	s_and_b32 vcc_lo, exec_lo, s21
	s_cbranch_vccz .LBB190_53
; %bb.51:
	s_cmp_eq_u32 s19, 29
	s_mov_b32 s0, -1
	s_cbranch_scc0 .LBB190_53
; %bb.52:
	s_wait_xcnt 0x0
	v_ashrrev_i32_e32 v1, 31, v0
	s_mov_b32 s20, -1
	s_mov_b32 s0, 0
	s_mov_b32 s21, 0
	global_store_b64 v[2:3], v[0:1], off
	s_branch .LBB190_54
.LBB190_53:
	s_mov_b32 s21, 0
.LBB190_54:
	s_delay_alu instid0(SALU_CYCLE_1)
	s_and_b32 vcc_lo, exec_lo, s21
	s_cbranch_vccz .LBB190_70
; %bb.55:
	s_cmp_lt_i32 s19, 27
	s_mov_b32 s20, -1
	s_cbranch_scc1 .LBB190_61
; %bb.56:
	s_cmp_gt_i32 s19, 27
	s_cbranch_scc0 .LBB190_58
; %bb.57:
	s_mov_b32 s20, 0
	global_store_b32 v[2:3], v0, off
.LBB190_58:
	s_and_not1_b32 vcc_lo, exec_lo, s20
	s_cbranch_vccnz .LBB190_60
; %bb.59:
	global_store_b16 v[2:3], v0, off
.LBB190_60:
	s_mov_b32 s20, 0
.LBB190_61:
	s_delay_alu instid0(SALU_CYCLE_1)
	s_and_not1_b32 vcc_lo, exec_lo, s20
	s_cbranch_vccnz .LBB190_69
; %bb.62:
	s_wait_xcnt 0x0
	v_cvt_f32_i32_e32 v1, v0
	v_mov_b32_e32 v5, 0x80
	s_mov_b32 s20, exec_lo
	s_delay_alu instid0(VALU_DEP_2) | instskip(NEXT) | instid1(VALU_DEP_1)
	v_and_b32_e32 v4, 0x7fffffff, v1
	v_cmpx_gt_u32_e32 0x43800000, v4
	s_cbranch_execz .LBB190_68
; %bb.63:
	v_cmp_lt_u32_e32 vcc_lo, 0x3bffffff, v4
	s_mov_b32 s21, 0
                                        ; implicit-def: $vgpr4
	s_and_saveexec_b32 s22, vcc_lo
	s_delay_alu instid0(SALU_CYCLE_1)
	s_xor_b32 s22, exec_lo, s22
	s_cbranch_execz .LBB190_297
; %bb.64:
	v_bfe_u32 v4, v1, 20, 1
	s_mov_b32 s21, exec_lo
	s_delay_alu instid0(VALU_DEP_1) | instskip(NEXT) | instid1(VALU_DEP_1)
	v_add3_u32 v4, v1, v4, 0x487ffff
	v_lshrrev_b32_e32 v4, 20, v4
	s_and_not1_saveexec_b32 s22, s22
	s_cbranch_execnz .LBB190_298
.LBB190_65:
	s_or_b32 exec_lo, exec_lo, s22
	v_mov_b32_e32 v5, 0
	s_and_saveexec_b32 s22, s21
.LBB190_66:
	v_lshrrev_b32_e32 v1, 24, v1
	s_delay_alu instid0(VALU_DEP_1)
	v_and_or_b32 v5, 0x80, v1, v4
.LBB190_67:
	s_or_b32 exec_lo, exec_lo, s22
.LBB190_68:
	s_delay_alu instid0(SALU_CYCLE_1)
	s_or_b32 exec_lo, exec_lo, s20
	global_store_b8 v[2:3], v5, off
.LBB190_69:
	s_mov_b32 s20, -1
.LBB190_70:
	s_mov_b32 s21, 0
.LBB190_71:
	s_delay_alu instid0(SALU_CYCLE_1)
	s_and_b32 vcc_lo, exec_lo, s21
	s_cbranch_vccz .LBB190_112
; %bb.72:
	s_cmp_gt_i32 s19, 22
	s_mov_b32 s21, -1
	s_cbranch_scc0 .LBB190_104
; %bb.73:
	s_cmp_lt_i32 s19, 24
	s_mov_b32 s20, -1
	s_cbranch_scc1 .LBB190_93
; %bb.74:
	s_cmp_gt_i32 s19, 24
	s_cbranch_scc0 .LBB190_82
; %bb.75:
	s_wait_xcnt 0x0
	v_cvt_f32_i32_e32 v1, v0
	v_mov_b32_e32 v5, 0x80
	s_mov_b32 s20, exec_lo
	s_delay_alu instid0(VALU_DEP_2) | instskip(NEXT) | instid1(VALU_DEP_1)
	v_and_b32_e32 v4, 0x7fffffff, v1
	v_cmpx_gt_u32_e32 0x47800000, v4
	s_cbranch_execz .LBB190_81
; %bb.76:
	v_cmp_lt_u32_e32 vcc_lo, 0x37ffffff, v4
	s_mov_b32 s21, 0
                                        ; implicit-def: $vgpr4
	s_and_saveexec_b32 s22, vcc_lo
	s_delay_alu instid0(SALU_CYCLE_1)
	s_xor_b32 s22, exec_lo, s22
	s_cbranch_execz .LBB190_301
; %bb.77:
	v_bfe_u32 v4, v1, 21, 1
	s_mov_b32 s21, exec_lo
	s_delay_alu instid0(VALU_DEP_1) | instskip(NEXT) | instid1(VALU_DEP_1)
	v_add3_u32 v4, v1, v4, 0x88fffff
	v_lshrrev_b32_e32 v4, 21, v4
	s_and_not1_saveexec_b32 s22, s22
	s_cbranch_execnz .LBB190_302
.LBB190_78:
	s_or_b32 exec_lo, exec_lo, s22
	v_mov_b32_e32 v5, 0
	s_and_saveexec_b32 s22, s21
.LBB190_79:
	v_lshrrev_b32_e32 v1, 24, v1
	s_delay_alu instid0(VALU_DEP_1)
	v_and_or_b32 v5, 0x80, v1, v4
.LBB190_80:
	s_or_b32 exec_lo, exec_lo, s22
.LBB190_81:
	s_delay_alu instid0(SALU_CYCLE_1)
	s_or_b32 exec_lo, exec_lo, s20
	s_mov_b32 s20, 0
	global_store_b8 v[2:3], v5, off
.LBB190_82:
	s_and_b32 vcc_lo, exec_lo, s20
	s_cbranch_vccz .LBB190_92
; %bb.83:
	s_wait_xcnt 0x0
	v_cvt_f32_i32_e32 v1, v0
	s_mov_b32 s20, exec_lo
                                        ; implicit-def: $vgpr4
	s_delay_alu instid0(VALU_DEP_1) | instskip(NEXT) | instid1(VALU_DEP_1)
	v_and_b32_e32 v5, 0x7fffffff, v1
	v_cmpx_gt_u32_e32 0x43f00000, v5
	s_xor_b32 s20, exec_lo, s20
	s_cbranch_execz .LBB190_89
; %bb.84:
	s_mov_b32 s21, exec_lo
                                        ; implicit-def: $vgpr4
	v_cmpx_lt_u32_e32 0x3c7fffff, v5
	s_xor_b32 s21, exec_lo, s21
; %bb.85:
	v_bfe_u32 v4, v1, 20, 1
	s_delay_alu instid0(VALU_DEP_1) | instskip(NEXT) | instid1(VALU_DEP_1)
	v_add3_u32 v4, v1, v4, 0x407ffff
	v_and_b32_e32 v5, 0xff00000, v4
	v_lshrrev_b32_e32 v4, 20, v4
	s_delay_alu instid0(VALU_DEP_2) | instskip(NEXT) | instid1(VALU_DEP_2)
	v_cmp_ne_u32_e32 vcc_lo, 0x7f00000, v5
	v_cndmask_b32_e32 v4, 0x7e, v4, vcc_lo
; %bb.86:
	s_and_not1_saveexec_b32 s21, s21
; %bb.87:
	v_add_f32_e64 v4, 0x46800000, |v1|
; %bb.88:
	s_or_b32 exec_lo, exec_lo, s21
                                        ; implicit-def: $vgpr5
.LBB190_89:
	s_and_not1_saveexec_b32 s20, s20
; %bb.90:
	v_mov_b32_e32 v4, 0x7f
	v_cmp_lt_u32_e32 vcc_lo, 0x7f800000, v5
	s_delay_alu instid0(VALU_DEP_2)
	v_cndmask_b32_e32 v4, 0x7e, v4, vcc_lo
; %bb.91:
	s_or_b32 exec_lo, exec_lo, s20
	v_lshrrev_b32_e32 v1, 24, v1
	s_delay_alu instid0(VALU_DEP_1)
	v_and_or_b32 v1, 0x80, v1, v4
	global_store_b8 v[2:3], v1, off
.LBB190_92:
	s_mov_b32 s20, 0
.LBB190_93:
	s_delay_alu instid0(SALU_CYCLE_1)
	s_and_not1_b32 vcc_lo, exec_lo, s20
	s_cbranch_vccnz .LBB190_103
; %bb.94:
	s_wait_xcnt 0x0
	v_cvt_f32_i32_e32 v1, v0
	s_mov_b32 s20, exec_lo
                                        ; implicit-def: $vgpr4
	s_delay_alu instid0(VALU_DEP_1) | instskip(NEXT) | instid1(VALU_DEP_1)
	v_and_b32_e32 v5, 0x7fffffff, v1
	v_cmpx_gt_u32_e32 0x47800000, v5
	s_xor_b32 s20, exec_lo, s20
	s_cbranch_execz .LBB190_100
; %bb.95:
	s_mov_b32 s21, exec_lo
                                        ; implicit-def: $vgpr4
	v_cmpx_lt_u32_e32 0x387fffff, v5
	s_xor_b32 s21, exec_lo, s21
; %bb.96:
	v_bfe_u32 v4, v1, 21, 1
	s_delay_alu instid0(VALU_DEP_1) | instskip(NEXT) | instid1(VALU_DEP_1)
	v_add3_u32 v4, v1, v4, 0x80fffff
	v_lshrrev_b32_e32 v4, 21, v4
; %bb.97:
	s_and_not1_saveexec_b32 s21, s21
; %bb.98:
	v_add_f32_e64 v4, 0x43000000, |v1|
; %bb.99:
	s_or_b32 exec_lo, exec_lo, s21
                                        ; implicit-def: $vgpr5
.LBB190_100:
	s_and_not1_saveexec_b32 s20, s20
; %bb.101:
	v_mov_b32_e32 v4, 0x7f
	v_cmp_lt_u32_e32 vcc_lo, 0x7f800000, v5
	s_delay_alu instid0(VALU_DEP_2)
	v_cndmask_b32_e32 v4, 0x7c, v4, vcc_lo
; %bb.102:
	s_or_b32 exec_lo, exec_lo, s20
	v_lshrrev_b32_e32 v1, 24, v1
	s_delay_alu instid0(VALU_DEP_1)
	v_and_or_b32 v1, 0x80, v1, v4
	global_store_b8 v[2:3], v1, off
.LBB190_103:
	s_mov_b32 s21, 0
	s_mov_b32 s20, -1
.LBB190_104:
	s_and_not1_b32 vcc_lo, exec_lo, s21
	s_cbranch_vccnz .LBB190_112
; %bb.105:
	s_cmp_gt_i32 s19, 14
	s_mov_b32 s21, -1
	s_cbranch_scc0 .LBB190_109
; %bb.106:
	s_cmp_eq_u32 s19, 15
	s_mov_b32 s0, -1
	s_cbranch_scc0 .LBB190_108
; %bb.107:
	s_wait_xcnt 0x0
	v_cvt_f32_i32_e32 v1, v0
	s_mov_b32 s20, -1
	s_mov_b32 s0, 0
	s_delay_alu instid0(VALU_DEP_1) | instskip(NEXT) | instid1(VALU_DEP_1)
	v_bfe_u32 v4, v1, 16, 1
	v_add3_u32 v1, v1, v4, 0x7fff
	global_store_d16_hi_b16 v[2:3], v1, off
.LBB190_108:
	s_mov_b32 s21, 0
.LBB190_109:
	s_delay_alu instid0(SALU_CYCLE_1)
	s_and_b32 vcc_lo, exec_lo, s21
	s_cbranch_vccz .LBB190_112
; %bb.110:
	s_cmp_eq_u32 s19, 11
	s_mov_b32 s0, -1
	s_cbranch_scc0 .LBB190_112
; %bb.111:
	v_cmp_ne_u32_e32 vcc_lo, 0, v0
	s_mov_b32 s0, 0
	s_mov_b32 s20, -1
	s_wait_xcnt 0x0
	v_cndmask_b32_e64 v1, 0, 1, vcc_lo
	global_store_b8 v[2:3], v1, off
.LBB190_112:
	s_branch .LBB190_32
.LBB190_113:
	s_and_b32 s14, 0xffff, s14
	s_mov_b32 s19, -1
	s_cmp_lt_i32 s14, 5
	s_cbranch_scc1 .LBB190_134
; %bb.114:
	s_cmp_lt_i32 s14, 8
	s_cbranch_scc1 .LBB190_124
; %bb.115:
	;; [unrolled: 3-line block ×3, first 2 shown]
	s_cmp_gt_i32 s14, 9
	s_cbranch_scc0 .LBB190_118
; %bb.117:
	s_wait_xcnt 0x0
	v_cvt_f64_i32_e32 v[4:5], v0
	v_mov_b32_e32 v6, 0
	s_mov_b32 s19, 0
	s_delay_alu instid0(VALU_DEP_1)
	v_mov_b32_e32 v7, v6
	global_store_b128 v[2:3], v[4:7], off
.LBB190_118:
	s_and_not1_b32 vcc_lo, exec_lo, s19
	s_cbranch_vccnz .LBB190_120
; %bb.119:
	s_wait_xcnt 0x0
	v_cvt_f32_i32_e32 v4, v0
	v_mov_b32_e32 v5, 0
	global_store_b64 v[2:3], v[4:5], off
.LBB190_120:
	s_mov_b32 s19, 0
.LBB190_121:
	s_delay_alu instid0(SALU_CYCLE_1)
	s_and_not1_b32 vcc_lo, exec_lo, s19
	s_cbranch_vccnz .LBB190_123
; %bb.122:
	s_wait_xcnt 0x0
	v_cvt_f32_i32_e32 v1, v0
	s_delay_alu instid0(VALU_DEP_1) | instskip(NEXT) | instid1(VALU_DEP_1)
	v_cvt_f16_f32_e32 v1, v1
	v_and_b32_e32 v1, 0xffff, v1
	global_store_b32 v[2:3], v1, off
.LBB190_123:
	s_mov_b32 s19, 0
.LBB190_124:
	s_delay_alu instid0(SALU_CYCLE_1)
	s_and_not1_b32 vcc_lo, exec_lo, s19
	s_cbranch_vccnz .LBB190_133
; %bb.125:
	s_cmp_lt_i32 s14, 6
	s_mov_b32 s19, -1
	s_cbranch_scc1 .LBB190_131
; %bb.126:
	s_cmp_gt_i32 s14, 6
	s_cbranch_scc0 .LBB190_128
; %bb.127:
	s_wait_xcnt 0x0
	v_cvt_f64_i32_e32 v[4:5], v0
	s_mov_b32 s19, 0
	global_store_b64 v[2:3], v[4:5], off
.LBB190_128:
	s_and_not1_b32 vcc_lo, exec_lo, s19
	s_cbranch_vccnz .LBB190_130
; %bb.129:
	s_wait_xcnt 0x0
	v_cvt_f32_i32_e32 v1, v0
	global_store_b32 v[2:3], v1, off
.LBB190_130:
	s_mov_b32 s19, 0
.LBB190_131:
	s_delay_alu instid0(SALU_CYCLE_1)
	s_and_not1_b32 vcc_lo, exec_lo, s19
	s_cbranch_vccnz .LBB190_133
; %bb.132:
	s_wait_xcnt 0x0
	v_cvt_f32_i32_e32 v1, v0
	s_delay_alu instid0(VALU_DEP_1)
	v_cvt_f16_f32_e32 v1, v1
	global_store_b16 v[2:3], v1, off
.LBB190_133:
	s_mov_b32 s19, 0
.LBB190_134:
	s_delay_alu instid0(SALU_CYCLE_1)
	s_and_not1_b32 vcc_lo, exec_lo, s19
	s_cbranch_vccnz .LBB190_150
; %bb.135:
	s_cmp_lt_i32 s14, 2
	s_mov_b32 s19, -1
	s_cbranch_scc1 .LBB190_145
; %bb.136:
	s_cmp_lt_i32 s14, 3
	s_cbranch_scc1 .LBB190_142
; %bb.137:
	s_cmp_gt_i32 s14, 3
	s_cbranch_scc0 .LBB190_139
; %bb.138:
	s_wait_xcnt 0x0
	v_ashrrev_i32_e32 v1, 31, v0
	s_mov_b32 s19, 0
	global_store_b64 v[2:3], v[0:1], off
.LBB190_139:
	s_and_not1_b32 vcc_lo, exec_lo, s19
	s_cbranch_vccnz .LBB190_141
; %bb.140:
	global_store_b32 v[2:3], v0, off
.LBB190_141:
	s_mov_b32 s19, 0
.LBB190_142:
	s_delay_alu instid0(SALU_CYCLE_1)
	s_and_not1_b32 vcc_lo, exec_lo, s19
	s_cbranch_vccnz .LBB190_144
; %bb.143:
	global_store_b16 v[2:3], v0, off
.LBB190_144:
	s_mov_b32 s19, 0
.LBB190_145:
	s_delay_alu instid0(SALU_CYCLE_1)
	s_and_not1_b32 vcc_lo, exec_lo, s19
	s_cbranch_vccnz .LBB190_150
; %bb.146:
	s_cmp_gt_i32 s14, 0
	s_mov_b32 s14, -1
	s_cbranch_scc0 .LBB190_148
; %bb.147:
	s_mov_b32 s14, 0
	global_store_b8 v[2:3], v0, off
.LBB190_148:
	s_and_not1_b32 vcc_lo, exec_lo, s14
	s_cbranch_vccnz .LBB190_150
; %bb.149:
	global_store_b8 v[2:3], v0, off
.LBB190_150:
.LBB190_151:
	v_add_nc_u32_e32 v8, 0x80, v8
	s_mov_b32 s19, -1
	s_branch .LBB190_258
.LBB190_152:
	s_mov_b32 s16, -1
                                        ; implicit-def: $vgpr2
.LBB190_153:
	s_mov_b32 s19, 0
.LBB190_154:
	s_delay_alu instid0(SALU_CYCLE_1)
	s_and_b32 vcc_lo, exec_lo, s19
	s_cbranch_vccz .LBB190_158
; %bb.155:
	s_cmp_eq_u32 s0, 29
	s_cbranch_scc0 .LBB190_157
; %bb.156:
	global_load_b32 v2, v[0:1], off
	s_mov_b32 s14, -1
	s_mov_b32 s16, 0
	s_branch .LBB190_158
.LBB190_157:
	s_mov_b32 s16, -1
                                        ; implicit-def: $vgpr2
.LBB190_158:
	s_mov_b32 s19, 0
.LBB190_159:
	s_delay_alu instid0(SALU_CYCLE_1)
	s_and_b32 vcc_lo, exec_lo, s19
	s_cbranch_vccz .LBB190_175
; %bb.160:
	s_cmp_lt_i32 s0, 27
	s_cbranch_scc1 .LBB190_163
; %bb.161:
	s_cmp_gt_i32 s0, 27
	s_cbranch_scc0 .LBB190_164
; %bb.162:
	s_wait_loadcnt 0x0
	global_load_b32 v2, v[0:1], off
	s_mov_b32 s14, 0
	s_branch .LBB190_165
.LBB190_163:
	s_mov_b32 s14, -1
                                        ; implicit-def: $vgpr2
	s_branch .LBB190_168
.LBB190_164:
	s_mov_b32 s14, -1
                                        ; implicit-def: $vgpr2
.LBB190_165:
	s_delay_alu instid0(SALU_CYCLE_1)
	s_and_not1_b32 vcc_lo, exec_lo, s14
	s_cbranch_vccnz .LBB190_167
; %bb.166:
	s_wait_loadcnt 0x0
	global_load_u16 v2, v[0:1], off
.LBB190_167:
	s_mov_b32 s14, 0
.LBB190_168:
	s_delay_alu instid0(SALU_CYCLE_1)
	s_and_not1_b32 vcc_lo, exec_lo, s14
	s_cbranch_vccnz .LBB190_174
; %bb.169:
	global_load_u8 v3, v[0:1], off
	s_mov_b32 s19, 0
	s_mov_b32 s14, exec_lo
	s_wait_loadcnt 0x0
	v_cmpx_lt_i16_e32 0x7f, v3
	s_xor_b32 s14, exec_lo, s14
	s_cbranch_execz .LBB190_185
; %bb.170:
	v_cmp_ne_u16_e32 vcc_lo, 0x80, v3
	s_and_b32 s19, vcc_lo, exec_lo
	s_and_not1_saveexec_b32 s14, s14
	s_cbranch_execnz .LBB190_186
.LBB190_171:
	s_or_b32 exec_lo, exec_lo, s14
	v_mov_b32_e32 v2, 0
	s_and_saveexec_b32 s14, s19
	s_cbranch_execz .LBB190_173
.LBB190_172:
	v_and_b32_e32 v2, 0xffff, v3
	s_delay_alu instid0(VALU_DEP_1) | instskip(SKIP_1) | instid1(VALU_DEP_2)
	v_and_b32_e32 v4, 7, v2
	v_bfe_u32 v7, v2, 3, 4
	v_clz_i32_u32_e32 v5, v4
	s_delay_alu instid0(VALU_DEP_2) | instskip(NEXT) | instid1(VALU_DEP_2)
	v_cmp_eq_u32_e32 vcc_lo, 0, v7
	v_min_u32_e32 v5, 32, v5
	s_delay_alu instid0(VALU_DEP_1) | instskip(NEXT) | instid1(VALU_DEP_1)
	v_subrev_nc_u32_e32 v6, 28, v5
	v_dual_lshlrev_b32 v2, v6, v2 :: v_dual_sub_nc_u32 v5, 29, v5
	s_delay_alu instid0(VALU_DEP_1) | instskip(NEXT) | instid1(VALU_DEP_1)
	v_dual_lshlrev_b32 v3, 24, v3 :: v_dual_bitop2_b32 v2, 7, v2 bitop3:0x40
	v_dual_cndmask_b32 v5, v7, v5 :: v_dual_cndmask_b32 v2, v4, v2
	s_delay_alu instid0(VALU_DEP_2) | instskip(NEXT) | instid1(VALU_DEP_2)
	v_and_b32_e32 v3, 0x80000000, v3
	v_lshl_add_u32 v4, v5, 23, 0x3b800000
	s_delay_alu instid0(VALU_DEP_3) | instskip(NEXT) | instid1(VALU_DEP_1)
	v_lshlrev_b32_e32 v2, 20, v2
	v_or3_b32 v2, v3, v4, v2
	s_delay_alu instid0(VALU_DEP_1)
	v_cvt_i32_f32_e32 v2, v2
.LBB190_173:
	s_or_b32 exec_lo, exec_lo, s14
.LBB190_174:
	s_mov_b32 s14, -1
.LBB190_175:
	s_branch .LBB190_208
.LBB190_176:
	s_cmp_gt_i32 s0, 22
	s_cbranch_scc0 .LBB190_184
; %bb.177:
	s_cmp_lt_i32 s0, 24
	s_cbranch_scc1 .LBB190_187
; %bb.178:
	s_cmp_gt_i32 s0, 24
	s_cbranch_scc0 .LBB190_188
; %bb.179:
	global_load_u8 v3, v[0:1], off
	s_mov_b32 s19, 0
	s_mov_b32 s14, exec_lo
	s_wait_loadcnt 0x0
	v_cmpx_lt_i16_e32 0x7f, v3
	s_xor_b32 s14, exec_lo, s14
	s_cbranch_execz .LBB190_200
; %bb.180:
	v_cmp_ne_u16_e32 vcc_lo, 0x80, v3
	s_and_b32 s19, vcc_lo, exec_lo
	s_and_not1_saveexec_b32 s14, s14
	s_cbranch_execnz .LBB190_201
.LBB190_181:
	s_or_b32 exec_lo, exec_lo, s14
	v_mov_b32_e32 v2, 0
	s_and_saveexec_b32 s14, s19
	s_cbranch_execz .LBB190_183
.LBB190_182:
	v_and_b32_e32 v2, 0xffff, v3
	s_delay_alu instid0(VALU_DEP_1) | instskip(SKIP_1) | instid1(VALU_DEP_2)
	v_and_b32_e32 v4, 3, v2
	v_bfe_u32 v7, v2, 2, 5
	v_clz_i32_u32_e32 v5, v4
	s_delay_alu instid0(VALU_DEP_2) | instskip(NEXT) | instid1(VALU_DEP_2)
	v_cmp_eq_u32_e32 vcc_lo, 0, v7
	v_min_u32_e32 v5, 32, v5
	s_delay_alu instid0(VALU_DEP_1) | instskip(NEXT) | instid1(VALU_DEP_1)
	v_subrev_nc_u32_e32 v6, 29, v5
	v_dual_lshlrev_b32 v2, v6, v2 :: v_dual_sub_nc_u32 v5, 30, v5
	s_delay_alu instid0(VALU_DEP_1) | instskip(NEXT) | instid1(VALU_DEP_1)
	v_dual_lshlrev_b32 v3, 24, v3 :: v_dual_bitop2_b32 v2, 3, v2 bitop3:0x40
	v_dual_cndmask_b32 v5, v7, v5 :: v_dual_cndmask_b32 v2, v4, v2
	s_delay_alu instid0(VALU_DEP_2) | instskip(NEXT) | instid1(VALU_DEP_2)
	v_and_b32_e32 v3, 0x80000000, v3
	v_lshl_add_u32 v4, v5, 23, 0x37800000
	s_delay_alu instid0(VALU_DEP_3) | instskip(NEXT) | instid1(VALU_DEP_1)
	v_lshlrev_b32_e32 v2, 21, v2
	v_or3_b32 v2, v3, v4, v2
	s_delay_alu instid0(VALU_DEP_1)
	v_cvt_i32_f32_e32 v2, v2
.LBB190_183:
	s_or_b32 exec_lo, exec_lo, s14
	s_mov_b32 s14, 0
	s_branch .LBB190_189
.LBB190_184:
	s_mov_b32 s19, -1
                                        ; implicit-def: $vgpr2
	s_branch .LBB190_195
.LBB190_185:
	s_and_not1_saveexec_b32 s14, s14
	s_cbranch_execz .LBB190_171
.LBB190_186:
	v_cmp_ne_u16_e32 vcc_lo, 0, v3
	s_and_not1_b32 s19, s19, exec_lo
	s_and_b32 s20, vcc_lo, exec_lo
	s_delay_alu instid0(SALU_CYCLE_1)
	s_or_b32 s19, s19, s20
	s_or_b32 exec_lo, exec_lo, s14
	v_mov_b32_e32 v2, 0
	s_and_saveexec_b32 s14, s19
	s_cbranch_execnz .LBB190_172
	s_branch .LBB190_173
.LBB190_187:
	s_mov_b32 s14, -1
                                        ; implicit-def: $vgpr2
	s_branch .LBB190_192
.LBB190_188:
	s_mov_b32 s14, -1
                                        ; implicit-def: $vgpr2
.LBB190_189:
	s_delay_alu instid0(SALU_CYCLE_1)
	s_and_b32 vcc_lo, exec_lo, s14
	s_cbranch_vccz .LBB190_191
; %bb.190:
	s_wait_loadcnt 0x0
	global_load_u8 v2, v[0:1], off
	s_wait_loadcnt 0x0
	v_lshlrev_b32_e32 v2, 24, v2
	s_delay_alu instid0(VALU_DEP_1) | instskip(NEXT) | instid1(VALU_DEP_1)
	v_and_b32_e32 v3, 0x7f000000, v2
	v_clz_i32_u32_e32 v4, v3
	v_cmp_ne_u32_e32 vcc_lo, 0, v3
	v_add_nc_u32_e32 v6, 0x1000000, v3
	s_delay_alu instid0(VALU_DEP_3) | instskip(NEXT) | instid1(VALU_DEP_1)
	v_min_u32_e32 v4, 32, v4
	v_sub_nc_u32_e64 v4, v4, 4 clamp
	s_delay_alu instid0(VALU_DEP_1) | instskip(NEXT) | instid1(VALU_DEP_1)
	v_dual_lshlrev_b32 v5, v4, v3 :: v_dual_lshlrev_b32 v4, 23, v4
	v_lshrrev_b32_e32 v5, 4, v5
	s_delay_alu instid0(VALU_DEP_1) | instskip(NEXT) | instid1(VALU_DEP_1)
	v_dual_sub_nc_u32 v4, v5, v4 :: v_dual_ashrrev_i32 v5, 8, v6
	v_add_nc_u32_e32 v4, 0x3c000000, v4
	s_delay_alu instid0(VALU_DEP_1) | instskip(NEXT) | instid1(VALU_DEP_1)
	v_and_or_b32 v4, 0x7f800000, v5, v4
	v_cndmask_b32_e32 v3, 0, v4, vcc_lo
	s_delay_alu instid0(VALU_DEP_1) | instskip(NEXT) | instid1(VALU_DEP_1)
	v_and_or_b32 v2, 0x80000000, v2, v3
	v_cvt_i32_f32_e32 v2, v2
.LBB190_191:
	s_mov_b32 s14, 0
.LBB190_192:
	s_delay_alu instid0(SALU_CYCLE_1)
	s_and_not1_b32 vcc_lo, exec_lo, s14
	s_cbranch_vccnz .LBB190_194
; %bb.193:
	s_wait_loadcnt 0x0
	global_load_u8 v2, v[0:1], off
	s_wait_loadcnt 0x0
	v_lshlrev_b32_e32 v3, 25, v2
	v_lshlrev_b16 v2, 8, v2
	s_delay_alu instid0(VALU_DEP_1) | instskip(SKIP_1) | instid1(VALU_DEP_2)
	v_and_or_b32 v5, 0x7f00, v2, 0.5
	v_bfe_i32 v2, v2, 0, 16
	v_dual_add_f32 v5, -0.5, v5 :: v_dual_lshrrev_b32 v4, 4, v3
	v_cmp_gt_u32_e32 vcc_lo, 0x8000000, v3
	s_delay_alu instid0(VALU_DEP_2) | instskip(NEXT) | instid1(VALU_DEP_1)
	v_or_b32_e32 v4, 0x70000000, v4
	v_mul_f32_e32 v4, 0x7800000, v4
	s_delay_alu instid0(VALU_DEP_1) | instskip(NEXT) | instid1(VALU_DEP_1)
	v_cndmask_b32_e32 v3, v4, v5, vcc_lo
	v_and_or_b32 v2, 0x80000000, v2, v3
	s_delay_alu instid0(VALU_DEP_1)
	v_cvt_i32_f32_e32 v2, v2
.LBB190_194:
	s_mov_b32 s19, 0
	s_mov_b32 s14, -1
.LBB190_195:
	s_and_not1_b32 vcc_lo, exec_lo, s19
	s_cbranch_vccnz .LBB190_208
; %bb.196:
	s_cmp_gt_i32 s0, 14
	s_cbranch_scc0 .LBB190_199
; %bb.197:
	s_cmp_eq_u32 s0, 15
	s_cbranch_scc0 .LBB190_202
; %bb.198:
	s_wait_loadcnt 0x0
	global_load_u16 v2, v[0:1], off
	s_mov_b32 s14, -1
	s_mov_b32 s16, 0
	s_wait_loadcnt 0x0
	v_lshlrev_b32_e32 v2, 16, v2
	s_delay_alu instid0(VALU_DEP_1)
	v_cvt_i32_f32_e32 v2, v2
	s_branch .LBB190_203
.LBB190_199:
	s_mov_b32 s19, -1
                                        ; implicit-def: $vgpr2
	s_branch .LBB190_204
.LBB190_200:
	s_and_not1_saveexec_b32 s14, s14
	s_cbranch_execz .LBB190_181
.LBB190_201:
	v_cmp_ne_u16_e32 vcc_lo, 0, v3
	s_and_not1_b32 s19, s19, exec_lo
	s_and_b32 s20, vcc_lo, exec_lo
	s_delay_alu instid0(SALU_CYCLE_1)
	s_or_b32 s19, s19, s20
	s_or_b32 exec_lo, exec_lo, s14
	v_mov_b32_e32 v2, 0
	s_and_saveexec_b32 s14, s19
	s_cbranch_execnz .LBB190_182
	s_branch .LBB190_183
.LBB190_202:
	s_mov_b32 s16, -1
                                        ; implicit-def: $vgpr2
.LBB190_203:
	s_mov_b32 s19, 0
.LBB190_204:
	s_delay_alu instid0(SALU_CYCLE_1)
	s_and_b32 vcc_lo, exec_lo, s19
	s_cbranch_vccz .LBB190_208
; %bb.205:
	s_cmp_eq_u32 s0, 11
	s_cbranch_scc0 .LBB190_207
; %bb.206:
	s_wait_loadcnt 0x0
	global_load_u8 v2, v[0:1], off
	s_mov_b32 s16, 0
	s_mov_b32 s14, -1
	s_wait_loadcnt 0x0
	v_cmp_ne_u16_e32 vcc_lo, 0, v2
	v_cndmask_b32_e64 v2, 0, 1, vcc_lo
	s_branch .LBB190_208
.LBB190_207:
	s_mov_b32 s16, -1
                                        ; implicit-def: $vgpr2
.LBB190_208:
	s_branch .LBB190_10
.LBB190_209:
	s_cmp_lt_i32 s0, 5
	s_cbranch_scc1 .LBB190_214
; %bb.210:
	s_cmp_lt_i32 s0, 8
	s_cbranch_scc1 .LBB190_215
; %bb.211:
	s_cmp_lt_i32 s0, 9
	s_cbranch_scc1 .LBB190_216
; %bb.212:
	s_cmp_gt_i32 s0, 9
	s_cbranch_scc0 .LBB190_217
; %bb.213:
	s_wait_loadcnt 0x0
	global_load_b64 v[2:3], v[0:1], off
	s_mov_b32 s14, 0
	s_wait_loadcnt 0x0
	v_cvt_i32_f64_e32 v2, v[2:3]
	s_branch .LBB190_218
.LBB190_214:
                                        ; implicit-def: $vgpr2
	s_branch .LBB190_236
.LBB190_215:
	s_mov_b32 s14, -1
                                        ; implicit-def: $vgpr2
	s_branch .LBB190_224
.LBB190_216:
	s_mov_b32 s14, -1
                                        ; implicit-def: $vgpr2
	s_branch .LBB190_221
.LBB190_217:
	s_mov_b32 s14, -1
                                        ; implicit-def: $vgpr2
.LBB190_218:
	s_delay_alu instid0(SALU_CYCLE_1)
	s_and_not1_b32 vcc_lo, exec_lo, s14
	s_cbranch_vccnz .LBB190_220
; %bb.219:
	s_wait_loadcnt 0x0
	global_load_b32 v2, v[0:1], off
	s_wait_loadcnt 0x0
	v_cvt_i32_f32_e32 v2, v2
.LBB190_220:
	s_mov_b32 s14, 0
.LBB190_221:
	s_delay_alu instid0(SALU_CYCLE_1)
	s_and_not1_b32 vcc_lo, exec_lo, s14
	s_cbranch_vccnz .LBB190_223
; %bb.222:
	s_wait_loadcnt 0x0
	global_load_b32 v2, v[0:1], off
	s_wait_loadcnt 0x0
	v_cvt_f32_f16_e32 v2, v2
	s_delay_alu instid0(VALU_DEP_1)
	v_cvt_i32_f32_e32 v2, v2
.LBB190_223:
	s_mov_b32 s14, 0
.LBB190_224:
	s_delay_alu instid0(SALU_CYCLE_1)
	s_and_not1_b32 vcc_lo, exec_lo, s14
	s_cbranch_vccnz .LBB190_235
; %bb.225:
	s_cmp_lt_i32 s0, 6
	s_cbranch_scc1 .LBB190_228
; %bb.226:
	s_cmp_gt_i32 s0, 6
	s_cbranch_scc0 .LBB190_229
; %bb.227:
	s_wait_loadcnt 0x0
	global_load_b64 v[2:3], v[0:1], off
	s_mov_b32 s14, 0
	s_wait_loadcnt 0x0
	v_cvt_i32_f64_e32 v2, v[2:3]
	s_branch .LBB190_230
.LBB190_228:
	s_mov_b32 s14, -1
                                        ; implicit-def: $vgpr2
	s_branch .LBB190_233
.LBB190_229:
	s_mov_b32 s14, -1
                                        ; implicit-def: $vgpr2
.LBB190_230:
	s_delay_alu instid0(SALU_CYCLE_1)
	s_and_not1_b32 vcc_lo, exec_lo, s14
	s_cbranch_vccnz .LBB190_232
; %bb.231:
	s_wait_loadcnt 0x0
	global_load_b32 v2, v[0:1], off
	s_wait_loadcnt 0x0
	v_cvt_i32_f32_e32 v2, v2
.LBB190_232:
	s_mov_b32 s14, 0
.LBB190_233:
	s_delay_alu instid0(SALU_CYCLE_1)
	s_and_not1_b32 vcc_lo, exec_lo, s14
	s_cbranch_vccnz .LBB190_235
; %bb.234:
	s_wait_loadcnt 0x0
	global_load_u16 v2, v[0:1], off
	s_wait_loadcnt 0x0
	v_cvt_f32_f16_e32 v2, v2
	s_delay_alu instid0(VALU_DEP_1)
	v_cvt_i32_f32_e32 v2, v2
.LBB190_235:
	s_cbranch_execnz .LBB190_255
.LBB190_236:
	s_cmp_lt_i32 s0, 2
	s_cbranch_scc1 .LBB190_240
; %bb.237:
	s_cmp_lt_i32 s0, 3
	s_cbranch_scc1 .LBB190_241
; %bb.238:
	s_cmp_gt_i32 s0, 3
	s_cbranch_scc0 .LBB190_242
; %bb.239:
	s_wait_loadcnt 0x0
	global_load_b32 v2, v[0:1], off
	s_mov_b32 s14, 0
	s_branch .LBB190_243
.LBB190_240:
	s_mov_b32 s14, -1
                                        ; implicit-def: $vgpr2
	s_branch .LBB190_249
.LBB190_241:
	s_mov_b32 s14, -1
                                        ; implicit-def: $vgpr2
	s_branch .LBB190_246
.LBB190_242:
	s_mov_b32 s14, -1
                                        ; implicit-def: $vgpr2
.LBB190_243:
	s_delay_alu instid0(SALU_CYCLE_1)
	s_and_not1_b32 vcc_lo, exec_lo, s14
	s_cbranch_vccnz .LBB190_245
; %bb.244:
	s_wait_loadcnt 0x0
	global_load_b32 v2, v[0:1], off
.LBB190_245:
	s_mov_b32 s14, 0
.LBB190_246:
	s_delay_alu instid0(SALU_CYCLE_1)
	s_and_not1_b32 vcc_lo, exec_lo, s14
	s_cbranch_vccnz .LBB190_248
; %bb.247:
	s_wait_loadcnt 0x0
	global_load_i16 v2, v[0:1], off
.LBB190_248:
	s_mov_b32 s14, 0
.LBB190_249:
	s_delay_alu instid0(SALU_CYCLE_1)
	s_and_not1_b32 vcc_lo, exec_lo, s14
	s_cbranch_vccnz .LBB190_255
; %bb.250:
	s_cmp_gt_i32 s0, 0
	s_mov_b32 s0, 0
	s_cbranch_scc0 .LBB190_252
; %bb.251:
	s_wait_loadcnt 0x0
	global_load_i8 v2, v[0:1], off
	s_branch .LBB190_253
.LBB190_252:
	s_mov_b32 s0, -1
                                        ; implicit-def: $vgpr2
.LBB190_253:
	s_delay_alu instid0(SALU_CYCLE_1)
	s_and_not1_b32 vcc_lo, exec_lo, s0
	s_cbranch_vccnz .LBB190_255
; %bb.254:
	s_wait_loadcnt 0x0
	global_load_u8 v2, v[0:1], off
.LBB190_255:
	s_branch .LBB190_11
.LBB190_256:
	s_mov_b32 s0, 0
.LBB190_257:
	s_mov_b32 s19, 0
                                        ; implicit-def: $vgpr8
.LBB190_258:
	s_and_b32 s14, s0, exec_lo
	s_and_b32 s16, s16, exec_lo
	s_or_not1_b32 s20, s19, exec_lo
.LBB190_259:
	s_wait_xcnt 0x0
	s_or_b32 exec_lo, exec_lo, s17
	s_mov_b32 s19, 0
	s_mov_b32 s0, 0
                                        ; implicit-def: $vgpr0_vgpr1
                                        ; implicit-def: $vgpr4
	s_and_saveexec_b32 s17, s20
	s_cbranch_execz .LBB190_268
; %bb.260:
	s_mov_b32 s0, -1
	s_mov_b32 s18, s16
	s_mov_b32 s19, s14
	s_mov_b32 s20, exec_lo
	v_cmpx_gt_i32_e64 s15, v8
	s_cbranch_execz .LBB190_529
; %bb.261:
	v_mul_lo_u32 v0, v8, s9
	s_and_b32 s0, 0xffff, s12
	s_delay_alu instid0(SALU_CYCLE_1) | instskip(NEXT) | instid1(VALU_DEP_1)
	s_cmp_lt_i32 s0, 11
	v_ashrrev_i32_e32 v1, 31, v0
	s_delay_alu instid0(VALU_DEP_1)
	v_add_nc_u64_e32 v[0:1], s[6:7], v[0:1]
	s_cbranch_scc1 .LBB190_271
; %bb.262:
	s_cmp_gt_i32 s0, 25
	s_cbranch_scc0 .LBB190_276
; %bb.263:
	s_cmp_gt_i32 s0, 28
	s_cbranch_scc0 .LBB190_280
	;; [unrolled: 3-line block ×4, first 2 shown]
; %bb.266:
	s_cmp_eq_u32 s0, 46
	s_mov_b32 s21, 0
	s_cbranch_scc0 .LBB190_303
; %bb.267:
	s_wait_loadcnt 0x0
	global_load_b32 v2, v[0:1], off
	s_mov_b32 s19, -1
	s_mov_b32 s18, 0
	s_wait_loadcnt 0x0
	v_lshlrev_b32_e32 v2, 16, v2
	s_delay_alu instid0(VALU_DEP_1)
	v_cvt_i32_f32_e32 v2, v2
	s_branch .LBB190_305
.LBB190_268:
	s_or_b32 exec_lo, exec_lo, s17
	s_mov_b32 s15, 0
	s_and_saveexec_b32 s17, s16
	s_cbranch_execnz .LBB190_881
.LBB190_269:
	s_or_b32 exec_lo, exec_lo, s17
	s_and_saveexec_b32 s16, s18
	s_delay_alu instid0(SALU_CYCLE_1)
	s_xor_b32 s16, exec_lo, s16
	s_cbranch_execz .LBB190_882
.LBB190_270:
	s_wait_loadcnt 0x0
	global_load_u8 v2, v[0:1], off
	s_or_b32 s0, s0, exec_lo
	s_wait_loadcnt 0x0
	v_cmp_ne_u16_e32 vcc_lo, 0, v2
	v_cndmask_b32_e64 v4, 0, 1, vcc_lo
	s_wait_xcnt 0x0
	s_or_b32 exec_lo, exec_lo, s16
	s_and_saveexec_b32 s16, s19
	s_cbranch_execz .LBB190_928
	s_branch .LBB190_883
.LBB190_271:
	s_mov_b32 s19, 0
	s_mov_b32 s18, s16
                                        ; implicit-def: $vgpr2
	s_cbranch_execnz .LBB190_478
.LBB190_272:
	s_and_not1_b32 vcc_lo, exec_lo, s19
	s_cbranch_vccnz .LBB190_526
.LBB190_273:
	s_cmp_lt_i32 s10, 1
	s_mov_b32 s0, 0
	s_cbranch_scc1 .LBB190_277
; %bb.274:
	s_cmp_eq_u32 s10, 1
	s_cbranch_scc0 .LBB190_281
; %bb.275:
	s_wait_loadcnt 0x0
	s_delay_alu instid0(VALU_DEP_1)
	v_min_i32_e32 v0, s11, v2
	s_mov_b32 s19, 0
	s_branch .LBB190_282
.LBB190_276:
	s_mov_b32 s21, -1
	s_mov_b32 s19, 0
	s_mov_b32 s18, s16
                                        ; implicit-def: $vgpr2
	s_branch .LBB190_444
.LBB190_277:
	s_mov_b32 s19, 0
                                        ; implicit-def: $vgpr0
	s_cbranch_execnz .LBB190_283
.LBB190_278:
	s_and_not1_b32 vcc_lo, exec_lo, s19
	s_cbranch_vccnz .LBB190_284
.LBB190_279:
	s_wait_loadcnt 0x0
	s_delay_alu instid0(VALU_DEP_1)
	v_maxmin_i32 v0, v2, s11, s2
	s_cbranch_execz .LBB190_285
	s_branch .LBB190_286
.LBB190_280:
	s_mov_b32 s21, -1
	s_mov_b32 s19, 0
	s_mov_b32 s18, s16
                                        ; implicit-def: $vgpr2
	s_branch .LBB190_427
.LBB190_281:
	s_mov_b32 s19, -1
                                        ; implicit-def: $vgpr0
.LBB190_282:
	s_branch .LBB190_278
.LBB190_283:
	s_cmp_lg_u32 s10, 0
	s_mov_b32 s0, -1
	s_cselect_b32 s19, -1, 0
	s_delay_alu instid0(SALU_CYCLE_1)
	s_and_not1_b32 vcc_lo, exec_lo, s19
	s_cbranch_vccz .LBB190_279
.LBB190_284:
	s_and_not1_b32 vcc_lo, exec_lo, s0
	s_cbranch_vccnz .LBB190_286
.LBB190_285:
	s_wait_loadcnt 0x0
	s_delay_alu instid0(VALU_DEP_1)
	v_max_i32_e32 v0, s11, v2
.LBB190_286:
	s_wait_loadcnt 0x0
	v_mul_lo_u32 v2, v8, s8
	s_and_b32 s19, s3, 0xff
	s_delay_alu instid0(SALU_CYCLE_1) | instskip(NEXT) | instid1(VALU_DEP_1)
	s_cmp_lt_i32 s19, 11
	v_ashrrev_i32_e32 v3, 31, v2
	s_delay_alu instid0(VALU_DEP_1)
	v_add_nc_u64_e32 v[2:3], s[4:5], v[2:3]
	s_cbranch_scc1 .LBB190_293
; %bb.287:
	s_and_b32 s21, 0xffff, s19
	s_delay_alu instid0(SALU_CYCLE_1)
	s_cmp_gt_i32 s21, 25
	s_cbranch_scc0 .LBB190_294
; %bb.288:
	s_cmp_gt_i32 s21, 28
	s_cbranch_scc0 .LBB190_296
; %bb.289:
	s_cmp_gt_i32 s21, 43
	s_cbranch_scc0 .LBB190_300
; %bb.290:
	s_cmp_gt_i32 s21, 45
	s_cbranch_scc0 .LBB190_308
; %bb.291:
	s_mov_b32 s23, 0
	s_mov_b32 s0, -1
	s_cmp_eq_u32 s21, 46
	s_mov_b32 s22, 0
	s_cbranch_scc0 .LBB190_309
; %bb.292:
	s_wait_xcnt 0x0
	v_cvt_f32_i32_e32 v1, v0
	s_mov_b32 s22, -1
	s_mov_b32 s0, 0
	s_delay_alu instid0(VALU_DEP_1) | instskip(NEXT) | instid1(VALU_DEP_1)
	v_bfe_u32 v4, v1, 16, 1
	v_add3_u32 v1, v1, v4, 0x7fff
	s_delay_alu instid0(VALU_DEP_1)
	v_lshrrev_b32_e32 v1, 16, v1
	global_store_b32 v[2:3], v1, off
	s_branch .LBB190_309
.LBB190_293:
	s_mov_b32 s21, -1
	s_mov_b32 s22, 0
	s_mov_b32 s0, s14
	s_branch .LBB190_378
.LBB190_294:
	s_mov_b32 s23, -1
	s_mov_b32 s22, 0
	s_mov_b32 s0, s14
	s_branch .LBB190_336
.LBB190_295:
	s_mov_b32 s21, -1
	s_mov_b32 s19, 0
	s_mov_b32 s18, s16
                                        ; implicit-def: $vgpr2
	s_branch .LBB190_422
.LBB190_296:
	s_mov_b32 s23, -1
	s_mov_b32 s22, 0
	s_mov_b32 s0, s14
	s_branch .LBB190_319
.LBB190_297:
	s_and_not1_saveexec_b32 s22, s22
	s_cbranch_execz .LBB190_65
.LBB190_298:
	v_add_f32_e64 v4, 0x46000000, |v1|
	s_and_not1_b32 s21, s21, exec_lo
	s_delay_alu instid0(VALU_DEP_1) | instskip(NEXT) | instid1(VALU_DEP_1)
	v_and_b32_e32 v4, 0xff, v4
	v_cmp_ne_u32_e32 vcc_lo, 0, v4
	s_and_b32 s23, vcc_lo, exec_lo
	s_delay_alu instid0(SALU_CYCLE_1)
	s_or_b32 s21, s21, s23
	s_or_b32 exec_lo, exec_lo, s22
	v_mov_b32_e32 v5, 0
	s_and_saveexec_b32 s22, s21
	s_cbranch_execnz .LBB190_66
	s_branch .LBB190_67
.LBB190_299:
	s_mov_b32 s21, -1
	s_mov_b32 s19, 0
	s_mov_b32 s18, s16
	s_branch .LBB190_304
.LBB190_300:
	s_mov_b32 s23, -1
	s_mov_b32 s22, 0
	s_mov_b32 s0, s14
	s_branch .LBB190_315
.LBB190_301:
	s_and_not1_saveexec_b32 s22, s22
	s_cbranch_execz .LBB190_78
.LBB190_302:
	v_add_f32_e64 v4, 0x42800000, |v1|
	s_and_not1_b32 s21, s21, exec_lo
	s_delay_alu instid0(VALU_DEP_1) | instskip(NEXT) | instid1(VALU_DEP_1)
	v_and_b32_e32 v4, 0xff, v4
	v_cmp_ne_u32_e32 vcc_lo, 0, v4
	s_and_b32 s23, vcc_lo, exec_lo
	s_delay_alu instid0(SALU_CYCLE_1)
	s_or_b32 s21, s21, s23
	s_or_b32 exec_lo, exec_lo, s22
	v_mov_b32_e32 v5, 0
	s_and_saveexec_b32 s22, s21
	s_cbranch_execnz .LBB190_79
	s_branch .LBB190_80
.LBB190_303:
	s_mov_b32 s18, -1
	s_mov_b32 s19, 0
.LBB190_304:
                                        ; implicit-def: $vgpr2
.LBB190_305:
	s_and_b32 vcc_lo, exec_lo, s21
	s_cbranch_vccz .LBB190_421
; %bb.306:
	s_cmp_eq_u32 s0, 44
	s_cbranch_scc0 .LBB190_420
; %bb.307:
	s_wait_loadcnt 0x0
	global_load_u8 v2, v[0:1], off
	s_mov_b32 s18, 0
	s_mov_b32 s19, -1
	s_wait_loadcnt 0x0
	v_lshlrev_b32_e32 v3, 23, v2
	v_cmp_ne_u32_e32 vcc_lo, 0, v2
	s_delay_alu instid0(VALU_DEP_2) | instskip(NEXT) | instid1(VALU_DEP_1)
	v_cvt_i32_f32_e32 v3, v3
	v_cndmask_b32_e32 v2, 0, v3, vcc_lo
	s_branch .LBB190_421
.LBB190_308:
	s_mov_b32 s23, -1
	s_mov_b32 s22, 0
	s_mov_b32 s0, s14
.LBB190_309:
	s_and_b32 vcc_lo, exec_lo, s23
	s_cbranch_vccz .LBB190_314
; %bb.310:
	s_cmp_eq_u32 s21, 44
	s_mov_b32 s0, -1
	s_cbranch_scc0 .LBB190_314
; %bb.311:
	s_wait_xcnt 0x0
	v_cvt_f32_i32_e32 v1, v0
	v_mov_b32_e32 v4, 0xff
	s_mov_b32 s22, exec_lo
	s_delay_alu instid0(VALU_DEP_2) | instskip(NEXT) | instid1(VALU_DEP_1)
	v_bfe_u32 v5, v1, 23, 8
	v_cmpx_ne_u32_e32 0xff, v5
	s_cbranch_execz .LBB190_313
; %bb.312:
	v_and_b32_e32 v4, 0x400000, v1
	v_and_or_b32 v5, 0x3fffff, v1, v5
	v_lshrrev_b32_e32 v1, 23, v1
	s_delay_alu instid0(VALU_DEP_3) | instskip(NEXT) | instid1(VALU_DEP_3)
	v_cmp_ne_u32_e32 vcc_lo, 0, v4
	v_cmp_ne_u32_e64 s0, 0, v5
	s_and_b32 s0, vcc_lo, s0
	s_delay_alu instid0(SALU_CYCLE_1) | instskip(NEXT) | instid1(VALU_DEP_1)
	v_cndmask_b32_e64 v4, 0, 1, s0
	v_add_nc_u32_e32 v4, v1, v4
.LBB190_313:
	s_or_b32 exec_lo, exec_lo, s22
	s_mov_b32 s22, -1
	s_mov_b32 s0, 0
	global_store_b8 v[2:3], v4, off
.LBB190_314:
	s_mov_b32 s23, 0
.LBB190_315:
	s_delay_alu instid0(SALU_CYCLE_1)
	s_and_b32 vcc_lo, exec_lo, s23
	s_cbranch_vccz .LBB190_318
; %bb.316:
	s_cmp_eq_u32 s21, 29
	s_mov_b32 s0, -1
	s_cbranch_scc0 .LBB190_318
; %bb.317:
	s_wait_xcnt 0x0
	v_ashrrev_i32_e32 v1, 31, v0
	s_mov_b32 s22, -1
	s_mov_b32 s0, 0
	s_mov_b32 s23, 0
	global_store_b64 v[2:3], v[0:1], off
	s_branch .LBB190_319
.LBB190_318:
	s_mov_b32 s23, 0
.LBB190_319:
	s_delay_alu instid0(SALU_CYCLE_1)
	s_and_b32 vcc_lo, exec_lo, s23
	s_cbranch_vccz .LBB190_335
; %bb.320:
	s_cmp_lt_i32 s21, 27
	s_mov_b32 s22, -1
	s_cbranch_scc1 .LBB190_326
; %bb.321:
	s_cmp_gt_i32 s21, 27
	s_cbranch_scc0 .LBB190_323
; %bb.322:
	s_mov_b32 s22, 0
	global_store_b32 v[2:3], v0, off
.LBB190_323:
	s_and_not1_b32 vcc_lo, exec_lo, s22
	s_cbranch_vccnz .LBB190_325
; %bb.324:
	global_store_b16 v[2:3], v0, off
.LBB190_325:
	s_mov_b32 s22, 0
.LBB190_326:
	s_delay_alu instid0(SALU_CYCLE_1)
	s_and_not1_b32 vcc_lo, exec_lo, s22
	s_cbranch_vccnz .LBB190_334
; %bb.327:
	s_wait_xcnt 0x0
	v_cvt_f32_i32_e32 v1, v0
	v_mov_b32_e32 v5, 0x80
	s_mov_b32 s22, exec_lo
	s_delay_alu instid0(VALU_DEP_2) | instskip(NEXT) | instid1(VALU_DEP_1)
	v_and_b32_e32 v4, 0x7fffffff, v1
	v_cmpx_gt_u32_e32 0x43800000, v4
	s_cbranch_execz .LBB190_333
; %bb.328:
	v_cmp_lt_u32_e32 vcc_lo, 0x3bffffff, v4
	s_mov_b32 s23, 0
                                        ; implicit-def: $vgpr4
	s_and_saveexec_b32 s24, vcc_lo
	s_delay_alu instid0(SALU_CYCLE_1)
	s_xor_b32 s24, exec_lo, s24
	s_cbranch_execz .LBB190_542
; %bb.329:
	v_bfe_u32 v4, v1, 20, 1
	s_mov_b32 s23, exec_lo
	s_delay_alu instid0(VALU_DEP_1) | instskip(NEXT) | instid1(VALU_DEP_1)
	v_add3_u32 v4, v1, v4, 0x487ffff
	v_lshrrev_b32_e32 v4, 20, v4
	s_and_not1_saveexec_b32 s24, s24
	s_cbranch_execnz .LBB190_543
.LBB190_330:
	s_or_b32 exec_lo, exec_lo, s24
	v_mov_b32_e32 v5, 0
	s_and_saveexec_b32 s24, s23
.LBB190_331:
	v_lshrrev_b32_e32 v1, 24, v1
	s_delay_alu instid0(VALU_DEP_1)
	v_and_or_b32 v5, 0x80, v1, v4
.LBB190_332:
	s_or_b32 exec_lo, exec_lo, s24
.LBB190_333:
	s_delay_alu instid0(SALU_CYCLE_1)
	s_or_b32 exec_lo, exec_lo, s22
	global_store_b8 v[2:3], v5, off
.LBB190_334:
	s_mov_b32 s22, -1
.LBB190_335:
	s_mov_b32 s23, 0
.LBB190_336:
	s_delay_alu instid0(SALU_CYCLE_1)
	s_and_b32 vcc_lo, exec_lo, s23
	s_cbranch_vccz .LBB190_377
; %bb.337:
	s_cmp_gt_i32 s21, 22
	s_mov_b32 s23, -1
	s_cbranch_scc0 .LBB190_369
; %bb.338:
	s_cmp_lt_i32 s21, 24
	s_mov_b32 s22, -1
	s_cbranch_scc1 .LBB190_358
; %bb.339:
	s_cmp_gt_i32 s21, 24
	s_cbranch_scc0 .LBB190_347
; %bb.340:
	s_wait_xcnt 0x0
	v_cvt_f32_i32_e32 v1, v0
	v_mov_b32_e32 v5, 0x80
	s_mov_b32 s22, exec_lo
	s_delay_alu instid0(VALU_DEP_2) | instskip(NEXT) | instid1(VALU_DEP_1)
	v_and_b32_e32 v4, 0x7fffffff, v1
	v_cmpx_gt_u32_e32 0x47800000, v4
	s_cbranch_execz .LBB190_346
; %bb.341:
	v_cmp_lt_u32_e32 vcc_lo, 0x37ffffff, v4
	s_mov_b32 s23, 0
                                        ; implicit-def: $vgpr4
	s_and_saveexec_b32 s24, vcc_lo
	s_delay_alu instid0(SALU_CYCLE_1)
	s_xor_b32 s24, exec_lo, s24
	s_cbranch_execz .LBB190_545
; %bb.342:
	v_bfe_u32 v4, v1, 21, 1
	s_mov_b32 s23, exec_lo
	s_delay_alu instid0(VALU_DEP_1) | instskip(NEXT) | instid1(VALU_DEP_1)
	v_add3_u32 v4, v1, v4, 0x88fffff
	v_lshrrev_b32_e32 v4, 21, v4
	s_and_not1_saveexec_b32 s24, s24
	s_cbranch_execnz .LBB190_546
.LBB190_343:
	s_or_b32 exec_lo, exec_lo, s24
	v_mov_b32_e32 v5, 0
	s_and_saveexec_b32 s24, s23
.LBB190_344:
	v_lshrrev_b32_e32 v1, 24, v1
	s_delay_alu instid0(VALU_DEP_1)
	v_and_or_b32 v5, 0x80, v1, v4
.LBB190_345:
	s_or_b32 exec_lo, exec_lo, s24
.LBB190_346:
	s_delay_alu instid0(SALU_CYCLE_1)
	s_or_b32 exec_lo, exec_lo, s22
	s_mov_b32 s22, 0
	global_store_b8 v[2:3], v5, off
.LBB190_347:
	s_and_b32 vcc_lo, exec_lo, s22
	s_cbranch_vccz .LBB190_357
; %bb.348:
	s_wait_xcnt 0x0
	v_cvt_f32_i32_e32 v1, v0
	s_mov_b32 s22, exec_lo
                                        ; implicit-def: $vgpr4
	s_delay_alu instid0(VALU_DEP_1) | instskip(NEXT) | instid1(VALU_DEP_1)
	v_and_b32_e32 v5, 0x7fffffff, v1
	v_cmpx_gt_u32_e32 0x43f00000, v5
	s_xor_b32 s22, exec_lo, s22
	s_cbranch_execz .LBB190_354
; %bb.349:
	s_mov_b32 s23, exec_lo
                                        ; implicit-def: $vgpr4
	v_cmpx_lt_u32_e32 0x3c7fffff, v5
	s_xor_b32 s23, exec_lo, s23
; %bb.350:
	v_bfe_u32 v4, v1, 20, 1
	s_delay_alu instid0(VALU_DEP_1) | instskip(NEXT) | instid1(VALU_DEP_1)
	v_add3_u32 v4, v1, v4, 0x407ffff
	v_and_b32_e32 v5, 0xff00000, v4
	v_lshrrev_b32_e32 v4, 20, v4
	s_delay_alu instid0(VALU_DEP_2) | instskip(NEXT) | instid1(VALU_DEP_2)
	v_cmp_ne_u32_e32 vcc_lo, 0x7f00000, v5
	v_cndmask_b32_e32 v4, 0x7e, v4, vcc_lo
; %bb.351:
	s_and_not1_saveexec_b32 s23, s23
; %bb.352:
	v_add_f32_e64 v4, 0x46800000, |v1|
; %bb.353:
	s_or_b32 exec_lo, exec_lo, s23
                                        ; implicit-def: $vgpr5
.LBB190_354:
	s_and_not1_saveexec_b32 s22, s22
; %bb.355:
	v_mov_b32_e32 v4, 0x7f
	v_cmp_lt_u32_e32 vcc_lo, 0x7f800000, v5
	s_delay_alu instid0(VALU_DEP_2)
	v_cndmask_b32_e32 v4, 0x7e, v4, vcc_lo
; %bb.356:
	s_or_b32 exec_lo, exec_lo, s22
	v_lshrrev_b32_e32 v1, 24, v1
	s_delay_alu instid0(VALU_DEP_1)
	v_and_or_b32 v1, 0x80, v1, v4
	global_store_b8 v[2:3], v1, off
.LBB190_357:
	s_mov_b32 s22, 0
.LBB190_358:
	s_delay_alu instid0(SALU_CYCLE_1)
	s_and_not1_b32 vcc_lo, exec_lo, s22
	s_cbranch_vccnz .LBB190_368
; %bb.359:
	s_wait_xcnt 0x0
	v_cvt_f32_i32_e32 v1, v0
	s_mov_b32 s22, exec_lo
                                        ; implicit-def: $vgpr4
	s_delay_alu instid0(VALU_DEP_1) | instskip(NEXT) | instid1(VALU_DEP_1)
	v_and_b32_e32 v5, 0x7fffffff, v1
	v_cmpx_gt_u32_e32 0x47800000, v5
	s_xor_b32 s22, exec_lo, s22
	s_cbranch_execz .LBB190_365
; %bb.360:
	s_mov_b32 s23, exec_lo
                                        ; implicit-def: $vgpr4
	v_cmpx_lt_u32_e32 0x387fffff, v5
	s_xor_b32 s23, exec_lo, s23
; %bb.361:
	v_bfe_u32 v4, v1, 21, 1
	s_delay_alu instid0(VALU_DEP_1) | instskip(NEXT) | instid1(VALU_DEP_1)
	v_add3_u32 v4, v1, v4, 0x80fffff
	v_lshrrev_b32_e32 v4, 21, v4
; %bb.362:
	s_and_not1_saveexec_b32 s23, s23
; %bb.363:
	v_add_f32_e64 v4, 0x43000000, |v1|
; %bb.364:
	s_or_b32 exec_lo, exec_lo, s23
                                        ; implicit-def: $vgpr5
.LBB190_365:
	s_and_not1_saveexec_b32 s22, s22
; %bb.366:
	v_mov_b32_e32 v4, 0x7f
	v_cmp_lt_u32_e32 vcc_lo, 0x7f800000, v5
	s_delay_alu instid0(VALU_DEP_2)
	v_cndmask_b32_e32 v4, 0x7c, v4, vcc_lo
; %bb.367:
	s_or_b32 exec_lo, exec_lo, s22
	v_lshrrev_b32_e32 v1, 24, v1
	s_delay_alu instid0(VALU_DEP_1)
	v_and_or_b32 v1, 0x80, v1, v4
	global_store_b8 v[2:3], v1, off
.LBB190_368:
	s_mov_b32 s23, 0
	s_mov_b32 s22, -1
.LBB190_369:
	s_and_not1_b32 vcc_lo, exec_lo, s23
	s_cbranch_vccnz .LBB190_377
; %bb.370:
	s_cmp_gt_i32 s21, 14
	s_mov_b32 s23, -1
	s_cbranch_scc0 .LBB190_374
; %bb.371:
	s_cmp_eq_u32 s21, 15
	s_mov_b32 s0, -1
	s_cbranch_scc0 .LBB190_373
; %bb.372:
	s_wait_xcnt 0x0
	v_cvt_f32_i32_e32 v1, v0
	s_mov_b32 s22, -1
	s_mov_b32 s0, 0
	s_delay_alu instid0(VALU_DEP_1) | instskip(NEXT) | instid1(VALU_DEP_1)
	v_bfe_u32 v4, v1, 16, 1
	v_add3_u32 v1, v1, v4, 0x7fff
	global_store_d16_hi_b16 v[2:3], v1, off
.LBB190_373:
	s_mov_b32 s23, 0
.LBB190_374:
	s_delay_alu instid0(SALU_CYCLE_1)
	s_and_b32 vcc_lo, exec_lo, s23
	s_cbranch_vccz .LBB190_377
; %bb.375:
	s_cmp_eq_u32 s21, 11
	s_mov_b32 s0, -1
	s_cbranch_scc0 .LBB190_377
; %bb.376:
	v_cmp_ne_u32_e32 vcc_lo, 0, v0
	s_mov_b32 s0, 0
	s_mov_b32 s22, -1
	s_wait_xcnt 0x0
	v_cndmask_b32_e64 v1, 0, 1, vcc_lo
	global_store_b8 v[2:3], v1, off
.LBB190_377:
	s_mov_b32 s21, 0
.LBB190_378:
	s_delay_alu instid0(SALU_CYCLE_1)
	s_and_b32 vcc_lo, exec_lo, s21
	s_cbranch_vccz .LBB190_417
; %bb.379:
	s_and_b32 s19, 0xffff, s19
	s_mov_b32 s21, -1
	s_cmp_lt_i32 s19, 5
	s_cbranch_scc1 .LBB190_400
; %bb.380:
	s_cmp_lt_i32 s19, 8
	s_cbranch_scc1 .LBB190_390
; %bb.381:
	;; [unrolled: 3-line block ×3, first 2 shown]
	s_cmp_gt_i32 s19, 9
	s_cbranch_scc0 .LBB190_384
; %bb.383:
	s_wait_xcnt 0x0
	v_cvt_f64_i32_e32 v[4:5], v0
	v_mov_b32_e32 v6, 0
	s_mov_b32 s21, 0
	s_delay_alu instid0(VALU_DEP_1)
	v_mov_b32_e32 v7, v6
	global_store_b128 v[2:3], v[4:7], off
.LBB190_384:
	s_and_not1_b32 vcc_lo, exec_lo, s21
	s_cbranch_vccnz .LBB190_386
; %bb.385:
	s_wait_xcnt 0x0
	v_cvt_f32_i32_e32 v4, v0
	v_mov_b32_e32 v5, 0
	global_store_b64 v[2:3], v[4:5], off
.LBB190_386:
	s_mov_b32 s21, 0
.LBB190_387:
	s_delay_alu instid0(SALU_CYCLE_1)
	s_and_not1_b32 vcc_lo, exec_lo, s21
	s_cbranch_vccnz .LBB190_389
; %bb.388:
	s_wait_xcnt 0x0
	v_cvt_f32_i32_e32 v1, v0
	s_delay_alu instid0(VALU_DEP_1) | instskip(NEXT) | instid1(VALU_DEP_1)
	v_cvt_f16_f32_e32 v1, v1
	v_and_b32_e32 v1, 0xffff, v1
	global_store_b32 v[2:3], v1, off
.LBB190_389:
	s_mov_b32 s21, 0
.LBB190_390:
	s_delay_alu instid0(SALU_CYCLE_1)
	s_and_not1_b32 vcc_lo, exec_lo, s21
	s_cbranch_vccnz .LBB190_399
; %bb.391:
	s_cmp_lt_i32 s19, 6
	s_mov_b32 s21, -1
	s_cbranch_scc1 .LBB190_397
; %bb.392:
	s_cmp_gt_i32 s19, 6
	s_cbranch_scc0 .LBB190_394
; %bb.393:
	s_wait_xcnt 0x0
	v_cvt_f64_i32_e32 v[4:5], v0
	s_mov_b32 s21, 0
	global_store_b64 v[2:3], v[4:5], off
.LBB190_394:
	s_and_not1_b32 vcc_lo, exec_lo, s21
	s_cbranch_vccnz .LBB190_396
; %bb.395:
	s_wait_xcnt 0x0
	v_cvt_f32_i32_e32 v1, v0
	global_store_b32 v[2:3], v1, off
.LBB190_396:
	s_mov_b32 s21, 0
.LBB190_397:
	s_delay_alu instid0(SALU_CYCLE_1)
	s_and_not1_b32 vcc_lo, exec_lo, s21
	s_cbranch_vccnz .LBB190_399
; %bb.398:
	s_wait_xcnt 0x0
	v_cvt_f32_i32_e32 v1, v0
	s_delay_alu instid0(VALU_DEP_1)
	v_cvt_f16_f32_e32 v1, v1
	global_store_b16 v[2:3], v1, off
.LBB190_399:
	s_mov_b32 s21, 0
.LBB190_400:
	s_delay_alu instid0(SALU_CYCLE_1)
	s_and_not1_b32 vcc_lo, exec_lo, s21
	s_cbranch_vccnz .LBB190_416
; %bb.401:
	s_cmp_lt_i32 s19, 2
	s_mov_b32 s21, -1
	s_cbranch_scc1 .LBB190_411
; %bb.402:
	s_cmp_lt_i32 s19, 3
	s_cbranch_scc1 .LBB190_408
; %bb.403:
	s_cmp_gt_i32 s19, 3
	s_cbranch_scc0 .LBB190_405
; %bb.404:
	s_wait_xcnt 0x0
	v_ashrrev_i32_e32 v1, 31, v0
	s_mov_b32 s21, 0
	global_store_b64 v[2:3], v[0:1], off
.LBB190_405:
	s_and_not1_b32 vcc_lo, exec_lo, s21
	s_cbranch_vccnz .LBB190_407
; %bb.406:
	global_store_b32 v[2:3], v0, off
.LBB190_407:
	s_mov_b32 s21, 0
.LBB190_408:
	s_delay_alu instid0(SALU_CYCLE_1)
	s_and_not1_b32 vcc_lo, exec_lo, s21
	s_cbranch_vccnz .LBB190_410
; %bb.409:
	global_store_b16 v[2:3], v0, off
.LBB190_410:
	s_mov_b32 s21, 0
.LBB190_411:
	s_delay_alu instid0(SALU_CYCLE_1)
	s_and_not1_b32 vcc_lo, exec_lo, s21
	s_cbranch_vccnz .LBB190_416
; %bb.412:
	s_cmp_gt_i32 s19, 0
	s_mov_b32 s19, -1
	s_cbranch_scc0 .LBB190_414
; %bb.413:
	s_mov_b32 s19, 0
	global_store_b8 v[2:3], v0, off
.LBB190_414:
	s_and_not1_b32 vcc_lo, exec_lo, s19
	s_cbranch_vccnz .LBB190_416
; %bb.415:
	global_store_b8 v[2:3], v0, off
.LBB190_416:
	s_mov_b32 s22, -1
.LBB190_417:
	s_delay_alu instid0(SALU_CYCLE_1)
	s_and_not1_b32 vcc_lo, exec_lo, s22
	s_cbranch_vccnz .LBB190_419
; %bb.418:
	v_add_nc_u32_e32 v8, 0x80, v8
	s_mov_b32 s21, -1
	s_branch .LBB190_528
.LBB190_419:
	s_mov_b32 s21, 0
	s_branch .LBB190_527
.LBB190_420:
	s_mov_b32 s18, -1
                                        ; implicit-def: $vgpr2
.LBB190_421:
	s_mov_b32 s21, 0
.LBB190_422:
	s_delay_alu instid0(SALU_CYCLE_1)
	s_and_b32 vcc_lo, exec_lo, s21
	s_cbranch_vccz .LBB190_426
; %bb.423:
	s_cmp_eq_u32 s0, 29
	s_cbranch_scc0 .LBB190_425
; %bb.424:
	s_wait_loadcnt 0x0
	global_load_b32 v2, v[0:1], off
	s_mov_b32 s19, -1
	s_mov_b32 s18, 0
	s_branch .LBB190_426
.LBB190_425:
	s_mov_b32 s18, -1
                                        ; implicit-def: $vgpr2
.LBB190_426:
	s_mov_b32 s21, 0
.LBB190_427:
	s_delay_alu instid0(SALU_CYCLE_1)
	s_and_b32 vcc_lo, exec_lo, s21
	s_cbranch_vccz .LBB190_443
; %bb.428:
	s_cmp_lt_i32 s0, 27
	s_cbranch_scc1 .LBB190_431
; %bb.429:
	s_cmp_gt_i32 s0, 27
	s_cbranch_scc0 .LBB190_432
; %bb.430:
	s_wait_loadcnt 0x0
	global_load_b32 v2, v[0:1], off
	s_mov_b32 s19, 0
	s_branch .LBB190_433
.LBB190_431:
	s_mov_b32 s19, -1
                                        ; implicit-def: $vgpr2
	s_branch .LBB190_436
.LBB190_432:
	s_mov_b32 s19, -1
                                        ; implicit-def: $vgpr2
.LBB190_433:
	s_delay_alu instid0(SALU_CYCLE_1)
	s_and_not1_b32 vcc_lo, exec_lo, s19
	s_cbranch_vccnz .LBB190_435
; %bb.434:
	s_wait_loadcnt 0x0
	global_load_u16 v2, v[0:1], off
.LBB190_435:
	s_mov_b32 s19, 0
.LBB190_436:
	s_delay_alu instid0(SALU_CYCLE_1)
	s_and_not1_b32 vcc_lo, exec_lo, s19
	s_cbranch_vccnz .LBB190_442
; %bb.437:
	global_load_u8 v3, v[0:1], off
	s_mov_b32 s21, 0
	s_mov_b32 s19, exec_lo
	s_wait_loadcnt 0x0
	v_cmpx_lt_i16_e32 0x7f, v3
	s_xor_b32 s19, exec_lo, s19
	s_cbranch_execz .LBB190_454
; %bb.438:
	v_cmp_ne_u16_e32 vcc_lo, 0x80, v3
	s_and_b32 s21, vcc_lo, exec_lo
	s_and_not1_saveexec_b32 s19, s19
	s_cbranch_execnz .LBB190_455
.LBB190_439:
	s_or_b32 exec_lo, exec_lo, s19
	v_mov_b32_e32 v2, 0
	s_and_saveexec_b32 s19, s21
	s_cbranch_execz .LBB190_441
.LBB190_440:
	v_and_b32_e32 v2, 0xffff, v3
	s_delay_alu instid0(VALU_DEP_1) | instskip(SKIP_1) | instid1(VALU_DEP_2)
	v_and_b32_e32 v4, 7, v2
	v_bfe_u32 v7, v2, 3, 4
	v_clz_i32_u32_e32 v5, v4
	s_delay_alu instid0(VALU_DEP_2) | instskip(NEXT) | instid1(VALU_DEP_2)
	v_cmp_eq_u32_e32 vcc_lo, 0, v7
	v_min_u32_e32 v5, 32, v5
	s_delay_alu instid0(VALU_DEP_1) | instskip(NEXT) | instid1(VALU_DEP_1)
	v_subrev_nc_u32_e32 v6, 28, v5
	v_dual_lshlrev_b32 v2, v6, v2 :: v_dual_sub_nc_u32 v5, 29, v5
	s_delay_alu instid0(VALU_DEP_1) | instskip(NEXT) | instid1(VALU_DEP_1)
	v_dual_lshlrev_b32 v3, 24, v3 :: v_dual_bitop2_b32 v2, 7, v2 bitop3:0x40
	v_dual_cndmask_b32 v5, v7, v5 :: v_dual_cndmask_b32 v2, v4, v2
	s_delay_alu instid0(VALU_DEP_2) | instskip(NEXT) | instid1(VALU_DEP_2)
	v_and_b32_e32 v3, 0x80000000, v3
	v_lshl_add_u32 v4, v5, 23, 0x3b800000
	s_delay_alu instid0(VALU_DEP_3) | instskip(NEXT) | instid1(VALU_DEP_1)
	v_lshlrev_b32_e32 v2, 20, v2
	v_or3_b32 v2, v3, v4, v2
	s_delay_alu instid0(VALU_DEP_1)
	v_cvt_i32_f32_e32 v2, v2
.LBB190_441:
	s_or_b32 exec_lo, exec_lo, s19
.LBB190_442:
	s_mov_b32 s19, -1
.LBB190_443:
	s_mov_b32 s21, 0
.LBB190_444:
	s_delay_alu instid0(SALU_CYCLE_1)
	s_and_b32 vcc_lo, exec_lo, s21
	s_cbranch_vccz .LBB190_477
; %bb.445:
	s_cmp_gt_i32 s0, 22
	s_cbranch_scc0 .LBB190_453
; %bb.446:
	s_cmp_lt_i32 s0, 24
	s_cbranch_scc1 .LBB190_456
; %bb.447:
	s_cmp_gt_i32 s0, 24
	s_cbranch_scc0 .LBB190_457
; %bb.448:
	global_load_u8 v3, v[0:1], off
	s_mov_b32 s21, 0
	s_mov_b32 s19, exec_lo
	s_wait_loadcnt 0x0
	v_cmpx_lt_i16_e32 0x7f, v3
	s_xor_b32 s19, exec_lo, s19
	s_cbranch_execz .LBB190_469
; %bb.449:
	v_cmp_ne_u16_e32 vcc_lo, 0x80, v3
	s_and_b32 s21, vcc_lo, exec_lo
	s_and_not1_saveexec_b32 s19, s19
	s_cbranch_execnz .LBB190_470
.LBB190_450:
	s_or_b32 exec_lo, exec_lo, s19
	v_mov_b32_e32 v2, 0
	s_and_saveexec_b32 s19, s21
	s_cbranch_execz .LBB190_452
.LBB190_451:
	v_and_b32_e32 v2, 0xffff, v3
	s_delay_alu instid0(VALU_DEP_1) | instskip(SKIP_1) | instid1(VALU_DEP_2)
	v_and_b32_e32 v4, 3, v2
	v_bfe_u32 v7, v2, 2, 5
	v_clz_i32_u32_e32 v5, v4
	s_delay_alu instid0(VALU_DEP_2) | instskip(NEXT) | instid1(VALU_DEP_2)
	v_cmp_eq_u32_e32 vcc_lo, 0, v7
	v_min_u32_e32 v5, 32, v5
	s_delay_alu instid0(VALU_DEP_1) | instskip(NEXT) | instid1(VALU_DEP_1)
	v_subrev_nc_u32_e32 v6, 29, v5
	v_dual_lshlrev_b32 v2, v6, v2 :: v_dual_sub_nc_u32 v5, 30, v5
	s_delay_alu instid0(VALU_DEP_1) | instskip(NEXT) | instid1(VALU_DEP_1)
	v_dual_lshlrev_b32 v3, 24, v3 :: v_dual_bitop2_b32 v2, 3, v2 bitop3:0x40
	v_dual_cndmask_b32 v5, v7, v5 :: v_dual_cndmask_b32 v2, v4, v2
	s_delay_alu instid0(VALU_DEP_2) | instskip(NEXT) | instid1(VALU_DEP_2)
	v_and_b32_e32 v3, 0x80000000, v3
	v_lshl_add_u32 v4, v5, 23, 0x37800000
	s_delay_alu instid0(VALU_DEP_3) | instskip(NEXT) | instid1(VALU_DEP_1)
	v_lshlrev_b32_e32 v2, 21, v2
	v_or3_b32 v2, v3, v4, v2
	s_delay_alu instid0(VALU_DEP_1)
	v_cvt_i32_f32_e32 v2, v2
.LBB190_452:
	s_or_b32 exec_lo, exec_lo, s19
	s_mov_b32 s19, 0
	s_branch .LBB190_458
.LBB190_453:
	s_mov_b32 s21, -1
                                        ; implicit-def: $vgpr2
	s_branch .LBB190_464
.LBB190_454:
	s_and_not1_saveexec_b32 s19, s19
	s_cbranch_execz .LBB190_439
.LBB190_455:
	v_cmp_ne_u16_e32 vcc_lo, 0, v3
	s_and_not1_b32 s21, s21, exec_lo
	s_and_b32 s22, vcc_lo, exec_lo
	s_delay_alu instid0(SALU_CYCLE_1)
	s_or_b32 s21, s21, s22
	s_or_b32 exec_lo, exec_lo, s19
	v_mov_b32_e32 v2, 0
	s_and_saveexec_b32 s19, s21
	s_cbranch_execnz .LBB190_440
	s_branch .LBB190_441
.LBB190_456:
	s_mov_b32 s19, -1
                                        ; implicit-def: $vgpr2
	s_branch .LBB190_461
.LBB190_457:
	s_mov_b32 s19, -1
                                        ; implicit-def: $vgpr2
.LBB190_458:
	s_delay_alu instid0(SALU_CYCLE_1)
	s_and_b32 vcc_lo, exec_lo, s19
	s_cbranch_vccz .LBB190_460
; %bb.459:
	s_wait_loadcnt 0x0
	global_load_u8 v2, v[0:1], off
	s_wait_loadcnt 0x0
	v_lshlrev_b32_e32 v2, 24, v2
	s_delay_alu instid0(VALU_DEP_1) | instskip(NEXT) | instid1(VALU_DEP_1)
	v_and_b32_e32 v3, 0x7f000000, v2
	v_clz_i32_u32_e32 v4, v3
	v_cmp_ne_u32_e32 vcc_lo, 0, v3
	v_add_nc_u32_e32 v6, 0x1000000, v3
	s_delay_alu instid0(VALU_DEP_3) | instskip(NEXT) | instid1(VALU_DEP_1)
	v_min_u32_e32 v4, 32, v4
	v_sub_nc_u32_e64 v4, v4, 4 clamp
	s_delay_alu instid0(VALU_DEP_1) | instskip(NEXT) | instid1(VALU_DEP_1)
	v_dual_lshlrev_b32 v5, v4, v3 :: v_dual_lshlrev_b32 v4, 23, v4
	v_lshrrev_b32_e32 v5, 4, v5
	s_delay_alu instid0(VALU_DEP_1) | instskip(NEXT) | instid1(VALU_DEP_1)
	v_dual_sub_nc_u32 v4, v5, v4 :: v_dual_ashrrev_i32 v5, 8, v6
	v_add_nc_u32_e32 v4, 0x3c000000, v4
	s_delay_alu instid0(VALU_DEP_1) | instskip(NEXT) | instid1(VALU_DEP_1)
	v_and_or_b32 v4, 0x7f800000, v5, v4
	v_cndmask_b32_e32 v3, 0, v4, vcc_lo
	s_delay_alu instid0(VALU_DEP_1) | instskip(NEXT) | instid1(VALU_DEP_1)
	v_and_or_b32 v2, 0x80000000, v2, v3
	v_cvt_i32_f32_e32 v2, v2
.LBB190_460:
	s_mov_b32 s19, 0
.LBB190_461:
	s_delay_alu instid0(SALU_CYCLE_1)
	s_and_not1_b32 vcc_lo, exec_lo, s19
	s_cbranch_vccnz .LBB190_463
; %bb.462:
	s_wait_loadcnt 0x0
	global_load_u8 v2, v[0:1], off
	s_wait_loadcnt 0x0
	v_lshlrev_b32_e32 v3, 25, v2
	v_lshlrev_b16 v2, 8, v2
	s_delay_alu instid0(VALU_DEP_1) | instskip(SKIP_1) | instid1(VALU_DEP_2)
	v_and_or_b32 v5, 0x7f00, v2, 0.5
	v_bfe_i32 v2, v2, 0, 16
	v_dual_add_f32 v5, -0.5, v5 :: v_dual_lshrrev_b32 v4, 4, v3
	v_cmp_gt_u32_e32 vcc_lo, 0x8000000, v3
	s_delay_alu instid0(VALU_DEP_2) | instskip(NEXT) | instid1(VALU_DEP_1)
	v_or_b32_e32 v4, 0x70000000, v4
	v_mul_f32_e32 v4, 0x7800000, v4
	s_delay_alu instid0(VALU_DEP_1) | instskip(NEXT) | instid1(VALU_DEP_1)
	v_cndmask_b32_e32 v3, v4, v5, vcc_lo
	v_and_or_b32 v2, 0x80000000, v2, v3
	s_delay_alu instid0(VALU_DEP_1)
	v_cvt_i32_f32_e32 v2, v2
.LBB190_463:
	s_mov_b32 s21, 0
	s_mov_b32 s19, -1
.LBB190_464:
	s_and_not1_b32 vcc_lo, exec_lo, s21
	s_cbranch_vccnz .LBB190_477
; %bb.465:
	s_cmp_gt_i32 s0, 14
	s_cbranch_scc0 .LBB190_468
; %bb.466:
	s_cmp_eq_u32 s0, 15
	s_cbranch_scc0 .LBB190_471
; %bb.467:
	s_wait_loadcnt 0x0
	global_load_u16 v2, v[0:1], off
	s_mov_b32 s19, -1
	s_mov_b32 s18, 0
	s_wait_loadcnt 0x0
	v_lshlrev_b32_e32 v2, 16, v2
	s_delay_alu instid0(VALU_DEP_1)
	v_cvt_i32_f32_e32 v2, v2
	s_branch .LBB190_472
.LBB190_468:
	s_mov_b32 s21, -1
                                        ; implicit-def: $vgpr2
	s_branch .LBB190_473
.LBB190_469:
	s_and_not1_saveexec_b32 s19, s19
	s_cbranch_execz .LBB190_450
.LBB190_470:
	v_cmp_ne_u16_e32 vcc_lo, 0, v3
	s_and_not1_b32 s21, s21, exec_lo
	s_and_b32 s22, vcc_lo, exec_lo
	s_delay_alu instid0(SALU_CYCLE_1)
	s_or_b32 s21, s21, s22
	s_or_b32 exec_lo, exec_lo, s19
	v_mov_b32_e32 v2, 0
	s_and_saveexec_b32 s19, s21
	s_cbranch_execnz .LBB190_451
	s_branch .LBB190_452
.LBB190_471:
	s_mov_b32 s18, -1
                                        ; implicit-def: $vgpr2
.LBB190_472:
	s_mov_b32 s21, 0
.LBB190_473:
	s_delay_alu instid0(SALU_CYCLE_1)
	s_and_b32 vcc_lo, exec_lo, s21
	s_cbranch_vccz .LBB190_477
; %bb.474:
	s_cmp_eq_u32 s0, 11
	s_cbranch_scc0 .LBB190_476
; %bb.475:
	s_wait_loadcnt 0x0
	global_load_u8 v2, v[0:1], off
	s_mov_b32 s18, 0
	s_mov_b32 s19, -1
	s_wait_loadcnt 0x0
	v_cmp_ne_u16_e32 vcc_lo, 0, v2
	v_cndmask_b32_e64 v2, 0, 1, vcc_lo
	s_branch .LBB190_477
.LBB190_476:
	s_mov_b32 s18, -1
                                        ; implicit-def: $vgpr2
.LBB190_477:
	s_branch .LBB190_272
.LBB190_478:
	s_cmp_lt_i32 s0, 5
	s_cbranch_scc1 .LBB190_483
; %bb.479:
	s_cmp_lt_i32 s0, 8
	s_cbranch_scc1 .LBB190_484
; %bb.480:
	s_cmp_lt_i32 s0, 9
	s_cbranch_scc1 .LBB190_485
; %bb.481:
	s_cmp_gt_i32 s0, 9
	s_cbranch_scc0 .LBB190_486
; %bb.482:
	s_wait_loadcnt 0x0
	global_load_b64 v[2:3], v[0:1], off
	s_mov_b32 s19, 0
	s_wait_loadcnt 0x0
	v_cvt_i32_f64_e32 v2, v[2:3]
	s_branch .LBB190_487
.LBB190_483:
	s_mov_b32 s19, -1
                                        ; implicit-def: $vgpr2
	s_branch .LBB190_505
.LBB190_484:
	s_mov_b32 s19, -1
                                        ; implicit-def: $vgpr2
	s_branch .LBB190_493
.LBB190_485:
	s_mov_b32 s19, -1
                                        ; implicit-def: $vgpr2
	s_branch .LBB190_490
.LBB190_486:
	s_mov_b32 s19, -1
                                        ; implicit-def: $vgpr2
.LBB190_487:
	s_delay_alu instid0(SALU_CYCLE_1)
	s_and_not1_b32 vcc_lo, exec_lo, s19
	s_cbranch_vccnz .LBB190_489
; %bb.488:
	s_wait_loadcnt 0x0
	global_load_b32 v2, v[0:1], off
	s_wait_loadcnt 0x0
	v_cvt_i32_f32_e32 v2, v2
.LBB190_489:
	s_mov_b32 s19, 0
.LBB190_490:
	s_delay_alu instid0(SALU_CYCLE_1)
	s_and_not1_b32 vcc_lo, exec_lo, s19
	s_cbranch_vccnz .LBB190_492
; %bb.491:
	s_wait_loadcnt 0x0
	global_load_b32 v2, v[0:1], off
	s_wait_loadcnt 0x0
	v_cvt_f32_f16_e32 v2, v2
	s_delay_alu instid0(VALU_DEP_1)
	v_cvt_i32_f32_e32 v2, v2
.LBB190_492:
	s_mov_b32 s19, 0
.LBB190_493:
	s_delay_alu instid0(SALU_CYCLE_1)
	s_and_not1_b32 vcc_lo, exec_lo, s19
	s_cbranch_vccnz .LBB190_504
; %bb.494:
	s_cmp_lt_i32 s0, 6
	s_cbranch_scc1 .LBB190_497
; %bb.495:
	s_cmp_gt_i32 s0, 6
	s_cbranch_scc0 .LBB190_498
; %bb.496:
	s_wait_loadcnt 0x0
	global_load_b64 v[2:3], v[0:1], off
	s_mov_b32 s19, 0
	s_wait_loadcnt 0x0
	v_cvt_i32_f64_e32 v2, v[2:3]
	s_branch .LBB190_499
.LBB190_497:
	s_mov_b32 s19, -1
                                        ; implicit-def: $vgpr2
	s_branch .LBB190_502
.LBB190_498:
	s_mov_b32 s19, -1
                                        ; implicit-def: $vgpr2
.LBB190_499:
	s_delay_alu instid0(SALU_CYCLE_1)
	s_and_not1_b32 vcc_lo, exec_lo, s19
	s_cbranch_vccnz .LBB190_501
; %bb.500:
	s_wait_loadcnt 0x0
	global_load_b32 v2, v[0:1], off
	s_wait_loadcnt 0x0
	v_cvt_i32_f32_e32 v2, v2
.LBB190_501:
	s_mov_b32 s19, 0
.LBB190_502:
	s_delay_alu instid0(SALU_CYCLE_1)
	s_and_not1_b32 vcc_lo, exec_lo, s19
	s_cbranch_vccnz .LBB190_504
; %bb.503:
	s_wait_loadcnt 0x0
	global_load_u16 v2, v[0:1], off
	s_wait_loadcnt 0x0
	v_cvt_f32_f16_e32 v2, v2
	s_delay_alu instid0(VALU_DEP_1)
	v_cvt_i32_f32_e32 v2, v2
.LBB190_504:
	s_mov_b32 s19, 0
.LBB190_505:
	s_delay_alu instid0(SALU_CYCLE_1)
	s_and_not1_b32 vcc_lo, exec_lo, s19
	s_cbranch_vccnz .LBB190_525
; %bb.506:
	s_cmp_lt_i32 s0, 2
	s_cbranch_scc1 .LBB190_510
; %bb.507:
	s_cmp_lt_i32 s0, 3
	s_cbranch_scc1 .LBB190_511
; %bb.508:
	s_cmp_gt_i32 s0, 3
	s_cbranch_scc0 .LBB190_512
; %bb.509:
	s_wait_loadcnt 0x0
	global_load_b32 v2, v[0:1], off
	s_mov_b32 s19, 0
	s_branch .LBB190_513
.LBB190_510:
	s_mov_b32 s19, -1
                                        ; implicit-def: $vgpr2
	s_branch .LBB190_519
.LBB190_511:
	s_mov_b32 s19, -1
                                        ; implicit-def: $vgpr2
	s_branch .LBB190_516
.LBB190_512:
	s_mov_b32 s19, -1
                                        ; implicit-def: $vgpr2
.LBB190_513:
	s_delay_alu instid0(SALU_CYCLE_1)
	s_and_not1_b32 vcc_lo, exec_lo, s19
	s_cbranch_vccnz .LBB190_515
; %bb.514:
	s_wait_loadcnt 0x0
	global_load_b32 v2, v[0:1], off
.LBB190_515:
	s_mov_b32 s19, 0
.LBB190_516:
	s_delay_alu instid0(SALU_CYCLE_1)
	s_and_not1_b32 vcc_lo, exec_lo, s19
	s_cbranch_vccnz .LBB190_518
; %bb.517:
	s_wait_loadcnt 0x0
	global_load_i16 v2, v[0:1], off
.LBB190_518:
	s_mov_b32 s19, 0
.LBB190_519:
	s_delay_alu instid0(SALU_CYCLE_1)
	s_and_not1_b32 vcc_lo, exec_lo, s19
	s_cbranch_vccnz .LBB190_525
; %bb.520:
	s_cmp_gt_i32 s0, 0
	s_mov_b32 s0, 0
	s_cbranch_scc0 .LBB190_522
; %bb.521:
	s_wait_loadcnt 0x0
	global_load_i8 v2, v[0:1], off
	s_branch .LBB190_523
.LBB190_522:
	s_mov_b32 s0, -1
                                        ; implicit-def: $vgpr2
.LBB190_523:
	s_delay_alu instid0(SALU_CYCLE_1)
	s_and_not1_b32 vcc_lo, exec_lo, s0
	s_cbranch_vccnz .LBB190_525
; %bb.524:
	s_wait_loadcnt 0x0
	global_load_u8 v2, v[0:1], off
.LBB190_525:
	s_branch .LBB190_273
.LBB190_526:
	s_mov_b32 s21, 0
	s_mov_b32 s0, s14
.LBB190_527:
                                        ; implicit-def: $vgpr8
.LBB190_528:
	s_and_not1_b32 s19, s14, exec_lo
	s_and_b32 s0, s0, exec_lo
	s_and_not1_b32 s22, s16, exec_lo
	s_and_b32 s18, s18, exec_lo
	s_or_b32 s19, s19, s0
	s_or_b32 s18, s22, s18
	s_or_not1_b32 s0, s21, exec_lo
.LBB190_529:
	s_wait_xcnt 0x0
	s_or_b32 exec_lo, exec_lo, s20
	s_mov_b32 s21, 0
	s_mov_b32 s22, 0
	;; [unrolled: 1-line block ×3, first 2 shown]
                                        ; implicit-def: $vgpr0_vgpr1
                                        ; implicit-def: $vgpr4
	s_and_saveexec_b32 s20, s0
	s_cbranch_execz .LBB190_880
; %bb.530:
	s_mov_b32 s23, -1
	s_mov_b32 s0, s18
	s_mov_b32 s22, s19
	s_mov_b32 s21, exec_lo
	v_cmpx_gt_i32_e64 s15, v8
	s_cbranch_execz .LBB190_798
; %bb.531:
	v_mul_lo_u32 v0, v8, s9
	s_and_b32 s0, 0xffff, s12
	s_delay_alu instid0(SALU_CYCLE_1) | instskip(NEXT) | instid1(VALU_DEP_1)
	s_cmp_lt_i32 s0, 11
	v_ashrrev_i32_e32 v1, 31, v0
	s_delay_alu instid0(VALU_DEP_1)
	v_add_nc_u64_e32 v[0:1], s[6:7], v[0:1]
	s_cbranch_scc1 .LBB190_538
; %bb.532:
	s_cmp_gt_i32 s0, 25
	s_cbranch_scc0 .LBB190_539
; %bb.533:
	s_cmp_gt_i32 s0, 28
	s_cbranch_scc0 .LBB190_540
	;; [unrolled: 3-line block ×4, first 2 shown]
; %bb.536:
	s_cmp_eq_u32 s0, 46
	s_mov_b32 s24, 0
	s_cbranch_scc0 .LBB190_547
; %bb.537:
	s_wait_loadcnt 0x0
	global_load_b32 v2, v[0:1], off
	s_mov_b32 s22, 0
	s_wait_loadcnt 0x0
	v_lshlrev_b32_e32 v2, 16, v2
	s_delay_alu instid0(VALU_DEP_1)
	v_cvt_i32_f32_e32 v2, v2
	s_branch .LBB190_549
.LBB190_538:
	s_mov_b32 s24, -1
	s_mov_b32 s23, 0
	s_mov_b32 s22, s18
                                        ; implicit-def: $vgpr2
	s_branch .LBB190_610
.LBB190_539:
	s_mov_b32 s24, -1
	s_mov_b32 s23, 0
	s_mov_b32 s22, s18
                                        ; implicit-def: $vgpr2
	s_branch .LBB190_576
.LBB190_540:
	s_mov_b32 s24, -1
	s_mov_b32 s23, 0
	s_mov_b32 s22, s18
                                        ; implicit-def: $vgpr2
	s_branch .LBB190_559
.LBB190_541:
	s_mov_b32 s24, -1
	s_mov_b32 s23, 0
	s_mov_b32 s22, s18
                                        ; implicit-def: $vgpr2
	s_branch .LBB190_554
.LBB190_542:
	s_and_not1_saveexec_b32 s24, s24
	s_cbranch_execz .LBB190_330
.LBB190_543:
	v_add_f32_e64 v4, 0x46000000, |v1|
	s_and_not1_b32 s23, s23, exec_lo
	s_delay_alu instid0(VALU_DEP_1) | instskip(NEXT) | instid1(VALU_DEP_1)
	v_and_b32_e32 v4, 0xff, v4
	v_cmp_ne_u32_e32 vcc_lo, 0, v4
	s_and_b32 s25, vcc_lo, exec_lo
	s_delay_alu instid0(SALU_CYCLE_1)
	s_or_b32 s23, s23, s25
	s_or_b32 exec_lo, exec_lo, s24
	v_mov_b32_e32 v5, 0
	s_and_saveexec_b32 s24, s23
	s_cbranch_execnz .LBB190_331
	s_branch .LBB190_332
.LBB190_544:
	s_mov_b32 s24, -1
	s_mov_b32 s23, 0
	s_mov_b32 s22, s18
	s_branch .LBB190_548
.LBB190_545:
	s_and_not1_saveexec_b32 s24, s24
	s_cbranch_execz .LBB190_343
.LBB190_546:
	v_add_f32_e64 v4, 0x42800000, |v1|
	s_and_not1_b32 s23, s23, exec_lo
	s_delay_alu instid0(VALU_DEP_1) | instskip(NEXT) | instid1(VALU_DEP_1)
	v_and_b32_e32 v4, 0xff, v4
	v_cmp_ne_u32_e32 vcc_lo, 0, v4
	s_and_b32 s25, vcc_lo, exec_lo
	s_delay_alu instid0(SALU_CYCLE_1)
	s_or_b32 s23, s23, s25
	s_or_b32 exec_lo, exec_lo, s24
	v_mov_b32_e32 v5, 0
	s_and_saveexec_b32 s24, s23
	s_cbranch_execnz .LBB190_344
	s_branch .LBB190_345
.LBB190_547:
	s_mov_b32 s22, -1
	s_mov_b32 s23, 0
.LBB190_548:
                                        ; implicit-def: $vgpr2
.LBB190_549:
	s_and_b32 vcc_lo, exec_lo, s24
	s_cbranch_vccz .LBB190_553
; %bb.550:
	s_cmp_eq_u32 s0, 44
	s_cbranch_scc0 .LBB190_552
; %bb.551:
	s_wait_loadcnt 0x0
	global_load_u8 v2, v[0:1], off
	s_mov_b32 s22, 0
	s_mov_b32 s23, -1
	s_wait_loadcnt 0x0
	v_lshlrev_b32_e32 v3, 23, v2
	v_cmp_ne_u32_e32 vcc_lo, 0, v2
	s_delay_alu instid0(VALU_DEP_2) | instskip(NEXT) | instid1(VALU_DEP_1)
	v_cvt_i32_f32_e32 v3, v3
	v_cndmask_b32_e32 v2, 0, v3, vcc_lo
	s_branch .LBB190_553
.LBB190_552:
	s_mov_b32 s22, -1
                                        ; implicit-def: $vgpr2
.LBB190_553:
	s_mov_b32 s24, 0
.LBB190_554:
	s_delay_alu instid0(SALU_CYCLE_1)
	s_and_b32 vcc_lo, exec_lo, s24
	s_cbranch_vccz .LBB190_558
; %bb.555:
	s_cmp_eq_u32 s0, 29
	s_cbranch_scc0 .LBB190_557
; %bb.556:
	s_wait_loadcnt 0x0
	global_load_b32 v2, v[0:1], off
	s_mov_b32 s23, -1
	s_mov_b32 s22, 0
	s_branch .LBB190_558
.LBB190_557:
	s_mov_b32 s22, -1
                                        ; implicit-def: $vgpr2
.LBB190_558:
	s_mov_b32 s24, 0
.LBB190_559:
	s_delay_alu instid0(SALU_CYCLE_1)
	s_and_b32 vcc_lo, exec_lo, s24
	s_cbranch_vccz .LBB190_575
; %bb.560:
	s_cmp_lt_i32 s0, 27
	s_cbranch_scc1 .LBB190_563
; %bb.561:
	s_cmp_gt_i32 s0, 27
	s_cbranch_scc0 .LBB190_564
; %bb.562:
	s_wait_loadcnt 0x0
	global_load_b32 v2, v[0:1], off
	s_mov_b32 s23, 0
	s_branch .LBB190_565
.LBB190_563:
	s_mov_b32 s23, -1
                                        ; implicit-def: $vgpr2
	s_branch .LBB190_568
.LBB190_564:
	s_mov_b32 s23, -1
                                        ; implicit-def: $vgpr2
.LBB190_565:
	s_delay_alu instid0(SALU_CYCLE_1)
	s_and_not1_b32 vcc_lo, exec_lo, s23
	s_cbranch_vccnz .LBB190_567
; %bb.566:
	s_wait_loadcnt 0x0
	global_load_u16 v2, v[0:1], off
.LBB190_567:
	s_mov_b32 s23, 0
.LBB190_568:
	s_delay_alu instid0(SALU_CYCLE_1)
	s_and_not1_b32 vcc_lo, exec_lo, s23
	s_cbranch_vccnz .LBB190_574
; %bb.569:
	global_load_u8 v3, v[0:1], off
	s_mov_b32 s24, 0
	s_mov_b32 s23, exec_lo
	s_wait_loadcnt 0x0
	v_cmpx_lt_i16_e32 0x7f, v3
	s_xor_b32 s23, exec_lo, s23
	s_cbranch_execz .LBB190_586
; %bb.570:
	v_cmp_ne_u16_e32 vcc_lo, 0x80, v3
	s_and_b32 s24, vcc_lo, exec_lo
	s_and_not1_saveexec_b32 s23, s23
	s_cbranch_execnz .LBB190_587
.LBB190_571:
	s_or_b32 exec_lo, exec_lo, s23
	v_mov_b32_e32 v2, 0
	s_and_saveexec_b32 s23, s24
	s_cbranch_execz .LBB190_573
.LBB190_572:
	v_and_b32_e32 v2, 0xffff, v3
	s_delay_alu instid0(VALU_DEP_1) | instskip(SKIP_1) | instid1(VALU_DEP_2)
	v_and_b32_e32 v4, 7, v2
	v_bfe_u32 v7, v2, 3, 4
	v_clz_i32_u32_e32 v5, v4
	s_delay_alu instid0(VALU_DEP_2) | instskip(NEXT) | instid1(VALU_DEP_2)
	v_cmp_eq_u32_e32 vcc_lo, 0, v7
	v_min_u32_e32 v5, 32, v5
	s_delay_alu instid0(VALU_DEP_1) | instskip(NEXT) | instid1(VALU_DEP_1)
	v_subrev_nc_u32_e32 v6, 28, v5
	v_dual_lshlrev_b32 v2, v6, v2 :: v_dual_sub_nc_u32 v5, 29, v5
	s_delay_alu instid0(VALU_DEP_1) | instskip(NEXT) | instid1(VALU_DEP_1)
	v_dual_lshlrev_b32 v3, 24, v3 :: v_dual_bitop2_b32 v2, 7, v2 bitop3:0x40
	v_dual_cndmask_b32 v5, v7, v5 :: v_dual_cndmask_b32 v2, v4, v2
	s_delay_alu instid0(VALU_DEP_2) | instskip(NEXT) | instid1(VALU_DEP_2)
	v_and_b32_e32 v3, 0x80000000, v3
	v_lshl_add_u32 v4, v5, 23, 0x3b800000
	s_delay_alu instid0(VALU_DEP_3) | instskip(NEXT) | instid1(VALU_DEP_1)
	v_lshlrev_b32_e32 v2, 20, v2
	v_or3_b32 v2, v3, v4, v2
	s_delay_alu instid0(VALU_DEP_1)
	v_cvt_i32_f32_e32 v2, v2
.LBB190_573:
	s_or_b32 exec_lo, exec_lo, s23
.LBB190_574:
	s_mov_b32 s23, -1
.LBB190_575:
	s_mov_b32 s24, 0
.LBB190_576:
	s_delay_alu instid0(SALU_CYCLE_1)
	s_and_b32 vcc_lo, exec_lo, s24
	s_cbranch_vccz .LBB190_609
; %bb.577:
	s_cmp_gt_i32 s0, 22
	s_cbranch_scc0 .LBB190_585
; %bb.578:
	s_cmp_lt_i32 s0, 24
	s_cbranch_scc1 .LBB190_588
; %bb.579:
	s_cmp_gt_i32 s0, 24
	s_cbranch_scc0 .LBB190_589
; %bb.580:
	global_load_u8 v3, v[0:1], off
	s_mov_b32 s24, 0
	s_mov_b32 s23, exec_lo
	s_wait_loadcnt 0x0
	v_cmpx_lt_i16_e32 0x7f, v3
	s_xor_b32 s23, exec_lo, s23
	s_cbranch_execz .LBB190_601
; %bb.581:
	v_cmp_ne_u16_e32 vcc_lo, 0x80, v3
	s_and_b32 s24, vcc_lo, exec_lo
	s_and_not1_saveexec_b32 s23, s23
	s_cbranch_execnz .LBB190_602
.LBB190_582:
	s_or_b32 exec_lo, exec_lo, s23
	v_mov_b32_e32 v2, 0
	s_and_saveexec_b32 s23, s24
	s_cbranch_execz .LBB190_584
.LBB190_583:
	v_and_b32_e32 v2, 0xffff, v3
	s_delay_alu instid0(VALU_DEP_1) | instskip(SKIP_1) | instid1(VALU_DEP_2)
	v_and_b32_e32 v4, 3, v2
	v_bfe_u32 v7, v2, 2, 5
	v_clz_i32_u32_e32 v5, v4
	s_delay_alu instid0(VALU_DEP_2) | instskip(NEXT) | instid1(VALU_DEP_2)
	v_cmp_eq_u32_e32 vcc_lo, 0, v7
	v_min_u32_e32 v5, 32, v5
	s_delay_alu instid0(VALU_DEP_1) | instskip(NEXT) | instid1(VALU_DEP_1)
	v_subrev_nc_u32_e32 v6, 29, v5
	v_dual_lshlrev_b32 v2, v6, v2 :: v_dual_sub_nc_u32 v5, 30, v5
	s_delay_alu instid0(VALU_DEP_1) | instskip(NEXT) | instid1(VALU_DEP_1)
	v_dual_lshlrev_b32 v3, 24, v3 :: v_dual_bitop2_b32 v2, 3, v2 bitop3:0x40
	v_dual_cndmask_b32 v5, v7, v5 :: v_dual_cndmask_b32 v2, v4, v2
	s_delay_alu instid0(VALU_DEP_2) | instskip(NEXT) | instid1(VALU_DEP_2)
	v_and_b32_e32 v3, 0x80000000, v3
	v_lshl_add_u32 v4, v5, 23, 0x37800000
	s_delay_alu instid0(VALU_DEP_3) | instskip(NEXT) | instid1(VALU_DEP_1)
	v_lshlrev_b32_e32 v2, 21, v2
	v_or3_b32 v2, v3, v4, v2
	s_delay_alu instid0(VALU_DEP_1)
	v_cvt_i32_f32_e32 v2, v2
.LBB190_584:
	s_or_b32 exec_lo, exec_lo, s23
	s_mov_b32 s23, 0
	s_branch .LBB190_590
.LBB190_585:
	s_mov_b32 s24, -1
                                        ; implicit-def: $vgpr2
	s_branch .LBB190_596
.LBB190_586:
	s_and_not1_saveexec_b32 s23, s23
	s_cbranch_execz .LBB190_571
.LBB190_587:
	v_cmp_ne_u16_e32 vcc_lo, 0, v3
	s_and_not1_b32 s24, s24, exec_lo
	s_and_b32 s25, vcc_lo, exec_lo
	s_delay_alu instid0(SALU_CYCLE_1)
	s_or_b32 s24, s24, s25
	s_or_b32 exec_lo, exec_lo, s23
	v_mov_b32_e32 v2, 0
	s_and_saveexec_b32 s23, s24
	s_cbranch_execnz .LBB190_572
	s_branch .LBB190_573
.LBB190_588:
	s_mov_b32 s23, -1
                                        ; implicit-def: $vgpr2
	s_branch .LBB190_593
.LBB190_589:
	s_mov_b32 s23, -1
                                        ; implicit-def: $vgpr2
.LBB190_590:
	s_delay_alu instid0(SALU_CYCLE_1)
	s_and_b32 vcc_lo, exec_lo, s23
	s_cbranch_vccz .LBB190_592
; %bb.591:
	s_wait_loadcnt 0x0
	global_load_u8 v2, v[0:1], off
	s_wait_loadcnt 0x0
	v_lshlrev_b32_e32 v2, 24, v2
	s_delay_alu instid0(VALU_DEP_1) | instskip(NEXT) | instid1(VALU_DEP_1)
	v_and_b32_e32 v3, 0x7f000000, v2
	v_clz_i32_u32_e32 v4, v3
	v_cmp_ne_u32_e32 vcc_lo, 0, v3
	v_add_nc_u32_e32 v6, 0x1000000, v3
	s_delay_alu instid0(VALU_DEP_3) | instskip(NEXT) | instid1(VALU_DEP_1)
	v_min_u32_e32 v4, 32, v4
	v_sub_nc_u32_e64 v4, v4, 4 clamp
	s_delay_alu instid0(VALU_DEP_1) | instskip(NEXT) | instid1(VALU_DEP_1)
	v_dual_lshlrev_b32 v5, v4, v3 :: v_dual_lshlrev_b32 v4, 23, v4
	v_lshrrev_b32_e32 v5, 4, v5
	s_delay_alu instid0(VALU_DEP_1) | instskip(NEXT) | instid1(VALU_DEP_1)
	v_dual_sub_nc_u32 v4, v5, v4 :: v_dual_ashrrev_i32 v5, 8, v6
	v_add_nc_u32_e32 v4, 0x3c000000, v4
	s_delay_alu instid0(VALU_DEP_1) | instskip(NEXT) | instid1(VALU_DEP_1)
	v_and_or_b32 v4, 0x7f800000, v5, v4
	v_cndmask_b32_e32 v3, 0, v4, vcc_lo
	s_delay_alu instid0(VALU_DEP_1) | instskip(NEXT) | instid1(VALU_DEP_1)
	v_and_or_b32 v2, 0x80000000, v2, v3
	v_cvt_i32_f32_e32 v2, v2
.LBB190_592:
	s_mov_b32 s23, 0
.LBB190_593:
	s_delay_alu instid0(SALU_CYCLE_1)
	s_and_not1_b32 vcc_lo, exec_lo, s23
	s_cbranch_vccnz .LBB190_595
; %bb.594:
	s_wait_loadcnt 0x0
	global_load_u8 v2, v[0:1], off
	s_wait_loadcnt 0x0
	v_lshlrev_b32_e32 v3, 25, v2
	v_lshlrev_b16 v2, 8, v2
	s_delay_alu instid0(VALU_DEP_1) | instskip(SKIP_1) | instid1(VALU_DEP_2)
	v_and_or_b32 v5, 0x7f00, v2, 0.5
	v_bfe_i32 v2, v2, 0, 16
	v_dual_add_f32 v5, -0.5, v5 :: v_dual_lshrrev_b32 v4, 4, v3
	v_cmp_gt_u32_e32 vcc_lo, 0x8000000, v3
	s_delay_alu instid0(VALU_DEP_2) | instskip(NEXT) | instid1(VALU_DEP_1)
	v_or_b32_e32 v4, 0x70000000, v4
	v_mul_f32_e32 v4, 0x7800000, v4
	s_delay_alu instid0(VALU_DEP_1) | instskip(NEXT) | instid1(VALU_DEP_1)
	v_cndmask_b32_e32 v3, v4, v5, vcc_lo
	v_and_or_b32 v2, 0x80000000, v2, v3
	s_delay_alu instid0(VALU_DEP_1)
	v_cvt_i32_f32_e32 v2, v2
.LBB190_595:
	s_mov_b32 s24, 0
	s_mov_b32 s23, -1
.LBB190_596:
	s_and_not1_b32 vcc_lo, exec_lo, s24
	s_cbranch_vccnz .LBB190_609
; %bb.597:
	s_cmp_gt_i32 s0, 14
	s_cbranch_scc0 .LBB190_600
; %bb.598:
	s_cmp_eq_u32 s0, 15
	s_cbranch_scc0 .LBB190_603
; %bb.599:
	s_wait_loadcnt 0x0
	global_load_u16 v2, v[0:1], off
	s_mov_b32 s23, -1
	s_mov_b32 s22, 0
	s_wait_loadcnt 0x0
	v_lshlrev_b32_e32 v2, 16, v2
	s_delay_alu instid0(VALU_DEP_1)
	v_cvt_i32_f32_e32 v2, v2
	s_branch .LBB190_604
.LBB190_600:
	s_mov_b32 s24, -1
                                        ; implicit-def: $vgpr2
	s_branch .LBB190_605
.LBB190_601:
	s_and_not1_saveexec_b32 s23, s23
	s_cbranch_execz .LBB190_582
.LBB190_602:
	v_cmp_ne_u16_e32 vcc_lo, 0, v3
	s_and_not1_b32 s24, s24, exec_lo
	s_and_b32 s25, vcc_lo, exec_lo
	s_delay_alu instid0(SALU_CYCLE_1)
	s_or_b32 s24, s24, s25
	s_or_b32 exec_lo, exec_lo, s23
	v_mov_b32_e32 v2, 0
	s_and_saveexec_b32 s23, s24
	s_cbranch_execnz .LBB190_583
	s_branch .LBB190_584
.LBB190_603:
	s_mov_b32 s22, -1
                                        ; implicit-def: $vgpr2
.LBB190_604:
	s_mov_b32 s24, 0
.LBB190_605:
	s_delay_alu instid0(SALU_CYCLE_1)
	s_and_b32 vcc_lo, exec_lo, s24
	s_cbranch_vccz .LBB190_609
; %bb.606:
	s_cmp_eq_u32 s0, 11
	s_cbranch_scc0 .LBB190_608
; %bb.607:
	s_wait_loadcnt 0x0
	global_load_u8 v2, v[0:1], off
	s_mov_b32 s22, 0
	s_mov_b32 s23, -1
	s_wait_loadcnt 0x0
	v_cmp_ne_u16_e32 vcc_lo, 0, v2
	v_cndmask_b32_e64 v2, 0, 1, vcc_lo
	s_branch .LBB190_609
.LBB190_608:
	s_mov_b32 s22, -1
                                        ; implicit-def: $vgpr2
.LBB190_609:
	s_mov_b32 s24, 0
.LBB190_610:
	s_delay_alu instid0(SALU_CYCLE_1)
	s_and_b32 vcc_lo, exec_lo, s24
	s_cbranch_vccz .LBB190_659
; %bb.611:
	s_cmp_lt_i32 s0, 5
	s_cbranch_scc1 .LBB190_616
; %bb.612:
	s_cmp_lt_i32 s0, 8
	s_cbranch_scc1 .LBB190_617
	;; [unrolled: 3-line block ×3, first 2 shown]
; %bb.614:
	s_cmp_gt_i32 s0, 9
	s_cbranch_scc0 .LBB190_619
; %bb.615:
	s_wait_loadcnt 0x0
	global_load_b64 v[2:3], v[0:1], off
	s_mov_b32 s23, 0
	s_wait_loadcnt 0x0
	v_cvt_i32_f64_e32 v2, v[2:3]
	s_branch .LBB190_620
.LBB190_616:
	s_mov_b32 s23, -1
                                        ; implicit-def: $vgpr2
	s_branch .LBB190_638
.LBB190_617:
	s_mov_b32 s23, -1
                                        ; implicit-def: $vgpr2
	s_branch .LBB190_626
.LBB190_618:
	s_mov_b32 s23, -1
                                        ; implicit-def: $vgpr2
	s_branch .LBB190_623
.LBB190_619:
	s_mov_b32 s23, -1
                                        ; implicit-def: $vgpr2
.LBB190_620:
	s_delay_alu instid0(SALU_CYCLE_1)
	s_and_not1_b32 vcc_lo, exec_lo, s23
	s_cbranch_vccnz .LBB190_622
; %bb.621:
	s_wait_loadcnt 0x0
	global_load_b32 v2, v[0:1], off
	s_wait_loadcnt 0x0
	v_cvt_i32_f32_e32 v2, v2
.LBB190_622:
	s_mov_b32 s23, 0
.LBB190_623:
	s_delay_alu instid0(SALU_CYCLE_1)
	s_and_not1_b32 vcc_lo, exec_lo, s23
	s_cbranch_vccnz .LBB190_625
; %bb.624:
	s_wait_loadcnt 0x0
	global_load_b32 v2, v[0:1], off
	s_wait_loadcnt 0x0
	v_cvt_f32_f16_e32 v2, v2
	s_delay_alu instid0(VALU_DEP_1)
	v_cvt_i32_f32_e32 v2, v2
.LBB190_625:
	s_mov_b32 s23, 0
.LBB190_626:
	s_delay_alu instid0(SALU_CYCLE_1)
	s_and_not1_b32 vcc_lo, exec_lo, s23
	s_cbranch_vccnz .LBB190_637
; %bb.627:
	s_cmp_lt_i32 s0, 6
	s_cbranch_scc1 .LBB190_630
; %bb.628:
	s_cmp_gt_i32 s0, 6
	s_cbranch_scc0 .LBB190_631
; %bb.629:
	s_wait_loadcnt 0x0
	global_load_b64 v[2:3], v[0:1], off
	s_mov_b32 s23, 0
	s_wait_loadcnt 0x0
	v_cvt_i32_f64_e32 v2, v[2:3]
	s_branch .LBB190_632
.LBB190_630:
	s_mov_b32 s23, -1
                                        ; implicit-def: $vgpr2
	s_branch .LBB190_635
.LBB190_631:
	s_mov_b32 s23, -1
                                        ; implicit-def: $vgpr2
.LBB190_632:
	s_delay_alu instid0(SALU_CYCLE_1)
	s_and_not1_b32 vcc_lo, exec_lo, s23
	s_cbranch_vccnz .LBB190_634
; %bb.633:
	s_wait_loadcnt 0x0
	global_load_b32 v2, v[0:1], off
	s_wait_loadcnt 0x0
	v_cvt_i32_f32_e32 v2, v2
.LBB190_634:
	s_mov_b32 s23, 0
.LBB190_635:
	s_delay_alu instid0(SALU_CYCLE_1)
	s_and_not1_b32 vcc_lo, exec_lo, s23
	s_cbranch_vccnz .LBB190_637
; %bb.636:
	s_wait_loadcnt 0x0
	global_load_u16 v2, v[0:1], off
	s_wait_loadcnt 0x0
	v_cvt_f32_f16_e32 v2, v2
	s_delay_alu instid0(VALU_DEP_1)
	v_cvt_i32_f32_e32 v2, v2
.LBB190_637:
	s_mov_b32 s23, 0
.LBB190_638:
	s_delay_alu instid0(SALU_CYCLE_1)
	s_and_not1_b32 vcc_lo, exec_lo, s23
	s_cbranch_vccnz .LBB190_658
; %bb.639:
	s_cmp_lt_i32 s0, 2
	s_cbranch_scc1 .LBB190_643
; %bb.640:
	s_cmp_lt_i32 s0, 3
	s_cbranch_scc1 .LBB190_644
; %bb.641:
	s_cmp_gt_i32 s0, 3
	s_cbranch_scc0 .LBB190_645
; %bb.642:
	s_wait_loadcnt 0x0
	global_load_b32 v2, v[0:1], off
	s_mov_b32 s23, 0
	s_branch .LBB190_646
.LBB190_643:
	s_mov_b32 s23, -1
                                        ; implicit-def: $vgpr2
	s_branch .LBB190_652
.LBB190_644:
	s_mov_b32 s23, -1
                                        ; implicit-def: $vgpr2
	s_branch .LBB190_649
.LBB190_645:
	s_mov_b32 s23, -1
                                        ; implicit-def: $vgpr2
.LBB190_646:
	s_delay_alu instid0(SALU_CYCLE_1)
	s_and_not1_b32 vcc_lo, exec_lo, s23
	s_cbranch_vccnz .LBB190_648
; %bb.647:
	s_wait_loadcnt 0x0
	global_load_b32 v2, v[0:1], off
.LBB190_648:
	s_mov_b32 s23, 0
.LBB190_649:
	s_delay_alu instid0(SALU_CYCLE_1)
	s_and_not1_b32 vcc_lo, exec_lo, s23
	s_cbranch_vccnz .LBB190_651
; %bb.650:
	s_wait_loadcnt 0x0
	global_load_i16 v2, v[0:1], off
.LBB190_651:
	s_mov_b32 s23, 0
.LBB190_652:
	s_delay_alu instid0(SALU_CYCLE_1)
	s_and_not1_b32 vcc_lo, exec_lo, s23
	s_cbranch_vccnz .LBB190_658
; %bb.653:
	s_cmp_gt_i32 s0, 0
	s_mov_b32 s0, 0
	s_cbranch_scc0 .LBB190_655
; %bb.654:
	s_wait_loadcnt 0x0
	global_load_i8 v2, v[0:1], off
	s_branch .LBB190_656
.LBB190_655:
	s_mov_b32 s0, -1
                                        ; implicit-def: $vgpr2
.LBB190_656:
	s_delay_alu instid0(SALU_CYCLE_1)
	s_and_not1_b32 vcc_lo, exec_lo, s0
	s_cbranch_vccnz .LBB190_658
; %bb.657:
	s_wait_loadcnt 0x0
	global_load_u8 v2, v[0:1], off
.LBB190_658:
	s_mov_b32 s23, -1
.LBB190_659:
	s_delay_alu instid0(SALU_CYCLE_1)
	s_and_not1_b32 vcc_lo, exec_lo, s23
	s_cbranch_vccnz .LBB190_663
; %bb.660:
	s_cmp_lt_i32 s10, 1
	s_mov_b32 s0, 0
	s_cbranch_scc1 .LBB190_664
; %bb.661:
	s_cmp_eq_u32 s10, 1
	s_cbranch_scc0 .LBB190_665
; %bb.662:
	s_wait_loadcnt 0x0
	s_delay_alu instid0(VALU_DEP_1)
	v_min_i32_e32 v0, s11, v2
	s_mov_b32 s23, 0
	s_branch .LBB190_666
.LBB190_663:
	s_mov_b32 s23, 0
	s_mov_b32 s0, s19
	s_branch .LBB190_796
.LBB190_664:
	s_mov_b32 s24, -1
	s_mov_b32 s23, 0
                                        ; implicit-def: $vgpr0
	s_branch .LBB190_667
.LBB190_665:
	s_mov_b32 s23, -1
                                        ; implicit-def: $vgpr0
.LBB190_666:
	s_mov_b32 s24, 0
.LBB190_667:
	s_delay_alu instid0(SALU_CYCLE_1)
	s_and_b32 vcc_lo, exec_lo, s24
	s_cbranch_vccz .LBB190_678
; %bb.668:
	s_cmp_lg_u32 s10, 0
	s_mov_b32 s0, -1
	s_cselect_b32 s23, -1, 0
	s_delay_alu instid0(SALU_CYCLE_1)
	s_and_not1_b32 vcc_lo, exec_lo, s23
	s_cbranch_vccz .LBB190_679
.LBB190_669:
	s_and_not1_b32 vcc_lo, exec_lo, s0
	s_cbranch_vccnz .LBB190_671
.LBB190_670:
	s_wait_loadcnt 0x0
	s_delay_alu instid0(VALU_DEP_1)
	v_max_i32_e32 v0, s11, v2
.LBB190_671:
	s_wait_loadcnt 0x0
	v_mul_lo_u32 v2, v8, s8
	s_and_b32 s23, s3, 0xff
	s_delay_alu instid0(SALU_CYCLE_1) | instskip(NEXT) | instid1(VALU_DEP_1)
	s_cmp_lt_i32 s23, 11
	v_ashrrev_i32_e32 v3, 31, v2
	s_delay_alu instid0(VALU_DEP_1)
	v_add_nc_u64_e32 v[2:3], s[4:5], v[2:3]
	s_cbranch_scc1 .LBB190_680
; %bb.672:
	s_and_b32 s24, 0xffff, s23
	s_delay_alu instid0(SALU_CYCLE_1)
	s_cmp_gt_i32 s24, 25
	s_cbranch_scc0 .LBB190_681
; %bb.673:
	s_cmp_gt_i32 s24, 28
	s_cbranch_scc0 .LBB190_682
; %bb.674:
	;; [unrolled: 3-line block ×4, first 2 shown]
	s_mov_b32 s26, 0
	s_mov_b32 s0, -1
	s_cmp_eq_u32 s24, 46
	s_mov_b32 s25, 0
	s_cbranch_scc0 .LBB190_685
; %bb.677:
	s_wait_xcnt 0x0
	v_cvt_f32_i32_e32 v1, v0
	s_mov_b32 s25, -1
	s_mov_b32 s0, 0
	s_delay_alu instid0(VALU_DEP_1) | instskip(NEXT) | instid1(VALU_DEP_1)
	v_bfe_u32 v4, v1, 16, 1
	v_add3_u32 v1, v1, v4, 0x7fff
	s_delay_alu instid0(VALU_DEP_1)
	v_lshrrev_b32_e32 v1, 16, v1
	global_store_b32 v[2:3], v1, off
	s_branch .LBB190_685
.LBB190_678:
	s_and_not1_b32 vcc_lo, exec_lo, s23
	s_cbranch_vccnz .LBB190_669
.LBB190_679:
	s_wait_loadcnt 0x0
	s_delay_alu instid0(VALU_DEP_1)
	v_maxmin_i32 v0, v2, s11, s2
	s_cbranch_execz .LBB190_670
	s_branch .LBB190_671
.LBB190_680:
	s_mov_b32 s24, -1
	s_mov_b32 s25, 0
	s_mov_b32 s0, s19
	s_branch .LBB190_754
.LBB190_681:
	s_mov_b32 s26, -1
	s_mov_b32 s25, 0
	s_mov_b32 s0, s19
	s_branch .LBB190_712
.LBB190_682:
	s_mov_b32 s26, -1
	s_mov_b32 s25, 0
	s_mov_b32 s0, s19
	s_branch .LBB190_695
.LBB190_683:
	s_mov_b32 s26, -1
	s_mov_b32 s25, 0
	s_mov_b32 s0, s19
	s_branch .LBB190_691
.LBB190_684:
	s_mov_b32 s26, -1
	s_mov_b32 s25, 0
	s_mov_b32 s0, s19
.LBB190_685:
	s_and_b32 vcc_lo, exec_lo, s26
	s_cbranch_vccz .LBB190_690
; %bb.686:
	s_cmp_eq_u32 s24, 44
	s_mov_b32 s0, -1
	s_cbranch_scc0 .LBB190_690
; %bb.687:
	s_wait_xcnt 0x0
	v_cvt_f32_i32_e32 v1, v0
	v_mov_b32_e32 v4, 0xff
	s_mov_b32 s25, exec_lo
	s_delay_alu instid0(VALU_DEP_2) | instskip(NEXT) | instid1(VALU_DEP_1)
	v_bfe_u32 v5, v1, 23, 8
	v_cmpx_ne_u32_e32 0xff, v5
	s_cbranch_execz .LBB190_689
; %bb.688:
	v_and_b32_e32 v4, 0x400000, v1
	v_and_or_b32 v5, 0x3fffff, v1, v5
	v_lshrrev_b32_e32 v1, 23, v1
	s_delay_alu instid0(VALU_DEP_3) | instskip(NEXT) | instid1(VALU_DEP_3)
	v_cmp_ne_u32_e32 vcc_lo, 0, v4
	v_cmp_ne_u32_e64 s0, 0, v5
	s_and_b32 s0, vcc_lo, s0
	s_delay_alu instid0(SALU_CYCLE_1) | instskip(NEXT) | instid1(VALU_DEP_1)
	v_cndmask_b32_e64 v4, 0, 1, s0
	v_add_nc_u32_e32 v4, v1, v4
.LBB190_689:
	s_or_b32 exec_lo, exec_lo, s25
	s_mov_b32 s25, -1
	s_mov_b32 s0, 0
	global_store_b8 v[2:3], v4, off
.LBB190_690:
	s_mov_b32 s26, 0
.LBB190_691:
	s_delay_alu instid0(SALU_CYCLE_1)
	s_and_b32 vcc_lo, exec_lo, s26
	s_cbranch_vccz .LBB190_694
; %bb.692:
	s_cmp_eq_u32 s24, 29
	s_mov_b32 s0, -1
	s_cbranch_scc0 .LBB190_694
; %bb.693:
	s_wait_xcnt 0x0
	v_ashrrev_i32_e32 v1, 31, v0
	s_mov_b32 s25, -1
	s_mov_b32 s0, 0
	s_mov_b32 s26, 0
	global_store_b64 v[2:3], v[0:1], off
	s_branch .LBB190_695
.LBB190_694:
	s_mov_b32 s26, 0
.LBB190_695:
	s_delay_alu instid0(SALU_CYCLE_1)
	s_and_b32 vcc_lo, exec_lo, s26
	s_cbranch_vccz .LBB190_711
; %bb.696:
	s_cmp_lt_i32 s24, 27
	s_mov_b32 s25, -1
	s_cbranch_scc1 .LBB190_702
; %bb.697:
	s_cmp_gt_i32 s24, 27
	s_cbranch_scc0 .LBB190_699
; %bb.698:
	s_mov_b32 s25, 0
	global_store_b32 v[2:3], v0, off
.LBB190_699:
	s_and_not1_b32 vcc_lo, exec_lo, s25
	s_cbranch_vccnz .LBB190_701
; %bb.700:
	global_store_b16 v[2:3], v0, off
.LBB190_701:
	s_mov_b32 s25, 0
.LBB190_702:
	s_delay_alu instid0(SALU_CYCLE_1)
	s_and_not1_b32 vcc_lo, exec_lo, s25
	s_cbranch_vccnz .LBB190_710
; %bb.703:
	s_wait_xcnt 0x0
	v_cvt_f32_i32_e32 v1, v0
	v_mov_b32_e32 v5, 0x80
	s_mov_b32 s25, exec_lo
	s_delay_alu instid0(VALU_DEP_2) | instskip(NEXT) | instid1(VALU_DEP_1)
	v_and_b32_e32 v4, 0x7fffffff, v1
	v_cmpx_gt_u32_e32 0x43800000, v4
	s_cbranch_execz .LBB190_709
; %bb.704:
	v_cmp_lt_u32_e32 vcc_lo, 0x3bffffff, v4
	s_mov_b32 s26, 0
                                        ; implicit-def: $vgpr4
	s_and_saveexec_b32 s27, vcc_lo
	s_delay_alu instid0(SALU_CYCLE_1)
	s_xor_b32 s27, exec_lo, s27
	s_cbranch_execz .LBB190_811
; %bb.705:
	v_bfe_u32 v4, v1, 20, 1
	s_mov_b32 s26, exec_lo
	s_delay_alu instid0(VALU_DEP_1) | instskip(NEXT) | instid1(VALU_DEP_1)
	v_add3_u32 v4, v1, v4, 0x487ffff
	v_lshrrev_b32_e32 v4, 20, v4
	s_and_not1_saveexec_b32 s27, s27
	s_cbranch_execnz .LBB190_812
.LBB190_706:
	s_or_b32 exec_lo, exec_lo, s27
	v_mov_b32_e32 v5, 0
	s_and_saveexec_b32 s27, s26
.LBB190_707:
	v_lshrrev_b32_e32 v1, 24, v1
	s_delay_alu instid0(VALU_DEP_1)
	v_and_or_b32 v5, 0x80, v1, v4
.LBB190_708:
	s_or_b32 exec_lo, exec_lo, s27
.LBB190_709:
	s_delay_alu instid0(SALU_CYCLE_1)
	s_or_b32 exec_lo, exec_lo, s25
	global_store_b8 v[2:3], v5, off
.LBB190_710:
	s_mov_b32 s25, -1
.LBB190_711:
	s_mov_b32 s26, 0
.LBB190_712:
	s_delay_alu instid0(SALU_CYCLE_1)
	s_and_b32 vcc_lo, exec_lo, s26
	s_cbranch_vccz .LBB190_753
; %bb.713:
	s_cmp_gt_i32 s24, 22
	s_mov_b32 s26, -1
	s_cbranch_scc0 .LBB190_745
; %bb.714:
	s_cmp_lt_i32 s24, 24
	s_mov_b32 s25, -1
	s_cbranch_scc1 .LBB190_734
; %bb.715:
	s_cmp_gt_i32 s24, 24
	s_cbranch_scc0 .LBB190_723
; %bb.716:
	s_wait_xcnt 0x0
	v_cvt_f32_i32_e32 v1, v0
	v_mov_b32_e32 v5, 0x80
	s_mov_b32 s25, exec_lo
	s_delay_alu instid0(VALU_DEP_2) | instskip(NEXT) | instid1(VALU_DEP_1)
	v_and_b32_e32 v4, 0x7fffffff, v1
	v_cmpx_gt_u32_e32 0x47800000, v4
	s_cbranch_execz .LBB190_722
; %bb.717:
	v_cmp_lt_u32_e32 vcc_lo, 0x37ffffff, v4
	s_mov_b32 s26, 0
                                        ; implicit-def: $vgpr4
	s_and_saveexec_b32 s27, vcc_lo
	s_delay_alu instid0(SALU_CYCLE_1)
	s_xor_b32 s27, exec_lo, s27
	s_cbranch_execz .LBB190_814
; %bb.718:
	v_bfe_u32 v4, v1, 21, 1
	s_mov_b32 s26, exec_lo
	s_delay_alu instid0(VALU_DEP_1) | instskip(NEXT) | instid1(VALU_DEP_1)
	v_add3_u32 v4, v1, v4, 0x88fffff
	v_lshrrev_b32_e32 v4, 21, v4
	s_and_not1_saveexec_b32 s27, s27
	s_cbranch_execnz .LBB190_815
.LBB190_719:
	s_or_b32 exec_lo, exec_lo, s27
	v_mov_b32_e32 v5, 0
	s_and_saveexec_b32 s27, s26
.LBB190_720:
	v_lshrrev_b32_e32 v1, 24, v1
	s_delay_alu instid0(VALU_DEP_1)
	v_and_or_b32 v5, 0x80, v1, v4
.LBB190_721:
	s_or_b32 exec_lo, exec_lo, s27
.LBB190_722:
	s_delay_alu instid0(SALU_CYCLE_1)
	s_or_b32 exec_lo, exec_lo, s25
	s_mov_b32 s25, 0
	global_store_b8 v[2:3], v5, off
.LBB190_723:
	s_and_b32 vcc_lo, exec_lo, s25
	s_cbranch_vccz .LBB190_733
; %bb.724:
	s_wait_xcnt 0x0
	v_cvt_f32_i32_e32 v1, v0
	s_mov_b32 s25, exec_lo
                                        ; implicit-def: $vgpr4
	s_delay_alu instid0(VALU_DEP_1) | instskip(NEXT) | instid1(VALU_DEP_1)
	v_and_b32_e32 v5, 0x7fffffff, v1
	v_cmpx_gt_u32_e32 0x43f00000, v5
	s_xor_b32 s25, exec_lo, s25
	s_cbranch_execz .LBB190_730
; %bb.725:
	s_mov_b32 s26, exec_lo
                                        ; implicit-def: $vgpr4
	v_cmpx_lt_u32_e32 0x3c7fffff, v5
	s_xor_b32 s26, exec_lo, s26
; %bb.726:
	v_bfe_u32 v4, v1, 20, 1
	s_delay_alu instid0(VALU_DEP_1) | instskip(NEXT) | instid1(VALU_DEP_1)
	v_add3_u32 v4, v1, v4, 0x407ffff
	v_and_b32_e32 v5, 0xff00000, v4
	v_lshrrev_b32_e32 v4, 20, v4
	s_delay_alu instid0(VALU_DEP_2) | instskip(NEXT) | instid1(VALU_DEP_2)
	v_cmp_ne_u32_e32 vcc_lo, 0x7f00000, v5
	v_cndmask_b32_e32 v4, 0x7e, v4, vcc_lo
; %bb.727:
	s_and_not1_saveexec_b32 s26, s26
; %bb.728:
	v_add_f32_e64 v4, 0x46800000, |v1|
; %bb.729:
	s_or_b32 exec_lo, exec_lo, s26
                                        ; implicit-def: $vgpr5
.LBB190_730:
	s_and_not1_saveexec_b32 s25, s25
; %bb.731:
	v_mov_b32_e32 v4, 0x7f
	v_cmp_lt_u32_e32 vcc_lo, 0x7f800000, v5
	s_delay_alu instid0(VALU_DEP_2)
	v_cndmask_b32_e32 v4, 0x7e, v4, vcc_lo
; %bb.732:
	s_or_b32 exec_lo, exec_lo, s25
	v_lshrrev_b32_e32 v1, 24, v1
	s_delay_alu instid0(VALU_DEP_1)
	v_and_or_b32 v1, 0x80, v1, v4
	global_store_b8 v[2:3], v1, off
.LBB190_733:
	s_mov_b32 s25, 0
.LBB190_734:
	s_delay_alu instid0(SALU_CYCLE_1)
	s_and_not1_b32 vcc_lo, exec_lo, s25
	s_cbranch_vccnz .LBB190_744
; %bb.735:
	s_wait_xcnt 0x0
	v_cvt_f32_i32_e32 v1, v0
	s_mov_b32 s25, exec_lo
                                        ; implicit-def: $vgpr4
	s_delay_alu instid0(VALU_DEP_1) | instskip(NEXT) | instid1(VALU_DEP_1)
	v_and_b32_e32 v5, 0x7fffffff, v1
	v_cmpx_gt_u32_e32 0x47800000, v5
	s_xor_b32 s25, exec_lo, s25
	s_cbranch_execz .LBB190_741
; %bb.736:
	s_mov_b32 s26, exec_lo
                                        ; implicit-def: $vgpr4
	v_cmpx_lt_u32_e32 0x387fffff, v5
	s_xor_b32 s26, exec_lo, s26
; %bb.737:
	v_bfe_u32 v4, v1, 21, 1
	s_delay_alu instid0(VALU_DEP_1) | instskip(NEXT) | instid1(VALU_DEP_1)
	v_add3_u32 v4, v1, v4, 0x80fffff
	v_lshrrev_b32_e32 v4, 21, v4
; %bb.738:
	s_and_not1_saveexec_b32 s26, s26
; %bb.739:
	v_add_f32_e64 v4, 0x43000000, |v1|
; %bb.740:
	s_or_b32 exec_lo, exec_lo, s26
                                        ; implicit-def: $vgpr5
.LBB190_741:
	s_and_not1_saveexec_b32 s25, s25
; %bb.742:
	v_mov_b32_e32 v4, 0x7f
	v_cmp_lt_u32_e32 vcc_lo, 0x7f800000, v5
	s_delay_alu instid0(VALU_DEP_2)
	v_cndmask_b32_e32 v4, 0x7c, v4, vcc_lo
; %bb.743:
	s_or_b32 exec_lo, exec_lo, s25
	v_lshrrev_b32_e32 v1, 24, v1
	s_delay_alu instid0(VALU_DEP_1)
	v_and_or_b32 v1, 0x80, v1, v4
	global_store_b8 v[2:3], v1, off
.LBB190_744:
	s_mov_b32 s26, 0
	s_mov_b32 s25, -1
.LBB190_745:
	s_and_not1_b32 vcc_lo, exec_lo, s26
	s_cbranch_vccnz .LBB190_753
; %bb.746:
	s_cmp_gt_i32 s24, 14
	s_mov_b32 s26, -1
	s_cbranch_scc0 .LBB190_750
; %bb.747:
	s_cmp_eq_u32 s24, 15
	s_mov_b32 s0, -1
	s_cbranch_scc0 .LBB190_749
; %bb.748:
	s_wait_xcnt 0x0
	v_cvt_f32_i32_e32 v1, v0
	s_mov_b32 s25, -1
	s_mov_b32 s0, 0
	s_delay_alu instid0(VALU_DEP_1) | instskip(NEXT) | instid1(VALU_DEP_1)
	v_bfe_u32 v4, v1, 16, 1
	v_add3_u32 v1, v1, v4, 0x7fff
	global_store_d16_hi_b16 v[2:3], v1, off
.LBB190_749:
	s_mov_b32 s26, 0
.LBB190_750:
	s_delay_alu instid0(SALU_CYCLE_1)
	s_and_b32 vcc_lo, exec_lo, s26
	s_cbranch_vccz .LBB190_753
; %bb.751:
	s_cmp_eq_u32 s24, 11
	s_mov_b32 s0, -1
	s_cbranch_scc0 .LBB190_753
; %bb.752:
	v_cmp_ne_u32_e32 vcc_lo, 0, v0
	s_mov_b32 s0, 0
	s_mov_b32 s25, -1
	s_wait_xcnt 0x0
	v_cndmask_b32_e64 v1, 0, 1, vcc_lo
	global_store_b8 v[2:3], v1, off
.LBB190_753:
	s_mov_b32 s24, 0
.LBB190_754:
	s_delay_alu instid0(SALU_CYCLE_1)
	s_and_b32 vcc_lo, exec_lo, s24
	s_cbranch_vccz .LBB190_793
; %bb.755:
	s_and_b32 s23, 0xffff, s23
	s_mov_b32 s24, -1
	s_cmp_lt_i32 s23, 5
	s_cbranch_scc1 .LBB190_776
; %bb.756:
	s_cmp_lt_i32 s23, 8
	s_cbranch_scc1 .LBB190_766
; %bb.757:
	;; [unrolled: 3-line block ×3, first 2 shown]
	s_cmp_gt_i32 s23, 9
	s_cbranch_scc0 .LBB190_760
; %bb.759:
	s_wait_xcnt 0x0
	v_cvt_f64_i32_e32 v[4:5], v0
	v_mov_b32_e32 v6, 0
	s_mov_b32 s24, 0
	s_delay_alu instid0(VALU_DEP_1)
	v_mov_b32_e32 v7, v6
	global_store_b128 v[2:3], v[4:7], off
.LBB190_760:
	s_and_not1_b32 vcc_lo, exec_lo, s24
	s_cbranch_vccnz .LBB190_762
; %bb.761:
	s_wait_xcnt 0x0
	v_cvt_f32_i32_e32 v4, v0
	v_mov_b32_e32 v5, 0
	global_store_b64 v[2:3], v[4:5], off
.LBB190_762:
	s_mov_b32 s24, 0
.LBB190_763:
	s_delay_alu instid0(SALU_CYCLE_1)
	s_and_not1_b32 vcc_lo, exec_lo, s24
	s_cbranch_vccnz .LBB190_765
; %bb.764:
	s_wait_xcnt 0x0
	v_cvt_f32_i32_e32 v1, v0
	s_delay_alu instid0(VALU_DEP_1) | instskip(NEXT) | instid1(VALU_DEP_1)
	v_cvt_f16_f32_e32 v1, v1
	v_and_b32_e32 v1, 0xffff, v1
	global_store_b32 v[2:3], v1, off
.LBB190_765:
	s_mov_b32 s24, 0
.LBB190_766:
	s_delay_alu instid0(SALU_CYCLE_1)
	s_and_not1_b32 vcc_lo, exec_lo, s24
	s_cbranch_vccnz .LBB190_775
; %bb.767:
	s_cmp_lt_i32 s23, 6
	s_mov_b32 s24, -1
	s_cbranch_scc1 .LBB190_773
; %bb.768:
	s_cmp_gt_i32 s23, 6
	s_cbranch_scc0 .LBB190_770
; %bb.769:
	s_wait_xcnt 0x0
	v_cvt_f64_i32_e32 v[4:5], v0
	s_mov_b32 s24, 0
	global_store_b64 v[2:3], v[4:5], off
.LBB190_770:
	s_and_not1_b32 vcc_lo, exec_lo, s24
	s_cbranch_vccnz .LBB190_772
; %bb.771:
	s_wait_xcnt 0x0
	v_cvt_f32_i32_e32 v1, v0
	global_store_b32 v[2:3], v1, off
.LBB190_772:
	s_mov_b32 s24, 0
.LBB190_773:
	s_delay_alu instid0(SALU_CYCLE_1)
	s_and_not1_b32 vcc_lo, exec_lo, s24
	s_cbranch_vccnz .LBB190_775
; %bb.774:
	s_wait_xcnt 0x0
	v_cvt_f32_i32_e32 v1, v0
	s_delay_alu instid0(VALU_DEP_1)
	v_cvt_f16_f32_e32 v1, v1
	global_store_b16 v[2:3], v1, off
.LBB190_775:
	s_mov_b32 s24, 0
.LBB190_776:
	s_delay_alu instid0(SALU_CYCLE_1)
	s_and_not1_b32 vcc_lo, exec_lo, s24
	s_cbranch_vccnz .LBB190_792
; %bb.777:
	s_cmp_lt_i32 s23, 2
	s_mov_b32 s24, -1
	s_cbranch_scc1 .LBB190_787
; %bb.778:
	s_cmp_lt_i32 s23, 3
	s_cbranch_scc1 .LBB190_784
; %bb.779:
	s_cmp_gt_i32 s23, 3
	s_cbranch_scc0 .LBB190_781
; %bb.780:
	s_wait_xcnt 0x0
	v_ashrrev_i32_e32 v1, 31, v0
	s_mov_b32 s24, 0
	global_store_b64 v[2:3], v[0:1], off
.LBB190_781:
	s_and_not1_b32 vcc_lo, exec_lo, s24
	s_cbranch_vccnz .LBB190_783
; %bb.782:
	global_store_b32 v[2:3], v0, off
.LBB190_783:
	s_mov_b32 s24, 0
.LBB190_784:
	s_delay_alu instid0(SALU_CYCLE_1)
	s_and_not1_b32 vcc_lo, exec_lo, s24
	s_cbranch_vccnz .LBB190_786
; %bb.785:
	global_store_b16 v[2:3], v0, off
.LBB190_786:
	s_mov_b32 s24, 0
.LBB190_787:
	s_delay_alu instid0(SALU_CYCLE_1)
	s_and_not1_b32 vcc_lo, exec_lo, s24
	s_cbranch_vccnz .LBB190_792
; %bb.788:
	s_cmp_gt_i32 s23, 0
	s_mov_b32 s23, -1
	s_cbranch_scc0 .LBB190_790
; %bb.789:
	s_mov_b32 s23, 0
	global_store_b8 v[2:3], v0, off
.LBB190_790:
	s_and_not1_b32 vcc_lo, exec_lo, s23
	s_cbranch_vccnz .LBB190_792
; %bb.791:
	global_store_b8 v[2:3], v0, off
.LBB190_792:
	s_mov_b32 s25, -1
.LBB190_793:
	s_delay_alu instid0(SALU_CYCLE_1)
	s_and_not1_b32 vcc_lo, exec_lo, s25
	s_cbranch_vccnz .LBB190_795
; %bb.794:
	v_add_nc_u32_e32 v8, 0x80, v8
	s_mov_b32 s23, -1
	s_branch .LBB190_797
.LBB190_795:
	s_mov_b32 s23, 0
.LBB190_796:
                                        ; implicit-def: $vgpr8
.LBB190_797:
	s_and_not1_b32 s24, s19, exec_lo
	s_and_b32 s0, s0, exec_lo
	s_and_not1_b32 s25, s18, exec_lo
	s_and_b32 s26, s22, exec_lo
	s_or_b32 s22, s24, s0
	s_or_b32 s0, s25, s26
	s_or_not1_b32 s23, s23, exec_lo
.LBB190_798:
	s_wait_xcnt 0x0
	s_or_b32 exec_lo, exec_lo, s21
	s_mov_b32 s24, 0
	s_mov_b32 s25, 0
	;; [unrolled: 1-line block ×3, first 2 shown]
                                        ; implicit-def: $vgpr0_vgpr1
                                        ; implicit-def: $vgpr4
	s_and_saveexec_b32 s21, s23
	s_cbranch_execz .LBB190_879
; %bb.799:
	v_cmp_gt_i32_e32 vcc_lo, s15, v8
	s_mov_b32 s23, 0
	s_mov_b32 s24, s0
	;; [unrolled: 1-line block ×3, first 2 shown]
                                        ; implicit-def: $vgpr0_vgpr1
                                        ; implicit-def: $vgpr4
	s_and_saveexec_b32 s15, vcc_lo
	s_cbranch_execz .LBB190_878
; %bb.800:
	v_mul_lo_u32 v0, v8, s9
	s_and_b32 s23, 0xffff, s12
	s_delay_alu instid0(SALU_CYCLE_1) | instskip(NEXT) | instid1(VALU_DEP_1)
	s_cmp_lt_i32 s23, 11
	v_ashrrev_i32_e32 v1, 31, v0
	s_delay_alu instid0(VALU_DEP_1)
	v_add_nc_u64_e32 v[0:1], s[6:7], v[0:1]
	s_cbranch_scc1 .LBB190_807
; %bb.801:
	s_cmp_gt_i32 s23, 25
	s_cbranch_scc0 .LBB190_808
; %bb.802:
	s_cmp_gt_i32 s23, 28
	s_cbranch_scc0 .LBB190_809
	;; [unrolled: 3-line block ×4, first 2 shown]
; %bb.805:
	s_cmp_eq_u32 s23, 46
	s_cbranch_scc0 .LBB190_816
; %bb.806:
	s_wait_loadcnt 0x0
	global_load_b32 v2, v[0:1], off
	s_mov_b32 s24, 0
	s_mov_b32 s26, -1
	s_wait_loadcnt 0x0
	v_lshlrev_b32_e32 v2, 16, v2
	s_delay_alu instid0(VALU_DEP_1)
	v_cvt_i32_f32_e32 v4, v2
	s_branch .LBB190_818
.LBB190_807:
	s_mov_b32 s23, -1
	s_mov_b32 s24, s0
                                        ; implicit-def: $vgpr4
	s_branch .LBB190_877
.LBB190_808:
	s_mov_b32 s27, -1
	s_mov_b32 s24, s0
                                        ; implicit-def: $vgpr4
	s_branch .LBB190_845
.LBB190_809:
	s_mov_b32 s27, -1
	s_mov_b32 s24, s0
                                        ; implicit-def: $vgpr4
	s_branch .LBB190_828
.LBB190_810:
	s_mov_b32 s27, -1
	s_mov_b32 s24, s0
                                        ; implicit-def: $vgpr4
	s_branch .LBB190_823
.LBB190_811:
	s_and_not1_saveexec_b32 s27, s27
	s_cbranch_execz .LBB190_706
.LBB190_812:
	v_add_f32_e64 v4, 0x46000000, |v1|
	s_and_not1_b32 s26, s26, exec_lo
	s_delay_alu instid0(VALU_DEP_1) | instskip(NEXT) | instid1(VALU_DEP_1)
	v_and_b32_e32 v4, 0xff, v4
	v_cmp_ne_u32_e32 vcc_lo, 0, v4
	s_and_b32 s28, vcc_lo, exec_lo
	s_delay_alu instid0(SALU_CYCLE_1)
	s_or_b32 s26, s26, s28
	s_or_b32 exec_lo, exec_lo, s27
	v_mov_b32_e32 v5, 0
	s_and_saveexec_b32 s27, s26
	s_cbranch_execnz .LBB190_707
	s_branch .LBB190_708
.LBB190_813:
	s_mov_b32 s27, -1
	s_mov_b32 s24, s0
	s_branch .LBB190_817
.LBB190_814:
	s_and_not1_saveexec_b32 s27, s27
	s_cbranch_execz .LBB190_719
.LBB190_815:
	v_add_f32_e64 v4, 0x42800000, |v1|
	s_and_not1_b32 s26, s26, exec_lo
	s_delay_alu instid0(VALU_DEP_1) | instskip(NEXT) | instid1(VALU_DEP_1)
	v_and_b32_e32 v4, 0xff, v4
	v_cmp_ne_u32_e32 vcc_lo, 0, v4
	s_and_b32 s28, vcc_lo, exec_lo
	s_delay_alu instid0(SALU_CYCLE_1)
	s_or_b32 s26, s26, s28
	s_or_b32 exec_lo, exec_lo, s27
	v_mov_b32_e32 v5, 0
	s_and_saveexec_b32 s27, s26
	s_cbranch_execnz .LBB190_720
	s_branch .LBB190_721
.LBB190_816:
	s_mov_b32 s24, -1
.LBB190_817:
                                        ; implicit-def: $vgpr4
.LBB190_818:
	s_and_b32 vcc_lo, exec_lo, s27
	s_cbranch_vccz .LBB190_822
; %bb.819:
	s_cmp_eq_u32 s23, 44
	s_cbranch_scc0 .LBB190_821
; %bb.820:
	s_wait_loadcnt 0x0
	global_load_u8 v2, v[0:1], off
	s_mov_b32 s24, 0
	s_mov_b32 s26, -1
	s_wait_loadcnt 0x0
	v_lshlrev_b32_e32 v3, 23, v2
	v_cmp_ne_u32_e32 vcc_lo, 0, v2
	s_delay_alu instid0(VALU_DEP_2) | instskip(NEXT) | instid1(VALU_DEP_1)
	v_cvt_i32_f32_e32 v3, v3
	v_cndmask_b32_e32 v4, 0, v3, vcc_lo
	s_branch .LBB190_822
.LBB190_821:
	s_mov_b32 s24, -1
                                        ; implicit-def: $vgpr4
.LBB190_822:
	s_mov_b32 s27, 0
.LBB190_823:
	s_delay_alu instid0(SALU_CYCLE_1)
	s_and_b32 vcc_lo, exec_lo, s27
	s_cbranch_vccz .LBB190_827
; %bb.824:
	s_cmp_eq_u32 s23, 29
	s_cbranch_scc0 .LBB190_826
; %bb.825:
	global_load_b32 v4, v[0:1], off
	s_mov_b32 s24, 0
	s_mov_b32 s26, -1
	s_branch .LBB190_827
.LBB190_826:
	s_mov_b32 s24, -1
                                        ; implicit-def: $vgpr4
.LBB190_827:
	s_mov_b32 s27, 0
.LBB190_828:
	s_delay_alu instid0(SALU_CYCLE_1)
	s_and_b32 vcc_lo, exec_lo, s27
	s_cbranch_vccz .LBB190_844
; %bb.829:
	s_cmp_lt_i32 s23, 27
	s_cbranch_scc1 .LBB190_832
; %bb.830:
	s_cmp_gt_i32 s23, 27
	s_cbranch_scc0 .LBB190_833
; %bb.831:
	s_wait_loadcnt 0x0
	global_load_b32 v4, v[0:1], off
	s_mov_b32 s26, 0
	s_branch .LBB190_834
.LBB190_832:
	s_mov_b32 s26, -1
                                        ; implicit-def: $vgpr4
	s_branch .LBB190_837
.LBB190_833:
	s_mov_b32 s26, -1
                                        ; implicit-def: $vgpr4
.LBB190_834:
	s_delay_alu instid0(SALU_CYCLE_1)
	s_and_not1_b32 vcc_lo, exec_lo, s26
	s_cbranch_vccnz .LBB190_836
; %bb.835:
	s_wait_loadcnt 0x0
	global_load_u16 v4, v[0:1], off
.LBB190_836:
	s_mov_b32 s26, 0
.LBB190_837:
	s_delay_alu instid0(SALU_CYCLE_1)
	s_and_not1_b32 vcc_lo, exec_lo, s26
	s_cbranch_vccnz .LBB190_843
; %bb.838:
	s_wait_loadcnt 0x0
	global_load_u8 v2, v[0:1], off
	s_mov_b32 s27, 0
	s_mov_b32 s26, exec_lo
	s_wait_loadcnt 0x0
	v_cmpx_lt_i16_e32 0x7f, v2
	s_xor_b32 s26, exec_lo, s26
	s_cbranch_execz .LBB190_855
; %bb.839:
	v_cmp_ne_u16_e32 vcc_lo, 0x80, v2
	s_and_b32 s27, vcc_lo, exec_lo
	s_and_not1_saveexec_b32 s26, s26
	s_cbranch_execnz .LBB190_856
.LBB190_840:
	s_or_b32 exec_lo, exec_lo, s26
	v_mov_b32_e32 v4, 0
	s_and_saveexec_b32 s26, s27
	s_cbranch_execz .LBB190_842
.LBB190_841:
	v_and_b32_e32 v3, 0xffff, v2
	s_delay_alu instid0(VALU_DEP_1) | instskip(SKIP_1) | instid1(VALU_DEP_2)
	v_and_b32_e32 v4, 7, v3
	v_bfe_u32 v7, v3, 3, 4
	v_clz_i32_u32_e32 v5, v4
	s_delay_alu instid0(VALU_DEP_2) | instskip(NEXT) | instid1(VALU_DEP_2)
	v_cmp_eq_u32_e32 vcc_lo, 0, v7
	v_min_u32_e32 v5, 32, v5
	s_delay_alu instid0(VALU_DEP_1) | instskip(NEXT) | instid1(VALU_DEP_1)
	v_subrev_nc_u32_e32 v6, 28, v5
	v_dual_lshlrev_b32 v3, v6, v3 :: v_dual_sub_nc_u32 v5, 29, v5
	s_delay_alu instid0(VALU_DEP_1) | instskip(NEXT) | instid1(VALU_DEP_1)
	v_dual_lshlrev_b32 v2, 24, v2 :: v_dual_bitop2_b32 v3, 7, v3 bitop3:0x40
	v_dual_cndmask_b32 v5, v7, v5, vcc_lo :: v_dual_cndmask_b32 v3, v4, v3, vcc_lo
	s_delay_alu instid0(VALU_DEP_2) | instskip(NEXT) | instid1(VALU_DEP_2)
	v_and_b32_e32 v2, 0x80000000, v2
	v_lshl_add_u32 v4, v5, 23, 0x3b800000
	s_delay_alu instid0(VALU_DEP_3) | instskip(NEXT) | instid1(VALU_DEP_1)
	v_lshlrev_b32_e32 v3, 20, v3
	v_or3_b32 v2, v2, v4, v3
	s_delay_alu instid0(VALU_DEP_1)
	v_cvt_i32_f32_e32 v4, v2
.LBB190_842:
	s_or_b32 exec_lo, exec_lo, s26
.LBB190_843:
	s_mov_b32 s26, -1
.LBB190_844:
	s_mov_b32 s27, 0
.LBB190_845:
	s_delay_alu instid0(SALU_CYCLE_1)
	s_and_b32 vcc_lo, exec_lo, s27
	s_cbranch_vccz .LBB190_876
; %bb.846:
	s_cmp_gt_i32 s23, 22
	s_cbranch_scc0 .LBB190_854
; %bb.847:
	s_cmp_lt_i32 s23, 24
	s_cbranch_scc1 .LBB190_857
; %bb.848:
	s_cmp_gt_i32 s23, 24
	s_cbranch_scc0 .LBB190_858
; %bb.849:
	s_wait_loadcnt 0x0
	global_load_u8 v2, v[0:1], off
	s_mov_b32 s26, 0
	s_mov_b32 s25, exec_lo
	s_wait_loadcnt 0x0
	v_cmpx_lt_i16_e32 0x7f, v2
	s_xor_b32 s25, exec_lo, s25
	s_cbranch_execz .LBB190_870
; %bb.850:
	v_cmp_ne_u16_e32 vcc_lo, 0x80, v2
	s_and_b32 s26, vcc_lo, exec_lo
	s_and_not1_saveexec_b32 s25, s25
	s_cbranch_execnz .LBB190_871
.LBB190_851:
	s_or_b32 exec_lo, exec_lo, s25
	v_mov_b32_e32 v4, 0
	s_and_saveexec_b32 s25, s26
	s_cbranch_execz .LBB190_853
.LBB190_852:
	v_and_b32_e32 v3, 0xffff, v2
	s_delay_alu instid0(VALU_DEP_1) | instskip(SKIP_1) | instid1(VALU_DEP_2)
	v_and_b32_e32 v4, 3, v3
	v_bfe_u32 v7, v3, 2, 5
	v_clz_i32_u32_e32 v5, v4
	s_delay_alu instid0(VALU_DEP_2) | instskip(NEXT) | instid1(VALU_DEP_2)
	v_cmp_eq_u32_e32 vcc_lo, 0, v7
	v_min_u32_e32 v5, 32, v5
	s_delay_alu instid0(VALU_DEP_1) | instskip(NEXT) | instid1(VALU_DEP_1)
	v_subrev_nc_u32_e32 v6, 29, v5
	v_dual_lshlrev_b32 v3, v6, v3 :: v_dual_sub_nc_u32 v5, 30, v5
	s_delay_alu instid0(VALU_DEP_1) | instskip(NEXT) | instid1(VALU_DEP_1)
	v_dual_lshlrev_b32 v2, 24, v2 :: v_dual_bitop2_b32 v3, 3, v3 bitop3:0x40
	v_dual_cndmask_b32 v5, v7, v5, vcc_lo :: v_dual_cndmask_b32 v3, v4, v3, vcc_lo
	s_delay_alu instid0(VALU_DEP_2) | instskip(NEXT) | instid1(VALU_DEP_2)
	v_and_b32_e32 v2, 0x80000000, v2
	v_lshl_add_u32 v4, v5, 23, 0x37800000
	s_delay_alu instid0(VALU_DEP_3) | instskip(NEXT) | instid1(VALU_DEP_1)
	v_lshlrev_b32_e32 v3, 21, v3
	v_or3_b32 v2, v2, v4, v3
	s_delay_alu instid0(VALU_DEP_1)
	v_cvt_i32_f32_e32 v4, v2
.LBB190_853:
	s_or_b32 exec_lo, exec_lo, s25
	s_mov_b32 s25, 0
	s_branch .LBB190_859
.LBB190_854:
	s_mov_b32 s25, -1
                                        ; implicit-def: $vgpr4
	s_branch .LBB190_865
.LBB190_855:
	s_and_not1_saveexec_b32 s26, s26
	s_cbranch_execz .LBB190_840
.LBB190_856:
	v_cmp_ne_u16_e32 vcc_lo, 0, v2
	s_and_not1_b32 s27, s27, exec_lo
	s_and_b32 s28, vcc_lo, exec_lo
	s_delay_alu instid0(SALU_CYCLE_1)
	s_or_b32 s27, s27, s28
	s_or_b32 exec_lo, exec_lo, s26
	v_mov_b32_e32 v4, 0
	s_and_saveexec_b32 s26, s27
	s_cbranch_execnz .LBB190_841
	s_branch .LBB190_842
.LBB190_857:
	s_mov_b32 s25, -1
                                        ; implicit-def: $vgpr4
	s_branch .LBB190_862
.LBB190_858:
	s_mov_b32 s25, -1
                                        ; implicit-def: $vgpr4
.LBB190_859:
	s_delay_alu instid0(SALU_CYCLE_1)
	s_and_b32 vcc_lo, exec_lo, s25
	s_cbranch_vccz .LBB190_861
; %bb.860:
	s_wait_loadcnt 0x0
	global_load_u8 v2, v[0:1], off
	s_wait_loadcnt 0x0
	v_lshlrev_b32_e32 v2, 24, v2
	s_delay_alu instid0(VALU_DEP_1) | instskip(NEXT) | instid1(VALU_DEP_1)
	v_and_b32_e32 v3, 0x7f000000, v2
	v_clz_i32_u32_e32 v4, v3
	v_cmp_ne_u32_e32 vcc_lo, 0, v3
	v_add_nc_u32_e32 v6, 0x1000000, v3
	s_delay_alu instid0(VALU_DEP_3) | instskip(NEXT) | instid1(VALU_DEP_1)
	v_min_u32_e32 v4, 32, v4
	v_sub_nc_u32_e64 v4, v4, 4 clamp
	s_delay_alu instid0(VALU_DEP_1) | instskip(NEXT) | instid1(VALU_DEP_1)
	v_dual_lshlrev_b32 v5, v4, v3 :: v_dual_lshlrev_b32 v4, 23, v4
	v_lshrrev_b32_e32 v5, 4, v5
	s_delay_alu instid0(VALU_DEP_1) | instskip(NEXT) | instid1(VALU_DEP_1)
	v_dual_sub_nc_u32 v4, v5, v4 :: v_dual_ashrrev_i32 v5, 8, v6
	v_add_nc_u32_e32 v4, 0x3c000000, v4
	s_delay_alu instid0(VALU_DEP_1) | instskip(NEXT) | instid1(VALU_DEP_1)
	v_and_or_b32 v4, 0x7f800000, v5, v4
	v_cndmask_b32_e32 v3, 0, v4, vcc_lo
	s_delay_alu instid0(VALU_DEP_1) | instskip(NEXT) | instid1(VALU_DEP_1)
	v_and_or_b32 v2, 0x80000000, v2, v3
	v_cvt_i32_f32_e32 v4, v2
.LBB190_861:
	s_mov_b32 s25, 0
.LBB190_862:
	s_delay_alu instid0(SALU_CYCLE_1)
	s_and_not1_b32 vcc_lo, exec_lo, s25
	s_cbranch_vccnz .LBB190_864
; %bb.863:
	s_wait_loadcnt 0x0
	global_load_u8 v2, v[0:1], off
	s_wait_loadcnt 0x0
	v_lshlrev_b32_e32 v3, 25, v2
	v_lshlrev_b16 v2, 8, v2
	s_delay_alu instid0(VALU_DEP_1) | instskip(SKIP_1) | instid1(VALU_DEP_2)
	v_and_or_b32 v5, 0x7f00, v2, 0.5
	v_bfe_i32 v2, v2, 0, 16
	v_dual_add_f32 v5, -0.5, v5 :: v_dual_lshrrev_b32 v4, 4, v3
	v_cmp_gt_u32_e32 vcc_lo, 0x8000000, v3
	s_delay_alu instid0(VALU_DEP_2) | instskip(NEXT) | instid1(VALU_DEP_1)
	v_or_b32_e32 v4, 0x70000000, v4
	v_mul_f32_e32 v4, 0x7800000, v4
	s_delay_alu instid0(VALU_DEP_1) | instskip(NEXT) | instid1(VALU_DEP_1)
	v_cndmask_b32_e32 v3, v4, v5, vcc_lo
	v_and_or_b32 v2, 0x80000000, v2, v3
	s_delay_alu instid0(VALU_DEP_1)
	v_cvt_i32_f32_e32 v4, v2
.LBB190_864:
	s_mov_b32 s25, 0
	s_mov_b32 s26, -1
.LBB190_865:
	s_and_not1_b32 vcc_lo, exec_lo, s25
	s_mov_b32 s25, 0
	s_cbranch_vccnz .LBB190_876
; %bb.866:
	s_cmp_gt_i32 s23, 14
	s_cbranch_scc0 .LBB190_869
; %bb.867:
	s_cmp_eq_u32 s23, 15
	s_cbranch_scc0 .LBB190_872
; %bb.868:
	s_wait_loadcnt 0x0
	global_load_u16 v2, v[0:1], off
	s_mov_b32 s24, 0
	s_mov_b32 s26, -1
	s_wait_loadcnt 0x0
	v_lshlrev_b32_e32 v2, 16, v2
	s_delay_alu instid0(VALU_DEP_1)
	v_cvt_i32_f32_e32 v4, v2
	s_branch .LBB190_874
.LBB190_869:
	s_mov_b32 s25, -1
	s_branch .LBB190_873
.LBB190_870:
	s_and_not1_saveexec_b32 s25, s25
	s_cbranch_execz .LBB190_851
.LBB190_871:
	v_cmp_ne_u16_e32 vcc_lo, 0, v2
	s_and_not1_b32 s26, s26, exec_lo
	s_and_b32 s27, vcc_lo, exec_lo
	s_delay_alu instid0(SALU_CYCLE_1)
	s_or_b32 s26, s26, s27
	s_or_b32 exec_lo, exec_lo, s25
	v_mov_b32_e32 v4, 0
	s_and_saveexec_b32 s25, s26
	s_cbranch_execnz .LBB190_852
	s_branch .LBB190_853
.LBB190_872:
	s_mov_b32 s24, -1
.LBB190_873:
                                        ; implicit-def: $vgpr4
.LBB190_874:
	s_and_b32 vcc_lo, exec_lo, s25
	s_mov_b32 s25, 0
	s_cbranch_vccz .LBB190_876
; %bb.875:
	s_cmp_lg_u32 s23, 11
	s_mov_b32 s25, -1
	s_cselect_b32 s23, -1, 0
	s_and_not1_b32 s24, s24, exec_lo
	s_and_b32 s23, s23, exec_lo
	s_delay_alu instid0(SALU_CYCLE_1)
	s_or_b32 s24, s24, s23
.LBB190_876:
	s_mov_b32 s23, 0
.LBB190_877:
	s_and_not1_b32 s28, s0, exec_lo
	s_and_b32 s24, s24, exec_lo
	s_and_b32 s26, s26, exec_lo
	;; [unrolled: 1-line block ×4, first 2 shown]
	s_or_b32 s24, s28, s24
.LBB190_878:
	s_wait_xcnt 0x0
	s_or_b32 exec_lo, exec_lo, s15
	s_delay_alu instid0(SALU_CYCLE_1)
	s_and_not1_b32 s0, s0, exec_lo
	s_and_b32 s15, s24, exec_lo
	s_and_b32 s26, s26, exec_lo
	;; [unrolled: 1-line block ×4, first 2 shown]
	s_or_b32 s0, s0, s15
.LBB190_879:
	s_or_b32 exec_lo, exec_lo, s21
	s_delay_alu instid0(SALU_CYCLE_1)
	s_and_not1_b32 s15, s19, exec_lo
	s_and_b32 s19, s22, exec_lo
	s_and_b32 s0, s0, exec_lo
	s_or_b32 s19, s15, s19
	s_and_not1_b32 s15, s18, exec_lo
	s_and_b32 s23, s26, exec_lo
	s_and_b32 s22, s25, exec_lo
	;; [unrolled: 1-line block ×3, first 2 shown]
	s_or_b32 s18, s15, s0
.LBB190_880:
	s_or_b32 exec_lo, exec_lo, s20
	s_delay_alu instid0(SALU_CYCLE_1)
	s_and_not1_b32 s0, s14, exec_lo
	s_and_b32 s14, s19, exec_lo
	s_and_not1_b32 s15, s16, exec_lo
	s_and_b32 s16, s18, exec_lo
	s_or_b32 s14, s0, s14
	s_and_b32 s0, s23, exec_lo
	s_and_b32 s19, s22, exec_lo
	s_and_b32 s18, s21, exec_lo
	s_or_b32 s16, s15, s16
	s_or_b32 exec_lo, exec_lo, s17
	s_mov_b32 s15, 0
	s_and_saveexec_b32 s17, s16
	s_cbranch_execz .LBB190_269
.LBB190_881:
	s_mov_b32 s15, exec_lo
	s_and_not1_b32 s18, s18, exec_lo
	s_trap 2
	s_or_b32 exec_lo, exec_lo, s17
	s_and_saveexec_b32 s16, s18
	s_delay_alu instid0(SALU_CYCLE_1)
	s_xor_b32 s16, exec_lo, s16
	s_cbranch_execnz .LBB190_270
.LBB190_882:
	s_or_b32 exec_lo, exec_lo, s16
	s_and_saveexec_b32 s16, s19
	s_cbranch_execz .LBB190_928
.LBB190_883:
	s_sext_i32_i16 s17, s12
	s_delay_alu instid0(SALU_CYCLE_1)
	s_cmp_lt_i32 s17, 5
	s_cbranch_scc1 .LBB190_888
; %bb.884:
	s_cmp_lt_i32 s17, 8
	s_cbranch_scc1 .LBB190_889
; %bb.885:
	;; [unrolled: 3-line block ×3, first 2 shown]
	s_cmp_gt_i32 s17, 9
	s_cbranch_scc0 .LBB190_891
; %bb.887:
	s_wait_loadcnt 0x0
	global_load_b64 v[2:3], v[0:1], off
	s_mov_b32 s17, 0
	s_wait_loadcnt 0x0
	v_cvt_i32_f64_e32 v4, v[2:3]
	s_branch .LBB190_892
.LBB190_888:
                                        ; implicit-def: $vgpr4
	s_branch .LBB190_909
.LBB190_889:
                                        ; implicit-def: $vgpr4
	s_branch .LBB190_898
.LBB190_890:
	s_mov_b32 s17, -1
                                        ; implicit-def: $vgpr4
	s_branch .LBB190_895
.LBB190_891:
	s_mov_b32 s17, -1
                                        ; implicit-def: $vgpr4
.LBB190_892:
	s_delay_alu instid0(SALU_CYCLE_1)
	s_and_not1_b32 vcc_lo, exec_lo, s17
	s_cbranch_vccnz .LBB190_894
; %bb.893:
	s_wait_loadcnt 0x0
	global_load_b32 v2, v[0:1], off
	s_wait_loadcnt 0x0
	v_cvt_i32_f32_e32 v4, v2
.LBB190_894:
	s_mov_b32 s17, 0
.LBB190_895:
	s_delay_alu instid0(SALU_CYCLE_1)
	s_and_not1_b32 vcc_lo, exec_lo, s17
	s_cbranch_vccnz .LBB190_897
; %bb.896:
	s_wait_loadcnt 0x0
	global_load_b32 v2, v[0:1], off
	s_wait_loadcnt 0x0
	v_cvt_f32_f16_e32 v2, v2
	s_delay_alu instid0(VALU_DEP_1)
	v_cvt_i32_f32_e32 v4, v2
.LBB190_897:
	s_cbranch_execnz .LBB190_908
.LBB190_898:
	s_sext_i32_i16 s17, s12
	s_delay_alu instid0(SALU_CYCLE_1)
	s_cmp_lt_i32 s17, 6
	s_cbranch_scc1 .LBB190_901
; %bb.899:
	s_cmp_gt_i32 s17, 6
	s_cbranch_scc0 .LBB190_902
; %bb.900:
	s_wait_loadcnt 0x0
	global_load_b64 v[2:3], v[0:1], off
	s_mov_b32 s17, 0
	s_wait_loadcnt 0x0
	v_cvt_i32_f64_e32 v4, v[2:3]
	s_branch .LBB190_903
.LBB190_901:
	s_mov_b32 s17, -1
                                        ; implicit-def: $vgpr4
	s_branch .LBB190_906
.LBB190_902:
	s_mov_b32 s17, -1
                                        ; implicit-def: $vgpr4
.LBB190_903:
	s_delay_alu instid0(SALU_CYCLE_1)
	s_and_not1_b32 vcc_lo, exec_lo, s17
	s_cbranch_vccnz .LBB190_905
; %bb.904:
	s_wait_loadcnt 0x0
	global_load_b32 v2, v[0:1], off
	s_wait_loadcnt 0x0
	v_cvt_i32_f32_e32 v4, v2
.LBB190_905:
	s_mov_b32 s17, 0
.LBB190_906:
	s_delay_alu instid0(SALU_CYCLE_1)
	s_and_not1_b32 vcc_lo, exec_lo, s17
	s_cbranch_vccnz .LBB190_908
; %bb.907:
	s_wait_loadcnt 0x0
	global_load_u16 v2, v[0:1], off
	s_wait_loadcnt 0x0
	v_cvt_f32_f16_e32 v2, v2
	s_delay_alu instid0(VALU_DEP_1)
	v_cvt_i32_f32_e32 v4, v2
.LBB190_908:
	s_cbranch_execnz .LBB190_927
.LBB190_909:
	s_sext_i32_i16 s17, s12
	s_delay_alu instid0(SALU_CYCLE_1)
	s_cmp_lt_i32 s17, 2
	s_cbranch_scc1 .LBB190_913
; %bb.910:
	s_cmp_lt_i32 s17, 3
	s_cbranch_scc1 .LBB190_914
; %bb.911:
	s_cmp_gt_i32 s17, 3
	s_cbranch_scc0 .LBB190_915
; %bb.912:
	s_wait_loadcnt 0x0
	global_load_b32 v4, v[0:1], off
	s_mov_b32 s17, 0
	s_branch .LBB190_916
.LBB190_913:
                                        ; implicit-def: $vgpr4
	s_branch .LBB190_922
.LBB190_914:
	s_mov_b32 s17, -1
                                        ; implicit-def: $vgpr4
	s_branch .LBB190_919
.LBB190_915:
	s_mov_b32 s17, -1
                                        ; implicit-def: $vgpr4
.LBB190_916:
	s_delay_alu instid0(SALU_CYCLE_1)
	s_and_not1_b32 vcc_lo, exec_lo, s17
	s_cbranch_vccnz .LBB190_918
; %bb.917:
	s_wait_loadcnt 0x0
	global_load_b32 v4, v[0:1], off
.LBB190_918:
	s_mov_b32 s17, 0
.LBB190_919:
	s_delay_alu instid0(SALU_CYCLE_1)
	s_and_not1_b32 vcc_lo, exec_lo, s17
	s_cbranch_vccnz .LBB190_921
; %bb.920:
	s_wait_loadcnt 0x0
	global_load_i16 v4, v[0:1], off
.LBB190_921:
	s_cbranch_execnz .LBB190_927
.LBB190_922:
	s_sext_i32_i16 s17, s12
	s_delay_alu instid0(SALU_CYCLE_1)
	s_cmp_gt_i32 s17, 0
	s_mov_b32 s17, 0
	s_cbranch_scc0 .LBB190_924
; %bb.923:
	s_wait_loadcnt 0x0
	global_load_i8 v4, v[0:1], off
	s_branch .LBB190_925
.LBB190_924:
	s_mov_b32 s17, -1
                                        ; implicit-def: $vgpr4
.LBB190_925:
	s_delay_alu instid0(SALU_CYCLE_1)
	s_and_not1_b32 vcc_lo, exec_lo, s17
	s_cbranch_vccnz .LBB190_927
; %bb.926:
	s_wait_loadcnt 0x0
	global_load_u8 v4, v[0:1], off
.LBB190_927:
	s_or_b32 s0, s0, exec_lo
.LBB190_928:
	s_wait_xcnt 0x0
	s_or_b32 exec_lo, exec_lo, s16
	s_mov_b32 s19, 0
	s_mov_b32 s18, 0
                                        ; implicit-def: $sgpr16
                                        ; implicit-def: $vgpr2_vgpr3
                                        ; implicit-def: $vgpr0
	s_and_saveexec_b32 s17, s0
	s_cbranch_execz .LBB190_932
; %bb.929:
	s_cmp_lt_i32 s10, 1
	s_mov_b32 s0, 0
	s_cbranch_scc1 .LBB190_935
; %bb.930:
	s_cmp_eq_u32 s10, 1
	s_cbranch_scc0 .LBB190_949
; %bb.931:
	s_wait_loadcnt 0x0
	s_delay_alu instid0(VALU_DEP_1)
	v_min_i32_e32 v0, s11, v4
	s_mov_b32 s16, 0
	s_and_b32 vcc_lo, exec_lo, s18
	s_cbranch_vccnz .LBB190_936
	s_branch .LBB190_937
.LBB190_932:
	s_or_b32 exec_lo, exec_lo, s17
	s_and_saveexec_b32 s0, s14
	s_cbranch_execnz .LBB190_1019
.LBB190_933:
	s_or_b32 exec_lo, exec_lo, s0
	s_and_saveexec_b32 s0, s19
	s_delay_alu instid0(SALU_CYCLE_1)
	s_xor_b32 s0, exec_lo, s0
	s_cbranch_execz .LBB190_1020
.LBB190_934:
	v_cmp_ne_u32_e32 vcc_lo, 0, v0
	v_cndmask_b32_e64 v1, 0, 1, vcc_lo
	s_wait_loadcnt 0x0
	global_store_b8 v[2:3], v1, off
	s_wait_xcnt 0x0
	s_or_b32 exec_lo, exec_lo, s0
	s_and_saveexec_b32 s0, s18
	s_delay_alu instid0(SALU_CYCLE_1)
	s_xor_b32 s0, exec_lo, s0
	s_cbranch_execz .LBB190_1058
	s_branch .LBB190_1021
.LBB190_935:
	s_mov_b32 s16, 0
                                        ; implicit-def: $vgpr0
	s_cbranch_execz .LBB190_937
.LBB190_936:
	s_cmp_lg_u32 s10, 0
	s_mov_b32 s0, -1
	s_cselect_b32 s16, -1, 0
.LBB190_937:
	s_delay_alu instid0(SALU_CYCLE_1)
	s_and_not1_b32 vcc_lo, exec_lo, s16
	s_cbranch_vccnz .LBB190_939
; %bb.938:
	s_wait_loadcnt 0x0
	s_delay_alu instid0(VALU_DEP_1)
	v_maxmin_i32 v0, v4, s11, s2
	s_cbranch_execz .LBB190_940
	s_branch .LBB190_941
.LBB190_939:
	s_and_not1_b32 vcc_lo, exec_lo, s0
	s_cbranch_vccnz .LBB190_941
.LBB190_940:
	s_wait_loadcnt 0x0
	s_delay_alu instid0(VALU_DEP_1)
	v_max_i32_e32 v0, s11, v4
.LBB190_941:
	s_wait_loadcnt 0x0
	v_mul_lo_u32 v2, v8, s8
	s_and_b32 s16, s3, 0xff
	s_delay_alu instid0(SALU_CYCLE_1) | instskip(NEXT) | instid1(VALU_DEP_1)
	s_cmp_lt_i32 s16, 11
	v_ashrrev_i32_e32 v3, 31, v2
	s_delay_alu instid0(VALU_DEP_1)
	v_add_nc_u64_e32 v[2:3], s[4:5], v[2:3]
	s_cbranch_scc1 .LBB190_948
; %bb.942:
	s_and_b32 s18, 0xffff, s16
	s_mov_b32 s19, -1
	s_cmp_gt_i32 s18, 25
	s_mov_b32 s0, s14
	s_cbranch_scc0 .LBB190_977
; %bb.943:
	s_cmp_gt_i32 s18, 28
	s_mov_b32 s0, s14
	s_cbranch_scc0 .LBB190_961
; %bb.944:
	;; [unrolled: 4-line block ×4, first 2 shown]
	s_cmp_eq_u32 s18, 46
	s_mov_b32 s0, -1
	s_cbranch_scc0 .LBB190_950
; %bb.947:
	v_cvt_f32_i32_e32 v1, v0
	s_mov_b32 s0, 0
	s_mov_b32 s19, 0
	s_delay_alu instid0(VALU_DEP_1) | instskip(NEXT) | instid1(VALU_DEP_1)
	v_bfe_u32 v4, v1, 16, 1
	v_add3_u32 v1, v1, v4, 0x7fff
	s_delay_alu instid0(VALU_DEP_1)
	v_lshrrev_b32_e32 v1, 16, v1
	global_store_b32 v[2:3], v1, off
	s_branch .LBB190_951
.LBB190_948:
	s_mov_b32 s20, 0
	s_mov_b32 s19, -1
	s_mov_b32 s0, s14
	s_branch .LBB190_1018
.LBB190_949:
	s_mov_b32 s16, -1
                                        ; implicit-def: $vgpr0
	s_and_b32 vcc_lo, exec_lo, s18
	s_cbranch_vccnz .LBB190_936
	s_branch .LBB190_937
.LBB190_950:
	s_mov_b32 s19, 0
.LBB190_951:
	s_delay_alu instid0(SALU_CYCLE_1)
	s_and_b32 vcc_lo, exec_lo, s19
	s_cbranch_vccz .LBB190_956
; %bb.952:
	s_cmp_eq_u32 s18, 44
	s_mov_b32 s0, -1
	s_cbranch_scc0 .LBB190_956
; %bb.953:
	s_wait_xcnt 0x0
	v_cvt_f32_i32_e32 v1, v0
	v_mov_b32_e32 v4, 0xff
	s_mov_b32 s19, exec_lo
	s_delay_alu instid0(VALU_DEP_2) | instskip(NEXT) | instid1(VALU_DEP_1)
	v_bfe_u32 v5, v1, 23, 8
	v_cmpx_ne_u32_e32 0xff, v5
	s_cbranch_execz .LBB190_955
; %bb.954:
	v_and_b32_e32 v4, 0x400000, v1
	v_and_or_b32 v5, 0x3fffff, v1, v5
	v_lshrrev_b32_e32 v1, 23, v1
	s_delay_alu instid0(VALU_DEP_3) | instskip(NEXT) | instid1(VALU_DEP_3)
	v_cmp_ne_u32_e32 vcc_lo, 0, v4
	v_cmp_ne_u32_e64 s0, 0, v5
	s_and_b32 s0, vcc_lo, s0
	s_delay_alu instid0(SALU_CYCLE_1) | instskip(NEXT) | instid1(VALU_DEP_1)
	v_cndmask_b32_e64 v4, 0, 1, s0
	v_add_nc_u32_e32 v4, v1, v4
.LBB190_955:
	s_or_b32 exec_lo, exec_lo, s19
	s_mov_b32 s0, 0
	global_store_b8 v[2:3], v4, off
.LBB190_956:
	s_mov_b32 s19, 0
.LBB190_957:
	s_delay_alu instid0(SALU_CYCLE_1)
	s_and_b32 vcc_lo, exec_lo, s19
	s_cbranch_vccz .LBB190_960
; %bb.958:
	s_cmp_eq_u32 s18, 29
	s_mov_b32 s0, -1
	s_cbranch_scc0 .LBB190_960
; %bb.959:
	s_wait_xcnt 0x0
	v_ashrrev_i32_e32 v1, 31, v0
	s_mov_b32 s0, 0
	s_mov_b32 s19, 0
	global_store_b64 v[2:3], v[0:1], off
	s_branch .LBB190_961
.LBB190_960:
	s_mov_b32 s19, 0
.LBB190_961:
	s_delay_alu instid0(SALU_CYCLE_1)
	s_and_b32 vcc_lo, exec_lo, s19
	s_cbranch_vccz .LBB190_976
; %bb.962:
	s_cmp_lt_i32 s18, 27
	s_mov_b32 s19, -1
	s_cbranch_scc1 .LBB190_968
; %bb.963:
	s_cmp_gt_i32 s18, 27
	s_cbranch_scc0 .LBB190_965
; %bb.964:
	s_mov_b32 s19, 0
	global_store_b32 v[2:3], v0, off
.LBB190_965:
	s_and_not1_b32 vcc_lo, exec_lo, s19
	s_cbranch_vccnz .LBB190_967
; %bb.966:
	global_store_b16 v[2:3], v0, off
.LBB190_967:
	s_mov_b32 s19, 0
.LBB190_968:
	s_delay_alu instid0(SALU_CYCLE_1)
	s_and_not1_b32 vcc_lo, exec_lo, s19
	s_cbranch_vccnz .LBB190_976
; %bb.969:
	s_wait_xcnt 0x0
	v_cvt_f32_i32_e32 v1, v0
	v_mov_b32_e32 v5, 0x80
	s_mov_b32 s19, exec_lo
	s_delay_alu instid0(VALU_DEP_2) | instskip(NEXT) | instid1(VALU_DEP_1)
	v_and_b32_e32 v4, 0x7fffffff, v1
	v_cmpx_gt_u32_e32 0x43800000, v4
	s_cbranch_execz .LBB190_975
; %bb.970:
	v_cmp_lt_u32_e32 vcc_lo, 0x3bffffff, v4
	s_mov_b32 s20, 0
                                        ; implicit-def: $vgpr4
	s_and_saveexec_b32 s21, vcc_lo
	s_delay_alu instid0(SALU_CYCLE_1)
	s_xor_b32 s21, exec_lo, s21
	s_cbranch_execz .LBB190_1073
; %bb.971:
	v_bfe_u32 v4, v1, 20, 1
	s_mov_b32 s20, exec_lo
	s_delay_alu instid0(VALU_DEP_1) | instskip(NEXT) | instid1(VALU_DEP_1)
	v_add3_u32 v4, v1, v4, 0x487ffff
	v_lshrrev_b32_e32 v4, 20, v4
	s_and_not1_saveexec_b32 s21, s21
	s_cbranch_execnz .LBB190_1074
.LBB190_972:
	s_or_b32 exec_lo, exec_lo, s21
	v_mov_b32_e32 v5, 0
	s_and_saveexec_b32 s21, s20
.LBB190_973:
	v_lshrrev_b32_e32 v1, 24, v1
	s_delay_alu instid0(VALU_DEP_1)
	v_and_or_b32 v5, 0x80, v1, v4
.LBB190_974:
	s_or_b32 exec_lo, exec_lo, s21
.LBB190_975:
	s_delay_alu instid0(SALU_CYCLE_1)
	s_or_b32 exec_lo, exec_lo, s19
	global_store_b8 v[2:3], v5, off
.LBB190_976:
	s_mov_b32 s19, 0
.LBB190_977:
	s_delay_alu instid0(SALU_CYCLE_1)
	s_and_b32 vcc_lo, exec_lo, s19
	s_mov_b32 s19, 0
	s_cbranch_vccz .LBB190_1017
; %bb.978:
	s_cmp_gt_i32 s18, 22
	s_mov_b32 s20, -1
	s_cbranch_scc0 .LBB190_1010
; %bb.979:
	s_cmp_lt_i32 s18, 24
	s_cbranch_scc1 .LBB190_999
; %bb.980:
	s_cmp_gt_i32 s18, 24
	s_cbranch_scc0 .LBB190_988
; %bb.981:
	s_wait_xcnt 0x0
	v_cvt_f32_i32_e32 v1, v0
	v_mov_b32_e32 v5, 0x80
	s_mov_b32 s20, exec_lo
	s_delay_alu instid0(VALU_DEP_2) | instskip(NEXT) | instid1(VALU_DEP_1)
	v_and_b32_e32 v4, 0x7fffffff, v1
	v_cmpx_gt_u32_e32 0x47800000, v4
	s_cbranch_execz .LBB190_987
; %bb.982:
	v_cmp_lt_u32_e32 vcc_lo, 0x37ffffff, v4
	s_mov_b32 s21, 0
                                        ; implicit-def: $vgpr4
	s_and_saveexec_b32 s22, vcc_lo
	s_delay_alu instid0(SALU_CYCLE_1)
	s_xor_b32 s22, exec_lo, s22
	s_cbranch_execz .LBB190_1204
; %bb.983:
	v_bfe_u32 v4, v1, 21, 1
	s_mov_b32 s21, exec_lo
	s_delay_alu instid0(VALU_DEP_1) | instskip(NEXT) | instid1(VALU_DEP_1)
	v_add3_u32 v4, v1, v4, 0x88fffff
	v_lshrrev_b32_e32 v4, 21, v4
	s_and_not1_saveexec_b32 s22, s22
	s_cbranch_execnz .LBB190_1205
.LBB190_984:
	s_or_b32 exec_lo, exec_lo, s22
	v_mov_b32_e32 v5, 0
	s_and_saveexec_b32 s22, s21
.LBB190_985:
	v_lshrrev_b32_e32 v1, 24, v1
	s_delay_alu instid0(VALU_DEP_1)
	v_and_or_b32 v5, 0x80, v1, v4
.LBB190_986:
	s_or_b32 exec_lo, exec_lo, s22
.LBB190_987:
	s_delay_alu instid0(SALU_CYCLE_1)
	s_or_b32 exec_lo, exec_lo, s20
	s_mov_b32 s20, 0
	global_store_b8 v[2:3], v5, off
.LBB190_988:
	s_and_b32 vcc_lo, exec_lo, s20
	s_cbranch_vccz .LBB190_998
; %bb.989:
	s_wait_xcnt 0x0
	v_cvt_f32_i32_e32 v1, v0
	s_mov_b32 s20, exec_lo
                                        ; implicit-def: $vgpr4
	s_delay_alu instid0(VALU_DEP_1) | instskip(NEXT) | instid1(VALU_DEP_1)
	v_and_b32_e32 v5, 0x7fffffff, v1
	v_cmpx_gt_u32_e32 0x43f00000, v5
	s_xor_b32 s20, exec_lo, s20
	s_cbranch_execz .LBB190_995
; %bb.990:
	s_mov_b32 s21, exec_lo
                                        ; implicit-def: $vgpr4
	v_cmpx_lt_u32_e32 0x3c7fffff, v5
	s_xor_b32 s21, exec_lo, s21
; %bb.991:
	v_bfe_u32 v4, v1, 20, 1
	s_delay_alu instid0(VALU_DEP_1) | instskip(NEXT) | instid1(VALU_DEP_1)
	v_add3_u32 v4, v1, v4, 0x407ffff
	v_and_b32_e32 v5, 0xff00000, v4
	v_lshrrev_b32_e32 v4, 20, v4
	s_delay_alu instid0(VALU_DEP_2) | instskip(NEXT) | instid1(VALU_DEP_2)
	v_cmp_ne_u32_e32 vcc_lo, 0x7f00000, v5
	v_cndmask_b32_e32 v4, 0x7e, v4, vcc_lo
; %bb.992:
	s_and_not1_saveexec_b32 s21, s21
; %bb.993:
	v_add_f32_e64 v4, 0x46800000, |v1|
; %bb.994:
	s_or_b32 exec_lo, exec_lo, s21
                                        ; implicit-def: $vgpr5
.LBB190_995:
	s_and_not1_saveexec_b32 s20, s20
; %bb.996:
	v_mov_b32_e32 v4, 0x7f
	v_cmp_lt_u32_e32 vcc_lo, 0x7f800000, v5
	s_delay_alu instid0(VALU_DEP_2)
	v_cndmask_b32_e32 v4, 0x7e, v4, vcc_lo
; %bb.997:
	s_or_b32 exec_lo, exec_lo, s20
	v_lshrrev_b32_e32 v1, 24, v1
	s_delay_alu instid0(VALU_DEP_1)
	v_and_or_b32 v1, 0x80, v1, v4
	global_store_b8 v[2:3], v1, off
.LBB190_998:
	s_mov_b32 s20, 0
.LBB190_999:
	s_delay_alu instid0(SALU_CYCLE_1)
	s_and_not1_b32 vcc_lo, exec_lo, s20
	s_cbranch_vccnz .LBB190_1009
; %bb.1000:
	s_wait_xcnt 0x0
	v_cvt_f32_i32_e32 v1, v0
	s_mov_b32 s20, exec_lo
                                        ; implicit-def: $vgpr4
	s_delay_alu instid0(VALU_DEP_1) | instskip(NEXT) | instid1(VALU_DEP_1)
	v_and_b32_e32 v5, 0x7fffffff, v1
	v_cmpx_gt_u32_e32 0x47800000, v5
	s_xor_b32 s20, exec_lo, s20
	s_cbranch_execz .LBB190_1006
; %bb.1001:
	s_mov_b32 s21, exec_lo
                                        ; implicit-def: $vgpr4
	v_cmpx_lt_u32_e32 0x387fffff, v5
	s_xor_b32 s21, exec_lo, s21
; %bb.1002:
	v_bfe_u32 v4, v1, 21, 1
	s_delay_alu instid0(VALU_DEP_1) | instskip(NEXT) | instid1(VALU_DEP_1)
	v_add3_u32 v4, v1, v4, 0x80fffff
	v_lshrrev_b32_e32 v4, 21, v4
; %bb.1003:
	s_and_not1_saveexec_b32 s21, s21
; %bb.1004:
	v_add_f32_e64 v4, 0x43000000, |v1|
; %bb.1005:
	s_or_b32 exec_lo, exec_lo, s21
                                        ; implicit-def: $vgpr5
.LBB190_1006:
	s_and_not1_saveexec_b32 s20, s20
; %bb.1007:
	v_mov_b32_e32 v4, 0x7f
	v_cmp_lt_u32_e32 vcc_lo, 0x7f800000, v5
	s_delay_alu instid0(VALU_DEP_2)
	v_cndmask_b32_e32 v4, 0x7c, v4, vcc_lo
; %bb.1008:
	s_or_b32 exec_lo, exec_lo, s20
	v_lshrrev_b32_e32 v1, 24, v1
	s_delay_alu instid0(VALU_DEP_1)
	v_and_or_b32 v1, 0x80, v1, v4
	global_store_b8 v[2:3], v1, off
.LBB190_1009:
	s_mov_b32 s20, 0
.LBB190_1010:
	s_delay_alu instid0(SALU_CYCLE_1)
	s_and_not1_b32 vcc_lo, exec_lo, s20
	s_mov_b32 s20, 0
	s_cbranch_vccnz .LBB190_1018
; %bb.1011:
	s_cmp_gt_i32 s18, 14
	s_mov_b32 s20, -1
	s_cbranch_scc0 .LBB190_1015
; %bb.1012:
	s_cmp_eq_u32 s18, 15
	s_mov_b32 s0, -1
	s_cbranch_scc0 .LBB190_1014
; %bb.1013:
	s_wait_xcnt 0x0
	v_cvt_f32_i32_e32 v1, v0
	s_mov_b32 s0, 0
	s_delay_alu instid0(VALU_DEP_1) | instskip(NEXT) | instid1(VALU_DEP_1)
	v_bfe_u32 v4, v1, 16, 1
	v_add3_u32 v1, v1, v4, 0x7fff
	global_store_d16_hi_b16 v[2:3], v1, off
.LBB190_1014:
	s_mov_b32 s20, 0
.LBB190_1015:
	s_delay_alu instid0(SALU_CYCLE_1)
	s_and_b32 vcc_lo, exec_lo, s20
	s_mov_b32 s20, 0
	s_cbranch_vccz .LBB190_1018
; %bb.1016:
	s_cmp_lg_u32 s18, 11
	s_mov_b32 s20, -1
	s_cselect_b32 s18, -1, 0
	s_and_not1_b32 s0, s0, exec_lo
	s_and_b32 s18, s18, exec_lo
	s_delay_alu instid0(SALU_CYCLE_1)
	s_or_b32 s0, s0, s18
	s_branch .LBB190_1018
.LBB190_1017:
	s_mov_b32 s20, 0
.LBB190_1018:
	s_and_not1_b32 s14, s14, exec_lo
	s_and_b32 s0, s0, exec_lo
	s_and_b32 s18, s19, exec_lo
	;; [unrolled: 1-line block ×3, first 2 shown]
	s_or_b32 s14, s14, s0
	s_wait_xcnt 0x0
	s_or_b32 exec_lo, exec_lo, s17
	s_and_saveexec_b32 s0, s14
	s_cbranch_execz .LBB190_933
.LBB190_1019:
	s_or_b32 s15, s15, exec_lo
	s_and_not1_b32 s19, s19, exec_lo
	s_trap 2
	s_or_b32 exec_lo, exec_lo, s0
	s_and_saveexec_b32 s0, s19
	s_delay_alu instid0(SALU_CYCLE_1)
	s_xor_b32 s0, exec_lo, s0
	s_cbranch_execnz .LBB190_934
.LBB190_1020:
	s_or_b32 exec_lo, exec_lo, s0
	s_and_saveexec_b32 s0, s18
	s_delay_alu instid0(SALU_CYCLE_1)
	s_xor_b32 s0, exec_lo, s0
	s_cbranch_execz .LBB190_1058
.LBB190_1021:
	s_sext_i32_i16 s17, s16
	s_mov_b32 s14, -1
	s_cmp_lt_i32 s17, 5
	s_cbranch_scc1 .LBB190_1042
; %bb.1022:
	s_cmp_lt_i32 s17, 8
	s_cbranch_scc1 .LBB190_1032
; %bb.1023:
	;; [unrolled: 3-line block ×3, first 2 shown]
	s_cmp_gt_i32 s17, 9
	s_cbranch_scc0 .LBB190_1026
; %bb.1025:
	s_wait_loadcnt 0x0
	v_cvt_f64_i32_e32 v[4:5], v0
	v_mov_b32_e32 v6, 0
	s_mov_b32 s14, 0
	s_delay_alu instid0(VALU_DEP_1)
	v_mov_b32_e32 v7, v6
	global_store_b128 v[2:3], v[4:7], off
.LBB190_1026:
	s_and_not1_b32 vcc_lo, exec_lo, s14
	s_cbranch_vccnz .LBB190_1028
; %bb.1027:
	s_wait_loadcnt 0x0
	v_cvt_f32_i32_e32 v4, v0
	v_mov_b32_e32 v5, 0
	global_store_b64 v[2:3], v[4:5], off
.LBB190_1028:
	s_mov_b32 s14, 0
.LBB190_1029:
	s_delay_alu instid0(SALU_CYCLE_1)
	s_and_not1_b32 vcc_lo, exec_lo, s14
	s_cbranch_vccnz .LBB190_1031
; %bb.1030:
	v_cvt_f32_i32_e32 v1, v0
	s_delay_alu instid0(VALU_DEP_1) | instskip(NEXT) | instid1(VALU_DEP_1)
	v_cvt_f16_f32_e32 v1, v1
	v_and_b32_e32 v1, 0xffff, v1
	s_wait_loadcnt 0x0
	global_store_b32 v[2:3], v1, off
.LBB190_1031:
	s_mov_b32 s14, 0
.LBB190_1032:
	s_delay_alu instid0(SALU_CYCLE_1)
	s_and_not1_b32 vcc_lo, exec_lo, s14
	s_cbranch_vccnz .LBB190_1041
; %bb.1033:
	s_sext_i32_i16 s17, s16
	s_mov_b32 s14, -1
	s_cmp_lt_i32 s17, 6
	s_cbranch_scc1 .LBB190_1039
; %bb.1034:
	s_cmp_gt_i32 s17, 6
	s_cbranch_scc0 .LBB190_1036
; %bb.1035:
	s_wait_loadcnt 0x0
	v_cvt_f64_i32_e32 v[4:5], v0
	s_mov_b32 s14, 0
	global_store_b64 v[2:3], v[4:5], off
.LBB190_1036:
	s_and_not1_b32 vcc_lo, exec_lo, s14
	s_cbranch_vccnz .LBB190_1038
; %bb.1037:
	s_wait_xcnt 0x0
	v_cvt_f32_i32_e32 v1, v0
	s_wait_loadcnt 0x0
	global_store_b32 v[2:3], v1, off
.LBB190_1038:
	s_mov_b32 s14, 0
.LBB190_1039:
	s_delay_alu instid0(SALU_CYCLE_1)
	s_and_not1_b32 vcc_lo, exec_lo, s14
	s_cbranch_vccnz .LBB190_1041
; %bb.1040:
	s_wait_xcnt 0x0
	v_cvt_f32_i32_e32 v1, v0
	s_delay_alu instid0(VALU_DEP_1)
	v_cvt_f16_f32_e32 v1, v1
	s_wait_loadcnt 0x0
	global_store_b16 v[2:3], v1, off
.LBB190_1041:
	s_mov_b32 s14, 0
.LBB190_1042:
	s_delay_alu instid0(SALU_CYCLE_1)
	s_and_not1_b32 vcc_lo, exec_lo, s14
	s_cbranch_vccnz .LBB190_1058
; %bb.1043:
	s_sext_i32_i16 s17, s16
	s_mov_b32 s14, -1
	s_cmp_lt_i32 s17, 2
	s_cbranch_scc1 .LBB190_1053
; %bb.1044:
	s_cmp_lt_i32 s17, 3
	s_cbranch_scc1 .LBB190_1050
; %bb.1045:
	s_cmp_gt_i32 s17, 3
	s_cbranch_scc0 .LBB190_1047
; %bb.1046:
	s_wait_xcnt 0x0
	v_ashrrev_i32_e32 v1, 31, v0
	s_mov_b32 s14, 0
	s_wait_loadcnt 0x0
	global_store_b64 v[2:3], v[0:1], off
.LBB190_1047:
	s_and_not1_b32 vcc_lo, exec_lo, s14
	s_cbranch_vccnz .LBB190_1049
; %bb.1048:
	s_wait_loadcnt 0x0
	global_store_b32 v[2:3], v0, off
.LBB190_1049:
	s_mov_b32 s14, 0
.LBB190_1050:
	s_delay_alu instid0(SALU_CYCLE_1)
	s_and_not1_b32 vcc_lo, exec_lo, s14
	s_cbranch_vccnz .LBB190_1052
; %bb.1051:
	s_wait_loadcnt 0x0
	global_store_b16 v[2:3], v0, off
.LBB190_1052:
	s_mov_b32 s14, 0
.LBB190_1053:
	s_delay_alu instid0(SALU_CYCLE_1)
	s_and_not1_b32 vcc_lo, exec_lo, s14
	s_cbranch_vccnz .LBB190_1058
; %bb.1054:
	s_sext_i32_i16 s14, s16
	s_delay_alu instid0(SALU_CYCLE_1)
	s_cmp_gt_i32 s14, 0
	s_mov_b32 s14, -1
	s_cbranch_scc0 .LBB190_1056
; %bb.1055:
	s_mov_b32 s14, 0
	s_wait_loadcnt 0x0
	global_store_b8 v[2:3], v0, off
.LBB190_1056:
	s_and_not1_b32 vcc_lo, exec_lo, s14
	s_cbranch_vccnz .LBB190_1058
; %bb.1057:
	s_wait_loadcnt 0x0
	global_store_b8 v[2:3], v0, off
.LBB190_1058:
	s_wait_xcnt 0x0
	s_or_b32 exec_lo, exec_lo, s0
	s_delay_alu instid0(SALU_CYCLE_1)
	s_and_b32 s14, s15, exec_lo
                                        ; implicit-def: $vgpr8
.LBB190_1059:
	s_or_saveexec_b32 s13, s13
	s_mov_b32 s0, 0
                                        ; implicit-def: $sgpr15
                                        ; implicit-def: $vgpr0_vgpr1
                                        ; implicit-def: $vgpr2
	s_xor_b32 exec_lo, exec_lo, s13
	s_cbranch_execz .LBB190_1596
; %bb.1060:
	s_wait_loadcnt 0x0
	v_mul_lo_u32 v2, s9, v8
	s_and_b32 s0, 0xffff, s12
	s_delay_alu instid0(SALU_CYCLE_1) | instskip(NEXT) | instid1(VALU_DEP_1)
	s_cmp_lt_i32 s0, 11
	v_ashrrev_i32_e32 v3, 31, v2
	s_delay_alu instid0(VALU_DEP_1)
	v_add_nc_u64_e32 v[0:1], s[6:7], v[2:3]
	s_cbranch_scc1 .LBB190_1067
; %bb.1061:
	s_cmp_gt_i32 s0, 25
	s_mov_b32 s12, 0
	s_cbranch_scc0 .LBB190_1069
; %bb.1062:
	s_cmp_gt_i32 s0, 28
	s_cbranch_scc0 .LBB190_1070
; %bb.1063:
	s_cmp_gt_i32 s0, 43
	;; [unrolled: 3-line block ×3, first 2 shown]
	s_cbranch_scc0 .LBB190_1072
; %bb.1065:
	s_cmp_eq_u32 s0, 46
	s_mov_b32 s16, 0
	s_cbranch_scc0 .LBB190_1075
; %bb.1066:
	global_load_b32 v3, v[0:1], off
	s_mov_b32 s15, -1
	s_wait_loadcnt 0x0
	v_lshlrev_b32_e32 v3, 16, v3
	s_delay_alu instid0(VALU_DEP_1)
	v_cvt_i32_f32_e32 v3, v3
	s_branch .LBB190_1077
.LBB190_1067:
	s_mov_b32 s15, 0
	s_mov_b32 s1, s14
                                        ; implicit-def: $vgpr3
	s_cbranch_execnz .LBB190_1135
.LBB190_1068:
	s_and_not1_b32 vcc_lo, exec_lo, s15
	s_cbranch_vccz .LBB190_1180
	s_branch .LBB190_1594
.LBB190_1069:
	s_mov_b32 s15, 0
                                        ; implicit-def: $vgpr3
	s_cbranch_execnz .LBB190_1102
	s_branch .LBB190_1131
.LBB190_1070:
	s_mov_b32 s15, 0
                                        ; implicit-def: $vgpr3
	s_cbranch_execz .LBB190_1101
	s_branch .LBB190_1086
.LBB190_1071:
	s_mov_b32 s15, 0
                                        ; implicit-def: $vgpr3
	s_cbranch_execnz .LBB190_1082
	s_branch .LBB190_1085
.LBB190_1072:
	s_mov_b32 s16, -1
	s_branch .LBB190_1076
.LBB190_1073:
	s_and_not1_saveexec_b32 s21, s21
	s_cbranch_execz .LBB190_972
.LBB190_1074:
	v_add_f32_e64 v4, 0x46000000, |v1|
	s_and_not1_b32 s20, s20, exec_lo
	s_delay_alu instid0(VALU_DEP_1) | instskip(NEXT) | instid1(VALU_DEP_1)
	v_and_b32_e32 v4, 0xff, v4
	v_cmp_ne_u32_e32 vcc_lo, 0, v4
	s_and_b32 s22, vcc_lo, exec_lo
	s_delay_alu instid0(SALU_CYCLE_1)
	s_or_b32 s20, s20, s22
	s_or_b32 exec_lo, exec_lo, s21
	v_mov_b32_e32 v5, 0
	s_and_saveexec_b32 s21, s20
	s_cbranch_execnz .LBB190_973
	s_branch .LBB190_974
.LBB190_1075:
	s_mov_b32 s1, -1
.LBB190_1076:
	s_mov_b32 s15, 0
                                        ; implicit-def: $vgpr3
.LBB190_1077:
	s_and_b32 vcc_lo, exec_lo, s16
	s_cbranch_vccz .LBB190_1080
; %bb.1078:
	s_cmp_eq_u32 s0, 44
	s_cbranch_scc0 .LBB190_1081
; %bb.1079:
	global_load_u8 v3, v[0:1], off
	s_mov_b32 s1, 0
	s_mov_b32 s15, -1
	s_wait_loadcnt 0x0
	v_lshlrev_b32_e32 v4, 23, v3
	v_cmp_ne_u32_e32 vcc_lo, 0, v3
	s_delay_alu instid0(VALU_DEP_2) | instskip(NEXT) | instid1(VALU_DEP_1)
	v_cvt_i32_f32_e32 v4, v4
	v_cndmask_b32_e32 v3, 0, v4, vcc_lo
.LBB190_1080:
	s_branch .LBB190_1085
.LBB190_1081:
	s_mov_b32 s1, -1
                                        ; implicit-def: $vgpr3
	s_branch .LBB190_1085
.LBB190_1082:
	s_cmp_eq_u32 s0, 29
	s_cbranch_scc0 .LBB190_1084
; %bb.1083:
	global_load_b32 v3, v[0:1], off
	s_mov_b32 s1, 0
	s_mov_b32 s15, -1
	s_branch .LBB190_1085
.LBB190_1084:
	s_mov_b32 s1, -1
                                        ; implicit-def: $vgpr3
.LBB190_1085:
	s_branch .LBB190_1101
.LBB190_1086:
	s_cmp_lt_i32 s0, 27
	s_cbranch_scc1 .LBB190_1089
; %bb.1087:
	s_cmp_gt_i32 s0, 27
	s_cbranch_scc0 .LBB190_1090
; %bb.1088:
	s_wait_loadcnt 0x0
	global_load_b32 v3, v[0:1], off
	s_mov_b32 s15, 0
	s_branch .LBB190_1091
.LBB190_1089:
	s_mov_b32 s15, -1
                                        ; implicit-def: $vgpr3
	s_branch .LBB190_1094
.LBB190_1090:
	s_mov_b32 s15, -1
                                        ; implicit-def: $vgpr3
.LBB190_1091:
	s_delay_alu instid0(SALU_CYCLE_1)
	s_and_not1_b32 vcc_lo, exec_lo, s15
	s_cbranch_vccnz .LBB190_1093
; %bb.1092:
	s_wait_loadcnt 0x0
	global_load_u16 v3, v[0:1], off
.LBB190_1093:
	s_mov_b32 s15, 0
.LBB190_1094:
	s_delay_alu instid0(SALU_CYCLE_1)
	s_and_not1_b32 vcc_lo, exec_lo, s15
	s_cbranch_vccnz .LBB190_1100
; %bb.1095:
	global_load_u8 v4, v[0:1], off
	s_mov_b32 s16, 0
	s_mov_b32 s15, exec_lo
	s_wait_loadcnt 0x0
	v_cmpx_lt_i16_e32 0x7f, v4
	s_xor_b32 s15, exec_lo, s15
	s_cbranch_execz .LBB190_1111
; %bb.1096:
	v_cmp_ne_u16_e32 vcc_lo, 0x80, v4
	s_and_b32 s16, vcc_lo, exec_lo
	s_and_not1_saveexec_b32 s15, s15
	s_cbranch_execnz .LBB190_1112
.LBB190_1097:
	s_or_b32 exec_lo, exec_lo, s15
	v_mov_b32_e32 v3, 0
	s_and_saveexec_b32 s15, s16
	s_cbranch_execz .LBB190_1099
.LBB190_1098:
	v_and_b32_e32 v3, 0xffff, v4
	s_delay_alu instid0(VALU_DEP_1) | instskip(SKIP_1) | instid1(VALU_DEP_2)
	v_and_b32_e32 v5, 7, v3
	v_bfe_u32 v9, v3, 3, 4
	v_clz_i32_u32_e32 v6, v5
	s_delay_alu instid0(VALU_DEP_2) | instskip(NEXT) | instid1(VALU_DEP_2)
	v_cmp_eq_u32_e32 vcc_lo, 0, v9
	v_min_u32_e32 v6, 32, v6
	s_delay_alu instid0(VALU_DEP_1) | instskip(NEXT) | instid1(VALU_DEP_1)
	v_subrev_nc_u32_e32 v7, 28, v6
	v_dual_lshlrev_b32 v3, v7, v3 :: v_dual_sub_nc_u32 v6, 29, v6
	s_delay_alu instid0(VALU_DEP_1) | instskip(NEXT) | instid1(VALU_DEP_2)
	v_dual_lshlrev_b32 v4, 24, v4 :: v_dual_bitop2_b32 v3, 7, v3 bitop3:0x40
	v_cndmask_b32_e32 v6, v9, v6, vcc_lo
	s_delay_alu instid0(VALU_DEP_2) | instskip(NEXT) | instid1(VALU_DEP_3)
	v_cndmask_b32_e32 v3, v5, v3, vcc_lo
	v_and_b32_e32 v4, 0x80000000, v4
	s_delay_alu instid0(VALU_DEP_3) | instskip(NEXT) | instid1(VALU_DEP_3)
	v_lshl_add_u32 v5, v6, 23, 0x3b800000
	v_lshlrev_b32_e32 v3, 20, v3
	s_delay_alu instid0(VALU_DEP_1) | instskip(NEXT) | instid1(VALU_DEP_1)
	v_or3_b32 v3, v4, v5, v3
	v_cvt_i32_f32_e32 v3, v3
.LBB190_1099:
	s_or_b32 exec_lo, exec_lo, s15
.LBB190_1100:
	s_mov_b32 s15, -1
.LBB190_1101:
	s_branch .LBB190_1131
.LBB190_1102:
	s_cmp_gt_i32 s0, 22
	s_cbranch_scc0 .LBB190_1110
; %bb.1103:
	s_cmp_lt_i32 s0, 24
	s_cbranch_scc1 .LBB190_1113
; %bb.1104:
	s_cmp_gt_i32 s0, 24
	s_cbranch_scc0 .LBB190_1114
; %bb.1105:
	global_load_u8 v4, v[0:1], off
	s_mov_b32 s15, 0
	s_mov_b32 s12, exec_lo
	s_wait_loadcnt 0x0
	v_cmpx_lt_i16_e32 0x7f, v4
	s_xor_b32 s12, exec_lo, s12
	s_cbranch_execz .LBB190_1125
; %bb.1106:
	v_cmp_ne_u16_e32 vcc_lo, 0x80, v4
	s_and_b32 s15, vcc_lo, exec_lo
	s_and_not1_saveexec_b32 s12, s12
	s_cbranch_execnz .LBB190_1126
.LBB190_1107:
	s_or_b32 exec_lo, exec_lo, s12
	v_mov_b32_e32 v3, 0
	s_and_saveexec_b32 s12, s15
	s_cbranch_execz .LBB190_1109
.LBB190_1108:
	v_and_b32_e32 v3, 0xffff, v4
	s_delay_alu instid0(VALU_DEP_1) | instskip(SKIP_1) | instid1(VALU_DEP_2)
	v_and_b32_e32 v5, 3, v3
	v_bfe_u32 v9, v3, 2, 5
	v_clz_i32_u32_e32 v6, v5
	s_delay_alu instid0(VALU_DEP_2) | instskip(NEXT) | instid1(VALU_DEP_2)
	v_cmp_eq_u32_e32 vcc_lo, 0, v9
	v_min_u32_e32 v6, 32, v6
	s_delay_alu instid0(VALU_DEP_1) | instskip(NEXT) | instid1(VALU_DEP_1)
	v_subrev_nc_u32_e32 v7, 29, v6
	v_dual_lshlrev_b32 v3, v7, v3 :: v_dual_sub_nc_u32 v6, 30, v6
	s_delay_alu instid0(VALU_DEP_1) | instskip(NEXT) | instid1(VALU_DEP_2)
	v_dual_lshlrev_b32 v4, 24, v4 :: v_dual_bitop2_b32 v3, 3, v3 bitop3:0x40
	v_cndmask_b32_e32 v6, v9, v6, vcc_lo
	s_delay_alu instid0(VALU_DEP_2) | instskip(NEXT) | instid1(VALU_DEP_3)
	v_cndmask_b32_e32 v3, v5, v3, vcc_lo
	v_and_b32_e32 v4, 0x80000000, v4
	s_delay_alu instid0(VALU_DEP_3) | instskip(NEXT) | instid1(VALU_DEP_3)
	v_lshl_add_u32 v5, v6, 23, 0x37800000
	v_lshlrev_b32_e32 v3, 21, v3
	s_delay_alu instid0(VALU_DEP_1) | instskip(NEXT) | instid1(VALU_DEP_1)
	v_or3_b32 v3, v4, v5, v3
	v_cvt_i32_f32_e32 v3, v3
.LBB190_1109:
	s_or_b32 exec_lo, exec_lo, s12
	s_mov_b32 s12, 0
	s_branch .LBB190_1115
.LBB190_1110:
                                        ; implicit-def: $vgpr3
	s_mov_b32 s12, 0
	s_branch .LBB190_1121
.LBB190_1111:
	s_and_not1_saveexec_b32 s15, s15
	s_cbranch_execz .LBB190_1097
.LBB190_1112:
	v_cmp_ne_u16_e32 vcc_lo, 0, v4
	s_and_not1_b32 s16, s16, exec_lo
	s_and_b32 s17, vcc_lo, exec_lo
	s_delay_alu instid0(SALU_CYCLE_1)
	s_or_b32 s16, s16, s17
	s_or_b32 exec_lo, exec_lo, s15
	v_mov_b32_e32 v3, 0
	s_and_saveexec_b32 s15, s16
	s_cbranch_execnz .LBB190_1098
	s_branch .LBB190_1099
.LBB190_1113:
	s_mov_b32 s12, -1
                                        ; implicit-def: $vgpr3
	s_branch .LBB190_1118
.LBB190_1114:
	s_mov_b32 s12, -1
                                        ; implicit-def: $vgpr3
.LBB190_1115:
	s_delay_alu instid0(SALU_CYCLE_1)
	s_and_b32 vcc_lo, exec_lo, s12
	s_cbranch_vccz .LBB190_1117
; %bb.1116:
	s_wait_loadcnt 0x0
	global_load_u8 v3, v[0:1], off
	s_wait_loadcnt 0x0
	v_lshlrev_b32_e32 v3, 24, v3
	s_delay_alu instid0(VALU_DEP_1) | instskip(NEXT) | instid1(VALU_DEP_1)
	v_and_b32_e32 v4, 0x7f000000, v3
	v_clz_i32_u32_e32 v5, v4
	v_cmp_ne_u32_e32 vcc_lo, 0, v4
	v_add_nc_u32_e32 v7, 0x1000000, v4
	s_delay_alu instid0(VALU_DEP_3) | instskip(NEXT) | instid1(VALU_DEP_1)
	v_min_u32_e32 v5, 32, v5
	v_sub_nc_u32_e64 v5, v5, 4 clamp
	s_delay_alu instid0(VALU_DEP_1) | instskip(NEXT) | instid1(VALU_DEP_1)
	v_dual_lshlrev_b32 v6, v5, v4 :: v_dual_lshlrev_b32 v5, 23, v5
	v_lshrrev_b32_e32 v6, 4, v6
	s_delay_alu instid0(VALU_DEP_1) | instskip(NEXT) | instid1(VALU_DEP_1)
	v_dual_sub_nc_u32 v5, v6, v5 :: v_dual_ashrrev_i32 v6, 8, v7
	v_add_nc_u32_e32 v5, 0x3c000000, v5
	s_delay_alu instid0(VALU_DEP_1) | instskip(NEXT) | instid1(VALU_DEP_1)
	v_and_or_b32 v5, 0x7f800000, v6, v5
	v_cndmask_b32_e32 v4, 0, v5, vcc_lo
	s_delay_alu instid0(VALU_DEP_1) | instskip(NEXT) | instid1(VALU_DEP_1)
	v_and_or_b32 v3, 0x80000000, v3, v4
	v_cvt_i32_f32_e32 v3, v3
.LBB190_1117:
	s_mov_b32 s12, 0
.LBB190_1118:
	s_delay_alu instid0(SALU_CYCLE_1)
	s_and_not1_b32 vcc_lo, exec_lo, s12
	s_cbranch_vccnz .LBB190_1120
; %bb.1119:
	s_wait_loadcnt 0x0
	global_load_u8 v3, v[0:1], off
	s_wait_loadcnt 0x0
	v_lshlrev_b32_e32 v4, 25, v3
	v_lshlrev_b16 v3, 8, v3
	s_delay_alu instid0(VALU_DEP_1) | instskip(SKIP_1) | instid1(VALU_DEP_2)
	v_and_or_b32 v6, 0x7f00, v3, 0.5
	v_bfe_i32 v3, v3, 0, 16
	v_dual_add_f32 v6, -0.5, v6 :: v_dual_lshrrev_b32 v5, 4, v4
	v_cmp_gt_u32_e32 vcc_lo, 0x8000000, v4
	s_delay_alu instid0(VALU_DEP_2) | instskip(NEXT) | instid1(VALU_DEP_1)
	v_or_b32_e32 v5, 0x70000000, v5
	v_mul_f32_e32 v5, 0x7800000, v5
	s_delay_alu instid0(VALU_DEP_1) | instskip(NEXT) | instid1(VALU_DEP_1)
	v_cndmask_b32_e32 v4, v5, v6, vcc_lo
	v_and_or_b32 v3, 0x80000000, v3, v4
	s_delay_alu instid0(VALU_DEP_1)
	v_cvt_i32_f32_e32 v3, v3
.LBB190_1120:
	s_mov_b32 s15, -1
	s_mov_b32 s12, 0
	s_cbranch_execnz .LBB190_1131
.LBB190_1121:
	s_cmp_gt_i32 s0, 14
	s_cbranch_scc0 .LBB190_1124
; %bb.1122:
	s_cmp_eq_u32 s0, 15
	s_cbranch_scc0 .LBB190_1127
; %bb.1123:
	s_wait_loadcnt 0x0
	global_load_u16 v3, v[0:1], off
	s_mov_b32 s1, 0
	s_mov_b32 s15, -1
	s_wait_loadcnt 0x0
	v_lshlrev_b32_e32 v3, 16, v3
	s_delay_alu instid0(VALU_DEP_1)
	v_cvt_i32_f32_e32 v3, v3
	s_branch .LBB190_1129
.LBB190_1124:
	s_mov_b32 s12, -1
	s_branch .LBB190_1128
.LBB190_1125:
	s_and_not1_saveexec_b32 s12, s12
	s_cbranch_execz .LBB190_1107
.LBB190_1126:
	v_cmp_ne_u16_e32 vcc_lo, 0, v4
	s_and_not1_b32 s15, s15, exec_lo
	s_and_b32 s16, vcc_lo, exec_lo
	s_delay_alu instid0(SALU_CYCLE_1)
	s_or_b32 s15, s15, s16
	s_or_b32 exec_lo, exec_lo, s12
	v_mov_b32_e32 v3, 0
	s_and_saveexec_b32 s12, s15
	s_cbranch_execnz .LBB190_1108
	s_branch .LBB190_1109
.LBB190_1127:
	s_mov_b32 s1, -1
.LBB190_1128:
                                        ; implicit-def: $vgpr3
.LBB190_1129:
	s_and_b32 vcc_lo, exec_lo, s12
	s_mov_b32 s12, 0
	s_cbranch_vccz .LBB190_1131
; %bb.1130:
	s_cmp_lg_u32 s0, 11
	s_mov_b32 s12, -1
	s_cselect_b32 s1, -1, 0
.LBB190_1131:
	s_delay_alu instid0(SALU_CYCLE_1)
	s_and_b32 vcc_lo, exec_lo, s1
	s_mov_b32 s1, s14
	s_cbranch_vccnz .LBB190_1202
; %bb.1132:
	s_and_not1_b32 vcc_lo, exec_lo, s12
	s_cbranch_vccnz .LBB190_1134
.LBB190_1133:
	s_wait_loadcnt 0x0
	global_load_u8 v3, v[0:1], off
	s_mov_b32 s15, -1
	s_wait_loadcnt 0x0
	v_cmp_ne_u16_e32 vcc_lo, 0, v3
	v_cndmask_b32_e64 v3, 0, 1, vcc_lo
.LBB190_1134:
	s_branch .LBB190_1068
.LBB190_1135:
	s_cmp_lt_i32 s0, 5
	s_cbranch_scc1 .LBB190_1140
; %bb.1136:
	s_cmp_lt_i32 s0, 8
	s_cbranch_scc1 .LBB190_1141
; %bb.1137:
	;; [unrolled: 3-line block ×3, first 2 shown]
	s_cmp_gt_i32 s0, 9
	s_cbranch_scc0 .LBB190_1143
; %bb.1139:
	global_load_b64 v[4:5], v[0:1], off
	s_mov_b32 s12, 0
	s_wait_loadcnt 0x0
	v_cvt_i32_f64_e32 v3, v[4:5]
	s_branch .LBB190_1144
.LBB190_1140:
                                        ; implicit-def: $vgpr3
	s_branch .LBB190_1161
.LBB190_1141:
                                        ; implicit-def: $vgpr3
	s_branch .LBB190_1150
.LBB190_1142:
	s_mov_b32 s12, -1
                                        ; implicit-def: $vgpr3
	s_branch .LBB190_1147
.LBB190_1143:
	s_mov_b32 s12, -1
                                        ; implicit-def: $vgpr3
.LBB190_1144:
	s_delay_alu instid0(SALU_CYCLE_1)
	s_and_not1_b32 vcc_lo, exec_lo, s12
	s_cbranch_vccnz .LBB190_1146
; %bb.1145:
	s_wait_loadcnt 0x0
	global_load_b32 v3, v[0:1], off
	s_wait_loadcnt 0x0
	v_cvt_i32_f32_e32 v3, v3
.LBB190_1146:
	s_mov_b32 s12, 0
.LBB190_1147:
	s_delay_alu instid0(SALU_CYCLE_1)
	s_and_not1_b32 vcc_lo, exec_lo, s12
	s_cbranch_vccnz .LBB190_1149
; %bb.1148:
	s_wait_loadcnt 0x0
	global_load_b32 v3, v[0:1], off
	s_wait_loadcnt 0x0
	v_cvt_f32_f16_e32 v3, v3
	s_delay_alu instid0(VALU_DEP_1)
	v_cvt_i32_f32_e32 v3, v3
.LBB190_1149:
	s_cbranch_execnz .LBB190_1160
.LBB190_1150:
	s_cmp_lt_i32 s0, 6
	s_cbranch_scc1 .LBB190_1153
; %bb.1151:
	s_cmp_gt_i32 s0, 6
	s_cbranch_scc0 .LBB190_1154
; %bb.1152:
	global_load_b64 v[4:5], v[0:1], off
	s_mov_b32 s12, 0
	s_wait_loadcnt 0x0
	v_cvt_i32_f64_e32 v3, v[4:5]
	s_branch .LBB190_1155
.LBB190_1153:
	s_mov_b32 s12, -1
                                        ; implicit-def: $vgpr3
	s_branch .LBB190_1158
.LBB190_1154:
	s_mov_b32 s12, -1
                                        ; implicit-def: $vgpr3
.LBB190_1155:
	s_delay_alu instid0(SALU_CYCLE_1)
	s_and_not1_b32 vcc_lo, exec_lo, s12
	s_cbranch_vccnz .LBB190_1157
; %bb.1156:
	s_wait_loadcnt 0x0
	global_load_b32 v3, v[0:1], off
	s_wait_loadcnt 0x0
	v_cvt_i32_f32_e32 v3, v3
.LBB190_1157:
	s_mov_b32 s12, 0
.LBB190_1158:
	s_delay_alu instid0(SALU_CYCLE_1)
	s_and_not1_b32 vcc_lo, exec_lo, s12
	s_cbranch_vccnz .LBB190_1160
; %bb.1159:
	s_wait_loadcnt 0x0
	global_load_u16 v3, v[0:1], off
	s_wait_loadcnt 0x0
	v_cvt_f32_f16_e32 v3, v3
	s_delay_alu instid0(VALU_DEP_1)
	v_cvt_i32_f32_e32 v3, v3
.LBB190_1160:
	s_cbranch_execnz .LBB190_1179
.LBB190_1161:
	s_cmp_lt_i32 s0, 2
	s_cbranch_scc1 .LBB190_1165
; %bb.1162:
	s_cmp_lt_i32 s0, 3
	s_cbranch_scc1 .LBB190_1166
; %bb.1163:
	s_cmp_gt_i32 s0, 3
	s_cbranch_scc0 .LBB190_1167
; %bb.1164:
	s_wait_loadcnt 0x0
	global_load_b32 v3, v[0:1], off
	s_mov_b32 s12, 0
	s_branch .LBB190_1168
.LBB190_1165:
                                        ; implicit-def: $vgpr3
	s_branch .LBB190_1174
.LBB190_1166:
	s_mov_b32 s12, -1
                                        ; implicit-def: $vgpr3
	s_branch .LBB190_1171
.LBB190_1167:
	s_mov_b32 s12, -1
                                        ; implicit-def: $vgpr3
.LBB190_1168:
	s_delay_alu instid0(SALU_CYCLE_1)
	s_and_not1_b32 vcc_lo, exec_lo, s12
	s_cbranch_vccnz .LBB190_1170
; %bb.1169:
	s_wait_loadcnt 0x0
	global_load_b32 v3, v[0:1], off
.LBB190_1170:
	s_mov_b32 s12, 0
.LBB190_1171:
	s_delay_alu instid0(SALU_CYCLE_1)
	s_and_not1_b32 vcc_lo, exec_lo, s12
	s_cbranch_vccnz .LBB190_1173
; %bb.1172:
	s_wait_loadcnt 0x0
	global_load_i16 v3, v[0:1], off
.LBB190_1173:
	s_cbranch_execnz .LBB190_1179
.LBB190_1174:
	s_cmp_gt_i32 s0, 0
	s_mov_b32 s12, 0
	s_cbranch_scc0 .LBB190_1176
; %bb.1175:
	s_wait_loadcnt 0x0
	global_load_i8 v3, v[0:1], off
	s_branch .LBB190_1177
.LBB190_1176:
	s_mov_b32 s12, -1
                                        ; implicit-def: $vgpr3
.LBB190_1177:
	s_delay_alu instid0(SALU_CYCLE_1)
	s_and_not1_b32 vcc_lo, exec_lo, s12
	s_cbranch_vccnz .LBB190_1179
; %bb.1178:
	s_wait_loadcnt 0x0
	global_load_u8 v3, v[0:1], off
.LBB190_1179:
.LBB190_1180:
	s_cmp_lt_i32 s10, 1
	s_mov_b32 s12, 0
	s_cbranch_scc1 .LBB190_1183
; %bb.1181:
	s_cmp_eq_u32 s10, 1
	s_cbranch_scc0 .LBB190_1198
; %bb.1182:
	s_wait_loadcnt 0x0
	s_delay_alu instid0(VALU_DEP_1)
	v_min_i32_e32 v0, s11, v3
	s_mov_b32 s15, 0
	s_branch .LBB190_1185
.LBB190_1183:
	s_mov_b32 s15, 0
                                        ; implicit-def: $vgpr0
	s_cbranch_execz .LBB190_1185
; %bb.1184:
	s_cmp_lg_u32 s10, 0
	s_mov_b32 s12, -1
	s_cselect_b32 s15, -1, 0
.LBB190_1185:
	s_delay_alu instid0(SALU_CYCLE_1)
	s_and_not1_b32 vcc_lo, exec_lo, s15
	s_cbranch_vccnz .LBB190_1187
; %bb.1186:
	s_wait_loadcnt 0x0
	s_delay_alu instid0(VALU_DEP_1)
	v_maxmin_i32 v0, v3, s11, s2
	s_cbranch_execz .LBB190_1188
	s_branch .LBB190_1189
.LBB190_1187:
	s_and_not1_b32 vcc_lo, exec_lo, s12
	s_cbranch_vccnz .LBB190_1189
.LBB190_1188:
	s_wait_loadcnt 0x0
	s_delay_alu instid0(VALU_DEP_1)
	v_max_i32_e32 v0, s11, v3
.LBB190_1189:
	s_lshl_b32 s9, s9, 7
	s_cmp_lt_i32 s0, 11
	v_add_nc_u32_e32 v2, s9, v2
	s_wait_loadcnt 0x0
	s_delay_alu instid0(VALU_DEP_1) | instskip(NEXT) | instid1(VALU_DEP_1)
	v_ashrrev_i32_e32 v3, 31, v2
	v_add_nc_u64_e32 v[4:5], s[6:7], v[2:3]
	s_cbranch_scc1 .LBB190_1196
; %bb.1190:
	s_cmp_gt_i32 s0, 25
	s_mov_b32 s15, 0
	s_cbranch_scc0 .LBB190_1199
; %bb.1191:
	s_cmp_gt_i32 s0, 28
	s_cbranch_scc0 .LBB190_1200
; %bb.1192:
	s_cmp_gt_i32 s0, 43
	;; [unrolled: 3-line block ×3, first 2 shown]
	s_cbranch_scc0 .LBB190_1203
; %bb.1194:
	s_cmp_eq_u32 s0, 46
	s_mov_b32 s17, 0
	s_cbranch_scc0 .LBB190_1206
; %bb.1195:
	global_load_b32 v1, v[4:5], off
	s_mov_b32 s12, 0
	s_mov_b32 s16, -1
	s_wait_loadcnt 0x0
	v_lshlrev_b32_e32 v1, 16, v1
	s_delay_alu instid0(VALU_DEP_1)
	v_cvt_i32_f32_e32 v1, v1
	s_branch .LBB190_1208
.LBB190_1196:
	s_mov_b32 s16, 0
                                        ; implicit-def: $vgpr1
	s_cbranch_execnz .LBB190_1269
.LBB190_1197:
	s_and_not1_b32 vcc_lo, exec_lo, s16
	s_cbranch_vccnz .LBB190_1594
	s_branch .LBB190_1316
.LBB190_1198:
	s_mov_b32 s15, -1
                                        ; implicit-def: $vgpr0
	s_branch .LBB190_1185
.LBB190_1199:
	s_mov_b32 s16, 0
	s_mov_b32 s12, 0
                                        ; implicit-def: $vgpr1
	s_cbranch_execnz .LBB190_1235
	s_branch .LBB190_1265
.LBB190_1200:
	s_mov_b32 s17, -1
	s_mov_b32 s16, 0
	s_mov_b32 s12, 0
                                        ; implicit-def: $vgpr1
	s_branch .LBB190_1218
.LBB190_1201:
	s_mov_b32 s17, -1
	s_mov_b32 s16, 0
	s_mov_b32 s12, 0
                                        ; implicit-def: $vgpr1
	s_branch .LBB190_1213
.LBB190_1202:
	s_or_b32 s1, s14, exec_lo
	s_trap 2
	s_cbranch_execz .LBB190_1133
	s_branch .LBB190_1134
.LBB190_1203:
	s_mov_b32 s17, -1
	s_mov_b32 s16, 0
	s_mov_b32 s12, 0
	s_branch .LBB190_1207
.LBB190_1204:
	s_and_not1_saveexec_b32 s22, s22
	s_cbranch_execz .LBB190_984
.LBB190_1205:
	v_add_f32_e64 v4, 0x42800000, |v1|
	s_and_not1_b32 s21, s21, exec_lo
	s_delay_alu instid0(VALU_DEP_1) | instskip(NEXT) | instid1(VALU_DEP_1)
	v_and_b32_e32 v4, 0xff, v4
	v_cmp_ne_u32_e32 vcc_lo, 0, v4
	s_and_b32 s23, vcc_lo, exec_lo
	s_delay_alu instid0(SALU_CYCLE_1)
	s_or_b32 s21, s21, s23
	s_or_b32 exec_lo, exec_lo, s22
	v_mov_b32_e32 v5, 0
	s_and_saveexec_b32 s22, s21
	s_cbranch_execnz .LBB190_985
	s_branch .LBB190_986
.LBB190_1206:
	s_mov_b32 s12, -1
	s_mov_b32 s16, 0
.LBB190_1207:
                                        ; implicit-def: $vgpr1
.LBB190_1208:
	s_and_b32 vcc_lo, exec_lo, s17
	s_cbranch_vccz .LBB190_1212
; %bb.1209:
	s_cmp_eq_u32 s0, 44
	s_cbranch_scc0 .LBB190_1211
; %bb.1210:
	global_load_u8 v1, v[4:5], off
	s_mov_b32 s12, 0
	s_mov_b32 s16, -1
	s_wait_loadcnt 0x0
	v_lshlrev_b32_e32 v3, 23, v1
	v_cmp_ne_u32_e32 vcc_lo, 0, v1
	s_delay_alu instid0(VALU_DEP_2) | instskip(NEXT) | instid1(VALU_DEP_1)
	v_cvt_i32_f32_e32 v3, v3
	v_cndmask_b32_e32 v1, 0, v3, vcc_lo
	s_branch .LBB190_1212
.LBB190_1211:
	s_mov_b32 s12, -1
                                        ; implicit-def: $vgpr1
.LBB190_1212:
	s_mov_b32 s17, 0
.LBB190_1213:
	s_delay_alu instid0(SALU_CYCLE_1)
	s_and_b32 vcc_lo, exec_lo, s17
	s_cbranch_vccz .LBB190_1217
; %bb.1214:
	s_cmp_eq_u32 s0, 29
	s_cbranch_scc0 .LBB190_1216
; %bb.1215:
	global_load_b32 v1, v[4:5], off
	s_mov_b32 s12, 0
	s_mov_b32 s16, -1
	s_branch .LBB190_1217
.LBB190_1216:
	s_mov_b32 s12, -1
                                        ; implicit-def: $vgpr1
.LBB190_1217:
	s_mov_b32 s17, 0
.LBB190_1218:
	s_delay_alu instid0(SALU_CYCLE_1)
	s_and_b32 vcc_lo, exec_lo, s17
	s_cbranch_vccz .LBB190_1234
; %bb.1219:
	s_cmp_lt_i32 s0, 27
	s_cbranch_scc1 .LBB190_1222
; %bb.1220:
	s_cmp_gt_i32 s0, 27
	s_cbranch_scc0 .LBB190_1223
; %bb.1221:
	s_wait_loadcnt 0x0
	global_load_b32 v1, v[4:5], off
	s_mov_b32 s16, 0
	s_branch .LBB190_1224
.LBB190_1222:
	s_mov_b32 s16, -1
                                        ; implicit-def: $vgpr1
	s_branch .LBB190_1227
.LBB190_1223:
	s_mov_b32 s16, -1
                                        ; implicit-def: $vgpr1
.LBB190_1224:
	s_delay_alu instid0(SALU_CYCLE_1)
	s_and_not1_b32 vcc_lo, exec_lo, s16
	s_cbranch_vccnz .LBB190_1226
; %bb.1225:
	s_wait_loadcnt 0x0
	global_load_u16 v1, v[4:5], off
.LBB190_1226:
	s_mov_b32 s16, 0
.LBB190_1227:
	s_delay_alu instid0(SALU_CYCLE_1)
	s_and_not1_b32 vcc_lo, exec_lo, s16
	s_cbranch_vccnz .LBB190_1233
; %bb.1228:
	global_load_u8 v3, v[4:5], off
	s_mov_b32 s17, 0
	s_mov_b32 s16, exec_lo
	s_wait_loadcnt 0x0
	v_cmpx_lt_i16_e32 0x7f, v3
	s_xor_b32 s16, exec_lo, s16
	s_cbranch_execz .LBB190_1244
; %bb.1229:
	v_cmp_ne_u16_e32 vcc_lo, 0x80, v3
	s_and_b32 s17, vcc_lo, exec_lo
	s_and_not1_saveexec_b32 s16, s16
	s_cbranch_execnz .LBB190_1245
.LBB190_1230:
	s_or_b32 exec_lo, exec_lo, s16
	v_mov_b32_e32 v1, 0
	s_and_saveexec_b32 s16, s17
	s_cbranch_execz .LBB190_1232
.LBB190_1231:
	v_and_b32_e32 v1, 0xffff, v3
	s_delay_alu instid0(VALU_DEP_1) | instskip(SKIP_1) | instid1(VALU_DEP_2)
	v_and_b32_e32 v6, 7, v1
	v_bfe_u32 v10, v1, 3, 4
	v_clz_i32_u32_e32 v7, v6
	s_delay_alu instid0(VALU_DEP_2) | instskip(NEXT) | instid1(VALU_DEP_2)
	v_cmp_eq_u32_e32 vcc_lo, 0, v10
	v_min_u32_e32 v7, 32, v7
	s_delay_alu instid0(VALU_DEP_1) | instskip(NEXT) | instid1(VALU_DEP_1)
	v_subrev_nc_u32_e32 v9, 28, v7
	v_dual_lshlrev_b32 v1, v9, v1 :: v_dual_sub_nc_u32 v7, 29, v7
	s_delay_alu instid0(VALU_DEP_1) | instskip(NEXT) | instid1(VALU_DEP_1)
	v_dual_lshlrev_b32 v3, 24, v3 :: v_dual_bitop2_b32 v1, 7, v1 bitop3:0x40
	v_cndmask_b32_e32 v1, v6, v1, vcc_lo
	s_delay_alu instid0(VALU_DEP_3) | instskip(NEXT) | instid1(VALU_DEP_3)
	v_cndmask_b32_e32 v7, v10, v7, vcc_lo
	v_and_b32_e32 v3, 0x80000000, v3
	s_delay_alu instid0(VALU_DEP_3) | instskip(NEXT) | instid1(VALU_DEP_3)
	v_lshlrev_b32_e32 v1, 20, v1
	v_lshl_add_u32 v6, v7, 23, 0x3b800000
	s_delay_alu instid0(VALU_DEP_1) | instskip(NEXT) | instid1(VALU_DEP_1)
	v_or3_b32 v1, v3, v6, v1
	v_cvt_i32_f32_e32 v1, v1
.LBB190_1232:
	s_or_b32 exec_lo, exec_lo, s16
.LBB190_1233:
	s_mov_b32 s16, -1
.LBB190_1234:
	s_branch .LBB190_1265
.LBB190_1235:
	s_cmp_gt_i32 s0, 22
	s_cbranch_scc0 .LBB190_1243
; %bb.1236:
	s_cmp_lt_i32 s0, 24
	s_cbranch_scc1 .LBB190_1246
; %bb.1237:
	s_cmp_gt_i32 s0, 24
	s_cbranch_scc0 .LBB190_1247
; %bb.1238:
	global_load_u8 v3, v[4:5], off
	s_mov_b32 s16, 0
	s_mov_b32 s15, exec_lo
	s_wait_loadcnt 0x0
	v_cmpx_lt_i16_e32 0x7f, v3
	s_xor_b32 s15, exec_lo, s15
	s_cbranch_execz .LBB190_1259
; %bb.1239:
	v_cmp_ne_u16_e32 vcc_lo, 0x80, v3
	s_and_b32 s16, vcc_lo, exec_lo
	s_and_not1_saveexec_b32 s15, s15
	s_cbranch_execnz .LBB190_1260
.LBB190_1240:
	s_or_b32 exec_lo, exec_lo, s15
	v_mov_b32_e32 v1, 0
	s_and_saveexec_b32 s15, s16
	s_cbranch_execz .LBB190_1242
.LBB190_1241:
	v_and_b32_e32 v1, 0xffff, v3
	s_delay_alu instid0(VALU_DEP_1) | instskip(SKIP_1) | instid1(VALU_DEP_2)
	v_and_b32_e32 v6, 3, v1
	v_bfe_u32 v10, v1, 2, 5
	v_clz_i32_u32_e32 v7, v6
	s_delay_alu instid0(VALU_DEP_2) | instskip(NEXT) | instid1(VALU_DEP_2)
	v_cmp_eq_u32_e32 vcc_lo, 0, v10
	v_min_u32_e32 v7, 32, v7
	s_delay_alu instid0(VALU_DEP_1) | instskip(NEXT) | instid1(VALU_DEP_1)
	v_subrev_nc_u32_e32 v9, 29, v7
	v_dual_lshlrev_b32 v1, v9, v1 :: v_dual_sub_nc_u32 v7, 30, v7
	s_delay_alu instid0(VALU_DEP_1) | instskip(NEXT) | instid1(VALU_DEP_1)
	v_dual_lshlrev_b32 v3, 24, v3 :: v_dual_bitop2_b32 v1, 3, v1 bitop3:0x40
	v_cndmask_b32_e32 v1, v6, v1, vcc_lo
	s_delay_alu instid0(VALU_DEP_3) | instskip(NEXT) | instid1(VALU_DEP_3)
	v_cndmask_b32_e32 v7, v10, v7, vcc_lo
	v_and_b32_e32 v3, 0x80000000, v3
	s_delay_alu instid0(VALU_DEP_3) | instskip(NEXT) | instid1(VALU_DEP_3)
	v_lshlrev_b32_e32 v1, 21, v1
	v_lshl_add_u32 v6, v7, 23, 0x37800000
	s_delay_alu instid0(VALU_DEP_1) | instskip(NEXT) | instid1(VALU_DEP_1)
	v_or3_b32 v1, v3, v6, v1
	v_cvt_i32_f32_e32 v1, v1
.LBB190_1242:
	s_or_b32 exec_lo, exec_lo, s15
	s_mov_b32 s15, 0
	s_branch .LBB190_1248
.LBB190_1243:
	s_mov_b32 s15, -1
                                        ; implicit-def: $vgpr1
	s_branch .LBB190_1254
.LBB190_1244:
	s_and_not1_saveexec_b32 s16, s16
	s_cbranch_execz .LBB190_1230
.LBB190_1245:
	v_cmp_ne_u16_e32 vcc_lo, 0, v3
	s_and_not1_b32 s17, s17, exec_lo
	s_and_b32 s18, vcc_lo, exec_lo
	s_delay_alu instid0(SALU_CYCLE_1)
	s_or_b32 s17, s17, s18
	s_or_b32 exec_lo, exec_lo, s16
	v_mov_b32_e32 v1, 0
	s_and_saveexec_b32 s16, s17
	s_cbranch_execnz .LBB190_1231
	s_branch .LBB190_1232
.LBB190_1246:
	s_mov_b32 s15, -1
                                        ; implicit-def: $vgpr1
	s_branch .LBB190_1251
.LBB190_1247:
	s_mov_b32 s15, -1
                                        ; implicit-def: $vgpr1
.LBB190_1248:
	s_delay_alu instid0(SALU_CYCLE_1)
	s_and_b32 vcc_lo, exec_lo, s15
	s_cbranch_vccz .LBB190_1250
; %bb.1249:
	s_wait_loadcnt 0x0
	global_load_u8 v1, v[4:5], off
	s_wait_loadcnt 0x0
	v_lshlrev_b32_e32 v1, 24, v1
	s_delay_alu instid0(VALU_DEP_1) | instskip(NEXT) | instid1(VALU_DEP_1)
	v_and_b32_e32 v3, 0x7f000000, v1
	v_clz_i32_u32_e32 v6, v3
	v_add_nc_u32_e32 v9, 0x1000000, v3
	v_cmp_ne_u32_e32 vcc_lo, 0, v3
	s_delay_alu instid0(VALU_DEP_3) | instskip(NEXT) | instid1(VALU_DEP_1)
	v_min_u32_e32 v6, 32, v6
	v_sub_nc_u32_e64 v6, v6, 4 clamp
	s_delay_alu instid0(VALU_DEP_1) | instskip(NEXT) | instid1(VALU_DEP_1)
	v_dual_lshlrev_b32 v7, v6, v3 :: v_dual_lshlrev_b32 v6, 23, v6
	v_lshrrev_b32_e32 v7, 4, v7
	s_delay_alu instid0(VALU_DEP_1) | instskip(NEXT) | instid1(VALU_DEP_1)
	v_dual_sub_nc_u32 v6, v7, v6 :: v_dual_ashrrev_i32 v7, 8, v9
	v_add_nc_u32_e32 v6, 0x3c000000, v6
	s_delay_alu instid0(VALU_DEP_1) | instskip(NEXT) | instid1(VALU_DEP_1)
	v_and_or_b32 v6, 0x7f800000, v7, v6
	v_cndmask_b32_e32 v3, 0, v6, vcc_lo
	s_delay_alu instid0(VALU_DEP_1) | instskip(NEXT) | instid1(VALU_DEP_1)
	v_and_or_b32 v1, 0x80000000, v1, v3
	v_cvt_i32_f32_e32 v1, v1
.LBB190_1250:
	s_mov_b32 s15, 0
.LBB190_1251:
	s_delay_alu instid0(SALU_CYCLE_1)
	s_and_not1_b32 vcc_lo, exec_lo, s15
	s_cbranch_vccnz .LBB190_1253
; %bb.1252:
	s_wait_loadcnt 0x0
	global_load_u8 v1, v[4:5], off
	s_wait_loadcnt 0x0
	v_lshlrev_b32_e32 v3, 25, v1
	v_lshlrev_b16 v1, 8, v1
	s_delay_alu instid0(VALU_DEP_1) | instskip(SKIP_1) | instid1(VALU_DEP_2)
	v_and_or_b32 v7, 0x7f00, v1, 0.5
	v_bfe_i32 v1, v1, 0, 16
	v_add_f32_e32 v7, -0.5, v7
	v_lshrrev_b32_e32 v6, 4, v3
	v_cmp_gt_u32_e32 vcc_lo, 0x8000000, v3
	s_delay_alu instid0(VALU_DEP_2) | instskip(NEXT) | instid1(VALU_DEP_1)
	v_or_b32_e32 v6, 0x70000000, v6
	v_mul_f32_e32 v6, 0x7800000, v6
	s_delay_alu instid0(VALU_DEP_1) | instskip(NEXT) | instid1(VALU_DEP_1)
	v_cndmask_b32_e32 v3, v6, v7, vcc_lo
	v_and_or_b32 v1, 0x80000000, v1, v3
	s_delay_alu instid0(VALU_DEP_1)
	v_cvt_i32_f32_e32 v1, v1
.LBB190_1253:
	s_mov_b32 s15, 0
	s_mov_b32 s16, -1
.LBB190_1254:
	s_and_not1_b32 vcc_lo, exec_lo, s15
	s_mov_b32 s15, 0
	s_cbranch_vccnz .LBB190_1265
; %bb.1255:
	s_cmp_gt_i32 s0, 14
	s_cbranch_scc0 .LBB190_1258
; %bb.1256:
	s_cmp_eq_u32 s0, 15
	s_cbranch_scc0 .LBB190_1261
; %bb.1257:
	s_wait_loadcnt 0x0
	global_load_u16 v1, v[4:5], off
	s_mov_b32 s12, 0
	s_mov_b32 s16, -1
	s_wait_loadcnt 0x0
	v_lshlrev_b32_e32 v1, 16, v1
	s_delay_alu instid0(VALU_DEP_1)
	v_cvt_i32_f32_e32 v1, v1
	s_branch .LBB190_1263
.LBB190_1258:
	s_mov_b32 s15, -1
	s_branch .LBB190_1262
.LBB190_1259:
	s_and_not1_saveexec_b32 s15, s15
	s_cbranch_execz .LBB190_1240
.LBB190_1260:
	v_cmp_ne_u16_e32 vcc_lo, 0, v3
	s_and_not1_b32 s16, s16, exec_lo
	s_and_b32 s17, vcc_lo, exec_lo
	s_delay_alu instid0(SALU_CYCLE_1)
	s_or_b32 s16, s16, s17
	s_or_b32 exec_lo, exec_lo, s15
	v_mov_b32_e32 v1, 0
	s_and_saveexec_b32 s15, s16
	s_cbranch_execnz .LBB190_1241
	s_branch .LBB190_1242
.LBB190_1261:
	s_mov_b32 s12, -1
.LBB190_1262:
                                        ; implicit-def: $vgpr1
.LBB190_1263:
	s_and_b32 vcc_lo, exec_lo, s15
	s_mov_b32 s15, 0
	s_cbranch_vccz .LBB190_1265
; %bb.1264:
	s_cmp_lg_u32 s0, 11
	s_mov_b32 s15, -1
	s_cselect_b32 s12, -1, 0
.LBB190_1265:
	s_delay_alu instid0(SALU_CYCLE_1)
	s_and_b32 vcc_lo, exec_lo, s12
	s_cbranch_vccnz .LBB190_1339
; %bb.1266:
	s_and_not1_b32 vcc_lo, exec_lo, s15
	s_cbranch_vccnz .LBB190_1268
.LBB190_1267:
	s_wait_loadcnt 0x0
	global_load_u8 v1, v[4:5], off
	s_mov_b32 s16, -1
	s_wait_loadcnt 0x0
	v_cmp_ne_u16_e32 vcc_lo, 0, v1
	v_cndmask_b32_e64 v1, 0, 1, vcc_lo
.LBB190_1268:
	s_branch .LBB190_1197
.LBB190_1269:
	s_cmp_lt_i32 s0, 5
	s_cbranch_scc1 .LBB190_1274
; %bb.1270:
	s_cmp_lt_i32 s0, 8
	s_cbranch_scc1 .LBB190_1275
; %bb.1271:
	;; [unrolled: 3-line block ×3, first 2 shown]
	s_cmp_gt_i32 s0, 9
	s_cbranch_scc0 .LBB190_1277
; %bb.1273:
	global_load_b64 v[6:7], v[4:5], off
	s_mov_b32 s12, 0
	s_wait_loadcnt 0x0
	s_wait_xcnt 0x1
	v_cvt_i32_f64_e32 v1, v[6:7]
	s_branch .LBB190_1278
.LBB190_1274:
                                        ; implicit-def: $vgpr1
	s_branch .LBB190_1296
.LBB190_1275:
	s_mov_b32 s12, -1
                                        ; implicit-def: $vgpr1
	s_branch .LBB190_1284
.LBB190_1276:
	s_mov_b32 s12, -1
                                        ; implicit-def: $vgpr1
	s_branch .LBB190_1281
.LBB190_1277:
	s_mov_b32 s12, -1
                                        ; implicit-def: $vgpr1
.LBB190_1278:
	s_delay_alu instid0(SALU_CYCLE_1)
	s_and_not1_b32 vcc_lo, exec_lo, s12
	s_cbranch_vccnz .LBB190_1280
; %bb.1279:
	s_wait_loadcnt 0x0
	global_load_b32 v1, v[4:5], off
	s_wait_loadcnt 0x0
	v_cvt_i32_f32_e32 v1, v1
.LBB190_1280:
	s_mov_b32 s12, 0
.LBB190_1281:
	s_delay_alu instid0(SALU_CYCLE_1)
	s_and_not1_b32 vcc_lo, exec_lo, s12
	s_cbranch_vccnz .LBB190_1283
; %bb.1282:
	s_wait_loadcnt 0x0
	global_load_b32 v1, v[4:5], off
	s_wait_loadcnt 0x0
	v_cvt_f32_f16_e32 v1, v1
	s_delay_alu instid0(VALU_DEP_1)
	v_cvt_i32_f32_e32 v1, v1
.LBB190_1283:
	s_mov_b32 s12, 0
.LBB190_1284:
	s_delay_alu instid0(SALU_CYCLE_1)
	s_and_not1_b32 vcc_lo, exec_lo, s12
	s_cbranch_vccnz .LBB190_1295
; %bb.1285:
	s_cmp_lt_i32 s0, 6
	s_cbranch_scc1 .LBB190_1288
; %bb.1286:
	s_cmp_gt_i32 s0, 6
	s_cbranch_scc0 .LBB190_1289
; %bb.1287:
	global_load_b64 v[6:7], v[4:5], off
	s_mov_b32 s12, 0
	s_wait_loadcnt 0x0
	s_wait_xcnt 0x1
	v_cvt_i32_f64_e32 v1, v[6:7]
	s_branch .LBB190_1290
.LBB190_1288:
	s_mov_b32 s12, -1
                                        ; implicit-def: $vgpr1
	s_branch .LBB190_1293
.LBB190_1289:
	s_mov_b32 s12, -1
                                        ; implicit-def: $vgpr1
.LBB190_1290:
	s_delay_alu instid0(SALU_CYCLE_1)
	s_and_not1_b32 vcc_lo, exec_lo, s12
	s_cbranch_vccnz .LBB190_1292
; %bb.1291:
	s_wait_loadcnt 0x0
	global_load_b32 v1, v[4:5], off
	s_wait_loadcnt 0x0
	v_cvt_i32_f32_e32 v1, v1
.LBB190_1292:
	s_mov_b32 s12, 0
.LBB190_1293:
	s_delay_alu instid0(SALU_CYCLE_1)
	s_and_not1_b32 vcc_lo, exec_lo, s12
	s_cbranch_vccnz .LBB190_1295
; %bb.1294:
	s_wait_loadcnt 0x0
	global_load_u16 v1, v[4:5], off
	s_wait_loadcnt 0x0
	v_cvt_f32_f16_e32 v1, v1
	s_delay_alu instid0(VALU_DEP_1)
	v_cvt_i32_f32_e32 v1, v1
.LBB190_1295:
	s_cbranch_execnz .LBB190_1315
.LBB190_1296:
	s_cmp_lt_i32 s0, 2
	s_cbranch_scc1 .LBB190_1300
; %bb.1297:
	s_cmp_lt_i32 s0, 3
	s_cbranch_scc1 .LBB190_1301
; %bb.1298:
	s_cmp_gt_i32 s0, 3
	s_cbranch_scc0 .LBB190_1302
; %bb.1299:
	s_wait_loadcnt 0x0
	global_load_b32 v1, v[4:5], off
	s_mov_b32 s12, 0
	s_branch .LBB190_1303
.LBB190_1300:
	s_mov_b32 s12, -1
                                        ; implicit-def: $vgpr1
	s_branch .LBB190_1309
.LBB190_1301:
	s_mov_b32 s12, -1
                                        ; implicit-def: $vgpr1
	s_branch .LBB190_1306
.LBB190_1302:
	s_mov_b32 s12, -1
                                        ; implicit-def: $vgpr1
.LBB190_1303:
	s_delay_alu instid0(SALU_CYCLE_1)
	s_and_not1_b32 vcc_lo, exec_lo, s12
	s_cbranch_vccnz .LBB190_1305
; %bb.1304:
	s_wait_loadcnt 0x0
	global_load_b32 v1, v[4:5], off
.LBB190_1305:
	s_mov_b32 s12, 0
.LBB190_1306:
	s_delay_alu instid0(SALU_CYCLE_1)
	s_and_not1_b32 vcc_lo, exec_lo, s12
	s_cbranch_vccnz .LBB190_1308
; %bb.1307:
	s_wait_loadcnt 0x0
	global_load_i16 v1, v[4:5], off
.LBB190_1308:
	s_mov_b32 s12, 0
.LBB190_1309:
	s_delay_alu instid0(SALU_CYCLE_1)
	s_and_not1_b32 vcc_lo, exec_lo, s12
	s_cbranch_vccnz .LBB190_1315
; %bb.1310:
	s_cmp_gt_i32 s0, 0
	s_mov_b32 s12, 0
	s_cbranch_scc0 .LBB190_1312
; %bb.1311:
	s_wait_loadcnt 0x0
	global_load_i8 v1, v[4:5], off
	s_branch .LBB190_1313
.LBB190_1312:
	s_mov_b32 s12, -1
                                        ; implicit-def: $vgpr1
.LBB190_1313:
	s_delay_alu instid0(SALU_CYCLE_1)
	s_and_not1_b32 vcc_lo, exec_lo, s12
	s_cbranch_vccnz .LBB190_1315
; %bb.1314:
	s_wait_loadcnt 0x0
	global_load_u8 v1, v[4:5], off
.LBB190_1315:
.LBB190_1316:
	s_cmp_lt_i32 s10, 1
	s_mov_b32 s12, 0
	s_cbranch_scc1 .LBB190_1319
; %bb.1317:
	s_cmp_eq_u32 s10, 1
	s_cbranch_scc0 .LBB190_1320
; %bb.1318:
	s_wait_loadcnt 0x0
	s_delay_alu instid0(VALU_DEP_1)
	v_min_i32_e32 v4, s11, v1
	s_mov_b32 s15, 0
	s_branch .LBB190_1321
.LBB190_1319:
	s_mov_b32 s15, 0
                                        ; implicit-def: $vgpr4
	s_cbranch_execnz .LBB190_1322
	s_branch .LBB190_1323
.LBB190_1320:
	s_mov_b32 s15, -1
                                        ; implicit-def: $vgpr4
.LBB190_1321:
	s_branch .LBB190_1323
.LBB190_1322:
	s_cmp_lg_u32 s10, 0
	s_mov_b32 s12, -1
	s_cselect_b32 s15, -1, 0
.LBB190_1323:
	s_delay_alu instid0(SALU_CYCLE_1)
	s_and_not1_b32 vcc_lo, exec_lo, s15
	s_cbranch_vccnz .LBB190_1325
; %bb.1324:
	s_wait_loadcnt 0x0
	s_delay_alu instid0(VALU_DEP_1)
	v_maxmin_i32 v4, v1, s11, s2
	s_cbranch_execz .LBB190_1326
	s_branch .LBB190_1327
.LBB190_1325:
	s_and_not1_b32 vcc_lo, exec_lo, s12
	s_cbranch_vccnz .LBB190_1327
.LBB190_1326:
	s_wait_loadcnt 0x0
	s_delay_alu instid0(VALU_DEP_1)
	v_max_i32_e32 v4, s11, v1
.LBB190_1327:
	v_add_nc_u32_e32 v2, s9, v2
	s_cmp_lt_i32 s0, 11
	s_delay_alu instid0(VALU_DEP_1) | instskip(NEXT) | instid1(VALU_DEP_1)
	v_ashrrev_i32_e32 v3, 31, v2
	v_add_nc_u64_e32 v[6:7], s[6:7], v[2:3]
	s_cbranch_scc1 .LBB190_1334
; %bb.1328:
	s_cmp_gt_i32 s0, 25
	s_mov_b32 s15, 0
	s_cbranch_scc0 .LBB190_1336
; %bb.1329:
	s_cmp_gt_i32 s0, 28
	s_cbranch_scc0 .LBB190_1337
; %bb.1330:
	s_cmp_gt_i32 s0, 43
	;; [unrolled: 3-line block ×3, first 2 shown]
	s_cbranch_scc0 .LBB190_1340
; %bb.1332:
	s_cmp_eq_u32 s0, 46
	s_mov_b32 s17, 0
	s_cbranch_scc0 .LBB190_1341
; %bb.1333:
	s_wait_loadcnt 0x0
	global_load_b32 v1, v[6:7], off
	s_mov_b32 s12, 0
	s_mov_b32 s16, -1
	s_wait_loadcnt 0x0
	v_lshlrev_b32_e32 v1, 16, v1
	s_delay_alu instid0(VALU_DEP_1)
	v_cvt_i32_f32_e32 v1, v1
	s_branch .LBB190_1343
.LBB190_1334:
	s_mov_b32 s16, 0
                                        ; implicit-def: $vgpr1
	s_cbranch_execnz .LBB190_1405
.LBB190_1335:
	s_and_not1_b32 vcc_lo, exec_lo, s16
	s_cbranch_vccnz .LBB190_1594
	s_branch .LBB190_1453
.LBB190_1336:
	s_mov_b32 s17, -1
	s_mov_b32 s16, 0
	s_mov_b32 s12, 0
                                        ; implicit-def: $vgpr1
	s_branch .LBB190_1370
.LBB190_1337:
	s_mov_b32 s17, -1
	s_mov_b32 s16, 0
	s_mov_b32 s12, 0
                                        ; implicit-def: $vgpr1
	s_branch .LBB190_1353
.LBB190_1338:
	s_mov_b32 s17, -1
	s_mov_b32 s16, 0
	s_mov_b32 s12, 0
                                        ; implicit-def: $vgpr1
	s_branch .LBB190_1348
.LBB190_1339:
	s_or_b32 s1, s1, exec_lo
	s_trap 2
	s_cbranch_execz .LBB190_1267
	s_branch .LBB190_1268
.LBB190_1340:
	s_mov_b32 s17, -1
	s_mov_b32 s16, 0
	s_mov_b32 s12, 0
	s_branch .LBB190_1342
.LBB190_1341:
	s_mov_b32 s12, -1
	s_mov_b32 s16, 0
.LBB190_1342:
                                        ; implicit-def: $vgpr1
.LBB190_1343:
	s_and_b32 vcc_lo, exec_lo, s17
	s_cbranch_vccz .LBB190_1347
; %bb.1344:
	s_cmp_eq_u32 s0, 44
	s_cbranch_scc0 .LBB190_1346
; %bb.1345:
	s_wait_loadcnt 0x0
	global_load_u8 v1, v[6:7], off
	s_mov_b32 s12, 0
	s_mov_b32 s16, -1
	s_wait_loadcnt 0x0
	v_lshlrev_b32_e32 v3, 23, v1
	v_cmp_ne_u32_e32 vcc_lo, 0, v1
	s_delay_alu instid0(VALU_DEP_2) | instskip(NEXT) | instid1(VALU_DEP_1)
	v_cvt_i32_f32_e32 v3, v3
	v_cndmask_b32_e32 v1, 0, v3, vcc_lo
	s_branch .LBB190_1347
.LBB190_1346:
	s_mov_b32 s12, -1
                                        ; implicit-def: $vgpr1
.LBB190_1347:
	s_mov_b32 s17, 0
.LBB190_1348:
	s_delay_alu instid0(SALU_CYCLE_1)
	s_and_b32 vcc_lo, exec_lo, s17
	s_cbranch_vccz .LBB190_1352
; %bb.1349:
	s_cmp_eq_u32 s0, 29
	s_cbranch_scc0 .LBB190_1351
; %bb.1350:
	s_wait_loadcnt 0x0
	global_load_b32 v1, v[6:7], off
	s_mov_b32 s12, 0
	s_mov_b32 s16, -1
	s_branch .LBB190_1352
.LBB190_1351:
	s_mov_b32 s12, -1
                                        ; implicit-def: $vgpr1
.LBB190_1352:
	s_mov_b32 s17, 0
.LBB190_1353:
	s_delay_alu instid0(SALU_CYCLE_1)
	s_and_b32 vcc_lo, exec_lo, s17
	s_cbranch_vccz .LBB190_1369
; %bb.1354:
	s_cmp_lt_i32 s0, 27
	s_cbranch_scc1 .LBB190_1357
; %bb.1355:
	s_cmp_gt_i32 s0, 27
	s_cbranch_scc0 .LBB190_1358
; %bb.1356:
	s_wait_loadcnt 0x0
	global_load_b32 v1, v[6:7], off
	s_mov_b32 s16, 0
	s_branch .LBB190_1359
.LBB190_1357:
	s_mov_b32 s16, -1
                                        ; implicit-def: $vgpr1
	s_branch .LBB190_1362
.LBB190_1358:
	s_mov_b32 s16, -1
                                        ; implicit-def: $vgpr1
.LBB190_1359:
	s_delay_alu instid0(SALU_CYCLE_1)
	s_and_not1_b32 vcc_lo, exec_lo, s16
	s_cbranch_vccnz .LBB190_1361
; %bb.1360:
	s_wait_loadcnt 0x0
	global_load_u16 v1, v[6:7], off
.LBB190_1361:
	s_mov_b32 s16, 0
.LBB190_1362:
	s_delay_alu instid0(SALU_CYCLE_1)
	s_and_not1_b32 vcc_lo, exec_lo, s16
	s_cbranch_vccnz .LBB190_1368
; %bb.1363:
	global_load_u8 v3, v[6:7], off
	s_mov_b32 s17, 0
	s_mov_b32 s16, exec_lo
	s_wait_loadcnt 0x0
	v_cmpx_lt_i16_e32 0x7f, v3
	s_xor_b32 s16, exec_lo, s16
	s_cbranch_execz .LBB190_1380
; %bb.1364:
	v_cmp_ne_u16_e32 vcc_lo, 0x80, v3
	s_and_b32 s17, vcc_lo, exec_lo
	s_and_not1_saveexec_b32 s16, s16
	s_cbranch_execnz .LBB190_1381
.LBB190_1365:
	s_or_b32 exec_lo, exec_lo, s16
	v_mov_b32_e32 v1, 0
	s_and_saveexec_b32 s16, s17
	s_cbranch_execz .LBB190_1367
.LBB190_1366:
	v_and_b32_e32 v1, 0xffff, v3
	s_delay_alu instid0(VALU_DEP_1) | instskip(SKIP_1) | instid1(VALU_DEP_2)
	v_dual_lshlrev_b32 v3, 24, v3 :: v_dual_bitop2_b32 v5, 7, v1 bitop3:0x40
	v_bfe_u32 v11, v1, 3, 4
	v_and_b32_e32 v3, 0x80000000, v3
	s_delay_alu instid0(VALU_DEP_3) | instskip(NEXT) | instid1(VALU_DEP_3)
	v_clz_i32_u32_e32 v9, v5
	v_cmp_eq_u32_e32 vcc_lo, 0, v11
	s_delay_alu instid0(VALU_DEP_2) | instskip(NEXT) | instid1(VALU_DEP_1)
	v_min_u32_e32 v9, 32, v9
	v_subrev_nc_u32_e32 v10, 28, v9
	v_sub_nc_u32_e32 v9, 29, v9
	s_delay_alu instid0(VALU_DEP_2) | instskip(NEXT) | instid1(VALU_DEP_2)
	v_lshlrev_b32_e32 v1, v10, v1
	v_cndmask_b32_e32 v9, v11, v9, vcc_lo
	s_delay_alu instid0(VALU_DEP_2) | instskip(NEXT) | instid1(VALU_DEP_1)
	v_and_b32_e32 v1, 7, v1
	v_cndmask_b32_e32 v1, v5, v1, vcc_lo
	s_delay_alu instid0(VALU_DEP_3) | instskip(NEXT) | instid1(VALU_DEP_2)
	v_lshl_add_u32 v5, v9, 23, 0x3b800000
	v_lshlrev_b32_e32 v1, 20, v1
	s_delay_alu instid0(VALU_DEP_1) | instskip(NEXT) | instid1(VALU_DEP_1)
	v_or3_b32 v1, v3, v5, v1
	v_cvt_i32_f32_e32 v1, v1
.LBB190_1367:
	s_or_b32 exec_lo, exec_lo, s16
.LBB190_1368:
	s_mov_b32 s16, -1
.LBB190_1369:
	s_mov_b32 s17, 0
.LBB190_1370:
	s_delay_alu instid0(SALU_CYCLE_1)
	s_and_b32 vcc_lo, exec_lo, s17
	s_cbranch_vccz .LBB190_1401
; %bb.1371:
	s_cmp_gt_i32 s0, 22
	s_cbranch_scc0 .LBB190_1379
; %bb.1372:
	s_cmp_lt_i32 s0, 24
	s_cbranch_scc1 .LBB190_1382
; %bb.1373:
	s_cmp_gt_i32 s0, 24
	s_cbranch_scc0 .LBB190_1383
; %bb.1374:
	global_load_u8 v3, v[6:7], off
	s_mov_b32 s16, 0
	s_mov_b32 s15, exec_lo
	s_wait_loadcnt 0x0
	v_cmpx_lt_i16_e32 0x7f, v3
	s_xor_b32 s15, exec_lo, s15
	s_cbranch_execz .LBB190_1395
; %bb.1375:
	v_cmp_ne_u16_e32 vcc_lo, 0x80, v3
	s_and_b32 s16, vcc_lo, exec_lo
	s_and_not1_saveexec_b32 s15, s15
	s_cbranch_execnz .LBB190_1396
.LBB190_1376:
	s_or_b32 exec_lo, exec_lo, s15
	v_mov_b32_e32 v1, 0
	s_and_saveexec_b32 s15, s16
	s_cbranch_execz .LBB190_1378
.LBB190_1377:
	v_and_b32_e32 v1, 0xffff, v3
	s_delay_alu instid0(VALU_DEP_1) | instskip(SKIP_1) | instid1(VALU_DEP_2)
	v_dual_lshlrev_b32 v3, 24, v3 :: v_dual_bitop2_b32 v5, 3, v1 bitop3:0x40
	v_bfe_u32 v11, v1, 2, 5
	v_and_b32_e32 v3, 0x80000000, v3
	s_delay_alu instid0(VALU_DEP_3) | instskip(NEXT) | instid1(VALU_DEP_3)
	v_clz_i32_u32_e32 v9, v5
	v_cmp_eq_u32_e32 vcc_lo, 0, v11
	s_delay_alu instid0(VALU_DEP_2) | instskip(NEXT) | instid1(VALU_DEP_1)
	v_min_u32_e32 v9, 32, v9
	v_subrev_nc_u32_e32 v10, 29, v9
	v_sub_nc_u32_e32 v9, 30, v9
	s_delay_alu instid0(VALU_DEP_2) | instskip(NEXT) | instid1(VALU_DEP_2)
	v_lshlrev_b32_e32 v1, v10, v1
	v_cndmask_b32_e32 v9, v11, v9, vcc_lo
	s_delay_alu instid0(VALU_DEP_2) | instskip(NEXT) | instid1(VALU_DEP_1)
	v_and_b32_e32 v1, 3, v1
	v_cndmask_b32_e32 v1, v5, v1, vcc_lo
	s_delay_alu instid0(VALU_DEP_3) | instskip(NEXT) | instid1(VALU_DEP_2)
	v_lshl_add_u32 v5, v9, 23, 0x37800000
	v_lshlrev_b32_e32 v1, 21, v1
	s_delay_alu instid0(VALU_DEP_1) | instskip(NEXT) | instid1(VALU_DEP_1)
	v_or3_b32 v1, v3, v5, v1
	v_cvt_i32_f32_e32 v1, v1
.LBB190_1378:
	s_or_b32 exec_lo, exec_lo, s15
	s_mov_b32 s15, 0
	s_branch .LBB190_1384
.LBB190_1379:
	s_mov_b32 s15, -1
                                        ; implicit-def: $vgpr1
	s_branch .LBB190_1390
.LBB190_1380:
	s_and_not1_saveexec_b32 s16, s16
	s_cbranch_execz .LBB190_1365
.LBB190_1381:
	v_cmp_ne_u16_e32 vcc_lo, 0, v3
	s_and_not1_b32 s17, s17, exec_lo
	s_and_b32 s18, vcc_lo, exec_lo
	s_delay_alu instid0(SALU_CYCLE_1)
	s_or_b32 s17, s17, s18
	s_or_b32 exec_lo, exec_lo, s16
	v_mov_b32_e32 v1, 0
	s_and_saveexec_b32 s16, s17
	s_cbranch_execnz .LBB190_1366
	s_branch .LBB190_1367
.LBB190_1382:
	s_mov_b32 s15, -1
                                        ; implicit-def: $vgpr1
	s_branch .LBB190_1387
.LBB190_1383:
	s_mov_b32 s15, -1
                                        ; implicit-def: $vgpr1
.LBB190_1384:
	s_delay_alu instid0(SALU_CYCLE_1)
	s_and_b32 vcc_lo, exec_lo, s15
	s_cbranch_vccz .LBB190_1386
; %bb.1385:
	s_wait_loadcnt 0x0
	global_load_u8 v1, v[6:7], off
	s_wait_loadcnt 0x0
	v_lshlrev_b32_e32 v1, 24, v1
	s_delay_alu instid0(VALU_DEP_1) | instskip(NEXT) | instid1(VALU_DEP_1)
	v_and_b32_e32 v3, 0x7f000000, v1
	v_clz_i32_u32_e32 v5, v3
	v_cmp_ne_u32_e32 vcc_lo, 0, v3
	v_add_nc_u32_e32 v10, 0x1000000, v3
	s_delay_alu instid0(VALU_DEP_3) | instskip(NEXT) | instid1(VALU_DEP_1)
	v_min_u32_e32 v5, 32, v5
	v_sub_nc_u32_e64 v5, v5, 4 clamp
	s_delay_alu instid0(VALU_DEP_1) | instskip(NEXT) | instid1(VALU_DEP_1)
	v_dual_lshlrev_b32 v9, v5, v3 :: v_dual_lshlrev_b32 v5, 23, v5
	v_lshrrev_b32_e32 v9, 4, v9
	s_delay_alu instid0(VALU_DEP_1) | instskip(NEXT) | instid1(VALU_DEP_1)
	v_dual_sub_nc_u32 v5, v9, v5 :: v_dual_ashrrev_i32 v9, 8, v10
	v_add_nc_u32_e32 v5, 0x3c000000, v5
	s_delay_alu instid0(VALU_DEP_1) | instskip(NEXT) | instid1(VALU_DEP_1)
	v_and_or_b32 v5, 0x7f800000, v9, v5
	v_cndmask_b32_e32 v3, 0, v5, vcc_lo
	s_delay_alu instid0(VALU_DEP_1) | instskip(NEXT) | instid1(VALU_DEP_1)
	v_and_or_b32 v1, 0x80000000, v1, v3
	v_cvt_i32_f32_e32 v1, v1
.LBB190_1386:
	s_mov_b32 s15, 0
.LBB190_1387:
	s_delay_alu instid0(SALU_CYCLE_1)
	s_and_not1_b32 vcc_lo, exec_lo, s15
	s_cbranch_vccnz .LBB190_1389
; %bb.1388:
	s_wait_loadcnt 0x0
	global_load_u8 v1, v[6:7], off
	s_wait_loadcnt 0x0
	v_lshlrev_b32_e32 v3, 25, v1
	v_lshlrev_b16 v1, 8, v1
	s_delay_alu instid0(VALU_DEP_2) | instskip(NEXT) | instid1(VALU_DEP_2)
	v_cmp_gt_u32_e32 vcc_lo, 0x8000000, v3
	v_and_or_b32 v9, 0x7f00, v1, 0.5
	v_lshrrev_b32_e32 v5, 4, v3
	v_bfe_i32 v1, v1, 0, 16
	s_delay_alu instid0(VALU_DEP_3) | instskip(NEXT) | instid1(VALU_DEP_3)
	v_add_f32_e32 v9, -0.5, v9
	v_or_b32_e32 v5, 0x70000000, v5
	s_delay_alu instid0(VALU_DEP_1) | instskip(NEXT) | instid1(VALU_DEP_1)
	v_mul_f32_e32 v5, 0x7800000, v5
	v_cndmask_b32_e32 v3, v5, v9, vcc_lo
	s_delay_alu instid0(VALU_DEP_1) | instskip(NEXT) | instid1(VALU_DEP_1)
	v_and_or_b32 v1, 0x80000000, v1, v3
	v_cvt_i32_f32_e32 v1, v1
.LBB190_1389:
	s_mov_b32 s15, 0
	s_mov_b32 s16, -1
.LBB190_1390:
	s_and_not1_b32 vcc_lo, exec_lo, s15
	s_mov_b32 s15, 0
	s_cbranch_vccnz .LBB190_1401
; %bb.1391:
	s_cmp_gt_i32 s0, 14
	s_cbranch_scc0 .LBB190_1394
; %bb.1392:
	s_cmp_eq_u32 s0, 15
	s_cbranch_scc0 .LBB190_1397
; %bb.1393:
	s_wait_loadcnt 0x0
	global_load_u16 v1, v[6:7], off
	s_mov_b32 s12, 0
	s_mov_b32 s16, -1
	s_wait_loadcnt 0x0
	v_lshlrev_b32_e32 v1, 16, v1
	s_delay_alu instid0(VALU_DEP_1)
	v_cvt_i32_f32_e32 v1, v1
	s_branch .LBB190_1399
.LBB190_1394:
	s_mov_b32 s15, -1
	s_branch .LBB190_1398
.LBB190_1395:
	s_and_not1_saveexec_b32 s15, s15
	s_cbranch_execz .LBB190_1376
.LBB190_1396:
	v_cmp_ne_u16_e32 vcc_lo, 0, v3
	s_and_not1_b32 s16, s16, exec_lo
	s_and_b32 s17, vcc_lo, exec_lo
	s_delay_alu instid0(SALU_CYCLE_1)
	s_or_b32 s16, s16, s17
	s_or_b32 exec_lo, exec_lo, s15
	v_mov_b32_e32 v1, 0
	s_and_saveexec_b32 s15, s16
	s_cbranch_execnz .LBB190_1377
	s_branch .LBB190_1378
.LBB190_1397:
	s_mov_b32 s12, -1
.LBB190_1398:
                                        ; implicit-def: $vgpr1
.LBB190_1399:
	s_and_b32 vcc_lo, exec_lo, s15
	s_mov_b32 s15, 0
	s_cbranch_vccz .LBB190_1401
; %bb.1400:
	s_cmp_lg_u32 s0, 11
	s_mov_b32 s15, -1
	s_cselect_b32 s12, -1, 0
.LBB190_1401:
	s_delay_alu instid0(SALU_CYCLE_1)
	s_and_b32 vcc_lo, exec_lo, s12
	s_cbranch_vccnz .LBB190_1475
; %bb.1402:
	s_and_not1_b32 vcc_lo, exec_lo, s15
	s_cbranch_vccnz .LBB190_1404
.LBB190_1403:
	s_wait_loadcnt 0x0
	global_load_u8 v1, v[6:7], off
	s_mov_b32 s16, -1
	s_wait_loadcnt 0x0
	v_cmp_ne_u16_e32 vcc_lo, 0, v1
	v_cndmask_b32_e64 v1, 0, 1, vcc_lo
.LBB190_1404:
	s_branch .LBB190_1335
.LBB190_1405:
	s_cmp_lt_i32 s0, 5
	s_cbranch_scc1 .LBB190_1410
; %bb.1406:
	s_cmp_lt_i32 s0, 8
	s_cbranch_scc1 .LBB190_1411
; %bb.1407:
	;; [unrolled: 3-line block ×3, first 2 shown]
	s_cmp_gt_i32 s0, 9
	s_cbranch_scc0 .LBB190_1413
; %bb.1409:
	global_load_b64 v[10:11], v[6:7], off
	s_mov_b32 s12, 0
	s_wait_loadcnt 0x0
	s_wait_xcnt 0x1
	v_cvt_i32_f64_e32 v1, v[10:11]
	s_branch .LBB190_1414
.LBB190_1410:
	s_mov_b32 s12, -1
                                        ; implicit-def: $vgpr1
	s_branch .LBB190_1432
.LBB190_1411:
	s_mov_b32 s12, -1
                                        ; implicit-def: $vgpr1
	s_branch .LBB190_1420
.LBB190_1412:
	s_mov_b32 s12, -1
                                        ; implicit-def: $vgpr1
	s_branch .LBB190_1417
.LBB190_1413:
	s_mov_b32 s12, -1
                                        ; implicit-def: $vgpr1
.LBB190_1414:
	s_delay_alu instid0(SALU_CYCLE_1)
	s_and_not1_b32 vcc_lo, exec_lo, s12
	s_cbranch_vccnz .LBB190_1416
; %bb.1415:
	s_wait_loadcnt 0x0
	global_load_b32 v1, v[6:7], off
	s_wait_loadcnt 0x0
	v_cvt_i32_f32_e32 v1, v1
.LBB190_1416:
	s_mov_b32 s12, 0
.LBB190_1417:
	s_delay_alu instid0(SALU_CYCLE_1)
	s_and_not1_b32 vcc_lo, exec_lo, s12
	s_cbranch_vccnz .LBB190_1419
; %bb.1418:
	s_wait_loadcnt 0x0
	global_load_b32 v1, v[6:7], off
	s_wait_loadcnt 0x0
	v_cvt_f32_f16_e32 v1, v1
	s_delay_alu instid0(VALU_DEP_1)
	v_cvt_i32_f32_e32 v1, v1
.LBB190_1419:
	s_mov_b32 s12, 0
.LBB190_1420:
	s_delay_alu instid0(SALU_CYCLE_1)
	s_and_not1_b32 vcc_lo, exec_lo, s12
	s_cbranch_vccnz .LBB190_1431
; %bb.1421:
	s_cmp_lt_i32 s0, 6
	s_cbranch_scc1 .LBB190_1424
; %bb.1422:
	s_cmp_gt_i32 s0, 6
	s_cbranch_scc0 .LBB190_1425
; %bb.1423:
	global_load_b64 v[10:11], v[6:7], off
	s_mov_b32 s12, 0
	s_wait_loadcnt 0x0
	s_wait_xcnt 0x1
	v_cvt_i32_f64_e32 v1, v[10:11]
	s_branch .LBB190_1426
.LBB190_1424:
	s_mov_b32 s12, -1
                                        ; implicit-def: $vgpr1
	s_branch .LBB190_1429
.LBB190_1425:
	s_mov_b32 s12, -1
                                        ; implicit-def: $vgpr1
.LBB190_1426:
	s_delay_alu instid0(SALU_CYCLE_1)
	s_and_not1_b32 vcc_lo, exec_lo, s12
	s_cbranch_vccnz .LBB190_1428
; %bb.1427:
	s_wait_loadcnt 0x0
	global_load_b32 v1, v[6:7], off
	s_wait_loadcnt 0x0
	v_cvt_i32_f32_e32 v1, v1
.LBB190_1428:
	s_mov_b32 s12, 0
.LBB190_1429:
	s_delay_alu instid0(SALU_CYCLE_1)
	s_and_not1_b32 vcc_lo, exec_lo, s12
	s_cbranch_vccnz .LBB190_1431
; %bb.1430:
	s_wait_loadcnt 0x0
	global_load_u16 v1, v[6:7], off
	s_wait_loadcnt 0x0
	v_cvt_f32_f16_e32 v1, v1
	s_delay_alu instid0(VALU_DEP_1)
	v_cvt_i32_f32_e32 v1, v1
.LBB190_1431:
	s_mov_b32 s12, 0
.LBB190_1432:
	s_delay_alu instid0(SALU_CYCLE_1)
	s_and_not1_b32 vcc_lo, exec_lo, s12
	s_cbranch_vccnz .LBB190_1452
; %bb.1433:
	s_cmp_lt_i32 s0, 2
	s_cbranch_scc1 .LBB190_1437
; %bb.1434:
	s_cmp_lt_i32 s0, 3
	s_cbranch_scc1 .LBB190_1438
; %bb.1435:
	s_cmp_gt_i32 s0, 3
	s_cbranch_scc0 .LBB190_1439
; %bb.1436:
	s_wait_loadcnt 0x0
	global_load_b32 v1, v[6:7], off
	s_mov_b32 s12, 0
	s_branch .LBB190_1440
.LBB190_1437:
	s_mov_b32 s12, -1
                                        ; implicit-def: $vgpr1
	s_branch .LBB190_1446
.LBB190_1438:
	s_mov_b32 s12, -1
                                        ; implicit-def: $vgpr1
	s_branch .LBB190_1443
.LBB190_1439:
	s_mov_b32 s12, -1
                                        ; implicit-def: $vgpr1
.LBB190_1440:
	s_delay_alu instid0(SALU_CYCLE_1)
	s_and_not1_b32 vcc_lo, exec_lo, s12
	s_cbranch_vccnz .LBB190_1442
; %bb.1441:
	s_wait_loadcnt 0x0
	global_load_b32 v1, v[6:7], off
.LBB190_1442:
	s_mov_b32 s12, 0
.LBB190_1443:
	s_delay_alu instid0(SALU_CYCLE_1)
	s_and_not1_b32 vcc_lo, exec_lo, s12
	s_cbranch_vccnz .LBB190_1445
; %bb.1444:
	s_wait_loadcnt 0x0
	global_load_i16 v1, v[6:7], off
.LBB190_1445:
	s_mov_b32 s12, 0
.LBB190_1446:
	s_delay_alu instid0(SALU_CYCLE_1)
	s_and_not1_b32 vcc_lo, exec_lo, s12
	s_cbranch_vccnz .LBB190_1452
; %bb.1447:
	s_cmp_gt_i32 s0, 0
	s_mov_b32 s12, 0
	s_cbranch_scc0 .LBB190_1449
; %bb.1448:
	s_wait_loadcnt 0x0
	global_load_i8 v1, v[6:7], off
	s_branch .LBB190_1450
.LBB190_1449:
	s_mov_b32 s12, -1
                                        ; implicit-def: $vgpr1
.LBB190_1450:
	s_delay_alu instid0(SALU_CYCLE_1)
	s_and_not1_b32 vcc_lo, exec_lo, s12
	s_cbranch_vccnz .LBB190_1452
; %bb.1451:
	s_wait_loadcnt 0x0
	global_load_u8 v1, v[6:7], off
.LBB190_1452:
.LBB190_1453:
	s_cmp_lt_i32 s10, 1
	s_mov_b32 s12, 0
	s_cbranch_scc1 .LBB190_1456
; %bb.1454:
	s_cmp_eq_u32 s10, 1
	s_cbranch_scc0 .LBB190_1459
; %bb.1455:
	s_wait_loadcnt 0x0
	s_delay_alu instid0(VALU_DEP_1)
	v_min_i32_e32 v6, s11, v1
	s_mov_b32 s15, 0
	s_branch .LBB190_1460
.LBB190_1456:
	s_mov_b32 s15, 0
                                        ; implicit-def: $vgpr6
	s_cbranch_execnz .LBB190_1461
.LBB190_1457:
	s_and_not1_b32 vcc_lo, exec_lo, s15
	s_cbranch_vccnz .LBB190_1462
.LBB190_1458:
	s_wait_loadcnt 0x0
	s_delay_alu instid0(VALU_DEP_1)
	v_maxmin_i32 v6, v1, s11, s2
	s_cbranch_execz .LBB190_1463
	s_branch .LBB190_1464
.LBB190_1459:
	s_mov_b32 s15, -1
                                        ; implicit-def: $vgpr6
.LBB190_1460:
	s_branch .LBB190_1457
.LBB190_1461:
	s_cmp_lg_u32 s10, 0
	s_mov_b32 s12, -1
	s_cselect_b32 s15, -1, 0
	s_delay_alu instid0(SALU_CYCLE_1)
	s_and_not1_b32 vcc_lo, exec_lo, s15
	s_cbranch_vccz .LBB190_1458
.LBB190_1462:
	s_and_not1_b32 vcc_lo, exec_lo, s12
	s_cbranch_vccnz .LBB190_1464
.LBB190_1463:
	s_wait_loadcnt 0x0
	s_delay_alu instid0(VALU_DEP_1)
	v_max_i32_e32 v6, s11, v1
.LBB190_1464:
	v_add_nc_u32_e32 v2, s9, v2
	s_cmp_lt_i32 s0, 11
	s_delay_alu instid0(VALU_DEP_1) | instskip(NEXT) | instid1(VALU_DEP_1)
	v_ashrrev_i32_e32 v3, 31, v2
	v_add_nc_u64_e32 v[2:3], s[6:7], v[2:3]
	s_cbranch_scc1 .LBB190_1471
; %bb.1465:
	s_cmp_gt_i32 s0, 25
	s_mov_b32 s7, 0
	s_cbranch_scc0 .LBB190_1472
; %bb.1466:
	s_cmp_gt_i32 s0, 28
	s_cbranch_scc0 .LBB190_1473
; %bb.1467:
	s_cmp_gt_i32 s0, 43
	;; [unrolled: 3-line block ×3, first 2 shown]
	s_cbranch_scc0 .LBB190_1476
; %bb.1469:
	s_cmp_eq_u32 s0, 46
	s_mov_b32 s12, 0
	s_cbranch_scc0 .LBB190_1477
; %bb.1470:
	s_wait_loadcnt 0x0
	global_load_b32 v1, v[2:3], off
	s_mov_b32 s6, 0
	s_mov_b32 s9, -1
	s_wait_loadcnt 0x0
	v_lshlrev_b32_e32 v1, 16, v1
	s_delay_alu instid0(VALU_DEP_1)
	v_cvt_i32_f32_e32 v1, v1
	s_branch .LBB190_1479
.LBB190_1471:
	s_mov_b32 s6, -1
	s_mov_b32 s9, 0
                                        ; implicit-def: $vgpr1
	s_branch .LBB190_1541
.LBB190_1472:
	s_mov_b32 s12, -1
	s_mov_b32 s9, 0
	s_mov_b32 s6, 0
                                        ; implicit-def: $vgpr1
	s_branch .LBB190_1506
.LBB190_1473:
	s_mov_b32 s12, -1
	s_mov_b32 s9, 0
	s_mov_b32 s6, 0
                                        ; implicit-def: $vgpr1
	s_branch .LBB190_1489
.LBB190_1474:
	s_mov_b32 s12, -1
	s_mov_b32 s9, 0
	s_mov_b32 s6, 0
                                        ; implicit-def: $vgpr1
	s_branch .LBB190_1484
.LBB190_1475:
	s_or_b32 s1, s1, exec_lo
	s_trap 2
	s_cbranch_execz .LBB190_1403
	s_branch .LBB190_1404
.LBB190_1476:
	s_mov_b32 s12, -1
	s_mov_b32 s9, 0
	s_mov_b32 s6, 0
	s_branch .LBB190_1478
.LBB190_1477:
	s_mov_b32 s6, -1
	s_mov_b32 s9, 0
.LBB190_1478:
                                        ; implicit-def: $vgpr1
.LBB190_1479:
	s_and_b32 vcc_lo, exec_lo, s12
	s_cbranch_vccz .LBB190_1483
; %bb.1480:
	s_cmp_eq_u32 s0, 44
	s_cbranch_scc0 .LBB190_1482
; %bb.1481:
	s_wait_loadcnt 0x0
	global_load_u8 v1, v[2:3], off
	s_mov_b32 s6, 0
	s_mov_b32 s9, -1
	s_wait_loadcnt 0x0
	v_lshlrev_b32_e32 v5, 23, v1
	v_cmp_ne_u32_e32 vcc_lo, 0, v1
	s_delay_alu instid0(VALU_DEP_2) | instskip(NEXT) | instid1(VALU_DEP_1)
	v_cvt_i32_f32_e32 v5, v5
	v_cndmask_b32_e32 v1, 0, v5, vcc_lo
	s_branch .LBB190_1483
.LBB190_1482:
	s_mov_b32 s6, -1
                                        ; implicit-def: $vgpr1
.LBB190_1483:
	s_mov_b32 s12, 0
.LBB190_1484:
	s_delay_alu instid0(SALU_CYCLE_1)
	s_and_b32 vcc_lo, exec_lo, s12
	s_cbranch_vccz .LBB190_1488
; %bb.1485:
	s_cmp_eq_u32 s0, 29
	s_cbranch_scc0 .LBB190_1487
; %bb.1486:
	s_wait_loadcnt 0x0
	global_load_b32 v1, v[2:3], off
	s_mov_b32 s6, 0
	s_mov_b32 s9, -1
	s_branch .LBB190_1488
.LBB190_1487:
	s_mov_b32 s6, -1
                                        ; implicit-def: $vgpr1
.LBB190_1488:
	s_mov_b32 s12, 0
.LBB190_1489:
	s_delay_alu instid0(SALU_CYCLE_1)
	s_and_b32 vcc_lo, exec_lo, s12
	s_cbranch_vccz .LBB190_1505
; %bb.1490:
	s_cmp_lt_i32 s0, 27
	s_cbranch_scc1 .LBB190_1493
; %bb.1491:
	s_cmp_gt_i32 s0, 27
	s_cbranch_scc0 .LBB190_1494
; %bb.1492:
	s_wait_loadcnt 0x0
	global_load_b32 v1, v[2:3], off
	s_mov_b32 s9, 0
	s_branch .LBB190_1495
.LBB190_1493:
	s_mov_b32 s9, -1
                                        ; implicit-def: $vgpr1
	s_branch .LBB190_1498
.LBB190_1494:
	s_mov_b32 s9, -1
                                        ; implicit-def: $vgpr1
.LBB190_1495:
	s_delay_alu instid0(SALU_CYCLE_1)
	s_and_not1_b32 vcc_lo, exec_lo, s9
	s_cbranch_vccnz .LBB190_1497
; %bb.1496:
	s_wait_loadcnt 0x0
	global_load_u16 v1, v[2:3], off
.LBB190_1497:
	s_mov_b32 s9, 0
.LBB190_1498:
	s_delay_alu instid0(SALU_CYCLE_1)
	s_and_not1_b32 vcc_lo, exec_lo, s9
	s_cbranch_vccnz .LBB190_1504
; %bb.1499:
	global_load_u8 v5, v[2:3], off
	s_mov_b32 s12, 0
	s_mov_b32 s9, exec_lo
	s_wait_loadcnt 0x0
	v_cmpx_lt_i16_e32 0x7f, v5
	s_xor_b32 s9, exec_lo, s9
	s_cbranch_execz .LBB190_1516
; %bb.1500:
	v_cmp_ne_u16_e32 vcc_lo, 0x80, v5
	s_and_b32 s12, vcc_lo, exec_lo
	s_and_not1_saveexec_b32 s9, s9
	s_cbranch_execnz .LBB190_1517
.LBB190_1501:
	s_or_b32 exec_lo, exec_lo, s9
	v_mov_b32_e32 v1, 0
	s_and_saveexec_b32 s9, s12
	s_cbranch_execz .LBB190_1503
.LBB190_1502:
	v_and_b32_e32 v1, 0xffff, v5
	v_lshlrev_b32_e32 v5, 24, v5
	s_delay_alu instid0(VALU_DEP_2) | instskip(SKIP_1) | instid1(VALU_DEP_3)
	v_and_b32_e32 v7, 7, v1
	v_bfe_u32 v11, v1, 3, 4
	v_and_b32_e32 v5, 0x80000000, v5
	s_delay_alu instid0(VALU_DEP_3) | instskip(NEXT) | instid1(VALU_DEP_3)
	v_clz_i32_u32_e32 v9, v7
	v_cmp_eq_u32_e32 vcc_lo, 0, v11
	s_delay_alu instid0(VALU_DEP_2) | instskip(NEXT) | instid1(VALU_DEP_1)
	v_min_u32_e32 v9, 32, v9
	v_subrev_nc_u32_e32 v10, 28, v9
	v_sub_nc_u32_e32 v9, 29, v9
	s_delay_alu instid0(VALU_DEP_2) | instskip(NEXT) | instid1(VALU_DEP_2)
	v_lshlrev_b32_e32 v1, v10, v1
	v_cndmask_b32_e32 v9, v11, v9, vcc_lo
	s_delay_alu instid0(VALU_DEP_2) | instskip(NEXT) | instid1(VALU_DEP_1)
	v_and_b32_e32 v1, 7, v1
	v_cndmask_b32_e32 v1, v7, v1, vcc_lo
	s_delay_alu instid0(VALU_DEP_3) | instskip(NEXT) | instid1(VALU_DEP_2)
	v_lshl_add_u32 v7, v9, 23, 0x3b800000
	v_lshlrev_b32_e32 v1, 20, v1
	s_delay_alu instid0(VALU_DEP_1) | instskip(NEXT) | instid1(VALU_DEP_1)
	v_or3_b32 v1, v5, v7, v1
	v_cvt_i32_f32_e32 v1, v1
.LBB190_1503:
	s_or_b32 exec_lo, exec_lo, s9
.LBB190_1504:
	s_mov_b32 s9, -1
.LBB190_1505:
	s_mov_b32 s12, 0
.LBB190_1506:
	s_delay_alu instid0(SALU_CYCLE_1)
	s_and_b32 vcc_lo, exec_lo, s12
	s_cbranch_vccz .LBB190_1537
; %bb.1507:
	s_cmp_gt_i32 s0, 22
	s_cbranch_scc0 .LBB190_1515
; %bb.1508:
	s_cmp_lt_i32 s0, 24
	s_cbranch_scc1 .LBB190_1518
; %bb.1509:
	s_cmp_gt_i32 s0, 24
	s_cbranch_scc0 .LBB190_1519
; %bb.1510:
	global_load_u8 v5, v[2:3], off
	s_mov_b32 s9, 0
	s_mov_b32 s7, exec_lo
	s_wait_loadcnt 0x0
	v_cmpx_lt_i16_e32 0x7f, v5
	s_xor_b32 s7, exec_lo, s7
	s_cbranch_execz .LBB190_1531
; %bb.1511:
	v_cmp_ne_u16_e32 vcc_lo, 0x80, v5
	s_and_b32 s9, vcc_lo, exec_lo
	s_and_not1_saveexec_b32 s7, s7
	s_cbranch_execnz .LBB190_1532
.LBB190_1512:
	s_or_b32 exec_lo, exec_lo, s7
	v_mov_b32_e32 v1, 0
	s_and_saveexec_b32 s7, s9
	s_cbranch_execz .LBB190_1514
.LBB190_1513:
	v_and_b32_e32 v1, 0xffff, v5
	v_lshlrev_b32_e32 v5, 24, v5
	s_delay_alu instid0(VALU_DEP_2) | instskip(SKIP_1) | instid1(VALU_DEP_3)
	v_and_b32_e32 v7, 3, v1
	v_bfe_u32 v11, v1, 2, 5
	v_and_b32_e32 v5, 0x80000000, v5
	s_delay_alu instid0(VALU_DEP_3) | instskip(NEXT) | instid1(VALU_DEP_3)
	v_clz_i32_u32_e32 v9, v7
	v_cmp_eq_u32_e32 vcc_lo, 0, v11
	s_delay_alu instid0(VALU_DEP_2) | instskip(NEXT) | instid1(VALU_DEP_1)
	v_min_u32_e32 v9, 32, v9
	v_subrev_nc_u32_e32 v10, 29, v9
	v_sub_nc_u32_e32 v9, 30, v9
	s_delay_alu instid0(VALU_DEP_2) | instskip(NEXT) | instid1(VALU_DEP_2)
	v_lshlrev_b32_e32 v1, v10, v1
	v_cndmask_b32_e32 v9, v11, v9, vcc_lo
	s_delay_alu instid0(VALU_DEP_2) | instskip(NEXT) | instid1(VALU_DEP_1)
	v_and_b32_e32 v1, 3, v1
	v_cndmask_b32_e32 v1, v7, v1, vcc_lo
	s_delay_alu instid0(VALU_DEP_3) | instskip(NEXT) | instid1(VALU_DEP_2)
	v_lshl_add_u32 v7, v9, 23, 0x37800000
	v_lshlrev_b32_e32 v1, 21, v1
	s_delay_alu instid0(VALU_DEP_1) | instskip(NEXT) | instid1(VALU_DEP_1)
	v_or3_b32 v1, v5, v7, v1
	v_cvt_i32_f32_e32 v1, v1
.LBB190_1514:
	s_or_b32 exec_lo, exec_lo, s7
	s_mov_b32 s7, 0
	s_branch .LBB190_1520
.LBB190_1515:
	s_mov_b32 s7, -1
                                        ; implicit-def: $vgpr1
	s_branch .LBB190_1526
.LBB190_1516:
	s_and_not1_saveexec_b32 s9, s9
	s_cbranch_execz .LBB190_1501
.LBB190_1517:
	v_cmp_ne_u16_e32 vcc_lo, 0, v5
	s_and_not1_b32 s12, s12, exec_lo
	s_and_b32 s15, vcc_lo, exec_lo
	s_delay_alu instid0(SALU_CYCLE_1)
	s_or_b32 s12, s12, s15
	s_or_b32 exec_lo, exec_lo, s9
	v_mov_b32_e32 v1, 0
	s_and_saveexec_b32 s9, s12
	s_cbranch_execnz .LBB190_1502
	s_branch .LBB190_1503
.LBB190_1518:
	s_mov_b32 s7, -1
                                        ; implicit-def: $vgpr1
	s_branch .LBB190_1523
.LBB190_1519:
	s_mov_b32 s7, -1
                                        ; implicit-def: $vgpr1
.LBB190_1520:
	s_delay_alu instid0(SALU_CYCLE_1)
	s_and_b32 vcc_lo, exec_lo, s7
	s_cbranch_vccz .LBB190_1522
; %bb.1521:
	s_wait_loadcnt 0x0
	global_load_u8 v1, v[2:3], off
	s_wait_loadcnt 0x0
	v_lshlrev_b32_e32 v1, 24, v1
	s_delay_alu instid0(VALU_DEP_1) | instskip(NEXT) | instid1(VALU_DEP_1)
	v_and_b32_e32 v5, 0x7f000000, v1
	v_clz_i32_u32_e32 v7, v5
	v_cmp_ne_u32_e32 vcc_lo, 0, v5
	v_add_nc_u32_e32 v10, 0x1000000, v5
	s_delay_alu instid0(VALU_DEP_3) | instskip(NEXT) | instid1(VALU_DEP_1)
	v_min_u32_e32 v7, 32, v7
	v_sub_nc_u32_e64 v7, v7, 4 clamp
	s_delay_alu instid0(VALU_DEP_1) | instskip(NEXT) | instid1(VALU_DEP_1)
	v_dual_lshlrev_b32 v9, v7, v5 :: v_dual_lshlrev_b32 v7, 23, v7
	v_lshrrev_b32_e32 v9, 4, v9
	s_delay_alu instid0(VALU_DEP_1) | instskip(NEXT) | instid1(VALU_DEP_1)
	v_dual_sub_nc_u32 v7, v9, v7 :: v_dual_ashrrev_i32 v9, 8, v10
	v_add_nc_u32_e32 v7, 0x3c000000, v7
	s_delay_alu instid0(VALU_DEP_1) | instskip(NEXT) | instid1(VALU_DEP_1)
	v_and_or_b32 v7, 0x7f800000, v9, v7
	v_cndmask_b32_e32 v5, 0, v7, vcc_lo
	s_delay_alu instid0(VALU_DEP_1) | instskip(NEXT) | instid1(VALU_DEP_1)
	v_and_or_b32 v1, 0x80000000, v1, v5
	v_cvt_i32_f32_e32 v1, v1
.LBB190_1522:
	s_mov_b32 s7, 0
.LBB190_1523:
	s_delay_alu instid0(SALU_CYCLE_1)
	s_and_not1_b32 vcc_lo, exec_lo, s7
	s_cbranch_vccnz .LBB190_1525
; %bb.1524:
	s_wait_loadcnt 0x0
	global_load_u8 v1, v[2:3], off
	s_wait_loadcnt 0x0
	v_lshlrev_b32_e32 v5, 25, v1
	v_lshlrev_b16 v1, 8, v1
	s_delay_alu instid0(VALU_DEP_2) | instskip(NEXT) | instid1(VALU_DEP_2)
	v_lshrrev_b32_e32 v7, 4, v5
	v_and_or_b32 v9, 0x7f00, v1, 0.5
	v_cmp_gt_u32_e32 vcc_lo, 0x8000000, v5
	v_bfe_i32 v1, v1, 0, 16
	s_delay_alu instid0(VALU_DEP_4) | instskip(NEXT) | instid1(VALU_DEP_4)
	v_or_b32_e32 v7, 0x70000000, v7
	v_add_f32_e32 v9, -0.5, v9
	s_delay_alu instid0(VALU_DEP_2) | instskip(NEXT) | instid1(VALU_DEP_1)
	v_mul_f32_e32 v7, 0x7800000, v7
	v_cndmask_b32_e32 v5, v7, v9, vcc_lo
	s_delay_alu instid0(VALU_DEP_1) | instskip(NEXT) | instid1(VALU_DEP_1)
	v_and_or_b32 v1, 0x80000000, v1, v5
	v_cvt_i32_f32_e32 v1, v1
.LBB190_1525:
	s_mov_b32 s7, 0
	s_mov_b32 s9, -1
.LBB190_1526:
	s_and_not1_b32 vcc_lo, exec_lo, s7
	s_mov_b32 s7, 0
	s_cbranch_vccnz .LBB190_1537
; %bb.1527:
	s_cmp_gt_i32 s0, 14
	s_cbranch_scc0 .LBB190_1530
; %bb.1528:
	s_cmp_eq_u32 s0, 15
	s_cbranch_scc0 .LBB190_1533
; %bb.1529:
	s_wait_loadcnt 0x0
	global_load_u16 v1, v[2:3], off
	s_mov_b32 s6, 0
	s_mov_b32 s9, -1
	s_wait_loadcnt 0x0
	v_lshlrev_b32_e32 v1, 16, v1
	s_delay_alu instid0(VALU_DEP_1)
	v_cvt_i32_f32_e32 v1, v1
	s_branch .LBB190_1535
.LBB190_1530:
	s_mov_b32 s7, -1
	s_branch .LBB190_1534
.LBB190_1531:
	s_and_not1_saveexec_b32 s7, s7
	s_cbranch_execz .LBB190_1512
.LBB190_1532:
	v_cmp_ne_u16_e32 vcc_lo, 0, v5
	s_and_not1_b32 s9, s9, exec_lo
	s_and_b32 s12, vcc_lo, exec_lo
	s_delay_alu instid0(SALU_CYCLE_1)
	s_or_b32 s9, s9, s12
	s_or_b32 exec_lo, exec_lo, s7
	v_mov_b32_e32 v1, 0
	s_and_saveexec_b32 s7, s9
	s_cbranch_execnz .LBB190_1513
	s_branch .LBB190_1514
.LBB190_1533:
	s_mov_b32 s6, -1
.LBB190_1534:
                                        ; implicit-def: $vgpr1
.LBB190_1535:
	s_and_b32 vcc_lo, exec_lo, s7
	s_mov_b32 s7, 0
	s_cbranch_vccz .LBB190_1537
; %bb.1536:
	s_cmp_lg_u32 s0, 11
	s_mov_b32 s7, -1
	s_cselect_b32 s6, -1, 0
.LBB190_1537:
	s_delay_alu instid0(SALU_CYCLE_1)
	s_and_b32 vcc_lo, exec_lo, s6
	s_cbranch_vccnz .LBB190_2083
; %bb.1538:
	s_and_not1_b32 vcc_lo, exec_lo, s7
	s_cbranch_vccnz .LBB190_1540
.LBB190_1539:
	s_wait_loadcnt 0x0
	global_load_u8 v1, v[2:3], off
	s_mov_b32 s9, -1
	s_wait_loadcnt 0x0
	v_cmp_ne_u16_e32 vcc_lo, 0, v1
	v_cndmask_b32_e64 v1, 0, 1, vcc_lo
.LBB190_1540:
	s_mov_b32 s6, 0
.LBB190_1541:
	s_delay_alu instid0(SALU_CYCLE_1)
	s_and_b32 vcc_lo, exec_lo, s6
	s_cbranch_vccz .LBB190_1590
; %bb.1542:
	s_cmp_lt_i32 s0, 5
	s_cbranch_scc1 .LBB190_1547
; %bb.1543:
	s_cmp_lt_i32 s0, 8
	s_cbranch_scc1 .LBB190_1548
	;; [unrolled: 3-line block ×3, first 2 shown]
; %bb.1545:
	s_cmp_gt_i32 s0, 9
	s_cbranch_scc0 .LBB190_1550
; %bb.1546:
	global_load_b64 v[10:11], v[2:3], off
	s_mov_b32 s6, 0
	s_wait_loadcnt 0x0
	s_wait_xcnt 0x1
	v_cvt_i32_f64_e32 v1, v[10:11]
	s_branch .LBB190_1551
.LBB190_1547:
	s_mov_b32 s6, -1
                                        ; implicit-def: $vgpr1
	s_branch .LBB190_1569
.LBB190_1548:
	s_mov_b32 s6, -1
                                        ; implicit-def: $vgpr1
	s_branch .LBB190_1557
.LBB190_1549:
	s_mov_b32 s6, -1
                                        ; implicit-def: $vgpr1
	s_branch .LBB190_1554
.LBB190_1550:
	s_mov_b32 s6, -1
                                        ; implicit-def: $vgpr1
.LBB190_1551:
	s_delay_alu instid0(SALU_CYCLE_1)
	s_and_not1_b32 vcc_lo, exec_lo, s6
	s_cbranch_vccnz .LBB190_1553
; %bb.1552:
	s_wait_loadcnt 0x0
	global_load_b32 v1, v[2:3], off
	s_wait_loadcnt 0x0
	v_cvt_i32_f32_e32 v1, v1
.LBB190_1553:
	s_mov_b32 s6, 0
.LBB190_1554:
	s_delay_alu instid0(SALU_CYCLE_1)
	s_and_not1_b32 vcc_lo, exec_lo, s6
	s_cbranch_vccnz .LBB190_1556
; %bb.1555:
	s_wait_loadcnt 0x0
	global_load_b32 v1, v[2:3], off
	s_wait_loadcnt 0x0
	v_cvt_f32_f16_e32 v1, v1
	s_delay_alu instid0(VALU_DEP_1)
	v_cvt_i32_f32_e32 v1, v1
.LBB190_1556:
	s_mov_b32 s6, 0
.LBB190_1557:
	s_delay_alu instid0(SALU_CYCLE_1)
	s_and_not1_b32 vcc_lo, exec_lo, s6
	s_cbranch_vccnz .LBB190_1568
; %bb.1558:
	s_cmp_lt_i32 s0, 6
	s_cbranch_scc1 .LBB190_1561
; %bb.1559:
	s_cmp_gt_i32 s0, 6
	s_cbranch_scc0 .LBB190_1562
; %bb.1560:
	global_load_b64 v[10:11], v[2:3], off
	s_mov_b32 s6, 0
	s_wait_loadcnt 0x0
	s_wait_xcnt 0x1
	v_cvt_i32_f64_e32 v1, v[10:11]
	s_branch .LBB190_1563
.LBB190_1561:
	s_mov_b32 s6, -1
                                        ; implicit-def: $vgpr1
	s_branch .LBB190_1566
.LBB190_1562:
	s_mov_b32 s6, -1
                                        ; implicit-def: $vgpr1
.LBB190_1563:
	s_delay_alu instid0(SALU_CYCLE_1)
	s_and_not1_b32 vcc_lo, exec_lo, s6
	s_cbranch_vccnz .LBB190_1565
; %bb.1564:
	s_wait_loadcnt 0x0
	global_load_b32 v1, v[2:3], off
	s_wait_loadcnt 0x0
	v_cvt_i32_f32_e32 v1, v1
.LBB190_1565:
	s_mov_b32 s6, 0
.LBB190_1566:
	s_delay_alu instid0(SALU_CYCLE_1)
	s_and_not1_b32 vcc_lo, exec_lo, s6
	s_cbranch_vccnz .LBB190_1568
; %bb.1567:
	s_wait_loadcnt 0x0
	global_load_u16 v1, v[2:3], off
	s_wait_loadcnt 0x0
	v_cvt_f32_f16_e32 v1, v1
	s_delay_alu instid0(VALU_DEP_1)
	v_cvt_i32_f32_e32 v1, v1
.LBB190_1568:
	s_mov_b32 s6, 0
.LBB190_1569:
	s_delay_alu instid0(SALU_CYCLE_1)
	s_and_not1_b32 vcc_lo, exec_lo, s6
	s_cbranch_vccnz .LBB190_1589
; %bb.1570:
	s_cmp_lt_i32 s0, 2
	s_cbranch_scc1 .LBB190_1574
; %bb.1571:
	s_cmp_lt_i32 s0, 3
	s_cbranch_scc1 .LBB190_1575
; %bb.1572:
	s_cmp_gt_i32 s0, 3
	s_cbranch_scc0 .LBB190_1576
; %bb.1573:
	s_wait_loadcnt 0x0
	global_load_b32 v1, v[2:3], off
	s_mov_b32 s6, 0
	s_branch .LBB190_1577
.LBB190_1574:
	s_mov_b32 s6, -1
                                        ; implicit-def: $vgpr1
	s_branch .LBB190_1583
.LBB190_1575:
	s_mov_b32 s6, -1
                                        ; implicit-def: $vgpr1
	s_branch .LBB190_1580
.LBB190_1576:
	s_mov_b32 s6, -1
                                        ; implicit-def: $vgpr1
.LBB190_1577:
	s_delay_alu instid0(SALU_CYCLE_1)
	s_and_not1_b32 vcc_lo, exec_lo, s6
	s_cbranch_vccnz .LBB190_1579
; %bb.1578:
	s_wait_loadcnt 0x0
	global_load_b32 v1, v[2:3], off
.LBB190_1579:
	s_mov_b32 s6, 0
.LBB190_1580:
	s_delay_alu instid0(SALU_CYCLE_1)
	s_and_not1_b32 vcc_lo, exec_lo, s6
	s_cbranch_vccnz .LBB190_1582
; %bb.1581:
	s_wait_loadcnt 0x0
	global_load_i16 v1, v[2:3], off
.LBB190_1582:
	s_mov_b32 s6, 0
.LBB190_1583:
	s_delay_alu instid0(SALU_CYCLE_1)
	s_and_not1_b32 vcc_lo, exec_lo, s6
	s_cbranch_vccnz .LBB190_1589
; %bb.1584:
	s_cmp_gt_i32 s0, 0
	s_mov_b32 s0, 0
	s_cbranch_scc0 .LBB190_1586
; %bb.1585:
	s_wait_loadcnt 0x0
	global_load_i8 v1, v[2:3], off
	s_branch .LBB190_1587
.LBB190_1586:
	s_mov_b32 s0, -1
                                        ; implicit-def: $vgpr1
.LBB190_1587:
	s_delay_alu instid0(SALU_CYCLE_1)
	s_and_not1_b32 vcc_lo, exec_lo, s0
	s_cbranch_vccnz .LBB190_1589
; %bb.1588:
	s_wait_loadcnt 0x0
	global_load_u8 v1, v[2:3], off
.LBB190_1589:
	s_mov_b32 s9, -1
.LBB190_1590:
	s_delay_alu instid0(SALU_CYCLE_1)
	s_and_not1_b32 vcc_lo, exec_lo, s9
	s_cbranch_vccnz .LBB190_1594
; %bb.1591:
	s_cmp_lt_i32 s10, 1
	s_mov_b32 s0, 0
	s_cbranch_scc1 .LBB190_1639
; %bb.1592:
	s_cmp_eq_u32 s10, 1
	s_cbranch_scc0 .LBB190_1640
; %bb.1593:
	s_wait_loadcnt 0x0
	s_delay_alu instid0(VALU_DEP_1)
	v_min_i32_e32 v2, s11, v1
	s_mov_b32 s6, 0
	s_branch .LBB190_1641
.LBB190_1594:
	s_mov_b32 s0, 0
	s_mov_b32 s3, 0
                                        ; implicit-def: $sgpr15
                                        ; implicit-def: $vgpr0_vgpr1
                                        ; implicit-def: $vgpr2
.LBB190_1595:
	s_and_not1_b32 s2, s14, exec_lo
	s_and_b32 s4, s1, exec_lo
	s_and_b32 s0, s0, exec_lo
	s_and_b32 s1, s3, exec_lo
	s_or_b32 s14, s2, s4
.LBB190_1596:
	s_wait_xcnt 0x0
	s_or_b32 exec_lo, exec_lo, s13
	s_and_saveexec_b32 s2, s14
	s_cbranch_execz .LBB190_1599
; %bb.1597:
	; divergent unreachable
	s_or_b32 exec_lo, exec_lo, s2
	s_and_saveexec_b32 s2, s1
	s_delay_alu instid0(SALU_CYCLE_1)
	s_xor_b32 s1, exec_lo, s2
	s_cbranch_execnz .LBB190_1600
.LBB190_1598:
	s_or_b32 exec_lo, exec_lo, s1
	s_and_saveexec_b32 s1, s0
	s_cbranch_execnz .LBB190_1601
	s_branch .LBB190_1638
.LBB190_1599:
	s_or_b32 exec_lo, exec_lo, s2
	s_and_saveexec_b32 s2, s1
	s_delay_alu instid0(SALU_CYCLE_1)
	s_xor_b32 s1, exec_lo, s2
	s_cbranch_execz .LBB190_1598
.LBB190_1600:
	s_wait_loadcnt 0x0
	v_cmp_ne_u32_e32 vcc_lo, 0, v2
	v_cndmask_b32_e64 v3, 0, 1, vcc_lo
	global_store_b8 v[0:1], v3, off
	s_wait_xcnt 0x0
	s_or_b32 exec_lo, exec_lo, s1
	s_and_saveexec_b32 s1, s0
	s_cbranch_execz .LBB190_1638
.LBB190_1601:
	s_sext_i32_i16 s1, s15
	s_mov_b32 s0, -1
	s_cmp_lt_i32 s1, 5
	s_cbranch_scc1 .LBB190_1622
; %bb.1602:
	s_cmp_lt_i32 s1, 8
	s_cbranch_scc1 .LBB190_1612
; %bb.1603:
	;; [unrolled: 3-line block ×3, first 2 shown]
	s_cmp_gt_i32 s1, 9
	s_cbranch_scc0 .LBB190_1606
; %bb.1605:
	s_wait_loadcnt 0x0
	v_cvt_f64_i32_e32 v[4:5], v2
	v_mov_b32_e32 v6, 0
	s_mov_b32 s0, 0
	s_delay_alu instid0(VALU_DEP_1)
	v_mov_b32_e32 v7, v6
	global_store_b128 v[0:1], v[4:7], off
.LBB190_1606:
	s_and_not1_b32 vcc_lo, exec_lo, s0
	s_cbranch_vccnz .LBB190_1608
; %bb.1607:
	s_wait_loadcnt 0x0
	v_cvt_f32_i32_e32 v4, v2
	v_mov_b32_e32 v5, 0
	global_store_b64 v[0:1], v[4:5], off
.LBB190_1608:
	s_mov_b32 s0, 0
.LBB190_1609:
	s_delay_alu instid0(SALU_CYCLE_1)
	s_and_not1_b32 vcc_lo, exec_lo, s0
	s_cbranch_vccnz .LBB190_1611
; %bb.1610:
	s_wait_loadcnt 0x0
	v_cvt_f32_i32_e32 v3, v2
	s_delay_alu instid0(VALU_DEP_1) | instskip(NEXT) | instid1(VALU_DEP_1)
	v_cvt_f16_f32_e32 v3, v3
	v_and_b32_e32 v3, 0xffff, v3
	global_store_b32 v[0:1], v3, off
.LBB190_1611:
	s_mov_b32 s0, 0
.LBB190_1612:
	s_delay_alu instid0(SALU_CYCLE_1)
	s_and_not1_b32 vcc_lo, exec_lo, s0
	s_cbranch_vccnz .LBB190_1621
; %bb.1613:
	s_sext_i32_i16 s1, s15
	s_mov_b32 s0, -1
	s_cmp_lt_i32 s1, 6
	s_cbranch_scc1 .LBB190_1619
; %bb.1614:
	s_cmp_gt_i32 s1, 6
	s_cbranch_scc0 .LBB190_1616
; %bb.1615:
	s_wait_loadcnt 0x0
	v_cvt_f64_i32_e32 v[4:5], v2
	s_mov_b32 s0, 0
	global_store_b64 v[0:1], v[4:5], off
.LBB190_1616:
	s_and_not1_b32 vcc_lo, exec_lo, s0
	s_cbranch_vccnz .LBB190_1618
; %bb.1617:
	s_wait_loadcnt 0x0
	v_cvt_f32_i32_e32 v3, v2
	global_store_b32 v[0:1], v3, off
.LBB190_1618:
	s_mov_b32 s0, 0
.LBB190_1619:
	s_delay_alu instid0(SALU_CYCLE_1)
	s_and_not1_b32 vcc_lo, exec_lo, s0
	s_cbranch_vccnz .LBB190_1621
; %bb.1620:
	s_wait_loadcnt 0x0
	v_cvt_f32_i32_e32 v3, v2
	s_delay_alu instid0(VALU_DEP_1)
	v_cvt_f16_f32_e32 v3, v3
	global_store_b16 v[0:1], v3, off
.LBB190_1621:
	s_mov_b32 s0, 0
.LBB190_1622:
	s_delay_alu instid0(SALU_CYCLE_1)
	s_and_not1_b32 vcc_lo, exec_lo, s0
	s_cbranch_vccnz .LBB190_1638
; %bb.1623:
	s_sext_i32_i16 s1, s15
	s_mov_b32 s0, -1
	s_cmp_lt_i32 s1, 2
	s_cbranch_scc1 .LBB190_1633
; %bb.1624:
	s_cmp_lt_i32 s1, 3
	s_cbranch_scc1 .LBB190_1630
; %bb.1625:
	s_cmp_gt_i32 s1, 3
	s_cbranch_scc0 .LBB190_1627
; %bb.1626:
	s_wait_loadcnt 0x0
	v_ashrrev_i32_e32 v3, 31, v2
	s_mov_b32 s0, 0
	global_store_b64 v[0:1], v[2:3], off
.LBB190_1627:
	s_and_not1_b32 vcc_lo, exec_lo, s0
	s_cbranch_vccnz .LBB190_1629
; %bb.1628:
	s_wait_loadcnt 0x0
	global_store_b32 v[0:1], v2, off
.LBB190_1629:
	s_mov_b32 s0, 0
.LBB190_1630:
	s_delay_alu instid0(SALU_CYCLE_1)
	s_and_not1_b32 vcc_lo, exec_lo, s0
	s_cbranch_vccnz .LBB190_1632
; %bb.1631:
	s_wait_loadcnt 0x0
	global_store_b16 v[0:1], v2, off
.LBB190_1632:
	s_mov_b32 s0, 0
.LBB190_1633:
	s_delay_alu instid0(SALU_CYCLE_1)
	s_and_not1_b32 vcc_lo, exec_lo, s0
	s_cbranch_vccnz .LBB190_1638
; %bb.1634:
	s_sext_i32_i16 s0, s15
	s_delay_alu instid0(SALU_CYCLE_1)
	s_cmp_gt_i32 s0, 0
	s_mov_b32 s0, -1
	s_cbranch_scc0 .LBB190_1636
; %bb.1635:
	s_mov_b32 s0, 0
	s_wait_loadcnt 0x0
	global_store_b8 v[0:1], v2, off
.LBB190_1636:
	s_and_not1_b32 vcc_lo, exec_lo, s0
	s_cbranch_vccnz .LBB190_1638
; %bb.1637:
	s_wait_loadcnt 0x0
	global_store_b8 v[0:1], v2, off
	s_endpgm
.LBB190_1638:
	s_endpgm
.LBB190_1639:
	s_mov_b32 s7, -1
	s_mov_b32 s6, 0
                                        ; implicit-def: $vgpr2
	s_branch .LBB190_1642
.LBB190_1640:
	s_mov_b32 s6, -1
                                        ; implicit-def: $vgpr2
.LBB190_1641:
	s_mov_b32 s7, 0
.LBB190_1642:
	s_delay_alu instid0(SALU_CYCLE_1)
	s_and_b32 vcc_lo, exec_lo, s7
	s_cbranch_vccz .LBB190_1724
; %bb.1643:
	s_cmp_lg_u32 s10, 0
	s_mov_b32 s0, -1
	s_cselect_b32 s6, -1, 0
	s_delay_alu instid0(SALU_CYCLE_1)
	s_and_not1_b32 vcc_lo, exec_lo, s6
	s_cbranch_vccz .LBB190_1725
.LBB190_1644:
	s_and_not1_b32 vcc_lo, exec_lo, s0
	s_cbranch_vccnz .LBB190_1646
.LBB190_1645:
	s_wait_loadcnt 0x0
	s_delay_alu instid0(VALU_DEP_1)
	v_max_i32_e32 v2, s11, v1
.LBB190_1646:
	v_mul_lo_u32 v8, s8, v8
	s_and_b32 s15, s3, 0xff
	s_delay_alu instid0(SALU_CYCLE_1) | instskip(NEXT) | instid1(VALU_DEP_1)
	s_cmp_lt_i32 s15, 11
	v_ashrrev_i32_e32 v9, 31, v8
	s_delay_alu instid0(VALU_DEP_1)
	v_add_nc_u64_e32 v[10:11], s[4:5], v[8:9]
	s_cbranch_scc1 .LBB190_1726
; %bb.1647:
	s_and_b32 s2, 0xffff, s15
	s_mov_b32 s7, -1
	s_mov_b32 s3, 0
	s_cmp_gt_i32 s2, 25
	s_mov_b32 s6, 0
	s_mov_b32 s0, 0
	s_cbranch_scc0 .LBB190_1680
; %bb.1648:
	s_cmp_gt_i32 s2, 28
	s_cbranch_scc0 .LBB190_1663
; %bb.1649:
	s_cmp_gt_i32 s2, 43
	;; [unrolled: 3-line block ×3, first 2 shown]
	s_cbranch_scc0 .LBB190_1653
; %bb.1651:
	s_mov_b32 s0, -1
	s_mov_b32 s7, 0
	s_cmp_eq_u32 s2, 46
	s_cbranch_scc0 .LBB190_1653
; %bb.1652:
	s_wait_loadcnt 0x0
	v_cvt_f32_i32_e32 v1, v0
	s_mov_b32 s0, 0
	s_mov_b32 s6, -1
	s_delay_alu instid0(VALU_DEP_1) | instskip(NEXT) | instid1(VALU_DEP_1)
	v_bfe_u32 v3, v1, 16, 1
	v_add3_u32 v1, v1, v3, 0x7fff
	s_delay_alu instid0(VALU_DEP_1)
	v_lshrrev_b32_e32 v1, 16, v1
	global_store_b32 v[10:11], v1, off
.LBB190_1653:
	s_and_b32 vcc_lo, exec_lo, s7
	s_cbranch_vccz .LBB190_1658
; %bb.1654:
	s_cmp_eq_u32 s2, 44
	s_mov_b32 s0, -1
	s_cbranch_scc0 .LBB190_1658
; %bb.1655:
	s_wait_loadcnt 0x0
	v_cvt_f32_i32_e32 v1, v0
	v_mov_b32_e32 v3, 0xff
	s_mov_b32 s6, exec_lo
	s_delay_alu instid0(VALU_DEP_2) | instskip(NEXT) | instid1(VALU_DEP_1)
	v_bfe_u32 v5, v1, 23, 8
	v_cmpx_ne_u32_e32 0xff, v5
	s_cbranch_execz .LBB190_1657
; %bb.1656:
	v_and_b32_e32 v3, 0x400000, v1
	v_and_or_b32 v5, 0x3fffff, v1, v5
	v_lshrrev_b32_e32 v1, 23, v1
	s_delay_alu instid0(VALU_DEP_3) | instskip(NEXT) | instid1(VALU_DEP_3)
	v_cmp_ne_u32_e32 vcc_lo, 0, v3
	v_cmp_ne_u32_e64 s0, 0, v5
	s_and_b32 s0, vcc_lo, s0
	s_delay_alu instid0(SALU_CYCLE_1) | instskip(NEXT) | instid1(VALU_DEP_1)
	v_cndmask_b32_e64 v3, 0, 1, s0
	v_add_nc_u32_e32 v3, v1, v3
.LBB190_1657:
	s_or_b32 exec_lo, exec_lo, s6
	s_mov_b32 s0, 0
	s_mov_b32 s6, -1
	global_store_b8 v[10:11], v3, off
.LBB190_1658:
	s_mov_b32 s7, 0
.LBB190_1659:
	s_delay_alu instid0(SALU_CYCLE_1)
	s_and_b32 vcc_lo, exec_lo, s7
	s_cbranch_vccz .LBB190_1662
; %bb.1660:
	s_cmp_eq_u32 s2, 29
	s_mov_b32 s0, -1
	s_cbranch_scc0 .LBB190_1662
; %bb.1661:
	s_wait_loadcnt 0x0
	v_ashrrev_i32_e32 v1, 31, v0
	s_mov_b32 s0, 0
	s_mov_b32 s6, -1
	global_store_b64 v[10:11], v[0:1], off
.LBB190_1662:
	s_mov_b32 s7, 0
.LBB190_1663:
	s_delay_alu instid0(SALU_CYCLE_1)
	s_and_b32 vcc_lo, exec_lo, s7
	s_cbranch_vccz .LBB190_1679
; %bb.1664:
	s_cmp_lt_i32 s2, 27
	s_mov_b32 s6, -1
	s_cbranch_scc1 .LBB190_1670
; %bb.1665:
	s_cmp_gt_i32 s2, 27
	s_cbranch_scc0 .LBB190_1667
; %bb.1666:
	s_mov_b32 s6, 0
	global_store_b32 v[10:11], v0, off
.LBB190_1667:
	s_and_not1_b32 vcc_lo, exec_lo, s6
	s_cbranch_vccnz .LBB190_1669
; %bb.1668:
	global_store_b16 v[10:11], v0, off
.LBB190_1669:
	s_mov_b32 s6, 0
.LBB190_1670:
	s_delay_alu instid0(SALU_CYCLE_1)
	s_and_not1_b32 vcc_lo, exec_lo, s6
	s_cbranch_vccnz .LBB190_1678
; %bb.1671:
	s_wait_loadcnt 0x0
	v_cvt_f32_i32_e32 v1, v0
	v_mov_b32_e32 v5, 0x80
	s_mov_b32 s6, exec_lo
	s_delay_alu instid0(VALU_DEP_2) | instskip(NEXT) | instid1(VALU_DEP_1)
	v_and_b32_e32 v3, 0x7fffffff, v1
	v_cmpx_gt_u32_e32 0x43800000, v3
	s_cbranch_execz .LBB190_1677
; %bb.1672:
	v_cmp_lt_u32_e32 vcc_lo, 0x3bffffff, v3
	s_mov_b32 s7, 0
                                        ; implicit-def: $vgpr3
	s_and_saveexec_b32 s9, vcc_lo
	s_delay_alu instid0(SALU_CYCLE_1)
	s_xor_b32 s9, exec_lo, s9
	s_cbranch_execz .LBB190_2084
; %bb.1673:
	v_bfe_u32 v3, v1, 20, 1
	s_mov_b32 s7, exec_lo
	s_delay_alu instid0(VALU_DEP_1) | instskip(NEXT) | instid1(VALU_DEP_1)
	v_add3_u32 v3, v1, v3, 0x487ffff
	v_lshrrev_b32_e32 v3, 20, v3
	s_and_not1_saveexec_b32 s9, s9
	s_cbranch_execnz .LBB190_2085
.LBB190_1674:
	s_or_b32 exec_lo, exec_lo, s9
	v_mov_b32_e32 v5, 0
	s_and_saveexec_b32 s9, s7
.LBB190_1675:
	v_lshrrev_b32_e32 v1, 24, v1
	s_delay_alu instid0(VALU_DEP_1)
	v_and_or_b32 v5, 0x80, v1, v3
.LBB190_1676:
	s_or_b32 exec_lo, exec_lo, s9
.LBB190_1677:
	s_delay_alu instid0(SALU_CYCLE_1)
	s_or_b32 exec_lo, exec_lo, s6
	global_store_b8 v[10:11], v5, off
.LBB190_1678:
	s_mov_b32 s6, -1
.LBB190_1679:
	s_mov_b32 s7, 0
.LBB190_1680:
	s_delay_alu instid0(SALU_CYCLE_1)
	s_and_b32 vcc_lo, exec_lo, s7
	s_cbranch_vccz .LBB190_1720
; %bb.1681:
	s_cmp_gt_i32 s2, 22
	s_mov_b32 s3, -1
	s_cbranch_scc0 .LBB190_1713
; %bb.1682:
	s_cmp_lt_i32 s2, 24
	s_cbranch_scc1 .LBB190_1702
; %bb.1683:
	s_cmp_gt_i32 s2, 24
	s_cbranch_scc0 .LBB190_1691
; %bb.1684:
	s_wait_loadcnt 0x0
	v_cvt_f32_i32_e32 v1, v0
	v_mov_b32_e32 v5, 0x80
	s_mov_b32 s3, exec_lo
	s_delay_alu instid0(VALU_DEP_2) | instskip(NEXT) | instid1(VALU_DEP_1)
	v_and_b32_e32 v3, 0x7fffffff, v1
	v_cmpx_gt_u32_e32 0x47800000, v3
	s_cbranch_execz .LBB190_1690
; %bb.1685:
	v_cmp_lt_u32_e32 vcc_lo, 0x37ffffff, v3
	s_mov_b32 s6, 0
                                        ; implicit-def: $vgpr3
	s_and_saveexec_b32 s7, vcc_lo
	s_delay_alu instid0(SALU_CYCLE_1)
	s_xor_b32 s7, exec_lo, s7
	s_cbranch_execz .LBB190_2087
; %bb.1686:
	v_bfe_u32 v3, v1, 21, 1
	s_mov_b32 s6, exec_lo
	s_delay_alu instid0(VALU_DEP_1) | instskip(NEXT) | instid1(VALU_DEP_1)
	v_add3_u32 v3, v1, v3, 0x88fffff
	v_lshrrev_b32_e32 v3, 21, v3
	s_and_not1_saveexec_b32 s7, s7
	s_cbranch_execnz .LBB190_2088
.LBB190_1687:
	s_or_b32 exec_lo, exec_lo, s7
	v_mov_b32_e32 v5, 0
	s_and_saveexec_b32 s7, s6
.LBB190_1688:
	v_lshrrev_b32_e32 v1, 24, v1
	s_delay_alu instid0(VALU_DEP_1)
	v_and_or_b32 v5, 0x80, v1, v3
.LBB190_1689:
	s_or_b32 exec_lo, exec_lo, s7
.LBB190_1690:
	s_delay_alu instid0(SALU_CYCLE_1)
	s_or_b32 exec_lo, exec_lo, s3
	s_mov_b32 s3, 0
	global_store_b8 v[10:11], v5, off
.LBB190_1691:
	s_and_b32 vcc_lo, exec_lo, s3
	s_cbranch_vccz .LBB190_1701
; %bb.1692:
	s_wait_loadcnt 0x0
	v_cvt_f32_i32_e32 v1, v0
	s_mov_b32 s3, exec_lo
                                        ; implicit-def: $vgpr3
	s_delay_alu instid0(VALU_DEP_1) | instskip(NEXT) | instid1(VALU_DEP_1)
	v_and_b32_e32 v5, 0x7fffffff, v1
	v_cmpx_gt_u32_e32 0x43f00000, v5
	s_xor_b32 s3, exec_lo, s3
	s_cbranch_execz .LBB190_1698
; %bb.1693:
	s_mov_b32 s6, exec_lo
                                        ; implicit-def: $vgpr3
	v_cmpx_lt_u32_e32 0x3c7fffff, v5
	s_xor_b32 s6, exec_lo, s6
; %bb.1694:
	v_bfe_u32 v3, v1, 20, 1
	s_delay_alu instid0(VALU_DEP_1) | instskip(NEXT) | instid1(VALU_DEP_1)
	v_add3_u32 v3, v1, v3, 0x407ffff
	v_and_b32_e32 v5, 0xff00000, v3
	v_lshrrev_b32_e32 v3, 20, v3
	s_delay_alu instid0(VALU_DEP_2) | instskip(NEXT) | instid1(VALU_DEP_2)
	v_cmp_ne_u32_e32 vcc_lo, 0x7f00000, v5
	v_cndmask_b32_e32 v3, 0x7e, v3, vcc_lo
; %bb.1695:
	s_and_not1_saveexec_b32 s6, s6
; %bb.1696:
	v_add_f32_e64 v3, 0x46800000, |v1|
; %bb.1697:
	s_or_b32 exec_lo, exec_lo, s6
                                        ; implicit-def: $vgpr5
.LBB190_1698:
	s_and_not1_saveexec_b32 s3, s3
; %bb.1699:
	v_mov_b32_e32 v3, 0x7f
	v_cmp_lt_u32_e32 vcc_lo, 0x7f800000, v5
	s_delay_alu instid0(VALU_DEP_2)
	v_cndmask_b32_e32 v3, 0x7e, v3, vcc_lo
; %bb.1700:
	s_or_b32 exec_lo, exec_lo, s3
	v_lshrrev_b32_e32 v1, 24, v1
	s_delay_alu instid0(VALU_DEP_1)
	v_and_or_b32 v1, 0x80, v1, v3
	global_store_b8 v[10:11], v1, off
.LBB190_1701:
	s_mov_b32 s3, 0
.LBB190_1702:
	s_delay_alu instid0(SALU_CYCLE_1)
	s_and_not1_b32 vcc_lo, exec_lo, s3
	s_cbranch_vccnz .LBB190_1712
; %bb.1703:
	s_wait_loadcnt 0x0
	v_cvt_f32_i32_e32 v1, v0
	s_mov_b32 s3, exec_lo
                                        ; implicit-def: $vgpr3
	s_delay_alu instid0(VALU_DEP_1) | instskip(NEXT) | instid1(VALU_DEP_1)
	v_and_b32_e32 v5, 0x7fffffff, v1
	v_cmpx_gt_u32_e32 0x47800000, v5
	s_xor_b32 s3, exec_lo, s3
	s_cbranch_execz .LBB190_1709
; %bb.1704:
	s_mov_b32 s6, exec_lo
                                        ; implicit-def: $vgpr3
	v_cmpx_lt_u32_e32 0x387fffff, v5
	s_xor_b32 s6, exec_lo, s6
; %bb.1705:
	v_bfe_u32 v3, v1, 21, 1
	s_delay_alu instid0(VALU_DEP_1) | instskip(NEXT) | instid1(VALU_DEP_1)
	v_add3_u32 v3, v1, v3, 0x80fffff
	v_lshrrev_b32_e32 v3, 21, v3
; %bb.1706:
	s_and_not1_saveexec_b32 s6, s6
; %bb.1707:
	v_add_f32_e64 v3, 0x43000000, |v1|
; %bb.1708:
	s_or_b32 exec_lo, exec_lo, s6
                                        ; implicit-def: $vgpr5
.LBB190_1709:
	s_and_not1_saveexec_b32 s3, s3
; %bb.1710:
	v_mov_b32_e32 v3, 0x7f
	v_cmp_lt_u32_e32 vcc_lo, 0x7f800000, v5
	s_delay_alu instid0(VALU_DEP_2)
	v_cndmask_b32_e32 v3, 0x7c, v3, vcc_lo
; %bb.1711:
	s_or_b32 exec_lo, exec_lo, s3
	v_lshrrev_b32_e32 v1, 24, v1
	s_delay_alu instid0(VALU_DEP_1)
	v_and_or_b32 v1, 0x80, v1, v3
	global_store_b8 v[10:11], v1, off
.LBB190_1712:
	s_mov_b32 s3, 0
	s_mov_b32 s6, -1
.LBB190_1713:
	s_and_not1_b32 vcc_lo, exec_lo, s3
	s_mov_b32 s3, 0
	s_cbranch_vccnz .LBB190_1720
; %bb.1714:
	s_cmp_gt_i32 s2, 14
	s_mov_b32 s3, -1
	s_cbranch_scc0 .LBB190_1718
; %bb.1715:
	s_cmp_eq_u32 s2, 15
	s_mov_b32 s0, -1
	s_cbranch_scc0 .LBB190_1717
; %bb.1716:
	s_wait_loadcnt 0x0
	v_cvt_f32_i32_e32 v1, v0
	s_mov_b32 s0, 0
	s_mov_b32 s6, -1
	s_delay_alu instid0(VALU_DEP_1) | instskip(NEXT) | instid1(VALU_DEP_1)
	v_bfe_u32 v3, v1, 16, 1
	v_add3_u32 v1, v1, v3, 0x7fff
	global_store_d16_hi_b16 v[10:11], v1, off
.LBB190_1717:
	s_mov_b32 s3, 0
.LBB190_1718:
	s_delay_alu instid0(SALU_CYCLE_1)
	s_and_b32 vcc_lo, exec_lo, s3
	s_mov_b32 s3, 0
	s_cbranch_vccz .LBB190_1720
; %bb.1719:
	s_cmp_lg_u32 s2, 11
	s_mov_b32 s3, -1
	s_cselect_b32 s0, -1, 0
.LBB190_1720:
	s_delay_alu instid0(SALU_CYCLE_1)
	s_and_b32 vcc_lo, exec_lo, s0
	s_cbranch_vccnz .LBB190_2086
; %bb.1721:
	s_and_not1_b32 vcc_lo, exec_lo, s3
	s_cbranch_vccnz .LBB190_1723
.LBB190_1722:
	v_cmp_ne_u32_e32 vcc_lo, 0, v0
	s_mov_b32 s6, -1
	s_wait_loadcnt 0x0
	v_cndmask_b32_e64 v1, 0, 1, vcc_lo
	global_store_b8 v[10:11], v1, off
.LBB190_1723:
	s_mov_b32 s0, 0
	s_branch .LBB190_1727
.LBB190_1724:
	s_and_not1_b32 vcc_lo, exec_lo, s6
	s_cbranch_vccnz .LBB190_1644
.LBB190_1725:
	s_wait_loadcnt 0x0
	s_delay_alu instid0(VALU_DEP_1)
	v_maxmin_i32 v2, v1, s11, s2
	s_cbranch_execz .LBB190_1645
	s_branch .LBB190_1646
.LBB190_1726:
	s_mov_b32 s0, -1
	s_mov_b32 s6, 0
.LBB190_1727:
	s_and_b32 vcc_lo, exec_lo, s0
	s_cbranch_vccz .LBB190_1766
; %bb.1728:
	s_and_b32 s0, 0xffff, s15
	s_mov_b32 s2, -1
	s_cmp_lt_i32 s0, 5
	s_cbranch_scc1 .LBB190_1749
; %bb.1729:
	s_cmp_lt_i32 s0, 8
	s_cbranch_scc1 .LBB190_1739
; %bb.1730:
	;; [unrolled: 3-line block ×3, first 2 shown]
	s_cmp_gt_i32 s0, 9
	s_cbranch_scc0 .LBB190_1733
; %bb.1732:
	v_cvt_f64_i32_e32 v[12:13], v0
	v_mov_b32_e32 v14, 0
	s_mov_b32 s2, 0
	s_delay_alu instid0(VALU_DEP_1)
	v_mov_b32_e32 v15, v14
	global_store_b128 v[10:11], v[12:15], off
.LBB190_1733:
	s_and_not1_b32 vcc_lo, exec_lo, s2
	s_cbranch_vccnz .LBB190_1735
; %bb.1734:
	s_wait_xcnt 0x0
	v_cvt_f32_i32_e32 v12, v0
	v_mov_b32_e32 v13, 0
	global_store_b64 v[10:11], v[12:13], off
.LBB190_1735:
	s_mov_b32 s2, 0
.LBB190_1736:
	s_delay_alu instid0(SALU_CYCLE_1)
	s_and_not1_b32 vcc_lo, exec_lo, s2
	s_cbranch_vccnz .LBB190_1738
; %bb.1737:
	s_wait_loadcnt 0x0
	v_cvt_f32_i32_e32 v1, v0
	s_delay_alu instid0(VALU_DEP_1) | instskip(NEXT) | instid1(VALU_DEP_1)
	v_cvt_f16_f32_e32 v1, v1
	v_and_b32_e32 v1, 0xffff, v1
	global_store_b32 v[10:11], v1, off
.LBB190_1738:
	s_mov_b32 s2, 0
.LBB190_1739:
	s_delay_alu instid0(SALU_CYCLE_1)
	s_and_not1_b32 vcc_lo, exec_lo, s2
	s_cbranch_vccnz .LBB190_1748
; %bb.1740:
	s_cmp_lt_i32 s0, 6
	s_mov_b32 s2, -1
	s_cbranch_scc1 .LBB190_1746
; %bb.1741:
	s_cmp_gt_i32 s0, 6
	s_cbranch_scc0 .LBB190_1743
; %bb.1742:
	s_wait_xcnt 0x0
	v_cvt_f64_i32_e32 v[12:13], v0
	s_mov_b32 s2, 0
	global_store_b64 v[10:11], v[12:13], off
.LBB190_1743:
	s_and_not1_b32 vcc_lo, exec_lo, s2
	s_cbranch_vccnz .LBB190_1745
; %bb.1744:
	s_wait_loadcnt 0x0
	v_cvt_f32_i32_e32 v1, v0
	global_store_b32 v[10:11], v1, off
.LBB190_1745:
	s_mov_b32 s2, 0
.LBB190_1746:
	s_delay_alu instid0(SALU_CYCLE_1)
	s_and_not1_b32 vcc_lo, exec_lo, s2
	s_cbranch_vccnz .LBB190_1748
; %bb.1747:
	s_wait_loadcnt 0x0
	v_cvt_f32_i32_e32 v1, v0
	s_delay_alu instid0(VALU_DEP_1)
	v_cvt_f16_f32_e32 v1, v1
	global_store_b16 v[10:11], v1, off
.LBB190_1748:
	s_mov_b32 s2, 0
.LBB190_1749:
	s_delay_alu instid0(SALU_CYCLE_1)
	s_and_not1_b32 vcc_lo, exec_lo, s2
	s_cbranch_vccnz .LBB190_1765
; %bb.1750:
	s_cmp_lt_i32 s0, 2
	s_mov_b32 s2, -1
	s_cbranch_scc1 .LBB190_1760
; %bb.1751:
	s_cmp_lt_i32 s0, 3
	s_cbranch_scc1 .LBB190_1757
; %bb.1752:
	s_cmp_gt_i32 s0, 3
	s_cbranch_scc0 .LBB190_1754
; %bb.1753:
	s_wait_loadcnt 0x0
	v_ashrrev_i32_e32 v1, 31, v0
	s_mov_b32 s2, 0
	global_store_b64 v[10:11], v[0:1], off
.LBB190_1754:
	s_and_not1_b32 vcc_lo, exec_lo, s2
	s_cbranch_vccnz .LBB190_1756
; %bb.1755:
	global_store_b32 v[10:11], v0, off
.LBB190_1756:
	s_mov_b32 s2, 0
.LBB190_1757:
	s_delay_alu instid0(SALU_CYCLE_1)
	s_and_not1_b32 vcc_lo, exec_lo, s2
	s_cbranch_vccnz .LBB190_1759
; %bb.1758:
	global_store_b16 v[10:11], v0, off
.LBB190_1759:
	s_mov_b32 s2, 0
.LBB190_1760:
	s_delay_alu instid0(SALU_CYCLE_1)
	s_and_not1_b32 vcc_lo, exec_lo, s2
	s_cbranch_vccnz .LBB190_1765
; %bb.1761:
	s_cmp_gt_i32 s0, 0
	s_mov_b32 s0, -1
	s_cbranch_scc0 .LBB190_1763
; %bb.1762:
	s_mov_b32 s0, 0
	global_store_b8 v[10:11], v0, off
.LBB190_1763:
	s_and_not1_b32 vcc_lo, exec_lo, s0
	s_cbranch_vccnz .LBB190_1765
; %bb.1764:
	global_store_b8 v[10:11], v0, off
.LBB190_1765:
	s_mov_b32 s6, -1
.LBB190_1766:
	s_delay_alu instid0(SALU_CYCLE_1)
	s_and_not1_b32 vcc_lo, exec_lo, s6
	s_cbranch_vccnz .LBB190_2081
; %bb.1767:
	s_lshl_b32 s2, s8, 7
	s_cmp_lt_i32 s15, 11
	s_wait_xcnt 0x0
	v_add_nc_u32_e32 v0, s2, v8
	s_wait_loadcnt 0x0
	s_delay_alu instid0(VALU_DEP_1) | instskip(NEXT) | instid1(VALU_DEP_1)
	v_ashrrev_i32_e32 v1, 31, v0
	v_add_nc_u64_e32 v[8:9], s[4:5], v[0:1]
	s_cbranch_scc1 .LBB190_1845
; %bb.1768:
	s_and_b32 s3, 0xffff, s15
	s_mov_b32 s8, -1
	s_mov_b32 s6, 0
	s_cmp_gt_i32 s3, 25
	s_mov_b32 s7, 0
	s_mov_b32 s0, 0
	s_cbranch_scc0 .LBB190_1801
; %bb.1769:
	s_cmp_gt_i32 s3, 28
	s_cbranch_scc0 .LBB190_1784
; %bb.1770:
	s_cmp_gt_i32 s3, 43
	;; [unrolled: 3-line block ×3, first 2 shown]
	s_cbranch_scc0 .LBB190_1774
; %bb.1772:
	s_mov_b32 s0, -1
	s_mov_b32 s8, 0
	s_cmp_eq_u32 s3, 46
	s_cbranch_scc0 .LBB190_1774
; %bb.1773:
	v_cvt_f32_i32_e32 v1, v4
	s_mov_b32 s0, 0
	s_mov_b32 s7, -1
	s_delay_alu instid0(VALU_DEP_1) | instskip(NEXT) | instid1(VALU_DEP_1)
	v_bfe_u32 v3, v1, 16, 1
	v_add3_u32 v1, v1, v3, 0x7fff
	s_delay_alu instid0(VALU_DEP_1)
	v_lshrrev_b32_e32 v1, 16, v1
	global_store_b32 v[8:9], v1, off
.LBB190_1774:
	s_and_b32 vcc_lo, exec_lo, s8
	s_cbranch_vccz .LBB190_1779
; %bb.1775:
	s_cmp_eq_u32 s3, 44
	s_mov_b32 s0, -1
	s_cbranch_scc0 .LBB190_1779
; %bb.1776:
	s_wait_xcnt 0x0
	v_cvt_f32_i32_e32 v1, v4
	v_mov_b32_e32 v3, 0xff
	s_mov_b32 s7, exec_lo
	s_delay_alu instid0(VALU_DEP_2) | instskip(NEXT) | instid1(VALU_DEP_1)
	v_bfe_u32 v5, v1, 23, 8
	v_cmpx_ne_u32_e32 0xff, v5
	s_cbranch_execz .LBB190_1778
; %bb.1777:
	v_and_b32_e32 v3, 0x400000, v1
	v_and_or_b32 v5, 0x3fffff, v1, v5
	v_lshrrev_b32_e32 v1, 23, v1
	s_delay_alu instid0(VALU_DEP_3) | instskip(NEXT) | instid1(VALU_DEP_3)
	v_cmp_ne_u32_e32 vcc_lo, 0, v3
	v_cmp_ne_u32_e64 s0, 0, v5
	s_and_b32 s0, vcc_lo, s0
	s_delay_alu instid0(SALU_CYCLE_1) | instskip(NEXT) | instid1(VALU_DEP_1)
	v_cndmask_b32_e64 v3, 0, 1, s0
	v_add_nc_u32_e32 v3, v1, v3
.LBB190_1778:
	s_or_b32 exec_lo, exec_lo, s7
	s_mov_b32 s0, 0
	s_mov_b32 s7, -1
	global_store_b8 v[8:9], v3, off
.LBB190_1779:
	s_mov_b32 s8, 0
.LBB190_1780:
	s_delay_alu instid0(SALU_CYCLE_1)
	s_and_b32 vcc_lo, exec_lo, s8
	s_cbranch_vccz .LBB190_1783
; %bb.1781:
	s_cmp_eq_u32 s3, 29
	s_mov_b32 s0, -1
	s_cbranch_scc0 .LBB190_1783
; %bb.1782:
	v_ashrrev_i32_e32 v5, 31, v4
	s_mov_b32 s0, 0
	s_mov_b32 s7, -1
	global_store_b64 v[8:9], v[4:5], off
.LBB190_1783:
	s_mov_b32 s8, 0
.LBB190_1784:
	s_delay_alu instid0(SALU_CYCLE_1)
	s_and_b32 vcc_lo, exec_lo, s8
	s_cbranch_vccz .LBB190_1800
; %bb.1785:
	s_cmp_lt_i32 s3, 27
	s_mov_b32 s7, -1
	s_cbranch_scc1 .LBB190_1791
; %bb.1786:
	s_cmp_gt_i32 s3, 27
	s_cbranch_scc0 .LBB190_1788
; %bb.1787:
	s_mov_b32 s7, 0
	global_store_b32 v[8:9], v4, off
.LBB190_1788:
	s_and_not1_b32 vcc_lo, exec_lo, s7
	s_cbranch_vccnz .LBB190_1790
; %bb.1789:
	global_store_b16 v[8:9], v4, off
.LBB190_1790:
	s_mov_b32 s7, 0
.LBB190_1791:
	s_delay_alu instid0(SALU_CYCLE_1)
	s_and_not1_b32 vcc_lo, exec_lo, s7
	s_cbranch_vccnz .LBB190_1799
; %bb.1792:
	s_wait_xcnt 0x0
	v_cvt_f32_i32_e32 v1, v4
	v_mov_b32_e32 v5, 0x80
	s_mov_b32 s7, exec_lo
	s_delay_alu instid0(VALU_DEP_2) | instskip(NEXT) | instid1(VALU_DEP_1)
	v_and_b32_e32 v3, 0x7fffffff, v1
	v_cmpx_gt_u32_e32 0x43800000, v3
	s_cbranch_execz .LBB190_1798
; %bb.1793:
	v_cmp_lt_u32_e32 vcc_lo, 0x3bffffff, v3
	s_mov_b32 s8, 0
                                        ; implicit-def: $vgpr3
	s_and_saveexec_b32 s9, vcc_lo
	s_delay_alu instid0(SALU_CYCLE_1)
	s_xor_b32 s9, exec_lo, s9
	s_cbranch_execz .LBB190_2089
; %bb.1794:
	v_bfe_u32 v3, v1, 20, 1
	s_mov_b32 s8, exec_lo
	s_delay_alu instid0(VALU_DEP_1) | instskip(NEXT) | instid1(VALU_DEP_1)
	v_add3_u32 v3, v1, v3, 0x487ffff
	v_lshrrev_b32_e32 v3, 20, v3
	s_and_not1_saveexec_b32 s9, s9
	s_cbranch_execnz .LBB190_2090
.LBB190_1795:
	s_or_b32 exec_lo, exec_lo, s9
	v_mov_b32_e32 v5, 0
	s_and_saveexec_b32 s9, s8
.LBB190_1796:
	v_lshrrev_b32_e32 v1, 24, v1
	s_delay_alu instid0(VALU_DEP_1)
	v_and_or_b32 v5, 0x80, v1, v3
.LBB190_1797:
	s_or_b32 exec_lo, exec_lo, s9
.LBB190_1798:
	s_delay_alu instid0(SALU_CYCLE_1)
	s_or_b32 exec_lo, exec_lo, s7
	global_store_b8 v[8:9], v5, off
.LBB190_1799:
	s_mov_b32 s7, -1
.LBB190_1800:
	s_mov_b32 s8, 0
.LBB190_1801:
	s_delay_alu instid0(SALU_CYCLE_1)
	s_and_b32 vcc_lo, exec_lo, s8
	s_cbranch_vccz .LBB190_1841
; %bb.1802:
	s_cmp_gt_i32 s3, 22
	s_mov_b32 s6, -1
	s_cbranch_scc0 .LBB190_1834
; %bb.1803:
	s_cmp_lt_i32 s3, 24
	s_cbranch_scc1 .LBB190_1823
; %bb.1804:
	s_cmp_gt_i32 s3, 24
	s_cbranch_scc0 .LBB190_1812
; %bb.1805:
	s_wait_xcnt 0x0
	v_cvt_f32_i32_e32 v1, v4
	v_mov_b32_e32 v5, 0x80
	s_mov_b32 s6, exec_lo
	s_delay_alu instid0(VALU_DEP_2) | instskip(NEXT) | instid1(VALU_DEP_1)
	v_and_b32_e32 v3, 0x7fffffff, v1
	v_cmpx_gt_u32_e32 0x47800000, v3
	s_cbranch_execz .LBB190_1811
; %bb.1806:
	v_cmp_lt_u32_e32 vcc_lo, 0x37ffffff, v3
	s_mov_b32 s7, 0
                                        ; implicit-def: $vgpr3
	s_and_saveexec_b32 s8, vcc_lo
	s_delay_alu instid0(SALU_CYCLE_1)
	s_xor_b32 s8, exec_lo, s8
	s_cbranch_execz .LBB190_2092
; %bb.1807:
	v_bfe_u32 v3, v1, 21, 1
	s_mov_b32 s7, exec_lo
	s_delay_alu instid0(VALU_DEP_1) | instskip(NEXT) | instid1(VALU_DEP_1)
	v_add3_u32 v3, v1, v3, 0x88fffff
	v_lshrrev_b32_e32 v3, 21, v3
	s_and_not1_saveexec_b32 s8, s8
	s_cbranch_execnz .LBB190_2093
.LBB190_1808:
	s_or_b32 exec_lo, exec_lo, s8
	v_mov_b32_e32 v5, 0
	s_and_saveexec_b32 s8, s7
.LBB190_1809:
	v_lshrrev_b32_e32 v1, 24, v1
	s_delay_alu instid0(VALU_DEP_1)
	v_and_or_b32 v5, 0x80, v1, v3
.LBB190_1810:
	s_or_b32 exec_lo, exec_lo, s8
.LBB190_1811:
	s_delay_alu instid0(SALU_CYCLE_1)
	s_or_b32 exec_lo, exec_lo, s6
	s_mov_b32 s6, 0
	global_store_b8 v[8:9], v5, off
.LBB190_1812:
	s_and_b32 vcc_lo, exec_lo, s6
	s_cbranch_vccz .LBB190_1822
; %bb.1813:
	s_wait_xcnt 0x0
	v_cvt_f32_i32_e32 v1, v4
	s_mov_b32 s6, exec_lo
                                        ; implicit-def: $vgpr3
	s_delay_alu instid0(VALU_DEP_1) | instskip(NEXT) | instid1(VALU_DEP_1)
	v_and_b32_e32 v5, 0x7fffffff, v1
	v_cmpx_gt_u32_e32 0x43f00000, v5
	s_xor_b32 s6, exec_lo, s6
	s_cbranch_execz .LBB190_1819
; %bb.1814:
	s_mov_b32 s7, exec_lo
                                        ; implicit-def: $vgpr3
	v_cmpx_lt_u32_e32 0x3c7fffff, v5
	s_xor_b32 s7, exec_lo, s7
; %bb.1815:
	v_bfe_u32 v3, v1, 20, 1
	s_delay_alu instid0(VALU_DEP_1) | instskip(NEXT) | instid1(VALU_DEP_1)
	v_add3_u32 v3, v1, v3, 0x407ffff
	v_and_b32_e32 v5, 0xff00000, v3
	v_lshrrev_b32_e32 v3, 20, v3
	s_delay_alu instid0(VALU_DEP_2) | instskip(NEXT) | instid1(VALU_DEP_2)
	v_cmp_ne_u32_e32 vcc_lo, 0x7f00000, v5
	v_cndmask_b32_e32 v3, 0x7e, v3, vcc_lo
; %bb.1816:
	s_and_not1_saveexec_b32 s7, s7
; %bb.1817:
	v_add_f32_e64 v3, 0x46800000, |v1|
; %bb.1818:
	s_or_b32 exec_lo, exec_lo, s7
                                        ; implicit-def: $vgpr5
.LBB190_1819:
	s_and_not1_saveexec_b32 s6, s6
; %bb.1820:
	v_mov_b32_e32 v3, 0x7f
	v_cmp_lt_u32_e32 vcc_lo, 0x7f800000, v5
	s_delay_alu instid0(VALU_DEP_2)
	v_cndmask_b32_e32 v3, 0x7e, v3, vcc_lo
; %bb.1821:
	s_or_b32 exec_lo, exec_lo, s6
	v_lshrrev_b32_e32 v1, 24, v1
	s_delay_alu instid0(VALU_DEP_1)
	v_and_or_b32 v1, 0x80, v1, v3
	global_store_b8 v[8:9], v1, off
.LBB190_1822:
	s_mov_b32 s6, 0
.LBB190_1823:
	s_delay_alu instid0(SALU_CYCLE_1)
	s_and_not1_b32 vcc_lo, exec_lo, s6
	s_cbranch_vccnz .LBB190_1833
; %bb.1824:
	s_wait_xcnt 0x0
	v_cvt_f32_i32_e32 v1, v4
	s_mov_b32 s6, exec_lo
                                        ; implicit-def: $vgpr3
	s_delay_alu instid0(VALU_DEP_1) | instskip(NEXT) | instid1(VALU_DEP_1)
	v_and_b32_e32 v5, 0x7fffffff, v1
	v_cmpx_gt_u32_e32 0x47800000, v5
	s_xor_b32 s6, exec_lo, s6
	s_cbranch_execz .LBB190_1830
; %bb.1825:
	s_mov_b32 s7, exec_lo
                                        ; implicit-def: $vgpr3
	v_cmpx_lt_u32_e32 0x387fffff, v5
	s_xor_b32 s7, exec_lo, s7
; %bb.1826:
	v_bfe_u32 v3, v1, 21, 1
	s_delay_alu instid0(VALU_DEP_1) | instskip(NEXT) | instid1(VALU_DEP_1)
	v_add3_u32 v3, v1, v3, 0x80fffff
	v_lshrrev_b32_e32 v3, 21, v3
; %bb.1827:
	s_and_not1_saveexec_b32 s7, s7
; %bb.1828:
	v_add_f32_e64 v3, 0x43000000, |v1|
; %bb.1829:
	s_or_b32 exec_lo, exec_lo, s7
                                        ; implicit-def: $vgpr5
.LBB190_1830:
	s_and_not1_saveexec_b32 s6, s6
; %bb.1831:
	v_mov_b32_e32 v3, 0x7f
	v_cmp_lt_u32_e32 vcc_lo, 0x7f800000, v5
	s_delay_alu instid0(VALU_DEP_2)
	v_cndmask_b32_e32 v3, 0x7c, v3, vcc_lo
; %bb.1832:
	s_or_b32 exec_lo, exec_lo, s6
	v_lshrrev_b32_e32 v1, 24, v1
	s_delay_alu instid0(VALU_DEP_1)
	v_and_or_b32 v1, 0x80, v1, v3
	global_store_b8 v[8:9], v1, off
.LBB190_1833:
	s_mov_b32 s6, 0
	s_mov_b32 s7, -1
.LBB190_1834:
	s_and_not1_b32 vcc_lo, exec_lo, s6
	s_mov_b32 s6, 0
	s_cbranch_vccnz .LBB190_1841
; %bb.1835:
	s_cmp_gt_i32 s3, 14
	s_mov_b32 s6, -1
	s_cbranch_scc0 .LBB190_1839
; %bb.1836:
	s_cmp_eq_u32 s3, 15
	s_mov_b32 s0, -1
	s_cbranch_scc0 .LBB190_1838
; %bb.1837:
	s_wait_xcnt 0x0
	v_cvt_f32_i32_e32 v1, v4
	s_mov_b32 s0, 0
	s_mov_b32 s7, -1
	s_delay_alu instid0(VALU_DEP_1) | instskip(NEXT) | instid1(VALU_DEP_1)
	v_bfe_u32 v3, v1, 16, 1
	v_add3_u32 v1, v1, v3, 0x7fff
	global_store_d16_hi_b16 v[8:9], v1, off
.LBB190_1838:
	s_mov_b32 s6, 0
.LBB190_1839:
	s_delay_alu instid0(SALU_CYCLE_1)
	s_and_b32 vcc_lo, exec_lo, s6
	s_mov_b32 s6, 0
	s_cbranch_vccz .LBB190_1841
; %bb.1840:
	s_cmp_lg_u32 s3, 11
	s_mov_b32 s6, -1
	s_cselect_b32 s0, -1, 0
.LBB190_1841:
	s_delay_alu instid0(SALU_CYCLE_1)
	s_and_b32 vcc_lo, exec_lo, s0
	s_cbranch_vccnz .LBB190_2091
; %bb.1842:
	s_and_not1_b32 vcc_lo, exec_lo, s6
	s_cbranch_vccnz .LBB190_1844
.LBB190_1843:
	v_cmp_ne_u32_e32 vcc_lo, 0, v4
	s_mov_b32 s7, -1
	s_wait_xcnt 0x0
	v_cndmask_b32_e64 v1, 0, 1, vcc_lo
	global_store_b8 v[8:9], v1, off
.LBB190_1844:
	s_mov_b32 s0, 0
	s_branch .LBB190_1846
.LBB190_1845:
	s_mov_b32 s0, -1
	s_mov_b32 s7, 0
.LBB190_1846:
	s_and_b32 vcc_lo, exec_lo, s0
	s_cbranch_vccz .LBB190_1885
; %bb.1847:
	s_and_b32 s0, 0xffff, s15
	s_mov_b32 s3, -1
	s_cmp_lt_i32 s0, 5
	s_cbranch_scc1 .LBB190_1868
; %bb.1848:
	s_cmp_lt_i32 s0, 8
	s_cbranch_scc1 .LBB190_1858
; %bb.1849:
	;; [unrolled: 3-line block ×3, first 2 shown]
	s_cmp_gt_i32 s0, 9
	s_cbranch_scc0 .LBB190_1852
; %bb.1851:
	v_cvt_f64_i32_e32 v[10:11], v4
	v_mov_b32_e32 v12, 0
	s_mov_b32 s3, 0
	s_delay_alu instid0(VALU_DEP_1)
	v_mov_b32_e32 v13, v12
	global_store_b128 v[8:9], v[10:13], off
.LBB190_1852:
	s_and_not1_b32 vcc_lo, exec_lo, s3
	s_cbranch_vccnz .LBB190_1854
; %bb.1853:
	s_wait_xcnt 0x0
	v_cvt_f32_i32_e32 v10, v4
	v_mov_b32_e32 v11, 0
	global_store_b64 v[8:9], v[10:11], off
.LBB190_1854:
	s_mov_b32 s3, 0
.LBB190_1855:
	s_delay_alu instid0(SALU_CYCLE_1)
	s_and_not1_b32 vcc_lo, exec_lo, s3
	s_cbranch_vccnz .LBB190_1857
; %bb.1856:
	s_wait_xcnt 0x0
	v_cvt_f32_i32_e32 v1, v4
	s_delay_alu instid0(VALU_DEP_1) | instskip(NEXT) | instid1(VALU_DEP_1)
	v_cvt_f16_f32_e32 v1, v1
	v_and_b32_e32 v1, 0xffff, v1
	global_store_b32 v[8:9], v1, off
.LBB190_1857:
	s_mov_b32 s3, 0
.LBB190_1858:
	s_delay_alu instid0(SALU_CYCLE_1)
	s_and_not1_b32 vcc_lo, exec_lo, s3
	s_cbranch_vccnz .LBB190_1867
; %bb.1859:
	s_cmp_lt_i32 s0, 6
	s_mov_b32 s3, -1
	s_cbranch_scc1 .LBB190_1865
; %bb.1860:
	s_cmp_gt_i32 s0, 6
	s_cbranch_scc0 .LBB190_1862
; %bb.1861:
	s_wait_xcnt 0x0
	v_cvt_f64_i32_e32 v[10:11], v4
	s_mov_b32 s3, 0
	global_store_b64 v[8:9], v[10:11], off
.LBB190_1862:
	s_and_not1_b32 vcc_lo, exec_lo, s3
	s_cbranch_vccnz .LBB190_1864
; %bb.1863:
	s_wait_xcnt 0x0
	v_cvt_f32_i32_e32 v1, v4
	global_store_b32 v[8:9], v1, off
.LBB190_1864:
	s_mov_b32 s3, 0
.LBB190_1865:
	s_delay_alu instid0(SALU_CYCLE_1)
	s_and_not1_b32 vcc_lo, exec_lo, s3
	s_cbranch_vccnz .LBB190_1867
; %bb.1866:
	s_wait_xcnt 0x0
	v_cvt_f32_i32_e32 v1, v4
	s_delay_alu instid0(VALU_DEP_1)
	v_cvt_f16_f32_e32 v1, v1
	global_store_b16 v[8:9], v1, off
.LBB190_1867:
	s_mov_b32 s3, 0
.LBB190_1868:
	s_delay_alu instid0(SALU_CYCLE_1)
	s_and_not1_b32 vcc_lo, exec_lo, s3
	s_cbranch_vccnz .LBB190_1884
; %bb.1869:
	s_cmp_lt_i32 s0, 2
	s_mov_b32 s3, -1
	s_cbranch_scc1 .LBB190_1879
; %bb.1870:
	s_cmp_lt_i32 s0, 3
	s_cbranch_scc1 .LBB190_1876
; %bb.1871:
	s_cmp_gt_i32 s0, 3
	s_cbranch_scc0 .LBB190_1873
; %bb.1872:
	s_wait_xcnt 0x0
	v_ashrrev_i32_e32 v5, 31, v4
	s_mov_b32 s3, 0
	global_store_b64 v[8:9], v[4:5], off
.LBB190_1873:
	s_and_not1_b32 vcc_lo, exec_lo, s3
	s_cbranch_vccnz .LBB190_1875
; %bb.1874:
	global_store_b32 v[8:9], v4, off
.LBB190_1875:
	s_mov_b32 s3, 0
.LBB190_1876:
	s_delay_alu instid0(SALU_CYCLE_1)
	s_and_not1_b32 vcc_lo, exec_lo, s3
	s_cbranch_vccnz .LBB190_1878
; %bb.1877:
	global_store_b16 v[8:9], v4, off
.LBB190_1878:
	s_mov_b32 s3, 0
.LBB190_1879:
	s_delay_alu instid0(SALU_CYCLE_1)
	s_and_not1_b32 vcc_lo, exec_lo, s3
	s_cbranch_vccnz .LBB190_1884
; %bb.1880:
	s_cmp_gt_i32 s0, 0
	s_mov_b32 s0, -1
	s_cbranch_scc0 .LBB190_1882
; %bb.1881:
	s_mov_b32 s0, 0
	global_store_b8 v[8:9], v4, off
.LBB190_1882:
	s_and_not1_b32 vcc_lo, exec_lo, s0
	s_cbranch_vccnz .LBB190_1884
; %bb.1883:
	global_store_b8 v[8:9], v4, off
.LBB190_1884:
	s_mov_b32 s7, -1
.LBB190_1885:
	s_delay_alu instid0(SALU_CYCLE_1)
	s_and_not1_b32 vcc_lo, exec_lo, s7
	s_cbranch_vccnz .LBB190_2081
; %bb.1886:
	v_add_nc_u32_e32 v0, s2, v0
	s_cmp_lt_i32 s15, 11
	s_wait_xcnt 0x0
	s_delay_alu instid0(VALU_DEP_1) | instskip(NEXT) | instid1(VALU_DEP_1)
	v_ashrrev_i32_e32 v1, 31, v0
	v_add_nc_u64_e32 v[4:5], s[4:5], v[0:1]
	s_cbranch_scc1 .LBB190_1964
; %bb.1887:
	s_and_b32 s3, 0xffff, s15
	s_mov_b32 s8, -1
	s_mov_b32 s6, 0
	s_cmp_gt_i32 s3, 25
	s_mov_b32 s7, 0
	s_mov_b32 s0, 0
	s_cbranch_scc0 .LBB190_1920
; %bb.1888:
	s_cmp_gt_i32 s3, 28
	s_cbranch_scc0 .LBB190_1903
; %bb.1889:
	s_cmp_gt_i32 s3, 43
	;; [unrolled: 3-line block ×3, first 2 shown]
	s_cbranch_scc0 .LBB190_1893
; %bb.1891:
	s_mov_b32 s0, -1
	s_mov_b32 s8, 0
	s_cmp_eq_u32 s3, 46
	s_cbranch_scc0 .LBB190_1893
; %bb.1892:
	v_cvt_f32_i32_e32 v1, v6
	s_mov_b32 s0, 0
	s_mov_b32 s7, -1
	s_delay_alu instid0(VALU_DEP_1) | instskip(NEXT) | instid1(VALU_DEP_1)
	v_bfe_u32 v3, v1, 16, 1
	v_add3_u32 v1, v1, v3, 0x7fff
	s_delay_alu instid0(VALU_DEP_1)
	v_lshrrev_b32_e32 v1, 16, v1
	global_store_b32 v[4:5], v1, off
.LBB190_1893:
	s_and_b32 vcc_lo, exec_lo, s8
	s_cbranch_vccz .LBB190_1898
; %bb.1894:
	s_cmp_eq_u32 s3, 44
	s_mov_b32 s0, -1
	s_cbranch_scc0 .LBB190_1898
; %bb.1895:
	s_wait_xcnt 0x0
	v_cvt_f32_i32_e32 v1, v6
	v_mov_b32_e32 v3, 0xff
	s_mov_b32 s7, exec_lo
	s_delay_alu instid0(VALU_DEP_2) | instskip(NEXT) | instid1(VALU_DEP_1)
	v_bfe_u32 v7, v1, 23, 8
	v_cmpx_ne_u32_e32 0xff, v7
	s_cbranch_execz .LBB190_1897
; %bb.1896:
	v_and_b32_e32 v3, 0x400000, v1
	v_and_or_b32 v7, 0x3fffff, v1, v7
	v_lshrrev_b32_e32 v1, 23, v1
	s_delay_alu instid0(VALU_DEP_3) | instskip(NEXT) | instid1(VALU_DEP_3)
	v_cmp_ne_u32_e32 vcc_lo, 0, v3
	v_cmp_ne_u32_e64 s0, 0, v7
	s_and_b32 s0, vcc_lo, s0
	s_delay_alu instid0(SALU_CYCLE_1) | instskip(NEXT) | instid1(VALU_DEP_1)
	v_cndmask_b32_e64 v3, 0, 1, s0
	v_add_nc_u32_e32 v3, v1, v3
.LBB190_1897:
	s_or_b32 exec_lo, exec_lo, s7
	s_mov_b32 s0, 0
	s_mov_b32 s7, -1
	global_store_b8 v[4:5], v3, off
.LBB190_1898:
	s_mov_b32 s8, 0
.LBB190_1899:
	s_delay_alu instid0(SALU_CYCLE_1)
	s_and_b32 vcc_lo, exec_lo, s8
	s_cbranch_vccz .LBB190_1902
; %bb.1900:
	s_cmp_eq_u32 s3, 29
	s_mov_b32 s0, -1
	s_cbranch_scc0 .LBB190_1902
; %bb.1901:
	v_ashrrev_i32_e32 v7, 31, v6
	s_mov_b32 s0, 0
	s_mov_b32 s7, -1
	global_store_b64 v[4:5], v[6:7], off
.LBB190_1902:
	s_mov_b32 s8, 0
.LBB190_1903:
	s_delay_alu instid0(SALU_CYCLE_1)
	s_and_b32 vcc_lo, exec_lo, s8
	s_cbranch_vccz .LBB190_1919
; %bb.1904:
	s_cmp_lt_i32 s3, 27
	s_mov_b32 s7, -1
	s_cbranch_scc1 .LBB190_1910
; %bb.1905:
	s_cmp_gt_i32 s3, 27
	s_cbranch_scc0 .LBB190_1907
; %bb.1906:
	s_mov_b32 s7, 0
	global_store_b32 v[4:5], v6, off
.LBB190_1907:
	s_and_not1_b32 vcc_lo, exec_lo, s7
	s_cbranch_vccnz .LBB190_1909
; %bb.1908:
	global_store_b16 v[4:5], v6, off
.LBB190_1909:
	s_mov_b32 s7, 0
.LBB190_1910:
	s_delay_alu instid0(SALU_CYCLE_1)
	s_and_not1_b32 vcc_lo, exec_lo, s7
	s_cbranch_vccnz .LBB190_1918
; %bb.1911:
	s_wait_xcnt 0x0
	v_cvt_f32_i32_e32 v1, v6
	v_mov_b32_e32 v7, 0x80
	s_mov_b32 s7, exec_lo
	s_delay_alu instid0(VALU_DEP_2) | instskip(NEXT) | instid1(VALU_DEP_1)
	v_and_b32_e32 v3, 0x7fffffff, v1
	v_cmpx_gt_u32_e32 0x43800000, v3
	s_cbranch_execz .LBB190_1917
; %bb.1912:
	v_cmp_lt_u32_e32 vcc_lo, 0x3bffffff, v3
	s_mov_b32 s8, 0
                                        ; implicit-def: $vgpr3
	s_and_saveexec_b32 s9, vcc_lo
	s_delay_alu instid0(SALU_CYCLE_1)
	s_xor_b32 s9, exec_lo, s9
	s_cbranch_execz .LBB190_2094
; %bb.1913:
	v_bfe_u32 v3, v1, 20, 1
	s_mov_b32 s8, exec_lo
	s_delay_alu instid0(VALU_DEP_1) | instskip(NEXT) | instid1(VALU_DEP_1)
	v_add3_u32 v3, v1, v3, 0x487ffff
	v_lshrrev_b32_e32 v3, 20, v3
	s_and_not1_saveexec_b32 s9, s9
	s_cbranch_execnz .LBB190_2095
.LBB190_1914:
	s_or_b32 exec_lo, exec_lo, s9
	v_mov_b32_e32 v7, 0
	s_and_saveexec_b32 s9, s8
.LBB190_1915:
	v_lshrrev_b32_e32 v1, 24, v1
	s_delay_alu instid0(VALU_DEP_1)
	v_and_or_b32 v7, 0x80, v1, v3
.LBB190_1916:
	s_or_b32 exec_lo, exec_lo, s9
.LBB190_1917:
	s_delay_alu instid0(SALU_CYCLE_1)
	s_or_b32 exec_lo, exec_lo, s7
	global_store_b8 v[4:5], v7, off
.LBB190_1918:
	s_mov_b32 s7, -1
.LBB190_1919:
	s_mov_b32 s8, 0
.LBB190_1920:
	s_delay_alu instid0(SALU_CYCLE_1)
	s_and_b32 vcc_lo, exec_lo, s8
	s_cbranch_vccz .LBB190_1960
; %bb.1921:
	s_cmp_gt_i32 s3, 22
	s_mov_b32 s6, -1
	s_cbranch_scc0 .LBB190_1953
; %bb.1922:
	s_cmp_lt_i32 s3, 24
	s_cbranch_scc1 .LBB190_1942
; %bb.1923:
	s_cmp_gt_i32 s3, 24
	s_cbranch_scc0 .LBB190_1931
; %bb.1924:
	s_wait_xcnt 0x0
	v_cvt_f32_i32_e32 v1, v6
	v_mov_b32_e32 v7, 0x80
	s_mov_b32 s6, exec_lo
	s_delay_alu instid0(VALU_DEP_2) | instskip(NEXT) | instid1(VALU_DEP_1)
	v_and_b32_e32 v3, 0x7fffffff, v1
	v_cmpx_gt_u32_e32 0x47800000, v3
	s_cbranch_execz .LBB190_1930
; %bb.1925:
	v_cmp_lt_u32_e32 vcc_lo, 0x37ffffff, v3
	s_mov_b32 s7, 0
                                        ; implicit-def: $vgpr3
	s_and_saveexec_b32 s8, vcc_lo
	s_delay_alu instid0(SALU_CYCLE_1)
	s_xor_b32 s8, exec_lo, s8
	s_cbranch_execz .LBB190_2097
; %bb.1926:
	v_bfe_u32 v3, v1, 21, 1
	s_mov_b32 s7, exec_lo
	s_delay_alu instid0(VALU_DEP_1) | instskip(NEXT) | instid1(VALU_DEP_1)
	v_add3_u32 v3, v1, v3, 0x88fffff
	v_lshrrev_b32_e32 v3, 21, v3
	s_and_not1_saveexec_b32 s8, s8
	s_cbranch_execnz .LBB190_2098
.LBB190_1927:
	s_or_b32 exec_lo, exec_lo, s8
	v_mov_b32_e32 v7, 0
	s_and_saveexec_b32 s8, s7
.LBB190_1928:
	v_lshrrev_b32_e32 v1, 24, v1
	s_delay_alu instid0(VALU_DEP_1)
	v_and_or_b32 v7, 0x80, v1, v3
.LBB190_1929:
	s_or_b32 exec_lo, exec_lo, s8
.LBB190_1930:
	s_delay_alu instid0(SALU_CYCLE_1)
	s_or_b32 exec_lo, exec_lo, s6
	s_mov_b32 s6, 0
	global_store_b8 v[4:5], v7, off
.LBB190_1931:
	s_and_b32 vcc_lo, exec_lo, s6
	s_cbranch_vccz .LBB190_1941
; %bb.1932:
	s_wait_xcnt 0x0
	v_cvt_f32_i32_e32 v1, v6
	s_mov_b32 s6, exec_lo
                                        ; implicit-def: $vgpr3
	s_delay_alu instid0(VALU_DEP_1) | instskip(NEXT) | instid1(VALU_DEP_1)
	v_and_b32_e32 v7, 0x7fffffff, v1
	v_cmpx_gt_u32_e32 0x43f00000, v7
	s_xor_b32 s6, exec_lo, s6
	s_cbranch_execz .LBB190_1938
; %bb.1933:
	s_mov_b32 s7, exec_lo
                                        ; implicit-def: $vgpr3
	v_cmpx_lt_u32_e32 0x3c7fffff, v7
	s_xor_b32 s7, exec_lo, s7
; %bb.1934:
	v_bfe_u32 v3, v1, 20, 1
	s_delay_alu instid0(VALU_DEP_1) | instskip(NEXT) | instid1(VALU_DEP_1)
	v_add3_u32 v3, v1, v3, 0x407ffff
	v_and_b32_e32 v7, 0xff00000, v3
	v_lshrrev_b32_e32 v3, 20, v3
	s_delay_alu instid0(VALU_DEP_2) | instskip(NEXT) | instid1(VALU_DEP_2)
	v_cmp_ne_u32_e32 vcc_lo, 0x7f00000, v7
	v_cndmask_b32_e32 v3, 0x7e, v3, vcc_lo
; %bb.1935:
	s_and_not1_saveexec_b32 s7, s7
; %bb.1936:
	v_add_f32_e64 v3, 0x46800000, |v1|
; %bb.1937:
	s_or_b32 exec_lo, exec_lo, s7
                                        ; implicit-def: $vgpr7
.LBB190_1938:
	s_and_not1_saveexec_b32 s6, s6
; %bb.1939:
	v_mov_b32_e32 v3, 0x7f
	v_cmp_lt_u32_e32 vcc_lo, 0x7f800000, v7
	s_delay_alu instid0(VALU_DEP_2)
	v_cndmask_b32_e32 v3, 0x7e, v3, vcc_lo
; %bb.1940:
	s_or_b32 exec_lo, exec_lo, s6
	v_lshrrev_b32_e32 v1, 24, v1
	s_delay_alu instid0(VALU_DEP_1)
	v_and_or_b32 v1, 0x80, v1, v3
	global_store_b8 v[4:5], v1, off
.LBB190_1941:
	s_mov_b32 s6, 0
.LBB190_1942:
	s_delay_alu instid0(SALU_CYCLE_1)
	s_and_not1_b32 vcc_lo, exec_lo, s6
	s_cbranch_vccnz .LBB190_1952
; %bb.1943:
	s_wait_xcnt 0x0
	v_cvt_f32_i32_e32 v1, v6
	s_mov_b32 s6, exec_lo
                                        ; implicit-def: $vgpr3
	s_delay_alu instid0(VALU_DEP_1) | instskip(NEXT) | instid1(VALU_DEP_1)
	v_and_b32_e32 v7, 0x7fffffff, v1
	v_cmpx_gt_u32_e32 0x47800000, v7
	s_xor_b32 s6, exec_lo, s6
	s_cbranch_execz .LBB190_1949
; %bb.1944:
	s_mov_b32 s7, exec_lo
                                        ; implicit-def: $vgpr3
	v_cmpx_lt_u32_e32 0x387fffff, v7
	s_xor_b32 s7, exec_lo, s7
; %bb.1945:
	v_bfe_u32 v3, v1, 21, 1
	s_delay_alu instid0(VALU_DEP_1) | instskip(NEXT) | instid1(VALU_DEP_1)
	v_add3_u32 v3, v1, v3, 0x80fffff
	v_lshrrev_b32_e32 v3, 21, v3
; %bb.1946:
	s_and_not1_saveexec_b32 s7, s7
; %bb.1947:
	v_add_f32_e64 v3, 0x43000000, |v1|
; %bb.1948:
	s_or_b32 exec_lo, exec_lo, s7
                                        ; implicit-def: $vgpr7
.LBB190_1949:
	s_and_not1_saveexec_b32 s6, s6
; %bb.1950:
	v_mov_b32_e32 v3, 0x7f
	v_cmp_lt_u32_e32 vcc_lo, 0x7f800000, v7
	s_delay_alu instid0(VALU_DEP_2)
	v_cndmask_b32_e32 v3, 0x7c, v3, vcc_lo
; %bb.1951:
	s_or_b32 exec_lo, exec_lo, s6
	v_lshrrev_b32_e32 v1, 24, v1
	s_delay_alu instid0(VALU_DEP_1)
	v_and_or_b32 v1, 0x80, v1, v3
	global_store_b8 v[4:5], v1, off
.LBB190_1952:
	s_mov_b32 s6, 0
	s_mov_b32 s7, -1
.LBB190_1953:
	s_and_not1_b32 vcc_lo, exec_lo, s6
	s_mov_b32 s6, 0
	s_cbranch_vccnz .LBB190_1960
; %bb.1954:
	s_cmp_gt_i32 s3, 14
	s_mov_b32 s6, -1
	s_cbranch_scc0 .LBB190_1958
; %bb.1955:
	s_cmp_eq_u32 s3, 15
	s_mov_b32 s0, -1
	s_cbranch_scc0 .LBB190_1957
; %bb.1956:
	s_wait_xcnt 0x0
	v_cvt_f32_i32_e32 v1, v6
	s_mov_b32 s0, 0
	s_mov_b32 s7, -1
	s_delay_alu instid0(VALU_DEP_1) | instskip(NEXT) | instid1(VALU_DEP_1)
	v_bfe_u32 v3, v1, 16, 1
	v_add3_u32 v1, v1, v3, 0x7fff
	global_store_d16_hi_b16 v[4:5], v1, off
.LBB190_1957:
	s_mov_b32 s6, 0
.LBB190_1958:
	s_delay_alu instid0(SALU_CYCLE_1)
	s_and_b32 vcc_lo, exec_lo, s6
	s_mov_b32 s6, 0
	s_cbranch_vccz .LBB190_1960
; %bb.1959:
	s_cmp_lg_u32 s3, 11
	s_mov_b32 s6, -1
	s_cselect_b32 s0, -1, 0
.LBB190_1960:
	s_delay_alu instid0(SALU_CYCLE_1)
	s_and_b32 vcc_lo, exec_lo, s0
	s_cbranch_vccnz .LBB190_2096
; %bb.1961:
	s_and_not1_b32 vcc_lo, exec_lo, s6
	s_cbranch_vccnz .LBB190_1963
.LBB190_1962:
	v_cmp_ne_u32_e32 vcc_lo, 0, v6
	s_mov_b32 s7, -1
	s_wait_xcnt 0x0
	v_cndmask_b32_e64 v1, 0, 1, vcc_lo
	global_store_b8 v[4:5], v1, off
.LBB190_1963:
	s_mov_b32 s0, 0
	s_branch .LBB190_1965
.LBB190_1964:
	s_mov_b32 s0, -1
	s_mov_b32 s7, 0
.LBB190_1965:
	s_and_b32 vcc_lo, exec_lo, s0
	s_cbranch_vccz .LBB190_2004
; %bb.1966:
	s_and_b32 s0, 0xffff, s15
	s_mov_b32 s3, -1
	s_cmp_lt_i32 s0, 5
	s_cbranch_scc1 .LBB190_1987
; %bb.1967:
	s_cmp_lt_i32 s0, 8
	s_cbranch_scc1 .LBB190_1977
; %bb.1968:
	;; [unrolled: 3-line block ×3, first 2 shown]
	s_cmp_gt_i32 s0, 9
	s_cbranch_scc0 .LBB190_1971
; %bb.1970:
	v_cvt_f64_i32_e32 v[8:9], v6
	v_mov_b32_e32 v10, 0
	s_mov_b32 s3, 0
	s_delay_alu instid0(VALU_DEP_1)
	v_mov_b32_e32 v11, v10
	global_store_b128 v[4:5], v[8:11], off
.LBB190_1971:
	s_and_not1_b32 vcc_lo, exec_lo, s3
	s_cbranch_vccnz .LBB190_1973
; %bb.1972:
	s_wait_xcnt 0x0
	v_cvt_f32_i32_e32 v8, v6
	v_mov_b32_e32 v9, 0
	global_store_b64 v[4:5], v[8:9], off
.LBB190_1973:
	s_mov_b32 s3, 0
.LBB190_1974:
	s_delay_alu instid0(SALU_CYCLE_1)
	s_and_not1_b32 vcc_lo, exec_lo, s3
	s_cbranch_vccnz .LBB190_1976
; %bb.1975:
	s_wait_xcnt 0x0
	v_cvt_f32_i32_e32 v1, v6
	s_delay_alu instid0(VALU_DEP_1) | instskip(NEXT) | instid1(VALU_DEP_1)
	v_cvt_f16_f32_e32 v1, v1
	v_and_b32_e32 v1, 0xffff, v1
	global_store_b32 v[4:5], v1, off
.LBB190_1976:
	s_mov_b32 s3, 0
.LBB190_1977:
	s_delay_alu instid0(SALU_CYCLE_1)
	s_and_not1_b32 vcc_lo, exec_lo, s3
	s_cbranch_vccnz .LBB190_1986
; %bb.1978:
	s_cmp_lt_i32 s0, 6
	s_mov_b32 s3, -1
	s_cbranch_scc1 .LBB190_1984
; %bb.1979:
	s_cmp_gt_i32 s0, 6
	s_cbranch_scc0 .LBB190_1981
; %bb.1980:
	s_wait_xcnt 0x0
	v_cvt_f64_i32_e32 v[8:9], v6
	s_mov_b32 s3, 0
	global_store_b64 v[4:5], v[8:9], off
.LBB190_1981:
	s_and_not1_b32 vcc_lo, exec_lo, s3
	s_cbranch_vccnz .LBB190_1983
; %bb.1982:
	s_wait_xcnt 0x0
	v_cvt_f32_i32_e32 v1, v6
	global_store_b32 v[4:5], v1, off
.LBB190_1983:
	s_mov_b32 s3, 0
.LBB190_1984:
	s_delay_alu instid0(SALU_CYCLE_1)
	s_and_not1_b32 vcc_lo, exec_lo, s3
	s_cbranch_vccnz .LBB190_1986
; %bb.1985:
	s_wait_xcnt 0x0
	v_cvt_f32_i32_e32 v1, v6
	s_delay_alu instid0(VALU_DEP_1)
	v_cvt_f16_f32_e32 v1, v1
	global_store_b16 v[4:5], v1, off
.LBB190_1986:
	s_mov_b32 s3, 0
.LBB190_1987:
	s_delay_alu instid0(SALU_CYCLE_1)
	s_and_not1_b32 vcc_lo, exec_lo, s3
	s_cbranch_vccnz .LBB190_2003
; %bb.1988:
	s_cmp_lt_i32 s0, 2
	s_mov_b32 s3, -1
	s_cbranch_scc1 .LBB190_1998
; %bb.1989:
	s_cmp_lt_i32 s0, 3
	s_cbranch_scc1 .LBB190_1995
; %bb.1990:
	s_cmp_gt_i32 s0, 3
	s_cbranch_scc0 .LBB190_1992
; %bb.1991:
	s_wait_xcnt 0x0
	v_ashrrev_i32_e32 v7, 31, v6
	s_mov_b32 s3, 0
	global_store_b64 v[4:5], v[6:7], off
.LBB190_1992:
	s_and_not1_b32 vcc_lo, exec_lo, s3
	s_cbranch_vccnz .LBB190_1994
; %bb.1993:
	global_store_b32 v[4:5], v6, off
.LBB190_1994:
	s_mov_b32 s3, 0
.LBB190_1995:
	s_delay_alu instid0(SALU_CYCLE_1)
	s_and_not1_b32 vcc_lo, exec_lo, s3
	s_cbranch_vccnz .LBB190_1997
; %bb.1996:
	global_store_b16 v[4:5], v6, off
.LBB190_1997:
	s_mov_b32 s3, 0
.LBB190_1998:
	s_delay_alu instid0(SALU_CYCLE_1)
	s_and_not1_b32 vcc_lo, exec_lo, s3
	s_cbranch_vccnz .LBB190_2003
; %bb.1999:
	s_cmp_gt_i32 s0, 0
	s_mov_b32 s0, -1
	s_cbranch_scc0 .LBB190_2001
; %bb.2000:
	s_mov_b32 s0, 0
	global_store_b8 v[4:5], v6, off
.LBB190_2001:
	s_and_not1_b32 vcc_lo, exec_lo, s0
	s_cbranch_vccnz .LBB190_2003
; %bb.2002:
	global_store_b8 v[4:5], v6, off
.LBB190_2003:
	s_mov_b32 s7, -1
.LBB190_2004:
	s_delay_alu instid0(SALU_CYCLE_1)
	s_and_not1_b32 vcc_lo, exec_lo, s7
	s_cbranch_vccnz .LBB190_2081
; %bb.2005:
	v_add_nc_u32_e32 v0, s2, v0
	s_cmp_lt_i32 s15, 11
	s_wait_xcnt 0x0
	s_delay_alu instid0(VALU_DEP_1) | instskip(NEXT) | instid1(VALU_DEP_1)
	v_ashrrev_i32_e32 v1, 31, v0
	v_add_nc_u64_e32 v[0:1], s[4:5], v[0:1]
	s_cbranch_scc1 .LBB190_2082
; %bb.2006:
	s_and_b32 s2, 0xffff, s15
	s_mov_b32 s4, -1
	s_mov_b32 s3, 0
	s_cmp_gt_i32 s2, 25
	s_mov_b32 s0, 0
	s_cbranch_scc0 .LBB190_2039
; %bb.2007:
	s_cmp_gt_i32 s2, 28
	s_cbranch_scc0 .LBB190_2023
; %bb.2008:
	s_cmp_gt_i32 s2, 43
	s_cbranch_scc0 .LBB190_2019
; %bb.2009:
	s_cmp_gt_i32 s2, 45
	s_cbranch_scc0 .LBB190_2013
; %bb.2010:
	s_cmp_eq_u32 s2, 46
	s_mov_b32 s0, -1
	s_cbranch_scc0 .LBB190_2012
; %bb.2011:
	v_cvt_f32_i32_e32 v3, v2
	s_mov_b32 s0, 0
	s_delay_alu instid0(VALU_DEP_1) | instskip(NEXT) | instid1(VALU_DEP_1)
	v_bfe_u32 v4, v3, 16, 1
	v_add3_u32 v3, v3, v4, 0x7fff
	s_delay_alu instid0(VALU_DEP_1)
	v_lshrrev_b32_e32 v3, 16, v3
	global_store_b32 v[0:1], v3, off
.LBB190_2012:
	s_mov_b32 s4, 0
.LBB190_2013:
	s_delay_alu instid0(SALU_CYCLE_1)
	s_and_b32 vcc_lo, exec_lo, s4
	s_cbranch_vccz .LBB190_2018
; %bb.2014:
	s_cmp_eq_u32 s2, 44
	s_mov_b32 s0, -1
	s_cbranch_scc0 .LBB190_2018
; %bb.2015:
	s_wait_xcnt 0x0
	v_cvt_f32_i32_e32 v3, v2
	v_mov_b32_e32 v4, 0xff
	s_mov_b32 s4, exec_lo
	s_delay_alu instid0(VALU_DEP_2) | instskip(NEXT) | instid1(VALU_DEP_1)
	v_bfe_u32 v5, v3, 23, 8
	v_cmpx_ne_u32_e32 0xff, v5
	s_cbranch_execz .LBB190_2017
; %bb.2016:
	v_and_b32_e32 v4, 0x400000, v3
	v_and_or_b32 v5, 0x3fffff, v3, v5
	v_lshrrev_b32_e32 v3, 23, v3
	s_delay_alu instid0(VALU_DEP_3) | instskip(NEXT) | instid1(VALU_DEP_3)
	v_cmp_ne_u32_e32 vcc_lo, 0, v4
	v_cmp_ne_u32_e64 s0, 0, v5
	s_and_b32 s0, vcc_lo, s0
	s_delay_alu instid0(SALU_CYCLE_1) | instskip(NEXT) | instid1(VALU_DEP_1)
	v_cndmask_b32_e64 v4, 0, 1, s0
	v_add_nc_u32_e32 v4, v3, v4
.LBB190_2017:
	s_or_b32 exec_lo, exec_lo, s4
	s_mov_b32 s0, 0
	global_store_b8 v[0:1], v4, off
.LBB190_2018:
	s_mov_b32 s4, 0
.LBB190_2019:
	s_delay_alu instid0(SALU_CYCLE_1)
	s_and_b32 vcc_lo, exec_lo, s4
	s_cbranch_vccz .LBB190_2022
; %bb.2020:
	s_cmp_eq_u32 s2, 29
	s_mov_b32 s0, -1
	s_cbranch_scc0 .LBB190_2022
; %bb.2021:
	s_wait_xcnt 0x0
	v_ashrrev_i32_e32 v3, 31, v2
	s_mov_b32 s0, 0
	global_store_b64 v[0:1], v[2:3], off
.LBB190_2022:
	s_mov_b32 s4, 0
.LBB190_2023:
	s_delay_alu instid0(SALU_CYCLE_1)
	s_and_b32 vcc_lo, exec_lo, s4
	s_cbranch_vccz .LBB190_2038
; %bb.2024:
	s_cmp_lt_i32 s2, 27
	s_mov_b32 s4, -1
	s_cbranch_scc1 .LBB190_2030
; %bb.2025:
	s_cmp_gt_i32 s2, 27
	s_cbranch_scc0 .LBB190_2027
; %bb.2026:
	s_mov_b32 s4, 0
	global_store_b32 v[0:1], v2, off
.LBB190_2027:
	s_and_not1_b32 vcc_lo, exec_lo, s4
	s_cbranch_vccnz .LBB190_2029
; %bb.2028:
	global_store_b16 v[0:1], v2, off
.LBB190_2029:
	s_mov_b32 s4, 0
.LBB190_2030:
	s_delay_alu instid0(SALU_CYCLE_1)
	s_and_not1_b32 vcc_lo, exec_lo, s4
	s_cbranch_vccnz .LBB190_2038
; %bb.2031:
	s_wait_xcnt 0x0
	v_cvt_f32_i32_e32 v3, v2
	v_mov_b32_e32 v5, 0x80
	s_mov_b32 s4, exec_lo
	s_delay_alu instid0(VALU_DEP_2) | instskip(NEXT) | instid1(VALU_DEP_1)
	v_and_b32_e32 v4, 0x7fffffff, v3
	v_cmpx_gt_u32_e32 0x43800000, v4
	s_cbranch_execz .LBB190_2037
; %bb.2032:
	v_cmp_lt_u32_e32 vcc_lo, 0x3bffffff, v4
	s_mov_b32 s5, 0
                                        ; implicit-def: $vgpr4
	s_and_saveexec_b32 s6, vcc_lo
	s_delay_alu instid0(SALU_CYCLE_1)
	s_xor_b32 s6, exec_lo, s6
	s_cbranch_execz .LBB190_2099
; %bb.2033:
	v_bfe_u32 v4, v3, 20, 1
	s_mov_b32 s5, exec_lo
	s_delay_alu instid0(VALU_DEP_1) | instskip(NEXT) | instid1(VALU_DEP_1)
	v_add3_u32 v4, v3, v4, 0x487ffff
	v_lshrrev_b32_e32 v4, 20, v4
	s_and_not1_saveexec_b32 s6, s6
	s_cbranch_execnz .LBB190_2100
.LBB190_2034:
	s_or_b32 exec_lo, exec_lo, s6
	v_mov_b32_e32 v5, 0
	s_and_saveexec_b32 s6, s5
.LBB190_2035:
	v_lshrrev_b32_e32 v3, 24, v3
	s_delay_alu instid0(VALU_DEP_1)
	v_and_or_b32 v5, 0x80, v3, v4
.LBB190_2036:
	s_or_b32 exec_lo, exec_lo, s6
.LBB190_2037:
	s_delay_alu instid0(SALU_CYCLE_1)
	s_or_b32 exec_lo, exec_lo, s4
	global_store_b8 v[0:1], v5, off
.LBB190_2038:
	s_mov_b32 s4, 0
.LBB190_2039:
	s_delay_alu instid0(SALU_CYCLE_1)
	s_and_b32 vcc_lo, exec_lo, s4
	s_cbranch_vccz .LBB190_2079
; %bb.2040:
	s_cmp_gt_i32 s2, 22
	s_mov_b32 s3, -1
	s_cbranch_scc0 .LBB190_2072
; %bb.2041:
	s_cmp_lt_i32 s2, 24
	s_cbranch_scc1 .LBB190_2061
; %bb.2042:
	s_cmp_gt_i32 s2, 24
	s_cbranch_scc0 .LBB190_2050
; %bb.2043:
	s_wait_xcnt 0x0
	v_cvt_f32_i32_e32 v3, v2
	v_mov_b32_e32 v5, 0x80
	s_mov_b32 s3, exec_lo
	s_delay_alu instid0(VALU_DEP_2) | instskip(NEXT) | instid1(VALU_DEP_1)
	v_and_b32_e32 v4, 0x7fffffff, v3
	v_cmpx_gt_u32_e32 0x47800000, v4
	s_cbranch_execz .LBB190_2049
; %bb.2044:
	v_cmp_lt_u32_e32 vcc_lo, 0x37ffffff, v4
	s_mov_b32 s4, 0
                                        ; implicit-def: $vgpr4
	s_and_saveexec_b32 s5, vcc_lo
	s_delay_alu instid0(SALU_CYCLE_1)
	s_xor_b32 s5, exec_lo, s5
	s_cbranch_execz .LBB190_2102
; %bb.2045:
	v_bfe_u32 v4, v3, 21, 1
	s_mov_b32 s4, exec_lo
	s_delay_alu instid0(VALU_DEP_1) | instskip(NEXT) | instid1(VALU_DEP_1)
	v_add3_u32 v4, v3, v4, 0x88fffff
	v_lshrrev_b32_e32 v4, 21, v4
	s_and_not1_saveexec_b32 s5, s5
	s_cbranch_execnz .LBB190_2103
.LBB190_2046:
	s_or_b32 exec_lo, exec_lo, s5
	v_mov_b32_e32 v5, 0
	s_and_saveexec_b32 s5, s4
.LBB190_2047:
	v_lshrrev_b32_e32 v3, 24, v3
	s_delay_alu instid0(VALU_DEP_1)
	v_and_or_b32 v5, 0x80, v3, v4
.LBB190_2048:
	s_or_b32 exec_lo, exec_lo, s5
.LBB190_2049:
	s_delay_alu instid0(SALU_CYCLE_1)
	s_or_b32 exec_lo, exec_lo, s3
	s_mov_b32 s3, 0
	global_store_b8 v[0:1], v5, off
.LBB190_2050:
	s_and_b32 vcc_lo, exec_lo, s3
	s_cbranch_vccz .LBB190_2060
; %bb.2051:
	s_wait_xcnt 0x0
	v_cvt_f32_i32_e32 v3, v2
	s_mov_b32 s3, exec_lo
                                        ; implicit-def: $vgpr4
	s_delay_alu instid0(VALU_DEP_1) | instskip(NEXT) | instid1(VALU_DEP_1)
	v_and_b32_e32 v5, 0x7fffffff, v3
	v_cmpx_gt_u32_e32 0x43f00000, v5
	s_xor_b32 s3, exec_lo, s3
	s_cbranch_execz .LBB190_2057
; %bb.2052:
	s_mov_b32 s4, exec_lo
                                        ; implicit-def: $vgpr4
	v_cmpx_lt_u32_e32 0x3c7fffff, v5
	s_xor_b32 s4, exec_lo, s4
; %bb.2053:
	v_bfe_u32 v4, v3, 20, 1
	s_delay_alu instid0(VALU_DEP_1) | instskip(NEXT) | instid1(VALU_DEP_1)
	v_add3_u32 v4, v3, v4, 0x407ffff
	v_and_b32_e32 v5, 0xff00000, v4
	v_lshrrev_b32_e32 v4, 20, v4
	s_delay_alu instid0(VALU_DEP_2) | instskip(NEXT) | instid1(VALU_DEP_2)
	v_cmp_ne_u32_e32 vcc_lo, 0x7f00000, v5
	v_cndmask_b32_e32 v4, 0x7e, v4, vcc_lo
; %bb.2054:
	s_and_not1_saveexec_b32 s4, s4
; %bb.2055:
	v_add_f32_e64 v4, 0x46800000, |v3|
; %bb.2056:
	s_or_b32 exec_lo, exec_lo, s4
                                        ; implicit-def: $vgpr5
.LBB190_2057:
	s_and_not1_saveexec_b32 s3, s3
; %bb.2058:
	v_mov_b32_e32 v4, 0x7f
	v_cmp_lt_u32_e32 vcc_lo, 0x7f800000, v5
	s_delay_alu instid0(VALU_DEP_2)
	v_cndmask_b32_e32 v4, 0x7e, v4, vcc_lo
; %bb.2059:
	s_or_b32 exec_lo, exec_lo, s3
	v_lshrrev_b32_e32 v3, 24, v3
	s_delay_alu instid0(VALU_DEP_1)
	v_and_or_b32 v3, 0x80, v3, v4
	global_store_b8 v[0:1], v3, off
.LBB190_2060:
	s_mov_b32 s3, 0
.LBB190_2061:
	s_delay_alu instid0(SALU_CYCLE_1)
	s_and_not1_b32 vcc_lo, exec_lo, s3
	s_cbranch_vccnz .LBB190_2071
; %bb.2062:
	s_wait_xcnt 0x0
	v_cvt_f32_i32_e32 v3, v2
	s_mov_b32 s3, exec_lo
                                        ; implicit-def: $vgpr4
	s_delay_alu instid0(VALU_DEP_1) | instskip(NEXT) | instid1(VALU_DEP_1)
	v_and_b32_e32 v5, 0x7fffffff, v3
	v_cmpx_gt_u32_e32 0x47800000, v5
	s_xor_b32 s3, exec_lo, s3
	s_cbranch_execz .LBB190_2068
; %bb.2063:
	s_mov_b32 s4, exec_lo
                                        ; implicit-def: $vgpr4
	v_cmpx_lt_u32_e32 0x387fffff, v5
	s_xor_b32 s4, exec_lo, s4
; %bb.2064:
	v_bfe_u32 v4, v3, 21, 1
	s_delay_alu instid0(VALU_DEP_1) | instskip(NEXT) | instid1(VALU_DEP_1)
	v_add3_u32 v4, v3, v4, 0x80fffff
	v_lshrrev_b32_e32 v4, 21, v4
; %bb.2065:
	s_and_not1_saveexec_b32 s4, s4
; %bb.2066:
	v_add_f32_e64 v4, 0x43000000, |v3|
; %bb.2067:
	s_or_b32 exec_lo, exec_lo, s4
                                        ; implicit-def: $vgpr5
.LBB190_2068:
	s_and_not1_saveexec_b32 s3, s3
; %bb.2069:
	v_mov_b32_e32 v4, 0x7f
	v_cmp_lt_u32_e32 vcc_lo, 0x7f800000, v5
	s_delay_alu instid0(VALU_DEP_2)
	v_cndmask_b32_e32 v4, 0x7c, v4, vcc_lo
; %bb.2070:
	s_or_b32 exec_lo, exec_lo, s3
	v_lshrrev_b32_e32 v3, 24, v3
	s_delay_alu instid0(VALU_DEP_1)
	v_and_or_b32 v3, 0x80, v3, v4
	global_store_b8 v[0:1], v3, off
.LBB190_2071:
	s_mov_b32 s3, 0
.LBB190_2072:
	s_delay_alu instid0(SALU_CYCLE_1)
	s_and_not1_b32 vcc_lo, exec_lo, s3
	s_mov_b32 s3, 0
	s_cbranch_vccnz .LBB190_2079
; %bb.2073:
	s_cmp_gt_i32 s2, 14
	s_mov_b32 s3, -1
	s_cbranch_scc0 .LBB190_2077
; %bb.2074:
	s_cmp_eq_u32 s2, 15
	s_mov_b32 s0, -1
	s_cbranch_scc0 .LBB190_2076
; %bb.2075:
	s_wait_xcnt 0x0
	v_cvt_f32_i32_e32 v3, v2
	s_mov_b32 s0, 0
	s_delay_alu instid0(VALU_DEP_1) | instskip(NEXT) | instid1(VALU_DEP_1)
	v_bfe_u32 v4, v3, 16, 1
	v_add3_u32 v3, v3, v4, 0x7fff
	global_store_d16_hi_b16 v[0:1], v3, off
.LBB190_2076:
	s_mov_b32 s3, 0
.LBB190_2077:
	s_delay_alu instid0(SALU_CYCLE_1)
	s_and_b32 vcc_lo, exec_lo, s3
	s_mov_b32 s3, 0
	s_cbranch_vccz .LBB190_2079
; %bb.2078:
	s_cmp_lg_u32 s2, 11
	s_mov_b32 s3, -1
	s_cselect_b32 s0, -1, 0
.LBB190_2079:
	s_delay_alu instid0(SALU_CYCLE_1)
	s_and_b32 vcc_lo, exec_lo, s0
	s_cbranch_vccnz .LBB190_2101
.LBB190_2080:
	s_mov_b32 s0, 0
	s_branch .LBB190_1595
.LBB190_2081:
	s_mov_b32 s0, 0
	s_mov_b32 s3, 0
                                        ; implicit-def: $sgpr15
                                        ; implicit-def: $vgpr0_vgpr1
	s_branch .LBB190_1595
.LBB190_2082:
	s_mov_b32 s3, 0
	s_mov_b32 s0, -1
	s_branch .LBB190_1595
.LBB190_2083:
	s_or_b32 s1, s1, exec_lo
	s_trap 2
	s_cbranch_execz .LBB190_1539
	s_branch .LBB190_1540
.LBB190_2084:
	s_and_not1_saveexec_b32 s9, s9
	s_cbranch_execz .LBB190_1674
.LBB190_2085:
	v_add_f32_e64 v3, 0x46000000, |v1|
	s_and_not1_b32 s7, s7, exec_lo
	s_delay_alu instid0(VALU_DEP_1) | instskip(NEXT) | instid1(VALU_DEP_1)
	v_and_b32_e32 v3, 0xff, v3
	v_cmp_ne_u32_e32 vcc_lo, 0, v3
	s_and_b32 s10, vcc_lo, exec_lo
	s_delay_alu instid0(SALU_CYCLE_1)
	s_or_b32 s7, s7, s10
	s_or_b32 exec_lo, exec_lo, s9
	v_mov_b32_e32 v5, 0
	s_and_saveexec_b32 s9, s7
	s_cbranch_execnz .LBB190_1675
	s_branch .LBB190_1676
.LBB190_2086:
	s_or_b32 s1, s1, exec_lo
	s_trap 2
	s_cbranch_execz .LBB190_1722
	s_branch .LBB190_1723
.LBB190_2087:
	s_and_not1_saveexec_b32 s7, s7
	s_cbranch_execz .LBB190_1687
.LBB190_2088:
	v_add_f32_e64 v3, 0x42800000, |v1|
	s_and_not1_b32 s6, s6, exec_lo
	s_delay_alu instid0(VALU_DEP_1) | instskip(NEXT) | instid1(VALU_DEP_1)
	v_and_b32_e32 v3, 0xff, v3
	v_cmp_ne_u32_e32 vcc_lo, 0, v3
	s_and_b32 s9, vcc_lo, exec_lo
	s_delay_alu instid0(SALU_CYCLE_1)
	s_or_b32 s6, s6, s9
	s_or_b32 exec_lo, exec_lo, s7
	v_mov_b32_e32 v5, 0
	s_and_saveexec_b32 s7, s6
	s_cbranch_execnz .LBB190_1688
	s_branch .LBB190_1689
.LBB190_2089:
	s_and_not1_saveexec_b32 s9, s9
	s_cbranch_execz .LBB190_1795
.LBB190_2090:
	v_add_f32_e64 v3, 0x46000000, |v1|
	s_and_not1_b32 s8, s8, exec_lo
	s_delay_alu instid0(VALU_DEP_1) | instskip(NEXT) | instid1(VALU_DEP_1)
	v_and_b32_e32 v3, 0xff, v3
	v_cmp_ne_u32_e32 vcc_lo, 0, v3
	s_and_b32 s10, vcc_lo, exec_lo
	s_delay_alu instid0(SALU_CYCLE_1)
	s_or_b32 s8, s8, s10
	s_or_b32 exec_lo, exec_lo, s9
	v_mov_b32_e32 v5, 0
	s_and_saveexec_b32 s9, s8
	s_cbranch_execnz .LBB190_1796
	s_branch .LBB190_1797
.LBB190_2091:
	s_or_b32 s1, s1, exec_lo
	s_trap 2
	s_cbranch_execz .LBB190_1843
	s_branch .LBB190_1844
.LBB190_2092:
	s_and_not1_saveexec_b32 s8, s8
	s_cbranch_execz .LBB190_1808
.LBB190_2093:
	v_add_f32_e64 v3, 0x42800000, |v1|
	s_and_not1_b32 s7, s7, exec_lo
	s_delay_alu instid0(VALU_DEP_1) | instskip(NEXT) | instid1(VALU_DEP_1)
	v_and_b32_e32 v3, 0xff, v3
	v_cmp_ne_u32_e32 vcc_lo, 0, v3
	s_and_b32 s9, vcc_lo, exec_lo
	s_delay_alu instid0(SALU_CYCLE_1)
	s_or_b32 s7, s7, s9
	s_or_b32 exec_lo, exec_lo, s8
	v_mov_b32_e32 v5, 0
	s_and_saveexec_b32 s8, s7
	s_cbranch_execnz .LBB190_1809
	s_branch .LBB190_1810
.LBB190_2094:
	s_and_not1_saveexec_b32 s9, s9
	s_cbranch_execz .LBB190_1914
.LBB190_2095:
	v_add_f32_e64 v3, 0x46000000, |v1|
	s_and_not1_b32 s8, s8, exec_lo
	s_delay_alu instid0(VALU_DEP_1) | instskip(NEXT) | instid1(VALU_DEP_1)
	v_and_b32_e32 v3, 0xff, v3
	v_cmp_ne_u32_e32 vcc_lo, 0, v3
	s_and_b32 s10, vcc_lo, exec_lo
	s_delay_alu instid0(SALU_CYCLE_1)
	s_or_b32 s8, s8, s10
	s_or_b32 exec_lo, exec_lo, s9
	v_mov_b32_e32 v7, 0
	s_and_saveexec_b32 s9, s8
	s_cbranch_execnz .LBB190_1915
	s_branch .LBB190_1916
.LBB190_2096:
	s_or_b32 s1, s1, exec_lo
	s_trap 2
	s_cbranch_execz .LBB190_1962
	s_branch .LBB190_1963
.LBB190_2097:
	s_and_not1_saveexec_b32 s8, s8
	s_cbranch_execz .LBB190_1927
.LBB190_2098:
	v_add_f32_e64 v3, 0x42800000, |v1|
	s_and_not1_b32 s7, s7, exec_lo
	s_delay_alu instid0(VALU_DEP_1) | instskip(NEXT) | instid1(VALU_DEP_1)
	v_and_b32_e32 v3, 0xff, v3
	v_cmp_ne_u32_e32 vcc_lo, 0, v3
	s_and_b32 s9, vcc_lo, exec_lo
	s_delay_alu instid0(SALU_CYCLE_1)
	s_or_b32 s7, s7, s9
	s_or_b32 exec_lo, exec_lo, s8
	v_mov_b32_e32 v7, 0
	s_and_saveexec_b32 s8, s7
	s_cbranch_execnz .LBB190_1928
	s_branch .LBB190_1929
.LBB190_2099:
	s_and_not1_saveexec_b32 s6, s6
	s_cbranch_execz .LBB190_2034
.LBB190_2100:
	v_add_f32_e64 v4, 0x46000000, |v3|
	s_and_not1_b32 s5, s5, exec_lo
	s_delay_alu instid0(VALU_DEP_1) | instskip(NEXT) | instid1(VALU_DEP_1)
	v_and_b32_e32 v4, 0xff, v4
	v_cmp_ne_u32_e32 vcc_lo, 0, v4
	s_and_b32 s7, vcc_lo, exec_lo
	s_delay_alu instid0(SALU_CYCLE_1)
	s_or_b32 s5, s5, s7
	s_or_b32 exec_lo, exec_lo, s6
	v_mov_b32_e32 v5, 0
	s_and_saveexec_b32 s6, s5
	s_cbranch_execnz .LBB190_2035
	s_branch .LBB190_2036
.LBB190_2101:
	s_mov_b32 s3, 0
	s_or_b32 s1, s1, exec_lo
	s_trap 2
	s_branch .LBB190_2080
.LBB190_2102:
	s_and_not1_saveexec_b32 s5, s5
	s_cbranch_execz .LBB190_2046
.LBB190_2103:
	v_add_f32_e64 v4, 0x42800000, |v3|
	s_and_not1_b32 s4, s4, exec_lo
	s_delay_alu instid0(VALU_DEP_1) | instskip(NEXT) | instid1(VALU_DEP_1)
	v_and_b32_e32 v4, 0xff, v4
	v_cmp_ne_u32_e32 vcc_lo, 0, v4
	s_and_b32 s6, vcc_lo, exec_lo
	s_delay_alu instid0(SALU_CYCLE_1)
	s_or_b32 s4, s4, s6
	s_or_b32 exec_lo, exec_lo, s5
	v_mov_b32_e32 v5, 0
	s_and_saveexec_b32 s5, s4
	s_cbranch_execnz .LBB190_2047
	s_branch .LBB190_2048
	.section	.rodata,"a",@progbits
	.p2align	6, 0x0
	.amdhsa_kernel _ZN2at6native32elementwise_kernel_manual_unrollILi128ELi4EZNS0_15gpu_kernel_implIZZZNS0_12_GLOBAL__N_119launch_clamp_scalarERNS_18TensorIteratorBaseEN3c106ScalarES7_NS0_6detail11ClampLimitsEENKUlvE_clEvENKUlvE1_clEvEUliE_EEvS5_RKT_EUlibE_EEviT1_
		.amdhsa_group_segment_fixed_size 0
		.amdhsa_private_segment_fixed_size 0
		.amdhsa_kernarg_size 48
		.amdhsa_user_sgpr_count 2
		.amdhsa_user_sgpr_dispatch_ptr 0
		.amdhsa_user_sgpr_queue_ptr 0
		.amdhsa_user_sgpr_kernarg_segment_ptr 1
		.amdhsa_user_sgpr_dispatch_id 0
		.amdhsa_user_sgpr_kernarg_preload_length 0
		.amdhsa_user_sgpr_kernarg_preload_offset 0
		.amdhsa_user_sgpr_private_segment_size 0
		.amdhsa_wavefront_size32 1
		.amdhsa_uses_dynamic_stack 0
		.amdhsa_enable_private_segment 0
		.amdhsa_system_sgpr_workgroup_id_x 1
		.amdhsa_system_sgpr_workgroup_id_y 0
		.amdhsa_system_sgpr_workgroup_id_z 0
		.amdhsa_system_sgpr_workgroup_info 0
		.amdhsa_system_vgpr_workitem_id 0
		.amdhsa_next_free_vgpr 16
		.amdhsa_next_free_sgpr 29
		.amdhsa_named_barrier_count 0
		.amdhsa_reserve_vcc 1
		.amdhsa_float_round_mode_32 0
		.amdhsa_float_round_mode_16_64 0
		.amdhsa_float_denorm_mode_32 3
		.amdhsa_float_denorm_mode_16_64 3
		.amdhsa_fp16_overflow 0
		.amdhsa_memory_ordered 1
		.amdhsa_forward_progress 1
		.amdhsa_inst_pref_size 255
		.amdhsa_round_robin_scheduling 0
		.amdhsa_exception_fp_ieee_invalid_op 0
		.amdhsa_exception_fp_denorm_src 0
		.amdhsa_exception_fp_ieee_div_zero 0
		.amdhsa_exception_fp_ieee_overflow 0
		.amdhsa_exception_fp_ieee_underflow 0
		.amdhsa_exception_fp_ieee_inexact 0
		.amdhsa_exception_int_div_zero 0
	.end_amdhsa_kernel
	.section	.text._ZN2at6native32elementwise_kernel_manual_unrollILi128ELi4EZNS0_15gpu_kernel_implIZZZNS0_12_GLOBAL__N_119launch_clamp_scalarERNS_18TensorIteratorBaseEN3c106ScalarES7_NS0_6detail11ClampLimitsEENKUlvE_clEvENKUlvE1_clEvEUliE_EEvS5_RKT_EUlibE_EEviT1_,"axG",@progbits,_ZN2at6native32elementwise_kernel_manual_unrollILi128ELi4EZNS0_15gpu_kernel_implIZZZNS0_12_GLOBAL__N_119launch_clamp_scalarERNS_18TensorIteratorBaseEN3c106ScalarES7_NS0_6detail11ClampLimitsEENKUlvE_clEvENKUlvE1_clEvEUliE_EEvS5_RKT_EUlibE_EEviT1_,comdat
.Lfunc_end190:
	.size	_ZN2at6native32elementwise_kernel_manual_unrollILi128ELi4EZNS0_15gpu_kernel_implIZZZNS0_12_GLOBAL__N_119launch_clamp_scalarERNS_18TensorIteratorBaseEN3c106ScalarES7_NS0_6detail11ClampLimitsEENKUlvE_clEvENKUlvE1_clEvEUliE_EEvS5_RKT_EUlibE_EEviT1_, .Lfunc_end190-_ZN2at6native32elementwise_kernel_manual_unrollILi128ELi4EZNS0_15gpu_kernel_implIZZZNS0_12_GLOBAL__N_119launch_clamp_scalarERNS_18TensorIteratorBaseEN3c106ScalarES7_NS0_6detail11ClampLimitsEENKUlvE_clEvENKUlvE1_clEvEUliE_EEvS5_RKT_EUlibE_EEviT1_
                                        ; -- End function
	.set _ZN2at6native32elementwise_kernel_manual_unrollILi128ELi4EZNS0_15gpu_kernel_implIZZZNS0_12_GLOBAL__N_119launch_clamp_scalarERNS_18TensorIteratorBaseEN3c106ScalarES7_NS0_6detail11ClampLimitsEENKUlvE_clEvENKUlvE1_clEvEUliE_EEvS5_RKT_EUlibE_EEviT1_.num_vgpr, 16
	.set _ZN2at6native32elementwise_kernel_manual_unrollILi128ELi4EZNS0_15gpu_kernel_implIZZZNS0_12_GLOBAL__N_119launch_clamp_scalarERNS_18TensorIteratorBaseEN3c106ScalarES7_NS0_6detail11ClampLimitsEENKUlvE_clEvENKUlvE1_clEvEUliE_EEvS5_RKT_EUlibE_EEviT1_.num_agpr, 0
	.set _ZN2at6native32elementwise_kernel_manual_unrollILi128ELi4EZNS0_15gpu_kernel_implIZZZNS0_12_GLOBAL__N_119launch_clamp_scalarERNS_18TensorIteratorBaseEN3c106ScalarES7_NS0_6detail11ClampLimitsEENKUlvE_clEvENKUlvE1_clEvEUliE_EEvS5_RKT_EUlibE_EEviT1_.numbered_sgpr, 29
	.set _ZN2at6native32elementwise_kernel_manual_unrollILi128ELi4EZNS0_15gpu_kernel_implIZZZNS0_12_GLOBAL__N_119launch_clamp_scalarERNS_18TensorIteratorBaseEN3c106ScalarES7_NS0_6detail11ClampLimitsEENKUlvE_clEvENKUlvE1_clEvEUliE_EEvS5_RKT_EUlibE_EEviT1_.num_named_barrier, 0
	.set _ZN2at6native32elementwise_kernel_manual_unrollILi128ELi4EZNS0_15gpu_kernel_implIZZZNS0_12_GLOBAL__N_119launch_clamp_scalarERNS_18TensorIteratorBaseEN3c106ScalarES7_NS0_6detail11ClampLimitsEENKUlvE_clEvENKUlvE1_clEvEUliE_EEvS5_RKT_EUlibE_EEviT1_.private_seg_size, 0
	.set _ZN2at6native32elementwise_kernel_manual_unrollILi128ELi4EZNS0_15gpu_kernel_implIZZZNS0_12_GLOBAL__N_119launch_clamp_scalarERNS_18TensorIteratorBaseEN3c106ScalarES7_NS0_6detail11ClampLimitsEENKUlvE_clEvENKUlvE1_clEvEUliE_EEvS5_RKT_EUlibE_EEviT1_.uses_vcc, 1
	.set _ZN2at6native32elementwise_kernel_manual_unrollILi128ELi4EZNS0_15gpu_kernel_implIZZZNS0_12_GLOBAL__N_119launch_clamp_scalarERNS_18TensorIteratorBaseEN3c106ScalarES7_NS0_6detail11ClampLimitsEENKUlvE_clEvENKUlvE1_clEvEUliE_EEvS5_RKT_EUlibE_EEviT1_.uses_flat_scratch, 0
	.set _ZN2at6native32elementwise_kernel_manual_unrollILi128ELi4EZNS0_15gpu_kernel_implIZZZNS0_12_GLOBAL__N_119launch_clamp_scalarERNS_18TensorIteratorBaseEN3c106ScalarES7_NS0_6detail11ClampLimitsEENKUlvE_clEvENKUlvE1_clEvEUliE_EEvS5_RKT_EUlibE_EEviT1_.has_dyn_sized_stack, 0
	.set _ZN2at6native32elementwise_kernel_manual_unrollILi128ELi4EZNS0_15gpu_kernel_implIZZZNS0_12_GLOBAL__N_119launch_clamp_scalarERNS_18TensorIteratorBaseEN3c106ScalarES7_NS0_6detail11ClampLimitsEENKUlvE_clEvENKUlvE1_clEvEUliE_EEvS5_RKT_EUlibE_EEviT1_.has_recursion, 0
	.set _ZN2at6native32elementwise_kernel_manual_unrollILi128ELi4EZNS0_15gpu_kernel_implIZZZNS0_12_GLOBAL__N_119launch_clamp_scalarERNS_18TensorIteratorBaseEN3c106ScalarES7_NS0_6detail11ClampLimitsEENKUlvE_clEvENKUlvE1_clEvEUliE_EEvS5_RKT_EUlibE_EEviT1_.has_indirect_call, 0
	.section	.AMDGPU.csdata,"",@progbits
; Kernel info:
; codeLenInByte = 35452
; TotalNumSgprs: 31
; NumVgprs: 16
; ScratchSize: 0
; MemoryBound: 1
; FloatMode: 240
; IeeeMode: 1
; LDSByteSize: 0 bytes/workgroup (compile time only)
; SGPRBlocks: 0
; VGPRBlocks: 0
; NumSGPRsForWavesPerEU: 31
; NumVGPRsForWavesPerEU: 16
; NamedBarCnt: 0
; Occupancy: 16
; WaveLimiterHint : 0
; COMPUTE_PGM_RSRC2:SCRATCH_EN: 0
; COMPUTE_PGM_RSRC2:USER_SGPR: 2
; COMPUTE_PGM_RSRC2:TRAP_HANDLER: 0
; COMPUTE_PGM_RSRC2:TGID_X_EN: 1
; COMPUTE_PGM_RSRC2:TGID_Y_EN: 0
; COMPUTE_PGM_RSRC2:TGID_Z_EN: 0
; COMPUTE_PGM_RSRC2:TIDIG_COMP_CNT: 0
	.section	.text._ZN2at6native32elementwise_kernel_manual_unrollILi128ELi4EZNS0_15gpu_kernel_implIZZZNS0_12_GLOBAL__N_119launch_clamp_scalarERNS_18TensorIteratorBaseEN3c106ScalarES7_NS0_6detail11ClampLimitsEENKUlvE_clEvENKUlvE1_clEvEUliE_EEvS5_RKT_EUlibE0_EEviT1_,"axG",@progbits,_ZN2at6native32elementwise_kernel_manual_unrollILi128ELi4EZNS0_15gpu_kernel_implIZZZNS0_12_GLOBAL__N_119launch_clamp_scalarERNS_18TensorIteratorBaseEN3c106ScalarES7_NS0_6detail11ClampLimitsEENKUlvE_clEvENKUlvE1_clEvEUliE_EEvS5_RKT_EUlibE0_EEviT1_,comdat
	.globl	_ZN2at6native32elementwise_kernel_manual_unrollILi128ELi4EZNS0_15gpu_kernel_implIZZZNS0_12_GLOBAL__N_119launch_clamp_scalarERNS_18TensorIteratorBaseEN3c106ScalarES7_NS0_6detail11ClampLimitsEENKUlvE_clEvENKUlvE1_clEvEUliE_EEvS5_RKT_EUlibE0_EEviT1_ ; -- Begin function _ZN2at6native32elementwise_kernel_manual_unrollILi128ELi4EZNS0_15gpu_kernel_implIZZZNS0_12_GLOBAL__N_119launch_clamp_scalarERNS_18TensorIteratorBaseEN3c106ScalarES7_NS0_6detail11ClampLimitsEENKUlvE_clEvENKUlvE1_clEvEUliE_EEvS5_RKT_EUlibE0_EEviT1_
	.p2align	8
	.type	_ZN2at6native32elementwise_kernel_manual_unrollILi128ELi4EZNS0_15gpu_kernel_implIZZZNS0_12_GLOBAL__N_119launch_clamp_scalarERNS_18TensorIteratorBaseEN3c106ScalarES7_NS0_6detail11ClampLimitsEENKUlvE_clEvENKUlvE1_clEvEUliE_EEvS5_RKT_EUlibE0_EEviT1_,@function
_ZN2at6native32elementwise_kernel_manual_unrollILi128ELi4EZNS0_15gpu_kernel_implIZZZNS0_12_GLOBAL__N_119launch_clamp_scalarERNS_18TensorIteratorBaseEN3c106ScalarES7_NS0_6detail11ClampLimitsEENKUlvE_clEvENKUlvE1_clEvEUliE_EEvS5_RKT_EUlibE0_EEviT1_: ; @_ZN2at6native32elementwise_kernel_manual_unrollILi128ELi4EZNS0_15gpu_kernel_implIZZZNS0_12_GLOBAL__N_119launch_clamp_scalarERNS_18TensorIteratorBaseEN3c106ScalarES7_NS0_6detail11ClampLimitsEENKUlvE_clEvENKUlvE1_clEvEUliE_EEvS5_RKT_EUlibE0_EEviT1_
; %bb.0:
	s_clause 0x1
	s_load_b32 s33, s[0:1], 0x8
	s_load_b32 s39, s[0:1], 0x0
	s_bfe_u32 s2, ttmp6, 0x4000c
	s_and_b32 s3, ttmp6, 15
	s_add_co_i32 s2, s2, 1
	s_getreg_b32 s4, hwreg(HW_REG_IB_STS2, 6, 4)
	s_mul_i32 s2, ttmp9, s2
	s_mov_b32 s35, 0
	s_add_co_i32 s3, s3, s2
	s_cmp_eq_u32 s4, 0
	s_mov_b32 s27, -1
	s_cselect_b32 s2, ttmp9, s3
	s_mov_b32 s8, 0
	v_lshl_or_b32 v0, s2, 9, v0
	s_add_nc_u64 s[2:3], s[0:1], 8
	s_wait_xcnt 0x0
	s_mov_b32 s0, exec_lo
	s_delay_alu instid0(VALU_DEP_1) | instskip(SKIP_2) | instid1(SALU_CYCLE_1)
	v_or_b32_e32 v9, 0x180, v0
	s_wait_kmcnt 0x0
	s_add_co_i32 s34, s33, -1
	s_cmp_gt_u32 s34, 1
	s_cselect_b32 s36, -1, 0
	v_cmpx_le_i32_e64 s39, v9
	s_xor_b32 s37, exec_lo, s0
	s_cbranch_execz .LBB191_1124
; %bb.1:
	s_clause 0x3
	s_load_b128 s[12:15], s[2:3], 0x4
	s_load_b64 s[0:1], s[2:3], 0x14
	s_load_b256 s[4:11], s[2:3], 0x148
	s_load_b128 s[16:19], s[2:3], 0xc4
	s_cmp_lg_u32 s33, 0
	s_mov_b32 s21, 0
	s_cselect_b32 s41, -1, 0
	s_min_u32 s40, s34, 15
	s_cmp_gt_u32 s33, 1
	s_add_nc_u64 s[24:25], s[2:3], 0xc4
	s_mov_b32 s23, s21
	s_mov_b32 s43, s21
	s_cselect_b32 s38, -1, 0
	s_mov_b32 s42, s21
	s_mov_b32 s44, exec_lo
	s_wait_kmcnt 0x0
	s_mov_b32 s20, s13
	s_mov_b32 s22, s0
	s_bfe_u32 s13, s11, 0x80008
	v_cmpx_gt_i32_e64 s39, v0
	s_cbranch_execz .LBB191_274
; %bb.2:
	s_and_not1_b32 vcc_lo, exec_lo, s36
	s_cbranch_vccnz .LBB191_8
; %bb.3:
	s_and_not1_b32 vcc_lo, exec_lo, s41
	s_cbranch_vccnz .LBB191_9
; %bb.4:
	s_add_co_i32 s0, s40, 1
	s_cmp_eq_u32 s34, 2
	s_cbranch_scc1 .LBB191_10
; %bb.5:
	v_dual_mov_b32 v2, 0 :: v_dual_mov_b32 v4, 0
	v_mov_b32_e32 v1, v0
	s_and_b32 s26, s0, 28
	s_mov_b32 s27, 0
	s_mov_b64 s[28:29], s[2:3]
	s_mov_b64 s[30:31], s[24:25]
.LBB191_6:                              ; =>This Inner Loop Header: Depth=1
	s_clause 0x1
	s_load_b256 s[48:55], s[28:29], 0x4
	s_load_b128 s[64:67], s[28:29], 0x24
	s_load_b256 s[56:63], s[30:31], 0x0
	s_add_co_i32 s27, s27, 4
	s_wait_xcnt 0x0
	s_add_nc_u64 s[28:29], s[28:29], 48
	s_cmp_lg_u32 s26, s27
	s_add_nc_u64 s[30:31], s[30:31], 32
	s_wait_kmcnt 0x0
	v_mul_hi_u32 v3, s49, v1
	s_delay_alu instid0(VALU_DEP_1) | instskip(NEXT) | instid1(VALU_DEP_1)
	v_add_nc_u32_e32 v3, v1, v3
	v_lshrrev_b32_e32 v3, s50, v3
	s_delay_alu instid0(VALU_DEP_1) | instskip(NEXT) | instid1(VALU_DEP_1)
	v_mul_hi_u32 v5, s52, v3
	v_add_nc_u32_e32 v5, v3, v5
	s_delay_alu instid0(VALU_DEP_1) | instskip(NEXT) | instid1(VALU_DEP_1)
	v_lshrrev_b32_e32 v5, s53, v5
	v_mul_hi_u32 v6, s55, v5
	s_delay_alu instid0(VALU_DEP_1) | instskip(SKIP_1) | instid1(VALU_DEP_1)
	v_add_nc_u32_e32 v6, v5, v6
	v_mul_lo_u32 v7, v3, s48
	v_sub_nc_u32_e32 v1, v1, v7
	v_mul_lo_u32 v7, v5, s51
	s_delay_alu instid0(VALU_DEP_4) | instskip(NEXT) | instid1(VALU_DEP_3)
	v_lshrrev_b32_e32 v6, s64, v6
	v_mad_u32 v4, v1, s57, v4
	v_mad_u32 v1, v1, s56, v2
	s_delay_alu instid0(VALU_DEP_4) | instskip(NEXT) | instid1(VALU_DEP_4)
	v_sub_nc_u32_e32 v2, v3, v7
	v_mul_hi_u32 v8, s66, v6
	v_mul_lo_u32 v3, v6, s54
	s_delay_alu instid0(VALU_DEP_3) | instskip(SKIP_1) | instid1(VALU_DEP_3)
	v_mad_u32 v4, v2, s59, v4
	v_mad_u32 v2, v2, s58, v1
	v_dual_add_nc_u32 v7, v6, v8 :: v_dual_sub_nc_u32 v3, v5, v3
	s_delay_alu instid0(VALU_DEP_1) | instskip(NEXT) | instid1(VALU_DEP_2)
	v_lshrrev_b32_e32 v1, s67, v7
	v_mad_u32 v4, v3, s61, v4
	s_delay_alu instid0(VALU_DEP_4) | instskip(NEXT) | instid1(VALU_DEP_3)
	v_mad_u32 v2, v3, s60, v2
	v_mul_lo_u32 v5, v1, s65
	s_delay_alu instid0(VALU_DEP_1) | instskip(NEXT) | instid1(VALU_DEP_1)
	v_sub_nc_u32_e32 v3, v6, v5
	v_mad_u32 v4, v3, s63, v4
	s_delay_alu instid0(VALU_DEP_4)
	v_mad_u32 v2, v3, s62, v2
	s_cbranch_scc1 .LBB191_6
; %bb.7:
	s_delay_alu instid0(VALU_DEP_2)
	v_mov_b32_e32 v3, v4
	s_and_b32 s0, s0, 3
	s_mov_b32 s27, 0
	s_cmp_eq_u32 s0, 0
	s_cbranch_scc0 .LBB191_11
	s_branch .LBB191_14
.LBB191_8:
                                        ; implicit-def: $vgpr4
                                        ; implicit-def: $vgpr2
	s_branch .LBB191_15
.LBB191_9:
	v_dual_mov_b32 v4, 0 :: v_dual_mov_b32 v2, 0
	s_branch .LBB191_14
.LBB191_10:
	v_mov_b64_e32 v[2:3], 0
	v_mov_b32_e32 v1, v0
	s_mov_b32 s26, 0
                                        ; implicit-def: $vgpr4
	s_and_b32 s0, s0, 3
	s_mov_b32 s27, 0
	s_cmp_eq_u32 s0, 0
	s_cbranch_scc1 .LBB191_14
.LBB191_11:
	s_lshl_b32 s28, s26, 3
	s_mov_b32 s29, s27
	s_mul_u64 s[30:31], s[26:27], 12
	s_add_nc_u64 s[28:29], s[2:3], s[28:29]
	s_delay_alu instid0(SALU_CYCLE_1)
	s_add_nc_u64 s[26:27], s[28:29], 0xc4
	s_add_nc_u64 s[28:29], s[2:3], s[30:31]
.LBB191_12:                             ; =>This Inner Loop Header: Depth=1
	s_load_b96 s[48:50], s[28:29], 0x4
	s_load_b64 s[30:31], s[26:27], 0x0
	s_add_co_i32 s0, s0, -1
	s_wait_xcnt 0x0
	s_add_nc_u64 s[28:29], s[28:29], 12
	s_cmp_lg_u32 s0, 0
	s_add_nc_u64 s[26:27], s[26:27], 8
	s_wait_kmcnt 0x0
	v_mul_hi_u32 v4, s49, v1
	s_delay_alu instid0(VALU_DEP_1) | instskip(NEXT) | instid1(VALU_DEP_1)
	v_add_nc_u32_e32 v4, v1, v4
	v_lshrrev_b32_e32 v4, s50, v4
	s_delay_alu instid0(VALU_DEP_1) | instskip(NEXT) | instid1(VALU_DEP_1)
	v_mul_lo_u32 v5, v4, s48
	v_sub_nc_u32_e32 v1, v1, v5
	s_delay_alu instid0(VALU_DEP_1)
	v_mad_u32 v3, v1, s31, v3
	v_mad_u32 v2, v1, s30, v2
	v_mov_b32_e32 v1, v4
	s_cbranch_scc1 .LBB191_12
; %bb.13:
	s_delay_alu instid0(VALU_DEP_3)
	v_mov_b32_e32 v4, v3
.LBB191_14:
	s_cbranch_execnz .LBB191_17
.LBB191_15:
	v_mov_b32_e32 v1, 0
	s_and_not1_b32 vcc_lo, exec_lo, s38
	s_delay_alu instid0(VALU_DEP_1) | instskip(NEXT) | instid1(VALU_DEP_1)
	v_mul_u64_e32 v[2:3], s[20:21], v[0:1]
	v_add_nc_u32_e32 v2, v0, v3
	s_delay_alu instid0(VALU_DEP_1) | instskip(NEXT) | instid1(VALU_DEP_1)
	v_lshrrev_b32_e32 v6, s14, v2
	v_mul_lo_u32 v2, v6, s12
	s_delay_alu instid0(VALU_DEP_1) | instskip(NEXT) | instid1(VALU_DEP_1)
	v_sub_nc_u32_e32 v2, v0, v2
	v_mul_lo_u32 v4, v2, s17
	v_mul_lo_u32 v2, v2, s16
	s_cbranch_vccnz .LBB191_17
; %bb.16:
	v_mov_b32_e32 v7, v1
	s_delay_alu instid0(VALU_DEP_1) | instskip(NEXT) | instid1(VALU_DEP_1)
	v_mul_u64_e32 v[8:9], s[22:23], v[6:7]
	v_add_nc_u32_e32 v1, v6, v9
	s_delay_alu instid0(VALU_DEP_1) | instskip(NEXT) | instid1(VALU_DEP_1)
	v_lshrrev_b32_e32 v1, s1, v1
	v_mul_lo_u32 v1, v1, s15
	s_delay_alu instid0(VALU_DEP_1) | instskip(NEXT) | instid1(VALU_DEP_1)
	v_sub_nc_u32_e32 v1, v6, v1
	v_mad_u32 v2, v1, s18, v2
	v_mad_u32 v4, v1, s19, v4
.LBB191_17:
	v_mov_b32_e32 v5, 0
	s_and_b32 s0, 0xffff, s13
	s_delay_alu instid0(SALU_CYCLE_1) | instskip(NEXT) | instid1(VALU_DEP_1)
	s_cmp_lt_i32 s0, 11
	v_add_nc_u64_e32 v[4:5], s[6:7], v[4:5]
	s_cbranch_scc1 .LBB191_24
; %bb.18:
	s_cmp_gt_i32 s0, 25
	s_cbranch_scc0 .LBB191_29
; %bb.19:
	s_cmp_gt_i32 s0, 28
	s_cbranch_scc0 .LBB191_31
; %bb.20:
	s_cmp_gt_i32 s0, 43
	s_cbranch_scc0 .LBB191_49
; %bb.21:
	s_cmp_gt_i32 s0, 45
	s_cbranch_scc0 .LBB191_51
; %bb.22:
	s_cmp_eq_u32 s0, 46
	s_mov_b32 s28, 0
	s_cbranch_scc0 .LBB191_53
; %bb.23:
	global_load_b32 v1, v[4:5], off
	s_mov_b32 s27, -1
	s_mov_b32 s26, 0
	s_wait_loadcnt 0x0
	v_lshlrev_b32_e32 v1, 16, v1
	s_delay_alu instid0(VALU_DEP_1)
	v_cvt_i32_f32_e32 v1, v1
	s_branch .LBB191_55
.LBB191_24:
	s_mov_b32 s26, 0
	s_mov_b32 s27, 0
                                        ; implicit-def: $vgpr1
	s_cbranch_execnz .LBB191_224
.LBB191_25:
	s_and_not1_b32 vcc_lo, exec_lo, s27
	s_cbranch_vccnz .LBB191_271
.LBB191_26:
	s_cmp_lt_i32 s8, 1
	s_mov_b32 s0, 0
	s_cbranch_scc1 .LBB191_30
; %bb.27:
	s_cmp_eq_u32 s8, 1
	s_cbranch_scc0 .LBB191_32
; %bb.28:
	s_wait_loadcnt 0x0
	s_delay_alu instid0(VALU_DEP_1)
	v_min_i32_e32 v4, s9, v1
	s_mov_b32 s27, 0
	s_branch .LBB191_33
.LBB191_29:
	s_mov_b32 s26, 0
	s_mov_b32 s27, 0
                                        ; implicit-def: $vgpr1
	s_cbranch_execnz .LBB191_191
	s_branch .LBB191_223
.LBB191_30:
	s_mov_b32 s27, 0
                                        ; implicit-def: $vgpr4
	s_cbranch_execnz .LBB191_34
	s_branch .LBB191_35
.LBB191_31:
	s_mov_b32 s28, -1
	s_mov_b32 s26, 0
	s_mov_b32 s27, 0
                                        ; implicit-def: $vgpr1
	s_branch .LBB191_174
.LBB191_32:
	s_mov_b32 s27, -1
                                        ; implicit-def: $vgpr4
.LBB191_33:
	s_branch .LBB191_35
.LBB191_34:
	s_cmp_lg_u32 s8, 0
	s_mov_b32 s0, -1
	s_cselect_b32 s27, -1, 0
.LBB191_35:
	s_delay_alu instid0(SALU_CYCLE_1)
	s_and_not1_b32 vcc_lo, exec_lo, s27
	s_cbranch_vccnz .LBB191_37
; %bb.36:
	s_wait_loadcnt 0x0
	s_delay_alu instid0(VALU_DEP_1)
	v_maxmin_i32 v4, v1, s9, s10
	s_cbranch_execz .LBB191_38
	s_branch .LBB191_39
.LBB191_37:
	s_and_not1_b32 vcc_lo, exec_lo, s0
	s_cbranch_vccnz .LBB191_39
.LBB191_38:
	s_wait_loadcnt 0x0
	s_delay_alu instid0(VALU_DEP_1)
	v_max_i32_e32 v4, s9, v1
.LBB191_39:
	v_mov_b32_e32 v3, 0
	s_and_b32 s27, s11, 0xff
	s_delay_alu instid0(SALU_CYCLE_1) | instskip(NEXT) | instid1(VALU_DEP_1)
	s_cmp_lt_i32 s27, 11
	v_add_nc_u64_e32 v[2:3], s[4:5], v[2:3]
	s_cbranch_scc1 .LBB191_46
; %bb.40:
	s_and_b32 s28, 0xffff, s27
	s_delay_alu instid0(SALU_CYCLE_1)
	s_cmp_gt_i32 s28, 25
	s_cbranch_scc0 .LBB191_48
; %bb.41:
	s_cmp_gt_i32 s28, 28
	s_cbranch_scc0 .LBB191_50
; %bb.42:
	s_cmp_gt_i32 s28, 43
	s_cbranch_scc0 .LBB191_52
; %bb.43:
	s_cmp_gt_i32 s28, 45
	s_cbranch_scc0 .LBB191_58
; %bb.44:
	s_mov_b32 s30, 0
	s_mov_b32 s0, -1
	s_cmp_eq_u32 s28, 46
	s_mov_b32 s29, 0
	s_cbranch_scc0 .LBB191_59
; %bb.45:
	s_wait_loadcnt 0x0
	v_cvt_f32_i32_e32 v1, v4
	s_mov_b32 s29, -1
	s_mov_b32 s0, 0
	s_delay_alu instid0(VALU_DEP_1) | instskip(NEXT) | instid1(VALU_DEP_1)
	v_bfe_u32 v5, v1, 16, 1
	v_add3_u32 v1, v1, v5, 0x7fff
	s_delay_alu instid0(VALU_DEP_1)
	v_lshrrev_b32_e32 v1, 16, v1
	global_store_b32 v[2:3], v1, off
	s_branch .LBB191_59
.LBB191_46:
	s_mov_b32 s0, 0
	s_mov_b32 s29, 0
	s_cbranch_execnz .LBB191_128
.LBB191_47:
	s_and_not1_b32 vcc_lo, exec_lo, s29
	s_cbranch_vccz .LBB191_166
	s_branch .LBB191_272
.LBB191_48:
	s_mov_b32 s30, -1
	s_mov_b32 s0, 0
	s_mov_b32 s29, 0
	s_branch .LBB191_86
.LBB191_49:
	s_mov_b32 s28, -1
	s_mov_b32 s26, 0
	s_mov_b32 s27, 0
                                        ; implicit-def: $vgpr1
	s_branch .LBB191_169
.LBB191_50:
	s_mov_b32 s30, -1
	s_mov_b32 s0, 0
	s_mov_b32 s29, 0
	s_branch .LBB191_69
.LBB191_51:
	s_mov_b32 s28, -1
	s_mov_b32 s26, 0
	s_branch .LBB191_54
.LBB191_52:
	s_mov_b32 s30, -1
	s_mov_b32 s0, 0
	s_mov_b32 s29, 0
	s_branch .LBB191_65
.LBB191_53:
	s_mov_b32 s26, -1
.LBB191_54:
	s_mov_b32 s27, 0
                                        ; implicit-def: $vgpr1
.LBB191_55:
	s_and_b32 vcc_lo, exec_lo, s28
	s_cbranch_vccz .LBB191_168
; %bb.56:
	s_cmp_eq_u32 s0, 44
	s_cbranch_scc0 .LBB191_167
; %bb.57:
	global_load_u8 v1, v[4:5], off
	s_mov_b32 s26, 0
	s_mov_b32 s27, -1
	s_wait_loadcnt 0x0
	v_lshlrev_b32_e32 v3, 23, v1
	v_cmp_ne_u32_e32 vcc_lo, 0, v1
	s_delay_alu instid0(VALU_DEP_2) | instskip(NEXT) | instid1(VALU_DEP_1)
	v_cvt_i32_f32_e32 v3, v3
	v_cndmask_b32_e32 v1, 0, v3, vcc_lo
	s_branch .LBB191_168
.LBB191_58:
	s_mov_b32 s30, -1
	s_mov_b32 s0, 0
	s_mov_b32 s29, 0
.LBB191_59:
	s_and_b32 vcc_lo, exec_lo, s30
	s_cbranch_vccz .LBB191_64
; %bb.60:
	s_cmp_eq_u32 s28, 44
	s_mov_b32 s0, -1
	s_cbranch_scc0 .LBB191_64
; %bb.61:
	s_wait_loadcnt 0x0
	v_cvt_f32_i32_e32 v1, v4
	v_mov_b32_e32 v5, 0xff
	s_mov_b32 s29, exec_lo
	s_delay_alu instid0(VALU_DEP_2) | instskip(NEXT) | instid1(VALU_DEP_1)
	v_bfe_u32 v6, v1, 23, 8
	v_cmpx_ne_u32_e32 0xff, v6
	s_cbranch_execz .LBB191_63
; %bb.62:
	v_and_b32_e32 v5, 0x400000, v1
	v_and_or_b32 v6, 0x3fffff, v1, v6
	v_lshrrev_b32_e32 v1, 23, v1
	s_delay_alu instid0(VALU_DEP_3) | instskip(NEXT) | instid1(VALU_DEP_3)
	v_cmp_ne_u32_e32 vcc_lo, 0, v5
	v_cmp_ne_u32_e64 s0, 0, v6
	s_and_b32 s0, vcc_lo, s0
	s_delay_alu instid0(SALU_CYCLE_1) | instskip(NEXT) | instid1(VALU_DEP_1)
	v_cndmask_b32_e64 v5, 0, 1, s0
	v_add_nc_u32_e32 v5, v1, v5
.LBB191_63:
	s_or_b32 exec_lo, exec_lo, s29
	s_mov_b32 s29, -1
	s_mov_b32 s0, 0
	global_store_b8 v[2:3], v5, off
.LBB191_64:
	s_mov_b32 s30, 0
.LBB191_65:
	s_delay_alu instid0(SALU_CYCLE_1)
	s_and_b32 vcc_lo, exec_lo, s30
	s_cbranch_vccz .LBB191_68
; %bb.66:
	s_cmp_eq_u32 s28, 29
	s_mov_b32 s0, -1
	s_cbranch_scc0 .LBB191_68
; %bb.67:
	s_wait_xcnt 0x0
	v_ashrrev_i32_e32 v5, 31, v4
	s_mov_b32 s29, -1
	s_mov_b32 s0, 0
	s_mov_b32 s30, 0
	global_store_b64 v[2:3], v[4:5], off
	s_branch .LBB191_69
.LBB191_68:
	s_mov_b32 s30, 0
.LBB191_69:
	s_delay_alu instid0(SALU_CYCLE_1)
	s_and_b32 vcc_lo, exec_lo, s30
	s_cbranch_vccz .LBB191_85
; %bb.70:
	s_cmp_lt_i32 s28, 27
	s_mov_b32 s29, -1
	s_cbranch_scc1 .LBB191_76
; %bb.71:
	s_cmp_gt_i32 s28, 27
	s_cbranch_scc0 .LBB191_73
; %bb.72:
	s_mov_b32 s29, 0
	global_store_b32 v[2:3], v4, off
.LBB191_73:
	s_and_not1_b32 vcc_lo, exec_lo, s29
	s_cbranch_vccnz .LBB191_75
; %bb.74:
	global_store_b16 v[2:3], v4, off
.LBB191_75:
	s_mov_b32 s29, 0
.LBB191_76:
	s_delay_alu instid0(SALU_CYCLE_1)
	s_and_not1_b32 vcc_lo, exec_lo, s29
	s_cbranch_vccnz .LBB191_84
; %bb.77:
	s_wait_loadcnt 0x0
	v_cvt_f32_i32_e32 v1, v4
	v_mov_b32_e32 v6, 0x80
	s_mov_b32 s29, exec_lo
	s_delay_alu instid0(VALU_DEP_2) | instskip(NEXT) | instid1(VALU_DEP_1)
	v_and_b32_e32 v5, 0x7fffffff, v1
	v_cmpx_gt_u32_e32 0x43800000, v5
	s_cbranch_execz .LBB191_83
; %bb.78:
	v_cmp_lt_u32_e32 vcc_lo, 0x3bffffff, v5
	s_mov_b32 s30, 0
                                        ; implicit-def: $vgpr5
	s_and_saveexec_b32 s31, vcc_lo
	s_delay_alu instid0(SALU_CYCLE_1)
	s_xor_b32 s31, exec_lo, s31
	s_cbranch_execz .LBB191_328
; %bb.79:
	v_bfe_u32 v5, v1, 20, 1
	s_mov_b32 s30, exec_lo
	s_delay_alu instid0(VALU_DEP_1) | instskip(NEXT) | instid1(VALU_DEP_1)
	v_add3_u32 v5, v1, v5, 0x487ffff
	v_lshrrev_b32_e32 v5, 20, v5
	s_and_not1_saveexec_b32 s31, s31
	s_cbranch_execnz .LBB191_329
.LBB191_80:
	s_or_b32 exec_lo, exec_lo, s31
	v_mov_b32_e32 v6, 0
	s_and_saveexec_b32 s31, s30
.LBB191_81:
	v_lshrrev_b32_e32 v1, 24, v1
	s_delay_alu instid0(VALU_DEP_1)
	v_and_or_b32 v6, 0x80, v1, v5
.LBB191_82:
	s_or_b32 exec_lo, exec_lo, s31
.LBB191_83:
	s_delay_alu instid0(SALU_CYCLE_1)
	s_or_b32 exec_lo, exec_lo, s29
	global_store_b8 v[2:3], v6, off
.LBB191_84:
	s_mov_b32 s29, -1
.LBB191_85:
	s_mov_b32 s30, 0
.LBB191_86:
	s_delay_alu instid0(SALU_CYCLE_1)
	s_and_b32 vcc_lo, exec_lo, s30
	s_cbranch_vccz .LBB191_127
; %bb.87:
	s_cmp_gt_i32 s28, 22
	s_mov_b32 s30, -1
	s_cbranch_scc0 .LBB191_119
; %bb.88:
	s_cmp_lt_i32 s28, 24
	s_mov_b32 s29, -1
	s_cbranch_scc1 .LBB191_108
; %bb.89:
	s_cmp_gt_i32 s28, 24
	s_cbranch_scc0 .LBB191_97
; %bb.90:
	s_wait_loadcnt 0x0
	v_cvt_f32_i32_e32 v1, v4
	v_mov_b32_e32 v6, 0x80
	s_mov_b32 s29, exec_lo
	s_delay_alu instid0(VALU_DEP_2) | instskip(NEXT) | instid1(VALU_DEP_1)
	v_and_b32_e32 v5, 0x7fffffff, v1
	v_cmpx_gt_u32_e32 0x47800000, v5
	s_cbranch_execz .LBB191_96
; %bb.91:
	v_cmp_lt_u32_e32 vcc_lo, 0x37ffffff, v5
	s_mov_b32 s30, 0
                                        ; implicit-def: $vgpr5
	s_and_saveexec_b32 s31, vcc_lo
	s_delay_alu instid0(SALU_CYCLE_1)
	s_xor_b32 s31, exec_lo, s31
	s_cbranch_execz .LBB191_332
; %bb.92:
	v_bfe_u32 v5, v1, 21, 1
	s_mov_b32 s30, exec_lo
	s_delay_alu instid0(VALU_DEP_1) | instskip(NEXT) | instid1(VALU_DEP_1)
	v_add3_u32 v5, v1, v5, 0x88fffff
	v_lshrrev_b32_e32 v5, 21, v5
	s_and_not1_saveexec_b32 s31, s31
	s_cbranch_execnz .LBB191_333
.LBB191_93:
	s_or_b32 exec_lo, exec_lo, s31
	v_mov_b32_e32 v6, 0
	s_and_saveexec_b32 s31, s30
.LBB191_94:
	v_lshrrev_b32_e32 v1, 24, v1
	s_delay_alu instid0(VALU_DEP_1)
	v_and_or_b32 v6, 0x80, v1, v5
.LBB191_95:
	s_or_b32 exec_lo, exec_lo, s31
.LBB191_96:
	s_delay_alu instid0(SALU_CYCLE_1)
	s_or_b32 exec_lo, exec_lo, s29
	s_mov_b32 s29, 0
	global_store_b8 v[2:3], v6, off
.LBB191_97:
	s_and_b32 vcc_lo, exec_lo, s29
	s_cbranch_vccz .LBB191_107
; %bb.98:
	s_wait_loadcnt 0x0
	v_cvt_f32_i32_e32 v1, v4
	s_mov_b32 s29, exec_lo
                                        ; implicit-def: $vgpr5
	s_delay_alu instid0(VALU_DEP_1) | instskip(NEXT) | instid1(VALU_DEP_1)
	v_and_b32_e32 v6, 0x7fffffff, v1
	v_cmpx_gt_u32_e32 0x43f00000, v6
	s_xor_b32 s29, exec_lo, s29
	s_cbranch_execz .LBB191_104
; %bb.99:
	s_mov_b32 s30, exec_lo
                                        ; implicit-def: $vgpr5
	v_cmpx_lt_u32_e32 0x3c7fffff, v6
	s_xor_b32 s30, exec_lo, s30
; %bb.100:
	v_bfe_u32 v5, v1, 20, 1
	s_delay_alu instid0(VALU_DEP_1) | instskip(NEXT) | instid1(VALU_DEP_1)
	v_add3_u32 v5, v1, v5, 0x407ffff
	v_and_b32_e32 v6, 0xff00000, v5
	v_lshrrev_b32_e32 v5, 20, v5
	s_delay_alu instid0(VALU_DEP_2) | instskip(NEXT) | instid1(VALU_DEP_2)
	v_cmp_ne_u32_e32 vcc_lo, 0x7f00000, v6
	v_cndmask_b32_e32 v5, 0x7e, v5, vcc_lo
; %bb.101:
	s_and_not1_saveexec_b32 s30, s30
; %bb.102:
	v_add_f32_e64 v5, 0x46800000, |v1|
; %bb.103:
	s_or_b32 exec_lo, exec_lo, s30
                                        ; implicit-def: $vgpr6
.LBB191_104:
	s_and_not1_saveexec_b32 s29, s29
; %bb.105:
	v_mov_b32_e32 v5, 0x7f
	v_cmp_lt_u32_e32 vcc_lo, 0x7f800000, v6
	s_delay_alu instid0(VALU_DEP_2)
	v_cndmask_b32_e32 v5, 0x7e, v5, vcc_lo
; %bb.106:
	s_or_b32 exec_lo, exec_lo, s29
	v_lshrrev_b32_e32 v1, 24, v1
	s_delay_alu instid0(VALU_DEP_1)
	v_and_or_b32 v1, 0x80, v1, v5
	global_store_b8 v[2:3], v1, off
.LBB191_107:
	s_mov_b32 s29, 0
.LBB191_108:
	s_delay_alu instid0(SALU_CYCLE_1)
	s_and_not1_b32 vcc_lo, exec_lo, s29
	s_cbranch_vccnz .LBB191_118
; %bb.109:
	s_wait_loadcnt 0x0
	v_cvt_f32_i32_e32 v1, v4
	s_mov_b32 s29, exec_lo
                                        ; implicit-def: $vgpr5
	s_delay_alu instid0(VALU_DEP_1) | instskip(NEXT) | instid1(VALU_DEP_1)
	v_and_b32_e32 v6, 0x7fffffff, v1
	v_cmpx_gt_u32_e32 0x47800000, v6
	s_xor_b32 s29, exec_lo, s29
	s_cbranch_execz .LBB191_115
; %bb.110:
	s_mov_b32 s30, exec_lo
                                        ; implicit-def: $vgpr5
	v_cmpx_lt_u32_e32 0x387fffff, v6
	s_xor_b32 s30, exec_lo, s30
; %bb.111:
	v_bfe_u32 v5, v1, 21, 1
	s_delay_alu instid0(VALU_DEP_1) | instskip(NEXT) | instid1(VALU_DEP_1)
	v_add3_u32 v5, v1, v5, 0x80fffff
	v_lshrrev_b32_e32 v5, 21, v5
; %bb.112:
	s_and_not1_saveexec_b32 s30, s30
; %bb.113:
	v_add_f32_e64 v5, 0x43000000, |v1|
; %bb.114:
	s_or_b32 exec_lo, exec_lo, s30
                                        ; implicit-def: $vgpr6
.LBB191_115:
	s_and_not1_saveexec_b32 s29, s29
; %bb.116:
	v_mov_b32_e32 v5, 0x7f
	v_cmp_lt_u32_e32 vcc_lo, 0x7f800000, v6
	s_delay_alu instid0(VALU_DEP_2)
	v_cndmask_b32_e32 v5, 0x7c, v5, vcc_lo
; %bb.117:
	s_or_b32 exec_lo, exec_lo, s29
	v_lshrrev_b32_e32 v1, 24, v1
	s_delay_alu instid0(VALU_DEP_1)
	v_and_or_b32 v1, 0x80, v1, v5
	global_store_b8 v[2:3], v1, off
.LBB191_118:
	s_mov_b32 s30, 0
	s_mov_b32 s29, -1
.LBB191_119:
	s_and_not1_b32 vcc_lo, exec_lo, s30
	s_cbranch_vccnz .LBB191_127
; %bb.120:
	s_cmp_gt_i32 s28, 14
	s_mov_b32 s30, -1
	s_cbranch_scc0 .LBB191_124
; %bb.121:
	s_cmp_eq_u32 s28, 15
	s_mov_b32 s0, -1
	s_cbranch_scc0 .LBB191_123
; %bb.122:
	s_wait_loadcnt 0x0
	v_cvt_f32_i32_e32 v1, v4
	s_mov_b32 s29, -1
	s_mov_b32 s0, 0
	s_delay_alu instid0(VALU_DEP_1) | instskip(NEXT) | instid1(VALU_DEP_1)
	v_bfe_u32 v5, v1, 16, 1
	v_add3_u32 v1, v1, v5, 0x7fff
	global_store_d16_hi_b16 v[2:3], v1, off
.LBB191_123:
	s_mov_b32 s30, 0
.LBB191_124:
	s_delay_alu instid0(SALU_CYCLE_1)
	s_and_b32 vcc_lo, exec_lo, s30
	s_cbranch_vccz .LBB191_127
; %bb.125:
	s_cmp_eq_u32 s28, 11
	s_mov_b32 s0, -1
	s_cbranch_scc0 .LBB191_127
; %bb.126:
	v_cmp_ne_u32_e32 vcc_lo, 0, v4
	s_mov_b32 s0, 0
	s_mov_b32 s29, -1
	s_wait_loadcnt 0x0
	v_cndmask_b32_e64 v1, 0, 1, vcc_lo
	global_store_b8 v[2:3], v1, off
.LBB191_127:
	s_branch .LBB191_47
.LBB191_128:
	s_and_b32 s27, 0xffff, s27
	s_mov_b32 s28, -1
	s_cmp_lt_i32 s27, 5
	s_cbranch_scc1 .LBB191_149
; %bb.129:
	s_cmp_lt_i32 s27, 8
	s_cbranch_scc1 .LBB191_139
; %bb.130:
	;; [unrolled: 3-line block ×3, first 2 shown]
	s_cmp_gt_i32 s27, 9
	s_cbranch_scc0 .LBB191_133
; %bb.132:
	s_wait_xcnt 0x0
	v_cvt_f64_i32_e32 v[6:7], v4
	v_mov_b32_e32 v8, 0
	s_mov_b32 s28, 0
	s_delay_alu instid0(VALU_DEP_1)
	v_mov_b32_e32 v9, v8
	global_store_b128 v[2:3], v[6:9], off
.LBB191_133:
	s_and_not1_b32 vcc_lo, exec_lo, s28
	s_cbranch_vccnz .LBB191_135
; %bb.134:
	s_wait_xcnt 0x0
	v_cvt_f32_i32_e32 v6, v4
	v_mov_b32_e32 v7, 0
	global_store_b64 v[2:3], v[6:7], off
.LBB191_135:
	s_mov_b32 s28, 0
.LBB191_136:
	s_delay_alu instid0(SALU_CYCLE_1)
	s_and_not1_b32 vcc_lo, exec_lo, s28
	s_cbranch_vccnz .LBB191_138
; %bb.137:
	s_wait_loadcnt 0x0
	v_cvt_f32_i32_e32 v1, v4
	s_delay_alu instid0(VALU_DEP_1) | instskip(NEXT) | instid1(VALU_DEP_1)
	v_cvt_f16_f32_e32 v1, v1
	v_and_b32_e32 v1, 0xffff, v1
	global_store_b32 v[2:3], v1, off
.LBB191_138:
	s_mov_b32 s28, 0
.LBB191_139:
	s_delay_alu instid0(SALU_CYCLE_1)
	s_and_not1_b32 vcc_lo, exec_lo, s28
	s_cbranch_vccnz .LBB191_148
; %bb.140:
	s_cmp_lt_i32 s27, 6
	s_mov_b32 s28, -1
	s_cbranch_scc1 .LBB191_146
; %bb.141:
	s_cmp_gt_i32 s27, 6
	s_cbranch_scc0 .LBB191_143
; %bb.142:
	s_wait_xcnt 0x0
	v_cvt_f64_i32_e32 v[6:7], v4
	s_mov_b32 s28, 0
	global_store_b64 v[2:3], v[6:7], off
.LBB191_143:
	s_and_not1_b32 vcc_lo, exec_lo, s28
	s_cbranch_vccnz .LBB191_145
; %bb.144:
	s_wait_loadcnt 0x0
	v_cvt_f32_i32_e32 v1, v4
	global_store_b32 v[2:3], v1, off
.LBB191_145:
	s_mov_b32 s28, 0
.LBB191_146:
	s_delay_alu instid0(SALU_CYCLE_1)
	s_and_not1_b32 vcc_lo, exec_lo, s28
	s_cbranch_vccnz .LBB191_148
; %bb.147:
	s_wait_loadcnt 0x0
	v_cvt_f32_i32_e32 v1, v4
	s_delay_alu instid0(VALU_DEP_1)
	v_cvt_f16_f32_e32 v1, v1
	global_store_b16 v[2:3], v1, off
.LBB191_148:
	s_mov_b32 s28, 0
.LBB191_149:
	s_delay_alu instid0(SALU_CYCLE_1)
	s_and_not1_b32 vcc_lo, exec_lo, s28
	s_cbranch_vccnz .LBB191_165
; %bb.150:
	s_cmp_lt_i32 s27, 2
	s_mov_b32 s28, -1
	s_cbranch_scc1 .LBB191_160
; %bb.151:
	s_cmp_lt_i32 s27, 3
	s_cbranch_scc1 .LBB191_157
; %bb.152:
	s_cmp_gt_i32 s27, 3
	s_cbranch_scc0 .LBB191_154
; %bb.153:
	s_wait_xcnt 0x0
	v_ashrrev_i32_e32 v5, 31, v4
	s_mov_b32 s28, 0
	global_store_b64 v[2:3], v[4:5], off
.LBB191_154:
	s_and_not1_b32 vcc_lo, exec_lo, s28
	s_cbranch_vccnz .LBB191_156
; %bb.155:
	global_store_b32 v[2:3], v4, off
.LBB191_156:
	s_mov_b32 s28, 0
.LBB191_157:
	s_delay_alu instid0(SALU_CYCLE_1)
	s_and_not1_b32 vcc_lo, exec_lo, s28
	s_cbranch_vccnz .LBB191_159
; %bb.158:
	global_store_b16 v[2:3], v4, off
.LBB191_159:
	s_mov_b32 s28, 0
.LBB191_160:
	s_delay_alu instid0(SALU_CYCLE_1)
	s_and_not1_b32 vcc_lo, exec_lo, s28
	s_cbranch_vccnz .LBB191_165
; %bb.161:
	s_cmp_gt_i32 s27, 0
	s_mov_b32 s27, -1
	s_cbranch_scc0 .LBB191_163
; %bb.162:
	s_mov_b32 s27, 0
	global_store_b8 v[2:3], v4, off
.LBB191_163:
	s_and_not1_b32 vcc_lo, exec_lo, s27
	s_cbranch_vccnz .LBB191_165
; %bb.164:
	global_store_b8 v[2:3], v4, off
.LBB191_165:
.LBB191_166:
	v_add_nc_u32_e32 v0, 0x80, v0
	s_mov_b32 s27, -1
	s_branch .LBB191_273
.LBB191_167:
	s_mov_b32 s26, -1
                                        ; implicit-def: $vgpr1
.LBB191_168:
	s_mov_b32 s28, 0
.LBB191_169:
	s_delay_alu instid0(SALU_CYCLE_1)
	s_and_b32 vcc_lo, exec_lo, s28
	s_cbranch_vccz .LBB191_173
; %bb.170:
	s_cmp_eq_u32 s0, 29
	s_cbranch_scc0 .LBB191_172
; %bb.171:
	global_load_b32 v1, v[4:5], off
	s_mov_b32 s27, -1
	s_mov_b32 s26, 0
	s_branch .LBB191_173
.LBB191_172:
	s_mov_b32 s26, -1
                                        ; implicit-def: $vgpr1
.LBB191_173:
	s_mov_b32 s28, 0
.LBB191_174:
	s_delay_alu instid0(SALU_CYCLE_1)
	s_and_b32 vcc_lo, exec_lo, s28
	s_cbranch_vccz .LBB191_190
; %bb.175:
	s_cmp_lt_i32 s0, 27
	s_cbranch_scc1 .LBB191_178
; %bb.176:
	s_cmp_gt_i32 s0, 27
	s_cbranch_scc0 .LBB191_179
; %bb.177:
	s_wait_loadcnt 0x0
	global_load_b32 v1, v[4:5], off
	s_mov_b32 s27, 0
	s_branch .LBB191_180
.LBB191_178:
	s_mov_b32 s27, -1
                                        ; implicit-def: $vgpr1
	s_branch .LBB191_183
.LBB191_179:
	s_mov_b32 s27, -1
                                        ; implicit-def: $vgpr1
.LBB191_180:
	s_delay_alu instid0(SALU_CYCLE_1)
	s_and_not1_b32 vcc_lo, exec_lo, s27
	s_cbranch_vccnz .LBB191_182
; %bb.181:
	s_wait_loadcnt 0x0
	global_load_u16 v1, v[4:5], off
.LBB191_182:
	s_mov_b32 s27, 0
.LBB191_183:
	s_delay_alu instid0(SALU_CYCLE_1)
	s_and_not1_b32 vcc_lo, exec_lo, s27
	s_cbranch_vccnz .LBB191_189
; %bb.184:
	global_load_u8 v3, v[4:5], off
	s_mov_b32 s28, 0
	s_mov_b32 s27, exec_lo
	s_wait_loadcnt 0x0
	v_cmpx_lt_i16_e32 0x7f, v3
	s_xor_b32 s27, exec_lo, s27
	s_cbranch_execz .LBB191_200
; %bb.185:
	v_cmp_ne_u16_e32 vcc_lo, 0x80, v3
	s_and_b32 s28, vcc_lo, exec_lo
	s_and_not1_saveexec_b32 s27, s27
	s_cbranch_execnz .LBB191_201
.LBB191_186:
	s_or_b32 exec_lo, exec_lo, s27
	v_mov_b32_e32 v1, 0
	s_and_saveexec_b32 s27, s28
	s_cbranch_execz .LBB191_188
.LBB191_187:
	v_and_b32_e32 v1, 0xffff, v3
	s_delay_alu instid0(VALU_DEP_1) | instskip(SKIP_1) | instid1(VALU_DEP_2)
	v_and_b32_e32 v6, 7, v1
	v_bfe_u32 v9, v1, 3, 4
	v_clz_i32_u32_e32 v7, v6
	s_delay_alu instid0(VALU_DEP_2) | instskip(NEXT) | instid1(VALU_DEP_2)
	v_cmp_eq_u32_e32 vcc_lo, 0, v9
	v_min_u32_e32 v7, 32, v7
	s_delay_alu instid0(VALU_DEP_1) | instskip(NEXT) | instid1(VALU_DEP_1)
	v_subrev_nc_u32_e32 v8, 28, v7
	v_dual_lshlrev_b32 v1, v8, v1 :: v_dual_sub_nc_u32 v7, 29, v7
	s_delay_alu instid0(VALU_DEP_1) | instskip(NEXT) | instid1(VALU_DEP_1)
	v_dual_lshlrev_b32 v3, 24, v3 :: v_dual_bitop2_b32 v1, 7, v1 bitop3:0x40
	v_dual_cndmask_b32 v1, v6, v1, vcc_lo :: v_dual_cndmask_b32 v7, v9, v7, vcc_lo
	s_delay_alu instid0(VALU_DEP_2) | instskip(NEXT) | instid1(VALU_DEP_2)
	v_and_b32_e32 v3, 0x80000000, v3
	v_lshlrev_b32_e32 v1, 20, v1
	s_delay_alu instid0(VALU_DEP_3) | instskip(NEXT) | instid1(VALU_DEP_1)
	v_lshl_add_u32 v6, v7, 23, 0x3b800000
	v_or3_b32 v1, v3, v6, v1
	s_delay_alu instid0(VALU_DEP_1)
	v_cvt_i32_f32_e32 v1, v1
.LBB191_188:
	s_or_b32 exec_lo, exec_lo, s27
.LBB191_189:
	s_mov_b32 s27, -1
.LBB191_190:
	s_branch .LBB191_223
.LBB191_191:
	s_cmp_gt_i32 s0, 22
	s_cbranch_scc0 .LBB191_199
; %bb.192:
	s_cmp_lt_i32 s0, 24
	s_cbranch_scc1 .LBB191_202
; %bb.193:
	s_cmp_gt_i32 s0, 24
	s_cbranch_scc0 .LBB191_203
; %bb.194:
	global_load_u8 v3, v[4:5], off
	s_mov_b32 s28, 0
	s_mov_b32 s27, exec_lo
	s_wait_loadcnt 0x0
	v_cmpx_lt_i16_e32 0x7f, v3
	s_xor_b32 s27, exec_lo, s27
	s_cbranch_execz .LBB191_215
; %bb.195:
	v_cmp_ne_u16_e32 vcc_lo, 0x80, v3
	s_and_b32 s28, vcc_lo, exec_lo
	s_and_not1_saveexec_b32 s27, s27
	s_cbranch_execnz .LBB191_216
.LBB191_196:
	s_or_b32 exec_lo, exec_lo, s27
	v_mov_b32_e32 v1, 0
	s_and_saveexec_b32 s27, s28
	s_cbranch_execz .LBB191_198
.LBB191_197:
	v_and_b32_e32 v1, 0xffff, v3
	s_delay_alu instid0(VALU_DEP_1) | instskip(SKIP_1) | instid1(VALU_DEP_2)
	v_and_b32_e32 v6, 3, v1
	v_bfe_u32 v9, v1, 2, 5
	v_clz_i32_u32_e32 v7, v6
	s_delay_alu instid0(VALU_DEP_2) | instskip(NEXT) | instid1(VALU_DEP_2)
	v_cmp_eq_u32_e32 vcc_lo, 0, v9
	v_min_u32_e32 v7, 32, v7
	s_delay_alu instid0(VALU_DEP_1) | instskip(NEXT) | instid1(VALU_DEP_1)
	v_subrev_nc_u32_e32 v8, 29, v7
	v_dual_lshlrev_b32 v1, v8, v1 :: v_dual_sub_nc_u32 v7, 30, v7
	s_delay_alu instid0(VALU_DEP_1) | instskip(NEXT) | instid1(VALU_DEP_1)
	v_dual_lshlrev_b32 v3, 24, v3 :: v_dual_bitop2_b32 v1, 3, v1 bitop3:0x40
	v_dual_cndmask_b32 v1, v6, v1, vcc_lo :: v_dual_cndmask_b32 v7, v9, v7, vcc_lo
	s_delay_alu instid0(VALU_DEP_2) | instskip(NEXT) | instid1(VALU_DEP_2)
	v_and_b32_e32 v3, 0x80000000, v3
	v_lshlrev_b32_e32 v1, 21, v1
	s_delay_alu instid0(VALU_DEP_3) | instskip(NEXT) | instid1(VALU_DEP_1)
	v_lshl_add_u32 v6, v7, 23, 0x37800000
	v_or3_b32 v1, v3, v6, v1
	s_delay_alu instid0(VALU_DEP_1)
	v_cvt_i32_f32_e32 v1, v1
.LBB191_198:
	s_or_b32 exec_lo, exec_lo, s27
	s_mov_b32 s27, 0
	s_branch .LBB191_204
.LBB191_199:
	s_mov_b32 s28, -1
                                        ; implicit-def: $vgpr1
	s_branch .LBB191_210
.LBB191_200:
	s_and_not1_saveexec_b32 s27, s27
	s_cbranch_execz .LBB191_186
.LBB191_201:
	v_cmp_ne_u16_e32 vcc_lo, 0, v3
	s_and_not1_b32 s28, s28, exec_lo
	s_and_b32 s29, vcc_lo, exec_lo
	s_delay_alu instid0(SALU_CYCLE_1)
	s_or_b32 s28, s28, s29
	s_or_b32 exec_lo, exec_lo, s27
	v_mov_b32_e32 v1, 0
	s_and_saveexec_b32 s27, s28
	s_cbranch_execnz .LBB191_187
	s_branch .LBB191_188
.LBB191_202:
	s_mov_b32 s27, -1
                                        ; implicit-def: $vgpr1
	s_branch .LBB191_207
.LBB191_203:
	s_mov_b32 s27, -1
                                        ; implicit-def: $vgpr1
.LBB191_204:
	s_delay_alu instid0(SALU_CYCLE_1)
	s_and_b32 vcc_lo, exec_lo, s27
	s_cbranch_vccz .LBB191_206
; %bb.205:
	s_wait_loadcnt 0x0
	global_load_u8 v1, v[4:5], off
	s_wait_loadcnt 0x0
	v_lshlrev_b32_e32 v1, 24, v1
	s_delay_alu instid0(VALU_DEP_1) | instskip(NEXT) | instid1(VALU_DEP_1)
	v_and_b32_e32 v3, 0x7f000000, v1
	v_clz_i32_u32_e32 v6, v3
	v_cmp_ne_u32_e32 vcc_lo, 0, v3
	v_add_nc_u32_e32 v8, 0x1000000, v3
	s_delay_alu instid0(VALU_DEP_3) | instskip(NEXT) | instid1(VALU_DEP_1)
	v_min_u32_e32 v6, 32, v6
	v_sub_nc_u32_e64 v6, v6, 4 clamp
	s_delay_alu instid0(VALU_DEP_1) | instskip(NEXT) | instid1(VALU_DEP_1)
	v_dual_lshlrev_b32 v7, v6, v3 :: v_dual_lshlrev_b32 v6, 23, v6
	v_lshrrev_b32_e32 v7, 4, v7
	s_delay_alu instid0(VALU_DEP_1) | instskip(NEXT) | instid1(VALU_DEP_1)
	v_dual_sub_nc_u32 v6, v7, v6 :: v_dual_ashrrev_i32 v7, 8, v8
	v_add_nc_u32_e32 v6, 0x3c000000, v6
	s_delay_alu instid0(VALU_DEP_1) | instskip(NEXT) | instid1(VALU_DEP_1)
	v_and_or_b32 v6, 0x7f800000, v7, v6
	v_cndmask_b32_e32 v3, 0, v6, vcc_lo
	s_delay_alu instid0(VALU_DEP_1) | instskip(NEXT) | instid1(VALU_DEP_1)
	v_and_or_b32 v1, 0x80000000, v1, v3
	v_cvt_i32_f32_e32 v1, v1
.LBB191_206:
	s_mov_b32 s27, 0
.LBB191_207:
	s_delay_alu instid0(SALU_CYCLE_1)
	s_and_not1_b32 vcc_lo, exec_lo, s27
	s_cbranch_vccnz .LBB191_209
; %bb.208:
	s_wait_loadcnt 0x0
	global_load_u8 v1, v[4:5], off
	s_wait_loadcnt 0x0
	v_lshlrev_b32_e32 v3, 25, v1
	v_lshlrev_b16 v1, 8, v1
	s_delay_alu instid0(VALU_DEP_1) | instskip(SKIP_1) | instid1(VALU_DEP_2)
	v_and_or_b32 v7, 0x7f00, v1, 0.5
	v_bfe_i32 v1, v1, 0, 16
	v_add_f32_e32 v7, -0.5, v7
	v_lshrrev_b32_e32 v6, 4, v3
	v_cmp_gt_u32_e32 vcc_lo, 0x8000000, v3
	s_delay_alu instid0(VALU_DEP_2) | instskip(NEXT) | instid1(VALU_DEP_1)
	v_or_b32_e32 v6, 0x70000000, v6
	v_mul_f32_e32 v6, 0x7800000, v6
	s_delay_alu instid0(VALU_DEP_1) | instskip(NEXT) | instid1(VALU_DEP_1)
	v_cndmask_b32_e32 v3, v6, v7, vcc_lo
	v_and_or_b32 v1, 0x80000000, v1, v3
	s_delay_alu instid0(VALU_DEP_1)
	v_cvt_i32_f32_e32 v1, v1
.LBB191_209:
	s_mov_b32 s28, 0
	s_mov_b32 s27, -1
.LBB191_210:
	s_and_not1_b32 vcc_lo, exec_lo, s28
	s_cbranch_vccnz .LBB191_223
; %bb.211:
	s_cmp_gt_i32 s0, 14
	s_cbranch_scc0 .LBB191_214
; %bb.212:
	s_cmp_eq_u32 s0, 15
	s_cbranch_scc0 .LBB191_217
; %bb.213:
	s_wait_loadcnt 0x0
	global_load_u16 v1, v[4:5], off
	s_mov_b32 s27, -1
	s_mov_b32 s26, 0
	s_wait_loadcnt 0x0
	v_lshlrev_b32_e32 v1, 16, v1
	s_delay_alu instid0(VALU_DEP_1)
	v_cvt_i32_f32_e32 v1, v1
	s_branch .LBB191_218
.LBB191_214:
	s_mov_b32 s28, -1
                                        ; implicit-def: $vgpr1
	s_branch .LBB191_219
.LBB191_215:
	s_and_not1_saveexec_b32 s27, s27
	s_cbranch_execz .LBB191_196
.LBB191_216:
	v_cmp_ne_u16_e32 vcc_lo, 0, v3
	s_and_not1_b32 s28, s28, exec_lo
	s_and_b32 s29, vcc_lo, exec_lo
	s_delay_alu instid0(SALU_CYCLE_1)
	s_or_b32 s28, s28, s29
	s_or_b32 exec_lo, exec_lo, s27
	v_mov_b32_e32 v1, 0
	s_and_saveexec_b32 s27, s28
	s_cbranch_execnz .LBB191_197
	s_branch .LBB191_198
.LBB191_217:
	s_mov_b32 s26, -1
                                        ; implicit-def: $vgpr1
.LBB191_218:
	s_mov_b32 s28, 0
.LBB191_219:
	s_delay_alu instid0(SALU_CYCLE_1)
	s_and_b32 vcc_lo, exec_lo, s28
	s_cbranch_vccz .LBB191_223
; %bb.220:
	s_cmp_eq_u32 s0, 11
	s_cbranch_scc0 .LBB191_222
; %bb.221:
	s_wait_loadcnt 0x0
	global_load_u8 v1, v[4:5], off
	s_mov_b32 s26, 0
	s_mov_b32 s27, -1
	s_wait_loadcnt 0x0
	v_cmp_ne_u16_e32 vcc_lo, 0, v1
	v_cndmask_b32_e64 v1, 0, 1, vcc_lo
	s_branch .LBB191_223
.LBB191_222:
	s_mov_b32 s26, -1
                                        ; implicit-def: $vgpr1
.LBB191_223:
	s_branch .LBB191_25
.LBB191_224:
	s_cmp_lt_i32 s0, 5
	s_cbranch_scc1 .LBB191_229
; %bb.225:
	s_cmp_lt_i32 s0, 8
	s_cbranch_scc1 .LBB191_230
; %bb.226:
	;; [unrolled: 3-line block ×3, first 2 shown]
	s_cmp_gt_i32 s0, 9
	s_cbranch_scc0 .LBB191_232
; %bb.228:
	global_load_b64 v[6:7], v[4:5], off
	s_mov_b32 s27, 0
	s_wait_loadcnt 0x0
	v_cvt_i32_f64_e32 v1, v[6:7]
	s_branch .LBB191_233
.LBB191_229:
                                        ; implicit-def: $vgpr1
	s_branch .LBB191_251
.LBB191_230:
	s_mov_b32 s27, -1
                                        ; implicit-def: $vgpr1
	s_branch .LBB191_239
.LBB191_231:
	s_mov_b32 s27, -1
                                        ; implicit-def: $vgpr1
	s_branch .LBB191_236
.LBB191_232:
	s_mov_b32 s27, -1
                                        ; implicit-def: $vgpr1
.LBB191_233:
	s_delay_alu instid0(SALU_CYCLE_1)
	s_and_not1_b32 vcc_lo, exec_lo, s27
	s_cbranch_vccnz .LBB191_235
; %bb.234:
	s_wait_loadcnt 0x0
	global_load_b32 v1, v[4:5], off
	s_wait_loadcnt 0x0
	v_cvt_i32_f32_e32 v1, v1
.LBB191_235:
	s_mov_b32 s27, 0
.LBB191_236:
	s_delay_alu instid0(SALU_CYCLE_1)
	s_and_not1_b32 vcc_lo, exec_lo, s27
	s_cbranch_vccnz .LBB191_238
; %bb.237:
	s_wait_loadcnt 0x0
	global_load_b32 v1, v[4:5], off
	s_wait_loadcnt 0x0
	v_cvt_f32_f16_e32 v1, v1
	s_delay_alu instid0(VALU_DEP_1)
	v_cvt_i32_f32_e32 v1, v1
.LBB191_238:
	s_mov_b32 s27, 0
.LBB191_239:
	s_delay_alu instid0(SALU_CYCLE_1)
	s_and_not1_b32 vcc_lo, exec_lo, s27
	s_cbranch_vccnz .LBB191_250
; %bb.240:
	s_cmp_lt_i32 s0, 6
	s_cbranch_scc1 .LBB191_243
; %bb.241:
	s_cmp_gt_i32 s0, 6
	s_cbranch_scc0 .LBB191_244
; %bb.242:
	global_load_b64 v[6:7], v[4:5], off
	s_mov_b32 s27, 0
	s_wait_loadcnt 0x0
	v_cvt_i32_f64_e32 v1, v[6:7]
	s_branch .LBB191_245
.LBB191_243:
	s_mov_b32 s27, -1
                                        ; implicit-def: $vgpr1
	s_branch .LBB191_248
.LBB191_244:
	s_mov_b32 s27, -1
                                        ; implicit-def: $vgpr1
.LBB191_245:
	s_delay_alu instid0(SALU_CYCLE_1)
	s_and_not1_b32 vcc_lo, exec_lo, s27
	s_cbranch_vccnz .LBB191_247
; %bb.246:
	s_wait_loadcnt 0x0
	global_load_b32 v1, v[4:5], off
	s_wait_loadcnt 0x0
	v_cvt_i32_f32_e32 v1, v1
.LBB191_247:
	s_mov_b32 s27, 0
.LBB191_248:
	s_delay_alu instid0(SALU_CYCLE_1)
	s_and_not1_b32 vcc_lo, exec_lo, s27
	s_cbranch_vccnz .LBB191_250
; %bb.249:
	s_wait_loadcnt 0x0
	global_load_u16 v1, v[4:5], off
	s_wait_loadcnt 0x0
	v_cvt_f32_f16_e32 v1, v1
	s_delay_alu instid0(VALU_DEP_1)
	v_cvt_i32_f32_e32 v1, v1
.LBB191_250:
	s_cbranch_execnz .LBB191_270
.LBB191_251:
	s_cmp_lt_i32 s0, 2
	s_cbranch_scc1 .LBB191_255
; %bb.252:
	s_cmp_lt_i32 s0, 3
	s_cbranch_scc1 .LBB191_256
; %bb.253:
	s_cmp_gt_i32 s0, 3
	s_cbranch_scc0 .LBB191_257
; %bb.254:
	s_wait_loadcnt 0x0
	global_load_b32 v1, v[4:5], off
	s_mov_b32 s27, 0
	s_branch .LBB191_258
.LBB191_255:
	s_mov_b32 s27, -1
                                        ; implicit-def: $vgpr1
	s_branch .LBB191_264
.LBB191_256:
	s_mov_b32 s27, -1
                                        ; implicit-def: $vgpr1
	s_branch .LBB191_261
.LBB191_257:
	s_mov_b32 s27, -1
                                        ; implicit-def: $vgpr1
.LBB191_258:
	s_delay_alu instid0(SALU_CYCLE_1)
	s_and_not1_b32 vcc_lo, exec_lo, s27
	s_cbranch_vccnz .LBB191_260
; %bb.259:
	s_wait_loadcnt 0x0
	global_load_b32 v1, v[4:5], off
.LBB191_260:
	s_mov_b32 s27, 0
.LBB191_261:
	s_delay_alu instid0(SALU_CYCLE_1)
	s_and_not1_b32 vcc_lo, exec_lo, s27
	s_cbranch_vccnz .LBB191_263
; %bb.262:
	s_wait_loadcnt 0x0
	global_load_i16 v1, v[4:5], off
.LBB191_263:
	s_mov_b32 s27, 0
.LBB191_264:
	s_delay_alu instid0(SALU_CYCLE_1)
	s_and_not1_b32 vcc_lo, exec_lo, s27
	s_cbranch_vccnz .LBB191_270
; %bb.265:
	s_cmp_gt_i32 s0, 0
	s_mov_b32 s0, 0
	s_cbranch_scc0 .LBB191_267
; %bb.266:
	s_wait_loadcnt 0x0
	global_load_i8 v1, v[4:5], off
	s_branch .LBB191_268
.LBB191_267:
	s_mov_b32 s0, -1
                                        ; implicit-def: $vgpr1
.LBB191_268:
	s_delay_alu instid0(SALU_CYCLE_1)
	s_and_not1_b32 vcc_lo, exec_lo, s0
	s_cbranch_vccnz .LBB191_270
; %bb.269:
	s_wait_loadcnt 0x0
	global_load_u8 v1, v[4:5], off
.LBB191_270:
	s_branch .LBB191_26
.LBB191_271:
	s_mov_b32 s0, 0
.LBB191_272:
	s_mov_b32 s27, 0
                                        ; implicit-def: $vgpr0
.LBB191_273:
	s_and_b32 s42, s0, exec_lo
	s_and_b32 s43, s26, exec_lo
	s_or_not1_b32 s27, s27, exec_lo
.LBB191_274:
	s_wait_xcnt 0x0
	s_or_b32 exec_lo, exec_lo, s44
	s_mov_b32 s26, 0
	s_mov_b32 s0, 0
                                        ; implicit-def: $vgpr4_vgpr5
                                        ; implicit-def: $vgpr2
                                        ; implicit-def: $vgpr1
	s_and_saveexec_b32 s44, s27
	s_cbranch_execz .LBB191_282
; %bb.275:
	s_mov_b32 s0, -1
	s_mov_b32 s45, s43
	s_mov_b32 s46, s42
	s_mov_b32 s47, exec_lo
	v_cmpx_gt_i32_e64 s39, v0
	s_cbranch_execz .LBB191_560
; %bb.276:
	s_and_not1_b32 vcc_lo, exec_lo, s36
	s_cbranch_vccnz .LBB191_285
; %bb.277:
	s_and_not1_b32 vcc_lo, exec_lo, s41
	s_cbranch_vccnz .LBB191_286
; %bb.278:
	s_add_co_i32 s0, s40, 1
	s_cmp_eq_u32 s34, 2
	s_cbranch_scc1 .LBB191_287
; %bb.279:
	v_dual_mov_b32 v2, 0 :: v_dual_mov_b32 v4, 0
	s_wait_loadcnt 0x0
	v_mov_b32_e32 v1, v0
	s_and_b32 s26, s0, 28
	s_mov_b32 s27, 0
	s_mov_b64 s[28:29], s[2:3]
	s_mov_b64 s[30:31], s[24:25]
.LBB191_280:                            ; =>This Inner Loop Header: Depth=1
	s_clause 0x1
	s_load_b256 s[48:55], s[28:29], 0x4
	s_load_b128 s[64:67], s[28:29], 0x24
	s_load_b256 s[56:63], s[30:31], 0x0
	s_add_co_i32 s27, s27, 4
	s_wait_xcnt 0x0
	s_add_nc_u64 s[28:29], s[28:29], 48
	s_cmp_eq_u32 s26, s27
	s_add_nc_u64 s[30:31], s[30:31], 32
	s_wait_kmcnt 0x0
	v_mul_hi_u32 v3, s49, v1
	s_delay_alu instid0(VALU_DEP_1) | instskip(NEXT) | instid1(VALU_DEP_1)
	v_add_nc_u32_e32 v3, v1, v3
	v_lshrrev_b32_e32 v3, s50, v3
	s_delay_alu instid0(VALU_DEP_1) | instskip(NEXT) | instid1(VALU_DEP_1)
	v_mul_hi_u32 v5, s52, v3
	v_add_nc_u32_e32 v5, v3, v5
	s_delay_alu instid0(VALU_DEP_1) | instskip(NEXT) | instid1(VALU_DEP_1)
	v_lshrrev_b32_e32 v5, s53, v5
	v_mul_hi_u32 v6, s55, v5
	s_delay_alu instid0(VALU_DEP_1) | instskip(SKIP_1) | instid1(VALU_DEP_1)
	v_add_nc_u32_e32 v6, v5, v6
	v_mul_lo_u32 v7, v3, s48
	v_sub_nc_u32_e32 v1, v1, v7
	v_mul_lo_u32 v7, v5, s51
	s_delay_alu instid0(VALU_DEP_4) | instskip(NEXT) | instid1(VALU_DEP_3)
	v_lshrrev_b32_e32 v6, s64, v6
	v_mad_u32 v4, v1, s57, v4
	v_mad_u32 v1, v1, s56, v2
	s_delay_alu instid0(VALU_DEP_4) | instskip(NEXT) | instid1(VALU_DEP_4)
	v_sub_nc_u32_e32 v2, v3, v7
	v_mul_hi_u32 v8, s66, v6
	v_mul_lo_u32 v3, v6, s54
	s_delay_alu instid0(VALU_DEP_3) | instskip(SKIP_1) | instid1(VALU_DEP_3)
	v_mad_u32 v4, v2, s59, v4
	v_mad_u32 v2, v2, s58, v1
	v_dual_add_nc_u32 v7, v6, v8 :: v_dual_sub_nc_u32 v3, v5, v3
	s_delay_alu instid0(VALU_DEP_1) | instskip(NEXT) | instid1(VALU_DEP_2)
	v_lshrrev_b32_e32 v1, s67, v7
	v_mad_u32 v4, v3, s61, v4
	s_delay_alu instid0(VALU_DEP_4) | instskip(NEXT) | instid1(VALU_DEP_3)
	v_mad_u32 v2, v3, s60, v2
	v_mul_lo_u32 v5, v1, s65
	s_delay_alu instid0(VALU_DEP_1) | instskip(NEXT) | instid1(VALU_DEP_1)
	v_sub_nc_u32_e32 v3, v6, v5
	v_mad_u32 v4, v3, s63, v4
	s_delay_alu instid0(VALU_DEP_4)
	v_mad_u32 v2, v3, s62, v2
	s_cbranch_scc0 .LBB191_280
; %bb.281:
	s_delay_alu instid0(VALU_DEP_2)
	v_mov_b32_e32 v3, v4
	s_branch .LBB191_288
.LBB191_282:
	s_or_b32 exec_lo, exec_lo, s44
	s_mov_b32 s1, 0
	s_and_saveexec_b32 s6, s43
	s_cbranch_execnz .LBB191_946
.LBB191_283:
	s_or_b32 exec_lo, exec_lo, s6
	s_and_saveexec_b32 s6, s21
	s_delay_alu instid0(SALU_CYCLE_1)
	s_xor_b32 s6, exec_lo, s6
	s_cbranch_execz .LBB191_947
.LBB191_284:
	global_load_u8 v0, v[4:5], off
	s_or_b32 s0, s0, exec_lo
	s_wait_loadcnt 0x0
	v_cmp_ne_u16_e32 vcc_lo, 0, v0
	v_cndmask_b32_e64 v1, 0, 1, vcc_lo
	s_wait_xcnt 0x0
	s_or_b32 exec_lo, exec_lo, s6
	s_and_saveexec_b32 s6, s26
	s_cbranch_execz .LBB191_993
	s_branch .LBB191_948
.LBB191_285:
                                        ; implicit-def: $vgpr4
                                        ; implicit-def: $vgpr2
	s_and_not1_b32 vcc_lo, exec_lo, s0
	s_cbranch_vccnz .LBB191_295
	s_branch .LBB191_293
.LBB191_286:
	v_dual_mov_b32 v4, 0 :: v_dual_mov_b32 v2, 0
	s_branch .LBB191_292
.LBB191_287:
	v_mov_b64_e32 v[2:3], 0
	s_wait_loadcnt 0x0
	v_mov_b32_e32 v1, v0
                                        ; implicit-def: $vgpr4
.LBB191_288:
	s_and_b32 s0, s0, 3
	s_mov_b32 s27, 0
	s_cmp_eq_u32 s0, 0
	s_cbranch_scc1 .LBB191_292
; %bb.289:
	s_lshl_b32 s28, s26, 3
	s_mov_b32 s29, s27
	s_mul_u64 s[30:31], s[26:27], 12
	s_add_nc_u64 s[28:29], s[2:3], s[28:29]
	s_delay_alu instid0(SALU_CYCLE_1)
	s_add_nc_u64 s[26:27], s[28:29], 0xc4
	s_add_nc_u64 s[28:29], s[2:3], s[30:31]
.LBB191_290:                            ; =>This Inner Loop Header: Depth=1
	s_load_b96 s[48:50], s[28:29], 0x4
	s_load_b64 s[30:31], s[26:27], 0x0
	s_add_co_i32 s0, s0, -1
	s_wait_xcnt 0x0
	s_add_nc_u64 s[28:29], s[28:29], 12
	s_cmp_lg_u32 s0, 0
	s_add_nc_u64 s[26:27], s[26:27], 8
	s_wait_kmcnt 0x0
	v_mul_hi_u32 v4, s49, v1
	s_delay_alu instid0(VALU_DEP_1) | instskip(NEXT) | instid1(VALU_DEP_1)
	v_add_nc_u32_e32 v4, v1, v4
	v_lshrrev_b32_e32 v4, s50, v4
	s_delay_alu instid0(VALU_DEP_1) | instskip(NEXT) | instid1(VALU_DEP_1)
	v_mul_lo_u32 v5, v4, s48
	v_sub_nc_u32_e32 v1, v1, v5
	s_delay_alu instid0(VALU_DEP_1)
	v_mad_u32 v3, v1, s31, v3
	v_mad_u32 v2, v1, s30, v2
	v_mov_b32_e32 v1, v4
	s_cbranch_scc1 .LBB191_290
; %bb.291:
	s_delay_alu instid0(VALU_DEP_3)
	v_mov_b32_e32 v4, v3
.LBB191_292:
	s_cbranch_execnz .LBB191_295
.LBB191_293:
	s_wait_loadcnt 0x0
	v_mov_b32_e32 v1, 0
	s_and_not1_b32 vcc_lo, exec_lo, s38
	s_delay_alu instid0(VALU_DEP_1) | instskip(NEXT) | instid1(VALU_DEP_1)
	v_mul_u64_e32 v[2:3], s[20:21], v[0:1]
	v_add_nc_u32_e32 v2, v0, v3
	s_delay_alu instid0(VALU_DEP_1) | instskip(NEXT) | instid1(VALU_DEP_1)
	v_lshrrev_b32_e32 v6, s14, v2
	v_mul_lo_u32 v2, v6, s12
	s_delay_alu instid0(VALU_DEP_1) | instskip(NEXT) | instid1(VALU_DEP_1)
	v_sub_nc_u32_e32 v2, v0, v2
	v_mul_lo_u32 v4, v2, s17
	v_mul_lo_u32 v2, v2, s16
	s_cbranch_vccnz .LBB191_295
; %bb.294:
	v_mov_b32_e32 v7, v1
	s_delay_alu instid0(VALU_DEP_1) | instskip(NEXT) | instid1(VALU_DEP_1)
	v_mul_u64_e32 v[8:9], s[22:23], v[6:7]
	v_add_nc_u32_e32 v1, v6, v9
	s_delay_alu instid0(VALU_DEP_1) | instskip(NEXT) | instid1(VALU_DEP_1)
	v_lshrrev_b32_e32 v1, s1, v1
	v_mul_lo_u32 v1, v1, s15
	s_delay_alu instid0(VALU_DEP_1) | instskip(NEXT) | instid1(VALU_DEP_1)
	v_sub_nc_u32_e32 v1, v6, v1
	v_mad_u32 v2, v1, s18, v2
	v_mad_u32 v4, v1, s19, v4
.LBB191_295:
	v_mov_b32_e32 v5, 0
	s_and_b32 s0, 0xffff, s13
	s_delay_alu instid0(SALU_CYCLE_1) | instskip(NEXT) | instid1(VALU_DEP_1)
	s_cmp_lt_i32 s0, 11
	v_add_nc_u64_e32 v[4:5], s[6:7], v[4:5]
	s_cbranch_scc1 .LBB191_302
; %bb.296:
	s_cmp_gt_i32 s0, 25
	s_cbranch_scc0 .LBB191_307
; %bb.297:
	s_cmp_gt_i32 s0, 28
	s_cbranch_scc0 .LBB191_311
	;; [unrolled: 3-line block ×4, first 2 shown]
; %bb.300:
	s_cmp_eq_u32 s0, 46
	s_mov_b32 s28, 0
	s_cbranch_scc0 .LBB191_334
; %bb.301:
	s_wait_loadcnt 0x0
	global_load_b32 v1, v[4:5], off
	s_mov_b32 s27, -1
	s_mov_b32 s26, 0
	s_wait_loadcnt 0x0
	v_lshlrev_b32_e32 v1, 16, v1
	s_delay_alu instid0(VALU_DEP_1)
	v_cvt_i32_f32_e32 v1, v1
	s_branch .LBB191_336
.LBB191_302:
	s_mov_b32 s27, 0
	s_mov_b32 s26, s43
                                        ; implicit-def: $vgpr1
	s_cbranch_execnz .LBB191_509
.LBB191_303:
	s_and_not1_b32 vcc_lo, exec_lo, s27
	s_cbranch_vccnz .LBB191_557
.LBB191_304:
	s_cmp_lt_i32 s8, 1
	s_mov_b32 s0, 0
	s_cbranch_scc1 .LBB191_308
; %bb.305:
	s_cmp_eq_u32 s8, 1
	s_cbranch_scc0 .LBB191_312
; %bb.306:
	s_wait_loadcnt 0x0
	s_delay_alu instid0(VALU_DEP_1)
	v_min_i32_e32 v4, s9, v1
	s_mov_b32 s27, 0
	s_branch .LBB191_313
.LBB191_307:
	s_mov_b32 s28, -1
	s_mov_b32 s27, 0
	s_mov_b32 s26, s43
                                        ; implicit-def: $vgpr1
	s_branch .LBB191_475
.LBB191_308:
	s_mov_b32 s27, 0
                                        ; implicit-def: $vgpr4
	s_cbranch_execnz .LBB191_314
.LBB191_309:
	s_and_not1_b32 vcc_lo, exec_lo, s27
	s_cbranch_vccnz .LBB191_315
.LBB191_310:
	s_wait_loadcnt 0x0
	s_delay_alu instid0(VALU_DEP_1)
	v_maxmin_i32 v4, v1, s9, s10
	s_cbranch_execz .LBB191_316
	s_branch .LBB191_317
.LBB191_311:
	s_mov_b32 s28, -1
	s_mov_b32 s27, 0
	s_mov_b32 s26, s43
                                        ; implicit-def: $vgpr1
	s_branch .LBB191_458
.LBB191_312:
	s_mov_b32 s27, -1
                                        ; implicit-def: $vgpr4
.LBB191_313:
	s_branch .LBB191_309
.LBB191_314:
	s_cmp_lg_u32 s8, 0
	s_mov_b32 s0, -1
	s_cselect_b32 s27, -1, 0
	s_delay_alu instid0(SALU_CYCLE_1)
	s_and_not1_b32 vcc_lo, exec_lo, s27
	s_cbranch_vccz .LBB191_310
.LBB191_315:
	s_and_not1_b32 vcc_lo, exec_lo, s0
	s_cbranch_vccnz .LBB191_317
.LBB191_316:
	s_wait_loadcnt 0x0
	s_delay_alu instid0(VALU_DEP_1)
	v_max_i32_e32 v4, s9, v1
.LBB191_317:
	v_mov_b32_e32 v3, 0
	s_and_b32 s27, s11, 0xff
	s_delay_alu instid0(SALU_CYCLE_1) | instskip(NEXT) | instid1(VALU_DEP_1)
	s_cmp_lt_i32 s27, 11
	v_add_nc_u64_e32 v[2:3], s[4:5], v[2:3]
	s_cbranch_scc1 .LBB191_324
; %bb.318:
	s_and_b32 s28, 0xffff, s27
	s_delay_alu instid0(SALU_CYCLE_1)
	s_cmp_gt_i32 s28, 25
	s_cbranch_scc0 .LBB191_325
; %bb.319:
	s_cmp_gt_i32 s28, 28
	s_cbranch_scc0 .LBB191_327
; %bb.320:
	;; [unrolled: 3-line block ×4, first 2 shown]
	s_mov_b32 s30, 0
	s_mov_b32 s0, -1
	s_cmp_eq_u32 s28, 46
	s_mov_b32 s29, 0
	s_cbranch_scc0 .LBB191_340
; %bb.323:
	s_wait_loadcnt 0x0
	v_cvt_f32_i32_e32 v1, v4
	s_mov_b32 s29, -1
	s_mov_b32 s0, 0
	s_wait_xcnt 0x0
	s_delay_alu instid0(VALU_DEP_1) | instskip(NEXT) | instid1(VALU_DEP_1)
	v_bfe_u32 v5, v1, 16, 1
	v_add3_u32 v1, v1, v5, 0x7fff
	s_delay_alu instid0(VALU_DEP_1)
	v_lshrrev_b32_e32 v1, 16, v1
	global_store_b32 v[2:3], v1, off
	s_branch .LBB191_340
.LBB191_324:
	s_mov_b32 s28, -1
	s_mov_b32 s29, 0
	s_mov_b32 s0, s42
	s_branch .LBB191_409
.LBB191_325:
	s_mov_b32 s30, -1
	s_mov_b32 s29, 0
	s_mov_b32 s0, s42
	s_branch .LBB191_367
.LBB191_326:
	s_mov_b32 s28, -1
	s_mov_b32 s27, 0
	s_mov_b32 s26, s43
                                        ; implicit-def: $vgpr1
	s_branch .LBB191_453
.LBB191_327:
	s_mov_b32 s30, -1
	s_mov_b32 s29, 0
	s_mov_b32 s0, s42
	s_branch .LBB191_350
.LBB191_328:
	s_and_not1_saveexec_b32 s31, s31
	s_cbranch_execz .LBB191_80
.LBB191_329:
	v_add_f32_e64 v5, 0x46000000, |v1|
	s_and_not1_b32 s30, s30, exec_lo
	s_delay_alu instid0(VALU_DEP_1) | instskip(NEXT) | instid1(VALU_DEP_1)
	v_and_b32_e32 v5, 0xff, v5
	v_cmp_ne_u32_e32 vcc_lo, 0, v5
	s_and_b32 s42, vcc_lo, exec_lo
	s_delay_alu instid0(SALU_CYCLE_1)
	s_or_b32 s30, s30, s42
	s_or_b32 exec_lo, exec_lo, s31
	v_mov_b32_e32 v6, 0
	s_and_saveexec_b32 s31, s30
	s_cbranch_execnz .LBB191_81
	s_branch .LBB191_82
.LBB191_330:
	s_mov_b32 s28, -1
	s_mov_b32 s27, 0
	s_mov_b32 s26, s43
	s_branch .LBB191_335
.LBB191_331:
	s_mov_b32 s30, -1
	s_mov_b32 s29, 0
	s_mov_b32 s0, s42
	s_branch .LBB191_346
.LBB191_332:
	s_and_not1_saveexec_b32 s31, s31
	s_cbranch_execz .LBB191_93
.LBB191_333:
	v_add_f32_e64 v5, 0x42800000, |v1|
	s_and_not1_b32 s30, s30, exec_lo
	s_delay_alu instid0(VALU_DEP_1) | instskip(NEXT) | instid1(VALU_DEP_1)
	v_and_b32_e32 v5, 0xff, v5
	v_cmp_ne_u32_e32 vcc_lo, 0, v5
	s_and_b32 s42, vcc_lo, exec_lo
	s_delay_alu instid0(SALU_CYCLE_1)
	s_or_b32 s30, s30, s42
	s_or_b32 exec_lo, exec_lo, s31
	v_mov_b32_e32 v6, 0
	s_and_saveexec_b32 s31, s30
	s_cbranch_execnz .LBB191_94
	s_branch .LBB191_95
.LBB191_334:
	s_mov_b32 s26, -1
	s_mov_b32 s27, 0
.LBB191_335:
                                        ; implicit-def: $vgpr1
.LBB191_336:
	s_and_b32 vcc_lo, exec_lo, s28
	s_cbranch_vccz .LBB191_452
; %bb.337:
	s_cmp_eq_u32 s0, 44
	s_cbranch_scc0 .LBB191_451
; %bb.338:
	s_wait_loadcnt 0x0
	global_load_u8 v1, v[4:5], off
	s_mov_b32 s26, 0
	s_mov_b32 s27, -1
	s_wait_loadcnt 0x0
	v_lshlrev_b32_e32 v3, 23, v1
	v_cmp_ne_u32_e32 vcc_lo, 0, v1
	s_delay_alu instid0(VALU_DEP_2) | instskip(NEXT) | instid1(VALU_DEP_1)
	v_cvt_i32_f32_e32 v3, v3
	v_cndmask_b32_e32 v1, 0, v3, vcc_lo
	s_branch .LBB191_452
.LBB191_339:
	s_mov_b32 s30, -1
	s_mov_b32 s29, 0
	s_mov_b32 s0, s42
.LBB191_340:
	s_and_b32 vcc_lo, exec_lo, s30
	s_cbranch_vccz .LBB191_345
; %bb.341:
	s_cmp_eq_u32 s28, 44
	s_mov_b32 s0, -1
	s_cbranch_scc0 .LBB191_345
; %bb.342:
	s_wait_loadcnt 0x0
	v_cvt_f32_i32_e32 v1, v4
	v_mov_b32_e32 v5, 0xff
	s_mov_b32 s29, exec_lo
	s_delay_alu instid0(VALU_DEP_2) | instskip(NEXT) | instid1(VALU_DEP_1)
	v_bfe_u32 v6, v1, 23, 8
	v_cmpx_ne_u32_e32 0xff, v6
	s_cbranch_execz .LBB191_344
; %bb.343:
	v_and_b32_e32 v5, 0x400000, v1
	v_and_or_b32 v6, 0x3fffff, v1, v6
	v_lshrrev_b32_e32 v1, 23, v1
	s_delay_alu instid0(VALU_DEP_3) | instskip(NEXT) | instid1(VALU_DEP_3)
	v_cmp_ne_u32_e32 vcc_lo, 0, v5
	v_cmp_ne_u32_e64 s0, 0, v6
	s_and_b32 s0, vcc_lo, s0
	s_delay_alu instid0(SALU_CYCLE_1) | instskip(NEXT) | instid1(VALU_DEP_1)
	v_cndmask_b32_e64 v5, 0, 1, s0
	v_add_nc_u32_e32 v5, v1, v5
.LBB191_344:
	s_or_b32 exec_lo, exec_lo, s29
	s_mov_b32 s29, -1
	s_mov_b32 s0, 0
	global_store_b8 v[2:3], v5, off
.LBB191_345:
	s_mov_b32 s30, 0
.LBB191_346:
	s_delay_alu instid0(SALU_CYCLE_1)
	s_and_b32 vcc_lo, exec_lo, s30
	s_cbranch_vccz .LBB191_349
; %bb.347:
	s_cmp_eq_u32 s28, 29
	s_mov_b32 s0, -1
	s_cbranch_scc0 .LBB191_349
; %bb.348:
	s_wait_xcnt 0x0
	v_ashrrev_i32_e32 v5, 31, v4
	s_mov_b32 s29, -1
	s_mov_b32 s0, 0
	s_mov_b32 s30, 0
	global_store_b64 v[2:3], v[4:5], off
	s_branch .LBB191_350
.LBB191_349:
	s_mov_b32 s30, 0
.LBB191_350:
	s_delay_alu instid0(SALU_CYCLE_1)
	s_and_b32 vcc_lo, exec_lo, s30
	s_cbranch_vccz .LBB191_366
; %bb.351:
	s_cmp_lt_i32 s28, 27
	s_mov_b32 s29, -1
	s_cbranch_scc1 .LBB191_357
; %bb.352:
	s_cmp_gt_i32 s28, 27
	s_cbranch_scc0 .LBB191_354
; %bb.353:
	s_mov_b32 s29, 0
	global_store_b32 v[2:3], v4, off
.LBB191_354:
	s_and_not1_b32 vcc_lo, exec_lo, s29
	s_cbranch_vccnz .LBB191_356
; %bb.355:
	global_store_b16 v[2:3], v4, off
.LBB191_356:
	s_mov_b32 s29, 0
.LBB191_357:
	s_delay_alu instid0(SALU_CYCLE_1)
	s_and_not1_b32 vcc_lo, exec_lo, s29
	s_cbranch_vccnz .LBB191_365
; %bb.358:
	s_wait_loadcnt 0x0
	v_cvt_f32_i32_e32 v1, v4
	v_mov_b32_e32 v6, 0x80
	s_mov_b32 s29, exec_lo
	s_delay_alu instid0(VALU_DEP_2) | instskip(NEXT) | instid1(VALU_DEP_1)
	v_and_b32_e32 v5, 0x7fffffff, v1
	v_cmpx_gt_u32_e32 0x43800000, v5
	s_cbranch_execz .LBB191_364
; %bb.359:
	v_cmp_lt_u32_e32 vcc_lo, 0x3bffffff, v5
	s_mov_b32 s30, 0
                                        ; implicit-def: $vgpr5
	s_and_saveexec_b32 s31, vcc_lo
	s_delay_alu instid0(SALU_CYCLE_1)
	s_xor_b32 s31, exec_lo, s31
	s_cbranch_execz .LBB191_590
; %bb.360:
	v_bfe_u32 v5, v1, 20, 1
	s_mov_b32 s30, exec_lo
	s_delay_alu instid0(VALU_DEP_1) | instskip(NEXT) | instid1(VALU_DEP_1)
	v_add3_u32 v5, v1, v5, 0x487ffff
	v_lshrrev_b32_e32 v5, 20, v5
	s_and_not1_saveexec_b32 s31, s31
	s_cbranch_execnz .LBB191_591
.LBB191_361:
	s_or_b32 exec_lo, exec_lo, s31
	v_mov_b32_e32 v6, 0
	s_and_saveexec_b32 s31, s30
.LBB191_362:
	v_lshrrev_b32_e32 v1, 24, v1
	s_delay_alu instid0(VALU_DEP_1)
	v_and_or_b32 v6, 0x80, v1, v5
.LBB191_363:
	s_or_b32 exec_lo, exec_lo, s31
.LBB191_364:
	s_delay_alu instid0(SALU_CYCLE_1)
	s_or_b32 exec_lo, exec_lo, s29
	global_store_b8 v[2:3], v6, off
.LBB191_365:
	s_mov_b32 s29, -1
.LBB191_366:
	s_mov_b32 s30, 0
.LBB191_367:
	s_delay_alu instid0(SALU_CYCLE_1)
	s_and_b32 vcc_lo, exec_lo, s30
	s_cbranch_vccz .LBB191_408
; %bb.368:
	s_cmp_gt_i32 s28, 22
	s_mov_b32 s30, -1
	s_cbranch_scc0 .LBB191_400
; %bb.369:
	s_cmp_lt_i32 s28, 24
	s_mov_b32 s29, -1
	s_cbranch_scc1 .LBB191_389
; %bb.370:
	s_cmp_gt_i32 s28, 24
	s_cbranch_scc0 .LBB191_378
; %bb.371:
	s_wait_loadcnt 0x0
	v_cvt_f32_i32_e32 v1, v4
	v_mov_b32_e32 v6, 0x80
	s_mov_b32 s29, exec_lo
	s_delay_alu instid0(VALU_DEP_2) | instskip(NEXT) | instid1(VALU_DEP_1)
	v_and_b32_e32 v5, 0x7fffffff, v1
	v_cmpx_gt_u32_e32 0x47800000, v5
	s_cbranch_execz .LBB191_377
; %bb.372:
	v_cmp_lt_u32_e32 vcc_lo, 0x37ffffff, v5
	s_mov_b32 s30, 0
                                        ; implicit-def: $vgpr5
	s_and_saveexec_b32 s31, vcc_lo
	s_delay_alu instid0(SALU_CYCLE_1)
	s_xor_b32 s31, exec_lo, s31
	s_cbranch_execz .LBB191_593
; %bb.373:
	v_bfe_u32 v5, v1, 21, 1
	s_mov_b32 s30, exec_lo
	s_delay_alu instid0(VALU_DEP_1) | instskip(NEXT) | instid1(VALU_DEP_1)
	v_add3_u32 v5, v1, v5, 0x88fffff
	v_lshrrev_b32_e32 v5, 21, v5
	s_and_not1_saveexec_b32 s31, s31
	s_cbranch_execnz .LBB191_594
.LBB191_374:
	s_or_b32 exec_lo, exec_lo, s31
	v_mov_b32_e32 v6, 0
	s_and_saveexec_b32 s31, s30
.LBB191_375:
	v_lshrrev_b32_e32 v1, 24, v1
	s_delay_alu instid0(VALU_DEP_1)
	v_and_or_b32 v6, 0x80, v1, v5
.LBB191_376:
	s_or_b32 exec_lo, exec_lo, s31
.LBB191_377:
	s_delay_alu instid0(SALU_CYCLE_1)
	s_or_b32 exec_lo, exec_lo, s29
	s_mov_b32 s29, 0
	global_store_b8 v[2:3], v6, off
.LBB191_378:
	s_and_b32 vcc_lo, exec_lo, s29
	s_cbranch_vccz .LBB191_388
; %bb.379:
	s_wait_loadcnt 0x0
	v_cvt_f32_i32_e32 v1, v4
	s_mov_b32 s29, exec_lo
                                        ; implicit-def: $vgpr5
	s_delay_alu instid0(VALU_DEP_1) | instskip(NEXT) | instid1(VALU_DEP_1)
	v_and_b32_e32 v6, 0x7fffffff, v1
	v_cmpx_gt_u32_e32 0x43f00000, v6
	s_xor_b32 s29, exec_lo, s29
	s_cbranch_execz .LBB191_385
; %bb.380:
	s_mov_b32 s30, exec_lo
                                        ; implicit-def: $vgpr5
	v_cmpx_lt_u32_e32 0x3c7fffff, v6
	s_xor_b32 s30, exec_lo, s30
; %bb.381:
	v_bfe_u32 v5, v1, 20, 1
	s_delay_alu instid0(VALU_DEP_1) | instskip(NEXT) | instid1(VALU_DEP_1)
	v_add3_u32 v5, v1, v5, 0x407ffff
	v_and_b32_e32 v6, 0xff00000, v5
	v_lshrrev_b32_e32 v5, 20, v5
	s_delay_alu instid0(VALU_DEP_2) | instskip(NEXT) | instid1(VALU_DEP_2)
	v_cmp_ne_u32_e32 vcc_lo, 0x7f00000, v6
	v_cndmask_b32_e32 v5, 0x7e, v5, vcc_lo
; %bb.382:
	s_and_not1_saveexec_b32 s30, s30
; %bb.383:
	v_add_f32_e64 v5, 0x46800000, |v1|
; %bb.384:
	s_or_b32 exec_lo, exec_lo, s30
                                        ; implicit-def: $vgpr6
.LBB191_385:
	s_and_not1_saveexec_b32 s29, s29
; %bb.386:
	v_mov_b32_e32 v5, 0x7f
	v_cmp_lt_u32_e32 vcc_lo, 0x7f800000, v6
	s_delay_alu instid0(VALU_DEP_2)
	v_cndmask_b32_e32 v5, 0x7e, v5, vcc_lo
; %bb.387:
	s_or_b32 exec_lo, exec_lo, s29
	v_lshrrev_b32_e32 v1, 24, v1
	s_delay_alu instid0(VALU_DEP_1)
	v_and_or_b32 v1, 0x80, v1, v5
	global_store_b8 v[2:3], v1, off
.LBB191_388:
	s_mov_b32 s29, 0
.LBB191_389:
	s_delay_alu instid0(SALU_CYCLE_1)
	s_and_not1_b32 vcc_lo, exec_lo, s29
	s_cbranch_vccnz .LBB191_399
; %bb.390:
	s_wait_loadcnt 0x0
	v_cvt_f32_i32_e32 v1, v4
	s_mov_b32 s29, exec_lo
                                        ; implicit-def: $vgpr5
	s_delay_alu instid0(VALU_DEP_1) | instskip(NEXT) | instid1(VALU_DEP_1)
	v_and_b32_e32 v6, 0x7fffffff, v1
	v_cmpx_gt_u32_e32 0x47800000, v6
	s_xor_b32 s29, exec_lo, s29
	s_cbranch_execz .LBB191_396
; %bb.391:
	s_mov_b32 s30, exec_lo
                                        ; implicit-def: $vgpr5
	v_cmpx_lt_u32_e32 0x387fffff, v6
	s_xor_b32 s30, exec_lo, s30
; %bb.392:
	v_bfe_u32 v5, v1, 21, 1
	s_delay_alu instid0(VALU_DEP_1) | instskip(NEXT) | instid1(VALU_DEP_1)
	v_add3_u32 v5, v1, v5, 0x80fffff
	v_lshrrev_b32_e32 v5, 21, v5
; %bb.393:
	s_and_not1_saveexec_b32 s30, s30
; %bb.394:
	v_add_f32_e64 v5, 0x43000000, |v1|
; %bb.395:
	s_or_b32 exec_lo, exec_lo, s30
                                        ; implicit-def: $vgpr6
.LBB191_396:
	s_and_not1_saveexec_b32 s29, s29
; %bb.397:
	v_mov_b32_e32 v5, 0x7f
	v_cmp_lt_u32_e32 vcc_lo, 0x7f800000, v6
	s_delay_alu instid0(VALU_DEP_2)
	v_cndmask_b32_e32 v5, 0x7c, v5, vcc_lo
; %bb.398:
	s_or_b32 exec_lo, exec_lo, s29
	v_lshrrev_b32_e32 v1, 24, v1
	s_delay_alu instid0(VALU_DEP_1)
	v_and_or_b32 v1, 0x80, v1, v5
	global_store_b8 v[2:3], v1, off
.LBB191_399:
	s_mov_b32 s30, 0
	s_mov_b32 s29, -1
.LBB191_400:
	s_and_not1_b32 vcc_lo, exec_lo, s30
	s_cbranch_vccnz .LBB191_408
; %bb.401:
	s_cmp_gt_i32 s28, 14
	s_mov_b32 s30, -1
	s_cbranch_scc0 .LBB191_405
; %bb.402:
	s_cmp_eq_u32 s28, 15
	s_mov_b32 s0, -1
	s_cbranch_scc0 .LBB191_404
; %bb.403:
	s_wait_loadcnt 0x0
	v_cvt_f32_i32_e32 v1, v4
	s_mov_b32 s29, -1
	s_mov_b32 s0, 0
	s_delay_alu instid0(VALU_DEP_1) | instskip(NEXT) | instid1(VALU_DEP_1)
	v_bfe_u32 v5, v1, 16, 1
	v_add3_u32 v1, v1, v5, 0x7fff
	global_store_d16_hi_b16 v[2:3], v1, off
.LBB191_404:
	s_mov_b32 s30, 0
.LBB191_405:
	s_delay_alu instid0(SALU_CYCLE_1)
	s_and_b32 vcc_lo, exec_lo, s30
	s_cbranch_vccz .LBB191_408
; %bb.406:
	s_cmp_eq_u32 s28, 11
	s_mov_b32 s0, -1
	s_cbranch_scc0 .LBB191_408
; %bb.407:
	v_cmp_ne_u32_e32 vcc_lo, 0, v4
	s_mov_b32 s0, 0
	s_mov_b32 s29, -1
	s_wait_loadcnt 0x0
	v_cndmask_b32_e64 v1, 0, 1, vcc_lo
	global_store_b8 v[2:3], v1, off
.LBB191_408:
	s_mov_b32 s28, 0
.LBB191_409:
	s_delay_alu instid0(SALU_CYCLE_1)
	s_and_b32 vcc_lo, exec_lo, s28
	s_cbranch_vccz .LBB191_448
; %bb.410:
	s_and_b32 s27, 0xffff, s27
	s_mov_b32 s28, -1
	s_cmp_lt_i32 s27, 5
	s_cbranch_scc1 .LBB191_431
; %bb.411:
	s_cmp_lt_i32 s27, 8
	s_cbranch_scc1 .LBB191_421
; %bb.412:
	;; [unrolled: 3-line block ×3, first 2 shown]
	s_cmp_gt_i32 s27, 9
	s_cbranch_scc0 .LBB191_415
; %bb.414:
	s_wait_xcnt 0x0
	v_cvt_f64_i32_e32 v[6:7], v4
	v_mov_b32_e32 v8, 0
	s_mov_b32 s28, 0
	s_delay_alu instid0(VALU_DEP_1)
	v_mov_b32_e32 v9, v8
	global_store_b128 v[2:3], v[6:9], off
.LBB191_415:
	s_and_not1_b32 vcc_lo, exec_lo, s28
	s_cbranch_vccnz .LBB191_417
; %bb.416:
	s_wait_xcnt 0x0
	v_cvt_f32_i32_e32 v6, v4
	v_mov_b32_e32 v7, 0
	global_store_b64 v[2:3], v[6:7], off
.LBB191_417:
	s_mov_b32 s28, 0
.LBB191_418:
	s_delay_alu instid0(SALU_CYCLE_1)
	s_and_not1_b32 vcc_lo, exec_lo, s28
	s_cbranch_vccnz .LBB191_420
; %bb.419:
	s_wait_loadcnt 0x0
	v_cvt_f32_i32_e32 v1, v4
	s_delay_alu instid0(VALU_DEP_1) | instskip(NEXT) | instid1(VALU_DEP_1)
	v_cvt_f16_f32_e32 v1, v1
	v_and_b32_e32 v1, 0xffff, v1
	global_store_b32 v[2:3], v1, off
.LBB191_420:
	s_mov_b32 s28, 0
.LBB191_421:
	s_delay_alu instid0(SALU_CYCLE_1)
	s_and_not1_b32 vcc_lo, exec_lo, s28
	s_cbranch_vccnz .LBB191_430
; %bb.422:
	s_cmp_lt_i32 s27, 6
	s_mov_b32 s28, -1
	s_cbranch_scc1 .LBB191_428
; %bb.423:
	s_cmp_gt_i32 s27, 6
	s_cbranch_scc0 .LBB191_425
; %bb.424:
	s_wait_xcnt 0x0
	v_cvt_f64_i32_e32 v[6:7], v4
	s_mov_b32 s28, 0
	global_store_b64 v[2:3], v[6:7], off
.LBB191_425:
	s_and_not1_b32 vcc_lo, exec_lo, s28
	s_cbranch_vccnz .LBB191_427
; %bb.426:
	s_wait_loadcnt 0x0
	v_cvt_f32_i32_e32 v1, v4
	global_store_b32 v[2:3], v1, off
.LBB191_427:
	s_mov_b32 s28, 0
.LBB191_428:
	s_delay_alu instid0(SALU_CYCLE_1)
	s_and_not1_b32 vcc_lo, exec_lo, s28
	s_cbranch_vccnz .LBB191_430
; %bb.429:
	s_wait_loadcnt 0x0
	v_cvt_f32_i32_e32 v1, v4
	s_delay_alu instid0(VALU_DEP_1)
	v_cvt_f16_f32_e32 v1, v1
	global_store_b16 v[2:3], v1, off
.LBB191_430:
	s_mov_b32 s28, 0
.LBB191_431:
	s_delay_alu instid0(SALU_CYCLE_1)
	s_and_not1_b32 vcc_lo, exec_lo, s28
	s_cbranch_vccnz .LBB191_447
; %bb.432:
	s_cmp_lt_i32 s27, 2
	s_mov_b32 s28, -1
	s_cbranch_scc1 .LBB191_442
; %bb.433:
	s_cmp_lt_i32 s27, 3
	s_cbranch_scc1 .LBB191_439
; %bb.434:
	s_cmp_gt_i32 s27, 3
	s_cbranch_scc0 .LBB191_436
; %bb.435:
	s_wait_xcnt 0x0
	v_ashrrev_i32_e32 v5, 31, v4
	s_mov_b32 s28, 0
	global_store_b64 v[2:3], v[4:5], off
.LBB191_436:
	s_and_not1_b32 vcc_lo, exec_lo, s28
	s_cbranch_vccnz .LBB191_438
; %bb.437:
	global_store_b32 v[2:3], v4, off
.LBB191_438:
	s_mov_b32 s28, 0
.LBB191_439:
	s_delay_alu instid0(SALU_CYCLE_1)
	s_and_not1_b32 vcc_lo, exec_lo, s28
	s_cbranch_vccnz .LBB191_441
; %bb.440:
	global_store_b16 v[2:3], v4, off
.LBB191_441:
	s_mov_b32 s28, 0
.LBB191_442:
	s_delay_alu instid0(SALU_CYCLE_1)
	s_and_not1_b32 vcc_lo, exec_lo, s28
	s_cbranch_vccnz .LBB191_447
; %bb.443:
	s_cmp_gt_i32 s27, 0
	s_mov_b32 s27, -1
	s_cbranch_scc0 .LBB191_445
; %bb.444:
	s_mov_b32 s27, 0
	global_store_b8 v[2:3], v4, off
.LBB191_445:
	s_and_not1_b32 vcc_lo, exec_lo, s27
	s_cbranch_vccnz .LBB191_447
; %bb.446:
	global_store_b8 v[2:3], v4, off
.LBB191_447:
	s_mov_b32 s29, -1
.LBB191_448:
	s_delay_alu instid0(SALU_CYCLE_1)
	s_and_not1_b32 vcc_lo, exec_lo, s29
	s_cbranch_vccnz .LBB191_450
; %bb.449:
	v_add_nc_u32_e32 v0, 0x80, v0
	s_mov_b32 s27, -1
	s_branch .LBB191_559
.LBB191_450:
	s_mov_b32 s27, 0
	s_branch .LBB191_558
.LBB191_451:
	s_mov_b32 s26, -1
                                        ; implicit-def: $vgpr1
.LBB191_452:
	s_mov_b32 s28, 0
.LBB191_453:
	s_delay_alu instid0(SALU_CYCLE_1)
	s_and_b32 vcc_lo, exec_lo, s28
	s_cbranch_vccz .LBB191_457
; %bb.454:
	s_cmp_eq_u32 s0, 29
	s_cbranch_scc0 .LBB191_456
; %bb.455:
	s_wait_loadcnt 0x0
	global_load_b32 v1, v[4:5], off
	s_mov_b32 s27, -1
	s_mov_b32 s26, 0
	s_branch .LBB191_457
.LBB191_456:
	s_mov_b32 s26, -1
                                        ; implicit-def: $vgpr1
.LBB191_457:
	s_mov_b32 s28, 0
.LBB191_458:
	s_delay_alu instid0(SALU_CYCLE_1)
	s_and_b32 vcc_lo, exec_lo, s28
	s_cbranch_vccz .LBB191_474
; %bb.459:
	s_cmp_lt_i32 s0, 27
	s_cbranch_scc1 .LBB191_462
; %bb.460:
	s_cmp_gt_i32 s0, 27
	s_cbranch_scc0 .LBB191_463
; %bb.461:
	s_wait_loadcnt 0x0
	global_load_b32 v1, v[4:5], off
	s_mov_b32 s27, 0
	s_branch .LBB191_464
.LBB191_462:
	s_mov_b32 s27, -1
                                        ; implicit-def: $vgpr1
	s_branch .LBB191_467
.LBB191_463:
	s_mov_b32 s27, -1
                                        ; implicit-def: $vgpr1
.LBB191_464:
	s_delay_alu instid0(SALU_CYCLE_1)
	s_and_not1_b32 vcc_lo, exec_lo, s27
	s_cbranch_vccnz .LBB191_466
; %bb.465:
	s_wait_loadcnt 0x0
	global_load_u16 v1, v[4:5], off
.LBB191_466:
	s_mov_b32 s27, 0
.LBB191_467:
	s_delay_alu instid0(SALU_CYCLE_1)
	s_and_not1_b32 vcc_lo, exec_lo, s27
	s_cbranch_vccnz .LBB191_473
; %bb.468:
	global_load_u8 v3, v[4:5], off
	s_mov_b32 s28, 0
	s_mov_b32 s27, exec_lo
	s_wait_loadcnt 0x0
	v_cmpx_lt_i16_e32 0x7f, v3
	s_xor_b32 s27, exec_lo, s27
	s_cbranch_execz .LBB191_485
; %bb.469:
	v_cmp_ne_u16_e32 vcc_lo, 0x80, v3
	s_and_b32 s28, vcc_lo, exec_lo
	s_and_not1_saveexec_b32 s27, s27
	s_cbranch_execnz .LBB191_486
.LBB191_470:
	s_or_b32 exec_lo, exec_lo, s27
	v_mov_b32_e32 v1, 0
	s_and_saveexec_b32 s27, s28
	s_cbranch_execz .LBB191_472
.LBB191_471:
	v_and_b32_e32 v1, 0xffff, v3
	s_delay_alu instid0(VALU_DEP_1) | instskip(SKIP_1) | instid1(VALU_DEP_2)
	v_and_b32_e32 v6, 7, v1
	v_bfe_u32 v9, v1, 3, 4
	v_clz_i32_u32_e32 v7, v6
	s_delay_alu instid0(VALU_DEP_2) | instskip(NEXT) | instid1(VALU_DEP_2)
	v_cmp_eq_u32_e32 vcc_lo, 0, v9
	v_min_u32_e32 v7, 32, v7
	s_delay_alu instid0(VALU_DEP_1) | instskip(NEXT) | instid1(VALU_DEP_1)
	v_subrev_nc_u32_e32 v8, 28, v7
	v_dual_lshlrev_b32 v1, v8, v1 :: v_dual_sub_nc_u32 v7, 29, v7
	s_delay_alu instid0(VALU_DEP_1) | instskip(NEXT) | instid1(VALU_DEP_1)
	v_dual_lshlrev_b32 v3, 24, v3 :: v_dual_bitop2_b32 v1, 7, v1 bitop3:0x40
	v_dual_cndmask_b32 v1, v6, v1, vcc_lo :: v_dual_cndmask_b32 v7, v9, v7, vcc_lo
	s_delay_alu instid0(VALU_DEP_2) | instskip(NEXT) | instid1(VALU_DEP_2)
	v_and_b32_e32 v3, 0x80000000, v3
	v_lshlrev_b32_e32 v1, 20, v1
	s_delay_alu instid0(VALU_DEP_3) | instskip(NEXT) | instid1(VALU_DEP_1)
	v_lshl_add_u32 v6, v7, 23, 0x3b800000
	v_or3_b32 v1, v3, v6, v1
	s_delay_alu instid0(VALU_DEP_1)
	v_cvt_i32_f32_e32 v1, v1
.LBB191_472:
	s_or_b32 exec_lo, exec_lo, s27
.LBB191_473:
	s_mov_b32 s27, -1
.LBB191_474:
	s_mov_b32 s28, 0
.LBB191_475:
	s_delay_alu instid0(SALU_CYCLE_1)
	s_and_b32 vcc_lo, exec_lo, s28
	s_cbranch_vccz .LBB191_508
; %bb.476:
	s_cmp_gt_i32 s0, 22
	s_cbranch_scc0 .LBB191_484
; %bb.477:
	s_cmp_lt_i32 s0, 24
	s_cbranch_scc1 .LBB191_487
; %bb.478:
	s_cmp_gt_i32 s0, 24
	s_cbranch_scc0 .LBB191_488
; %bb.479:
	global_load_u8 v3, v[4:5], off
	s_mov_b32 s28, 0
	s_mov_b32 s27, exec_lo
	s_wait_loadcnt 0x0
	v_cmpx_lt_i16_e32 0x7f, v3
	s_xor_b32 s27, exec_lo, s27
	s_cbranch_execz .LBB191_500
; %bb.480:
	v_cmp_ne_u16_e32 vcc_lo, 0x80, v3
	s_and_b32 s28, vcc_lo, exec_lo
	s_and_not1_saveexec_b32 s27, s27
	s_cbranch_execnz .LBB191_501
.LBB191_481:
	s_or_b32 exec_lo, exec_lo, s27
	v_mov_b32_e32 v1, 0
	s_and_saveexec_b32 s27, s28
	s_cbranch_execz .LBB191_483
.LBB191_482:
	v_and_b32_e32 v1, 0xffff, v3
	s_delay_alu instid0(VALU_DEP_1) | instskip(SKIP_1) | instid1(VALU_DEP_2)
	v_and_b32_e32 v6, 3, v1
	v_bfe_u32 v9, v1, 2, 5
	v_clz_i32_u32_e32 v7, v6
	s_delay_alu instid0(VALU_DEP_2) | instskip(NEXT) | instid1(VALU_DEP_2)
	v_cmp_eq_u32_e32 vcc_lo, 0, v9
	v_min_u32_e32 v7, 32, v7
	s_delay_alu instid0(VALU_DEP_1) | instskip(NEXT) | instid1(VALU_DEP_1)
	v_subrev_nc_u32_e32 v8, 29, v7
	v_dual_lshlrev_b32 v1, v8, v1 :: v_dual_sub_nc_u32 v7, 30, v7
	s_delay_alu instid0(VALU_DEP_1) | instskip(NEXT) | instid1(VALU_DEP_1)
	v_dual_lshlrev_b32 v3, 24, v3 :: v_dual_bitop2_b32 v1, 3, v1 bitop3:0x40
	v_dual_cndmask_b32 v1, v6, v1, vcc_lo :: v_dual_cndmask_b32 v7, v9, v7, vcc_lo
	s_delay_alu instid0(VALU_DEP_2) | instskip(NEXT) | instid1(VALU_DEP_2)
	v_and_b32_e32 v3, 0x80000000, v3
	v_lshlrev_b32_e32 v1, 21, v1
	s_delay_alu instid0(VALU_DEP_3) | instskip(NEXT) | instid1(VALU_DEP_1)
	v_lshl_add_u32 v6, v7, 23, 0x37800000
	v_or3_b32 v1, v3, v6, v1
	s_delay_alu instid0(VALU_DEP_1)
	v_cvt_i32_f32_e32 v1, v1
.LBB191_483:
	s_or_b32 exec_lo, exec_lo, s27
	s_mov_b32 s27, 0
	s_branch .LBB191_489
.LBB191_484:
	s_mov_b32 s28, -1
                                        ; implicit-def: $vgpr1
	s_branch .LBB191_495
.LBB191_485:
	s_and_not1_saveexec_b32 s27, s27
	s_cbranch_execz .LBB191_470
.LBB191_486:
	v_cmp_ne_u16_e32 vcc_lo, 0, v3
	s_and_not1_b32 s28, s28, exec_lo
	s_and_b32 s29, vcc_lo, exec_lo
	s_delay_alu instid0(SALU_CYCLE_1)
	s_or_b32 s28, s28, s29
	s_or_b32 exec_lo, exec_lo, s27
	v_mov_b32_e32 v1, 0
	s_and_saveexec_b32 s27, s28
	s_cbranch_execnz .LBB191_471
	s_branch .LBB191_472
.LBB191_487:
	s_mov_b32 s27, -1
                                        ; implicit-def: $vgpr1
	s_branch .LBB191_492
.LBB191_488:
	s_mov_b32 s27, -1
                                        ; implicit-def: $vgpr1
.LBB191_489:
	s_delay_alu instid0(SALU_CYCLE_1)
	s_and_b32 vcc_lo, exec_lo, s27
	s_cbranch_vccz .LBB191_491
; %bb.490:
	s_wait_loadcnt 0x0
	global_load_u8 v1, v[4:5], off
	s_wait_loadcnt 0x0
	v_lshlrev_b32_e32 v1, 24, v1
	s_delay_alu instid0(VALU_DEP_1) | instskip(NEXT) | instid1(VALU_DEP_1)
	v_and_b32_e32 v3, 0x7f000000, v1
	v_clz_i32_u32_e32 v6, v3
	v_cmp_ne_u32_e32 vcc_lo, 0, v3
	v_add_nc_u32_e32 v8, 0x1000000, v3
	s_delay_alu instid0(VALU_DEP_3) | instskip(NEXT) | instid1(VALU_DEP_1)
	v_min_u32_e32 v6, 32, v6
	v_sub_nc_u32_e64 v6, v6, 4 clamp
	s_delay_alu instid0(VALU_DEP_1) | instskip(NEXT) | instid1(VALU_DEP_1)
	v_dual_lshlrev_b32 v7, v6, v3 :: v_dual_lshlrev_b32 v6, 23, v6
	v_lshrrev_b32_e32 v7, 4, v7
	s_delay_alu instid0(VALU_DEP_1) | instskip(NEXT) | instid1(VALU_DEP_1)
	v_dual_sub_nc_u32 v6, v7, v6 :: v_dual_ashrrev_i32 v7, 8, v8
	v_add_nc_u32_e32 v6, 0x3c000000, v6
	s_delay_alu instid0(VALU_DEP_1) | instskip(NEXT) | instid1(VALU_DEP_1)
	v_and_or_b32 v6, 0x7f800000, v7, v6
	v_cndmask_b32_e32 v3, 0, v6, vcc_lo
	s_delay_alu instid0(VALU_DEP_1) | instskip(NEXT) | instid1(VALU_DEP_1)
	v_and_or_b32 v1, 0x80000000, v1, v3
	v_cvt_i32_f32_e32 v1, v1
.LBB191_491:
	s_mov_b32 s27, 0
.LBB191_492:
	s_delay_alu instid0(SALU_CYCLE_1)
	s_and_not1_b32 vcc_lo, exec_lo, s27
	s_cbranch_vccnz .LBB191_494
; %bb.493:
	s_wait_loadcnt 0x0
	global_load_u8 v1, v[4:5], off
	s_wait_loadcnt 0x0
	v_lshlrev_b32_e32 v3, 25, v1
	v_lshlrev_b16 v1, 8, v1
	s_delay_alu instid0(VALU_DEP_1) | instskip(SKIP_1) | instid1(VALU_DEP_2)
	v_and_or_b32 v7, 0x7f00, v1, 0.5
	v_bfe_i32 v1, v1, 0, 16
	v_add_f32_e32 v7, -0.5, v7
	v_lshrrev_b32_e32 v6, 4, v3
	v_cmp_gt_u32_e32 vcc_lo, 0x8000000, v3
	s_delay_alu instid0(VALU_DEP_2) | instskip(NEXT) | instid1(VALU_DEP_1)
	v_or_b32_e32 v6, 0x70000000, v6
	v_mul_f32_e32 v6, 0x7800000, v6
	s_delay_alu instid0(VALU_DEP_1) | instskip(NEXT) | instid1(VALU_DEP_1)
	v_cndmask_b32_e32 v3, v6, v7, vcc_lo
	v_and_or_b32 v1, 0x80000000, v1, v3
	s_delay_alu instid0(VALU_DEP_1)
	v_cvt_i32_f32_e32 v1, v1
.LBB191_494:
	s_mov_b32 s28, 0
	s_mov_b32 s27, -1
.LBB191_495:
	s_and_not1_b32 vcc_lo, exec_lo, s28
	s_cbranch_vccnz .LBB191_508
; %bb.496:
	s_cmp_gt_i32 s0, 14
	s_cbranch_scc0 .LBB191_499
; %bb.497:
	s_cmp_eq_u32 s0, 15
	s_cbranch_scc0 .LBB191_502
; %bb.498:
	s_wait_loadcnt 0x0
	global_load_u16 v1, v[4:5], off
	s_mov_b32 s27, -1
	s_mov_b32 s26, 0
	s_wait_loadcnt 0x0
	v_lshlrev_b32_e32 v1, 16, v1
	s_delay_alu instid0(VALU_DEP_1)
	v_cvt_i32_f32_e32 v1, v1
	s_branch .LBB191_503
.LBB191_499:
	s_mov_b32 s28, -1
                                        ; implicit-def: $vgpr1
	s_branch .LBB191_504
.LBB191_500:
	s_and_not1_saveexec_b32 s27, s27
	s_cbranch_execz .LBB191_481
.LBB191_501:
	v_cmp_ne_u16_e32 vcc_lo, 0, v3
	s_and_not1_b32 s28, s28, exec_lo
	s_and_b32 s29, vcc_lo, exec_lo
	s_delay_alu instid0(SALU_CYCLE_1)
	s_or_b32 s28, s28, s29
	s_or_b32 exec_lo, exec_lo, s27
	v_mov_b32_e32 v1, 0
	s_and_saveexec_b32 s27, s28
	s_cbranch_execnz .LBB191_482
	s_branch .LBB191_483
.LBB191_502:
	s_mov_b32 s26, -1
                                        ; implicit-def: $vgpr1
.LBB191_503:
	s_mov_b32 s28, 0
.LBB191_504:
	s_delay_alu instid0(SALU_CYCLE_1)
	s_and_b32 vcc_lo, exec_lo, s28
	s_cbranch_vccz .LBB191_508
; %bb.505:
	s_cmp_eq_u32 s0, 11
	s_cbranch_scc0 .LBB191_507
; %bb.506:
	s_wait_loadcnt 0x0
	global_load_u8 v1, v[4:5], off
	s_mov_b32 s26, 0
	s_mov_b32 s27, -1
	s_wait_loadcnt 0x0
	v_cmp_ne_u16_e32 vcc_lo, 0, v1
	v_cndmask_b32_e64 v1, 0, 1, vcc_lo
	s_branch .LBB191_508
.LBB191_507:
	s_mov_b32 s26, -1
                                        ; implicit-def: $vgpr1
.LBB191_508:
	s_branch .LBB191_303
.LBB191_509:
	s_cmp_lt_i32 s0, 5
	s_cbranch_scc1 .LBB191_514
; %bb.510:
	s_cmp_lt_i32 s0, 8
	s_cbranch_scc1 .LBB191_515
; %bb.511:
	s_cmp_lt_i32 s0, 9
	s_cbranch_scc1 .LBB191_516
; %bb.512:
	s_cmp_gt_i32 s0, 9
	s_cbranch_scc0 .LBB191_517
; %bb.513:
	global_load_b64 v[6:7], v[4:5], off
	s_mov_b32 s27, 0
	s_wait_loadcnt 0x0
	v_cvt_i32_f64_e32 v1, v[6:7]
	s_branch .LBB191_518
.LBB191_514:
	s_mov_b32 s27, -1
                                        ; implicit-def: $vgpr1
	s_branch .LBB191_536
.LBB191_515:
	s_mov_b32 s27, -1
                                        ; implicit-def: $vgpr1
	s_branch .LBB191_524
.LBB191_516:
	s_mov_b32 s27, -1
                                        ; implicit-def: $vgpr1
	s_branch .LBB191_521
.LBB191_517:
	s_mov_b32 s27, -1
                                        ; implicit-def: $vgpr1
.LBB191_518:
	s_delay_alu instid0(SALU_CYCLE_1)
	s_and_not1_b32 vcc_lo, exec_lo, s27
	s_cbranch_vccnz .LBB191_520
; %bb.519:
	s_wait_loadcnt 0x0
	global_load_b32 v1, v[4:5], off
	s_wait_loadcnt 0x0
	v_cvt_i32_f32_e32 v1, v1
.LBB191_520:
	s_mov_b32 s27, 0
.LBB191_521:
	s_delay_alu instid0(SALU_CYCLE_1)
	s_and_not1_b32 vcc_lo, exec_lo, s27
	s_cbranch_vccnz .LBB191_523
; %bb.522:
	s_wait_loadcnt 0x0
	global_load_b32 v1, v[4:5], off
	s_wait_loadcnt 0x0
	v_cvt_f32_f16_e32 v1, v1
	s_delay_alu instid0(VALU_DEP_1)
	v_cvt_i32_f32_e32 v1, v1
.LBB191_523:
	s_mov_b32 s27, 0
.LBB191_524:
	s_delay_alu instid0(SALU_CYCLE_1)
	s_and_not1_b32 vcc_lo, exec_lo, s27
	s_cbranch_vccnz .LBB191_535
; %bb.525:
	s_cmp_lt_i32 s0, 6
	s_cbranch_scc1 .LBB191_528
; %bb.526:
	s_cmp_gt_i32 s0, 6
	s_cbranch_scc0 .LBB191_529
; %bb.527:
	global_load_b64 v[6:7], v[4:5], off
	s_mov_b32 s27, 0
	s_wait_loadcnt 0x0
	v_cvt_i32_f64_e32 v1, v[6:7]
	s_branch .LBB191_530
.LBB191_528:
	s_mov_b32 s27, -1
                                        ; implicit-def: $vgpr1
	s_branch .LBB191_533
.LBB191_529:
	s_mov_b32 s27, -1
                                        ; implicit-def: $vgpr1
.LBB191_530:
	s_delay_alu instid0(SALU_CYCLE_1)
	s_and_not1_b32 vcc_lo, exec_lo, s27
	s_cbranch_vccnz .LBB191_532
; %bb.531:
	s_wait_loadcnt 0x0
	global_load_b32 v1, v[4:5], off
	s_wait_loadcnt 0x0
	v_cvt_i32_f32_e32 v1, v1
.LBB191_532:
	s_mov_b32 s27, 0
.LBB191_533:
	s_delay_alu instid0(SALU_CYCLE_1)
	s_and_not1_b32 vcc_lo, exec_lo, s27
	s_cbranch_vccnz .LBB191_535
; %bb.534:
	s_wait_loadcnt 0x0
	global_load_u16 v1, v[4:5], off
	s_wait_loadcnt 0x0
	v_cvt_f32_f16_e32 v1, v1
	s_delay_alu instid0(VALU_DEP_1)
	v_cvt_i32_f32_e32 v1, v1
.LBB191_535:
	s_mov_b32 s27, 0
.LBB191_536:
	s_delay_alu instid0(SALU_CYCLE_1)
	s_and_not1_b32 vcc_lo, exec_lo, s27
	s_cbranch_vccnz .LBB191_556
; %bb.537:
	s_cmp_lt_i32 s0, 2
	s_cbranch_scc1 .LBB191_541
; %bb.538:
	s_cmp_lt_i32 s0, 3
	s_cbranch_scc1 .LBB191_542
; %bb.539:
	s_cmp_gt_i32 s0, 3
	s_cbranch_scc0 .LBB191_543
; %bb.540:
	s_wait_loadcnt 0x0
	global_load_b32 v1, v[4:5], off
	s_mov_b32 s27, 0
	s_branch .LBB191_544
.LBB191_541:
	s_mov_b32 s27, -1
                                        ; implicit-def: $vgpr1
	s_branch .LBB191_550
.LBB191_542:
	s_mov_b32 s27, -1
                                        ; implicit-def: $vgpr1
	s_branch .LBB191_547
.LBB191_543:
	s_mov_b32 s27, -1
                                        ; implicit-def: $vgpr1
.LBB191_544:
	s_delay_alu instid0(SALU_CYCLE_1)
	s_and_not1_b32 vcc_lo, exec_lo, s27
	s_cbranch_vccnz .LBB191_546
; %bb.545:
	s_wait_loadcnt 0x0
	global_load_b32 v1, v[4:5], off
.LBB191_546:
	s_mov_b32 s27, 0
.LBB191_547:
	s_delay_alu instid0(SALU_CYCLE_1)
	s_and_not1_b32 vcc_lo, exec_lo, s27
	s_cbranch_vccnz .LBB191_549
; %bb.548:
	s_wait_loadcnt 0x0
	global_load_i16 v1, v[4:5], off
.LBB191_549:
	s_mov_b32 s27, 0
.LBB191_550:
	s_delay_alu instid0(SALU_CYCLE_1)
	s_and_not1_b32 vcc_lo, exec_lo, s27
	s_cbranch_vccnz .LBB191_556
; %bb.551:
	s_cmp_gt_i32 s0, 0
	s_mov_b32 s0, 0
	s_cbranch_scc0 .LBB191_553
; %bb.552:
	s_wait_loadcnt 0x0
	global_load_i8 v1, v[4:5], off
	s_branch .LBB191_554
.LBB191_553:
	s_mov_b32 s0, -1
                                        ; implicit-def: $vgpr1
.LBB191_554:
	s_delay_alu instid0(SALU_CYCLE_1)
	s_and_not1_b32 vcc_lo, exec_lo, s0
	s_cbranch_vccnz .LBB191_556
; %bb.555:
	s_wait_loadcnt 0x0
	global_load_u8 v1, v[4:5], off
.LBB191_556:
	s_branch .LBB191_304
.LBB191_557:
	s_mov_b32 s27, 0
	s_mov_b32 s0, s42
.LBB191_558:
                                        ; implicit-def: $vgpr0
.LBB191_559:
	s_and_not1_b32 s28, s42, exec_lo
	s_and_b32 s0, s0, exec_lo
	s_and_not1_b32 s29, s43, exec_lo
	s_and_b32 s26, s26, exec_lo
	s_or_b32 s46, s28, s0
	s_or_b32 s45, s29, s26
	s_or_not1_b32 s0, s27, exec_lo
.LBB191_560:
	s_wait_xcnt 0x0
	s_or_b32 exec_lo, exec_lo, s47
	s_mov_b32 s27, 0
	s_mov_b32 s26, 0
	;; [unrolled: 1-line block ×3, first 2 shown]
                                        ; implicit-def: $vgpr4_vgpr5
                                        ; implicit-def: $vgpr2
                                        ; implicit-def: $vgpr1
	s_and_saveexec_b32 s47, s0
	s_cbranch_execz .LBB191_945
; %bb.561:
	s_mov_b32 s29, -1
	s_mov_b32 s0, s45
	s_mov_b32 s30, s46
	s_mov_b32 s48, exec_lo
	v_cmpx_gt_i32_e64 s39, v0
	s_cbranch_execz .LBB191_846
; %bb.562:
	s_and_not1_b32 vcc_lo, exec_lo, s36
	s_cbranch_vccnz .LBB191_568
; %bb.563:
	s_and_not1_b32 vcc_lo, exec_lo, s41
	s_cbranch_vccnz .LBB191_569
; %bb.564:
	s_add_co_i32 s0, s40, 1
	s_cmp_eq_u32 s34, 2
	s_cbranch_scc1 .LBB191_570
; %bb.565:
	v_dual_mov_b32 v2, 0 :: v_dual_mov_b32 v4, 0
	s_wait_loadcnt 0x0
	v_mov_b32_e32 v1, v0
	s_and_b32 s26, s0, 28
	s_mov_b64 s[28:29], s[2:3]
	s_mov_b64 s[30:31], s[24:25]
.LBB191_566:                            ; =>This Inner Loop Header: Depth=1
	s_clause 0x1
	s_load_b256 s[52:59], s[28:29], 0x4
	s_load_b128 s[68:71], s[28:29], 0x24
	s_load_b256 s[60:67], s[30:31], 0x0
	s_add_co_i32 s27, s27, 4
	s_wait_xcnt 0x0
	s_add_nc_u64 s[28:29], s[28:29], 48
	s_cmp_eq_u32 s26, s27
	s_add_nc_u64 s[30:31], s[30:31], 32
	s_wait_kmcnt 0x0
	v_mul_hi_u32 v3, s53, v1
	s_delay_alu instid0(VALU_DEP_1) | instskip(NEXT) | instid1(VALU_DEP_1)
	v_add_nc_u32_e32 v3, v1, v3
	v_lshrrev_b32_e32 v3, s54, v3
	s_delay_alu instid0(VALU_DEP_1) | instskip(NEXT) | instid1(VALU_DEP_1)
	v_mul_hi_u32 v5, s56, v3
	v_add_nc_u32_e32 v5, v3, v5
	s_delay_alu instid0(VALU_DEP_1) | instskip(NEXT) | instid1(VALU_DEP_1)
	v_lshrrev_b32_e32 v5, s57, v5
	v_mul_hi_u32 v6, s59, v5
	s_delay_alu instid0(VALU_DEP_1) | instskip(SKIP_1) | instid1(VALU_DEP_1)
	v_add_nc_u32_e32 v6, v5, v6
	v_mul_lo_u32 v7, v3, s52
	v_sub_nc_u32_e32 v1, v1, v7
	v_mul_lo_u32 v7, v5, s55
	s_delay_alu instid0(VALU_DEP_4) | instskip(NEXT) | instid1(VALU_DEP_3)
	v_lshrrev_b32_e32 v6, s68, v6
	v_mad_u32 v4, v1, s61, v4
	v_mad_u32 v1, v1, s60, v2
	s_delay_alu instid0(VALU_DEP_4) | instskip(NEXT) | instid1(VALU_DEP_4)
	v_sub_nc_u32_e32 v2, v3, v7
	v_mul_hi_u32 v8, s70, v6
	v_mul_lo_u32 v3, v6, s58
	s_delay_alu instid0(VALU_DEP_3) | instskip(SKIP_1) | instid1(VALU_DEP_3)
	v_mad_u32 v4, v2, s63, v4
	v_mad_u32 v2, v2, s62, v1
	v_dual_add_nc_u32 v7, v6, v8 :: v_dual_sub_nc_u32 v3, v5, v3
	s_delay_alu instid0(VALU_DEP_1) | instskip(NEXT) | instid1(VALU_DEP_2)
	v_lshrrev_b32_e32 v1, s71, v7
	v_mad_u32 v4, v3, s65, v4
	s_delay_alu instid0(VALU_DEP_4) | instskip(NEXT) | instid1(VALU_DEP_3)
	v_mad_u32 v2, v3, s64, v2
	v_mul_lo_u32 v5, v1, s69
	s_delay_alu instid0(VALU_DEP_1) | instskip(NEXT) | instid1(VALU_DEP_1)
	v_sub_nc_u32_e32 v3, v6, v5
	v_mad_u32 v4, v3, s67, v4
	s_delay_alu instid0(VALU_DEP_4)
	v_mad_u32 v2, v3, s66, v2
	s_cbranch_scc0 .LBB191_566
; %bb.567:
	s_delay_alu instid0(VALU_DEP_2)
	v_mov_b32_e32 v3, v4
	s_branch .LBB191_571
.LBB191_568:
	s_mov_b32 s0, -1
                                        ; implicit-def: $vgpr4
                                        ; implicit-def: $vgpr2
	s_branch .LBB191_576
.LBB191_569:
	v_dual_mov_b32 v4, 0 :: v_dual_mov_b32 v2, 0
	s_branch .LBB191_575
.LBB191_570:
	v_mov_b64_e32 v[2:3], 0
	s_wait_loadcnt 0x0
	v_mov_b32_e32 v1, v0
                                        ; implicit-def: $vgpr4
.LBB191_571:
	s_and_b32 s0, s0, 3
	s_mov_b32 s27, 0
	s_cmp_eq_u32 s0, 0
	s_cbranch_scc1 .LBB191_575
; %bb.572:
	s_lshl_b32 s28, s26, 3
	s_mov_b32 s29, s27
	s_mul_u64 s[30:31], s[26:27], 12
	s_add_nc_u64 s[28:29], s[2:3], s[28:29]
	s_delay_alu instid0(SALU_CYCLE_1)
	s_add_nc_u64 s[26:27], s[28:29], 0xc4
	s_add_nc_u64 s[28:29], s[2:3], s[30:31]
.LBB191_573:                            ; =>This Inner Loop Header: Depth=1
	s_load_b96 s[52:54], s[28:29], 0x4
	s_load_b64 s[30:31], s[26:27], 0x0
	s_add_co_i32 s0, s0, -1
	s_wait_xcnt 0x0
	s_add_nc_u64 s[28:29], s[28:29], 12
	s_cmp_lg_u32 s0, 0
	s_add_nc_u64 s[26:27], s[26:27], 8
	s_wait_kmcnt 0x0
	v_mul_hi_u32 v4, s53, v1
	s_delay_alu instid0(VALU_DEP_1) | instskip(NEXT) | instid1(VALU_DEP_1)
	v_add_nc_u32_e32 v4, v1, v4
	v_lshrrev_b32_e32 v4, s54, v4
	s_delay_alu instid0(VALU_DEP_1) | instskip(NEXT) | instid1(VALU_DEP_1)
	v_mul_lo_u32 v5, v4, s52
	v_sub_nc_u32_e32 v1, v1, v5
	s_delay_alu instid0(VALU_DEP_1)
	v_mad_u32 v3, v1, s31, v3
	v_mad_u32 v2, v1, s30, v2
	v_mov_b32_e32 v1, v4
	s_cbranch_scc1 .LBB191_573
; %bb.574:
	s_delay_alu instid0(VALU_DEP_3)
	v_mov_b32_e32 v4, v3
.LBB191_575:
	s_mov_b32 s0, 0
.LBB191_576:
	s_delay_alu instid0(SALU_CYCLE_1)
	s_and_not1_b32 vcc_lo, exec_lo, s0
	s_cbranch_vccnz .LBB191_579
; %bb.577:
	s_wait_loadcnt 0x0
	v_mov_b32_e32 v1, 0
	s_and_not1_b32 vcc_lo, exec_lo, s38
	s_delay_alu instid0(VALU_DEP_1) | instskip(NEXT) | instid1(VALU_DEP_1)
	v_mul_u64_e32 v[2:3], s[20:21], v[0:1]
	v_add_nc_u32_e32 v2, v0, v3
	s_delay_alu instid0(VALU_DEP_1) | instskip(NEXT) | instid1(VALU_DEP_1)
	v_lshrrev_b32_e32 v6, s14, v2
	v_mul_lo_u32 v2, v6, s12
	s_delay_alu instid0(VALU_DEP_1) | instskip(NEXT) | instid1(VALU_DEP_1)
	v_sub_nc_u32_e32 v2, v0, v2
	v_mul_lo_u32 v4, v2, s17
	v_mul_lo_u32 v2, v2, s16
	s_cbranch_vccnz .LBB191_579
; %bb.578:
	v_mov_b32_e32 v7, v1
	s_delay_alu instid0(VALU_DEP_1) | instskip(NEXT) | instid1(VALU_DEP_1)
	v_mul_u64_e32 v[8:9], s[22:23], v[6:7]
	v_add_nc_u32_e32 v1, v6, v9
	s_delay_alu instid0(VALU_DEP_1) | instskip(NEXT) | instid1(VALU_DEP_1)
	v_lshrrev_b32_e32 v1, s1, v1
	v_mul_lo_u32 v1, v1, s15
	s_delay_alu instid0(VALU_DEP_1) | instskip(NEXT) | instid1(VALU_DEP_1)
	v_sub_nc_u32_e32 v1, v6, v1
	v_mad_u32 v2, v1, s18, v2
	v_mad_u32 v4, v1, s19, v4
.LBB191_579:
	v_mov_b32_e32 v5, 0
	s_and_b32 s0, 0xffff, s13
	s_delay_alu instid0(SALU_CYCLE_1) | instskip(NEXT) | instid1(VALU_DEP_1)
	s_cmp_lt_i32 s0, 11
	v_add_nc_u64_e32 v[4:5], s[6:7], v[4:5]
	s_cbranch_scc1 .LBB191_586
; %bb.580:
	s_cmp_gt_i32 s0, 25
	s_cbranch_scc0 .LBB191_587
; %bb.581:
	s_cmp_gt_i32 s0, 28
	s_cbranch_scc0 .LBB191_588
	;; [unrolled: 3-line block ×4, first 2 shown]
; %bb.584:
	s_cmp_eq_u32 s0, 46
	s_mov_b32 s28, 0
	s_cbranch_scc0 .LBB191_595
; %bb.585:
	s_wait_loadcnt 0x0
	global_load_b32 v1, v[4:5], off
	s_mov_b32 s27, -1
	s_mov_b32 s26, 0
	s_wait_loadcnt 0x0
	v_lshlrev_b32_e32 v1, 16, v1
	s_delay_alu instid0(VALU_DEP_1)
	v_cvt_i32_f32_e32 v1, v1
	s_branch .LBB191_597
.LBB191_586:
	s_mov_b32 s28, -1
	s_mov_b32 s27, 0
	s_mov_b32 s26, s45
                                        ; implicit-def: $vgpr1
	s_branch .LBB191_658
.LBB191_587:
	s_mov_b32 s28, -1
	s_mov_b32 s27, 0
	s_mov_b32 s26, s45
                                        ; implicit-def: $vgpr1
	s_branch .LBB191_624
.LBB191_588:
	s_mov_b32 s28, -1
	s_mov_b32 s27, 0
	s_mov_b32 s26, s45
                                        ; implicit-def: $vgpr1
	s_branch .LBB191_607
.LBB191_589:
	s_mov_b32 s28, -1
	s_mov_b32 s27, 0
	s_mov_b32 s26, s45
                                        ; implicit-def: $vgpr1
	s_branch .LBB191_602
.LBB191_590:
	s_and_not1_saveexec_b32 s31, s31
	s_cbranch_execz .LBB191_361
.LBB191_591:
	v_add_f32_e64 v5, 0x46000000, |v1|
	s_and_not1_b32 s30, s30, exec_lo
	s_delay_alu instid0(VALU_DEP_1) | instskip(NEXT) | instid1(VALU_DEP_1)
	v_and_b32_e32 v5, 0xff, v5
	v_cmp_ne_u32_e32 vcc_lo, 0, v5
	s_and_b32 s45, vcc_lo, exec_lo
	s_delay_alu instid0(SALU_CYCLE_1)
	s_or_b32 s30, s30, s45
	s_or_b32 exec_lo, exec_lo, s31
	v_mov_b32_e32 v6, 0
	s_and_saveexec_b32 s31, s30
	s_cbranch_execnz .LBB191_362
	s_branch .LBB191_363
.LBB191_592:
	s_mov_b32 s28, -1
	s_mov_b32 s27, 0
	s_mov_b32 s26, s45
	s_branch .LBB191_596
.LBB191_593:
	s_and_not1_saveexec_b32 s31, s31
	s_cbranch_execz .LBB191_374
.LBB191_594:
	v_add_f32_e64 v5, 0x42800000, |v1|
	s_and_not1_b32 s30, s30, exec_lo
	s_delay_alu instid0(VALU_DEP_1) | instskip(NEXT) | instid1(VALU_DEP_1)
	v_and_b32_e32 v5, 0xff, v5
	v_cmp_ne_u32_e32 vcc_lo, 0, v5
	s_and_b32 s45, vcc_lo, exec_lo
	s_delay_alu instid0(SALU_CYCLE_1)
	s_or_b32 s30, s30, s45
	s_or_b32 exec_lo, exec_lo, s31
	v_mov_b32_e32 v6, 0
	s_and_saveexec_b32 s31, s30
	s_cbranch_execnz .LBB191_375
	s_branch .LBB191_376
.LBB191_595:
	s_mov_b32 s26, -1
	s_mov_b32 s27, 0
.LBB191_596:
                                        ; implicit-def: $vgpr1
.LBB191_597:
	s_and_b32 vcc_lo, exec_lo, s28
	s_cbranch_vccz .LBB191_601
; %bb.598:
	s_cmp_eq_u32 s0, 44
	s_cbranch_scc0 .LBB191_600
; %bb.599:
	s_wait_loadcnt 0x0
	global_load_u8 v1, v[4:5], off
	s_mov_b32 s26, 0
	s_mov_b32 s27, -1
	s_wait_loadcnt 0x0
	v_lshlrev_b32_e32 v3, 23, v1
	v_cmp_ne_u32_e32 vcc_lo, 0, v1
	s_delay_alu instid0(VALU_DEP_2) | instskip(NEXT) | instid1(VALU_DEP_1)
	v_cvt_i32_f32_e32 v3, v3
	v_cndmask_b32_e32 v1, 0, v3, vcc_lo
	s_branch .LBB191_601
.LBB191_600:
	s_mov_b32 s26, -1
                                        ; implicit-def: $vgpr1
.LBB191_601:
	s_mov_b32 s28, 0
.LBB191_602:
	s_delay_alu instid0(SALU_CYCLE_1)
	s_and_b32 vcc_lo, exec_lo, s28
	s_cbranch_vccz .LBB191_606
; %bb.603:
	s_cmp_eq_u32 s0, 29
	s_cbranch_scc0 .LBB191_605
; %bb.604:
	s_wait_loadcnt 0x0
	global_load_b32 v1, v[4:5], off
	s_mov_b32 s27, -1
	s_mov_b32 s26, 0
	s_branch .LBB191_606
.LBB191_605:
	s_mov_b32 s26, -1
                                        ; implicit-def: $vgpr1
.LBB191_606:
	s_mov_b32 s28, 0
.LBB191_607:
	s_delay_alu instid0(SALU_CYCLE_1)
	s_and_b32 vcc_lo, exec_lo, s28
	s_cbranch_vccz .LBB191_623
; %bb.608:
	s_cmp_lt_i32 s0, 27
	s_cbranch_scc1 .LBB191_611
; %bb.609:
	s_cmp_gt_i32 s0, 27
	s_cbranch_scc0 .LBB191_612
; %bb.610:
	s_wait_loadcnt 0x0
	global_load_b32 v1, v[4:5], off
	s_mov_b32 s27, 0
	s_branch .LBB191_613
.LBB191_611:
	s_mov_b32 s27, -1
                                        ; implicit-def: $vgpr1
	s_branch .LBB191_616
.LBB191_612:
	s_mov_b32 s27, -1
                                        ; implicit-def: $vgpr1
.LBB191_613:
	s_delay_alu instid0(SALU_CYCLE_1)
	s_and_not1_b32 vcc_lo, exec_lo, s27
	s_cbranch_vccnz .LBB191_615
; %bb.614:
	s_wait_loadcnt 0x0
	global_load_u16 v1, v[4:5], off
.LBB191_615:
	s_mov_b32 s27, 0
.LBB191_616:
	s_delay_alu instid0(SALU_CYCLE_1)
	s_and_not1_b32 vcc_lo, exec_lo, s27
	s_cbranch_vccnz .LBB191_622
; %bb.617:
	global_load_u8 v3, v[4:5], off
	s_mov_b32 s28, 0
	s_mov_b32 s27, exec_lo
	s_wait_loadcnt 0x0
	v_cmpx_lt_i16_e32 0x7f, v3
	s_xor_b32 s27, exec_lo, s27
	s_cbranch_execz .LBB191_634
; %bb.618:
	v_cmp_ne_u16_e32 vcc_lo, 0x80, v3
	s_and_b32 s28, vcc_lo, exec_lo
	s_and_not1_saveexec_b32 s27, s27
	s_cbranch_execnz .LBB191_635
.LBB191_619:
	s_or_b32 exec_lo, exec_lo, s27
	v_mov_b32_e32 v1, 0
	s_and_saveexec_b32 s27, s28
	s_cbranch_execz .LBB191_621
.LBB191_620:
	v_and_b32_e32 v1, 0xffff, v3
	s_delay_alu instid0(VALU_DEP_1) | instskip(SKIP_1) | instid1(VALU_DEP_2)
	v_and_b32_e32 v6, 7, v1
	v_bfe_u32 v9, v1, 3, 4
	v_clz_i32_u32_e32 v7, v6
	s_delay_alu instid0(VALU_DEP_2) | instskip(NEXT) | instid1(VALU_DEP_2)
	v_cmp_eq_u32_e32 vcc_lo, 0, v9
	v_min_u32_e32 v7, 32, v7
	s_delay_alu instid0(VALU_DEP_1) | instskip(NEXT) | instid1(VALU_DEP_1)
	v_subrev_nc_u32_e32 v8, 28, v7
	v_dual_lshlrev_b32 v1, v8, v1 :: v_dual_sub_nc_u32 v7, 29, v7
	s_delay_alu instid0(VALU_DEP_1) | instskip(NEXT) | instid1(VALU_DEP_1)
	v_dual_lshlrev_b32 v3, 24, v3 :: v_dual_bitop2_b32 v1, 7, v1 bitop3:0x40
	v_dual_cndmask_b32 v1, v6, v1, vcc_lo :: v_dual_cndmask_b32 v7, v9, v7, vcc_lo
	s_delay_alu instid0(VALU_DEP_2) | instskip(NEXT) | instid1(VALU_DEP_2)
	v_and_b32_e32 v3, 0x80000000, v3
	v_lshlrev_b32_e32 v1, 20, v1
	s_delay_alu instid0(VALU_DEP_3) | instskip(NEXT) | instid1(VALU_DEP_1)
	v_lshl_add_u32 v6, v7, 23, 0x3b800000
	v_or3_b32 v1, v3, v6, v1
	s_delay_alu instid0(VALU_DEP_1)
	v_cvt_i32_f32_e32 v1, v1
.LBB191_621:
	s_or_b32 exec_lo, exec_lo, s27
.LBB191_622:
	s_mov_b32 s27, -1
.LBB191_623:
	s_mov_b32 s28, 0
.LBB191_624:
	s_delay_alu instid0(SALU_CYCLE_1)
	s_and_b32 vcc_lo, exec_lo, s28
	s_cbranch_vccz .LBB191_657
; %bb.625:
	s_cmp_gt_i32 s0, 22
	s_cbranch_scc0 .LBB191_633
; %bb.626:
	s_cmp_lt_i32 s0, 24
	s_cbranch_scc1 .LBB191_636
; %bb.627:
	s_cmp_gt_i32 s0, 24
	s_cbranch_scc0 .LBB191_637
; %bb.628:
	global_load_u8 v3, v[4:5], off
	s_mov_b32 s28, 0
	s_mov_b32 s27, exec_lo
	s_wait_loadcnt 0x0
	v_cmpx_lt_i16_e32 0x7f, v3
	s_xor_b32 s27, exec_lo, s27
	s_cbranch_execz .LBB191_649
; %bb.629:
	v_cmp_ne_u16_e32 vcc_lo, 0x80, v3
	s_and_b32 s28, vcc_lo, exec_lo
	s_and_not1_saveexec_b32 s27, s27
	s_cbranch_execnz .LBB191_650
.LBB191_630:
	s_or_b32 exec_lo, exec_lo, s27
	v_mov_b32_e32 v1, 0
	s_and_saveexec_b32 s27, s28
	s_cbranch_execz .LBB191_632
.LBB191_631:
	v_and_b32_e32 v1, 0xffff, v3
	s_delay_alu instid0(VALU_DEP_1) | instskip(SKIP_1) | instid1(VALU_DEP_2)
	v_and_b32_e32 v6, 3, v1
	v_bfe_u32 v9, v1, 2, 5
	v_clz_i32_u32_e32 v7, v6
	s_delay_alu instid0(VALU_DEP_2) | instskip(NEXT) | instid1(VALU_DEP_2)
	v_cmp_eq_u32_e32 vcc_lo, 0, v9
	v_min_u32_e32 v7, 32, v7
	s_delay_alu instid0(VALU_DEP_1) | instskip(NEXT) | instid1(VALU_DEP_1)
	v_subrev_nc_u32_e32 v8, 29, v7
	v_dual_lshlrev_b32 v1, v8, v1 :: v_dual_sub_nc_u32 v7, 30, v7
	s_delay_alu instid0(VALU_DEP_1) | instskip(NEXT) | instid1(VALU_DEP_1)
	v_dual_lshlrev_b32 v3, 24, v3 :: v_dual_bitop2_b32 v1, 3, v1 bitop3:0x40
	v_dual_cndmask_b32 v1, v6, v1, vcc_lo :: v_dual_cndmask_b32 v7, v9, v7, vcc_lo
	s_delay_alu instid0(VALU_DEP_2) | instskip(NEXT) | instid1(VALU_DEP_2)
	v_and_b32_e32 v3, 0x80000000, v3
	v_lshlrev_b32_e32 v1, 21, v1
	s_delay_alu instid0(VALU_DEP_3) | instskip(NEXT) | instid1(VALU_DEP_1)
	v_lshl_add_u32 v6, v7, 23, 0x37800000
	v_or3_b32 v1, v3, v6, v1
	s_delay_alu instid0(VALU_DEP_1)
	v_cvt_i32_f32_e32 v1, v1
.LBB191_632:
	s_or_b32 exec_lo, exec_lo, s27
	s_mov_b32 s27, 0
	s_branch .LBB191_638
.LBB191_633:
	s_mov_b32 s28, -1
                                        ; implicit-def: $vgpr1
	s_branch .LBB191_644
.LBB191_634:
	s_and_not1_saveexec_b32 s27, s27
	s_cbranch_execz .LBB191_619
.LBB191_635:
	v_cmp_ne_u16_e32 vcc_lo, 0, v3
	s_and_not1_b32 s28, s28, exec_lo
	s_and_b32 s29, vcc_lo, exec_lo
	s_delay_alu instid0(SALU_CYCLE_1)
	s_or_b32 s28, s28, s29
	s_or_b32 exec_lo, exec_lo, s27
	v_mov_b32_e32 v1, 0
	s_and_saveexec_b32 s27, s28
	s_cbranch_execnz .LBB191_620
	s_branch .LBB191_621
.LBB191_636:
	s_mov_b32 s27, -1
                                        ; implicit-def: $vgpr1
	s_branch .LBB191_641
.LBB191_637:
	s_mov_b32 s27, -1
                                        ; implicit-def: $vgpr1
.LBB191_638:
	s_delay_alu instid0(SALU_CYCLE_1)
	s_and_b32 vcc_lo, exec_lo, s27
	s_cbranch_vccz .LBB191_640
; %bb.639:
	s_wait_loadcnt 0x0
	global_load_u8 v1, v[4:5], off
	s_wait_loadcnt 0x0
	v_lshlrev_b32_e32 v1, 24, v1
	s_delay_alu instid0(VALU_DEP_1) | instskip(NEXT) | instid1(VALU_DEP_1)
	v_and_b32_e32 v3, 0x7f000000, v1
	v_clz_i32_u32_e32 v6, v3
	v_cmp_ne_u32_e32 vcc_lo, 0, v3
	v_add_nc_u32_e32 v8, 0x1000000, v3
	s_delay_alu instid0(VALU_DEP_3) | instskip(NEXT) | instid1(VALU_DEP_1)
	v_min_u32_e32 v6, 32, v6
	v_sub_nc_u32_e64 v6, v6, 4 clamp
	s_delay_alu instid0(VALU_DEP_1) | instskip(NEXT) | instid1(VALU_DEP_1)
	v_dual_lshlrev_b32 v7, v6, v3 :: v_dual_lshlrev_b32 v6, 23, v6
	v_lshrrev_b32_e32 v7, 4, v7
	s_delay_alu instid0(VALU_DEP_1) | instskip(NEXT) | instid1(VALU_DEP_1)
	v_dual_sub_nc_u32 v6, v7, v6 :: v_dual_ashrrev_i32 v7, 8, v8
	v_add_nc_u32_e32 v6, 0x3c000000, v6
	s_delay_alu instid0(VALU_DEP_1) | instskip(NEXT) | instid1(VALU_DEP_1)
	v_and_or_b32 v6, 0x7f800000, v7, v6
	v_cndmask_b32_e32 v3, 0, v6, vcc_lo
	s_delay_alu instid0(VALU_DEP_1) | instskip(NEXT) | instid1(VALU_DEP_1)
	v_and_or_b32 v1, 0x80000000, v1, v3
	v_cvt_i32_f32_e32 v1, v1
.LBB191_640:
	s_mov_b32 s27, 0
.LBB191_641:
	s_delay_alu instid0(SALU_CYCLE_1)
	s_and_not1_b32 vcc_lo, exec_lo, s27
	s_cbranch_vccnz .LBB191_643
; %bb.642:
	s_wait_loadcnt 0x0
	global_load_u8 v1, v[4:5], off
	s_wait_loadcnt 0x0
	v_lshlrev_b32_e32 v3, 25, v1
	v_lshlrev_b16 v1, 8, v1
	s_delay_alu instid0(VALU_DEP_1) | instskip(SKIP_1) | instid1(VALU_DEP_2)
	v_and_or_b32 v7, 0x7f00, v1, 0.5
	v_bfe_i32 v1, v1, 0, 16
	v_add_f32_e32 v7, -0.5, v7
	v_lshrrev_b32_e32 v6, 4, v3
	v_cmp_gt_u32_e32 vcc_lo, 0x8000000, v3
	s_delay_alu instid0(VALU_DEP_2) | instskip(NEXT) | instid1(VALU_DEP_1)
	v_or_b32_e32 v6, 0x70000000, v6
	v_mul_f32_e32 v6, 0x7800000, v6
	s_delay_alu instid0(VALU_DEP_1) | instskip(NEXT) | instid1(VALU_DEP_1)
	v_cndmask_b32_e32 v3, v6, v7, vcc_lo
	v_and_or_b32 v1, 0x80000000, v1, v3
	s_delay_alu instid0(VALU_DEP_1)
	v_cvt_i32_f32_e32 v1, v1
.LBB191_643:
	s_mov_b32 s28, 0
	s_mov_b32 s27, -1
.LBB191_644:
	s_and_not1_b32 vcc_lo, exec_lo, s28
	s_cbranch_vccnz .LBB191_657
; %bb.645:
	s_cmp_gt_i32 s0, 14
	s_cbranch_scc0 .LBB191_648
; %bb.646:
	s_cmp_eq_u32 s0, 15
	s_cbranch_scc0 .LBB191_651
; %bb.647:
	s_wait_loadcnt 0x0
	global_load_u16 v1, v[4:5], off
	s_mov_b32 s27, -1
	s_mov_b32 s26, 0
	s_wait_loadcnt 0x0
	v_lshlrev_b32_e32 v1, 16, v1
	s_delay_alu instid0(VALU_DEP_1)
	v_cvt_i32_f32_e32 v1, v1
	s_branch .LBB191_652
.LBB191_648:
	s_mov_b32 s28, -1
                                        ; implicit-def: $vgpr1
	s_branch .LBB191_653
.LBB191_649:
	s_and_not1_saveexec_b32 s27, s27
	s_cbranch_execz .LBB191_630
.LBB191_650:
	v_cmp_ne_u16_e32 vcc_lo, 0, v3
	s_and_not1_b32 s28, s28, exec_lo
	s_and_b32 s29, vcc_lo, exec_lo
	s_delay_alu instid0(SALU_CYCLE_1)
	s_or_b32 s28, s28, s29
	s_or_b32 exec_lo, exec_lo, s27
	v_mov_b32_e32 v1, 0
	s_and_saveexec_b32 s27, s28
	s_cbranch_execnz .LBB191_631
	s_branch .LBB191_632
.LBB191_651:
	s_mov_b32 s26, -1
                                        ; implicit-def: $vgpr1
.LBB191_652:
	s_mov_b32 s28, 0
.LBB191_653:
	s_delay_alu instid0(SALU_CYCLE_1)
	s_and_b32 vcc_lo, exec_lo, s28
	s_cbranch_vccz .LBB191_657
; %bb.654:
	s_cmp_eq_u32 s0, 11
	s_cbranch_scc0 .LBB191_656
; %bb.655:
	s_wait_loadcnt 0x0
	global_load_u8 v1, v[4:5], off
	s_mov_b32 s26, 0
	s_mov_b32 s27, -1
	s_wait_loadcnt 0x0
	v_cmp_ne_u16_e32 vcc_lo, 0, v1
	v_cndmask_b32_e64 v1, 0, 1, vcc_lo
	s_branch .LBB191_657
.LBB191_656:
	s_mov_b32 s26, -1
                                        ; implicit-def: $vgpr1
.LBB191_657:
	s_mov_b32 s28, 0
.LBB191_658:
	s_delay_alu instid0(SALU_CYCLE_1)
	s_and_b32 vcc_lo, exec_lo, s28
	s_cbranch_vccz .LBB191_707
; %bb.659:
	s_cmp_lt_i32 s0, 5
	s_cbranch_scc1 .LBB191_664
; %bb.660:
	s_cmp_lt_i32 s0, 8
	s_cbranch_scc1 .LBB191_665
; %bb.661:
	s_cmp_lt_i32 s0, 9
	s_cbranch_scc1 .LBB191_666
; %bb.662:
	s_cmp_gt_i32 s0, 9
	s_cbranch_scc0 .LBB191_667
; %bb.663:
	global_load_b64 v[6:7], v[4:5], off
	s_mov_b32 s27, 0
	s_wait_loadcnt 0x0
	v_cvt_i32_f64_e32 v1, v[6:7]
	s_branch .LBB191_668
.LBB191_664:
	s_mov_b32 s27, -1
                                        ; implicit-def: $vgpr1
	s_branch .LBB191_686
.LBB191_665:
	s_mov_b32 s27, -1
                                        ; implicit-def: $vgpr1
	s_branch .LBB191_674
.LBB191_666:
	s_mov_b32 s27, -1
                                        ; implicit-def: $vgpr1
	s_branch .LBB191_671
.LBB191_667:
	s_mov_b32 s27, -1
                                        ; implicit-def: $vgpr1
.LBB191_668:
	s_delay_alu instid0(SALU_CYCLE_1)
	s_and_not1_b32 vcc_lo, exec_lo, s27
	s_cbranch_vccnz .LBB191_670
; %bb.669:
	s_wait_loadcnt 0x0
	global_load_b32 v1, v[4:5], off
	s_wait_loadcnt 0x0
	v_cvt_i32_f32_e32 v1, v1
.LBB191_670:
	s_mov_b32 s27, 0
.LBB191_671:
	s_delay_alu instid0(SALU_CYCLE_1)
	s_and_not1_b32 vcc_lo, exec_lo, s27
	s_cbranch_vccnz .LBB191_673
; %bb.672:
	s_wait_loadcnt 0x0
	global_load_b32 v1, v[4:5], off
	s_wait_loadcnt 0x0
	v_cvt_f32_f16_e32 v1, v1
	s_delay_alu instid0(VALU_DEP_1)
	v_cvt_i32_f32_e32 v1, v1
.LBB191_673:
	s_mov_b32 s27, 0
.LBB191_674:
	s_delay_alu instid0(SALU_CYCLE_1)
	s_and_not1_b32 vcc_lo, exec_lo, s27
	s_cbranch_vccnz .LBB191_685
; %bb.675:
	s_cmp_lt_i32 s0, 6
	s_cbranch_scc1 .LBB191_678
; %bb.676:
	s_cmp_gt_i32 s0, 6
	s_cbranch_scc0 .LBB191_679
; %bb.677:
	global_load_b64 v[6:7], v[4:5], off
	s_mov_b32 s27, 0
	s_wait_loadcnt 0x0
	v_cvt_i32_f64_e32 v1, v[6:7]
	s_branch .LBB191_680
.LBB191_678:
	s_mov_b32 s27, -1
                                        ; implicit-def: $vgpr1
	s_branch .LBB191_683
.LBB191_679:
	s_mov_b32 s27, -1
                                        ; implicit-def: $vgpr1
.LBB191_680:
	s_delay_alu instid0(SALU_CYCLE_1)
	s_and_not1_b32 vcc_lo, exec_lo, s27
	s_cbranch_vccnz .LBB191_682
; %bb.681:
	s_wait_loadcnt 0x0
	global_load_b32 v1, v[4:5], off
	s_wait_loadcnt 0x0
	v_cvt_i32_f32_e32 v1, v1
.LBB191_682:
	s_mov_b32 s27, 0
.LBB191_683:
	s_delay_alu instid0(SALU_CYCLE_1)
	s_and_not1_b32 vcc_lo, exec_lo, s27
	s_cbranch_vccnz .LBB191_685
; %bb.684:
	s_wait_loadcnt 0x0
	global_load_u16 v1, v[4:5], off
	s_wait_loadcnt 0x0
	v_cvt_f32_f16_e32 v1, v1
	s_delay_alu instid0(VALU_DEP_1)
	v_cvt_i32_f32_e32 v1, v1
.LBB191_685:
	s_mov_b32 s27, 0
.LBB191_686:
	s_delay_alu instid0(SALU_CYCLE_1)
	s_and_not1_b32 vcc_lo, exec_lo, s27
	s_cbranch_vccnz .LBB191_706
; %bb.687:
	s_cmp_lt_i32 s0, 2
	s_cbranch_scc1 .LBB191_691
; %bb.688:
	s_cmp_lt_i32 s0, 3
	s_cbranch_scc1 .LBB191_692
; %bb.689:
	s_cmp_gt_i32 s0, 3
	s_cbranch_scc0 .LBB191_693
; %bb.690:
	s_wait_loadcnt 0x0
	global_load_b32 v1, v[4:5], off
	s_mov_b32 s27, 0
	s_branch .LBB191_694
.LBB191_691:
	s_mov_b32 s27, -1
                                        ; implicit-def: $vgpr1
	s_branch .LBB191_700
.LBB191_692:
	s_mov_b32 s27, -1
                                        ; implicit-def: $vgpr1
	s_branch .LBB191_697
.LBB191_693:
	s_mov_b32 s27, -1
                                        ; implicit-def: $vgpr1
.LBB191_694:
	s_delay_alu instid0(SALU_CYCLE_1)
	s_and_not1_b32 vcc_lo, exec_lo, s27
	s_cbranch_vccnz .LBB191_696
; %bb.695:
	s_wait_loadcnt 0x0
	global_load_b32 v1, v[4:5], off
.LBB191_696:
	s_mov_b32 s27, 0
.LBB191_697:
	s_delay_alu instid0(SALU_CYCLE_1)
	s_and_not1_b32 vcc_lo, exec_lo, s27
	s_cbranch_vccnz .LBB191_699
; %bb.698:
	s_wait_loadcnt 0x0
	global_load_i16 v1, v[4:5], off
.LBB191_699:
	s_mov_b32 s27, 0
.LBB191_700:
	s_delay_alu instid0(SALU_CYCLE_1)
	s_and_not1_b32 vcc_lo, exec_lo, s27
	s_cbranch_vccnz .LBB191_706
; %bb.701:
	s_cmp_gt_i32 s0, 0
	s_mov_b32 s0, 0
	s_cbranch_scc0 .LBB191_703
; %bb.702:
	s_wait_loadcnt 0x0
	global_load_i8 v1, v[4:5], off
	s_branch .LBB191_704
.LBB191_703:
	s_mov_b32 s0, -1
                                        ; implicit-def: $vgpr1
.LBB191_704:
	s_delay_alu instid0(SALU_CYCLE_1)
	s_and_not1_b32 vcc_lo, exec_lo, s0
	s_cbranch_vccnz .LBB191_706
; %bb.705:
	s_wait_loadcnt 0x0
	global_load_u8 v1, v[4:5], off
.LBB191_706:
	s_mov_b32 s27, -1
.LBB191_707:
	s_delay_alu instid0(SALU_CYCLE_1)
	s_and_not1_b32 vcc_lo, exec_lo, s27
	s_cbranch_vccnz .LBB191_711
; %bb.708:
	s_cmp_lt_i32 s8, 1
	s_mov_b32 s0, 0
	s_cbranch_scc1 .LBB191_712
; %bb.709:
	s_cmp_eq_u32 s8, 1
	s_cbranch_scc0 .LBB191_713
; %bb.710:
	s_wait_loadcnt 0x0
	s_delay_alu instid0(VALU_DEP_1)
	v_min_i32_e32 v4, s9, v1
	s_mov_b32 s27, 0
	s_branch .LBB191_714
.LBB191_711:
	s_mov_b32 s27, 0
	s_mov_b32 s0, s46
	s_branch .LBB191_844
.LBB191_712:
	s_mov_b32 s28, -1
	s_mov_b32 s27, 0
                                        ; implicit-def: $vgpr4
	s_branch .LBB191_715
.LBB191_713:
	s_mov_b32 s27, -1
                                        ; implicit-def: $vgpr4
.LBB191_714:
	s_mov_b32 s28, 0
.LBB191_715:
	s_delay_alu instid0(SALU_CYCLE_1)
	s_and_b32 vcc_lo, exec_lo, s28
	s_cbranch_vccz .LBB191_726
; %bb.716:
	s_cmp_lg_u32 s8, 0
	s_mov_b32 s0, -1
	s_cselect_b32 s27, -1, 0
	s_delay_alu instid0(SALU_CYCLE_1)
	s_and_not1_b32 vcc_lo, exec_lo, s27
	s_cbranch_vccz .LBB191_727
.LBB191_717:
	s_and_not1_b32 vcc_lo, exec_lo, s0
	s_cbranch_vccnz .LBB191_719
.LBB191_718:
	s_wait_loadcnt 0x0
	s_delay_alu instid0(VALU_DEP_1)
	v_max_i32_e32 v4, s9, v1
.LBB191_719:
	v_mov_b32_e32 v3, 0
	s_and_b32 s27, s11, 0xff
	s_delay_alu instid0(SALU_CYCLE_1) | instskip(NEXT) | instid1(VALU_DEP_1)
	s_cmp_lt_i32 s27, 11
	v_add_nc_u64_e32 v[2:3], s[4:5], v[2:3]
	s_cbranch_scc1 .LBB191_728
; %bb.720:
	s_and_b32 s28, 0xffff, s27
	s_delay_alu instid0(SALU_CYCLE_1)
	s_cmp_gt_i32 s28, 25
	s_cbranch_scc0 .LBB191_729
; %bb.721:
	s_cmp_gt_i32 s28, 28
	s_cbranch_scc0 .LBB191_730
; %bb.722:
	;; [unrolled: 3-line block ×4, first 2 shown]
	s_mov_b32 s30, 0
	s_mov_b32 s0, -1
	s_cmp_eq_u32 s28, 46
	s_mov_b32 s29, 0
	s_cbranch_scc0 .LBB191_733
; %bb.725:
	s_wait_loadcnt 0x0
	v_cvt_f32_i32_e32 v1, v4
	s_mov_b32 s29, -1
	s_mov_b32 s0, 0
	s_wait_xcnt 0x0
	s_delay_alu instid0(VALU_DEP_1) | instskip(NEXT) | instid1(VALU_DEP_1)
	v_bfe_u32 v5, v1, 16, 1
	v_add3_u32 v1, v1, v5, 0x7fff
	s_delay_alu instid0(VALU_DEP_1)
	v_lshrrev_b32_e32 v1, 16, v1
	global_store_b32 v[2:3], v1, off
	s_branch .LBB191_733
.LBB191_726:
	s_and_not1_b32 vcc_lo, exec_lo, s27
	s_cbranch_vccnz .LBB191_717
.LBB191_727:
	s_wait_loadcnt 0x0
	s_delay_alu instid0(VALU_DEP_1)
	v_maxmin_i32 v4, v1, s9, s10
	s_cbranch_execz .LBB191_718
	s_branch .LBB191_719
.LBB191_728:
	s_mov_b32 s28, -1
	s_mov_b32 s29, 0
	s_mov_b32 s0, s46
	s_branch .LBB191_802
.LBB191_729:
	s_mov_b32 s30, -1
	s_mov_b32 s29, 0
	s_mov_b32 s0, s46
	s_branch .LBB191_760
.LBB191_730:
	s_mov_b32 s30, -1
	s_mov_b32 s29, 0
	s_mov_b32 s0, s46
	s_branch .LBB191_743
.LBB191_731:
	s_mov_b32 s30, -1
	s_mov_b32 s29, 0
	s_mov_b32 s0, s46
	s_branch .LBB191_739
.LBB191_732:
	s_mov_b32 s30, -1
	s_mov_b32 s29, 0
	s_mov_b32 s0, s46
.LBB191_733:
	s_and_b32 vcc_lo, exec_lo, s30
	s_cbranch_vccz .LBB191_738
; %bb.734:
	s_cmp_eq_u32 s28, 44
	s_mov_b32 s0, -1
	s_cbranch_scc0 .LBB191_738
; %bb.735:
	s_wait_loadcnt 0x0
	v_cvt_f32_i32_e32 v1, v4
	v_mov_b32_e32 v5, 0xff
	s_mov_b32 s29, exec_lo
	s_delay_alu instid0(VALU_DEP_2) | instskip(NEXT) | instid1(VALU_DEP_1)
	v_bfe_u32 v6, v1, 23, 8
	v_cmpx_ne_u32_e32 0xff, v6
	s_cbranch_execz .LBB191_737
; %bb.736:
	v_and_b32_e32 v5, 0x400000, v1
	v_and_or_b32 v6, 0x3fffff, v1, v6
	v_lshrrev_b32_e32 v1, 23, v1
	s_delay_alu instid0(VALU_DEP_3) | instskip(NEXT) | instid1(VALU_DEP_3)
	v_cmp_ne_u32_e32 vcc_lo, 0, v5
	v_cmp_ne_u32_e64 s0, 0, v6
	s_and_b32 s0, vcc_lo, s0
	s_delay_alu instid0(SALU_CYCLE_1) | instskip(NEXT) | instid1(VALU_DEP_1)
	v_cndmask_b32_e64 v5, 0, 1, s0
	v_add_nc_u32_e32 v5, v1, v5
.LBB191_737:
	s_or_b32 exec_lo, exec_lo, s29
	s_mov_b32 s29, -1
	s_mov_b32 s0, 0
	global_store_b8 v[2:3], v5, off
.LBB191_738:
	s_mov_b32 s30, 0
.LBB191_739:
	s_delay_alu instid0(SALU_CYCLE_1)
	s_and_b32 vcc_lo, exec_lo, s30
	s_cbranch_vccz .LBB191_742
; %bb.740:
	s_cmp_eq_u32 s28, 29
	s_mov_b32 s0, -1
	s_cbranch_scc0 .LBB191_742
; %bb.741:
	s_wait_xcnt 0x0
	v_ashrrev_i32_e32 v5, 31, v4
	s_mov_b32 s29, -1
	s_mov_b32 s0, 0
	s_mov_b32 s30, 0
	global_store_b64 v[2:3], v[4:5], off
	s_branch .LBB191_743
.LBB191_742:
	s_mov_b32 s30, 0
.LBB191_743:
	s_delay_alu instid0(SALU_CYCLE_1)
	s_and_b32 vcc_lo, exec_lo, s30
	s_cbranch_vccz .LBB191_759
; %bb.744:
	s_cmp_lt_i32 s28, 27
	s_mov_b32 s29, -1
	s_cbranch_scc1 .LBB191_750
; %bb.745:
	s_cmp_gt_i32 s28, 27
	s_cbranch_scc0 .LBB191_747
; %bb.746:
	s_mov_b32 s29, 0
	global_store_b32 v[2:3], v4, off
.LBB191_747:
	s_and_not1_b32 vcc_lo, exec_lo, s29
	s_cbranch_vccnz .LBB191_749
; %bb.748:
	global_store_b16 v[2:3], v4, off
.LBB191_749:
	s_mov_b32 s29, 0
.LBB191_750:
	s_delay_alu instid0(SALU_CYCLE_1)
	s_and_not1_b32 vcc_lo, exec_lo, s29
	s_cbranch_vccnz .LBB191_758
; %bb.751:
	s_wait_loadcnt 0x0
	v_cvt_f32_i32_e32 v1, v4
	v_mov_b32_e32 v6, 0x80
	s_mov_b32 s29, exec_lo
	s_delay_alu instid0(VALU_DEP_2) | instskip(NEXT) | instid1(VALU_DEP_1)
	v_and_b32_e32 v5, 0x7fffffff, v1
	v_cmpx_gt_u32_e32 0x43800000, v5
	s_cbranch_execz .LBB191_757
; %bb.752:
	v_cmp_lt_u32_e32 vcc_lo, 0x3bffffff, v5
	s_mov_b32 s30, 0
                                        ; implicit-def: $vgpr5
	s_and_saveexec_b32 s31, vcc_lo
	s_delay_alu instid0(SALU_CYCLE_1)
	s_xor_b32 s31, exec_lo, s31
	s_cbranch_execz .LBB191_876
; %bb.753:
	v_bfe_u32 v5, v1, 20, 1
	s_mov_b32 s30, exec_lo
	s_delay_alu instid0(VALU_DEP_1) | instskip(NEXT) | instid1(VALU_DEP_1)
	v_add3_u32 v5, v1, v5, 0x487ffff
	v_lshrrev_b32_e32 v5, 20, v5
	s_and_not1_saveexec_b32 s31, s31
	s_cbranch_execnz .LBB191_877
.LBB191_754:
	s_or_b32 exec_lo, exec_lo, s31
	v_mov_b32_e32 v6, 0
	s_and_saveexec_b32 s31, s30
.LBB191_755:
	v_lshrrev_b32_e32 v1, 24, v1
	s_delay_alu instid0(VALU_DEP_1)
	v_and_or_b32 v6, 0x80, v1, v5
.LBB191_756:
	s_or_b32 exec_lo, exec_lo, s31
.LBB191_757:
	s_delay_alu instid0(SALU_CYCLE_1)
	s_or_b32 exec_lo, exec_lo, s29
	global_store_b8 v[2:3], v6, off
.LBB191_758:
	s_mov_b32 s29, -1
.LBB191_759:
	s_mov_b32 s30, 0
.LBB191_760:
	s_delay_alu instid0(SALU_CYCLE_1)
	s_and_b32 vcc_lo, exec_lo, s30
	s_cbranch_vccz .LBB191_801
; %bb.761:
	s_cmp_gt_i32 s28, 22
	s_mov_b32 s30, -1
	s_cbranch_scc0 .LBB191_793
; %bb.762:
	s_cmp_lt_i32 s28, 24
	s_mov_b32 s29, -1
	s_cbranch_scc1 .LBB191_782
; %bb.763:
	s_cmp_gt_i32 s28, 24
	s_cbranch_scc0 .LBB191_771
; %bb.764:
	s_wait_loadcnt 0x0
	v_cvt_f32_i32_e32 v1, v4
	v_mov_b32_e32 v6, 0x80
	s_mov_b32 s29, exec_lo
	s_delay_alu instid0(VALU_DEP_2) | instskip(NEXT) | instid1(VALU_DEP_1)
	v_and_b32_e32 v5, 0x7fffffff, v1
	v_cmpx_gt_u32_e32 0x47800000, v5
	s_cbranch_execz .LBB191_770
; %bb.765:
	v_cmp_lt_u32_e32 vcc_lo, 0x37ffffff, v5
	s_mov_b32 s30, 0
                                        ; implicit-def: $vgpr5
	s_and_saveexec_b32 s31, vcc_lo
	s_delay_alu instid0(SALU_CYCLE_1)
	s_xor_b32 s31, exec_lo, s31
	s_cbranch_execz .LBB191_879
; %bb.766:
	v_bfe_u32 v5, v1, 21, 1
	s_mov_b32 s30, exec_lo
	s_delay_alu instid0(VALU_DEP_1) | instskip(NEXT) | instid1(VALU_DEP_1)
	v_add3_u32 v5, v1, v5, 0x88fffff
	v_lshrrev_b32_e32 v5, 21, v5
	s_and_not1_saveexec_b32 s31, s31
	s_cbranch_execnz .LBB191_880
.LBB191_767:
	s_or_b32 exec_lo, exec_lo, s31
	v_mov_b32_e32 v6, 0
	s_and_saveexec_b32 s31, s30
.LBB191_768:
	v_lshrrev_b32_e32 v1, 24, v1
	s_delay_alu instid0(VALU_DEP_1)
	v_and_or_b32 v6, 0x80, v1, v5
.LBB191_769:
	s_or_b32 exec_lo, exec_lo, s31
.LBB191_770:
	s_delay_alu instid0(SALU_CYCLE_1)
	s_or_b32 exec_lo, exec_lo, s29
	s_mov_b32 s29, 0
	global_store_b8 v[2:3], v6, off
.LBB191_771:
	s_and_b32 vcc_lo, exec_lo, s29
	s_cbranch_vccz .LBB191_781
; %bb.772:
	s_wait_loadcnt 0x0
	v_cvt_f32_i32_e32 v1, v4
	s_mov_b32 s29, exec_lo
                                        ; implicit-def: $vgpr5
	s_delay_alu instid0(VALU_DEP_1) | instskip(NEXT) | instid1(VALU_DEP_1)
	v_and_b32_e32 v6, 0x7fffffff, v1
	v_cmpx_gt_u32_e32 0x43f00000, v6
	s_xor_b32 s29, exec_lo, s29
	s_cbranch_execz .LBB191_778
; %bb.773:
	s_mov_b32 s30, exec_lo
                                        ; implicit-def: $vgpr5
	v_cmpx_lt_u32_e32 0x3c7fffff, v6
	s_xor_b32 s30, exec_lo, s30
; %bb.774:
	v_bfe_u32 v5, v1, 20, 1
	s_delay_alu instid0(VALU_DEP_1) | instskip(NEXT) | instid1(VALU_DEP_1)
	v_add3_u32 v5, v1, v5, 0x407ffff
	v_and_b32_e32 v6, 0xff00000, v5
	v_lshrrev_b32_e32 v5, 20, v5
	s_delay_alu instid0(VALU_DEP_2) | instskip(NEXT) | instid1(VALU_DEP_2)
	v_cmp_ne_u32_e32 vcc_lo, 0x7f00000, v6
	v_cndmask_b32_e32 v5, 0x7e, v5, vcc_lo
; %bb.775:
	s_and_not1_saveexec_b32 s30, s30
; %bb.776:
	v_add_f32_e64 v5, 0x46800000, |v1|
; %bb.777:
	s_or_b32 exec_lo, exec_lo, s30
                                        ; implicit-def: $vgpr6
.LBB191_778:
	s_and_not1_saveexec_b32 s29, s29
; %bb.779:
	v_mov_b32_e32 v5, 0x7f
	v_cmp_lt_u32_e32 vcc_lo, 0x7f800000, v6
	s_delay_alu instid0(VALU_DEP_2)
	v_cndmask_b32_e32 v5, 0x7e, v5, vcc_lo
; %bb.780:
	s_or_b32 exec_lo, exec_lo, s29
	v_lshrrev_b32_e32 v1, 24, v1
	s_delay_alu instid0(VALU_DEP_1)
	v_and_or_b32 v1, 0x80, v1, v5
	global_store_b8 v[2:3], v1, off
.LBB191_781:
	s_mov_b32 s29, 0
.LBB191_782:
	s_delay_alu instid0(SALU_CYCLE_1)
	s_and_not1_b32 vcc_lo, exec_lo, s29
	s_cbranch_vccnz .LBB191_792
; %bb.783:
	s_wait_loadcnt 0x0
	v_cvt_f32_i32_e32 v1, v4
	s_mov_b32 s29, exec_lo
                                        ; implicit-def: $vgpr5
	s_delay_alu instid0(VALU_DEP_1) | instskip(NEXT) | instid1(VALU_DEP_1)
	v_and_b32_e32 v6, 0x7fffffff, v1
	v_cmpx_gt_u32_e32 0x47800000, v6
	s_xor_b32 s29, exec_lo, s29
	s_cbranch_execz .LBB191_789
; %bb.784:
	s_mov_b32 s30, exec_lo
                                        ; implicit-def: $vgpr5
	v_cmpx_lt_u32_e32 0x387fffff, v6
	s_xor_b32 s30, exec_lo, s30
; %bb.785:
	v_bfe_u32 v5, v1, 21, 1
	s_delay_alu instid0(VALU_DEP_1) | instskip(NEXT) | instid1(VALU_DEP_1)
	v_add3_u32 v5, v1, v5, 0x80fffff
	v_lshrrev_b32_e32 v5, 21, v5
; %bb.786:
	s_and_not1_saveexec_b32 s30, s30
; %bb.787:
	v_add_f32_e64 v5, 0x43000000, |v1|
; %bb.788:
	s_or_b32 exec_lo, exec_lo, s30
                                        ; implicit-def: $vgpr6
.LBB191_789:
	s_and_not1_saveexec_b32 s29, s29
; %bb.790:
	v_mov_b32_e32 v5, 0x7f
	v_cmp_lt_u32_e32 vcc_lo, 0x7f800000, v6
	s_delay_alu instid0(VALU_DEP_2)
	v_cndmask_b32_e32 v5, 0x7c, v5, vcc_lo
; %bb.791:
	s_or_b32 exec_lo, exec_lo, s29
	v_lshrrev_b32_e32 v1, 24, v1
	s_delay_alu instid0(VALU_DEP_1)
	v_and_or_b32 v1, 0x80, v1, v5
	global_store_b8 v[2:3], v1, off
.LBB191_792:
	s_mov_b32 s30, 0
	s_mov_b32 s29, -1
.LBB191_793:
	s_and_not1_b32 vcc_lo, exec_lo, s30
	s_cbranch_vccnz .LBB191_801
; %bb.794:
	s_cmp_gt_i32 s28, 14
	s_mov_b32 s30, -1
	s_cbranch_scc0 .LBB191_798
; %bb.795:
	s_cmp_eq_u32 s28, 15
	s_mov_b32 s0, -1
	s_cbranch_scc0 .LBB191_797
; %bb.796:
	s_wait_loadcnt 0x0
	v_cvt_f32_i32_e32 v1, v4
	s_mov_b32 s29, -1
	s_mov_b32 s0, 0
	s_delay_alu instid0(VALU_DEP_1) | instskip(NEXT) | instid1(VALU_DEP_1)
	v_bfe_u32 v5, v1, 16, 1
	v_add3_u32 v1, v1, v5, 0x7fff
	global_store_d16_hi_b16 v[2:3], v1, off
.LBB191_797:
	s_mov_b32 s30, 0
.LBB191_798:
	s_delay_alu instid0(SALU_CYCLE_1)
	s_and_b32 vcc_lo, exec_lo, s30
	s_cbranch_vccz .LBB191_801
; %bb.799:
	s_cmp_eq_u32 s28, 11
	s_mov_b32 s0, -1
	s_cbranch_scc0 .LBB191_801
; %bb.800:
	v_cmp_ne_u32_e32 vcc_lo, 0, v4
	s_mov_b32 s0, 0
	s_mov_b32 s29, -1
	s_wait_loadcnt 0x0
	v_cndmask_b32_e64 v1, 0, 1, vcc_lo
	global_store_b8 v[2:3], v1, off
.LBB191_801:
	s_mov_b32 s28, 0
.LBB191_802:
	s_delay_alu instid0(SALU_CYCLE_1)
	s_and_b32 vcc_lo, exec_lo, s28
	s_cbranch_vccz .LBB191_841
; %bb.803:
	s_and_b32 s27, 0xffff, s27
	s_mov_b32 s28, -1
	s_cmp_lt_i32 s27, 5
	s_cbranch_scc1 .LBB191_824
; %bb.804:
	s_cmp_lt_i32 s27, 8
	s_cbranch_scc1 .LBB191_814
; %bb.805:
	;; [unrolled: 3-line block ×3, first 2 shown]
	s_cmp_gt_i32 s27, 9
	s_cbranch_scc0 .LBB191_808
; %bb.807:
	s_wait_xcnt 0x0
	v_cvt_f64_i32_e32 v[6:7], v4
	v_mov_b32_e32 v8, 0
	s_mov_b32 s28, 0
	s_delay_alu instid0(VALU_DEP_1)
	v_mov_b32_e32 v9, v8
	global_store_b128 v[2:3], v[6:9], off
.LBB191_808:
	s_and_not1_b32 vcc_lo, exec_lo, s28
	s_cbranch_vccnz .LBB191_810
; %bb.809:
	s_wait_xcnt 0x0
	v_cvt_f32_i32_e32 v6, v4
	v_mov_b32_e32 v7, 0
	global_store_b64 v[2:3], v[6:7], off
.LBB191_810:
	s_mov_b32 s28, 0
.LBB191_811:
	s_delay_alu instid0(SALU_CYCLE_1)
	s_and_not1_b32 vcc_lo, exec_lo, s28
	s_cbranch_vccnz .LBB191_813
; %bb.812:
	s_wait_loadcnt 0x0
	v_cvt_f32_i32_e32 v1, v4
	s_delay_alu instid0(VALU_DEP_1) | instskip(NEXT) | instid1(VALU_DEP_1)
	v_cvt_f16_f32_e32 v1, v1
	v_and_b32_e32 v1, 0xffff, v1
	global_store_b32 v[2:3], v1, off
.LBB191_813:
	s_mov_b32 s28, 0
.LBB191_814:
	s_delay_alu instid0(SALU_CYCLE_1)
	s_and_not1_b32 vcc_lo, exec_lo, s28
	s_cbranch_vccnz .LBB191_823
; %bb.815:
	s_cmp_lt_i32 s27, 6
	s_mov_b32 s28, -1
	s_cbranch_scc1 .LBB191_821
; %bb.816:
	s_cmp_gt_i32 s27, 6
	s_cbranch_scc0 .LBB191_818
; %bb.817:
	s_wait_xcnt 0x0
	v_cvt_f64_i32_e32 v[6:7], v4
	s_mov_b32 s28, 0
	global_store_b64 v[2:3], v[6:7], off
.LBB191_818:
	s_and_not1_b32 vcc_lo, exec_lo, s28
	s_cbranch_vccnz .LBB191_820
; %bb.819:
	s_wait_loadcnt 0x0
	v_cvt_f32_i32_e32 v1, v4
	global_store_b32 v[2:3], v1, off
.LBB191_820:
	s_mov_b32 s28, 0
.LBB191_821:
	s_delay_alu instid0(SALU_CYCLE_1)
	s_and_not1_b32 vcc_lo, exec_lo, s28
	s_cbranch_vccnz .LBB191_823
; %bb.822:
	s_wait_loadcnt 0x0
	v_cvt_f32_i32_e32 v1, v4
	s_delay_alu instid0(VALU_DEP_1)
	v_cvt_f16_f32_e32 v1, v1
	global_store_b16 v[2:3], v1, off
.LBB191_823:
	s_mov_b32 s28, 0
.LBB191_824:
	s_delay_alu instid0(SALU_CYCLE_1)
	s_and_not1_b32 vcc_lo, exec_lo, s28
	s_cbranch_vccnz .LBB191_840
; %bb.825:
	s_cmp_lt_i32 s27, 2
	s_mov_b32 s28, -1
	s_cbranch_scc1 .LBB191_835
; %bb.826:
	s_cmp_lt_i32 s27, 3
	s_cbranch_scc1 .LBB191_832
; %bb.827:
	s_cmp_gt_i32 s27, 3
	s_cbranch_scc0 .LBB191_829
; %bb.828:
	s_wait_xcnt 0x0
	v_ashrrev_i32_e32 v5, 31, v4
	s_mov_b32 s28, 0
	global_store_b64 v[2:3], v[4:5], off
.LBB191_829:
	s_and_not1_b32 vcc_lo, exec_lo, s28
	s_cbranch_vccnz .LBB191_831
; %bb.830:
	global_store_b32 v[2:3], v4, off
.LBB191_831:
	s_mov_b32 s28, 0
.LBB191_832:
	s_delay_alu instid0(SALU_CYCLE_1)
	s_and_not1_b32 vcc_lo, exec_lo, s28
	s_cbranch_vccnz .LBB191_834
; %bb.833:
	global_store_b16 v[2:3], v4, off
.LBB191_834:
	s_mov_b32 s28, 0
.LBB191_835:
	s_delay_alu instid0(SALU_CYCLE_1)
	s_and_not1_b32 vcc_lo, exec_lo, s28
	s_cbranch_vccnz .LBB191_840
; %bb.836:
	s_cmp_gt_i32 s27, 0
	s_mov_b32 s27, -1
	s_cbranch_scc0 .LBB191_838
; %bb.837:
	s_mov_b32 s27, 0
	global_store_b8 v[2:3], v4, off
.LBB191_838:
	s_and_not1_b32 vcc_lo, exec_lo, s27
	s_cbranch_vccnz .LBB191_840
; %bb.839:
	global_store_b8 v[2:3], v4, off
.LBB191_840:
	s_mov_b32 s29, -1
.LBB191_841:
	s_delay_alu instid0(SALU_CYCLE_1)
	s_and_not1_b32 vcc_lo, exec_lo, s29
	s_cbranch_vccnz .LBB191_843
; %bb.842:
	v_add_nc_u32_e32 v0, 0x80, v0
	s_mov_b32 s27, -1
	s_branch .LBB191_845
.LBB191_843:
	s_mov_b32 s27, 0
.LBB191_844:
                                        ; implicit-def: $vgpr0
.LBB191_845:
	s_and_not1_b32 s28, s46, exec_lo
	s_and_b32 s0, s0, exec_lo
	s_and_not1_b32 s29, s45, exec_lo
	s_and_b32 s26, s26, exec_lo
	s_or_b32 s30, s28, s0
	s_or_b32 s0, s29, s26
	s_or_not1_b32 s29, s27, exec_lo
.LBB191_846:
	s_wait_xcnt 0x0
	s_or_b32 exec_lo, exec_lo, s48
	s_mov_b32 s27, 0
	s_mov_b32 s26, 0
	;; [unrolled: 1-line block ×3, first 2 shown]
                                        ; implicit-def: $vgpr4_vgpr5
                                        ; implicit-def: $vgpr2
                                        ; implicit-def: $vgpr1
	s_and_saveexec_b32 s31, s29
	s_cbranch_execz .LBB191_944
; %bb.847:
	v_cmp_gt_i32_e32 vcc_lo, s39, v0
	s_mov_b32 s29, s0
                                        ; implicit-def: $vgpr4_vgpr5
                                        ; implicit-def: $vgpr2
                                        ; implicit-def: $vgpr1
	s_and_saveexec_b32 s39, vcc_lo
	s_cbranch_execz .LBB191_943
; %bb.848:
	s_and_not1_b32 vcc_lo, exec_lo, s36
	s_cbranch_vccnz .LBB191_854
; %bb.849:
	s_and_not1_b32 vcc_lo, exec_lo, s41
	s_cbranch_vccnz .LBB191_855
; %bb.850:
	s_add_co_i32 s40, s40, 1
	s_cmp_eq_u32 s34, 2
	s_cbranch_scc1 .LBB191_856
; %bb.851:
	v_dual_mov_b32 v2, 0 :: v_dual_mov_b32 v4, 0
	s_wait_loadcnt 0x0
	v_mov_b32_e32 v1, v0
	s_and_b32 s26, s40, 28
	s_mov_b64 s[28:29], s[2:3]
.LBB191_852:                            ; =>This Inner Loop Header: Depth=1
	s_clause 0x1
	s_load_b256 s[48:55], s[28:29], 0x4
	s_load_b128 s[64:67], s[28:29], 0x24
	s_load_b256 s[56:63], s[24:25], 0x0
	s_add_co_i32 s27, s27, 4
	s_wait_xcnt 0x0
	s_add_nc_u64 s[28:29], s[28:29], 48
	s_cmp_eq_u32 s26, s27
	s_add_nc_u64 s[24:25], s[24:25], 32
	s_wait_kmcnt 0x0
	v_mul_hi_u32 v3, s49, v1
	s_delay_alu instid0(VALU_DEP_1) | instskip(NEXT) | instid1(VALU_DEP_1)
	v_add_nc_u32_e32 v3, v1, v3
	v_lshrrev_b32_e32 v3, s50, v3
	s_delay_alu instid0(VALU_DEP_1) | instskip(NEXT) | instid1(VALU_DEP_1)
	v_mul_hi_u32 v5, s52, v3
	v_add_nc_u32_e32 v5, v3, v5
	s_delay_alu instid0(VALU_DEP_1) | instskip(NEXT) | instid1(VALU_DEP_1)
	v_lshrrev_b32_e32 v5, s53, v5
	v_mul_hi_u32 v6, s55, v5
	s_delay_alu instid0(VALU_DEP_1) | instskip(SKIP_1) | instid1(VALU_DEP_1)
	v_add_nc_u32_e32 v6, v5, v6
	v_mul_lo_u32 v7, v3, s48
	v_sub_nc_u32_e32 v1, v1, v7
	v_mul_lo_u32 v7, v5, s51
	s_delay_alu instid0(VALU_DEP_4) | instskip(NEXT) | instid1(VALU_DEP_3)
	v_lshrrev_b32_e32 v6, s64, v6
	v_mad_u32 v4, v1, s57, v4
	v_mad_u32 v1, v1, s56, v2
	s_delay_alu instid0(VALU_DEP_4) | instskip(NEXT) | instid1(VALU_DEP_4)
	v_sub_nc_u32_e32 v2, v3, v7
	v_mul_hi_u32 v8, s66, v6
	v_mul_lo_u32 v3, v6, s54
	s_delay_alu instid0(VALU_DEP_3) | instskip(SKIP_1) | instid1(VALU_DEP_3)
	v_mad_u32 v4, v2, s59, v4
	v_mad_u32 v2, v2, s58, v1
	v_dual_add_nc_u32 v7, v6, v8 :: v_dual_sub_nc_u32 v3, v5, v3
	s_delay_alu instid0(VALU_DEP_1) | instskip(NEXT) | instid1(VALU_DEP_2)
	v_lshrrev_b32_e32 v1, s67, v7
	v_mad_u32 v4, v3, s61, v4
	s_delay_alu instid0(VALU_DEP_4) | instskip(NEXT) | instid1(VALU_DEP_3)
	v_mad_u32 v2, v3, s60, v2
	v_mul_lo_u32 v5, v1, s65
	s_delay_alu instid0(VALU_DEP_1) | instskip(NEXT) | instid1(VALU_DEP_1)
	v_sub_nc_u32_e32 v3, v6, v5
	v_mad_u32 v4, v3, s63, v4
	s_delay_alu instid0(VALU_DEP_4)
	v_mad_u32 v2, v3, s62, v2
	s_cbranch_scc0 .LBB191_852
; %bb.853:
	s_delay_alu instid0(VALU_DEP_2)
	v_mov_b32_e32 v3, v4
	s_branch .LBB191_857
.LBB191_854:
	s_mov_b32 s24, -1
                                        ; implicit-def: $vgpr4
                                        ; implicit-def: $vgpr2
	s_branch .LBB191_862
.LBB191_855:
	v_dual_mov_b32 v4, 0 :: v_dual_mov_b32 v2, 0
	s_branch .LBB191_861
.LBB191_856:
	v_mov_b64_e32 v[2:3], 0
	s_wait_loadcnt 0x0
	v_mov_b32_e32 v1, v0
                                        ; implicit-def: $vgpr4
.LBB191_857:
	s_and_b32 s28, s40, 3
	s_mov_b32 s27, 0
	s_cmp_eq_u32 s28, 0
	s_cbranch_scc1 .LBB191_861
; %bb.858:
	s_lshl_b32 s24, s26, 3
	s_mov_b32 s25, s27
	s_mul_u64 s[26:27], s[26:27], 12
	s_add_nc_u64 s[24:25], s[2:3], s[24:25]
	s_add_nc_u64 s[26:27], s[2:3], s[26:27]
	;; [unrolled: 1-line block ×3, first 2 shown]
.LBB191_859:                            ; =>This Inner Loop Header: Depth=1
	s_load_b96 s[48:50], s[26:27], 0x4
	s_load_b64 s[40:41], s[24:25], 0x0
	s_add_co_i32 s28, s28, -1
	s_wait_xcnt 0x0
	s_add_nc_u64 s[26:27], s[26:27], 12
	s_cmp_lg_u32 s28, 0
	s_add_nc_u64 s[24:25], s[24:25], 8
	s_wait_kmcnt 0x0
	v_mul_hi_u32 v4, s49, v1
	s_delay_alu instid0(VALU_DEP_1) | instskip(NEXT) | instid1(VALU_DEP_1)
	v_add_nc_u32_e32 v4, v1, v4
	v_lshrrev_b32_e32 v4, s50, v4
	s_delay_alu instid0(VALU_DEP_1) | instskip(NEXT) | instid1(VALU_DEP_1)
	v_mul_lo_u32 v5, v4, s48
	v_sub_nc_u32_e32 v1, v1, v5
	s_delay_alu instid0(VALU_DEP_1)
	v_mad_u32 v3, v1, s41, v3
	v_mad_u32 v2, v1, s40, v2
	v_mov_b32_e32 v1, v4
	s_cbranch_scc1 .LBB191_859
; %bb.860:
	s_delay_alu instid0(VALU_DEP_3)
	v_mov_b32_e32 v4, v3
.LBB191_861:
	s_mov_b32 s24, 0
.LBB191_862:
	s_delay_alu instid0(SALU_CYCLE_1)
	s_and_not1_b32 vcc_lo, exec_lo, s24
	s_cbranch_vccnz .LBB191_865
; %bb.863:
	s_wait_loadcnt 0x0
	v_mov_b32_e32 v1, 0
	s_and_not1_b32 vcc_lo, exec_lo, s38
	s_delay_alu instid0(VALU_DEP_1) | instskip(NEXT) | instid1(VALU_DEP_1)
	v_mul_u64_e32 v[2:3], s[20:21], v[0:1]
	v_add_nc_u32_e32 v2, v0, v3
	s_delay_alu instid0(VALU_DEP_1) | instskip(NEXT) | instid1(VALU_DEP_1)
	v_lshrrev_b32_e32 v6, s14, v2
	v_mul_lo_u32 v2, v6, s12
	s_delay_alu instid0(VALU_DEP_1) | instskip(NEXT) | instid1(VALU_DEP_1)
	v_sub_nc_u32_e32 v0, v0, v2
	v_mul_lo_u32 v4, v0, s17
	v_mul_lo_u32 v2, v0, s16
	s_cbranch_vccnz .LBB191_865
; %bb.864:
	v_mov_b32_e32 v7, v1
	s_delay_alu instid0(VALU_DEP_1) | instskip(NEXT) | instid1(VALU_DEP_1)
	v_mul_u64_e32 v[0:1], s[22:23], v[6:7]
	v_add_nc_u32_e32 v0, v6, v1
	s_delay_alu instid0(VALU_DEP_1) | instskip(NEXT) | instid1(VALU_DEP_1)
	v_lshrrev_b32_e32 v0, s1, v0
	v_mul_lo_u32 v0, v0, s15
	s_delay_alu instid0(VALU_DEP_1) | instskip(NEXT) | instid1(VALU_DEP_1)
	v_sub_nc_u32_e32 v0, v6, v0
	v_mad_u32 v2, v0, s18, v2
	v_mad_u32 v4, v0, s19, v4
.LBB191_865:
	v_mov_b32_e32 v5, 0
	s_and_b32 s1, 0xffff, s13
	s_delay_alu instid0(SALU_CYCLE_1) | instskip(NEXT) | instid1(VALU_DEP_1)
	s_cmp_lt_i32 s1, 11
	v_add_nc_u64_e32 v[4:5], s[6:7], v[4:5]
	s_cbranch_scc1 .LBB191_872
; %bb.866:
	s_cmp_gt_i32 s1, 25
	s_mov_b32 s7, 0
	s_cbranch_scc0 .LBB191_873
; %bb.867:
	s_cmp_gt_i32 s1, 28
	s_cbranch_scc0 .LBB191_874
; %bb.868:
	s_cmp_gt_i32 s1, 43
	;; [unrolled: 3-line block ×3, first 2 shown]
	s_cbranch_scc0 .LBB191_878
; %bb.870:
	s_cmp_eq_u32 s1, 46
	s_mov_b32 s14, 0
	s_cbranch_scc0 .LBB191_881
; %bb.871:
	global_load_b32 v0, v[4:5], off
	s_mov_b32 s6, 0
	s_mov_b32 s12, -1
	s_wait_loadcnt 0x0
	v_lshlrev_b32_e32 v0, 16, v0
	s_delay_alu instid0(VALU_DEP_1)
	v_cvt_i32_f32_e32 v1, v0
	s_branch .LBB191_883
.LBB191_872:
	s_mov_b32 s1, -1
	s_mov_b32 s12, 0
	s_mov_b32 s7, 0
	;; [unrolled: 1-line block ×3, first 2 shown]
                                        ; implicit-def: $vgpr1
	s_branch .LBB191_942
.LBB191_873:
	s_mov_b32 s14, -1
	s_mov_b32 s12, 0
	s_mov_b32 s6, s0
                                        ; implicit-def: $vgpr1
	s_branch .LBB191_910
.LBB191_874:
	s_mov_b32 s14, -1
	s_mov_b32 s12, 0
	s_mov_b32 s6, s0
                                        ; implicit-def: $vgpr1
	s_branch .LBB191_893
.LBB191_875:
	s_mov_b32 s14, -1
	s_mov_b32 s12, 0
	s_mov_b32 s6, s0
                                        ; implicit-def: $vgpr1
	s_branch .LBB191_888
.LBB191_876:
	s_and_not1_saveexec_b32 s31, s31
	s_cbranch_execz .LBB191_754
.LBB191_877:
	v_add_f32_e64 v5, 0x46000000, |v1|
	s_and_not1_b32 s30, s30, exec_lo
	s_delay_alu instid0(VALU_DEP_1) | instskip(NEXT) | instid1(VALU_DEP_1)
	v_and_b32_e32 v5, 0xff, v5
	v_cmp_ne_u32_e32 vcc_lo, 0, v5
	s_and_b32 s49, vcc_lo, exec_lo
	s_delay_alu instid0(SALU_CYCLE_1)
	s_or_b32 s30, s30, s49
	s_or_b32 exec_lo, exec_lo, s31
	v_mov_b32_e32 v6, 0
	s_and_saveexec_b32 s31, s30
	s_cbranch_execnz .LBB191_755
	s_branch .LBB191_756
.LBB191_878:
	s_mov_b32 s14, -1
	s_mov_b32 s12, 0
	s_mov_b32 s6, s0
	s_branch .LBB191_882
.LBB191_879:
	s_and_not1_saveexec_b32 s31, s31
	s_cbranch_execz .LBB191_767
.LBB191_880:
	v_add_f32_e64 v5, 0x42800000, |v1|
	s_and_not1_b32 s30, s30, exec_lo
	s_delay_alu instid0(VALU_DEP_1) | instskip(NEXT) | instid1(VALU_DEP_1)
	v_and_b32_e32 v5, 0xff, v5
	v_cmp_ne_u32_e32 vcc_lo, 0, v5
	s_and_b32 s49, vcc_lo, exec_lo
	s_delay_alu instid0(SALU_CYCLE_1)
	s_or_b32 s30, s30, s49
	s_or_b32 exec_lo, exec_lo, s31
	v_mov_b32_e32 v6, 0
	s_and_saveexec_b32 s31, s30
	s_cbranch_execnz .LBB191_768
	s_branch .LBB191_769
.LBB191_881:
	s_mov_b32 s6, -1
	s_mov_b32 s12, 0
.LBB191_882:
                                        ; implicit-def: $vgpr1
.LBB191_883:
	s_and_b32 vcc_lo, exec_lo, s14
	s_cbranch_vccz .LBB191_887
; %bb.884:
	s_cmp_eq_u32 s1, 44
	s_cbranch_scc0 .LBB191_886
; %bb.885:
	global_load_u8 v0, v[4:5], off
	s_mov_b32 s6, 0
	s_mov_b32 s12, -1
	s_wait_loadcnt 0x0
	v_lshlrev_b32_e32 v1, 23, v0
	v_cmp_ne_u32_e32 vcc_lo, 0, v0
	s_delay_alu instid0(VALU_DEP_2) | instskip(NEXT) | instid1(VALU_DEP_1)
	v_cvt_i32_f32_e32 v1, v1
	v_cndmask_b32_e32 v1, 0, v1, vcc_lo
	s_branch .LBB191_887
.LBB191_886:
	s_mov_b32 s6, -1
                                        ; implicit-def: $vgpr1
.LBB191_887:
	s_mov_b32 s14, 0
.LBB191_888:
	s_delay_alu instid0(SALU_CYCLE_1)
	s_and_b32 vcc_lo, exec_lo, s14
	s_cbranch_vccz .LBB191_892
; %bb.889:
	s_cmp_eq_u32 s1, 29
	s_cbranch_scc0 .LBB191_891
; %bb.890:
	s_wait_loadcnt 0x0
	global_load_b32 v1, v[4:5], off
	s_mov_b32 s6, 0
	s_mov_b32 s12, -1
	s_branch .LBB191_892
.LBB191_891:
	s_mov_b32 s6, -1
                                        ; implicit-def: $vgpr1
.LBB191_892:
	s_mov_b32 s14, 0
.LBB191_893:
	s_delay_alu instid0(SALU_CYCLE_1)
	s_and_b32 vcc_lo, exec_lo, s14
	s_cbranch_vccz .LBB191_909
; %bb.894:
	s_cmp_lt_i32 s1, 27
	s_cbranch_scc1 .LBB191_897
; %bb.895:
	s_cmp_gt_i32 s1, 27
	s_cbranch_scc0 .LBB191_898
; %bb.896:
	s_wait_loadcnt 0x0
	global_load_b32 v1, v[4:5], off
	s_mov_b32 s12, 0
	s_branch .LBB191_899
.LBB191_897:
	s_mov_b32 s12, -1
                                        ; implicit-def: $vgpr1
	s_branch .LBB191_902
.LBB191_898:
	s_mov_b32 s12, -1
                                        ; implicit-def: $vgpr1
.LBB191_899:
	s_delay_alu instid0(SALU_CYCLE_1)
	s_and_not1_b32 vcc_lo, exec_lo, s12
	s_cbranch_vccnz .LBB191_901
; %bb.900:
	s_wait_loadcnt 0x0
	global_load_u16 v1, v[4:5], off
.LBB191_901:
	s_mov_b32 s12, 0
.LBB191_902:
	s_delay_alu instid0(SALU_CYCLE_1)
	s_and_not1_b32 vcc_lo, exec_lo, s12
	s_cbranch_vccnz .LBB191_908
; %bb.903:
	global_load_u8 v0, v[4:5], off
	s_mov_b32 s14, 0
	s_mov_b32 s12, exec_lo
	s_wait_loadcnt 0x0
	v_cmpx_lt_i16_e32 0x7f, v0
	s_xor_b32 s12, exec_lo, s12
	s_cbranch_execz .LBB191_920
; %bb.904:
	v_cmp_ne_u16_e32 vcc_lo, 0x80, v0
	s_and_b32 s14, vcc_lo, exec_lo
	s_and_not1_saveexec_b32 s12, s12
	s_cbranch_execnz .LBB191_921
.LBB191_905:
	s_or_b32 exec_lo, exec_lo, s12
	v_mov_b32_e32 v1, 0
	s_and_saveexec_b32 s12, s14
	s_cbranch_execz .LBB191_907
.LBB191_906:
	v_and_b32_e32 v1, 0xffff, v0
	s_delay_alu instid0(VALU_DEP_1) | instskip(SKIP_1) | instid1(VALU_DEP_2)
	v_and_b32_e32 v3, 7, v1
	v_bfe_u32 v8, v1, 3, 4
	v_clz_i32_u32_e32 v6, v3
	s_delay_alu instid0(VALU_DEP_2) | instskip(NEXT) | instid1(VALU_DEP_2)
	v_cmp_eq_u32_e32 vcc_lo, 0, v8
	v_min_u32_e32 v6, 32, v6
	s_delay_alu instid0(VALU_DEP_1) | instskip(NEXT) | instid1(VALU_DEP_1)
	v_subrev_nc_u32_e32 v7, 28, v6
	v_dual_lshlrev_b32 v1, v7, v1 :: v_dual_sub_nc_u32 v6, 29, v6
	s_delay_alu instid0(VALU_DEP_1) | instskip(NEXT) | instid1(VALU_DEP_1)
	v_dual_lshlrev_b32 v0, 24, v0 :: v_dual_bitop2_b32 v1, 7, v1 bitop3:0x40
	v_dual_cndmask_b32 v6, v8, v6 :: v_dual_cndmask_b32 v1, v3, v1
	s_delay_alu instid0(VALU_DEP_2) | instskip(NEXT) | instid1(VALU_DEP_2)
	v_and_b32_e32 v0, 0x80000000, v0
	v_lshl_add_u32 v3, v6, 23, 0x3b800000
	s_delay_alu instid0(VALU_DEP_3) | instskip(NEXT) | instid1(VALU_DEP_1)
	v_lshlrev_b32_e32 v1, 20, v1
	v_or3_b32 v0, v0, v3, v1
	s_delay_alu instid0(VALU_DEP_1)
	v_cvt_i32_f32_e32 v1, v0
.LBB191_907:
	s_or_b32 exec_lo, exec_lo, s12
.LBB191_908:
	s_mov_b32 s12, -1
.LBB191_909:
	s_mov_b32 s14, 0
.LBB191_910:
	s_delay_alu instid0(SALU_CYCLE_1)
	s_and_b32 vcc_lo, exec_lo, s14
	s_cbranch_vccz .LBB191_941
; %bb.911:
	s_cmp_gt_i32 s1, 22
	s_cbranch_scc0 .LBB191_919
; %bb.912:
	s_cmp_lt_i32 s1, 24
	s_cbranch_scc1 .LBB191_922
; %bb.913:
	s_cmp_gt_i32 s1, 24
	s_cbranch_scc0 .LBB191_923
; %bb.914:
	global_load_u8 v0, v[4:5], off
	s_mov_b32 s12, 0
	s_mov_b32 s7, exec_lo
	s_wait_loadcnt 0x0
	v_cmpx_lt_i16_e32 0x7f, v0
	s_xor_b32 s7, exec_lo, s7
	s_cbranch_execz .LBB191_935
; %bb.915:
	v_cmp_ne_u16_e32 vcc_lo, 0x80, v0
	s_and_b32 s12, vcc_lo, exec_lo
	s_and_not1_saveexec_b32 s7, s7
	s_cbranch_execnz .LBB191_936
.LBB191_916:
	s_or_b32 exec_lo, exec_lo, s7
	v_mov_b32_e32 v1, 0
	s_and_saveexec_b32 s7, s12
	s_cbranch_execz .LBB191_918
.LBB191_917:
	v_and_b32_e32 v1, 0xffff, v0
	s_delay_alu instid0(VALU_DEP_1) | instskip(SKIP_1) | instid1(VALU_DEP_2)
	v_and_b32_e32 v3, 3, v1
	v_bfe_u32 v8, v1, 2, 5
	v_clz_i32_u32_e32 v6, v3
	s_delay_alu instid0(VALU_DEP_2) | instskip(NEXT) | instid1(VALU_DEP_2)
	v_cmp_eq_u32_e32 vcc_lo, 0, v8
	v_min_u32_e32 v6, 32, v6
	s_delay_alu instid0(VALU_DEP_1) | instskip(NEXT) | instid1(VALU_DEP_1)
	v_subrev_nc_u32_e32 v7, 29, v6
	v_dual_lshlrev_b32 v1, v7, v1 :: v_dual_sub_nc_u32 v6, 30, v6
	s_delay_alu instid0(VALU_DEP_1) | instskip(NEXT) | instid1(VALU_DEP_1)
	v_dual_lshlrev_b32 v0, 24, v0 :: v_dual_bitop2_b32 v1, 3, v1 bitop3:0x40
	v_dual_cndmask_b32 v6, v8, v6 :: v_dual_cndmask_b32 v1, v3, v1
	s_delay_alu instid0(VALU_DEP_2) | instskip(NEXT) | instid1(VALU_DEP_2)
	v_and_b32_e32 v0, 0x80000000, v0
	v_lshl_add_u32 v3, v6, 23, 0x37800000
	s_delay_alu instid0(VALU_DEP_3) | instskip(NEXT) | instid1(VALU_DEP_1)
	v_lshlrev_b32_e32 v1, 21, v1
	v_or3_b32 v0, v0, v3, v1
	s_delay_alu instid0(VALU_DEP_1)
	v_cvt_i32_f32_e32 v1, v0
.LBB191_918:
	s_or_b32 exec_lo, exec_lo, s7
	s_mov_b32 s7, 0
	s_branch .LBB191_924
.LBB191_919:
	s_mov_b32 s7, -1
                                        ; implicit-def: $vgpr1
	s_branch .LBB191_930
.LBB191_920:
	s_and_not1_saveexec_b32 s12, s12
	s_cbranch_execz .LBB191_905
.LBB191_921:
	v_cmp_ne_u16_e32 vcc_lo, 0, v0
	s_and_not1_b32 s14, s14, exec_lo
	s_and_b32 s15, vcc_lo, exec_lo
	s_delay_alu instid0(SALU_CYCLE_1)
	s_or_b32 s14, s14, s15
	s_or_b32 exec_lo, exec_lo, s12
	v_mov_b32_e32 v1, 0
	s_and_saveexec_b32 s12, s14
	s_cbranch_execnz .LBB191_906
	s_branch .LBB191_907
.LBB191_922:
	s_mov_b32 s7, -1
                                        ; implicit-def: $vgpr1
	s_branch .LBB191_927
.LBB191_923:
	s_mov_b32 s7, -1
                                        ; implicit-def: $vgpr1
.LBB191_924:
	s_delay_alu instid0(SALU_CYCLE_1)
	s_and_b32 vcc_lo, exec_lo, s7
	s_cbranch_vccz .LBB191_926
; %bb.925:
	global_load_u8 v0, v[4:5], off
	s_wait_loadcnt 0x0
	v_lshlrev_b32_e32 v0, 24, v0
	s_delay_alu instid0(VALU_DEP_1) | instskip(NEXT) | instid1(VALU_DEP_1)
	v_and_b32_e32 v1, 0x7f000000, v0
	v_clz_i32_u32_e32 v3, v1
	v_add_nc_u32_e32 v7, 0x1000000, v1
	v_cmp_ne_u32_e32 vcc_lo, 0, v1
	s_delay_alu instid0(VALU_DEP_3) | instskip(NEXT) | instid1(VALU_DEP_1)
	v_min_u32_e32 v3, 32, v3
	v_sub_nc_u32_e64 v3, v3, 4 clamp
	s_delay_alu instid0(VALU_DEP_1) | instskip(NEXT) | instid1(VALU_DEP_1)
	v_dual_lshlrev_b32 v6, v3, v1 :: v_dual_lshlrev_b32 v3, 23, v3
	v_lshrrev_b32_e32 v6, 4, v6
	s_delay_alu instid0(VALU_DEP_1) | instskip(SKIP_1) | instid1(VALU_DEP_2)
	v_sub_nc_u32_e32 v3, v6, v3
	v_ashrrev_i32_e32 v6, 8, v7
	v_add_nc_u32_e32 v3, 0x3c000000, v3
	s_delay_alu instid0(VALU_DEP_1) | instskip(NEXT) | instid1(VALU_DEP_1)
	v_and_or_b32 v3, 0x7f800000, v6, v3
	v_cndmask_b32_e32 v1, 0, v3, vcc_lo
	s_delay_alu instid0(VALU_DEP_1) | instskip(NEXT) | instid1(VALU_DEP_1)
	v_and_or_b32 v0, 0x80000000, v0, v1
	v_cvt_i32_f32_e32 v1, v0
.LBB191_926:
	s_mov_b32 s7, 0
.LBB191_927:
	s_delay_alu instid0(SALU_CYCLE_1)
	s_and_not1_b32 vcc_lo, exec_lo, s7
	s_cbranch_vccnz .LBB191_929
; %bb.928:
	global_load_u8 v0, v[4:5], off
	s_wait_loadcnt 0x0
	v_lshlrev_b32_e32 v1, 25, v0
	v_lshlrev_b16 v0, 8, v0
	s_delay_alu instid0(VALU_DEP_1) | instskip(SKIP_1) | instid1(VALU_DEP_2)
	v_and_or_b32 v6, 0x7f00, v0, 0.5
	v_bfe_i32 v0, v0, 0, 16
	v_dual_add_f32 v6, -0.5, v6 :: v_dual_lshrrev_b32 v3, 4, v1
	v_cmp_gt_u32_e32 vcc_lo, 0x8000000, v1
	s_delay_alu instid0(VALU_DEP_2) | instskip(NEXT) | instid1(VALU_DEP_1)
	v_or_b32_e32 v3, 0x70000000, v3
	v_mul_f32_e32 v3, 0x7800000, v3
	s_delay_alu instid0(VALU_DEP_1) | instskip(NEXT) | instid1(VALU_DEP_1)
	v_cndmask_b32_e32 v1, v3, v6, vcc_lo
	v_and_or_b32 v0, 0x80000000, v0, v1
	s_delay_alu instid0(VALU_DEP_1)
	v_cvt_i32_f32_e32 v1, v0
.LBB191_929:
	s_mov_b32 s7, 0
	s_mov_b32 s12, -1
.LBB191_930:
	s_and_not1_b32 vcc_lo, exec_lo, s7
	s_mov_b32 s7, 0
	s_cbranch_vccnz .LBB191_941
; %bb.931:
	s_cmp_gt_i32 s1, 14
	s_cbranch_scc0 .LBB191_934
; %bb.932:
	s_cmp_eq_u32 s1, 15
	s_cbranch_scc0 .LBB191_937
; %bb.933:
	global_load_u16 v0, v[4:5], off
	s_mov_b32 s6, 0
	s_mov_b32 s12, -1
	s_wait_loadcnt 0x0
	v_lshlrev_b32_e32 v0, 16, v0
	s_delay_alu instid0(VALU_DEP_1)
	v_cvt_i32_f32_e32 v1, v0
	s_branch .LBB191_939
.LBB191_934:
	s_mov_b32 s7, -1
	s_branch .LBB191_938
.LBB191_935:
	s_and_not1_saveexec_b32 s7, s7
	s_cbranch_execz .LBB191_916
.LBB191_936:
	v_cmp_ne_u16_e32 vcc_lo, 0, v0
	s_and_not1_b32 s12, s12, exec_lo
	s_and_b32 s14, vcc_lo, exec_lo
	s_delay_alu instid0(SALU_CYCLE_1)
	s_or_b32 s12, s12, s14
	s_or_b32 exec_lo, exec_lo, s7
	v_mov_b32_e32 v1, 0
	s_and_saveexec_b32 s7, s12
	s_cbranch_execnz .LBB191_917
	s_branch .LBB191_918
.LBB191_937:
	s_mov_b32 s6, -1
.LBB191_938:
                                        ; implicit-def: $vgpr1
.LBB191_939:
	s_and_b32 vcc_lo, exec_lo, s7
	s_mov_b32 s7, 0
	s_cbranch_vccz .LBB191_941
; %bb.940:
	s_cmp_lg_u32 s1, 11
	s_mov_b32 s7, -1
	s_cselect_b32 s1, -1, 0
	s_and_not1_b32 s6, s6, exec_lo
	s_and_b32 s1, s1, exec_lo
	s_delay_alu instid0(SALU_CYCLE_1)
	s_or_b32 s6, s6, s1
.LBB191_941:
	s_mov_b32 s1, 0
.LBB191_942:
	s_delay_alu instid0(SALU_CYCLE_1)
	s_and_b32 s26, s1, exec_lo
	s_and_not1_b32 s1, s0, exec_lo
	s_and_b32 s6, s6, exec_lo
	s_and_b32 s28, s12, exec_lo
	;; [unrolled: 1-line block ×3, first 2 shown]
	s_or_b32 s29, s1, s6
.LBB191_943:
	s_wait_xcnt 0x0
	s_or_b32 exec_lo, exec_lo, s39
	s_delay_alu instid0(SALU_CYCLE_1)
	s_and_not1_b32 s0, s0, exec_lo
	s_and_b32 s1, s29, exec_lo
	s_and_b32 s28, s28, exec_lo
	;; [unrolled: 1-line block ×4, first 2 shown]
	s_or_b32 s0, s0, s1
.LBB191_944:
	s_or_b32 exec_lo, exec_lo, s31
	s_delay_alu instid0(SALU_CYCLE_1)
	s_and_not1_b32 s1, s46, exec_lo
	s_and_b32 s6, s30, exec_lo
	s_and_b32 s0, s0, exec_lo
	s_or_b32 s46, s1, s6
	s_and_not1_b32 s1, s45, exec_lo
	s_and_b32 s28, s28, exec_lo
	s_and_b32 s26, s26, exec_lo
	;; [unrolled: 1-line block ×3, first 2 shown]
	s_or_b32 s45, s1, s0
.LBB191_945:
	s_or_b32 exec_lo, exec_lo, s47
	s_delay_alu instid0(SALU_CYCLE_1)
	s_and_not1_b32 s0, s42, exec_lo
	s_and_b32 s1, s46, exec_lo
	s_and_b32 s6, s45, exec_lo
	s_or_b32 s42, s0, s1
	s_and_not1_b32 s1, s43, exec_lo
	s_and_b32 s0, s28, exec_lo
	s_and_b32 s26, s26, exec_lo
	;; [unrolled: 1-line block ×3, first 2 shown]
	s_or_b32 s43, s1, s6
	s_or_b32 exec_lo, exec_lo, s44
	s_mov_b32 s1, 0
	s_and_saveexec_b32 s6, s43
	s_cbranch_execz .LBB191_283
.LBB191_946:
	s_mov_b32 s1, exec_lo
	s_and_not1_b32 s21, s21, exec_lo
	s_trap 2
	s_or_b32 exec_lo, exec_lo, s6
	s_and_saveexec_b32 s6, s21
	s_delay_alu instid0(SALU_CYCLE_1)
	s_xor_b32 s6, exec_lo, s6
	s_cbranch_execnz .LBB191_284
.LBB191_947:
	s_or_b32 exec_lo, exec_lo, s6
	s_and_saveexec_b32 s6, s26
	s_cbranch_execz .LBB191_993
.LBB191_948:
	s_sext_i32_i16 s7, s13
	s_delay_alu instid0(SALU_CYCLE_1)
	s_cmp_lt_i32 s7, 5
	s_cbranch_scc1 .LBB191_953
; %bb.949:
	s_cmp_lt_i32 s7, 8
	s_cbranch_scc1 .LBB191_954
; %bb.950:
	;; [unrolled: 3-line block ×3, first 2 shown]
	s_cmp_gt_i32 s7, 9
	s_cbranch_scc0 .LBB191_956
; %bb.952:
	s_wait_loadcnt 0x0
	global_load_b64 v[0:1], v[4:5], off
	s_mov_b32 s7, 0
	s_wait_loadcnt 0x0
	v_cvt_i32_f64_e32 v1, v[0:1]
	s_branch .LBB191_957
.LBB191_953:
                                        ; implicit-def: $vgpr1
	s_branch .LBB191_974
.LBB191_954:
                                        ; implicit-def: $vgpr1
	s_branch .LBB191_963
.LBB191_955:
	s_mov_b32 s7, -1
                                        ; implicit-def: $vgpr1
	s_branch .LBB191_960
.LBB191_956:
	s_mov_b32 s7, -1
                                        ; implicit-def: $vgpr1
.LBB191_957:
	s_delay_alu instid0(SALU_CYCLE_1)
	s_and_not1_b32 vcc_lo, exec_lo, s7
	s_cbranch_vccnz .LBB191_959
; %bb.958:
	global_load_b32 v0, v[4:5], off
	s_wait_loadcnt 0x0
	v_cvt_i32_f32_e32 v1, v0
.LBB191_959:
	s_mov_b32 s7, 0
.LBB191_960:
	s_delay_alu instid0(SALU_CYCLE_1)
	s_and_not1_b32 vcc_lo, exec_lo, s7
	s_cbranch_vccnz .LBB191_962
; %bb.961:
	global_load_b32 v0, v[4:5], off
	s_wait_loadcnt 0x0
	v_cvt_f32_f16_e32 v0, v0
	s_delay_alu instid0(VALU_DEP_1)
	v_cvt_i32_f32_e32 v1, v0
.LBB191_962:
	s_cbranch_execnz .LBB191_973
.LBB191_963:
	s_sext_i32_i16 s7, s13
	s_delay_alu instid0(SALU_CYCLE_1)
	s_cmp_lt_i32 s7, 6
	s_cbranch_scc1 .LBB191_966
; %bb.964:
	s_cmp_gt_i32 s7, 6
	s_cbranch_scc0 .LBB191_967
; %bb.965:
	s_wait_loadcnt 0x0
	global_load_b64 v[0:1], v[4:5], off
	s_mov_b32 s7, 0
	s_wait_loadcnt 0x0
	v_cvt_i32_f64_e32 v1, v[0:1]
	s_branch .LBB191_968
.LBB191_966:
	s_mov_b32 s7, -1
                                        ; implicit-def: $vgpr1
	s_branch .LBB191_971
.LBB191_967:
	s_mov_b32 s7, -1
                                        ; implicit-def: $vgpr1
.LBB191_968:
	s_delay_alu instid0(SALU_CYCLE_1)
	s_and_not1_b32 vcc_lo, exec_lo, s7
	s_cbranch_vccnz .LBB191_970
; %bb.969:
	global_load_b32 v0, v[4:5], off
	s_wait_loadcnt 0x0
	v_cvt_i32_f32_e32 v1, v0
.LBB191_970:
	s_mov_b32 s7, 0
.LBB191_971:
	s_delay_alu instid0(SALU_CYCLE_1)
	s_and_not1_b32 vcc_lo, exec_lo, s7
	s_cbranch_vccnz .LBB191_973
; %bb.972:
	global_load_u16 v0, v[4:5], off
	s_wait_loadcnt 0x0
	v_cvt_f32_f16_e32 v0, v0
	s_delay_alu instid0(VALU_DEP_1)
	v_cvt_i32_f32_e32 v1, v0
.LBB191_973:
	s_cbranch_execnz .LBB191_992
.LBB191_974:
	s_sext_i32_i16 s7, s13
	s_delay_alu instid0(SALU_CYCLE_1)
	s_cmp_lt_i32 s7, 2
	s_cbranch_scc1 .LBB191_978
; %bb.975:
	s_cmp_lt_i32 s7, 3
	s_cbranch_scc1 .LBB191_979
; %bb.976:
	s_cmp_gt_i32 s7, 3
	s_cbranch_scc0 .LBB191_980
; %bb.977:
	s_wait_loadcnt 0x0
	global_load_b32 v1, v[4:5], off
	s_mov_b32 s7, 0
	s_branch .LBB191_981
.LBB191_978:
                                        ; implicit-def: $vgpr1
	s_branch .LBB191_987
.LBB191_979:
	s_mov_b32 s7, -1
                                        ; implicit-def: $vgpr1
	s_branch .LBB191_984
.LBB191_980:
	s_mov_b32 s7, -1
                                        ; implicit-def: $vgpr1
.LBB191_981:
	s_delay_alu instid0(SALU_CYCLE_1)
	s_and_not1_b32 vcc_lo, exec_lo, s7
	s_cbranch_vccnz .LBB191_983
; %bb.982:
	s_wait_loadcnt 0x0
	global_load_b32 v1, v[4:5], off
.LBB191_983:
	s_mov_b32 s7, 0
.LBB191_984:
	s_delay_alu instid0(SALU_CYCLE_1)
	s_and_not1_b32 vcc_lo, exec_lo, s7
	s_cbranch_vccnz .LBB191_986
; %bb.985:
	s_wait_loadcnt 0x0
	global_load_i16 v1, v[4:5], off
.LBB191_986:
	s_cbranch_execnz .LBB191_992
.LBB191_987:
	s_sext_i32_i16 s7, s13
	s_delay_alu instid0(SALU_CYCLE_1)
	s_cmp_gt_i32 s7, 0
	s_mov_b32 s7, 0
	s_cbranch_scc0 .LBB191_989
; %bb.988:
	s_wait_loadcnt 0x0
	global_load_i8 v1, v[4:5], off
	s_branch .LBB191_990
.LBB191_989:
	s_mov_b32 s7, -1
                                        ; implicit-def: $vgpr1
.LBB191_990:
	s_delay_alu instid0(SALU_CYCLE_1)
	s_and_not1_b32 vcc_lo, exec_lo, s7
	s_cbranch_vccnz .LBB191_992
; %bb.991:
	s_wait_loadcnt 0x0
	global_load_u8 v1, v[4:5], off
.LBB191_992:
	s_or_b32 s0, s0, exec_lo
.LBB191_993:
	s_wait_xcnt 0x0
	s_or_b32 exec_lo, exec_lo, s6
	s_mov_b32 s13, 0
	s_mov_b32 s12, 0
                                        ; implicit-def: $sgpr6
                                        ; implicit-def: $vgpr4_vgpr5
                                        ; implicit-def: $vgpr0
	s_and_saveexec_b32 s7, s0
	s_cbranch_execz .LBB191_997
; %bb.994:
	s_cmp_lt_i32 s8, 1
	s_mov_b32 s0, 0
	s_cbranch_scc1 .LBB191_1000
; %bb.995:
	s_cmp_eq_u32 s8, 1
	s_cbranch_scc0 .LBB191_1014
; %bb.996:
	s_wait_loadcnt 0x0
	s_delay_alu instid0(VALU_DEP_1)
	v_min_i32_e32 v0, s9, v1
	s_mov_b32 s6, 0
	s_and_b32 vcc_lo, exec_lo, s12
	s_cbranch_vccnz .LBB191_1001
	s_branch .LBB191_1002
.LBB191_997:
	s_or_b32 exec_lo, exec_lo, s7
	s_and_saveexec_b32 s0, s42
	s_cbranch_execnz .LBB191_1084
.LBB191_998:
	s_or_b32 exec_lo, exec_lo, s0
	s_and_saveexec_b32 s0, s13
	s_delay_alu instid0(SALU_CYCLE_1)
	s_xor_b32 s0, exec_lo, s0
	s_cbranch_execz .LBB191_1085
.LBB191_999:
	v_cmp_ne_u32_e32 vcc_lo, 0, v0
	s_wait_loadcnt 0x0
	v_cndmask_b32_e64 v1, 0, 1, vcc_lo
	global_store_b8 v[4:5], v1, off
	s_wait_xcnt 0x0
	s_or_b32 exec_lo, exec_lo, s0
	s_and_saveexec_b32 s0, s12
	s_delay_alu instid0(SALU_CYCLE_1)
	s_xor_b32 s0, exec_lo, s0
	s_cbranch_execz .LBB191_1123
	s_branch .LBB191_1086
.LBB191_1000:
	s_mov_b32 s6, 0
                                        ; implicit-def: $vgpr0
	s_cbranch_execz .LBB191_1002
.LBB191_1001:
	s_cmp_lg_u32 s8, 0
	s_mov_b32 s0, -1
	s_cselect_b32 s6, -1, 0
.LBB191_1002:
	s_delay_alu instid0(SALU_CYCLE_1)
	s_and_not1_b32 vcc_lo, exec_lo, s6
	s_cbranch_vccnz .LBB191_1004
; %bb.1003:
	s_wait_loadcnt 0x0
	s_delay_alu instid0(VALU_DEP_1)
	v_maxmin_i32 v0, v1, s9, s10
	s_cbranch_execz .LBB191_1005
	s_branch .LBB191_1006
.LBB191_1004:
	s_and_not1_b32 vcc_lo, exec_lo, s0
	s_cbranch_vccnz .LBB191_1006
.LBB191_1005:
	s_wait_loadcnt 0x0
	s_delay_alu instid0(VALU_DEP_1)
	v_max_i32_e32 v0, s9, v1
.LBB191_1006:
	v_mov_b32_e32 v3, 0
	s_and_b32 s6, s11, 0xff
	s_delay_alu instid0(SALU_CYCLE_1) | instskip(NEXT) | instid1(VALU_DEP_1)
	s_cmp_lt_i32 s6, 11
	v_add_nc_u64_e32 v[4:5], s[4:5], v[2:3]
	s_cbranch_scc1 .LBB191_1013
; %bb.1007:
	s_and_b32 s4, 0xffff, s6
	s_mov_b32 s5, -1
	s_cmp_gt_i32 s4, 25
	s_mov_b32 s0, s42
	s_cbranch_scc0 .LBB191_1042
; %bb.1008:
	s_cmp_gt_i32 s4, 28
	s_mov_b32 s0, s42
	s_cbranch_scc0 .LBB191_1026
; %bb.1009:
	;; [unrolled: 4-line block ×4, first 2 shown]
	s_cmp_eq_u32 s4, 46
	s_mov_b32 s0, -1
	s_cbranch_scc0 .LBB191_1015
; %bb.1012:
	s_wait_loadcnt 0x0
	v_cvt_f32_i32_e32 v1, v0
	s_mov_b32 s0, 0
	s_mov_b32 s5, 0
	s_delay_alu instid0(VALU_DEP_1) | instskip(NEXT) | instid1(VALU_DEP_1)
	v_bfe_u32 v2, v1, 16, 1
	v_add3_u32 v1, v1, v2, 0x7fff
	s_delay_alu instid0(VALU_DEP_1)
	v_lshrrev_b32_e32 v1, 16, v1
	global_store_b32 v[4:5], v1, off
	s_branch .LBB191_1016
.LBB191_1013:
	s_mov_b32 s8, 0
	s_mov_b32 s5, -1
	s_mov_b32 s0, s42
	s_branch .LBB191_1083
.LBB191_1014:
	s_mov_b32 s6, -1
                                        ; implicit-def: $vgpr0
	s_and_b32 vcc_lo, exec_lo, s12
	s_cbranch_vccnz .LBB191_1001
	s_branch .LBB191_1002
.LBB191_1015:
	s_mov_b32 s5, 0
.LBB191_1016:
	s_delay_alu instid0(SALU_CYCLE_1)
	s_and_b32 vcc_lo, exec_lo, s5
	s_cbranch_vccz .LBB191_1021
; %bb.1017:
	s_cmp_eq_u32 s4, 44
	s_mov_b32 s0, -1
	s_cbranch_scc0 .LBB191_1021
; %bb.1018:
	s_wait_loadcnt 0x0
	v_cvt_f32_i32_e32 v1, v0
	v_mov_b32_e32 v2, 0xff
	s_mov_b32 s5, exec_lo
	s_delay_alu instid0(VALU_DEP_2) | instskip(NEXT) | instid1(VALU_DEP_1)
	v_bfe_u32 v3, v1, 23, 8
	v_cmpx_ne_u32_e32 0xff, v3
	s_cbranch_execz .LBB191_1020
; %bb.1019:
	v_and_b32_e32 v2, 0x400000, v1
	v_and_or_b32 v3, 0x3fffff, v1, v3
	v_lshrrev_b32_e32 v1, 23, v1
	s_delay_alu instid0(VALU_DEP_3) | instskip(NEXT) | instid1(VALU_DEP_3)
	v_cmp_ne_u32_e32 vcc_lo, 0, v2
	v_cmp_ne_u32_e64 s0, 0, v3
	s_and_b32 s0, vcc_lo, s0
	s_delay_alu instid0(SALU_CYCLE_1) | instskip(NEXT) | instid1(VALU_DEP_1)
	v_cndmask_b32_e64 v2, 0, 1, s0
	v_add_nc_u32_e32 v2, v1, v2
.LBB191_1020:
	s_or_b32 exec_lo, exec_lo, s5
	s_mov_b32 s0, 0
	global_store_b8 v[4:5], v2, off
.LBB191_1021:
	s_mov_b32 s5, 0
.LBB191_1022:
	s_delay_alu instid0(SALU_CYCLE_1)
	s_and_b32 vcc_lo, exec_lo, s5
	s_cbranch_vccz .LBB191_1025
; %bb.1023:
	s_cmp_eq_u32 s4, 29
	s_mov_b32 s0, -1
	s_cbranch_scc0 .LBB191_1025
; %bb.1024:
	s_wait_loadcnt 0x0
	v_ashrrev_i32_e32 v1, 31, v0
	s_mov_b32 s0, 0
	s_mov_b32 s5, 0
	global_store_b64 v[4:5], v[0:1], off
	s_branch .LBB191_1026
.LBB191_1025:
	s_mov_b32 s5, 0
.LBB191_1026:
	s_delay_alu instid0(SALU_CYCLE_1)
	s_and_b32 vcc_lo, exec_lo, s5
	s_cbranch_vccz .LBB191_1041
; %bb.1027:
	s_cmp_lt_i32 s4, 27
	s_mov_b32 s5, -1
	s_cbranch_scc1 .LBB191_1033
; %bb.1028:
	s_cmp_gt_i32 s4, 27
	s_cbranch_scc0 .LBB191_1030
; %bb.1029:
	s_mov_b32 s5, 0
	global_store_b32 v[4:5], v0, off
.LBB191_1030:
	s_and_not1_b32 vcc_lo, exec_lo, s5
	s_cbranch_vccnz .LBB191_1032
; %bb.1031:
	global_store_b16 v[4:5], v0, off
.LBB191_1032:
	s_mov_b32 s5, 0
.LBB191_1033:
	s_delay_alu instid0(SALU_CYCLE_1)
	s_and_not1_b32 vcc_lo, exec_lo, s5
	s_cbranch_vccnz .LBB191_1041
; %bb.1034:
	s_wait_loadcnt 0x0
	v_cvt_f32_i32_e32 v1, v0
	v_mov_b32_e32 v3, 0x80
	s_mov_b32 s5, exec_lo
	s_delay_alu instid0(VALU_DEP_2) | instskip(NEXT) | instid1(VALU_DEP_1)
	v_and_b32_e32 v2, 0x7fffffff, v1
	v_cmpx_gt_u32_e32 0x43800000, v2
	s_cbranch_execz .LBB191_1040
; %bb.1035:
	v_cmp_lt_u32_e32 vcc_lo, 0x3bffffff, v2
	s_mov_b32 s8, 0
                                        ; implicit-def: $vgpr2
	s_and_saveexec_b32 s9, vcc_lo
	s_delay_alu instid0(SALU_CYCLE_1)
	s_xor_b32 s9, exec_lo, s9
	s_cbranch_execz .LBB191_1198
; %bb.1036:
	v_bfe_u32 v2, v1, 20, 1
	s_mov_b32 s8, exec_lo
	s_delay_alu instid0(VALU_DEP_1) | instskip(NEXT) | instid1(VALU_DEP_1)
	v_add3_u32 v2, v1, v2, 0x487ffff
	v_lshrrev_b32_e32 v2, 20, v2
	s_and_not1_saveexec_b32 s9, s9
	s_cbranch_execnz .LBB191_1199
.LBB191_1037:
	s_or_b32 exec_lo, exec_lo, s9
	v_mov_b32_e32 v3, 0
	s_and_saveexec_b32 s9, s8
.LBB191_1038:
	v_lshrrev_b32_e32 v1, 24, v1
	s_delay_alu instid0(VALU_DEP_1)
	v_and_or_b32 v3, 0x80, v1, v2
.LBB191_1039:
	s_or_b32 exec_lo, exec_lo, s9
.LBB191_1040:
	s_delay_alu instid0(SALU_CYCLE_1)
	s_or_b32 exec_lo, exec_lo, s5
	global_store_b8 v[4:5], v3, off
.LBB191_1041:
	s_mov_b32 s5, 0
.LBB191_1042:
	s_delay_alu instid0(SALU_CYCLE_1)
	s_and_b32 vcc_lo, exec_lo, s5
	s_mov_b32 s5, 0
	s_cbranch_vccz .LBB191_1082
; %bb.1043:
	s_cmp_gt_i32 s4, 22
	s_mov_b32 s8, -1
	s_cbranch_scc0 .LBB191_1075
; %bb.1044:
	s_cmp_lt_i32 s4, 24
	s_cbranch_scc1 .LBB191_1064
; %bb.1045:
	s_cmp_gt_i32 s4, 24
	s_cbranch_scc0 .LBB191_1053
; %bb.1046:
	s_wait_loadcnt 0x0
	v_cvt_f32_i32_e32 v1, v0
	v_mov_b32_e32 v3, 0x80
	s_mov_b32 s8, exec_lo
	s_delay_alu instid0(VALU_DEP_2) | instskip(NEXT) | instid1(VALU_DEP_1)
	v_and_b32_e32 v2, 0x7fffffff, v1
	v_cmpx_gt_u32_e32 0x47800000, v2
	s_cbranch_execz .LBB191_1052
; %bb.1047:
	v_cmp_lt_u32_e32 vcc_lo, 0x37ffffff, v2
	s_mov_b32 s9, 0
                                        ; implicit-def: $vgpr2
	s_and_saveexec_b32 s10, vcc_lo
	s_delay_alu instid0(SALU_CYCLE_1)
	s_xor_b32 s10, exec_lo, s10
	s_cbranch_execz .LBB191_1329
; %bb.1048:
	v_bfe_u32 v2, v1, 21, 1
	s_mov_b32 s9, exec_lo
	s_delay_alu instid0(VALU_DEP_1) | instskip(NEXT) | instid1(VALU_DEP_1)
	v_add3_u32 v2, v1, v2, 0x88fffff
	v_lshrrev_b32_e32 v2, 21, v2
	s_and_not1_saveexec_b32 s10, s10
	s_cbranch_execnz .LBB191_1330
.LBB191_1049:
	s_or_b32 exec_lo, exec_lo, s10
	v_mov_b32_e32 v3, 0
	s_and_saveexec_b32 s10, s9
.LBB191_1050:
	v_lshrrev_b32_e32 v1, 24, v1
	s_delay_alu instid0(VALU_DEP_1)
	v_and_or_b32 v3, 0x80, v1, v2
.LBB191_1051:
	s_or_b32 exec_lo, exec_lo, s10
.LBB191_1052:
	s_delay_alu instid0(SALU_CYCLE_1)
	s_or_b32 exec_lo, exec_lo, s8
	s_mov_b32 s8, 0
	global_store_b8 v[4:5], v3, off
.LBB191_1053:
	s_and_b32 vcc_lo, exec_lo, s8
	s_cbranch_vccz .LBB191_1063
; %bb.1054:
	s_wait_loadcnt 0x0
	v_cvt_f32_i32_e32 v1, v0
	s_mov_b32 s8, exec_lo
                                        ; implicit-def: $vgpr2
	s_delay_alu instid0(VALU_DEP_1) | instskip(NEXT) | instid1(VALU_DEP_1)
	v_and_b32_e32 v3, 0x7fffffff, v1
	v_cmpx_gt_u32_e32 0x43f00000, v3
	s_xor_b32 s8, exec_lo, s8
	s_cbranch_execz .LBB191_1060
; %bb.1055:
	s_mov_b32 s9, exec_lo
                                        ; implicit-def: $vgpr2
	v_cmpx_lt_u32_e32 0x3c7fffff, v3
	s_xor_b32 s9, exec_lo, s9
; %bb.1056:
	v_bfe_u32 v2, v1, 20, 1
	s_delay_alu instid0(VALU_DEP_1) | instskip(NEXT) | instid1(VALU_DEP_1)
	v_add3_u32 v2, v1, v2, 0x407ffff
	v_and_b32_e32 v3, 0xff00000, v2
	v_lshrrev_b32_e32 v2, 20, v2
	s_delay_alu instid0(VALU_DEP_2) | instskip(NEXT) | instid1(VALU_DEP_2)
	v_cmp_ne_u32_e32 vcc_lo, 0x7f00000, v3
	v_cndmask_b32_e32 v2, 0x7e, v2, vcc_lo
; %bb.1057:
	s_and_not1_saveexec_b32 s9, s9
; %bb.1058:
	v_add_f32_e64 v2, 0x46800000, |v1|
; %bb.1059:
	s_or_b32 exec_lo, exec_lo, s9
                                        ; implicit-def: $vgpr3
.LBB191_1060:
	s_and_not1_saveexec_b32 s8, s8
; %bb.1061:
	v_mov_b32_e32 v2, 0x7f
	v_cmp_lt_u32_e32 vcc_lo, 0x7f800000, v3
	s_delay_alu instid0(VALU_DEP_2)
	v_cndmask_b32_e32 v2, 0x7e, v2, vcc_lo
; %bb.1062:
	s_or_b32 exec_lo, exec_lo, s8
	v_lshrrev_b32_e32 v1, 24, v1
	s_delay_alu instid0(VALU_DEP_1)
	v_and_or_b32 v1, 0x80, v1, v2
	global_store_b8 v[4:5], v1, off
.LBB191_1063:
	s_mov_b32 s8, 0
.LBB191_1064:
	s_delay_alu instid0(SALU_CYCLE_1)
	s_and_not1_b32 vcc_lo, exec_lo, s8
	s_cbranch_vccnz .LBB191_1074
; %bb.1065:
	s_wait_loadcnt 0x0
	v_cvt_f32_i32_e32 v1, v0
	s_mov_b32 s8, exec_lo
                                        ; implicit-def: $vgpr2
	s_delay_alu instid0(VALU_DEP_1) | instskip(NEXT) | instid1(VALU_DEP_1)
	v_and_b32_e32 v3, 0x7fffffff, v1
	v_cmpx_gt_u32_e32 0x47800000, v3
	s_xor_b32 s8, exec_lo, s8
	s_cbranch_execz .LBB191_1071
; %bb.1066:
	s_mov_b32 s9, exec_lo
                                        ; implicit-def: $vgpr2
	v_cmpx_lt_u32_e32 0x387fffff, v3
	s_xor_b32 s9, exec_lo, s9
; %bb.1067:
	v_bfe_u32 v2, v1, 21, 1
	s_delay_alu instid0(VALU_DEP_1) | instskip(NEXT) | instid1(VALU_DEP_1)
	v_add3_u32 v2, v1, v2, 0x80fffff
	v_lshrrev_b32_e32 v2, 21, v2
; %bb.1068:
	s_and_not1_saveexec_b32 s9, s9
; %bb.1069:
	v_add_f32_e64 v2, 0x43000000, |v1|
; %bb.1070:
	s_or_b32 exec_lo, exec_lo, s9
                                        ; implicit-def: $vgpr3
.LBB191_1071:
	s_and_not1_saveexec_b32 s8, s8
; %bb.1072:
	v_mov_b32_e32 v2, 0x7f
	v_cmp_lt_u32_e32 vcc_lo, 0x7f800000, v3
	s_delay_alu instid0(VALU_DEP_2)
	v_cndmask_b32_e32 v2, 0x7c, v2, vcc_lo
; %bb.1073:
	s_or_b32 exec_lo, exec_lo, s8
	v_lshrrev_b32_e32 v1, 24, v1
	s_delay_alu instid0(VALU_DEP_1)
	v_and_or_b32 v1, 0x80, v1, v2
	global_store_b8 v[4:5], v1, off
.LBB191_1074:
	s_mov_b32 s8, 0
.LBB191_1075:
	s_delay_alu instid0(SALU_CYCLE_1)
	s_and_not1_b32 vcc_lo, exec_lo, s8
	s_mov_b32 s8, 0
	s_cbranch_vccnz .LBB191_1083
; %bb.1076:
	s_cmp_gt_i32 s4, 14
	s_mov_b32 s8, -1
	s_cbranch_scc0 .LBB191_1080
; %bb.1077:
	s_cmp_eq_u32 s4, 15
	s_mov_b32 s0, -1
	s_cbranch_scc0 .LBB191_1079
; %bb.1078:
	s_wait_loadcnt 0x0
	v_cvt_f32_i32_e32 v1, v0
	s_mov_b32 s0, 0
	s_delay_alu instid0(VALU_DEP_1) | instskip(NEXT) | instid1(VALU_DEP_1)
	v_bfe_u32 v2, v1, 16, 1
	v_add3_u32 v1, v1, v2, 0x7fff
	global_store_d16_hi_b16 v[4:5], v1, off
.LBB191_1079:
	s_mov_b32 s8, 0
.LBB191_1080:
	s_delay_alu instid0(SALU_CYCLE_1)
	s_and_b32 vcc_lo, exec_lo, s8
	s_mov_b32 s8, 0
	s_cbranch_vccz .LBB191_1083
; %bb.1081:
	s_cmp_lg_u32 s4, 11
	s_mov_b32 s8, -1
	s_cselect_b32 s4, -1, 0
	s_and_not1_b32 s0, s0, exec_lo
	s_and_b32 s4, s4, exec_lo
	s_delay_alu instid0(SALU_CYCLE_1)
	s_or_b32 s0, s0, s4
	s_branch .LBB191_1083
.LBB191_1082:
	s_mov_b32 s8, 0
.LBB191_1083:
	s_and_not1_b32 s4, s42, exec_lo
	s_and_b32 s0, s0, exec_lo
	s_and_b32 s12, s5, exec_lo
	;; [unrolled: 1-line block ×3, first 2 shown]
	s_or_b32 s42, s4, s0
	s_wait_xcnt 0x0
	s_or_b32 exec_lo, exec_lo, s7
	s_and_saveexec_b32 s0, s42
	s_cbranch_execz .LBB191_998
.LBB191_1084:
	s_or_b32 s1, s1, exec_lo
	s_and_not1_b32 s13, s13, exec_lo
	s_trap 2
	s_or_b32 exec_lo, exec_lo, s0
	s_and_saveexec_b32 s0, s13
	s_delay_alu instid0(SALU_CYCLE_1)
	s_xor_b32 s0, exec_lo, s0
	s_cbranch_execnz .LBB191_999
.LBB191_1085:
	s_or_b32 exec_lo, exec_lo, s0
	s_and_saveexec_b32 s0, s12
	s_delay_alu instid0(SALU_CYCLE_1)
	s_xor_b32 s0, exec_lo, s0
	s_cbranch_execz .LBB191_1123
.LBB191_1086:
	s_sext_i32_i16 s5, s6
	s_mov_b32 s4, -1
	s_cmp_lt_i32 s5, 5
	s_cbranch_scc1 .LBB191_1107
; %bb.1087:
	s_cmp_lt_i32 s5, 8
	s_cbranch_scc1 .LBB191_1097
; %bb.1088:
	;; [unrolled: 3-line block ×3, first 2 shown]
	s_cmp_gt_i32 s5, 9
	s_cbranch_scc0 .LBB191_1091
; %bb.1090:
	v_cvt_f64_i32_e32 v[6:7], v0
	v_mov_b32_e32 v8, 0
	s_mov_b32 s4, 0
	s_delay_alu instid0(VALU_DEP_1)
	v_mov_b32_e32 v9, v8
	global_store_b128 v[4:5], v[6:9], off
.LBB191_1091:
	s_and_not1_b32 vcc_lo, exec_lo, s4
	s_cbranch_vccnz .LBB191_1093
; %bb.1092:
	v_cvt_f32_i32_e32 v2, v0
	v_mov_b32_e32 v3, 0
	global_store_b64 v[4:5], v[2:3], off
.LBB191_1093:
	s_mov_b32 s4, 0
.LBB191_1094:
	s_delay_alu instid0(SALU_CYCLE_1)
	s_and_not1_b32 vcc_lo, exec_lo, s4
	s_cbranch_vccnz .LBB191_1096
; %bb.1095:
	s_wait_loadcnt 0x0
	v_cvt_f32_i32_e32 v1, v0
	s_delay_alu instid0(VALU_DEP_1) | instskip(NEXT) | instid1(VALU_DEP_1)
	v_cvt_f16_f32_e32 v1, v1
	v_and_b32_e32 v1, 0xffff, v1
	global_store_b32 v[4:5], v1, off
.LBB191_1096:
	s_mov_b32 s4, 0
.LBB191_1097:
	s_delay_alu instid0(SALU_CYCLE_1)
	s_and_not1_b32 vcc_lo, exec_lo, s4
	s_cbranch_vccnz .LBB191_1106
; %bb.1098:
	s_sext_i32_i16 s5, s6
	s_mov_b32 s4, -1
	s_cmp_lt_i32 s5, 6
	s_cbranch_scc1 .LBB191_1104
; %bb.1099:
	s_cmp_gt_i32 s5, 6
	s_cbranch_scc0 .LBB191_1101
; %bb.1100:
	s_wait_xcnt 0x0
	v_cvt_f64_i32_e32 v[2:3], v0
	s_mov_b32 s4, 0
	global_store_b64 v[4:5], v[2:3], off
.LBB191_1101:
	s_and_not1_b32 vcc_lo, exec_lo, s4
	s_cbranch_vccnz .LBB191_1103
; %bb.1102:
	s_wait_loadcnt 0x0
	v_cvt_f32_i32_e32 v1, v0
	global_store_b32 v[4:5], v1, off
.LBB191_1103:
	s_mov_b32 s4, 0
.LBB191_1104:
	s_delay_alu instid0(SALU_CYCLE_1)
	s_and_not1_b32 vcc_lo, exec_lo, s4
	s_cbranch_vccnz .LBB191_1106
; %bb.1105:
	s_wait_loadcnt 0x0
	v_cvt_f32_i32_e32 v1, v0
	s_delay_alu instid0(VALU_DEP_1)
	v_cvt_f16_f32_e32 v1, v1
	global_store_b16 v[4:5], v1, off
.LBB191_1106:
	s_mov_b32 s4, 0
.LBB191_1107:
	s_delay_alu instid0(SALU_CYCLE_1)
	s_and_not1_b32 vcc_lo, exec_lo, s4
	s_cbranch_vccnz .LBB191_1123
; %bb.1108:
	s_sext_i32_i16 s5, s6
	s_mov_b32 s4, -1
	s_cmp_lt_i32 s5, 2
	s_cbranch_scc1 .LBB191_1118
; %bb.1109:
	s_cmp_lt_i32 s5, 3
	s_cbranch_scc1 .LBB191_1115
; %bb.1110:
	s_cmp_gt_i32 s5, 3
	s_cbranch_scc0 .LBB191_1112
; %bb.1111:
	s_wait_loadcnt 0x0
	v_ashrrev_i32_e32 v1, 31, v0
	s_mov_b32 s4, 0
	global_store_b64 v[4:5], v[0:1], off
.LBB191_1112:
	s_and_not1_b32 vcc_lo, exec_lo, s4
	s_cbranch_vccnz .LBB191_1114
; %bb.1113:
	global_store_b32 v[4:5], v0, off
.LBB191_1114:
	s_mov_b32 s4, 0
.LBB191_1115:
	s_delay_alu instid0(SALU_CYCLE_1)
	s_and_not1_b32 vcc_lo, exec_lo, s4
	s_cbranch_vccnz .LBB191_1117
; %bb.1116:
	global_store_b16 v[4:5], v0, off
.LBB191_1117:
	s_mov_b32 s4, 0
.LBB191_1118:
	s_delay_alu instid0(SALU_CYCLE_1)
	s_and_not1_b32 vcc_lo, exec_lo, s4
	s_cbranch_vccnz .LBB191_1123
; %bb.1119:
	s_sext_i32_i16 s4, s6
	s_delay_alu instid0(SALU_CYCLE_1)
	s_cmp_gt_i32 s4, 0
	s_mov_b32 s4, -1
	s_cbranch_scc0 .LBB191_1121
; %bb.1120:
	s_mov_b32 s4, 0
	global_store_b8 v[4:5], v0, off
.LBB191_1121:
	s_and_not1_b32 vcc_lo, exec_lo, s4
	s_cbranch_vccnz .LBB191_1123
; %bb.1122:
	global_store_b8 v[4:5], v0, off
.LBB191_1123:
	s_wait_xcnt 0x0
	s_or_b32 exec_lo, exec_lo, s0
	s_delay_alu instid0(SALU_CYCLE_1)
	s_and_b32 s8, s1, exec_lo
                                        ; implicit-def: $vgpr9
                                        ; implicit-def: $vgpr0
.LBB191_1124:
	s_or_saveexec_b32 s9, s37
	s_mov_b32 s0, 0
                                        ; implicit-def: $vgpr2_vgpr3
                                        ; implicit-def: $sgpr1
                                        ; implicit-def: $vgpr10
	s_xor_b32 exec_lo, exec_lo, s9
	s_cbranch_execz .LBB191_1721
; %bb.1125:
	s_wait_loadcnt 0x0
	v_cndmask_b32_e64 v1, 0, 1, s36
	s_and_not1_b32 vcc_lo, exec_lo, s36
	s_cbranch_vccnz .LBB191_1131
; %bb.1126:
	s_cmp_lg_u32 s33, 0
	s_mov_b32 s10, 0
	s_cbranch_scc0 .LBB191_1132
; %bb.1127:
	s_min_u32 s1, s34, 15
	s_delay_alu instid0(SALU_CYCLE_1)
	s_add_co_i32 s1, s1, 1
	s_cmp_eq_u32 s34, 2
	s_cbranch_scc1 .LBB191_1133
; %bb.1128:
	v_dual_mov_b32 v6, 0 :: v_dual_mov_b32 v8, 0
	v_mov_b32_e32 v2, v0
	s_and_b32 s0, s1, 28
	s_add_nc_u64 s[4:5], s[2:3], 0xc4
	s_mov_b32 s11, 0
	s_mov_b64 s[6:7], s[2:3]
.LBB191_1129:                           ; =>This Inner Loop Header: Depth=1
	s_clause 0x1
	s_load_b256 s[12:19], s[6:7], 0x4
	s_load_b128 s[28:31], s[6:7], 0x24
	s_load_b256 s[20:27], s[4:5], 0x0
	s_add_co_i32 s11, s11, 4
	s_wait_xcnt 0x0
	s_add_nc_u64 s[6:7], s[6:7], 48
	s_cmp_lg_u32 s0, s11
	s_add_nc_u64 s[4:5], s[4:5], 32
	s_wait_kmcnt 0x0
	v_mul_hi_u32 v3, s13, v2
	s_delay_alu instid0(VALU_DEP_1) | instskip(NEXT) | instid1(VALU_DEP_1)
	v_add_nc_u32_e32 v3, v2, v3
	v_lshrrev_b32_e32 v3, s14, v3
	s_delay_alu instid0(VALU_DEP_1) | instskip(NEXT) | instid1(VALU_DEP_1)
	v_mul_hi_u32 v4, s16, v3
	v_add_nc_u32_e32 v4, v3, v4
	s_delay_alu instid0(VALU_DEP_1) | instskip(NEXT) | instid1(VALU_DEP_1)
	v_lshrrev_b32_e32 v4, s17, v4
	v_mul_hi_u32 v5, s19, v4
	s_delay_alu instid0(VALU_DEP_1) | instskip(SKIP_1) | instid1(VALU_DEP_1)
	v_add_nc_u32_e32 v5, v4, v5
	v_mul_lo_u32 v7, v3, s12
	v_sub_nc_u32_e32 v2, v2, v7
	v_mul_lo_u32 v7, v4, s15
	s_delay_alu instid0(VALU_DEP_4) | instskip(NEXT) | instid1(VALU_DEP_3)
	v_lshrrev_b32_e32 v5, s28, v5
	v_mad_u32 v8, v2, s21, v8
	v_mad_u32 v2, v2, s20, v6
	s_delay_alu instid0(VALU_DEP_4) | instskip(NEXT) | instid1(VALU_DEP_4)
	v_sub_nc_u32_e32 v3, v3, v7
	v_mul_hi_u32 v10, s30, v5
	v_mul_lo_u32 v6, v5, s18
	s_delay_alu instid0(VALU_DEP_3) | instskip(SKIP_1) | instid1(VALU_DEP_4)
	v_mad_u32 v8, v3, s23, v8
	v_mad_u32 v3, v3, s22, v2
	v_add_nc_u32_e32 v7, v5, v10
	s_delay_alu instid0(VALU_DEP_1) | instskip(NEXT) | instid1(VALU_DEP_1)
	v_dual_sub_nc_u32 v4, v4, v6 :: v_dual_lshrrev_b32 v2, s31, v7
	v_mad_u32 v7, v4, s25, v8
	s_delay_alu instid0(VALU_DEP_4) | instskip(NEXT) | instid1(VALU_DEP_3)
	v_mad_u32 v3, v4, s24, v3
	v_mul_lo_u32 v6, v2, s29
	s_delay_alu instid0(VALU_DEP_1) | instskip(NEXT) | instid1(VALU_DEP_1)
	v_sub_nc_u32_e32 v4, v5, v6
	v_mad_u32 v8, v4, s27, v7
	s_delay_alu instid0(VALU_DEP_4)
	v_mad_u32 v6, v4, s26, v3
	s_cbranch_scc1 .LBB191_1129
; %bb.1130:
	s_delay_alu instid0(VALU_DEP_2)
	v_mov_b32_e32 v7, v8
	s_and_b32 s6, s1, 3
	s_mov_b32 s1, 0
	s_cmp_eq_u32 s6, 0
	s_cbranch_scc0 .LBB191_1134
	s_branch .LBB191_1137
.LBB191_1131:
	s_mov_b32 s10, -1
                                        ; implicit-def: $vgpr8
                                        ; implicit-def: $vgpr6
	s_branch .LBB191_1137
.LBB191_1132:
	v_dual_mov_b32 v8, 0 :: v_dual_mov_b32 v6, 0
	s_branch .LBB191_1137
.LBB191_1133:
	v_mov_b64_e32 v[6:7], 0
	v_mov_b32_e32 v2, v0
                                        ; implicit-def: $vgpr8
	s_and_b32 s6, s1, 3
	s_mov_b32 s1, 0
	s_cmp_eq_u32 s6, 0
	s_cbranch_scc1 .LBB191_1137
.LBB191_1134:
	s_lshl_b32 s4, s0, 3
	s_mov_b32 s5, s1
	s_mul_u64 s[12:13], s[0:1], 12
	s_add_nc_u64 s[4:5], s[2:3], s[4:5]
	s_delay_alu instid0(SALU_CYCLE_1)
	s_add_nc_u64 s[0:1], s[4:5], 0xc4
	s_add_nc_u64 s[4:5], s[2:3], s[12:13]
.LBB191_1135:                           ; =>This Inner Loop Header: Depth=1
	s_load_b96 s[12:14], s[4:5], 0x4
	s_add_co_i32 s6, s6, -1
	s_wait_xcnt 0x0
	s_add_nc_u64 s[4:5], s[4:5], 12
	s_cmp_lg_u32 s6, 0
	s_wait_kmcnt 0x0
	v_mul_hi_u32 v3, s13, v2
	s_delay_alu instid0(VALU_DEP_1) | instskip(NEXT) | instid1(VALU_DEP_1)
	v_add_nc_u32_e32 v3, v2, v3
	v_lshrrev_b32_e32 v3, s14, v3
	s_load_b64 s[14:15], s[0:1], 0x0
	s_wait_xcnt 0x0
	s_add_nc_u64 s[0:1], s[0:1], 8
	s_delay_alu instid0(VALU_DEP_1) | instskip(NEXT) | instid1(VALU_DEP_1)
	v_mul_lo_u32 v4, v3, s12
	v_sub_nc_u32_e32 v2, v2, v4
	s_wait_kmcnt 0x0
	s_delay_alu instid0(VALU_DEP_1)
	v_mad_u32 v7, v2, s15, v7
	v_mad_u32 v6, v2, s14, v6
	v_mov_b32_e32 v2, v3
	s_cbranch_scc1 .LBB191_1135
; %bb.1136:
	s_delay_alu instid0(VALU_DEP_3)
	v_mov_b32_e32 v8, v7
.LBB191_1137:
	s_and_not1_b32 vcc_lo, exec_lo, s10
	s_cbranch_vccnz .LBB191_1140
; %bb.1138:
	s_clause 0x1
	s_load_b96 s[4:6], s[2:3], 0x4
	s_load_b64 s[0:1], s[2:3], 0xc4
	s_cmp_lt_u32 s33, 2
	s_wait_kmcnt 0x0
	v_mul_hi_u32 v2, s5, v0
	s_delay_alu instid0(VALU_DEP_1) | instskip(NEXT) | instid1(VALU_DEP_1)
	v_add_nc_u32_e32 v2, v0, v2
	v_lshrrev_b32_e32 v2, s6, v2
	s_delay_alu instid0(VALU_DEP_1) | instskip(NEXT) | instid1(VALU_DEP_1)
	v_mul_lo_u32 v3, v2, s4
	v_sub_nc_u32_e32 v3, v0, v3
	s_delay_alu instid0(VALU_DEP_1)
	v_mul_lo_u32 v8, v3, s1
	v_mul_lo_u32 v6, v3, s0
	s_cbranch_scc1 .LBB191_1140
; %bb.1139:
	s_clause 0x1
	s_load_b96 s[4:6], s[2:3], 0x10
	s_load_b64 s[0:1], s[2:3], 0xcc
	s_wait_kmcnt 0x0
	v_mul_hi_u32 v3, s5, v2
	s_delay_alu instid0(VALU_DEP_1) | instskip(NEXT) | instid1(VALU_DEP_1)
	v_add_nc_u32_e32 v3, v2, v3
	v_lshrrev_b32_e32 v3, s6, v3
	s_delay_alu instid0(VALU_DEP_1) | instskip(NEXT) | instid1(VALU_DEP_1)
	v_mul_lo_u32 v3, v3, s4
	v_sub_nc_u32_e32 v2, v2, v3
	s_delay_alu instid0(VALU_DEP_1)
	v_mad_u32 v6, v2, s0, v6
	v_mad_u32 v8, v2, s1, v8
.LBB191_1140:
	v_cmp_ne_u32_e32 vcc_lo, 1, v1
	v_add_nc_u32_e32 v2, 0x80, v0
	s_cbranch_vccnz .LBB191_1146
; %bb.1141:
	s_cmp_lg_u32 s33, 0
	s_mov_b32 s10, 0
	s_cbranch_scc0 .LBB191_1147
; %bb.1142:
	s_min_u32 s1, s34, 15
	s_delay_alu instid0(SALU_CYCLE_1)
	s_add_co_i32 s1, s1, 1
	s_cmp_eq_u32 s34, 2
	s_cbranch_scc1 .LBB191_1148
; %bb.1143:
	v_dual_mov_b32 v4, 0 :: v_dual_mov_b32 v12, 0
	v_mov_b32_e32 v3, v2
	s_and_b32 s0, s1, 28
	s_add_nc_u64 s[4:5], s[2:3], 0xc4
	s_mov_b32 s11, 0
	s_mov_b64 s[6:7], s[2:3]
.LBB191_1144:                           ; =>This Inner Loop Header: Depth=1
	s_clause 0x1
	s_load_b256 s[12:19], s[6:7], 0x4
	s_load_b128 s[28:31], s[6:7], 0x24
	s_load_b256 s[20:27], s[4:5], 0x0
	s_add_co_i32 s11, s11, 4
	s_wait_xcnt 0x0
	s_add_nc_u64 s[6:7], s[6:7], 48
	s_cmp_lg_u32 s0, s11
	s_add_nc_u64 s[4:5], s[4:5], 32
	s_wait_kmcnt 0x0
	v_mul_hi_u32 v5, s13, v3
	s_delay_alu instid0(VALU_DEP_1) | instskip(NEXT) | instid1(VALU_DEP_1)
	v_add_nc_u32_e32 v5, v3, v5
	v_lshrrev_b32_e32 v5, s14, v5
	s_delay_alu instid0(VALU_DEP_1) | instskip(NEXT) | instid1(VALU_DEP_1)
	v_mul_hi_u32 v7, s16, v5
	v_add_nc_u32_e32 v7, v5, v7
	s_delay_alu instid0(VALU_DEP_1) | instskip(NEXT) | instid1(VALU_DEP_1)
	v_lshrrev_b32_e32 v7, s17, v7
	v_mul_hi_u32 v10, s19, v7
	s_delay_alu instid0(VALU_DEP_1) | instskip(SKIP_1) | instid1(VALU_DEP_2)
	v_add_nc_u32_e32 v10, v7, v10
	v_mul_lo_u32 v11, v5, s12
	v_lshrrev_b32_e32 v10, s28, v10
	s_delay_alu instid0(VALU_DEP_1) | instskip(NEXT) | instid1(VALU_DEP_3)
	v_mul_hi_u32 v13, s30, v10
	v_sub_nc_u32_e32 v3, v3, v11
	v_mul_lo_u32 v11, v7, s15
	s_delay_alu instid0(VALU_DEP_2) | instskip(SKIP_1) | instid1(VALU_DEP_3)
	v_mad_u32 v12, v3, s21, v12
	v_mad_u32 v3, v3, s20, v4
	v_sub_nc_u32_e32 v4, v5, v11
	v_mul_lo_u32 v5, v10, s18
	v_add_nc_u32_e32 v11, v10, v13
	s_delay_alu instid0(VALU_DEP_3) | instskip(SKIP_1) | instid1(VALU_DEP_3)
	v_mad_u32 v12, v4, s23, v12
	v_mad_u32 v4, v4, s22, v3
	v_dual_lshrrev_b32 v3, s31, v11 :: v_dual_sub_nc_u32 v5, v7, v5
	s_delay_alu instid0(VALU_DEP_1) | instskip(NEXT) | instid1(VALU_DEP_2)
	v_mul_lo_u32 v7, v3, s29
	v_mad_u32 v11, v5, s25, v12
	s_delay_alu instid0(VALU_DEP_4) | instskip(NEXT) | instid1(VALU_DEP_3)
	v_mad_u32 v4, v5, s24, v4
	v_sub_nc_u32_e32 v5, v10, v7
	s_delay_alu instid0(VALU_DEP_1) | instskip(NEXT) | instid1(VALU_DEP_3)
	v_mad_u32 v12, v5, s27, v11
	v_mad_u32 v4, v5, s26, v4
	s_cbranch_scc1 .LBB191_1144
; %bb.1145:
	s_delay_alu instid0(VALU_DEP_2)
	v_mov_b32_e32 v5, v12
	s_and_b32 s6, s1, 3
	s_mov_b32 s1, 0
	s_cmp_eq_u32 s6, 0
	s_cbranch_scc0 .LBB191_1149
	s_branch .LBB191_1152
.LBB191_1146:
	s_mov_b32 s10, -1
                                        ; implicit-def: $vgpr12
                                        ; implicit-def: $vgpr4
	s_branch .LBB191_1152
.LBB191_1147:
	v_dual_mov_b32 v12, 0 :: v_dual_mov_b32 v4, 0
	s_branch .LBB191_1152
.LBB191_1148:
	v_mov_b64_e32 v[4:5], 0
	v_mov_b32_e32 v3, v2
	s_mov_b32 s0, 0
                                        ; implicit-def: $vgpr12
	s_and_b32 s6, s1, 3
	s_mov_b32 s1, 0
	s_cmp_eq_u32 s6, 0
	s_cbranch_scc1 .LBB191_1152
.LBB191_1149:
	s_lshl_b32 s4, s0, 3
	s_mov_b32 s5, s1
	s_mul_u64 s[12:13], s[0:1], 12
	s_add_nc_u64 s[4:5], s[2:3], s[4:5]
	s_delay_alu instid0(SALU_CYCLE_1)
	s_add_nc_u64 s[0:1], s[4:5], 0xc4
	s_add_nc_u64 s[4:5], s[2:3], s[12:13]
.LBB191_1150:                           ; =>This Inner Loop Header: Depth=1
	s_load_b96 s[12:14], s[4:5], 0x4
	s_add_co_i32 s6, s6, -1
	s_wait_xcnt 0x0
	s_add_nc_u64 s[4:5], s[4:5], 12
	s_cmp_lg_u32 s6, 0
	s_wait_kmcnt 0x0
	v_mul_hi_u32 v7, s13, v3
	s_delay_alu instid0(VALU_DEP_1) | instskip(NEXT) | instid1(VALU_DEP_1)
	v_add_nc_u32_e32 v7, v3, v7
	v_lshrrev_b32_e32 v7, s14, v7
	s_load_b64 s[14:15], s[0:1], 0x0
	s_wait_xcnt 0x0
	s_add_nc_u64 s[0:1], s[0:1], 8
	s_delay_alu instid0(VALU_DEP_1) | instskip(NEXT) | instid1(VALU_DEP_1)
	v_mul_lo_u32 v10, v7, s12
	v_sub_nc_u32_e32 v3, v3, v10
	s_wait_kmcnt 0x0
	s_delay_alu instid0(VALU_DEP_1)
	v_mad_u32 v5, v3, s15, v5
	v_mad_u32 v4, v3, s14, v4
	v_mov_b32_e32 v3, v7
	s_cbranch_scc1 .LBB191_1150
; %bb.1151:
	s_delay_alu instid0(VALU_DEP_3)
	v_mov_b32_e32 v12, v5
.LBB191_1152:
	s_and_not1_b32 vcc_lo, exec_lo, s10
	s_cbranch_vccnz .LBB191_1155
; %bb.1153:
	s_clause 0x1
	s_load_b96 s[4:6], s[2:3], 0x4
	s_load_b64 s[0:1], s[2:3], 0xc4
	s_cmp_lt_u32 s33, 2
	s_wait_kmcnt 0x0
	v_mul_hi_u32 v3, s5, v2
	s_delay_alu instid0(VALU_DEP_1) | instskip(NEXT) | instid1(VALU_DEP_1)
	v_add_nc_u32_e32 v3, v2, v3
	v_lshrrev_b32_e32 v3, s6, v3
	s_delay_alu instid0(VALU_DEP_1) | instskip(NEXT) | instid1(VALU_DEP_1)
	v_mul_lo_u32 v4, v3, s4
	v_sub_nc_u32_e32 v2, v2, v4
	s_delay_alu instid0(VALU_DEP_1)
	v_mul_lo_u32 v12, v2, s1
	v_mul_lo_u32 v4, v2, s0
	s_cbranch_scc1 .LBB191_1155
; %bb.1154:
	s_clause 0x1
	s_load_b96 s[4:6], s[2:3], 0x10
	s_load_b64 s[0:1], s[2:3], 0xcc
	s_wait_kmcnt 0x0
	v_mul_hi_u32 v2, s5, v3
	s_delay_alu instid0(VALU_DEP_1) | instskip(NEXT) | instid1(VALU_DEP_1)
	v_add_nc_u32_e32 v2, v3, v2
	v_lshrrev_b32_e32 v2, s6, v2
	s_delay_alu instid0(VALU_DEP_1) | instskip(NEXT) | instid1(VALU_DEP_1)
	v_mul_lo_u32 v2, v2, s4
	v_sub_nc_u32_e32 v2, v3, v2
	s_delay_alu instid0(VALU_DEP_1)
	v_mad_u32 v4, v2, s0, v4
	v_mad_u32 v12, v2, s1, v12
.LBB191_1155:
	v_cmp_ne_u32_e32 vcc_lo, 1, v1
	v_add_nc_u32_e32 v0, 0x100, v0
	s_cbranch_vccnz .LBB191_1161
; %bb.1156:
	s_cmp_lg_u32 s33, 0
	s_mov_b32 s10, 0
	s_cbranch_scc0 .LBB191_1162
; %bb.1157:
	s_min_u32 s1, s34, 15
	s_delay_alu instid0(SALU_CYCLE_1)
	s_add_co_i32 s1, s1, 1
	s_cmp_eq_u32 s34, 2
	s_cbranch_scc1 .LBB191_1163
; %bb.1158:
	v_dual_mov_b32 v2, 0 :: v_dual_mov_b32 v14, 0
	v_mov_b32_e32 v5, v0
	s_and_b32 s0, s1, 28
	s_add_nc_u64 s[4:5], s[2:3], 0xc4
	s_mov_b32 s11, 0
	s_mov_b64 s[6:7], s[2:3]
.LBB191_1159:                           ; =>This Inner Loop Header: Depth=1
	s_clause 0x1
	s_load_b256 s[12:19], s[6:7], 0x4
	s_load_b128 s[28:31], s[6:7], 0x24
	s_load_b256 s[20:27], s[4:5], 0x0
	s_add_co_i32 s11, s11, 4
	s_wait_xcnt 0x0
	s_add_nc_u64 s[6:7], s[6:7], 48
	s_cmp_lg_u32 s0, s11
	s_add_nc_u64 s[4:5], s[4:5], 32
	s_wait_kmcnt 0x0
	v_mul_hi_u32 v3, s13, v5
	s_delay_alu instid0(VALU_DEP_1) | instskip(NEXT) | instid1(VALU_DEP_1)
	v_add_nc_u32_e32 v3, v5, v3
	v_lshrrev_b32_e32 v3, s14, v3
	s_delay_alu instid0(VALU_DEP_1) | instskip(NEXT) | instid1(VALU_DEP_1)
	v_mul_hi_u32 v7, s16, v3
	v_add_nc_u32_e32 v7, v3, v7
	s_delay_alu instid0(VALU_DEP_1) | instskip(NEXT) | instid1(VALU_DEP_1)
	v_lshrrev_b32_e32 v7, s17, v7
	v_mul_hi_u32 v10, s19, v7
	s_delay_alu instid0(VALU_DEP_1) | instskip(NEXT) | instid1(VALU_DEP_1)
	v_add_nc_u32_e32 v10, v7, v10
	v_lshrrev_b32_e32 v10, s28, v10
	v_mul_lo_u32 v11, v3, s12
	s_delay_alu instid0(VALU_DEP_2) | instskip(NEXT) | instid1(VALU_DEP_2)
	v_mul_hi_u32 v13, s30, v10
	v_sub_nc_u32_e32 v5, v5, v11
	s_delay_alu instid0(VALU_DEP_1) | instskip(SKIP_1) | instid1(VALU_DEP_4)
	v_mad_u32 v14, v5, s21, v14
	v_mad_u32 v2, v5, s20, v2
	v_add_nc_u32_e32 v5, v10, v13
	s_delay_alu instid0(VALU_DEP_1) | instskip(SKIP_1) | instid1(VALU_DEP_1)
	v_lshrrev_b32_e32 v5, s31, v5
	v_mul_lo_u32 v11, v7, s15
	v_sub_nc_u32_e32 v3, v3, v11
	v_mul_lo_u32 v11, v10, s18
	s_delay_alu instid0(VALU_DEP_2) | instskip(SKIP_1) | instid1(VALU_DEP_3)
	v_mad_u32 v13, v3, s23, v14
	v_mad_u32 v2, v3, s22, v2
	v_sub_nc_u32_e32 v3, v7, v11
	v_mul_lo_u32 v7, v5, s29
	s_delay_alu instid0(VALU_DEP_2) | instskip(NEXT) | instid1(VALU_DEP_4)
	v_mad_u32 v11, v3, s25, v13
	v_mad_u32 v2, v3, s24, v2
	s_delay_alu instid0(VALU_DEP_3) | instskip(NEXT) | instid1(VALU_DEP_1)
	v_sub_nc_u32_e32 v3, v10, v7
	v_mad_u32 v14, v3, s27, v11
	s_delay_alu instid0(VALU_DEP_3)
	v_mad_u32 v2, v3, s26, v2
	s_cbranch_scc1 .LBB191_1159
; %bb.1160:
	s_delay_alu instid0(VALU_DEP_2)
	v_mov_b32_e32 v3, v14
	s_and_b32 s6, s1, 3
	s_mov_b32 s1, 0
	s_cmp_eq_u32 s6, 0
	s_cbranch_scc0 .LBB191_1164
	s_branch .LBB191_1167
.LBB191_1161:
	s_mov_b32 s10, -1
                                        ; implicit-def: $vgpr14
                                        ; implicit-def: $vgpr2
	s_branch .LBB191_1167
.LBB191_1162:
	v_dual_mov_b32 v14, 0 :: v_dual_mov_b32 v2, 0
	s_branch .LBB191_1167
.LBB191_1163:
	v_mov_b64_e32 v[2:3], 0
	v_mov_b32_e32 v5, v0
	s_mov_b32 s0, 0
                                        ; implicit-def: $vgpr14
	s_and_b32 s6, s1, 3
	s_mov_b32 s1, 0
	s_cmp_eq_u32 s6, 0
	s_cbranch_scc1 .LBB191_1167
.LBB191_1164:
	s_lshl_b32 s4, s0, 3
	s_mov_b32 s5, s1
	s_mul_u64 s[12:13], s[0:1], 12
	s_add_nc_u64 s[4:5], s[2:3], s[4:5]
	s_delay_alu instid0(SALU_CYCLE_1)
	s_add_nc_u64 s[0:1], s[4:5], 0xc4
	s_add_nc_u64 s[4:5], s[2:3], s[12:13]
.LBB191_1165:                           ; =>This Inner Loop Header: Depth=1
	s_load_b96 s[12:14], s[4:5], 0x4
	s_add_co_i32 s6, s6, -1
	s_wait_xcnt 0x0
	s_add_nc_u64 s[4:5], s[4:5], 12
	s_cmp_lg_u32 s6, 0
	s_wait_kmcnt 0x0
	v_mul_hi_u32 v7, s13, v5
	s_delay_alu instid0(VALU_DEP_1) | instskip(NEXT) | instid1(VALU_DEP_1)
	v_add_nc_u32_e32 v7, v5, v7
	v_lshrrev_b32_e32 v7, s14, v7
	s_load_b64 s[14:15], s[0:1], 0x0
	s_wait_xcnt 0x0
	s_add_nc_u64 s[0:1], s[0:1], 8
	s_delay_alu instid0(VALU_DEP_1) | instskip(NEXT) | instid1(VALU_DEP_1)
	v_mul_lo_u32 v10, v7, s12
	v_sub_nc_u32_e32 v5, v5, v10
	s_wait_kmcnt 0x0
	s_delay_alu instid0(VALU_DEP_1)
	v_mad_u32 v3, v5, s15, v3
	v_mad_u32 v2, v5, s14, v2
	v_mov_b32_e32 v5, v7
	s_cbranch_scc1 .LBB191_1165
; %bb.1166:
	s_delay_alu instid0(VALU_DEP_3)
	v_mov_b32_e32 v14, v3
.LBB191_1167:
	s_and_not1_b32 vcc_lo, exec_lo, s10
	s_cbranch_vccnz .LBB191_1170
; %bb.1168:
	s_clause 0x1
	s_load_b96 s[4:6], s[2:3], 0x4
	s_load_b64 s[0:1], s[2:3], 0xc4
	s_cmp_lt_u32 s33, 2
	s_wait_kmcnt 0x0
	v_mul_hi_u32 v2, s5, v0
	s_delay_alu instid0(VALU_DEP_1) | instskip(NEXT) | instid1(VALU_DEP_1)
	v_add_nc_u32_e32 v2, v0, v2
	v_lshrrev_b32_e32 v3, s6, v2
	s_delay_alu instid0(VALU_DEP_1) | instskip(NEXT) | instid1(VALU_DEP_1)
	v_mul_lo_u32 v2, v3, s4
	v_sub_nc_u32_e32 v0, v0, v2
	s_delay_alu instid0(VALU_DEP_1)
	v_mul_lo_u32 v14, v0, s1
	v_mul_lo_u32 v2, v0, s0
	s_cbranch_scc1 .LBB191_1170
; %bb.1169:
	s_clause 0x1
	s_load_b96 s[4:6], s[2:3], 0x10
	s_load_b64 s[0:1], s[2:3], 0xcc
	s_wait_kmcnt 0x0
	v_mul_hi_u32 v0, s5, v3
	s_delay_alu instid0(VALU_DEP_1) | instskip(NEXT) | instid1(VALU_DEP_1)
	v_add_nc_u32_e32 v0, v3, v0
	v_lshrrev_b32_e32 v0, s6, v0
	s_delay_alu instid0(VALU_DEP_1) | instskip(NEXT) | instid1(VALU_DEP_1)
	v_mul_lo_u32 v0, v0, s4
	v_sub_nc_u32_e32 v0, v3, v0
	s_delay_alu instid0(VALU_DEP_1)
	v_mad_u32 v2, v0, s0, v2
	v_mad_u32 v14, v0, s1, v14
.LBB191_1170:
	v_cmp_ne_u32_e32 vcc_lo, 1, v1
	s_cbranch_vccnz .LBB191_1176
; %bb.1171:
	s_cmp_lg_u32 s33, 0
	s_mov_b32 s10, 0
	s_cbranch_scc0 .LBB191_1177
; %bb.1172:
	s_min_u32 s1, s34, 15
	s_delay_alu instid0(SALU_CYCLE_1)
	s_add_co_i32 s1, s1, 1
	s_cmp_eq_u32 s34, 2
	s_cbranch_scc1 .LBB191_1178
; %bb.1173:
	v_dual_mov_b32 v0, 0 :: v_dual_mov_b32 v10, 0
	v_mov_b32_e32 v3, v9
	s_and_b32 s0, s1, 28
	s_add_nc_u64 s[4:5], s[2:3], 0xc4
	s_mov_b32 s11, 0
	s_mov_b64 s[6:7], s[2:3]
.LBB191_1174:                           ; =>This Inner Loop Header: Depth=1
	s_clause 0x1
	s_load_b256 s[12:19], s[6:7], 0x4
	s_load_b128 s[28:31], s[6:7], 0x24
	s_load_b256 s[20:27], s[4:5], 0x0
	s_add_co_i32 s11, s11, 4
	s_wait_xcnt 0x0
	s_add_nc_u64 s[6:7], s[6:7], 48
	s_cmp_lg_u32 s0, s11
	s_add_nc_u64 s[4:5], s[4:5], 32
	s_wait_kmcnt 0x0
	v_mul_hi_u32 v1, s13, v3
	s_delay_alu instid0(VALU_DEP_1) | instskip(NEXT) | instid1(VALU_DEP_1)
	v_add_nc_u32_e32 v1, v3, v1
	v_lshrrev_b32_e32 v1, s14, v1
	s_delay_alu instid0(VALU_DEP_1) | instskip(NEXT) | instid1(VALU_DEP_1)
	v_mul_lo_u32 v11, v1, s12
	v_sub_nc_u32_e32 v3, v3, v11
	v_mul_hi_u32 v5, s16, v1
	s_delay_alu instid0(VALU_DEP_2) | instskip(SKIP_1) | instid1(VALU_DEP_3)
	v_mad_u32 v10, v3, s21, v10
	v_mad_u32 v0, v3, s20, v0
	v_add_nc_u32_e32 v5, v1, v5
	s_delay_alu instid0(VALU_DEP_1) | instskip(NEXT) | instid1(VALU_DEP_1)
	v_lshrrev_b32_e32 v5, s17, v5
	v_mul_lo_u32 v11, v5, s15
	s_delay_alu instid0(VALU_DEP_1) | instskip(SKIP_1) | instid1(VALU_DEP_2)
	v_sub_nc_u32_e32 v1, v1, v11
	v_mul_hi_u32 v7, s19, v5
	v_mad_u32 v10, v1, s23, v10
	v_mad_u32 v0, v1, s22, v0
	s_delay_alu instid0(VALU_DEP_3) | instskip(NEXT) | instid1(VALU_DEP_1)
	v_add_nc_u32_e32 v7, v5, v7
	v_lshrrev_b32_e32 v7, s28, v7
	s_delay_alu instid0(VALU_DEP_1) | instskip(SKIP_1) | instid1(VALU_DEP_1)
	v_mul_hi_u32 v13, s30, v7
	v_mul_lo_u32 v11, v7, s18
	v_dual_add_nc_u32 v3, v7, v13 :: v_dual_sub_nc_u32 v1, v5, v11
	s_delay_alu instid0(VALU_DEP_1) | instskip(NEXT) | instid1(VALU_DEP_2)
	v_lshrrev_b32_e32 v3, s31, v3
	v_mad_u32 v10, v1, s25, v10
	v_mad_u32 v0, v1, s24, v0
	s_delay_alu instid0(VALU_DEP_3) | instskip(NEXT) | instid1(VALU_DEP_1)
	v_mul_lo_u32 v5, v3, s29
	v_sub_nc_u32_e32 v1, v7, v5
	s_delay_alu instid0(VALU_DEP_1) | instskip(NEXT) | instid1(VALU_DEP_4)
	v_mad_u32 v10, v1, s27, v10
	v_mad_u32 v0, v1, s26, v0
	s_cbranch_scc1 .LBB191_1174
; %bb.1175:
	s_delay_alu instid0(VALU_DEP_2)
	v_mov_b32_e32 v1, v10
	s_and_b32 s6, s1, 3
	s_mov_b32 s1, 0
	s_cmp_eq_u32 s6, 0
	s_cbranch_scc0 .LBB191_1179
	s_branch .LBB191_1182
.LBB191_1176:
	s_mov_b32 s10, -1
                                        ; implicit-def: $vgpr10
                                        ; implicit-def: $vgpr0
	s_branch .LBB191_1182
.LBB191_1177:
	v_dual_mov_b32 v10, 0 :: v_dual_mov_b32 v0, 0
	s_branch .LBB191_1182
.LBB191_1178:
	v_mov_b64_e32 v[0:1], 0
	v_mov_b32_e32 v3, v9
	s_mov_b32 s0, 0
                                        ; implicit-def: $vgpr10
	s_and_b32 s6, s1, 3
	s_mov_b32 s1, 0
	s_cmp_eq_u32 s6, 0
	s_cbranch_scc1 .LBB191_1182
.LBB191_1179:
	s_lshl_b32 s4, s0, 3
	s_mov_b32 s5, s1
	s_mul_u64 s[12:13], s[0:1], 12
	s_add_nc_u64 s[4:5], s[2:3], s[4:5]
	s_delay_alu instid0(SALU_CYCLE_1)
	s_add_nc_u64 s[0:1], s[4:5], 0xc4
	s_add_nc_u64 s[4:5], s[2:3], s[12:13]
.LBB191_1180:                           ; =>This Inner Loop Header: Depth=1
	s_load_b96 s[12:14], s[4:5], 0x4
	s_add_co_i32 s6, s6, -1
	s_wait_xcnt 0x0
	s_add_nc_u64 s[4:5], s[4:5], 12
	s_cmp_lg_u32 s6, 0
	s_wait_kmcnt 0x0
	v_mul_hi_u32 v5, s13, v3
	s_delay_alu instid0(VALU_DEP_1) | instskip(NEXT) | instid1(VALU_DEP_1)
	v_add_nc_u32_e32 v5, v3, v5
	v_lshrrev_b32_e32 v5, s14, v5
	s_load_b64 s[14:15], s[0:1], 0x0
	s_wait_xcnt 0x0
	s_add_nc_u64 s[0:1], s[0:1], 8
	s_delay_alu instid0(VALU_DEP_1) | instskip(NEXT) | instid1(VALU_DEP_1)
	v_mul_lo_u32 v7, v5, s12
	v_sub_nc_u32_e32 v3, v3, v7
	s_wait_kmcnt 0x0
	s_delay_alu instid0(VALU_DEP_1)
	v_mad_u32 v1, v3, s15, v1
	v_mad_u32 v0, v3, s14, v0
	v_mov_b32_e32 v3, v5
	s_cbranch_scc1 .LBB191_1180
; %bb.1181:
	s_delay_alu instid0(VALU_DEP_3)
	v_mov_b32_e32 v10, v1
.LBB191_1182:
	s_and_not1_b32 vcc_lo, exec_lo, s10
	s_cbranch_vccnz .LBB191_1185
; %bb.1183:
	s_clause 0x1
	s_load_b96 s[4:6], s[2:3], 0x4
	s_load_b64 s[0:1], s[2:3], 0xc4
	s_cmp_lt_u32 s33, 2
	s_wait_kmcnt 0x0
	v_mul_hi_u32 v0, s5, v9
	s_delay_alu instid0(VALU_DEP_1) | instskip(NEXT) | instid1(VALU_DEP_1)
	v_add_nc_u32_e32 v0, v9, v0
	v_lshrrev_b32_e32 v1, s6, v0
	s_delay_alu instid0(VALU_DEP_1) | instskip(NEXT) | instid1(VALU_DEP_1)
	v_mul_lo_u32 v0, v1, s4
	v_sub_nc_u32_e32 v0, v9, v0
	s_delay_alu instid0(VALU_DEP_1)
	v_mul_lo_u32 v10, v0, s1
	v_mul_lo_u32 v0, v0, s0
	s_cbranch_scc1 .LBB191_1185
; %bb.1184:
	s_clause 0x1
	s_load_b96 s[4:6], s[2:3], 0x10
	s_load_b64 s[0:1], s[2:3], 0xcc
	s_wait_kmcnt 0x0
	v_mul_hi_u32 v3, s5, v1
	s_delay_alu instid0(VALU_DEP_1) | instskip(NEXT) | instid1(VALU_DEP_1)
	v_add_nc_u32_e32 v3, v1, v3
	v_lshrrev_b32_e32 v3, s6, v3
	s_delay_alu instid0(VALU_DEP_1) | instskip(NEXT) | instid1(VALU_DEP_1)
	v_mul_lo_u32 v3, v3, s4
	v_sub_nc_u32_e32 v1, v1, v3
	s_delay_alu instid0(VALU_DEP_1)
	v_mad_u32 v0, v1, s0, v0
	v_mad_u32 v10, v1, s1, v10
.LBB191_1185:
	v_mov_b32_e32 v9, 0
	s_load_b128 s[4:7], s[2:3], 0x148
	global_load_u8 v1, v9, s[2:3] offset:357
	s_wait_kmcnt 0x0
	v_add_nc_u64_e32 v[8:9], s[6:7], v[8:9]
	s_wait_loadcnt 0x0
	v_and_b32_e32 v3, 0xffff, v1
	v_readfirstlane_b32 s11, v1
	s_delay_alu instid0(VALU_DEP_2)
	v_cmp_gt_i32_e32 vcc_lo, 11, v3
	s_cbranch_vccnz .LBB191_1192
; %bb.1186:
	s_and_b32 s0, 0xffff, s11
	s_mov_b32 s12, 0
	s_cmp_gt_i32 s0, 25
	s_cbranch_scc0 .LBB191_1194
; %bb.1187:
	s_cmp_gt_i32 s0, 28
	s_cbranch_scc0 .LBB191_1195
; %bb.1188:
	;; [unrolled: 3-line block ×4, first 2 shown]
	s_cmp_eq_u32 s0, 46
	s_mov_b32 s10, 0
	s_cbranch_scc0 .LBB191_1200
; %bb.1191:
	global_load_b32 v1, v[8:9], off
	s_mov_b32 s1, 0
	s_mov_b32 s13, -1
	s_wait_loadcnt 0x0
	v_lshlrev_b32_e32 v1, 16, v1
	s_delay_alu instid0(VALU_DEP_1)
	v_cvt_i32_f32_e32 v1, v1
	s_branch .LBB191_1202
.LBB191_1192:
	s_mov_b32 s13, 0
	s_mov_b32 s10, s8
                                        ; implicit-def: $vgpr1
	s_cbranch_execnz .LBB191_1260
.LBB191_1193:
	s_and_not1_b32 vcc_lo, exec_lo, s13
	s_cbranch_vccz .LBB191_1305
	s_branch .LBB191_1719
.LBB191_1194:
	s_mov_b32 s13, 0
	s_mov_b32 s1, 0
                                        ; implicit-def: $vgpr1
	s_cbranch_execnz .LBB191_1227
	s_branch .LBB191_1256
.LBB191_1195:
	s_mov_b32 s13, 0
	s_mov_b32 s1, 0
                                        ; implicit-def: $vgpr1
	s_cbranch_execz .LBB191_1226
	s_branch .LBB191_1211
.LBB191_1196:
	s_mov_b32 s13, 0
	s_mov_b32 s1, 0
                                        ; implicit-def: $vgpr1
	s_cbranch_execnz .LBB191_1207
	s_branch .LBB191_1210
.LBB191_1197:
	s_mov_b32 s10, -1
	s_mov_b32 s13, 0
	s_mov_b32 s1, 0
	s_branch .LBB191_1201
.LBB191_1198:
	s_and_not1_saveexec_b32 s9, s9
	s_cbranch_execz .LBB191_1037
.LBB191_1199:
	v_add_f32_e64 v2, 0x46000000, |v1|
	s_and_not1_b32 s8, s8, exec_lo
	s_delay_alu instid0(VALU_DEP_1) | instskip(NEXT) | instid1(VALU_DEP_1)
	v_and_b32_e32 v2, 0xff, v2
	v_cmp_ne_u32_e32 vcc_lo, 0, v2
	s_and_b32 s10, vcc_lo, exec_lo
	s_delay_alu instid0(SALU_CYCLE_1)
	s_or_b32 s8, s8, s10
	s_or_b32 exec_lo, exec_lo, s9
	v_mov_b32_e32 v3, 0
	s_and_saveexec_b32 s9, s8
	s_cbranch_execnz .LBB191_1038
	s_branch .LBB191_1039
.LBB191_1200:
	s_mov_b32 s1, -1
	s_mov_b32 s13, 0
.LBB191_1201:
                                        ; implicit-def: $vgpr1
.LBB191_1202:
	s_and_b32 vcc_lo, exec_lo, s10
	s_cbranch_vccz .LBB191_1205
; %bb.1203:
	s_cmp_eq_u32 s0, 44
	s_cbranch_scc0 .LBB191_1206
; %bb.1204:
	global_load_u8 v1, v[8:9], off
	s_mov_b32 s1, 0
	s_mov_b32 s13, -1
	s_wait_loadcnt 0x0
	v_lshlrev_b32_e32 v3, 23, v1
	v_cmp_ne_u32_e32 vcc_lo, 0, v1
	s_delay_alu instid0(VALU_DEP_2) | instskip(NEXT) | instid1(VALU_DEP_1)
	v_cvt_i32_f32_e32 v3, v3
	v_cndmask_b32_e32 v1, 0, v3, vcc_lo
.LBB191_1205:
	s_branch .LBB191_1210
.LBB191_1206:
	s_mov_b32 s1, -1
                                        ; implicit-def: $vgpr1
	s_branch .LBB191_1210
.LBB191_1207:
	s_cmp_eq_u32 s0, 29
	s_cbranch_scc0 .LBB191_1209
; %bb.1208:
	global_load_b32 v1, v[8:9], off
	s_mov_b32 s1, 0
	s_mov_b32 s13, -1
	s_branch .LBB191_1210
.LBB191_1209:
	s_mov_b32 s1, -1
                                        ; implicit-def: $vgpr1
.LBB191_1210:
	s_branch .LBB191_1226
.LBB191_1211:
	s_cmp_lt_i32 s0, 27
	s_cbranch_scc1 .LBB191_1214
; %bb.1212:
	s_cmp_gt_i32 s0, 27
	s_cbranch_scc0 .LBB191_1215
; %bb.1213:
	s_wait_loadcnt 0x0
	global_load_b32 v1, v[8:9], off
	s_mov_b32 s10, 0
	s_branch .LBB191_1216
.LBB191_1214:
	s_mov_b32 s10, -1
                                        ; implicit-def: $vgpr1
	s_branch .LBB191_1219
.LBB191_1215:
	s_mov_b32 s10, -1
                                        ; implicit-def: $vgpr1
.LBB191_1216:
	s_delay_alu instid0(SALU_CYCLE_1)
	s_and_not1_b32 vcc_lo, exec_lo, s10
	s_cbranch_vccnz .LBB191_1218
; %bb.1217:
	s_wait_loadcnt 0x0
	global_load_u16 v1, v[8:9], off
.LBB191_1218:
	s_mov_b32 s10, 0
.LBB191_1219:
	s_delay_alu instid0(SALU_CYCLE_1)
	s_and_not1_b32 vcc_lo, exec_lo, s10
	s_cbranch_vccnz .LBB191_1225
; %bb.1220:
	global_load_u8 v3, v[8:9], off
	s_mov_b32 s13, 0
	s_mov_b32 s10, exec_lo
	s_wait_loadcnt 0x0
	v_cmpx_lt_i16_e32 0x7f, v3
	s_xor_b32 s10, exec_lo, s10
	s_cbranch_execz .LBB191_1236
; %bb.1221:
	v_cmp_ne_u16_e32 vcc_lo, 0x80, v3
	s_and_b32 s13, vcc_lo, exec_lo
	s_and_not1_saveexec_b32 s10, s10
	s_cbranch_execnz .LBB191_1237
.LBB191_1222:
	s_or_b32 exec_lo, exec_lo, s10
	v_mov_b32_e32 v1, 0
	s_and_saveexec_b32 s10, s13
	s_cbranch_execz .LBB191_1224
.LBB191_1223:
	v_and_b32_e32 v1, 0xffff, v3
	s_delay_alu instid0(VALU_DEP_1) | instskip(SKIP_1) | instid1(VALU_DEP_2)
	v_and_b32_e32 v5, 7, v1
	v_bfe_u32 v13, v1, 3, 4
	v_clz_i32_u32_e32 v7, v5
	s_delay_alu instid0(VALU_DEP_2) | instskip(NEXT) | instid1(VALU_DEP_2)
	v_cmp_eq_u32_e32 vcc_lo, 0, v13
	v_min_u32_e32 v7, 32, v7
	s_delay_alu instid0(VALU_DEP_1) | instskip(NEXT) | instid1(VALU_DEP_1)
	v_subrev_nc_u32_e32 v11, 28, v7
	v_dual_lshlrev_b32 v1, v11, v1 :: v_dual_sub_nc_u32 v7, 29, v7
	s_delay_alu instid0(VALU_DEP_1) | instskip(NEXT) | instid1(VALU_DEP_1)
	v_dual_lshlrev_b32 v3, 24, v3 :: v_dual_bitop2_b32 v1, 7, v1 bitop3:0x40
	v_cndmask_b32_e32 v1, v5, v1, vcc_lo
	s_delay_alu instid0(VALU_DEP_3) | instskip(NEXT) | instid1(VALU_DEP_3)
	v_cndmask_b32_e32 v7, v13, v7, vcc_lo
	v_and_b32_e32 v3, 0x80000000, v3
	s_delay_alu instid0(VALU_DEP_3) | instskip(NEXT) | instid1(VALU_DEP_3)
	v_lshlrev_b32_e32 v1, 20, v1
	v_lshl_add_u32 v5, v7, 23, 0x3b800000
	s_delay_alu instid0(VALU_DEP_1) | instskip(NEXT) | instid1(VALU_DEP_1)
	v_or3_b32 v1, v3, v5, v1
	v_cvt_i32_f32_e32 v1, v1
.LBB191_1224:
	s_or_b32 exec_lo, exec_lo, s10
.LBB191_1225:
	s_mov_b32 s13, -1
.LBB191_1226:
	s_branch .LBB191_1256
.LBB191_1227:
	s_cmp_gt_i32 s0, 22
	s_cbranch_scc0 .LBB191_1235
; %bb.1228:
	s_cmp_lt_i32 s0, 24
	s_cbranch_scc1 .LBB191_1238
; %bb.1229:
	s_cmp_gt_i32 s0, 24
	s_cbranch_scc0 .LBB191_1239
; %bb.1230:
	global_load_u8 v3, v[8:9], off
	s_mov_b32 s10, exec_lo
	s_wait_loadcnt 0x0
	v_cmpx_lt_i16_e32 0x7f, v3
	s_xor_b32 s10, exec_lo, s10
	s_cbranch_execz .LBB191_1250
; %bb.1231:
	v_cmp_ne_u16_e32 vcc_lo, 0x80, v3
	s_and_b32 s12, vcc_lo, exec_lo
	s_and_not1_saveexec_b32 s10, s10
	s_cbranch_execnz .LBB191_1251
.LBB191_1232:
	s_or_b32 exec_lo, exec_lo, s10
	v_mov_b32_e32 v1, 0
	s_and_saveexec_b32 s10, s12
	s_cbranch_execz .LBB191_1234
.LBB191_1233:
	v_and_b32_e32 v1, 0xffff, v3
	s_delay_alu instid0(VALU_DEP_1) | instskip(SKIP_1) | instid1(VALU_DEP_2)
	v_and_b32_e32 v5, 3, v1
	v_bfe_u32 v13, v1, 2, 5
	v_clz_i32_u32_e32 v7, v5
	s_delay_alu instid0(VALU_DEP_2) | instskip(NEXT) | instid1(VALU_DEP_2)
	v_cmp_eq_u32_e32 vcc_lo, 0, v13
	v_min_u32_e32 v7, 32, v7
	s_delay_alu instid0(VALU_DEP_1) | instskip(NEXT) | instid1(VALU_DEP_1)
	v_subrev_nc_u32_e32 v11, 29, v7
	v_dual_lshlrev_b32 v1, v11, v1 :: v_dual_sub_nc_u32 v7, 30, v7
	s_delay_alu instid0(VALU_DEP_1) | instskip(NEXT) | instid1(VALU_DEP_1)
	v_dual_lshlrev_b32 v3, 24, v3 :: v_dual_bitop2_b32 v1, 3, v1 bitop3:0x40
	v_cndmask_b32_e32 v1, v5, v1, vcc_lo
	s_delay_alu instid0(VALU_DEP_3) | instskip(NEXT) | instid1(VALU_DEP_3)
	v_cndmask_b32_e32 v7, v13, v7, vcc_lo
	v_and_b32_e32 v3, 0x80000000, v3
	s_delay_alu instid0(VALU_DEP_3) | instskip(NEXT) | instid1(VALU_DEP_3)
	v_lshlrev_b32_e32 v1, 21, v1
	v_lshl_add_u32 v5, v7, 23, 0x37800000
	s_delay_alu instid0(VALU_DEP_1) | instskip(NEXT) | instid1(VALU_DEP_1)
	v_or3_b32 v1, v3, v5, v1
	v_cvt_i32_f32_e32 v1, v1
.LBB191_1234:
	s_or_b32 exec_lo, exec_lo, s10
	s_mov_b32 s10, 0
	s_branch .LBB191_1240
.LBB191_1235:
                                        ; implicit-def: $vgpr1
	s_mov_b32 s12, 0
	s_branch .LBB191_1246
.LBB191_1236:
	s_and_not1_saveexec_b32 s10, s10
	s_cbranch_execz .LBB191_1222
.LBB191_1237:
	v_cmp_ne_u16_e32 vcc_lo, 0, v3
	s_and_not1_b32 s13, s13, exec_lo
	s_and_b32 s14, vcc_lo, exec_lo
	s_delay_alu instid0(SALU_CYCLE_1)
	s_or_b32 s13, s13, s14
	s_or_b32 exec_lo, exec_lo, s10
	v_mov_b32_e32 v1, 0
	s_and_saveexec_b32 s10, s13
	s_cbranch_execnz .LBB191_1223
	s_branch .LBB191_1224
.LBB191_1238:
	s_mov_b32 s10, -1
                                        ; implicit-def: $vgpr1
	s_branch .LBB191_1243
.LBB191_1239:
	s_mov_b32 s10, -1
                                        ; implicit-def: $vgpr1
.LBB191_1240:
	s_delay_alu instid0(SALU_CYCLE_1)
	s_and_b32 vcc_lo, exec_lo, s10
	s_cbranch_vccz .LBB191_1242
; %bb.1241:
	s_wait_loadcnt 0x0
	global_load_u8 v1, v[8:9], off
	s_wait_loadcnt 0x0
	v_lshlrev_b32_e32 v1, 24, v1
	s_delay_alu instid0(VALU_DEP_1) | instskip(NEXT) | instid1(VALU_DEP_1)
	v_and_b32_e32 v3, 0x7f000000, v1
	v_clz_i32_u32_e32 v5, v3
	v_add_nc_u32_e32 v11, 0x1000000, v3
	v_cmp_ne_u32_e32 vcc_lo, 0, v3
	s_delay_alu instid0(VALU_DEP_3) | instskip(NEXT) | instid1(VALU_DEP_1)
	v_min_u32_e32 v5, 32, v5
	v_sub_nc_u32_e64 v5, v5, 4 clamp
	s_delay_alu instid0(VALU_DEP_1) | instskip(NEXT) | instid1(VALU_DEP_1)
	v_dual_lshlrev_b32 v7, v5, v3 :: v_dual_lshlrev_b32 v5, 23, v5
	v_lshrrev_b32_e32 v7, 4, v7
	s_delay_alu instid0(VALU_DEP_1) | instskip(NEXT) | instid1(VALU_DEP_1)
	v_dual_sub_nc_u32 v5, v7, v5 :: v_dual_ashrrev_i32 v7, 8, v11
	v_add_nc_u32_e32 v5, 0x3c000000, v5
	s_delay_alu instid0(VALU_DEP_1) | instskip(NEXT) | instid1(VALU_DEP_1)
	v_and_or_b32 v5, 0x7f800000, v7, v5
	v_cndmask_b32_e32 v3, 0, v5, vcc_lo
	s_delay_alu instid0(VALU_DEP_1) | instskip(NEXT) | instid1(VALU_DEP_1)
	v_and_or_b32 v1, 0x80000000, v1, v3
	v_cvt_i32_f32_e32 v1, v1
.LBB191_1242:
	s_mov_b32 s10, 0
.LBB191_1243:
	s_delay_alu instid0(SALU_CYCLE_1)
	s_and_not1_b32 vcc_lo, exec_lo, s10
	s_cbranch_vccnz .LBB191_1245
; %bb.1244:
	s_wait_loadcnt 0x0
	global_load_u8 v1, v[8:9], off
	s_wait_loadcnt 0x0
	v_lshlrev_b32_e32 v3, 25, v1
	v_lshlrev_b16 v1, 8, v1
	s_delay_alu instid0(VALU_DEP_1) | instskip(SKIP_1) | instid1(VALU_DEP_2)
	v_and_or_b32 v7, 0x7f00, v1, 0.5
	v_bfe_i32 v1, v1, 0, 16
	v_add_f32_e32 v7, -0.5, v7
	v_lshrrev_b32_e32 v5, 4, v3
	v_cmp_gt_u32_e32 vcc_lo, 0x8000000, v3
	s_delay_alu instid0(VALU_DEP_2) | instskip(NEXT) | instid1(VALU_DEP_1)
	v_or_b32_e32 v5, 0x70000000, v5
	v_mul_f32_e32 v5, 0x7800000, v5
	s_delay_alu instid0(VALU_DEP_1) | instskip(NEXT) | instid1(VALU_DEP_1)
	v_cndmask_b32_e32 v3, v5, v7, vcc_lo
	v_and_or_b32 v1, 0x80000000, v1, v3
	s_delay_alu instid0(VALU_DEP_1)
	v_cvt_i32_f32_e32 v1, v1
.LBB191_1245:
	s_mov_b32 s13, -1
	s_mov_b32 s12, 0
	s_cbranch_execnz .LBB191_1256
.LBB191_1246:
	s_cmp_gt_i32 s0, 14
	s_cbranch_scc0 .LBB191_1249
; %bb.1247:
	s_cmp_eq_u32 s0, 15
	s_cbranch_scc0 .LBB191_1252
; %bb.1248:
	s_wait_loadcnt 0x0
	global_load_u16 v1, v[8:9], off
	s_mov_b32 s1, 0
	s_mov_b32 s13, -1
	s_wait_loadcnt 0x0
	v_lshlrev_b32_e32 v1, 16, v1
	s_delay_alu instid0(VALU_DEP_1)
	v_cvt_i32_f32_e32 v1, v1
	s_branch .LBB191_1253
.LBB191_1249:
	s_mov_b32 s10, -1
                                        ; implicit-def: $vgpr1
	s_branch .LBB191_1254
.LBB191_1250:
	s_and_not1_saveexec_b32 s10, s10
	s_cbranch_execz .LBB191_1232
.LBB191_1251:
	v_cmp_ne_u16_e32 vcc_lo, 0, v3
	s_and_not1_b32 s12, s12, exec_lo
	s_and_b32 s13, vcc_lo, exec_lo
	s_delay_alu instid0(SALU_CYCLE_1)
	s_or_b32 s12, s12, s13
	s_or_b32 exec_lo, exec_lo, s10
	v_mov_b32_e32 v1, 0
	s_and_saveexec_b32 s10, s12
	s_cbranch_execnz .LBB191_1233
	s_branch .LBB191_1234
.LBB191_1252:
	s_mov_b32 s1, -1
                                        ; implicit-def: $vgpr1
.LBB191_1253:
	s_mov_b32 s10, 0
.LBB191_1254:
	s_delay_alu instid0(SALU_CYCLE_1)
	s_and_b32 vcc_lo, exec_lo, s10
	s_cbranch_vccz .LBB191_1256
; %bb.1255:
	s_cmp_lg_u32 s0, 11
	s_mov_b32 s12, -1
	s_cselect_b32 s1, -1, 0
.LBB191_1256:
	s_delay_alu instid0(SALU_CYCLE_1)
	s_and_b32 vcc_lo, exec_lo, s1
	s_mov_b32 s10, s8
	s_cbranch_vccnz .LBB191_1327
; %bb.1257:
	s_and_not1_b32 vcc_lo, exec_lo, s12
	s_cbranch_vccnz .LBB191_1259
.LBB191_1258:
	s_wait_loadcnt 0x0
	global_load_u8 v1, v[8:9], off
	s_mov_b32 s13, -1
	s_wait_loadcnt 0x0
	v_cmp_ne_u16_e32 vcc_lo, 0, v1
	v_cndmask_b32_e64 v1, 0, 1, vcc_lo
.LBB191_1259:
	s_branch .LBB191_1193
.LBB191_1260:
	s_and_b32 s0, 0xffff, s11
	s_delay_alu instid0(SALU_CYCLE_1)
	s_cmp_lt_i32 s0, 5
	s_cbranch_scc1 .LBB191_1265
; %bb.1261:
	s_cmp_lt_i32 s0, 8
	s_cbranch_scc1 .LBB191_1266
; %bb.1262:
	;; [unrolled: 3-line block ×3, first 2 shown]
	s_cmp_gt_i32 s0, 9
	s_cbranch_scc0 .LBB191_1268
; %bb.1264:
	global_load_b64 v[16:17], v[8:9], off
	s_mov_b32 s1, 0
	s_wait_loadcnt 0x0
	v_cvt_i32_f64_e32 v1, v[16:17]
	s_branch .LBB191_1269
.LBB191_1265:
                                        ; implicit-def: $vgpr1
	s_branch .LBB191_1286
.LBB191_1266:
                                        ; implicit-def: $vgpr1
	s_branch .LBB191_1275
.LBB191_1267:
	s_mov_b32 s1, -1
                                        ; implicit-def: $vgpr1
	s_branch .LBB191_1272
.LBB191_1268:
	s_mov_b32 s1, -1
                                        ; implicit-def: $vgpr1
.LBB191_1269:
	s_delay_alu instid0(SALU_CYCLE_1)
	s_and_not1_b32 vcc_lo, exec_lo, s1
	s_cbranch_vccnz .LBB191_1271
; %bb.1270:
	s_wait_loadcnt 0x0
	global_load_b32 v1, v[8:9], off
	s_wait_loadcnt 0x0
	v_cvt_i32_f32_e32 v1, v1
.LBB191_1271:
	s_mov_b32 s1, 0
.LBB191_1272:
	s_delay_alu instid0(SALU_CYCLE_1)
	s_and_not1_b32 vcc_lo, exec_lo, s1
	s_cbranch_vccnz .LBB191_1274
; %bb.1273:
	s_wait_loadcnt 0x0
	global_load_b32 v1, v[8:9], off
	s_wait_loadcnt 0x0
	v_cvt_f32_f16_e32 v1, v1
	s_delay_alu instid0(VALU_DEP_1)
	v_cvt_i32_f32_e32 v1, v1
.LBB191_1274:
	s_cbranch_execnz .LBB191_1285
.LBB191_1275:
	s_cmp_lt_i32 s0, 6
	s_cbranch_scc1 .LBB191_1278
; %bb.1276:
	s_cmp_gt_i32 s0, 6
	s_cbranch_scc0 .LBB191_1279
; %bb.1277:
	global_load_b64 v[16:17], v[8:9], off
	s_mov_b32 s1, 0
	s_wait_loadcnt 0x0
	v_cvt_i32_f64_e32 v1, v[16:17]
	s_branch .LBB191_1280
.LBB191_1278:
	s_mov_b32 s1, -1
                                        ; implicit-def: $vgpr1
	s_branch .LBB191_1283
.LBB191_1279:
	s_mov_b32 s1, -1
                                        ; implicit-def: $vgpr1
.LBB191_1280:
	s_delay_alu instid0(SALU_CYCLE_1)
	s_and_not1_b32 vcc_lo, exec_lo, s1
	s_cbranch_vccnz .LBB191_1282
; %bb.1281:
	s_wait_loadcnt 0x0
	global_load_b32 v1, v[8:9], off
	s_wait_loadcnt 0x0
	v_cvt_i32_f32_e32 v1, v1
.LBB191_1282:
	s_mov_b32 s1, 0
.LBB191_1283:
	s_delay_alu instid0(SALU_CYCLE_1)
	s_and_not1_b32 vcc_lo, exec_lo, s1
	s_cbranch_vccnz .LBB191_1285
; %bb.1284:
	s_wait_loadcnt 0x0
	global_load_u16 v1, v[8:9], off
	s_wait_loadcnt 0x0
	v_cvt_f32_f16_e32 v1, v1
	s_delay_alu instid0(VALU_DEP_1)
	v_cvt_i32_f32_e32 v1, v1
.LBB191_1285:
	s_cbranch_execnz .LBB191_1304
.LBB191_1286:
	s_cmp_lt_i32 s0, 2
	s_cbranch_scc1 .LBB191_1290
; %bb.1287:
	s_cmp_lt_i32 s0, 3
	s_cbranch_scc1 .LBB191_1291
; %bb.1288:
	s_cmp_gt_i32 s0, 3
	s_cbranch_scc0 .LBB191_1292
; %bb.1289:
	s_wait_loadcnt 0x0
	global_load_b32 v1, v[8:9], off
	s_mov_b32 s1, 0
	s_branch .LBB191_1293
.LBB191_1290:
                                        ; implicit-def: $vgpr1
	s_branch .LBB191_1299
.LBB191_1291:
	s_mov_b32 s1, -1
                                        ; implicit-def: $vgpr1
	s_branch .LBB191_1296
.LBB191_1292:
	s_mov_b32 s1, -1
                                        ; implicit-def: $vgpr1
.LBB191_1293:
	s_delay_alu instid0(SALU_CYCLE_1)
	s_and_not1_b32 vcc_lo, exec_lo, s1
	s_cbranch_vccnz .LBB191_1295
; %bb.1294:
	s_wait_loadcnt 0x0
	global_load_b32 v1, v[8:9], off
.LBB191_1295:
	s_mov_b32 s1, 0
.LBB191_1296:
	s_delay_alu instid0(SALU_CYCLE_1)
	s_and_not1_b32 vcc_lo, exec_lo, s1
	s_cbranch_vccnz .LBB191_1298
; %bb.1297:
	s_wait_loadcnt 0x0
	global_load_i16 v1, v[8:9], off
.LBB191_1298:
	s_cbranch_execnz .LBB191_1304
.LBB191_1299:
	s_cmp_gt_i32 s0, 0
	s_mov_b32 s0, 0
	s_cbranch_scc0 .LBB191_1301
; %bb.1300:
	s_wait_loadcnt 0x0
	global_load_i8 v1, v[8:9], off
	s_branch .LBB191_1302
.LBB191_1301:
	s_mov_b32 s0, -1
                                        ; implicit-def: $vgpr1
.LBB191_1302:
	s_delay_alu instid0(SALU_CYCLE_1)
	s_and_not1_b32 vcc_lo, exec_lo, s0
	s_cbranch_vccnz .LBB191_1304
; %bb.1303:
	s_wait_loadcnt 0x0
	global_load_u8 v1, v[8:9], off
.LBB191_1304:
.LBB191_1305:
	s_load_b64 s[0:1], s[2:3], 0x158
	s_mov_b32 s12, 0
	s_wait_kmcnt 0x0
	s_cmp_lt_i32 s0, 1
	s_cbranch_scc1 .LBB191_1308
; %bb.1306:
	s_cmp_eq_u32 s0, 1
	s_cbranch_scc0 .LBB191_1323
; %bb.1307:
	s_wait_loadcnt 0x0
	s_delay_alu instid0(VALU_DEP_1)
	v_min_i32_e32 v8, s1, v1
	s_mov_b32 s13, 0
	s_branch .LBB191_1310
.LBB191_1308:
	s_mov_b32 s13, 0
                                        ; implicit-def: $vgpr8
	s_cbranch_execz .LBB191_1310
; %bb.1309:
	s_cmp_lg_u32 s0, 0
	s_mov_b32 s12, -1
	s_cselect_b32 s13, -1, 0
.LBB191_1310:
	s_delay_alu instid0(SALU_CYCLE_1)
	s_and_not1_b32 vcc_lo, exec_lo, s13
	s_cbranch_vccnz .LBB191_1312
; %bb.1311:
	s_load_b32 s12, s[2:3], 0x160
	s_wait_loadcnt 0x0
	s_wait_kmcnt 0x0
	s_delay_alu instid0(VALU_DEP_1)
	v_maxmin_i32 v8, v1, s1, s12
	s_cbranch_execz .LBB191_1313
	s_branch .LBB191_1314
.LBB191_1312:
	s_and_not1_b32 vcc_lo, exec_lo, s12
	s_cbranch_vccnz .LBB191_1314
.LBB191_1313:
	s_wait_loadcnt 0x0
	s_delay_alu instid0(VALU_DEP_1)
	v_max_i32_e32 v8, s1, v1
.LBB191_1314:
	v_mov_b32_e32 v13, 0
	s_and_b32 s11, 0xffff, s11
	s_delay_alu instid0(SALU_CYCLE_1) | instskip(NEXT) | instid1(VALU_DEP_1)
	s_cmp_lt_i32 s11, 11
	v_add_nc_u64_e32 v[12:13], s[6:7], v[12:13]
	s_cbranch_scc1 .LBB191_1321
; %bb.1315:
	s_cmp_gt_i32 s11, 25
	s_mov_b32 s13, 0
	s_cbranch_scc0 .LBB191_1324
; %bb.1316:
	s_cmp_gt_i32 s11, 28
	s_cbranch_scc0 .LBB191_1325
; %bb.1317:
	s_cmp_gt_i32 s11, 43
	;; [unrolled: 3-line block ×3, first 2 shown]
	s_cbranch_scc0 .LBB191_1328
; %bb.1319:
	s_cmp_eq_u32 s11, 46
	s_mov_b32 s15, 0
	s_cbranch_scc0 .LBB191_1331
; %bb.1320:
	s_wait_loadcnt 0x0
	global_load_b32 v1, v[12:13], off
	s_mov_b32 s12, 0
	s_mov_b32 s14, -1
	s_wait_loadcnt 0x0
	v_lshlrev_b32_e32 v1, 16, v1
	s_delay_alu instid0(VALU_DEP_1)
	v_cvt_i32_f32_e32 v1, v1
	s_branch .LBB191_1333
.LBB191_1321:
	s_mov_b32 s14, 0
                                        ; implicit-def: $vgpr1
	s_cbranch_execnz .LBB191_1394
.LBB191_1322:
	s_and_not1_b32 vcc_lo, exec_lo, s14
	s_cbranch_vccnz .LBB191_1719
	s_branch .LBB191_1441
.LBB191_1323:
	s_mov_b32 s13, -1
                                        ; implicit-def: $vgpr8
	s_branch .LBB191_1310
.LBB191_1324:
	s_mov_b32 s14, 0
	s_mov_b32 s12, 0
                                        ; implicit-def: $vgpr1
	s_cbranch_execnz .LBB191_1360
	s_branch .LBB191_1390
.LBB191_1325:
	s_mov_b32 s15, -1
	s_mov_b32 s14, 0
	s_mov_b32 s12, 0
                                        ; implicit-def: $vgpr1
	s_branch .LBB191_1343
.LBB191_1326:
	s_mov_b32 s15, -1
	s_mov_b32 s14, 0
	s_mov_b32 s12, 0
                                        ; implicit-def: $vgpr1
	s_branch .LBB191_1338
.LBB191_1327:
	s_or_b32 s10, s8, exec_lo
	s_trap 2
	s_cbranch_execz .LBB191_1258
	s_branch .LBB191_1259
.LBB191_1328:
	s_mov_b32 s15, -1
	s_mov_b32 s14, 0
	s_mov_b32 s12, 0
	s_branch .LBB191_1332
.LBB191_1329:
	s_and_not1_saveexec_b32 s10, s10
	s_cbranch_execz .LBB191_1049
.LBB191_1330:
	v_add_f32_e64 v2, 0x42800000, |v1|
	s_and_not1_b32 s9, s9, exec_lo
	s_delay_alu instid0(VALU_DEP_1) | instskip(NEXT) | instid1(VALU_DEP_1)
	v_and_b32_e32 v2, 0xff, v2
	v_cmp_ne_u32_e32 vcc_lo, 0, v2
	s_and_b32 s11, vcc_lo, exec_lo
	s_delay_alu instid0(SALU_CYCLE_1)
	s_or_b32 s9, s9, s11
	s_or_b32 exec_lo, exec_lo, s10
	v_mov_b32_e32 v3, 0
	s_and_saveexec_b32 s10, s9
	s_cbranch_execnz .LBB191_1050
	s_branch .LBB191_1051
.LBB191_1331:
	s_mov_b32 s12, -1
	s_mov_b32 s14, 0
.LBB191_1332:
                                        ; implicit-def: $vgpr1
.LBB191_1333:
	s_and_b32 vcc_lo, exec_lo, s15
	s_cbranch_vccz .LBB191_1337
; %bb.1334:
	s_cmp_eq_u32 s11, 44
	s_cbranch_scc0 .LBB191_1336
; %bb.1335:
	s_wait_loadcnt 0x0
	global_load_u8 v1, v[12:13], off
	s_mov_b32 s12, 0
	s_mov_b32 s14, -1
	s_wait_loadcnt 0x0
	v_lshlrev_b32_e32 v3, 23, v1
	v_cmp_ne_u32_e32 vcc_lo, 0, v1
	s_delay_alu instid0(VALU_DEP_2) | instskip(NEXT) | instid1(VALU_DEP_1)
	v_cvt_i32_f32_e32 v3, v3
	v_cndmask_b32_e32 v1, 0, v3, vcc_lo
	s_branch .LBB191_1337
.LBB191_1336:
	s_mov_b32 s12, -1
                                        ; implicit-def: $vgpr1
.LBB191_1337:
	s_mov_b32 s15, 0
.LBB191_1338:
	s_delay_alu instid0(SALU_CYCLE_1)
	s_and_b32 vcc_lo, exec_lo, s15
	s_cbranch_vccz .LBB191_1342
; %bb.1339:
	s_cmp_eq_u32 s11, 29
	s_cbranch_scc0 .LBB191_1341
; %bb.1340:
	s_wait_loadcnt 0x0
	global_load_b32 v1, v[12:13], off
	s_mov_b32 s12, 0
	s_mov_b32 s14, -1
	s_branch .LBB191_1342
.LBB191_1341:
	s_mov_b32 s12, -1
                                        ; implicit-def: $vgpr1
.LBB191_1342:
	s_mov_b32 s15, 0
.LBB191_1343:
	s_delay_alu instid0(SALU_CYCLE_1)
	s_and_b32 vcc_lo, exec_lo, s15
	s_cbranch_vccz .LBB191_1359
; %bb.1344:
	s_cmp_lt_i32 s11, 27
	s_cbranch_scc1 .LBB191_1347
; %bb.1345:
	s_cmp_gt_i32 s11, 27
	s_cbranch_scc0 .LBB191_1348
; %bb.1346:
	s_wait_loadcnt 0x0
	global_load_b32 v1, v[12:13], off
	s_mov_b32 s14, 0
	s_branch .LBB191_1349
.LBB191_1347:
	s_mov_b32 s14, -1
                                        ; implicit-def: $vgpr1
	s_branch .LBB191_1352
.LBB191_1348:
	s_mov_b32 s14, -1
                                        ; implicit-def: $vgpr1
.LBB191_1349:
	s_delay_alu instid0(SALU_CYCLE_1)
	s_and_not1_b32 vcc_lo, exec_lo, s14
	s_cbranch_vccnz .LBB191_1351
; %bb.1350:
	s_wait_loadcnt 0x0
	global_load_u16 v1, v[12:13], off
.LBB191_1351:
	s_mov_b32 s14, 0
.LBB191_1352:
	s_delay_alu instid0(SALU_CYCLE_1)
	s_and_not1_b32 vcc_lo, exec_lo, s14
	s_cbranch_vccnz .LBB191_1358
; %bb.1353:
	global_load_u8 v3, v[12:13], off
	s_mov_b32 s15, 0
	s_mov_b32 s14, exec_lo
	s_wait_loadcnt 0x0
	v_cmpx_lt_i16_e32 0x7f, v3
	s_xor_b32 s14, exec_lo, s14
	s_cbranch_execz .LBB191_1369
; %bb.1354:
	v_cmp_ne_u16_e32 vcc_lo, 0x80, v3
	s_and_b32 s15, vcc_lo, exec_lo
	s_and_not1_saveexec_b32 s14, s14
	s_cbranch_execnz .LBB191_1370
.LBB191_1355:
	s_or_b32 exec_lo, exec_lo, s14
	v_mov_b32_e32 v1, 0
	s_and_saveexec_b32 s14, s15
	s_cbranch_execz .LBB191_1357
.LBB191_1356:
	v_and_b32_e32 v1, 0xffff, v3
	s_delay_alu instid0(VALU_DEP_1) | instskip(SKIP_1) | instid1(VALU_DEP_2)
	v_and_b32_e32 v5, 7, v1
	v_bfe_u32 v11, v1, 3, 4
	v_clz_i32_u32_e32 v7, v5
	s_delay_alu instid0(VALU_DEP_2) | instskip(NEXT) | instid1(VALU_DEP_2)
	v_cmp_eq_u32_e32 vcc_lo, 0, v11
	v_min_u32_e32 v7, 32, v7
	s_delay_alu instid0(VALU_DEP_1) | instskip(NEXT) | instid1(VALU_DEP_1)
	v_subrev_nc_u32_e32 v9, 28, v7
	v_dual_lshlrev_b32 v1, v9, v1 :: v_dual_sub_nc_u32 v7, 29, v7
	s_delay_alu instid0(VALU_DEP_1) | instskip(NEXT) | instid1(VALU_DEP_1)
	v_dual_lshlrev_b32 v3, 24, v3 :: v_dual_bitop2_b32 v1, 7, v1 bitop3:0x40
	v_dual_cndmask_b32 v1, v5, v1, vcc_lo :: v_dual_cndmask_b32 v7, v11, v7, vcc_lo
	s_delay_alu instid0(VALU_DEP_2) | instskip(NEXT) | instid1(VALU_DEP_2)
	v_and_b32_e32 v3, 0x80000000, v3
	v_lshlrev_b32_e32 v1, 20, v1
	s_delay_alu instid0(VALU_DEP_3) | instskip(NEXT) | instid1(VALU_DEP_1)
	v_lshl_add_u32 v5, v7, 23, 0x3b800000
	v_or3_b32 v1, v3, v5, v1
	s_delay_alu instid0(VALU_DEP_1)
	v_cvt_i32_f32_e32 v1, v1
.LBB191_1357:
	s_or_b32 exec_lo, exec_lo, s14
.LBB191_1358:
	s_mov_b32 s14, -1
.LBB191_1359:
	s_branch .LBB191_1390
.LBB191_1360:
	s_cmp_gt_i32 s11, 22
	s_cbranch_scc0 .LBB191_1368
; %bb.1361:
	s_cmp_lt_i32 s11, 24
	s_cbranch_scc1 .LBB191_1371
; %bb.1362:
	s_cmp_gt_i32 s11, 24
	s_cbranch_scc0 .LBB191_1372
; %bb.1363:
	global_load_u8 v3, v[12:13], off
	s_mov_b32 s14, 0
	s_mov_b32 s13, exec_lo
	s_wait_loadcnt 0x0
	v_cmpx_lt_i16_e32 0x7f, v3
	s_xor_b32 s13, exec_lo, s13
	s_cbranch_execz .LBB191_1384
; %bb.1364:
	v_cmp_ne_u16_e32 vcc_lo, 0x80, v3
	s_and_b32 s14, vcc_lo, exec_lo
	s_and_not1_saveexec_b32 s13, s13
	s_cbranch_execnz .LBB191_1385
.LBB191_1365:
	s_or_b32 exec_lo, exec_lo, s13
	v_mov_b32_e32 v1, 0
	s_and_saveexec_b32 s13, s14
	s_cbranch_execz .LBB191_1367
.LBB191_1366:
	v_and_b32_e32 v1, 0xffff, v3
	s_delay_alu instid0(VALU_DEP_1) | instskip(SKIP_1) | instid1(VALU_DEP_2)
	v_and_b32_e32 v5, 3, v1
	v_bfe_u32 v11, v1, 2, 5
	v_clz_i32_u32_e32 v7, v5
	s_delay_alu instid0(VALU_DEP_2) | instskip(NEXT) | instid1(VALU_DEP_2)
	v_cmp_eq_u32_e32 vcc_lo, 0, v11
	v_min_u32_e32 v7, 32, v7
	s_delay_alu instid0(VALU_DEP_1) | instskip(NEXT) | instid1(VALU_DEP_1)
	v_subrev_nc_u32_e32 v9, 29, v7
	v_dual_lshlrev_b32 v1, v9, v1 :: v_dual_sub_nc_u32 v7, 30, v7
	s_delay_alu instid0(VALU_DEP_1) | instskip(NEXT) | instid1(VALU_DEP_1)
	v_dual_lshlrev_b32 v3, 24, v3 :: v_dual_bitop2_b32 v1, 3, v1 bitop3:0x40
	v_dual_cndmask_b32 v1, v5, v1, vcc_lo :: v_dual_cndmask_b32 v7, v11, v7, vcc_lo
	s_delay_alu instid0(VALU_DEP_2) | instskip(NEXT) | instid1(VALU_DEP_2)
	v_and_b32_e32 v3, 0x80000000, v3
	v_lshlrev_b32_e32 v1, 21, v1
	s_delay_alu instid0(VALU_DEP_3) | instskip(NEXT) | instid1(VALU_DEP_1)
	v_lshl_add_u32 v5, v7, 23, 0x37800000
	v_or3_b32 v1, v3, v5, v1
	s_delay_alu instid0(VALU_DEP_1)
	v_cvt_i32_f32_e32 v1, v1
.LBB191_1367:
	s_or_b32 exec_lo, exec_lo, s13
	s_mov_b32 s13, 0
	s_branch .LBB191_1373
.LBB191_1368:
	s_mov_b32 s13, -1
                                        ; implicit-def: $vgpr1
	s_branch .LBB191_1379
.LBB191_1369:
	s_and_not1_saveexec_b32 s14, s14
	s_cbranch_execz .LBB191_1355
.LBB191_1370:
	v_cmp_ne_u16_e32 vcc_lo, 0, v3
	s_and_not1_b32 s15, s15, exec_lo
	s_and_b32 s16, vcc_lo, exec_lo
	s_delay_alu instid0(SALU_CYCLE_1)
	s_or_b32 s15, s15, s16
	s_or_b32 exec_lo, exec_lo, s14
	v_mov_b32_e32 v1, 0
	s_and_saveexec_b32 s14, s15
	s_cbranch_execnz .LBB191_1356
	s_branch .LBB191_1357
.LBB191_1371:
	s_mov_b32 s13, -1
                                        ; implicit-def: $vgpr1
	s_branch .LBB191_1376
.LBB191_1372:
	s_mov_b32 s13, -1
                                        ; implicit-def: $vgpr1
.LBB191_1373:
	s_delay_alu instid0(SALU_CYCLE_1)
	s_and_b32 vcc_lo, exec_lo, s13
	s_cbranch_vccz .LBB191_1375
; %bb.1374:
	s_wait_loadcnt 0x0
	global_load_u8 v1, v[12:13], off
	s_wait_loadcnt 0x0
	v_lshlrev_b32_e32 v1, 24, v1
	s_delay_alu instid0(VALU_DEP_1) | instskip(NEXT) | instid1(VALU_DEP_1)
	v_and_b32_e32 v3, 0x7f000000, v1
	v_clz_i32_u32_e32 v5, v3
	v_add_nc_u32_e32 v9, 0x1000000, v3
	v_cmp_ne_u32_e32 vcc_lo, 0, v3
	s_delay_alu instid0(VALU_DEP_3) | instskip(NEXT) | instid1(VALU_DEP_1)
	v_min_u32_e32 v5, 32, v5
	v_sub_nc_u32_e64 v5, v5, 4 clamp
	s_delay_alu instid0(VALU_DEP_1) | instskip(NEXT) | instid1(VALU_DEP_1)
	v_dual_lshlrev_b32 v7, v5, v3 :: v_dual_lshlrev_b32 v5, 23, v5
	v_lshrrev_b32_e32 v7, 4, v7
	s_delay_alu instid0(VALU_DEP_1) | instskip(SKIP_1) | instid1(VALU_DEP_2)
	v_sub_nc_u32_e32 v5, v7, v5
	v_ashrrev_i32_e32 v7, 8, v9
	v_add_nc_u32_e32 v5, 0x3c000000, v5
	s_delay_alu instid0(VALU_DEP_1) | instskip(NEXT) | instid1(VALU_DEP_1)
	v_and_or_b32 v5, 0x7f800000, v7, v5
	v_cndmask_b32_e32 v3, 0, v5, vcc_lo
	s_delay_alu instid0(VALU_DEP_1) | instskip(NEXT) | instid1(VALU_DEP_1)
	v_and_or_b32 v1, 0x80000000, v1, v3
	v_cvt_i32_f32_e32 v1, v1
.LBB191_1375:
	s_mov_b32 s13, 0
.LBB191_1376:
	s_delay_alu instid0(SALU_CYCLE_1)
	s_and_not1_b32 vcc_lo, exec_lo, s13
	s_cbranch_vccnz .LBB191_1378
; %bb.1377:
	s_wait_loadcnt 0x0
	global_load_u8 v1, v[12:13], off
	s_wait_loadcnt 0x0
	v_lshlrev_b32_e32 v3, 25, v1
	v_lshlrev_b16 v1, 8, v1
	s_delay_alu instid0(VALU_DEP_1) | instskip(SKIP_1) | instid1(VALU_DEP_2)
	v_and_or_b32 v7, 0x7f00, v1, 0.5
	v_bfe_i32 v1, v1, 0, 16
	v_add_f32_e32 v7, -0.5, v7
	v_lshrrev_b32_e32 v5, 4, v3
	v_cmp_gt_u32_e32 vcc_lo, 0x8000000, v3
	s_delay_alu instid0(VALU_DEP_2) | instskip(NEXT) | instid1(VALU_DEP_1)
	v_or_b32_e32 v5, 0x70000000, v5
	v_mul_f32_e32 v5, 0x7800000, v5
	s_delay_alu instid0(VALU_DEP_1) | instskip(NEXT) | instid1(VALU_DEP_1)
	v_cndmask_b32_e32 v3, v5, v7, vcc_lo
	v_and_or_b32 v1, 0x80000000, v1, v3
	s_delay_alu instid0(VALU_DEP_1)
	v_cvt_i32_f32_e32 v1, v1
.LBB191_1378:
	s_mov_b32 s13, 0
	s_mov_b32 s14, -1
.LBB191_1379:
	s_and_not1_b32 vcc_lo, exec_lo, s13
	s_mov_b32 s13, 0
	s_cbranch_vccnz .LBB191_1390
; %bb.1380:
	s_cmp_gt_i32 s11, 14
	s_cbranch_scc0 .LBB191_1383
; %bb.1381:
	s_cmp_eq_u32 s11, 15
	s_cbranch_scc0 .LBB191_1386
; %bb.1382:
	s_wait_loadcnt 0x0
	global_load_u16 v1, v[12:13], off
	s_mov_b32 s12, 0
	s_mov_b32 s14, -1
	s_wait_loadcnt 0x0
	v_lshlrev_b32_e32 v1, 16, v1
	s_delay_alu instid0(VALU_DEP_1)
	v_cvt_i32_f32_e32 v1, v1
	s_branch .LBB191_1388
.LBB191_1383:
	s_mov_b32 s13, -1
	s_branch .LBB191_1387
.LBB191_1384:
	s_and_not1_saveexec_b32 s13, s13
	s_cbranch_execz .LBB191_1365
.LBB191_1385:
	v_cmp_ne_u16_e32 vcc_lo, 0, v3
	s_and_not1_b32 s14, s14, exec_lo
	s_and_b32 s15, vcc_lo, exec_lo
	s_delay_alu instid0(SALU_CYCLE_1)
	s_or_b32 s14, s14, s15
	s_or_b32 exec_lo, exec_lo, s13
	v_mov_b32_e32 v1, 0
	s_and_saveexec_b32 s13, s14
	s_cbranch_execnz .LBB191_1366
	s_branch .LBB191_1367
.LBB191_1386:
	s_mov_b32 s12, -1
.LBB191_1387:
                                        ; implicit-def: $vgpr1
.LBB191_1388:
	s_and_b32 vcc_lo, exec_lo, s13
	s_mov_b32 s13, 0
	s_cbranch_vccz .LBB191_1390
; %bb.1389:
	s_cmp_lg_u32 s11, 11
	s_mov_b32 s13, -1
	s_cselect_b32 s12, -1, 0
.LBB191_1390:
	s_delay_alu instid0(SALU_CYCLE_1)
	s_and_b32 vcc_lo, exec_lo, s12
	s_cbranch_vccnz .LBB191_1464
; %bb.1391:
	s_and_not1_b32 vcc_lo, exec_lo, s13
	s_cbranch_vccnz .LBB191_1393
.LBB191_1392:
	s_wait_loadcnt 0x0
	global_load_u8 v1, v[12:13], off
	s_mov_b32 s14, -1
	s_wait_loadcnt 0x0
	v_cmp_ne_u16_e32 vcc_lo, 0, v1
	v_cndmask_b32_e64 v1, 0, 1, vcc_lo
.LBB191_1393:
	s_branch .LBB191_1322
.LBB191_1394:
	s_cmp_lt_i32 s11, 5
	s_cbranch_scc1 .LBB191_1399
; %bb.1395:
	s_cmp_lt_i32 s11, 8
	s_cbranch_scc1 .LBB191_1400
; %bb.1396:
	;; [unrolled: 3-line block ×3, first 2 shown]
	s_cmp_gt_i32 s11, 9
	s_cbranch_scc0 .LBB191_1402
; %bb.1398:
	global_load_b64 v[16:17], v[12:13], off
	s_mov_b32 s12, 0
	s_wait_loadcnt 0x0
	v_cvt_i32_f64_e32 v1, v[16:17]
	s_branch .LBB191_1403
.LBB191_1399:
                                        ; implicit-def: $vgpr1
	s_branch .LBB191_1421
.LBB191_1400:
	s_mov_b32 s12, -1
                                        ; implicit-def: $vgpr1
	s_branch .LBB191_1409
.LBB191_1401:
	s_mov_b32 s12, -1
                                        ; implicit-def: $vgpr1
	s_branch .LBB191_1406
.LBB191_1402:
	s_mov_b32 s12, -1
                                        ; implicit-def: $vgpr1
.LBB191_1403:
	s_delay_alu instid0(SALU_CYCLE_1)
	s_and_not1_b32 vcc_lo, exec_lo, s12
	s_cbranch_vccnz .LBB191_1405
; %bb.1404:
	s_wait_loadcnt 0x0
	global_load_b32 v1, v[12:13], off
	s_wait_loadcnt 0x0
	v_cvt_i32_f32_e32 v1, v1
.LBB191_1405:
	s_mov_b32 s12, 0
.LBB191_1406:
	s_delay_alu instid0(SALU_CYCLE_1)
	s_and_not1_b32 vcc_lo, exec_lo, s12
	s_cbranch_vccnz .LBB191_1408
; %bb.1407:
	s_wait_loadcnt 0x0
	global_load_b32 v1, v[12:13], off
	s_wait_loadcnt 0x0
	v_cvt_f32_f16_e32 v1, v1
	s_delay_alu instid0(VALU_DEP_1)
	v_cvt_i32_f32_e32 v1, v1
.LBB191_1408:
	s_mov_b32 s12, 0
.LBB191_1409:
	s_delay_alu instid0(SALU_CYCLE_1)
	s_and_not1_b32 vcc_lo, exec_lo, s12
	s_cbranch_vccnz .LBB191_1420
; %bb.1410:
	s_cmp_lt_i32 s11, 6
	s_cbranch_scc1 .LBB191_1413
; %bb.1411:
	s_cmp_gt_i32 s11, 6
	s_cbranch_scc0 .LBB191_1414
; %bb.1412:
	global_load_b64 v[16:17], v[12:13], off
	s_mov_b32 s12, 0
	s_wait_loadcnt 0x0
	v_cvt_i32_f64_e32 v1, v[16:17]
	s_branch .LBB191_1415
.LBB191_1413:
	s_mov_b32 s12, -1
                                        ; implicit-def: $vgpr1
	s_branch .LBB191_1418
.LBB191_1414:
	s_mov_b32 s12, -1
                                        ; implicit-def: $vgpr1
.LBB191_1415:
	s_delay_alu instid0(SALU_CYCLE_1)
	s_and_not1_b32 vcc_lo, exec_lo, s12
	s_cbranch_vccnz .LBB191_1417
; %bb.1416:
	s_wait_loadcnt 0x0
	global_load_b32 v1, v[12:13], off
	s_wait_loadcnt 0x0
	v_cvt_i32_f32_e32 v1, v1
.LBB191_1417:
	s_mov_b32 s12, 0
.LBB191_1418:
	s_delay_alu instid0(SALU_CYCLE_1)
	s_and_not1_b32 vcc_lo, exec_lo, s12
	s_cbranch_vccnz .LBB191_1420
; %bb.1419:
	s_wait_loadcnt 0x0
	global_load_u16 v1, v[12:13], off
	s_wait_loadcnt 0x0
	v_cvt_f32_f16_e32 v1, v1
	s_delay_alu instid0(VALU_DEP_1)
	v_cvt_i32_f32_e32 v1, v1
.LBB191_1420:
	s_cbranch_execnz .LBB191_1440
.LBB191_1421:
	s_cmp_lt_i32 s11, 2
	s_cbranch_scc1 .LBB191_1425
; %bb.1422:
	s_cmp_lt_i32 s11, 3
	s_cbranch_scc1 .LBB191_1426
; %bb.1423:
	s_cmp_gt_i32 s11, 3
	s_cbranch_scc0 .LBB191_1427
; %bb.1424:
	s_wait_loadcnt 0x0
	global_load_b32 v1, v[12:13], off
	s_mov_b32 s12, 0
	s_branch .LBB191_1428
.LBB191_1425:
	s_mov_b32 s12, -1
                                        ; implicit-def: $vgpr1
	s_branch .LBB191_1434
.LBB191_1426:
	s_mov_b32 s12, -1
                                        ; implicit-def: $vgpr1
	s_branch .LBB191_1431
.LBB191_1427:
	s_mov_b32 s12, -1
                                        ; implicit-def: $vgpr1
.LBB191_1428:
	s_delay_alu instid0(SALU_CYCLE_1)
	s_and_not1_b32 vcc_lo, exec_lo, s12
	s_cbranch_vccnz .LBB191_1430
; %bb.1429:
	s_wait_loadcnt 0x0
	global_load_b32 v1, v[12:13], off
.LBB191_1430:
	s_mov_b32 s12, 0
.LBB191_1431:
	s_delay_alu instid0(SALU_CYCLE_1)
	s_and_not1_b32 vcc_lo, exec_lo, s12
	s_cbranch_vccnz .LBB191_1433
; %bb.1432:
	s_wait_loadcnt 0x0
	global_load_i16 v1, v[12:13], off
.LBB191_1433:
	s_mov_b32 s12, 0
.LBB191_1434:
	s_delay_alu instid0(SALU_CYCLE_1)
	s_and_not1_b32 vcc_lo, exec_lo, s12
	s_cbranch_vccnz .LBB191_1440
; %bb.1435:
	s_cmp_gt_i32 s11, 0
	s_mov_b32 s12, 0
	s_cbranch_scc0 .LBB191_1437
; %bb.1436:
	s_wait_loadcnt 0x0
	global_load_i8 v1, v[12:13], off
	s_branch .LBB191_1438
.LBB191_1437:
	s_mov_b32 s12, -1
                                        ; implicit-def: $vgpr1
.LBB191_1438:
	s_delay_alu instid0(SALU_CYCLE_1)
	s_and_not1_b32 vcc_lo, exec_lo, s12
	s_cbranch_vccnz .LBB191_1440
; %bb.1439:
	s_wait_loadcnt 0x0
	global_load_u8 v1, v[12:13], off
.LBB191_1440:
.LBB191_1441:
	s_cmp_lt_i32 s0, 1
	s_mov_b32 s12, 0
	s_cbranch_scc1 .LBB191_1444
; %bb.1442:
	s_cmp_eq_u32 s0, 1
	s_cbranch_scc0 .LBB191_1445
; %bb.1443:
	s_wait_loadcnt 0x0
	s_delay_alu instid0(VALU_DEP_1)
	v_min_i32_e32 v12, s1, v1
	s_mov_b32 s13, 0
	s_branch .LBB191_1446
.LBB191_1444:
	s_mov_b32 s13, 0
                                        ; implicit-def: $vgpr12
	s_cbranch_execnz .LBB191_1447
	s_branch .LBB191_1448
.LBB191_1445:
	s_mov_b32 s13, -1
                                        ; implicit-def: $vgpr12
.LBB191_1446:
	s_branch .LBB191_1448
.LBB191_1447:
	s_cmp_lg_u32 s0, 0
	s_mov_b32 s12, -1
	s_cselect_b32 s13, -1, 0
.LBB191_1448:
	s_delay_alu instid0(SALU_CYCLE_1)
	s_and_not1_b32 vcc_lo, exec_lo, s13
	s_cbranch_vccnz .LBB191_1457
; %bb.1449:
	s_load_b32 s12, s[2:3], 0x160
	s_wait_loadcnt 0x0
	s_wait_kmcnt 0x0
	s_delay_alu instid0(VALU_DEP_1)
	v_maxmin_i32 v12, v1, s1, s12
	s_cbranch_execz .LBB191_1458
.LBB191_1450:
	v_mov_b32_e32 v15, 0
	s_cmp_lt_i32 s11, 11
	s_delay_alu instid0(VALU_DEP_1)
	v_add_nc_u64_e32 v[14:15], s[6:7], v[14:15]
	s_cbranch_scc1 .LBB191_1459
.LBB191_1451:
	s_cmp_gt_i32 s11, 25
	s_mov_b32 s13, 0
	s_cbranch_scc0 .LBB191_1461
; %bb.1452:
	s_cmp_gt_i32 s11, 28
	s_cbranch_scc0 .LBB191_1462
; %bb.1453:
	s_cmp_gt_i32 s11, 43
	;; [unrolled: 3-line block ×3, first 2 shown]
	s_cbranch_scc0 .LBB191_1465
; %bb.1455:
	s_cmp_eq_u32 s11, 46
	s_mov_b32 s15, 0
	s_cbranch_scc0 .LBB191_1466
; %bb.1456:
	s_wait_loadcnt 0x0
	global_load_b32 v1, v[14:15], off
	s_mov_b32 s12, 0
	s_mov_b32 s14, -1
	s_wait_loadcnt 0x0
	v_lshlrev_b32_e32 v1, 16, v1
	s_delay_alu instid0(VALU_DEP_1)
	v_cvt_i32_f32_e32 v1, v1
	s_branch .LBB191_1468
.LBB191_1457:
	s_and_not1_b32 vcc_lo, exec_lo, s12
	s_cbranch_vccnz .LBB191_1450
.LBB191_1458:
	s_wait_loadcnt 0x0
	s_delay_alu instid0(VALU_DEP_1) | instskip(SKIP_1) | instid1(VALU_DEP_1)
	v_dual_mov_b32 v15, 0 :: v_dual_max_i32 v12, s1, v1
	s_cmp_lt_i32 s11, 11
	v_add_nc_u64_e32 v[14:15], s[6:7], v[14:15]
	s_cbranch_scc0 .LBB191_1451
.LBB191_1459:
	s_mov_b32 s14, 0
                                        ; implicit-def: $vgpr1
	s_cbranch_execnz .LBB191_1530
.LBB191_1460:
	s_and_not1_b32 vcc_lo, exec_lo, s14
	s_cbranch_vccnz .LBB191_1719
	s_branch .LBB191_1578
.LBB191_1461:
	s_mov_b32 s15, -1
	s_mov_b32 s14, 0
	s_mov_b32 s12, 0
                                        ; implicit-def: $vgpr1
	s_branch .LBB191_1495
.LBB191_1462:
	s_mov_b32 s15, -1
	s_mov_b32 s14, 0
	s_mov_b32 s12, 0
                                        ; implicit-def: $vgpr1
	s_branch .LBB191_1478
.LBB191_1463:
	s_mov_b32 s15, -1
	s_mov_b32 s14, 0
	s_mov_b32 s12, 0
                                        ; implicit-def: $vgpr1
	s_branch .LBB191_1473
.LBB191_1464:
	s_or_b32 s10, s10, exec_lo
	s_trap 2
	s_cbranch_execz .LBB191_1392
	s_branch .LBB191_1393
.LBB191_1465:
	s_mov_b32 s15, -1
	s_mov_b32 s14, 0
	s_mov_b32 s12, 0
	s_branch .LBB191_1467
.LBB191_1466:
	s_mov_b32 s12, -1
	s_mov_b32 s14, 0
.LBB191_1467:
                                        ; implicit-def: $vgpr1
.LBB191_1468:
	s_and_b32 vcc_lo, exec_lo, s15
	s_cbranch_vccz .LBB191_1472
; %bb.1469:
	s_cmp_eq_u32 s11, 44
	s_cbranch_scc0 .LBB191_1471
; %bb.1470:
	s_wait_loadcnt 0x0
	global_load_u8 v1, v[14:15], off
	s_mov_b32 s12, 0
	s_mov_b32 s14, -1
	s_wait_loadcnt 0x0
	v_lshlrev_b32_e32 v3, 23, v1
	v_cmp_ne_u32_e32 vcc_lo, 0, v1
	s_delay_alu instid0(VALU_DEP_2) | instskip(NEXT) | instid1(VALU_DEP_1)
	v_cvt_i32_f32_e32 v3, v3
	v_cndmask_b32_e32 v1, 0, v3, vcc_lo
	s_branch .LBB191_1472
.LBB191_1471:
	s_mov_b32 s12, -1
                                        ; implicit-def: $vgpr1
.LBB191_1472:
	s_mov_b32 s15, 0
.LBB191_1473:
	s_delay_alu instid0(SALU_CYCLE_1)
	s_and_b32 vcc_lo, exec_lo, s15
	s_cbranch_vccz .LBB191_1477
; %bb.1474:
	s_cmp_eq_u32 s11, 29
	s_cbranch_scc0 .LBB191_1476
; %bb.1475:
	s_wait_loadcnt 0x0
	global_load_b32 v1, v[14:15], off
	s_mov_b32 s12, 0
	s_mov_b32 s14, -1
	s_branch .LBB191_1477
.LBB191_1476:
	s_mov_b32 s12, -1
                                        ; implicit-def: $vgpr1
.LBB191_1477:
	s_mov_b32 s15, 0
.LBB191_1478:
	s_delay_alu instid0(SALU_CYCLE_1)
	s_and_b32 vcc_lo, exec_lo, s15
	s_cbranch_vccz .LBB191_1494
; %bb.1479:
	s_cmp_lt_i32 s11, 27
	s_cbranch_scc1 .LBB191_1482
; %bb.1480:
	s_cmp_gt_i32 s11, 27
	s_cbranch_scc0 .LBB191_1483
; %bb.1481:
	s_wait_loadcnt 0x0
	global_load_b32 v1, v[14:15], off
	s_mov_b32 s14, 0
	s_branch .LBB191_1484
.LBB191_1482:
	s_mov_b32 s14, -1
                                        ; implicit-def: $vgpr1
	s_branch .LBB191_1487
.LBB191_1483:
	s_mov_b32 s14, -1
                                        ; implicit-def: $vgpr1
.LBB191_1484:
	s_delay_alu instid0(SALU_CYCLE_1)
	s_and_not1_b32 vcc_lo, exec_lo, s14
	s_cbranch_vccnz .LBB191_1486
; %bb.1485:
	s_wait_loadcnt 0x0
	global_load_u16 v1, v[14:15], off
.LBB191_1486:
	s_mov_b32 s14, 0
.LBB191_1487:
	s_delay_alu instid0(SALU_CYCLE_1)
	s_and_not1_b32 vcc_lo, exec_lo, s14
	s_cbranch_vccnz .LBB191_1493
; %bb.1488:
	global_load_u8 v3, v[14:15], off
	s_mov_b32 s15, 0
	s_mov_b32 s14, exec_lo
	s_wait_loadcnt 0x0
	v_cmpx_lt_i16_e32 0x7f, v3
	s_xor_b32 s14, exec_lo, s14
	s_cbranch_execz .LBB191_1505
; %bb.1489:
	v_cmp_ne_u16_e32 vcc_lo, 0x80, v3
	s_and_b32 s15, vcc_lo, exec_lo
	s_and_not1_saveexec_b32 s14, s14
	s_cbranch_execnz .LBB191_1506
.LBB191_1490:
	s_or_b32 exec_lo, exec_lo, s14
	v_mov_b32_e32 v1, 0
	s_and_saveexec_b32 s14, s15
	s_cbranch_execz .LBB191_1492
.LBB191_1491:
	v_and_b32_e32 v1, 0xffff, v3
	s_delay_alu instid0(VALU_DEP_1) | instskip(SKIP_1) | instid1(VALU_DEP_2)
	v_and_b32_e32 v5, 7, v1
	v_bfe_u32 v11, v1, 3, 4
	v_clz_i32_u32_e32 v7, v5
	s_delay_alu instid0(VALU_DEP_2) | instskip(NEXT) | instid1(VALU_DEP_2)
	v_cmp_eq_u32_e32 vcc_lo, 0, v11
	v_min_u32_e32 v7, 32, v7
	s_delay_alu instid0(VALU_DEP_1) | instskip(NEXT) | instid1(VALU_DEP_1)
	v_subrev_nc_u32_e32 v9, 28, v7
	v_dual_lshlrev_b32 v1, v9, v1 :: v_dual_sub_nc_u32 v7, 29, v7
	s_delay_alu instid0(VALU_DEP_1) | instskip(NEXT) | instid1(VALU_DEP_1)
	v_dual_lshlrev_b32 v3, 24, v3 :: v_dual_bitop2_b32 v1, 7, v1 bitop3:0x40
	v_dual_cndmask_b32 v1, v5, v1, vcc_lo :: v_dual_cndmask_b32 v7, v11, v7, vcc_lo
	s_delay_alu instid0(VALU_DEP_2) | instskip(NEXT) | instid1(VALU_DEP_2)
	v_and_b32_e32 v3, 0x80000000, v3
	v_lshlrev_b32_e32 v1, 20, v1
	s_delay_alu instid0(VALU_DEP_3) | instskip(NEXT) | instid1(VALU_DEP_1)
	v_lshl_add_u32 v5, v7, 23, 0x3b800000
	v_or3_b32 v1, v3, v5, v1
	s_delay_alu instid0(VALU_DEP_1)
	v_cvt_i32_f32_e32 v1, v1
.LBB191_1492:
	s_or_b32 exec_lo, exec_lo, s14
.LBB191_1493:
	s_mov_b32 s14, -1
.LBB191_1494:
	s_mov_b32 s15, 0
.LBB191_1495:
	s_delay_alu instid0(SALU_CYCLE_1)
	s_and_b32 vcc_lo, exec_lo, s15
	s_cbranch_vccz .LBB191_1526
; %bb.1496:
	s_cmp_gt_i32 s11, 22
	s_cbranch_scc0 .LBB191_1504
; %bb.1497:
	s_cmp_lt_i32 s11, 24
	s_cbranch_scc1 .LBB191_1507
; %bb.1498:
	s_cmp_gt_i32 s11, 24
	s_cbranch_scc0 .LBB191_1508
; %bb.1499:
	global_load_u8 v3, v[14:15], off
	s_mov_b32 s14, 0
	s_mov_b32 s13, exec_lo
	s_wait_loadcnt 0x0
	v_cmpx_lt_i16_e32 0x7f, v3
	s_xor_b32 s13, exec_lo, s13
	s_cbranch_execz .LBB191_1520
; %bb.1500:
	v_cmp_ne_u16_e32 vcc_lo, 0x80, v3
	s_and_b32 s14, vcc_lo, exec_lo
	s_and_not1_saveexec_b32 s13, s13
	s_cbranch_execnz .LBB191_1521
.LBB191_1501:
	s_or_b32 exec_lo, exec_lo, s13
	v_mov_b32_e32 v1, 0
	s_and_saveexec_b32 s13, s14
	s_cbranch_execz .LBB191_1503
.LBB191_1502:
	v_and_b32_e32 v1, 0xffff, v3
	s_delay_alu instid0(VALU_DEP_1) | instskip(SKIP_1) | instid1(VALU_DEP_2)
	v_and_b32_e32 v5, 3, v1
	v_bfe_u32 v11, v1, 2, 5
	v_clz_i32_u32_e32 v7, v5
	s_delay_alu instid0(VALU_DEP_2) | instskip(NEXT) | instid1(VALU_DEP_2)
	v_cmp_eq_u32_e32 vcc_lo, 0, v11
	v_min_u32_e32 v7, 32, v7
	s_delay_alu instid0(VALU_DEP_1) | instskip(NEXT) | instid1(VALU_DEP_1)
	v_subrev_nc_u32_e32 v9, 29, v7
	v_dual_lshlrev_b32 v1, v9, v1 :: v_dual_sub_nc_u32 v7, 30, v7
	s_delay_alu instid0(VALU_DEP_1) | instskip(NEXT) | instid1(VALU_DEP_1)
	v_dual_lshlrev_b32 v3, 24, v3 :: v_dual_bitop2_b32 v1, 3, v1 bitop3:0x40
	v_dual_cndmask_b32 v1, v5, v1, vcc_lo :: v_dual_cndmask_b32 v7, v11, v7, vcc_lo
	s_delay_alu instid0(VALU_DEP_2) | instskip(NEXT) | instid1(VALU_DEP_2)
	v_and_b32_e32 v3, 0x80000000, v3
	v_lshlrev_b32_e32 v1, 21, v1
	s_delay_alu instid0(VALU_DEP_3) | instskip(NEXT) | instid1(VALU_DEP_1)
	v_lshl_add_u32 v5, v7, 23, 0x37800000
	v_or3_b32 v1, v3, v5, v1
	s_delay_alu instid0(VALU_DEP_1)
	v_cvt_i32_f32_e32 v1, v1
.LBB191_1503:
	s_or_b32 exec_lo, exec_lo, s13
	s_mov_b32 s13, 0
	s_branch .LBB191_1509
.LBB191_1504:
	s_mov_b32 s13, -1
                                        ; implicit-def: $vgpr1
	s_branch .LBB191_1515
.LBB191_1505:
	s_and_not1_saveexec_b32 s14, s14
	s_cbranch_execz .LBB191_1490
.LBB191_1506:
	v_cmp_ne_u16_e32 vcc_lo, 0, v3
	s_and_not1_b32 s15, s15, exec_lo
	s_and_b32 s16, vcc_lo, exec_lo
	s_delay_alu instid0(SALU_CYCLE_1)
	s_or_b32 s15, s15, s16
	s_or_b32 exec_lo, exec_lo, s14
	v_mov_b32_e32 v1, 0
	s_and_saveexec_b32 s14, s15
	s_cbranch_execnz .LBB191_1491
	s_branch .LBB191_1492
.LBB191_1507:
	s_mov_b32 s13, -1
                                        ; implicit-def: $vgpr1
	s_branch .LBB191_1512
.LBB191_1508:
	s_mov_b32 s13, -1
                                        ; implicit-def: $vgpr1
.LBB191_1509:
	s_delay_alu instid0(SALU_CYCLE_1)
	s_and_b32 vcc_lo, exec_lo, s13
	s_cbranch_vccz .LBB191_1511
; %bb.1510:
	s_wait_loadcnt 0x0
	global_load_u8 v1, v[14:15], off
	s_wait_loadcnt 0x0
	v_lshlrev_b32_e32 v1, 24, v1
	s_delay_alu instid0(VALU_DEP_1) | instskip(NEXT) | instid1(VALU_DEP_1)
	v_and_b32_e32 v3, 0x7f000000, v1
	v_clz_i32_u32_e32 v5, v3
	v_add_nc_u32_e32 v9, 0x1000000, v3
	v_cmp_ne_u32_e32 vcc_lo, 0, v3
	s_delay_alu instid0(VALU_DEP_3) | instskip(NEXT) | instid1(VALU_DEP_1)
	v_min_u32_e32 v5, 32, v5
	v_sub_nc_u32_e64 v5, v5, 4 clamp
	s_delay_alu instid0(VALU_DEP_1) | instskip(NEXT) | instid1(VALU_DEP_1)
	v_dual_lshlrev_b32 v7, v5, v3 :: v_dual_lshlrev_b32 v5, 23, v5
	v_lshrrev_b32_e32 v7, 4, v7
	s_delay_alu instid0(VALU_DEP_1) | instskip(SKIP_1) | instid1(VALU_DEP_2)
	v_sub_nc_u32_e32 v5, v7, v5
	v_ashrrev_i32_e32 v7, 8, v9
	v_add_nc_u32_e32 v5, 0x3c000000, v5
	s_delay_alu instid0(VALU_DEP_1) | instskip(NEXT) | instid1(VALU_DEP_1)
	v_and_or_b32 v5, 0x7f800000, v7, v5
	v_cndmask_b32_e32 v3, 0, v5, vcc_lo
	s_delay_alu instid0(VALU_DEP_1) | instskip(NEXT) | instid1(VALU_DEP_1)
	v_and_or_b32 v1, 0x80000000, v1, v3
	v_cvt_i32_f32_e32 v1, v1
.LBB191_1511:
	s_mov_b32 s13, 0
.LBB191_1512:
	s_delay_alu instid0(SALU_CYCLE_1)
	s_and_not1_b32 vcc_lo, exec_lo, s13
	s_cbranch_vccnz .LBB191_1514
; %bb.1513:
	s_wait_loadcnt 0x0
	global_load_u8 v1, v[14:15], off
	s_wait_loadcnt 0x0
	v_lshlrev_b32_e32 v3, 25, v1
	v_lshlrev_b16 v1, 8, v1
	s_delay_alu instid0(VALU_DEP_1) | instskip(SKIP_1) | instid1(VALU_DEP_2)
	v_and_or_b32 v7, 0x7f00, v1, 0.5
	v_bfe_i32 v1, v1, 0, 16
	v_add_f32_e32 v7, -0.5, v7
	v_lshrrev_b32_e32 v5, 4, v3
	v_cmp_gt_u32_e32 vcc_lo, 0x8000000, v3
	s_delay_alu instid0(VALU_DEP_2) | instskip(NEXT) | instid1(VALU_DEP_1)
	v_or_b32_e32 v5, 0x70000000, v5
	v_mul_f32_e32 v5, 0x7800000, v5
	s_delay_alu instid0(VALU_DEP_1) | instskip(NEXT) | instid1(VALU_DEP_1)
	v_cndmask_b32_e32 v3, v5, v7, vcc_lo
	v_and_or_b32 v1, 0x80000000, v1, v3
	s_delay_alu instid0(VALU_DEP_1)
	v_cvt_i32_f32_e32 v1, v1
.LBB191_1514:
	s_mov_b32 s13, 0
	s_mov_b32 s14, -1
.LBB191_1515:
	s_and_not1_b32 vcc_lo, exec_lo, s13
	s_mov_b32 s13, 0
	s_cbranch_vccnz .LBB191_1526
; %bb.1516:
	s_cmp_gt_i32 s11, 14
	s_cbranch_scc0 .LBB191_1519
; %bb.1517:
	s_cmp_eq_u32 s11, 15
	s_cbranch_scc0 .LBB191_1522
; %bb.1518:
	s_wait_loadcnt 0x0
	global_load_u16 v1, v[14:15], off
	s_mov_b32 s12, 0
	s_mov_b32 s14, -1
	s_wait_loadcnt 0x0
	v_lshlrev_b32_e32 v1, 16, v1
	s_delay_alu instid0(VALU_DEP_1)
	v_cvt_i32_f32_e32 v1, v1
	s_branch .LBB191_1524
.LBB191_1519:
	s_mov_b32 s13, -1
	s_branch .LBB191_1523
.LBB191_1520:
	s_and_not1_saveexec_b32 s13, s13
	s_cbranch_execz .LBB191_1501
.LBB191_1521:
	v_cmp_ne_u16_e32 vcc_lo, 0, v3
	s_and_not1_b32 s14, s14, exec_lo
	s_and_b32 s15, vcc_lo, exec_lo
	s_delay_alu instid0(SALU_CYCLE_1)
	s_or_b32 s14, s14, s15
	s_or_b32 exec_lo, exec_lo, s13
	v_mov_b32_e32 v1, 0
	s_and_saveexec_b32 s13, s14
	s_cbranch_execnz .LBB191_1502
	s_branch .LBB191_1503
.LBB191_1522:
	s_mov_b32 s12, -1
.LBB191_1523:
                                        ; implicit-def: $vgpr1
.LBB191_1524:
	s_and_b32 vcc_lo, exec_lo, s13
	s_mov_b32 s13, 0
	s_cbranch_vccz .LBB191_1526
; %bb.1525:
	s_cmp_lg_u32 s11, 11
	s_mov_b32 s13, -1
	s_cselect_b32 s12, -1, 0
.LBB191_1526:
	s_delay_alu instid0(SALU_CYCLE_1)
	s_and_b32 vcc_lo, exec_lo, s12
	s_cbranch_vccnz .LBB191_1600
; %bb.1527:
	s_and_not1_b32 vcc_lo, exec_lo, s13
	s_cbranch_vccnz .LBB191_1529
.LBB191_1528:
	s_wait_loadcnt 0x0
	global_load_u8 v1, v[14:15], off
	s_mov_b32 s14, -1
	s_wait_loadcnt 0x0
	v_cmp_ne_u16_e32 vcc_lo, 0, v1
	v_cndmask_b32_e64 v1, 0, 1, vcc_lo
.LBB191_1529:
	s_branch .LBB191_1460
.LBB191_1530:
	s_cmp_lt_i32 s11, 5
	s_cbranch_scc1 .LBB191_1535
; %bb.1531:
	s_cmp_lt_i32 s11, 8
	s_cbranch_scc1 .LBB191_1536
; %bb.1532:
	;; [unrolled: 3-line block ×3, first 2 shown]
	s_cmp_gt_i32 s11, 9
	s_cbranch_scc0 .LBB191_1538
; %bb.1534:
	global_load_b64 v[16:17], v[14:15], off
	s_mov_b32 s12, 0
	s_wait_loadcnt 0x0
	v_cvt_i32_f64_e32 v1, v[16:17]
	s_branch .LBB191_1539
.LBB191_1535:
	s_mov_b32 s12, -1
                                        ; implicit-def: $vgpr1
	s_branch .LBB191_1557
.LBB191_1536:
	s_mov_b32 s12, -1
                                        ; implicit-def: $vgpr1
	s_branch .LBB191_1545
.LBB191_1537:
	s_mov_b32 s12, -1
                                        ; implicit-def: $vgpr1
	s_branch .LBB191_1542
.LBB191_1538:
	s_mov_b32 s12, -1
                                        ; implicit-def: $vgpr1
.LBB191_1539:
	s_delay_alu instid0(SALU_CYCLE_1)
	s_and_not1_b32 vcc_lo, exec_lo, s12
	s_cbranch_vccnz .LBB191_1541
; %bb.1540:
	s_wait_loadcnt 0x0
	global_load_b32 v1, v[14:15], off
	s_wait_loadcnt 0x0
	v_cvt_i32_f32_e32 v1, v1
.LBB191_1541:
	s_mov_b32 s12, 0
.LBB191_1542:
	s_delay_alu instid0(SALU_CYCLE_1)
	s_and_not1_b32 vcc_lo, exec_lo, s12
	s_cbranch_vccnz .LBB191_1544
; %bb.1543:
	s_wait_loadcnt 0x0
	global_load_b32 v1, v[14:15], off
	s_wait_loadcnt 0x0
	v_cvt_f32_f16_e32 v1, v1
	s_delay_alu instid0(VALU_DEP_1)
	v_cvt_i32_f32_e32 v1, v1
.LBB191_1544:
	s_mov_b32 s12, 0
.LBB191_1545:
	s_delay_alu instid0(SALU_CYCLE_1)
	s_and_not1_b32 vcc_lo, exec_lo, s12
	s_cbranch_vccnz .LBB191_1556
; %bb.1546:
	s_cmp_lt_i32 s11, 6
	s_cbranch_scc1 .LBB191_1549
; %bb.1547:
	s_cmp_gt_i32 s11, 6
	s_cbranch_scc0 .LBB191_1550
; %bb.1548:
	global_load_b64 v[16:17], v[14:15], off
	s_mov_b32 s12, 0
	s_wait_loadcnt 0x0
	v_cvt_i32_f64_e32 v1, v[16:17]
	s_branch .LBB191_1551
.LBB191_1549:
	s_mov_b32 s12, -1
                                        ; implicit-def: $vgpr1
	s_branch .LBB191_1554
.LBB191_1550:
	s_mov_b32 s12, -1
                                        ; implicit-def: $vgpr1
.LBB191_1551:
	s_delay_alu instid0(SALU_CYCLE_1)
	s_and_not1_b32 vcc_lo, exec_lo, s12
	s_cbranch_vccnz .LBB191_1553
; %bb.1552:
	s_wait_loadcnt 0x0
	global_load_b32 v1, v[14:15], off
	s_wait_loadcnt 0x0
	v_cvt_i32_f32_e32 v1, v1
.LBB191_1553:
	s_mov_b32 s12, 0
.LBB191_1554:
	s_delay_alu instid0(SALU_CYCLE_1)
	s_and_not1_b32 vcc_lo, exec_lo, s12
	s_cbranch_vccnz .LBB191_1556
; %bb.1555:
	s_wait_loadcnt 0x0
	global_load_u16 v1, v[14:15], off
	s_wait_loadcnt 0x0
	v_cvt_f32_f16_e32 v1, v1
	s_delay_alu instid0(VALU_DEP_1)
	v_cvt_i32_f32_e32 v1, v1
.LBB191_1556:
	s_mov_b32 s12, 0
.LBB191_1557:
	s_delay_alu instid0(SALU_CYCLE_1)
	s_and_not1_b32 vcc_lo, exec_lo, s12
	s_cbranch_vccnz .LBB191_1577
; %bb.1558:
	s_cmp_lt_i32 s11, 2
	s_cbranch_scc1 .LBB191_1562
; %bb.1559:
	s_cmp_lt_i32 s11, 3
	s_cbranch_scc1 .LBB191_1563
; %bb.1560:
	s_cmp_gt_i32 s11, 3
	s_cbranch_scc0 .LBB191_1564
; %bb.1561:
	s_wait_loadcnt 0x0
	global_load_b32 v1, v[14:15], off
	s_mov_b32 s12, 0
	s_branch .LBB191_1565
.LBB191_1562:
	s_mov_b32 s12, -1
                                        ; implicit-def: $vgpr1
	s_branch .LBB191_1571
.LBB191_1563:
	s_mov_b32 s12, -1
                                        ; implicit-def: $vgpr1
	s_branch .LBB191_1568
.LBB191_1564:
	s_mov_b32 s12, -1
                                        ; implicit-def: $vgpr1
.LBB191_1565:
	s_delay_alu instid0(SALU_CYCLE_1)
	s_and_not1_b32 vcc_lo, exec_lo, s12
	s_cbranch_vccnz .LBB191_1567
; %bb.1566:
	s_wait_loadcnt 0x0
	global_load_b32 v1, v[14:15], off
.LBB191_1567:
	s_mov_b32 s12, 0
.LBB191_1568:
	s_delay_alu instid0(SALU_CYCLE_1)
	s_and_not1_b32 vcc_lo, exec_lo, s12
	s_cbranch_vccnz .LBB191_1570
; %bb.1569:
	s_wait_loadcnt 0x0
	global_load_i16 v1, v[14:15], off
.LBB191_1570:
	s_mov_b32 s12, 0
.LBB191_1571:
	s_delay_alu instid0(SALU_CYCLE_1)
	s_and_not1_b32 vcc_lo, exec_lo, s12
	s_cbranch_vccnz .LBB191_1577
; %bb.1572:
	s_cmp_gt_i32 s11, 0
	s_mov_b32 s12, 0
	s_cbranch_scc0 .LBB191_1574
; %bb.1573:
	s_wait_loadcnt 0x0
	global_load_i8 v1, v[14:15], off
	s_branch .LBB191_1575
.LBB191_1574:
	s_mov_b32 s12, -1
                                        ; implicit-def: $vgpr1
.LBB191_1575:
	s_delay_alu instid0(SALU_CYCLE_1)
	s_and_not1_b32 vcc_lo, exec_lo, s12
	s_cbranch_vccnz .LBB191_1577
; %bb.1576:
	s_wait_loadcnt 0x0
	global_load_u8 v1, v[14:15], off
.LBB191_1577:
.LBB191_1578:
	s_cmp_lt_i32 s0, 1
	s_mov_b32 s12, 0
	s_cbranch_scc1 .LBB191_1581
; %bb.1579:
	s_cmp_eq_u32 s0, 1
	s_cbranch_scc0 .LBB191_1591
; %bb.1580:
	s_wait_loadcnt 0x0
	s_delay_alu instid0(VALU_DEP_1)
	v_min_i32_e32 v14, s1, v1
	s_mov_b32 s13, 0
	s_branch .LBB191_1592
.LBB191_1581:
	s_mov_b32 s13, 0
                                        ; implicit-def: $vgpr14
	s_cbranch_execnz .LBB191_1593
.LBB191_1582:
	s_and_not1_b32 vcc_lo, exec_lo, s13
	s_cbranch_vccnz .LBB191_1594
.LBB191_1583:
	s_load_b32 s12, s[2:3], 0x160
	s_wait_loadcnt 0x0
	s_wait_kmcnt 0x0
	s_delay_alu instid0(VALU_DEP_1)
	v_maxmin_i32 v14, v1, s1, s12
	s_cbranch_execz .LBB191_1595
.LBB191_1584:
	v_mov_b32_e32 v11, 0
	s_cmp_lt_i32 s11, 11
	s_delay_alu instid0(VALU_DEP_1)
	v_add_nc_u64_e32 v[10:11], s[6:7], v[10:11]
	s_cbranch_scc1 .LBB191_1596
.LBB191_1585:
	s_cmp_gt_i32 s11, 25
	s_mov_b32 s7, 0
	s_cbranch_scc0 .LBB191_1597
; %bb.1586:
	s_cmp_gt_i32 s11, 28
	s_cbranch_scc0 .LBB191_1598
; %bb.1587:
	s_cmp_gt_i32 s11, 43
	;; [unrolled: 3-line block ×3, first 2 shown]
	s_cbranch_scc0 .LBB191_1601
; %bb.1589:
	s_cmp_eq_u32 s11, 46
	s_mov_b32 s13, 0
	s_cbranch_scc0 .LBB191_1602
; %bb.1590:
	s_wait_loadcnt 0x0
	global_load_b32 v1, v[10:11], off
	s_mov_b32 s6, 0
	s_mov_b32 s12, -1
	s_wait_loadcnt 0x0
	v_lshlrev_b32_e32 v1, 16, v1
	s_delay_alu instid0(VALU_DEP_1)
	v_cvt_i32_f32_e32 v1, v1
	s_branch .LBB191_1604
.LBB191_1591:
	s_mov_b32 s13, -1
                                        ; implicit-def: $vgpr14
.LBB191_1592:
	s_branch .LBB191_1582
.LBB191_1593:
	s_cmp_lg_u32 s0, 0
	s_mov_b32 s12, -1
	s_cselect_b32 s13, -1, 0
	s_delay_alu instid0(SALU_CYCLE_1)
	s_and_not1_b32 vcc_lo, exec_lo, s13
	s_cbranch_vccz .LBB191_1583
.LBB191_1594:
	s_and_not1_b32 vcc_lo, exec_lo, s12
	s_cbranch_vccnz .LBB191_1584
.LBB191_1595:
	s_wait_loadcnt 0x0
	s_delay_alu instid0(VALU_DEP_1) | instskip(SKIP_1) | instid1(VALU_DEP_1)
	v_dual_mov_b32 v11, 0 :: v_dual_max_i32 v14, s1, v1
	s_cmp_lt_i32 s11, 11
	v_add_nc_u64_e32 v[10:11], s[6:7], v[10:11]
	s_cbranch_scc0 .LBB191_1585
.LBB191_1596:
	s_mov_b32 s6, -1
	s_mov_b32 s12, 0
                                        ; implicit-def: $vgpr1
	s_branch .LBB191_1666
.LBB191_1597:
	s_mov_b32 s13, -1
	s_mov_b32 s12, 0
	s_mov_b32 s6, 0
                                        ; implicit-def: $vgpr1
	s_branch .LBB191_1631
.LBB191_1598:
	s_mov_b32 s13, -1
	s_mov_b32 s12, 0
	s_mov_b32 s6, 0
                                        ; implicit-def: $vgpr1
	s_branch .LBB191_1614
.LBB191_1599:
	s_mov_b32 s13, -1
	s_mov_b32 s12, 0
	s_mov_b32 s6, 0
                                        ; implicit-def: $vgpr1
	s_branch .LBB191_1609
.LBB191_1600:
	s_or_b32 s10, s10, exec_lo
	s_trap 2
	s_cbranch_execz .LBB191_1528
	s_branch .LBB191_1529
.LBB191_1601:
	s_mov_b32 s13, -1
	s_mov_b32 s12, 0
	s_mov_b32 s6, 0
	s_branch .LBB191_1603
.LBB191_1602:
	s_mov_b32 s6, -1
	s_mov_b32 s12, 0
.LBB191_1603:
                                        ; implicit-def: $vgpr1
.LBB191_1604:
	s_and_b32 vcc_lo, exec_lo, s13
	s_cbranch_vccz .LBB191_1608
; %bb.1605:
	s_cmp_eq_u32 s11, 44
	s_cbranch_scc0 .LBB191_1607
; %bb.1606:
	s_wait_loadcnt 0x0
	global_load_u8 v1, v[10:11], off
	s_mov_b32 s6, 0
	s_mov_b32 s12, -1
	s_wait_loadcnt 0x0
	v_lshlrev_b32_e32 v3, 23, v1
	v_cmp_ne_u32_e32 vcc_lo, 0, v1
	s_delay_alu instid0(VALU_DEP_2) | instskip(NEXT) | instid1(VALU_DEP_1)
	v_cvt_i32_f32_e32 v3, v3
	v_cndmask_b32_e32 v1, 0, v3, vcc_lo
	s_branch .LBB191_1608
.LBB191_1607:
	s_mov_b32 s6, -1
                                        ; implicit-def: $vgpr1
.LBB191_1608:
	s_mov_b32 s13, 0
.LBB191_1609:
	s_delay_alu instid0(SALU_CYCLE_1)
	s_and_b32 vcc_lo, exec_lo, s13
	s_cbranch_vccz .LBB191_1613
; %bb.1610:
	s_cmp_eq_u32 s11, 29
	s_cbranch_scc0 .LBB191_1612
; %bb.1611:
	s_wait_loadcnt 0x0
	global_load_b32 v1, v[10:11], off
	s_mov_b32 s6, 0
	s_mov_b32 s12, -1
	s_branch .LBB191_1613
.LBB191_1612:
	s_mov_b32 s6, -1
                                        ; implicit-def: $vgpr1
.LBB191_1613:
	s_mov_b32 s13, 0
.LBB191_1614:
	s_delay_alu instid0(SALU_CYCLE_1)
	s_and_b32 vcc_lo, exec_lo, s13
	s_cbranch_vccz .LBB191_1630
; %bb.1615:
	s_cmp_lt_i32 s11, 27
	s_cbranch_scc1 .LBB191_1618
; %bb.1616:
	s_cmp_gt_i32 s11, 27
	s_cbranch_scc0 .LBB191_1619
; %bb.1617:
	s_wait_loadcnt 0x0
	global_load_b32 v1, v[10:11], off
	s_mov_b32 s12, 0
	s_branch .LBB191_1620
.LBB191_1618:
	s_mov_b32 s12, -1
                                        ; implicit-def: $vgpr1
	s_branch .LBB191_1623
.LBB191_1619:
	s_mov_b32 s12, -1
                                        ; implicit-def: $vgpr1
.LBB191_1620:
	s_delay_alu instid0(SALU_CYCLE_1)
	s_and_not1_b32 vcc_lo, exec_lo, s12
	s_cbranch_vccnz .LBB191_1622
; %bb.1621:
	s_wait_loadcnt 0x0
	global_load_u16 v1, v[10:11], off
.LBB191_1622:
	s_mov_b32 s12, 0
.LBB191_1623:
	s_delay_alu instid0(SALU_CYCLE_1)
	s_and_not1_b32 vcc_lo, exec_lo, s12
	s_cbranch_vccnz .LBB191_1629
; %bb.1624:
	global_load_u8 v3, v[10:11], off
	s_mov_b32 s13, 0
	s_mov_b32 s12, exec_lo
	s_wait_loadcnt 0x0
	v_cmpx_lt_i16_e32 0x7f, v3
	s_xor_b32 s12, exec_lo, s12
	s_cbranch_execz .LBB191_1641
; %bb.1625:
	v_cmp_ne_u16_e32 vcc_lo, 0x80, v3
	s_and_b32 s13, vcc_lo, exec_lo
	s_and_not1_saveexec_b32 s12, s12
	s_cbranch_execnz .LBB191_1642
.LBB191_1626:
	s_or_b32 exec_lo, exec_lo, s12
	v_mov_b32_e32 v1, 0
	s_and_saveexec_b32 s12, s13
	s_cbranch_execz .LBB191_1628
.LBB191_1627:
	v_and_b32_e32 v1, 0xffff, v3
	s_delay_alu instid0(VALU_DEP_1) | instskip(SKIP_1) | instid1(VALU_DEP_2)
	v_and_b32_e32 v5, 7, v1
	v_bfe_u32 v13, v1, 3, 4
	v_clz_i32_u32_e32 v7, v5
	s_delay_alu instid0(VALU_DEP_2) | instskip(NEXT) | instid1(VALU_DEP_2)
	v_cmp_eq_u32_e32 vcc_lo, 0, v13
	v_min_u32_e32 v7, 32, v7
	s_delay_alu instid0(VALU_DEP_1) | instskip(NEXT) | instid1(VALU_DEP_1)
	v_subrev_nc_u32_e32 v9, 28, v7
	v_dual_lshlrev_b32 v1, v9, v1 :: v_dual_sub_nc_u32 v7, 29, v7
	s_delay_alu instid0(VALU_DEP_1) | instskip(NEXT) | instid1(VALU_DEP_1)
	v_dual_lshlrev_b32 v3, 24, v3 :: v_dual_bitop2_b32 v1, 7, v1 bitop3:0x40
	v_cndmask_b32_e32 v1, v5, v1, vcc_lo
	s_delay_alu instid0(VALU_DEP_3) | instskip(NEXT) | instid1(VALU_DEP_3)
	v_cndmask_b32_e32 v7, v13, v7, vcc_lo
	v_and_b32_e32 v3, 0x80000000, v3
	s_delay_alu instid0(VALU_DEP_3) | instskip(NEXT) | instid1(VALU_DEP_3)
	v_lshlrev_b32_e32 v1, 20, v1
	v_lshl_add_u32 v5, v7, 23, 0x3b800000
	s_delay_alu instid0(VALU_DEP_1) | instskip(NEXT) | instid1(VALU_DEP_1)
	v_or3_b32 v1, v3, v5, v1
	v_cvt_i32_f32_e32 v1, v1
.LBB191_1628:
	s_or_b32 exec_lo, exec_lo, s12
.LBB191_1629:
	s_mov_b32 s12, -1
.LBB191_1630:
	s_mov_b32 s13, 0
.LBB191_1631:
	s_delay_alu instid0(SALU_CYCLE_1)
	s_and_b32 vcc_lo, exec_lo, s13
	s_cbranch_vccz .LBB191_1662
; %bb.1632:
	s_cmp_gt_i32 s11, 22
	s_cbranch_scc0 .LBB191_1640
; %bb.1633:
	s_cmp_lt_i32 s11, 24
	s_cbranch_scc1 .LBB191_1643
; %bb.1634:
	s_cmp_gt_i32 s11, 24
	s_cbranch_scc0 .LBB191_1644
; %bb.1635:
	global_load_u8 v3, v[10:11], off
	s_mov_b32 s12, 0
	s_mov_b32 s7, exec_lo
	s_wait_loadcnt 0x0
	v_cmpx_lt_i16_e32 0x7f, v3
	s_xor_b32 s7, exec_lo, s7
	s_cbranch_execz .LBB191_1656
; %bb.1636:
	v_cmp_ne_u16_e32 vcc_lo, 0x80, v3
	s_and_b32 s12, vcc_lo, exec_lo
	s_and_not1_saveexec_b32 s7, s7
	s_cbranch_execnz .LBB191_1657
.LBB191_1637:
	s_or_b32 exec_lo, exec_lo, s7
	v_mov_b32_e32 v1, 0
	s_and_saveexec_b32 s7, s12
	s_cbranch_execz .LBB191_1639
.LBB191_1638:
	v_and_b32_e32 v1, 0xffff, v3
	s_delay_alu instid0(VALU_DEP_1) | instskip(SKIP_1) | instid1(VALU_DEP_2)
	v_and_b32_e32 v5, 3, v1
	v_bfe_u32 v13, v1, 2, 5
	v_clz_i32_u32_e32 v7, v5
	s_delay_alu instid0(VALU_DEP_2) | instskip(NEXT) | instid1(VALU_DEP_2)
	v_cmp_eq_u32_e32 vcc_lo, 0, v13
	v_min_u32_e32 v7, 32, v7
	s_delay_alu instid0(VALU_DEP_1) | instskip(NEXT) | instid1(VALU_DEP_1)
	v_subrev_nc_u32_e32 v9, 29, v7
	v_dual_lshlrev_b32 v1, v9, v1 :: v_dual_sub_nc_u32 v7, 30, v7
	s_delay_alu instid0(VALU_DEP_1) | instskip(NEXT) | instid1(VALU_DEP_1)
	v_dual_lshlrev_b32 v3, 24, v3 :: v_dual_bitop2_b32 v1, 3, v1 bitop3:0x40
	v_cndmask_b32_e32 v1, v5, v1, vcc_lo
	s_delay_alu instid0(VALU_DEP_3) | instskip(NEXT) | instid1(VALU_DEP_3)
	v_cndmask_b32_e32 v7, v13, v7, vcc_lo
	v_and_b32_e32 v3, 0x80000000, v3
	s_delay_alu instid0(VALU_DEP_3) | instskip(NEXT) | instid1(VALU_DEP_3)
	v_lshlrev_b32_e32 v1, 21, v1
	v_lshl_add_u32 v5, v7, 23, 0x37800000
	s_delay_alu instid0(VALU_DEP_1) | instskip(NEXT) | instid1(VALU_DEP_1)
	v_or3_b32 v1, v3, v5, v1
	v_cvt_i32_f32_e32 v1, v1
.LBB191_1639:
	s_or_b32 exec_lo, exec_lo, s7
	s_mov_b32 s7, 0
	s_branch .LBB191_1645
.LBB191_1640:
	s_mov_b32 s7, -1
                                        ; implicit-def: $vgpr1
	s_branch .LBB191_1651
.LBB191_1641:
	s_and_not1_saveexec_b32 s12, s12
	s_cbranch_execz .LBB191_1626
.LBB191_1642:
	v_cmp_ne_u16_e32 vcc_lo, 0, v3
	s_and_not1_b32 s13, s13, exec_lo
	s_and_b32 s14, vcc_lo, exec_lo
	s_delay_alu instid0(SALU_CYCLE_1)
	s_or_b32 s13, s13, s14
	s_or_b32 exec_lo, exec_lo, s12
	v_mov_b32_e32 v1, 0
	s_and_saveexec_b32 s12, s13
	s_cbranch_execnz .LBB191_1627
	s_branch .LBB191_1628
.LBB191_1643:
	s_mov_b32 s7, -1
                                        ; implicit-def: $vgpr1
	s_branch .LBB191_1648
.LBB191_1644:
	s_mov_b32 s7, -1
                                        ; implicit-def: $vgpr1
.LBB191_1645:
	s_delay_alu instid0(SALU_CYCLE_1)
	s_and_b32 vcc_lo, exec_lo, s7
	s_cbranch_vccz .LBB191_1647
; %bb.1646:
	s_wait_loadcnt 0x0
	global_load_u8 v1, v[10:11], off
	s_wait_loadcnt 0x0
	v_lshlrev_b32_e32 v1, 24, v1
	s_delay_alu instid0(VALU_DEP_1) | instskip(NEXT) | instid1(VALU_DEP_1)
	v_and_b32_e32 v3, 0x7f000000, v1
	v_clz_i32_u32_e32 v5, v3
	v_add_nc_u32_e32 v9, 0x1000000, v3
	v_cmp_ne_u32_e32 vcc_lo, 0, v3
	s_delay_alu instid0(VALU_DEP_3) | instskip(NEXT) | instid1(VALU_DEP_1)
	v_min_u32_e32 v5, 32, v5
	v_sub_nc_u32_e64 v5, v5, 4 clamp
	s_delay_alu instid0(VALU_DEP_1) | instskip(NEXT) | instid1(VALU_DEP_1)
	v_dual_lshlrev_b32 v7, v5, v3 :: v_dual_lshlrev_b32 v5, 23, v5
	v_lshrrev_b32_e32 v7, 4, v7
	s_delay_alu instid0(VALU_DEP_1) | instskip(SKIP_1) | instid1(VALU_DEP_2)
	v_sub_nc_u32_e32 v5, v7, v5
	v_ashrrev_i32_e32 v7, 8, v9
	v_add_nc_u32_e32 v5, 0x3c000000, v5
	s_delay_alu instid0(VALU_DEP_1) | instskip(NEXT) | instid1(VALU_DEP_1)
	v_and_or_b32 v5, 0x7f800000, v7, v5
	v_cndmask_b32_e32 v3, 0, v5, vcc_lo
	s_delay_alu instid0(VALU_DEP_1) | instskip(NEXT) | instid1(VALU_DEP_1)
	v_and_or_b32 v1, 0x80000000, v1, v3
	v_cvt_i32_f32_e32 v1, v1
.LBB191_1647:
	s_mov_b32 s7, 0
.LBB191_1648:
	s_delay_alu instid0(SALU_CYCLE_1)
	s_and_not1_b32 vcc_lo, exec_lo, s7
	s_cbranch_vccnz .LBB191_1650
; %bb.1649:
	s_wait_loadcnt 0x0
	global_load_u8 v1, v[10:11], off
	s_wait_loadcnt 0x0
	v_lshlrev_b32_e32 v3, 25, v1
	v_lshlrev_b16 v1, 8, v1
	s_delay_alu instid0(VALU_DEP_1) | instskip(SKIP_1) | instid1(VALU_DEP_2)
	v_and_or_b32 v7, 0x7f00, v1, 0.5
	v_bfe_i32 v1, v1, 0, 16
	v_add_f32_e32 v7, -0.5, v7
	v_lshrrev_b32_e32 v5, 4, v3
	v_cmp_gt_u32_e32 vcc_lo, 0x8000000, v3
	s_delay_alu instid0(VALU_DEP_2) | instskip(NEXT) | instid1(VALU_DEP_1)
	v_or_b32_e32 v5, 0x70000000, v5
	v_mul_f32_e32 v5, 0x7800000, v5
	s_delay_alu instid0(VALU_DEP_1) | instskip(NEXT) | instid1(VALU_DEP_1)
	v_cndmask_b32_e32 v3, v5, v7, vcc_lo
	v_and_or_b32 v1, 0x80000000, v1, v3
	s_delay_alu instid0(VALU_DEP_1)
	v_cvt_i32_f32_e32 v1, v1
.LBB191_1650:
	s_mov_b32 s7, 0
	s_mov_b32 s12, -1
.LBB191_1651:
	s_and_not1_b32 vcc_lo, exec_lo, s7
	s_mov_b32 s7, 0
	s_cbranch_vccnz .LBB191_1662
; %bb.1652:
	s_cmp_gt_i32 s11, 14
	s_cbranch_scc0 .LBB191_1655
; %bb.1653:
	s_cmp_eq_u32 s11, 15
	s_cbranch_scc0 .LBB191_1658
; %bb.1654:
	s_wait_loadcnt 0x0
	global_load_u16 v1, v[10:11], off
	s_mov_b32 s6, 0
	s_mov_b32 s12, -1
	s_wait_loadcnt 0x0
	v_lshlrev_b32_e32 v1, 16, v1
	s_delay_alu instid0(VALU_DEP_1)
	v_cvt_i32_f32_e32 v1, v1
	s_branch .LBB191_1660
.LBB191_1655:
	s_mov_b32 s7, -1
	s_branch .LBB191_1659
.LBB191_1656:
	s_and_not1_saveexec_b32 s7, s7
	s_cbranch_execz .LBB191_1637
.LBB191_1657:
	v_cmp_ne_u16_e32 vcc_lo, 0, v3
	s_and_not1_b32 s12, s12, exec_lo
	s_and_b32 s13, vcc_lo, exec_lo
	s_delay_alu instid0(SALU_CYCLE_1)
	s_or_b32 s12, s12, s13
	s_or_b32 exec_lo, exec_lo, s7
	v_mov_b32_e32 v1, 0
	s_and_saveexec_b32 s7, s12
	s_cbranch_execnz .LBB191_1638
	s_branch .LBB191_1639
.LBB191_1658:
	s_mov_b32 s6, -1
.LBB191_1659:
                                        ; implicit-def: $vgpr1
.LBB191_1660:
	s_and_b32 vcc_lo, exec_lo, s7
	s_mov_b32 s7, 0
	s_cbranch_vccz .LBB191_1662
; %bb.1661:
	s_cmp_lg_u32 s11, 11
	s_mov_b32 s7, -1
	s_cselect_b32 s6, -1, 0
.LBB191_1662:
	s_delay_alu instid0(SALU_CYCLE_1)
	s_and_b32 vcc_lo, exec_lo, s6
	s_cbranch_vccnz .LBB191_2208
; %bb.1663:
	s_and_not1_b32 vcc_lo, exec_lo, s7
	s_cbranch_vccnz .LBB191_1665
.LBB191_1664:
	s_wait_loadcnt 0x0
	global_load_u8 v1, v[10:11], off
	s_mov_b32 s12, -1
	s_wait_loadcnt 0x0
	v_cmp_ne_u16_e32 vcc_lo, 0, v1
	v_cndmask_b32_e64 v1, 0, 1, vcc_lo
.LBB191_1665:
	s_mov_b32 s6, 0
.LBB191_1666:
	s_delay_alu instid0(SALU_CYCLE_1)
	s_and_b32 vcc_lo, exec_lo, s6
	s_cbranch_vccz .LBB191_1715
; %bb.1667:
	s_cmp_lt_i32 s11, 5
	s_cbranch_scc1 .LBB191_1672
; %bb.1668:
	s_cmp_lt_i32 s11, 8
	s_cbranch_scc1 .LBB191_1673
	;; [unrolled: 3-line block ×3, first 2 shown]
; %bb.1670:
	s_cmp_gt_i32 s11, 9
	s_cbranch_scc0 .LBB191_1675
; %bb.1671:
	global_load_b64 v[16:17], v[10:11], off
	s_mov_b32 s6, 0
	s_wait_loadcnt 0x0
	v_cvt_i32_f64_e32 v1, v[16:17]
	s_branch .LBB191_1676
.LBB191_1672:
	s_mov_b32 s6, -1
                                        ; implicit-def: $vgpr1
	s_branch .LBB191_1694
.LBB191_1673:
	s_mov_b32 s6, -1
                                        ; implicit-def: $vgpr1
	s_branch .LBB191_1682
.LBB191_1674:
	s_mov_b32 s6, -1
                                        ; implicit-def: $vgpr1
	s_branch .LBB191_1679
.LBB191_1675:
	s_mov_b32 s6, -1
                                        ; implicit-def: $vgpr1
.LBB191_1676:
	s_delay_alu instid0(SALU_CYCLE_1)
	s_and_not1_b32 vcc_lo, exec_lo, s6
	s_cbranch_vccnz .LBB191_1678
; %bb.1677:
	s_wait_loadcnt 0x0
	global_load_b32 v1, v[10:11], off
	s_wait_loadcnt 0x0
	v_cvt_i32_f32_e32 v1, v1
.LBB191_1678:
	s_mov_b32 s6, 0
.LBB191_1679:
	s_delay_alu instid0(SALU_CYCLE_1)
	s_and_not1_b32 vcc_lo, exec_lo, s6
	s_cbranch_vccnz .LBB191_1681
; %bb.1680:
	s_wait_loadcnt 0x0
	global_load_b32 v1, v[10:11], off
	s_wait_loadcnt 0x0
	v_cvt_f32_f16_e32 v1, v1
	s_delay_alu instid0(VALU_DEP_1)
	v_cvt_i32_f32_e32 v1, v1
.LBB191_1681:
	s_mov_b32 s6, 0
.LBB191_1682:
	s_delay_alu instid0(SALU_CYCLE_1)
	s_and_not1_b32 vcc_lo, exec_lo, s6
	s_cbranch_vccnz .LBB191_1693
; %bb.1683:
	s_cmp_lt_i32 s11, 6
	s_cbranch_scc1 .LBB191_1686
; %bb.1684:
	s_cmp_gt_i32 s11, 6
	s_cbranch_scc0 .LBB191_1687
; %bb.1685:
	global_load_b64 v[16:17], v[10:11], off
	s_mov_b32 s6, 0
	s_wait_loadcnt 0x0
	v_cvt_i32_f64_e32 v1, v[16:17]
	s_branch .LBB191_1688
.LBB191_1686:
	s_mov_b32 s6, -1
                                        ; implicit-def: $vgpr1
	s_branch .LBB191_1691
.LBB191_1687:
	s_mov_b32 s6, -1
                                        ; implicit-def: $vgpr1
.LBB191_1688:
	s_delay_alu instid0(SALU_CYCLE_1)
	s_and_not1_b32 vcc_lo, exec_lo, s6
	s_cbranch_vccnz .LBB191_1690
; %bb.1689:
	s_wait_loadcnt 0x0
	global_load_b32 v1, v[10:11], off
	s_wait_loadcnt 0x0
	v_cvt_i32_f32_e32 v1, v1
.LBB191_1690:
	s_mov_b32 s6, 0
.LBB191_1691:
	s_delay_alu instid0(SALU_CYCLE_1)
	s_and_not1_b32 vcc_lo, exec_lo, s6
	s_cbranch_vccnz .LBB191_1693
; %bb.1692:
	s_wait_loadcnt 0x0
	global_load_u16 v1, v[10:11], off
	s_wait_loadcnt 0x0
	v_cvt_f32_f16_e32 v1, v1
	s_delay_alu instid0(VALU_DEP_1)
	v_cvt_i32_f32_e32 v1, v1
.LBB191_1693:
	s_mov_b32 s6, 0
.LBB191_1694:
	s_delay_alu instid0(SALU_CYCLE_1)
	s_and_not1_b32 vcc_lo, exec_lo, s6
	s_cbranch_vccnz .LBB191_1714
; %bb.1695:
	s_cmp_lt_i32 s11, 2
	s_cbranch_scc1 .LBB191_1699
; %bb.1696:
	s_cmp_lt_i32 s11, 3
	s_cbranch_scc1 .LBB191_1700
; %bb.1697:
	s_cmp_gt_i32 s11, 3
	s_cbranch_scc0 .LBB191_1701
; %bb.1698:
	s_wait_loadcnt 0x0
	global_load_b32 v1, v[10:11], off
	s_mov_b32 s6, 0
	s_branch .LBB191_1702
.LBB191_1699:
	s_mov_b32 s6, -1
                                        ; implicit-def: $vgpr1
	s_branch .LBB191_1708
.LBB191_1700:
	s_mov_b32 s6, -1
                                        ; implicit-def: $vgpr1
	s_branch .LBB191_1705
.LBB191_1701:
	s_mov_b32 s6, -1
                                        ; implicit-def: $vgpr1
.LBB191_1702:
	s_delay_alu instid0(SALU_CYCLE_1)
	s_and_not1_b32 vcc_lo, exec_lo, s6
	s_cbranch_vccnz .LBB191_1704
; %bb.1703:
	s_wait_loadcnt 0x0
	global_load_b32 v1, v[10:11], off
.LBB191_1704:
	s_mov_b32 s6, 0
.LBB191_1705:
	s_delay_alu instid0(SALU_CYCLE_1)
	s_and_not1_b32 vcc_lo, exec_lo, s6
	s_cbranch_vccnz .LBB191_1707
; %bb.1706:
	s_wait_loadcnt 0x0
	global_load_i16 v1, v[10:11], off
.LBB191_1707:
	s_mov_b32 s6, 0
.LBB191_1708:
	s_delay_alu instid0(SALU_CYCLE_1)
	s_and_not1_b32 vcc_lo, exec_lo, s6
	s_cbranch_vccnz .LBB191_1714
; %bb.1709:
	s_cmp_gt_i32 s11, 0
	s_mov_b32 s6, 0
	s_cbranch_scc0 .LBB191_1711
; %bb.1710:
	s_wait_loadcnt 0x0
	global_load_i8 v1, v[10:11], off
	s_branch .LBB191_1712
.LBB191_1711:
	s_mov_b32 s6, -1
                                        ; implicit-def: $vgpr1
.LBB191_1712:
	s_delay_alu instid0(SALU_CYCLE_1)
	s_and_not1_b32 vcc_lo, exec_lo, s6
	s_cbranch_vccnz .LBB191_1714
; %bb.1713:
	s_wait_loadcnt 0x0
	global_load_u8 v1, v[10:11], off
.LBB191_1714:
	s_mov_b32 s12, -1
.LBB191_1715:
	s_delay_alu instid0(SALU_CYCLE_1)
	s_and_not1_b32 vcc_lo, exec_lo, s12
	s_cbranch_vccnz .LBB191_1719
; %bb.1716:
	s_cmp_lt_i32 s0, 1
	s_mov_b32 s6, 0
	s_cbranch_scc1 .LBB191_1764
; %bb.1717:
	s_cmp_eq_u32 s0, 1
	s_cbranch_scc0 .LBB191_1765
; %bb.1718:
	s_wait_loadcnt 0x0
	s_delay_alu instid0(VALU_DEP_1)
	v_min_i32_e32 v10, s1, v1
	s_mov_b32 s7, 0
	s_branch .LBB191_1766
.LBB191_1719:
	s_mov_b32 s0, 0
	s_mov_b32 s3, 0
                                        ; implicit-def: $vgpr2_vgpr3
                                        ; implicit-def: $sgpr1
                                        ; implicit-def: $vgpr10
.LBB191_1720:
	s_and_not1_b32 s2, s8, exec_lo
	s_and_b32 s4, s10, exec_lo
	s_and_b32 s0, s0, exec_lo
	;; [unrolled: 1-line block ×3, first 2 shown]
	s_or_b32 s8, s2, s4
.LBB191_1721:
	s_wait_xcnt 0x0
	s_or_b32 exec_lo, exec_lo, s9
	s_and_saveexec_b32 s2, s8
	s_cbranch_execz .LBB191_1724
; %bb.1722:
	; divergent unreachable
	s_or_b32 exec_lo, exec_lo, s2
	s_and_saveexec_b32 s2, s35
	s_delay_alu instid0(SALU_CYCLE_1)
	s_xor_b32 s2, exec_lo, s2
	s_cbranch_execnz .LBB191_1725
.LBB191_1723:
	s_or_b32 exec_lo, exec_lo, s2
	s_and_saveexec_b32 s2, s0
	s_cbranch_execnz .LBB191_1726
	s_branch .LBB191_1763
.LBB191_1724:
	s_or_b32 exec_lo, exec_lo, s2
	s_and_saveexec_b32 s2, s35
	s_delay_alu instid0(SALU_CYCLE_1)
	s_xor_b32 s2, exec_lo, s2
	s_cbranch_execz .LBB191_1723
.LBB191_1725:
	v_cmp_ne_u32_e32 vcc_lo, 0, v10
	v_cndmask_b32_e64 v0, 0, 1, vcc_lo
	global_store_b8 v[2:3], v0, off
	s_wait_xcnt 0x0
	s_or_b32 exec_lo, exec_lo, s2
	s_and_saveexec_b32 s2, s0
	s_cbranch_execz .LBB191_1763
.LBB191_1726:
	s_sext_i32_i16 s2, s1
	s_mov_b32 s0, -1
	s_cmp_lt_i32 s2, 5
	s_cbranch_scc1 .LBB191_1747
; %bb.1727:
	s_cmp_lt_i32 s2, 8
	s_cbranch_scc1 .LBB191_1737
; %bb.1728:
	;; [unrolled: 3-line block ×3, first 2 shown]
	s_cmp_gt_i32 s2, 9
	s_cbranch_scc0 .LBB191_1731
; %bb.1730:
	v_cvt_f64_i32_e32 v[4:5], v10
	v_mov_b32_e32 v6, 0
	s_mov_b32 s0, 0
	s_delay_alu instid0(VALU_DEP_1)
	v_mov_b32_e32 v7, v6
	global_store_b128 v[2:3], v[4:7], off
.LBB191_1731:
	s_and_not1_b32 vcc_lo, exec_lo, s0
	s_cbranch_vccnz .LBB191_1733
; %bb.1732:
	v_cvt_f32_i32_e32 v0, v10
	s_wait_loadcnt 0x0
	v_mov_b32_e32 v1, 0
	global_store_b64 v[2:3], v[0:1], off
.LBB191_1733:
	s_mov_b32 s0, 0
.LBB191_1734:
	s_delay_alu instid0(SALU_CYCLE_1)
	s_and_not1_b32 vcc_lo, exec_lo, s0
	s_cbranch_vccnz .LBB191_1736
; %bb.1735:
	s_wait_xcnt 0x0
	v_cvt_f32_i32_e32 v0, v10
	s_delay_alu instid0(VALU_DEP_1) | instskip(NEXT) | instid1(VALU_DEP_1)
	v_cvt_f16_f32_e32 v0, v0
	v_and_b32_e32 v0, 0xffff, v0
	global_store_b32 v[2:3], v0, off
.LBB191_1736:
	s_mov_b32 s0, 0
.LBB191_1737:
	s_delay_alu instid0(SALU_CYCLE_1)
	s_and_not1_b32 vcc_lo, exec_lo, s0
	s_cbranch_vccnz .LBB191_1746
; %bb.1738:
	s_sext_i32_i16 s2, s1
	s_mov_b32 s0, -1
	s_cmp_lt_i32 s2, 6
	s_cbranch_scc1 .LBB191_1744
; %bb.1739:
	s_cmp_gt_i32 s2, 6
	s_cbranch_scc0 .LBB191_1741
; %bb.1740:
	s_wait_loadcnt 0x0
	v_cvt_f64_i32_e32 v[0:1], v10
	s_mov_b32 s0, 0
	global_store_b64 v[2:3], v[0:1], off
.LBB191_1741:
	s_and_not1_b32 vcc_lo, exec_lo, s0
	s_cbranch_vccnz .LBB191_1743
; %bb.1742:
	s_wait_xcnt 0x0
	v_cvt_f32_i32_e32 v0, v10
	global_store_b32 v[2:3], v0, off
.LBB191_1743:
	s_mov_b32 s0, 0
.LBB191_1744:
	s_delay_alu instid0(SALU_CYCLE_1)
	s_and_not1_b32 vcc_lo, exec_lo, s0
	s_cbranch_vccnz .LBB191_1746
; %bb.1745:
	s_wait_xcnt 0x0
	v_cvt_f32_i32_e32 v0, v10
	s_delay_alu instid0(VALU_DEP_1)
	v_cvt_f16_f32_e32 v0, v0
	global_store_b16 v[2:3], v0, off
.LBB191_1746:
	s_mov_b32 s0, 0
.LBB191_1747:
	s_delay_alu instid0(SALU_CYCLE_1)
	s_and_not1_b32 vcc_lo, exec_lo, s0
	s_cbranch_vccnz .LBB191_1763
; %bb.1748:
	s_sext_i32_i16 s2, s1
	s_mov_b32 s0, -1
	s_cmp_lt_i32 s2, 2
	s_cbranch_scc1 .LBB191_1758
; %bb.1749:
	s_cmp_lt_i32 s2, 3
	s_cbranch_scc1 .LBB191_1755
; %bb.1750:
	s_cmp_gt_i32 s2, 3
	s_cbranch_scc0 .LBB191_1752
; %bb.1751:
	v_ashrrev_i32_e32 v11, 31, v10
	s_mov_b32 s0, 0
	global_store_b64 v[2:3], v[10:11], off
.LBB191_1752:
	s_and_not1_b32 vcc_lo, exec_lo, s0
	s_cbranch_vccnz .LBB191_1754
; %bb.1753:
	global_store_b32 v[2:3], v10, off
.LBB191_1754:
	s_mov_b32 s0, 0
.LBB191_1755:
	s_delay_alu instid0(SALU_CYCLE_1)
	s_and_not1_b32 vcc_lo, exec_lo, s0
	s_cbranch_vccnz .LBB191_1757
; %bb.1756:
	global_store_b16 v[2:3], v10, off
.LBB191_1757:
	s_mov_b32 s0, 0
.LBB191_1758:
	s_delay_alu instid0(SALU_CYCLE_1)
	s_and_not1_b32 vcc_lo, exec_lo, s0
	s_cbranch_vccnz .LBB191_1763
; %bb.1759:
	s_sext_i32_i16 s0, s1
	s_delay_alu instid0(SALU_CYCLE_1)
	s_cmp_gt_i32 s0, 0
	s_mov_b32 s0, -1
	s_cbranch_scc0 .LBB191_1761
; %bb.1760:
	s_mov_b32 s0, 0
	global_store_b8 v[2:3], v10, off
.LBB191_1761:
	s_and_not1_b32 vcc_lo, exec_lo, s0
	s_cbranch_vccnz .LBB191_1763
; %bb.1762:
	global_store_b8 v[2:3], v10, off
	s_endpgm
.LBB191_1763:
	s_endpgm
.LBB191_1764:
	s_mov_b32 s11, -1
	s_mov_b32 s7, 0
                                        ; implicit-def: $vgpr10
	s_branch .LBB191_1767
.LBB191_1765:
	s_mov_b32 s7, -1
                                        ; implicit-def: $vgpr10
.LBB191_1766:
	s_mov_b32 s11, 0
.LBB191_1767:
	s_delay_alu instid0(SALU_CYCLE_1)
	s_and_b32 vcc_lo, exec_lo, s11
	s_cbranch_vccz .LBB191_1849
; %bb.1768:
	s_cmp_lg_u32 s0, 0
	s_mov_b32 s6, -1
	s_cselect_b32 s7, -1, 0
	s_delay_alu instid0(SALU_CYCLE_1)
	s_and_not1_b32 vcc_lo, exec_lo, s7
	s_cbranch_vccz .LBB191_1850
.LBB191_1769:
	s_and_not1_b32 vcc_lo, exec_lo, s6
	s_cbranch_vccnz .LBB191_1771
.LBB191_1770:
	s_wait_loadcnt 0x0
	s_delay_alu instid0(VALU_DEP_1)
	v_max_i32_e32 v10, s1, v1
.LBB191_1771:
	s_load_b32 s0, s[2:3], 0x164
	v_mov_b32_e32 v7, 0
	s_delay_alu instid0(VALU_DEP_1) | instskip(SKIP_2) | instid1(SALU_CYCLE_1)
	v_add_nc_u64_e32 v[6:7], s[4:5], v[6:7]
	s_wait_kmcnt 0x0
	s_and_b32 s1, s0, 0xff
	s_cmp_lt_i32 s1, 11
	s_cbranch_scc1 .LBB191_1851
; %bb.1772:
	s_and_b32 s2, 0xffff, s1
	s_mov_b32 s7, -1
	s_mov_b32 s3, 0
	s_cmp_gt_i32 s2, 25
	s_mov_b32 s6, 0
	s_mov_b32 s0, 0
	s_cbranch_scc0 .LBB191_1805
; %bb.1773:
	s_cmp_gt_i32 s2, 28
	s_cbranch_scc0 .LBB191_1788
; %bb.1774:
	s_cmp_gt_i32 s2, 43
	;; [unrolled: 3-line block ×3, first 2 shown]
	s_cbranch_scc0 .LBB191_1778
; %bb.1776:
	s_mov_b32 s0, -1
	s_mov_b32 s7, 0
	s_cmp_eq_u32 s2, 46
	s_cbranch_scc0 .LBB191_1778
; %bb.1777:
	s_wait_loadcnt 0x0
	v_cvt_f32_i32_e32 v1, v8
	s_mov_b32 s0, 0
	s_mov_b32 s6, -1
	s_delay_alu instid0(VALU_DEP_1) | instskip(NEXT) | instid1(VALU_DEP_1)
	v_bfe_u32 v3, v1, 16, 1
	v_add3_u32 v1, v1, v3, 0x7fff
	s_delay_alu instid0(VALU_DEP_1)
	v_lshrrev_b32_e32 v1, 16, v1
	global_store_b32 v[6:7], v1, off
.LBB191_1778:
	s_and_b32 vcc_lo, exec_lo, s7
	s_cbranch_vccz .LBB191_1783
; %bb.1779:
	s_cmp_eq_u32 s2, 44
	s_mov_b32 s0, -1
	s_cbranch_scc0 .LBB191_1783
; %bb.1780:
	s_wait_loadcnt 0x0
	v_cvt_f32_i32_e32 v1, v8
	v_mov_b32_e32 v3, 0xff
	s_mov_b32 s6, exec_lo
	s_delay_alu instid0(VALU_DEP_2) | instskip(NEXT) | instid1(VALU_DEP_1)
	v_bfe_u32 v5, v1, 23, 8
	v_cmpx_ne_u32_e32 0xff, v5
	s_cbranch_execz .LBB191_1782
; %bb.1781:
	v_and_b32_e32 v3, 0x400000, v1
	v_and_or_b32 v5, 0x3fffff, v1, v5
	v_lshrrev_b32_e32 v1, 23, v1
	s_delay_alu instid0(VALU_DEP_3) | instskip(NEXT) | instid1(VALU_DEP_3)
	v_cmp_ne_u32_e32 vcc_lo, 0, v3
	v_cmp_ne_u32_e64 s0, 0, v5
	s_and_b32 s0, vcc_lo, s0
	s_delay_alu instid0(SALU_CYCLE_1) | instskip(NEXT) | instid1(VALU_DEP_1)
	v_cndmask_b32_e64 v3, 0, 1, s0
	v_add_nc_u32_e32 v3, v1, v3
.LBB191_1782:
	s_or_b32 exec_lo, exec_lo, s6
	s_mov_b32 s0, 0
	s_mov_b32 s6, -1
	global_store_b8 v[6:7], v3, off
.LBB191_1783:
	s_mov_b32 s7, 0
.LBB191_1784:
	s_delay_alu instid0(SALU_CYCLE_1)
	s_and_b32 vcc_lo, exec_lo, s7
	s_cbranch_vccz .LBB191_1787
; %bb.1785:
	s_cmp_eq_u32 s2, 29
	s_mov_b32 s0, -1
	s_cbranch_scc0 .LBB191_1787
; %bb.1786:
	v_ashrrev_i32_e32 v9, 31, v8
	s_mov_b32 s0, 0
	s_mov_b32 s6, -1
	global_store_b64 v[6:7], v[8:9], off
.LBB191_1787:
	s_mov_b32 s7, 0
.LBB191_1788:
	s_delay_alu instid0(SALU_CYCLE_1)
	s_and_b32 vcc_lo, exec_lo, s7
	s_cbranch_vccz .LBB191_1804
; %bb.1789:
	s_cmp_lt_i32 s2, 27
	s_mov_b32 s6, -1
	s_cbranch_scc1 .LBB191_1795
; %bb.1790:
	s_cmp_gt_i32 s2, 27
	s_cbranch_scc0 .LBB191_1792
; %bb.1791:
	s_mov_b32 s6, 0
	global_store_b32 v[6:7], v8, off
.LBB191_1792:
	s_and_not1_b32 vcc_lo, exec_lo, s6
	s_cbranch_vccnz .LBB191_1794
; %bb.1793:
	global_store_b16 v[6:7], v8, off
.LBB191_1794:
	s_mov_b32 s6, 0
.LBB191_1795:
	s_delay_alu instid0(SALU_CYCLE_1)
	s_and_not1_b32 vcc_lo, exec_lo, s6
	s_cbranch_vccnz .LBB191_1803
; %bb.1796:
	s_wait_loadcnt 0x0
	v_cvt_f32_i32_e32 v1, v8
	v_mov_b32_e32 v5, 0x80
	s_mov_b32 s6, exec_lo
	s_delay_alu instid0(VALU_DEP_2) | instskip(NEXT) | instid1(VALU_DEP_1)
	v_and_b32_e32 v3, 0x7fffffff, v1
	v_cmpx_gt_u32_e32 0x43800000, v3
	s_cbranch_execz .LBB191_1802
; %bb.1797:
	v_cmp_lt_u32_e32 vcc_lo, 0x3bffffff, v3
	s_mov_b32 s7, 0
                                        ; implicit-def: $vgpr3
	s_and_saveexec_b32 s11, vcc_lo
	s_delay_alu instid0(SALU_CYCLE_1)
	s_xor_b32 s11, exec_lo, s11
	s_cbranch_execz .LBB191_2209
; %bb.1798:
	v_bfe_u32 v3, v1, 20, 1
	s_mov_b32 s7, exec_lo
	s_delay_alu instid0(VALU_DEP_1) | instskip(NEXT) | instid1(VALU_DEP_1)
	v_add3_u32 v3, v1, v3, 0x487ffff
	v_lshrrev_b32_e32 v3, 20, v3
	s_and_not1_saveexec_b32 s11, s11
	s_cbranch_execnz .LBB191_2210
.LBB191_1799:
	s_or_b32 exec_lo, exec_lo, s11
	v_mov_b32_e32 v5, 0
	s_and_saveexec_b32 s11, s7
.LBB191_1800:
	v_lshrrev_b32_e32 v1, 24, v1
	s_delay_alu instid0(VALU_DEP_1)
	v_and_or_b32 v5, 0x80, v1, v3
.LBB191_1801:
	s_or_b32 exec_lo, exec_lo, s11
.LBB191_1802:
	s_delay_alu instid0(SALU_CYCLE_1)
	s_or_b32 exec_lo, exec_lo, s6
	global_store_b8 v[6:7], v5, off
.LBB191_1803:
	s_mov_b32 s6, -1
.LBB191_1804:
	s_mov_b32 s7, 0
.LBB191_1805:
	s_delay_alu instid0(SALU_CYCLE_1)
	s_and_b32 vcc_lo, exec_lo, s7
	s_cbranch_vccz .LBB191_1845
; %bb.1806:
	s_cmp_gt_i32 s2, 22
	s_mov_b32 s3, -1
	s_cbranch_scc0 .LBB191_1838
; %bb.1807:
	s_cmp_lt_i32 s2, 24
	s_cbranch_scc1 .LBB191_1827
; %bb.1808:
	s_cmp_gt_i32 s2, 24
	s_cbranch_scc0 .LBB191_1816
; %bb.1809:
	s_wait_loadcnt 0x0
	v_cvt_f32_i32_e32 v1, v8
	v_mov_b32_e32 v5, 0x80
	s_mov_b32 s3, exec_lo
	s_delay_alu instid0(VALU_DEP_2) | instskip(NEXT) | instid1(VALU_DEP_1)
	v_and_b32_e32 v3, 0x7fffffff, v1
	v_cmpx_gt_u32_e32 0x47800000, v3
	s_cbranch_execz .LBB191_1815
; %bb.1810:
	v_cmp_lt_u32_e32 vcc_lo, 0x37ffffff, v3
	s_mov_b32 s6, 0
                                        ; implicit-def: $vgpr3
	s_and_saveexec_b32 s7, vcc_lo
	s_delay_alu instid0(SALU_CYCLE_1)
	s_xor_b32 s7, exec_lo, s7
	s_cbranch_execz .LBB191_2212
; %bb.1811:
	v_bfe_u32 v3, v1, 21, 1
	s_mov_b32 s6, exec_lo
	s_delay_alu instid0(VALU_DEP_1) | instskip(NEXT) | instid1(VALU_DEP_1)
	v_add3_u32 v3, v1, v3, 0x88fffff
	v_lshrrev_b32_e32 v3, 21, v3
	s_and_not1_saveexec_b32 s7, s7
	s_cbranch_execnz .LBB191_2213
.LBB191_1812:
	s_or_b32 exec_lo, exec_lo, s7
	v_mov_b32_e32 v5, 0
	s_and_saveexec_b32 s7, s6
.LBB191_1813:
	v_lshrrev_b32_e32 v1, 24, v1
	s_delay_alu instid0(VALU_DEP_1)
	v_and_or_b32 v5, 0x80, v1, v3
.LBB191_1814:
	s_or_b32 exec_lo, exec_lo, s7
.LBB191_1815:
	s_delay_alu instid0(SALU_CYCLE_1)
	s_or_b32 exec_lo, exec_lo, s3
	s_mov_b32 s3, 0
	global_store_b8 v[6:7], v5, off
.LBB191_1816:
	s_and_b32 vcc_lo, exec_lo, s3
	s_cbranch_vccz .LBB191_1826
; %bb.1817:
	s_wait_loadcnt 0x0
	v_cvt_f32_i32_e32 v1, v8
	s_mov_b32 s3, exec_lo
                                        ; implicit-def: $vgpr3
	s_delay_alu instid0(VALU_DEP_1) | instskip(NEXT) | instid1(VALU_DEP_1)
	v_and_b32_e32 v5, 0x7fffffff, v1
	v_cmpx_gt_u32_e32 0x43f00000, v5
	s_xor_b32 s3, exec_lo, s3
	s_cbranch_execz .LBB191_1823
; %bb.1818:
	s_mov_b32 s6, exec_lo
                                        ; implicit-def: $vgpr3
	v_cmpx_lt_u32_e32 0x3c7fffff, v5
	s_xor_b32 s6, exec_lo, s6
; %bb.1819:
	v_bfe_u32 v3, v1, 20, 1
	s_delay_alu instid0(VALU_DEP_1) | instskip(NEXT) | instid1(VALU_DEP_1)
	v_add3_u32 v3, v1, v3, 0x407ffff
	v_and_b32_e32 v5, 0xff00000, v3
	v_lshrrev_b32_e32 v3, 20, v3
	s_delay_alu instid0(VALU_DEP_2) | instskip(NEXT) | instid1(VALU_DEP_2)
	v_cmp_ne_u32_e32 vcc_lo, 0x7f00000, v5
	v_cndmask_b32_e32 v3, 0x7e, v3, vcc_lo
; %bb.1820:
	s_and_not1_saveexec_b32 s6, s6
; %bb.1821:
	v_add_f32_e64 v3, 0x46800000, |v1|
; %bb.1822:
	s_or_b32 exec_lo, exec_lo, s6
                                        ; implicit-def: $vgpr5
.LBB191_1823:
	s_and_not1_saveexec_b32 s3, s3
; %bb.1824:
	v_mov_b32_e32 v3, 0x7f
	v_cmp_lt_u32_e32 vcc_lo, 0x7f800000, v5
	s_delay_alu instid0(VALU_DEP_2)
	v_cndmask_b32_e32 v3, 0x7e, v3, vcc_lo
; %bb.1825:
	s_or_b32 exec_lo, exec_lo, s3
	v_lshrrev_b32_e32 v1, 24, v1
	s_delay_alu instid0(VALU_DEP_1)
	v_and_or_b32 v1, 0x80, v1, v3
	global_store_b8 v[6:7], v1, off
.LBB191_1826:
	s_mov_b32 s3, 0
.LBB191_1827:
	s_delay_alu instid0(SALU_CYCLE_1)
	s_and_not1_b32 vcc_lo, exec_lo, s3
	s_cbranch_vccnz .LBB191_1837
; %bb.1828:
	s_wait_loadcnt 0x0
	v_cvt_f32_i32_e32 v1, v8
	s_mov_b32 s3, exec_lo
                                        ; implicit-def: $vgpr3
	s_delay_alu instid0(VALU_DEP_1) | instskip(NEXT) | instid1(VALU_DEP_1)
	v_and_b32_e32 v5, 0x7fffffff, v1
	v_cmpx_gt_u32_e32 0x47800000, v5
	s_xor_b32 s3, exec_lo, s3
	s_cbranch_execz .LBB191_1834
; %bb.1829:
	s_mov_b32 s6, exec_lo
                                        ; implicit-def: $vgpr3
	v_cmpx_lt_u32_e32 0x387fffff, v5
	s_xor_b32 s6, exec_lo, s6
; %bb.1830:
	v_bfe_u32 v3, v1, 21, 1
	s_delay_alu instid0(VALU_DEP_1) | instskip(NEXT) | instid1(VALU_DEP_1)
	v_add3_u32 v3, v1, v3, 0x80fffff
	v_lshrrev_b32_e32 v3, 21, v3
; %bb.1831:
	s_and_not1_saveexec_b32 s6, s6
; %bb.1832:
	v_add_f32_e64 v3, 0x43000000, |v1|
; %bb.1833:
	s_or_b32 exec_lo, exec_lo, s6
                                        ; implicit-def: $vgpr5
.LBB191_1834:
	s_and_not1_saveexec_b32 s3, s3
; %bb.1835:
	v_mov_b32_e32 v3, 0x7f
	v_cmp_lt_u32_e32 vcc_lo, 0x7f800000, v5
	s_delay_alu instid0(VALU_DEP_2)
	v_cndmask_b32_e32 v3, 0x7c, v3, vcc_lo
; %bb.1836:
	s_or_b32 exec_lo, exec_lo, s3
	v_lshrrev_b32_e32 v1, 24, v1
	s_delay_alu instid0(VALU_DEP_1)
	v_and_or_b32 v1, 0x80, v1, v3
	global_store_b8 v[6:7], v1, off
.LBB191_1837:
	s_mov_b32 s3, 0
	s_mov_b32 s6, -1
.LBB191_1838:
	s_and_not1_b32 vcc_lo, exec_lo, s3
	s_mov_b32 s3, 0
	s_cbranch_vccnz .LBB191_1845
; %bb.1839:
	s_cmp_gt_i32 s2, 14
	s_mov_b32 s3, -1
	s_cbranch_scc0 .LBB191_1843
; %bb.1840:
	s_cmp_eq_u32 s2, 15
	s_mov_b32 s0, -1
	s_cbranch_scc0 .LBB191_1842
; %bb.1841:
	s_wait_loadcnt 0x0
	v_cvt_f32_i32_e32 v1, v8
	s_mov_b32 s0, 0
	s_mov_b32 s6, -1
	s_delay_alu instid0(VALU_DEP_1) | instskip(NEXT) | instid1(VALU_DEP_1)
	v_bfe_u32 v3, v1, 16, 1
	v_add3_u32 v1, v1, v3, 0x7fff
	global_store_d16_hi_b16 v[6:7], v1, off
.LBB191_1842:
	s_mov_b32 s3, 0
.LBB191_1843:
	s_delay_alu instid0(SALU_CYCLE_1)
	s_and_b32 vcc_lo, exec_lo, s3
	s_mov_b32 s3, 0
	s_cbranch_vccz .LBB191_1845
; %bb.1844:
	s_cmp_lg_u32 s2, 11
	s_mov_b32 s3, -1
	s_cselect_b32 s0, -1, 0
.LBB191_1845:
	s_delay_alu instid0(SALU_CYCLE_1)
	s_and_b32 vcc_lo, exec_lo, s0
	s_cbranch_vccnz .LBB191_2211
; %bb.1846:
	s_and_not1_b32 vcc_lo, exec_lo, s3
	s_cbranch_vccnz .LBB191_1848
.LBB191_1847:
	v_cmp_ne_u32_e32 vcc_lo, 0, v8
	s_mov_b32 s6, -1
	s_wait_loadcnt 0x0
	v_cndmask_b32_e64 v1, 0, 1, vcc_lo
	global_store_b8 v[6:7], v1, off
.LBB191_1848:
	s_mov_b32 s0, 0
	s_branch .LBB191_1852
.LBB191_1849:
	s_and_not1_b32 vcc_lo, exec_lo, s7
	s_cbranch_vccnz .LBB191_1769
.LBB191_1850:
	s_load_b32 s0, s[2:3], 0x160
	s_wait_loadcnt 0x0
	s_wait_kmcnt 0x0
	s_delay_alu instid0(VALU_DEP_1)
	v_maxmin_i32 v10, v1, s1, s0
	s_cbranch_execz .LBB191_1770
	s_branch .LBB191_1771
.LBB191_1851:
	s_mov_b32 s0, -1
	s_mov_b32 s6, 0
.LBB191_1852:
	s_and_b32 vcc_lo, exec_lo, s0
	s_cbranch_vccz .LBB191_1891
; %bb.1853:
	s_and_b32 s0, 0xffff, s1
	s_mov_b32 s2, -1
	s_cmp_lt_i32 s0, 5
	s_cbranch_scc1 .LBB191_1874
; %bb.1854:
	s_cmp_lt_i32 s0, 8
	s_cbranch_scc1 .LBB191_1864
; %bb.1855:
	;; [unrolled: 3-line block ×3, first 2 shown]
	s_cmp_gt_i32 s0, 9
	s_cbranch_scc0 .LBB191_1858
; %bb.1857:
	v_cvt_f64_i32_e32 v[16:17], v8
	v_mov_b32_e32 v18, 0
	s_mov_b32 s2, 0
	s_delay_alu instid0(VALU_DEP_1)
	v_mov_b32_e32 v19, v18
	global_store_b128 v[6:7], v[16:19], off
.LBB191_1858:
	s_and_not1_b32 vcc_lo, exec_lo, s2
	s_cbranch_vccnz .LBB191_1860
; %bb.1859:
	s_wait_xcnt 0x0
	v_cvt_f32_i32_e32 v16, v8
	v_mov_b32_e32 v17, 0
	global_store_b64 v[6:7], v[16:17], off
.LBB191_1860:
	s_mov_b32 s2, 0
.LBB191_1861:
	s_delay_alu instid0(SALU_CYCLE_1)
	s_and_not1_b32 vcc_lo, exec_lo, s2
	s_cbranch_vccnz .LBB191_1863
; %bb.1862:
	s_wait_loadcnt 0x0
	v_cvt_f32_i32_e32 v1, v8
	s_delay_alu instid0(VALU_DEP_1) | instskip(NEXT) | instid1(VALU_DEP_1)
	v_cvt_f16_f32_e32 v1, v1
	v_and_b32_e32 v1, 0xffff, v1
	global_store_b32 v[6:7], v1, off
.LBB191_1863:
	s_mov_b32 s2, 0
.LBB191_1864:
	s_delay_alu instid0(SALU_CYCLE_1)
	s_and_not1_b32 vcc_lo, exec_lo, s2
	s_cbranch_vccnz .LBB191_1873
; %bb.1865:
	s_cmp_lt_i32 s0, 6
	s_mov_b32 s2, -1
	s_cbranch_scc1 .LBB191_1871
; %bb.1866:
	s_cmp_gt_i32 s0, 6
	s_cbranch_scc0 .LBB191_1868
; %bb.1867:
	s_wait_xcnt 0x0
	v_cvt_f64_i32_e32 v[16:17], v8
	s_mov_b32 s2, 0
	global_store_b64 v[6:7], v[16:17], off
.LBB191_1868:
	s_and_not1_b32 vcc_lo, exec_lo, s2
	s_cbranch_vccnz .LBB191_1870
; %bb.1869:
	s_wait_loadcnt 0x0
	v_cvt_f32_i32_e32 v1, v8
	global_store_b32 v[6:7], v1, off
.LBB191_1870:
	s_mov_b32 s2, 0
.LBB191_1871:
	s_delay_alu instid0(SALU_CYCLE_1)
	s_and_not1_b32 vcc_lo, exec_lo, s2
	s_cbranch_vccnz .LBB191_1873
; %bb.1872:
	s_wait_loadcnt 0x0
	v_cvt_f32_i32_e32 v1, v8
	s_delay_alu instid0(VALU_DEP_1)
	v_cvt_f16_f32_e32 v1, v1
	global_store_b16 v[6:7], v1, off
.LBB191_1873:
	s_mov_b32 s2, 0
.LBB191_1874:
	s_delay_alu instid0(SALU_CYCLE_1)
	s_and_not1_b32 vcc_lo, exec_lo, s2
	s_cbranch_vccnz .LBB191_1890
; %bb.1875:
	s_cmp_lt_i32 s0, 2
	s_mov_b32 s2, -1
	s_cbranch_scc1 .LBB191_1885
; %bb.1876:
	s_cmp_lt_i32 s0, 3
	s_cbranch_scc1 .LBB191_1882
; %bb.1877:
	s_cmp_gt_i32 s0, 3
	s_cbranch_scc0 .LBB191_1879
; %bb.1878:
	s_wait_xcnt 0x0
	v_ashrrev_i32_e32 v9, 31, v8
	s_mov_b32 s2, 0
	global_store_b64 v[6:7], v[8:9], off
.LBB191_1879:
	s_and_not1_b32 vcc_lo, exec_lo, s2
	s_cbranch_vccnz .LBB191_1881
; %bb.1880:
	global_store_b32 v[6:7], v8, off
.LBB191_1881:
	s_mov_b32 s2, 0
.LBB191_1882:
	s_delay_alu instid0(SALU_CYCLE_1)
	s_and_not1_b32 vcc_lo, exec_lo, s2
	s_cbranch_vccnz .LBB191_1884
; %bb.1883:
	global_store_b16 v[6:7], v8, off
.LBB191_1884:
	s_mov_b32 s2, 0
.LBB191_1885:
	s_delay_alu instid0(SALU_CYCLE_1)
	s_and_not1_b32 vcc_lo, exec_lo, s2
	s_cbranch_vccnz .LBB191_1890
; %bb.1886:
	s_cmp_gt_i32 s0, 0
	s_mov_b32 s0, -1
	s_cbranch_scc0 .LBB191_1888
; %bb.1887:
	s_mov_b32 s0, 0
	global_store_b8 v[6:7], v8, off
.LBB191_1888:
	s_and_not1_b32 vcc_lo, exec_lo, s0
	s_cbranch_vccnz .LBB191_1890
; %bb.1889:
	global_store_b8 v[6:7], v8, off
.LBB191_1890:
	s_mov_b32 s6, -1
.LBB191_1891:
	s_delay_alu instid0(SALU_CYCLE_1)
	s_and_not1_b32 vcc_lo, exec_lo, s6
	s_cbranch_vccnz .LBB191_2206
; %bb.1892:
	s_wait_xcnt 0x0
	v_mov_b32_e32 v5, 0
	s_and_b32 s2, 0xffff, s1
	s_delay_alu instid0(SALU_CYCLE_1) | instskip(NEXT) | instid1(VALU_DEP_1)
	s_cmp_lt_i32 s2, 11
	v_add_nc_u64_e32 v[4:5], s[4:5], v[4:5]
	s_cbranch_scc1 .LBB191_1970
; %bb.1893:
	s_mov_b32 s7, -1
	s_mov_b32 s3, 0
	s_cmp_gt_i32 s2, 25
	s_mov_b32 s6, 0
	s_mov_b32 s0, 0
	s_cbranch_scc0 .LBB191_1926
; %bb.1894:
	s_cmp_gt_i32 s2, 28
	s_cbranch_scc0 .LBB191_1909
; %bb.1895:
	s_cmp_gt_i32 s2, 43
	;; [unrolled: 3-line block ×3, first 2 shown]
	s_cbranch_scc0 .LBB191_1899
; %bb.1897:
	s_mov_b32 s0, -1
	s_mov_b32 s7, 0
	s_cmp_eq_u32 s2, 46
	s_cbranch_scc0 .LBB191_1899
; %bb.1898:
	s_wait_loadcnt 0x0
	v_cvt_f32_i32_e32 v1, v12
	s_mov_b32 s0, 0
	s_mov_b32 s6, -1
	s_delay_alu instid0(VALU_DEP_1) | instskip(NEXT) | instid1(VALU_DEP_1)
	v_bfe_u32 v3, v1, 16, 1
	v_add3_u32 v1, v1, v3, 0x7fff
	s_delay_alu instid0(VALU_DEP_1)
	v_lshrrev_b32_e32 v1, 16, v1
	global_store_b32 v[4:5], v1, off
.LBB191_1899:
	s_and_b32 vcc_lo, exec_lo, s7
	s_cbranch_vccz .LBB191_1904
; %bb.1900:
	s_cmp_eq_u32 s2, 44
	s_mov_b32 s0, -1
	s_cbranch_scc0 .LBB191_1904
; %bb.1901:
	s_wait_loadcnt 0x0
	v_cvt_f32_i32_e32 v1, v12
	v_mov_b32_e32 v3, 0xff
	s_mov_b32 s6, exec_lo
	s_delay_alu instid0(VALU_DEP_2) | instskip(NEXT) | instid1(VALU_DEP_1)
	v_bfe_u32 v6, v1, 23, 8
	v_cmpx_ne_u32_e32 0xff, v6
	s_cbranch_execz .LBB191_1903
; %bb.1902:
	v_and_b32_e32 v3, 0x400000, v1
	v_and_or_b32 v6, 0x3fffff, v1, v6
	v_lshrrev_b32_e32 v1, 23, v1
	s_delay_alu instid0(VALU_DEP_3) | instskip(NEXT) | instid1(VALU_DEP_3)
	v_cmp_ne_u32_e32 vcc_lo, 0, v3
	v_cmp_ne_u32_e64 s0, 0, v6
	s_and_b32 s0, vcc_lo, s0
	s_delay_alu instid0(SALU_CYCLE_1) | instskip(NEXT) | instid1(VALU_DEP_1)
	v_cndmask_b32_e64 v3, 0, 1, s0
	v_add_nc_u32_e32 v3, v1, v3
.LBB191_1903:
	s_or_b32 exec_lo, exec_lo, s6
	s_mov_b32 s0, 0
	s_mov_b32 s6, -1
	global_store_b8 v[4:5], v3, off
.LBB191_1904:
	s_mov_b32 s7, 0
.LBB191_1905:
	s_delay_alu instid0(SALU_CYCLE_1)
	s_and_b32 vcc_lo, exec_lo, s7
	s_cbranch_vccz .LBB191_1908
; %bb.1906:
	s_cmp_eq_u32 s2, 29
	s_mov_b32 s0, -1
	s_cbranch_scc0 .LBB191_1908
; %bb.1907:
	v_ashrrev_i32_e32 v13, 31, v12
	s_mov_b32 s0, 0
	s_mov_b32 s6, -1
	global_store_b64 v[4:5], v[12:13], off
.LBB191_1908:
	s_mov_b32 s7, 0
.LBB191_1909:
	s_delay_alu instid0(SALU_CYCLE_1)
	s_and_b32 vcc_lo, exec_lo, s7
	s_cbranch_vccz .LBB191_1925
; %bb.1910:
	s_cmp_lt_i32 s2, 27
	s_mov_b32 s6, -1
	s_cbranch_scc1 .LBB191_1916
; %bb.1911:
	s_cmp_gt_i32 s2, 27
	s_cbranch_scc0 .LBB191_1913
; %bb.1912:
	s_mov_b32 s6, 0
	global_store_b32 v[4:5], v12, off
.LBB191_1913:
	s_and_not1_b32 vcc_lo, exec_lo, s6
	s_cbranch_vccnz .LBB191_1915
; %bb.1914:
	global_store_b16 v[4:5], v12, off
.LBB191_1915:
	s_mov_b32 s6, 0
.LBB191_1916:
	s_delay_alu instid0(SALU_CYCLE_1)
	s_and_not1_b32 vcc_lo, exec_lo, s6
	s_cbranch_vccnz .LBB191_1924
; %bb.1917:
	s_wait_loadcnt 0x0
	v_cvt_f32_i32_e32 v1, v12
	v_mov_b32_e32 v6, 0x80
	s_mov_b32 s6, exec_lo
	s_delay_alu instid0(VALU_DEP_2) | instskip(NEXT) | instid1(VALU_DEP_1)
	v_and_b32_e32 v3, 0x7fffffff, v1
	v_cmpx_gt_u32_e32 0x43800000, v3
	s_cbranch_execz .LBB191_1923
; %bb.1918:
	v_cmp_lt_u32_e32 vcc_lo, 0x3bffffff, v3
	s_mov_b32 s7, 0
                                        ; implicit-def: $vgpr3
	s_and_saveexec_b32 s11, vcc_lo
	s_delay_alu instid0(SALU_CYCLE_1)
	s_xor_b32 s11, exec_lo, s11
	s_cbranch_execz .LBB191_2214
; %bb.1919:
	v_bfe_u32 v3, v1, 20, 1
	s_mov_b32 s7, exec_lo
	s_delay_alu instid0(VALU_DEP_1) | instskip(NEXT) | instid1(VALU_DEP_1)
	v_add3_u32 v3, v1, v3, 0x487ffff
	v_lshrrev_b32_e32 v3, 20, v3
	s_and_not1_saveexec_b32 s11, s11
	s_cbranch_execnz .LBB191_2215
.LBB191_1920:
	s_or_b32 exec_lo, exec_lo, s11
	v_mov_b32_e32 v6, 0
	s_and_saveexec_b32 s11, s7
.LBB191_1921:
	v_lshrrev_b32_e32 v1, 24, v1
	s_delay_alu instid0(VALU_DEP_1)
	v_and_or_b32 v6, 0x80, v1, v3
.LBB191_1922:
	s_or_b32 exec_lo, exec_lo, s11
.LBB191_1923:
	s_delay_alu instid0(SALU_CYCLE_1)
	s_or_b32 exec_lo, exec_lo, s6
	global_store_b8 v[4:5], v6, off
.LBB191_1924:
	s_mov_b32 s6, -1
.LBB191_1925:
	s_mov_b32 s7, 0
.LBB191_1926:
	s_delay_alu instid0(SALU_CYCLE_1)
	s_and_b32 vcc_lo, exec_lo, s7
	s_cbranch_vccz .LBB191_1966
; %bb.1927:
	s_cmp_gt_i32 s2, 22
	s_mov_b32 s3, -1
	s_cbranch_scc0 .LBB191_1959
; %bb.1928:
	s_cmp_lt_i32 s2, 24
	s_cbranch_scc1 .LBB191_1948
; %bb.1929:
	s_cmp_gt_i32 s2, 24
	s_cbranch_scc0 .LBB191_1937
; %bb.1930:
	s_wait_loadcnt 0x0
	v_cvt_f32_i32_e32 v1, v12
	v_mov_b32_e32 v6, 0x80
	s_mov_b32 s3, exec_lo
	s_delay_alu instid0(VALU_DEP_2) | instskip(NEXT) | instid1(VALU_DEP_1)
	v_and_b32_e32 v3, 0x7fffffff, v1
	v_cmpx_gt_u32_e32 0x47800000, v3
	s_cbranch_execz .LBB191_1936
; %bb.1931:
	v_cmp_lt_u32_e32 vcc_lo, 0x37ffffff, v3
	s_mov_b32 s6, 0
                                        ; implicit-def: $vgpr3
	s_and_saveexec_b32 s7, vcc_lo
	s_delay_alu instid0(SALU_CYCLE_1)
	s_xor_b32 s7, exec_lo, s7
	s_cbranch_execz .LBB191_2217
; %bb.1932:
	v_bfe_u32 v3, v1, 21, 1
	s_mov_b32 s6, exec_lo
	s_delay_alu instid0(VALU_DEP_1) | instskip(NEXT) | instid1(VALU_DEP_1)
	v_add3_u32 v3, v1, v3, 0x88fffff
	v_lshrrev_b32_e32 v3, 21, v3
	s_and_not1_saveexec_b32 s7, s7
	s_cbranch_execnz .LBB191_2218
.LBB191_1933:
	s_or_b32 exec_lo, exec_lo, s7
	v_mov_b32_e32 v6, 0
	s_and_saveexec_b32 s7, s6
.LBB191_1934:
	v_lshrrev_b32_e32 v1, 24, v1
	s_delay_alu instid0(VALU_DEP_1)
	v_and_or_b32 v6, 0x80, v1, v3
.LBB191_1935:
	s_or_b32 exec_lo, exec_lo, s7
.LBB191_1936:
	s_delay_alu instid0(SALU_CYCLE_1)
	s_or_b32 exec_lo, exec_lo, s3
	s_mov_b32 s3, 0
	global_store_b8 v[4:5], v6, off
.LBB191_1937:
	s_and_b32 vcc_lo, exec_lo, s3
	s_cbranch_vccz .LBB191_1947
; %bb.1938:
	s_wait_loadcnt 0x0
	v_cvt_f32_i32_e32 v1, v12
	s_mov_b32 s3, exec_lo
                                        ; implicit-def: $vgpr3
	s_delay_alu instid0(VALU_DEP_1) | instskip(NEXT) | instid1(VALU_DEP_1)
	v_and_b32_e32 v6, 0x7fffffff, v1
	v_cmpx_gt_u32_e32 0x43f00000, v6
	s_xor_b32 s3, exec_lo, s3
	s_cbranch_execz .LBB191_1944
; %bb.1939:
	s_mov_b32 s6, exec_lo
                                        ; implicit-def: $vgpr3
	v_cmpx_lt_u32_e32 0x3c7fffff, v6
	s_xor_b32 s6, exec_lo, s6
; %bb.1940:
	v_bfe_u32 v3, v1, 20, 1
	s_delay_alu instid0(VALU_DEP_1) | instskip(NEXT) | instid1(VALU_DEP_1)
	v_add3_u32 v3, v1, v3, 0x407ffff
	v_and_b32_e32 v6, 0xff00000, v3
	v_lshrrev_b32_e32 v3, 20, v3
	s_delay_alu instid0(VALU_DEP_2) | instskip(NEXT) | instid1(VALU_DEP_2)
	v_cmp_ne_u32_e32 vcc_lo, 0x7f00000, v6
	v_cndmask_b32_e32 v3, 0x7e, v3, vcc_lo
; %bb.1941:
	s_and_not1_saveexec_b32 s6, s6
; %bb.1942:
	v_add_f32_e64 v3, 0x46800000, |v1|
; %bb.1943:
	s_or_b32 exec_lo, exec_lo, s6
                                        ; implicit-def: $vgpr6
.LBB191_1944:
	s_and_not1_saveexec_b32 s3, s3
; %bb.1945:
	v_mov_b32_e32 v3, 0x7f
	v_cmp_lt_u32_e32 vcc_lo, 0x7f800000, v6
	s_delay_alu instid0(VALU_DEP_2)
	v_cndmask_b32_e32 v3, 0x7e, v3, vcc_lo
; %bb.1946:
	s_or_b32 exec_lo, exec_lo, s3
	v_lshrrev_b32_e32 v1, 24, v1
	s_delay_alu instid0(VALU_DEP_1)
	v_and_or_b32 v1, 0x80, v1, v3
	global_store_b8 v[4:5], v1, off
.LBB191_1947:
	s_mov_b32 s3, 0
.LBB191_1948:
	s_delay_alu instid0(SALU_CYCLE_1)
	s_and_not1_b32 vcc_lo, exec_lo, s3
	s_cbranch_vccnz .LBB191_1958
; %bb.1949:
	s_wait_loadcnt 0x0
	v_cvt_f32_i32_e32 v1, v12
	s_mov_b32 s3, exec_lo
                                        ; implicit-def: $vgpr3
	s_delay_alu instid0(VALU_DEP_1) | instskip(NEXT) | instid1(VALU_DEP_1)
	v_and_b32_e32 v6, 0x7fffffff, v1
	v_cmpx_gt_u32_e32 0x47800000, v6
	s_xor_b32 s3, exec_lo, s3
	s_cbranch_execz .LBB191_1955
; %bb.1950:
	s_mov_b32 s6, exec_lo
                                        ; implicit-def: $vgpr3
	v_cmpx_lt_u32_e32 0x387fffff, v6
	s_xor_b32 s6, exec_lo, s6
; %bb.1951:
	v_bfe_u32 v3, v1, 21, 1
	s_delay_alu instid0(VALU_DEP_1) | instskip(NEXT) | instid1(VALU_DEP_1)
	v_add3_u32 v3, v1, v3, 0x80fffff
	v_lshrrev_b32_e32 v3, 21, v3
; %bb.1952:
	s_and_not1_saveexec_b32 s6, s6
; %bb.1953:
	v_add_f32_e64 v3, 0x43000000, |v1|
; %bb.1954:
	s_or_b32 exec_lo, exec_lo, s6
                                        ; implicit-def: $vgpr6
.LBB191_1955:
	s_and_not1_saveexec_b32 s3, s3
; %bb.1956:
	v_mov_b32_e32 v3, 0x7f
	v_cmp_lt_u32_e32 vcc_lo, 0x7f800000, v6
	s_delay_alu instid0(VALU_DEP_2)
	v_cndmask_b32_e32 v3, 0x7c, v3, vcc_lo
; %bb.1957:
	s_or_b32 exec_lo, exec_lo, s3
	v_lshrrev_b32_e32 v1, 24, v1
	s_delay_alu instid0(VALU_DEP_1)
	v_and_or_b32 v1, 0x80, v1, v3
	global_store_b8 v[4:5], v1, off
.LBB191_1958:
	s_mov_b32 s3, 0
	s_mov_b32 s6, -1
.LBB191_1959:
	s_and_not1_b32 vcc_lo, exec_lo, s3
	s_mov_b32 s3, 0
	s_cbranch_vccnz .LBB191_1966
; %bb.1960:
	s_cmp_gt_i32 s2, 14
	s_mov_b32 s3, -1
	s_cbranch_scc0 .LBB191_1964
; %bb.1961:
	s_cmp_eq_u32 s2, 15
	s_mov_b32 s0, -1
	s_cbranch_scc0 .LBB191_1963
; %bb.1962:
	s_wait_loadcnt 0x0
	v_cvt_f32_i32_e32 v1, v12
	s_mov_b32 s0, 0
	s_mov_b32 s6, -1
	s_delay_alu instid0(VALU_DEP_1) | instskip(NEXT) | instid1(VALU_DEP_1)
	v_bfe_u32 v3, v1, 16, 1
	v_add3_u32 v1, v1, v3, 0x7fff
	global_store_d16_hi_b16 v[4:5], v1, off
.LBB191_1963:
	s_mov_b32 s3, 0
.LBB191_1964:
	s_delay_alu instid0(SALU_CYCLE_1)
	s_and_b32 vcc_lo, exec_lo, s3
	s_mov_b32 s3, 0
	s_cbranch_vccz .LBB191_1966
; %bb.1965:
	s_cmp_lg_u32 s2, 11
	s_mov_b32 s3, -1
	s_cselect_b32 s0, -1, 0
.LBB191_1966:
	s_delay_alu instid0(SALU_CYCLE_1)
	s_and_b32 vcc_lo, exec_lo, s0
	s_cbranch_vccnz .LBB191_2216
; %bb.1967:
	s_and_not1_b32 vcc_lo, exec_lo, s3
	s_cbranch_vccnz .LBB191_1969
.LBB191_1968:
	v_cmp_ne_u32_e32 vcc_lo, 0, v12
	s_mov_b32 s6, -1
	s_wait_loadcnt 0x0
	v_cndmask_b32_e64 v1, 0, 1, vcc_lo
	global_store_b8 v[4:5], v1, off
.LBB191_1969:
	s_mov_b32 s0, 0
	s_branch .LBB191_1971
.LBB191_1970:
	s_mov_b32 s0, -1
	s_mov_b32 s6, 0
.LBB191_1971:
	s_and_b32 vcc_lo, exec_lo, s0
	s_cbranch_vccz .LBB191_2010
; %bb.1972:
	s_cmp_lt_i32 s2, 5
	s_mov_b32 s0, -1
	s_cbranch_scc1 .LBB191_1993
; %bb.1973:
	s_cmp_lt_i32 s2, 8
	s_cbranch_scc1 .LBB191_1983
; %bb.1974:
	s_cmp_lt_i32 s2, 9
	s_cbranch_scc1 .LBB191_1980
; %bb.1975:
	s_cmp_gt_i32 s2, 9
	s_cbranch_scc0 .LBB191_1977
; %bb.1976:
	s_wait_xcnt 0x0
	v_cvt_f64_i32_e32 v[6:7], v12
	v_mov_b32_e32 v8, 0
	s_mov_b32 s0, 0
	s_delay_alu instid0(VALU_DEP_1)
	v_mov_b32_e32 v9, v8
	global_store_b128 v[4:5], v[6:9], off
.LBB191_1977:
	s_and_not1_b32 vcc_lo, exec_lo, s0
	s_cbranch_vccnz .LBB191_1979
; %bb.1978:
	s_wait_xcnt 0x0
	v_cvt_f32_i32_e32 v6, v12
	v_mov_b32_e32 v7, 0
	global_store_b64 v[4:5], v[6:7], off
.LBB191_1979:
	s_mov_b32 s0, 0
.LBB191_1980:
	s_delay_alu instid0(SALU_CYCLE_1)
	s_and_not1_b32 vcc_lo, exec_lo, s0
	s_cbranch_vccnz .LBB191_1982
; %bb.1981:
	s_wait_loadcnt 0x0
	v_cvt_f32_i32_e32 v1, v12
	s_delay_alu instid0(VALU_DEP_1) | instskip(NEXT) | instid1(VALU_DEP_1)
	v_cvt_f16_f32_e32 v1, v1
	v_and_b32_e32 v1, 0xffff, v1
	global_store_b32 v[4:5], v1, off
.LBB191_1982:
	s_mov_b32 s0, 0
.LBB191_1983:
	s_delay_alu instid0(SALU_CYCLE_1)
	s_and_not1_b32 vcc_lo, exec_lo, s0
	s_cbranch_vccnz .LBB191_1992
; %bb.1984:
	s_cmp_lt_i32 s2, 6
	s_mov_b32 s0, -1
	s_cbranch_scc1 .LBB191_1990
; %bb.1985:
	s_cmp_gt_i32 s2, 6
	s_cbranch_scc0 .LBB191_1987
; %bb.1986:
	s_wait_xcnt 0x0
	v_cvt_f64_i32_e32 v[6:7], v12
	s_mov_b32 s0, 0
	global_store_b64 v[4:5], v[6:7], off
.LBB191_1987:
	s_and_not1_b32 vcc_lo, exec_lo, s0
	s_cbranch_vccnz .LBB191_1989
; %bb.1988:
	s_wait_loadcnt 0x0
	v_cvt_f32_i32_e32 v1, v12
	global_store_b32 v[4:5], v1, off
.LBB191_1989:
	s_mov_b32 s0, 0
.LBB191_1990:
	s_delay_alu instid0(SALU_CYCLE_1)
	s_and_not1_b32 vcc_lo, exec_lo, s0
	s_cbranch_vccnz .LBB191_1992
; %bb.1991:
	s_wait_loadcnt 0x0
	v_cvt_f32_i32_e32 v1, v12
	s_delay_alu instid0(VALU_DEP_1)
	v_cvt_f16_f32_e32 v1, v1
	global_store_b16 v[4:5], v1, off
.LBB191_1992:
	s_mov_b32 s0, 0
.LBB191_1993:
	s_delay_alu instid0(SALU_CYCLE_1)
	s_and_not1_b32 vcc_lo, exec_lo, s0
	s_cbranch_vccnz .LBB191_2009
; %bb.1994:
	s_cmp_lt_i32 s2, 2
	s_mov_b32 s0, -1
	s_cbranch_scc1 .LBB191_2004
; %bb.1995:
	s_cmp_lt_i32 s2, 3
	s_cbranch_scc1 .LBB191_2001
; %bb.1996:
	s_cmp_gt_i32 s2, 3
	s_cbranch_scc0 .LBB191_1998
; %bb.1997:
	s_wait_xcnt 0x0
	v_ashrrev_i32_e32 v13, 31, v12
	s_mov_b32 s0, 0
	global_store_b64 v[4:5], v[12:13], off
.LBB191_1998:
	s_and_not1_b32 vcc_lo, exec_lo, s0
	s_cbranch_vccnz .LBB191_2000
; %bb.1999:
	global_store_b32 v[4:5], v12, off
.LBB191_2000:
	s_mov_b32 s0, 0
.LBB191_2001:
	s_delay_alu instid0(SALU_CYCLE_1)
	s_and_not1_b32 vcc_lo, exec_lo, s0
	s_cbranch_vccnz .LBB191_2003
; %bb.2002:
	global_store_b16 v[4:5], v12, off
.LBB191_2003:
	s_mov_b32 s0, 0
.LBB191_2004:
	s_delay_alu instid0(SALU_CYCLE_1)
	s_and_not1_b32 vcc_lo, exec_lo, s0
	s_cbranch_vccnz .LBB191_2009
; %bb.2005:
	s_cmp_gt_i32 s2, 0
	s_mov_b32 s0, -1
	s_cbranch_scc0 .LBB191_2007
; %bb.2006:
	s_mov_b32 s0, 0
	global_store_b8 v[4:5], v12, off
.LBB191_2007:
	s_and_not1_b32 vcc_lo, exec_lo, s0
	s_cbranch_vccnz .LBB191_2009
; %bb.2008:
	global_store_b8 v[4:5], v12, off
.LBB191_2009:
	s_mov_b32 s6, -1
.LBB191_2010:
	s_delay_alu instid0(SALU_CYCLE_1)
	s_and_not1_b32 vcc_lo, exec_lo, s6
	s_cbranch_vccnz .LBB191_2206
; %bb.2011:
	s_wait_xcnt 0x0
	v_mov_b32_e32 v3, 0
	s_cmp_lt_i32 s2, 11
	s_delay_alu instid0(VALU_DEP_1)
	v_add_nc_u64_e32 v[2:3], s[4:5], v[2:3]
	s_cbranch_scc1 .LBB191_2089
; %bb.2012:
	s_mov_b32 s7, -1
	s_mov_b32 s3, 0
	s_cmp_gt_i32 s2, 25
	s_mov_b32 s6, 0
	s_mov_b32 s0, 0
	s_cbranch_scc0 .LBB191_2045
; %bb.2013:
	s_cmp_gt_i32 s2, 28
	s_cbranch_scc0 .LBB191_2028
; %bb.2014:
	s_cmp_gt_i32 s2, 43
	;; [unrolled: 3-line block ×3, first 2 shown]
	s_cbranch_scc0 .LBB191_2018
; %bb.2016:
	s_mov_b32 s0, -1
	s_mov_b32 s7, 0
	s_cmp_eq_u32 s2, 46
	s_cbranch_scc0 .LBB191_2018
; %bb.2017:
	s_wait_loadcnt 0x0
	v_cvt_f32_i32_e32 v1, v14
	s_mov_b32 s0, 0
	s_mov_b32 s6, -1
	s_delay_alu instid0(VALU_DEP_1) | instskip(NEXT) | instid1(VALU_DEP_1)
	v_bfe_u32 v4, v1, 16, 1
	v_add3_u32 v1, v1, v4, 0x7fff
	s_delay_alu instid0(VALU_DEP_1)
	v_lshrrev_b32_e32 v1, 16, v1
	global_store_b32 v[2:3], v1, off
.LBB191_2018:
	s_and_b32 vcc_lo, exec_lo, s7
	s_cbranch_vccz .LBB191_2023
; %bb.2019:
	s_cmp_eq_u32 s2, 44
	s_mov_b32 s0, -1
	s_cbranch_scc0 .LBB191_2023
; %bb.2020:
	s_wait_loadcnt 0x0
	v_cvt_f32_i32_e32 v1, v14
	v_mov_b32_e32 v4, 0xff
	s_mov_b32 s6, exec_lo
	s_delay_alu instid0(VALU_DEP_2) | instskip(NEXT) | instid1(VALU_DEP_1)
	v_bfe_u32 v5, v1, 23, 8
	v_cmpx_ne_u32_e32 0xff, v5
	s_cbranch_execz .LBB191_2022
; %bb.2021:
	v_and_b32_e32 v4, 0x400000, v1
	v_and_or_b32 v5, 0x3fffff, v1, v5
	v_lshrrev_b32_e32 v1, 23, v1
	s_delay_alu instid0(VALU_DEP_3) | instskip(NEXT) | instid1(VALU_DEP_3)
	v_cmp_ne_u32_e32 vcc_lo, 0, v4
	v_cmp_ne_u32_e64 s0, 0, v5
	s_and_b32 s0, vcc_lo, s0
	s_delay_alu instid0(SALU_CYCLE_1) | instskip(NEXT) | instid1(VALU_DEP_1)
	v_cndmask_b32_e64 v4, 0, 1, s0
	v_add_nc_u32_e32 v4, v1, v4
.LBB191_2022:
	s_or_b32 exec_lo, exec_lo, s6
	s_mov_b32 s0, 0
	s_mov_b32 s6, -1
	global_store_b8 v[2:3], v4, off
.LBB191_2023:
	s_mov_b32 s7, 0
.LBB191_2024:
	s_delay_alu instid0(SALU_CYCLE_1)
	s_and_b32 vcc_lo, exec_lo, s7
	s_cbranch_vccz .LBB191_2027
; %bb.2025:
	s_cmp_eq_u32 s2, 29
	s_mov_b32 s0, -1
	s_cbranch_scc0 .LBB191_2027
; %bb.2026:
	v_ashrrev_i32_e32 v15, 31, v14
	s_mov_b32 s0, 0
	s_mov_b32 s6, -1
	global_store_b64 v[2:3], v[14:15], off
.LBB191_2027:
	s_mov_b32 s7, 0
.LBB191_2028:
	s_delay_alu instid0(SALU_CYCLE_1)
	s_and_b32 vcc_lo, exec_lo, s7
	s_cbranch_vccz .LBB191_2044
; %bb.2029:
	s_cmp_lt_i32 s2, 27
	s_mov_b32 s6, -1
	s_cbranch_scc1 .LBB191_2035
; %bb.2030:
	s_cmp_gt_i32 s2, 27
	s_cbranch_scc0 .LBB191_2032
; %bb.2031:
	s_mov_b32 s6, 0
	global_store_b32 v[2:3], v14, off
.LBB191_2032:
	s_and_not1_b32 vcc_lo, exec_lo, s6
	s_cbranch_vccnz .LBB191_2034
; %bb.2033:
	global_store_b16 v[2:3], v14, off
.LBB191_2034:
	s_mov_b32 s6, 0
.LBB191_2035:
	s_delay_alu instid0(SALU_CYCLE_1)
	s_and_not1_b32 vcc_lo, exec_lo, s6
	s_cbranch_vccnz .LBB191_2043
; %bb.2036:
	s_wait_loadcnt 0x0
	v_cvt_f32_i32_e32 v1, v14
	v_mov_b32_e32 v5, 0x80
	s_mov_b32 s6, exec_lo
	s_delay_alu instid0(VALU_DEP_2) | instskip(NEXT) | instid1(VALU_DEP_1)
	v_and_b32_e32 v4, 0x7fffffff, v1
	v_cmpx_gt_u32_e32 0x43800000, v4
	s_cbranch_execz .LBB191_2042
; %bb.2037:
	v_cmp_lt_u32_e32 vcc_lo, 0x3bffffff, v4
	s_mov_b32 s7, 0
                                        ; implicit-def: $vgpr4
	s_and_saveexec_b32 s11, vcc_lo
	s_delay_alu instid0(SALU_CYCLE_1)
	s_xor_b32 s11, exec_lo, s11
	s_cbranch_execz .LBB191_2219
; %bb.2038:
	v_bfe_u32 v4, v1, 20, 1
	s_mov_b32 s7, exec_lo
	s_delay_alu instid0(VALU_DEP_1) | instskip(NEXT) | instid1(VALU_DEP_1)
	v_add3_u32 v4, v1, v4, 0x487ffff
	v_lshrrev_b32_e32 v4, 20, v4
	s_and_not1_saveexec_b32 s11, s11
	s_cbranch_execnz .LBB191_2220
.LBB191_2039:
	s_or_b32 exec_lo, exec_lo, s11
	v_mov_b32_e32 v5, 0
	s_and_saveexec_b32 s11, s7
.LBB191_2040:
	v_lshrrev_b32_e32 v1, 24, v1
	s_delay_alu instid0(VALU_DEP_1)
	v_and_or_b32 v5, 0x80, v1, v4
.LBB191_2041:
	s_or_b32 exec_lo, exec_lo, s11
.LBB191_2042:
	s_delay_alu instid0(SALU_CYCLE_1)
	s_or_b32 exec_lo, exec_lo, s6
	global_store_b8 v[2:3], v5, off
.LBB191_2043:
	s_mov_b32 s6, -1
.LBB191_2044:
	s_mov_b32 s7, 0
.LBB191_2045:
	s_delay_alu instid0(SALU_CYCLE_1)
	s_and_b32 vcc_lo, exec_lo, s7
	s_cbranch_vccz .LBB191_2085
; %bb.2046:
	s_cmp_gt_i32 s2, 22
	s_mov_b32 s3, -1
	s_cbranch_scc0 .LBB191_2078
; %bb.2047:
	s_cmp_lt_i32 s2, 24
	s_cbranch_scc1 .LBB191_2067
; %bb.2048:
	s_cmp_gt_i32 s2, 24
	s_cbranch_scc0 .LBB191_2056
; %bb.2049:
	s_wait_loadcnt 0x0
	v_cvt_f32_i32_e32 v1, v14
	v_mov_b32_e32 v5, 0x80
	s_mov_b32 s3, exec_lo
	s_delay_alu instid0(VALU_DEP_2) | instskip(NEXT) | instid1(VALU_DEP_1)
	v_and_b32_e32 v4, 0x7fffffff, v1
	v_cmpx_gt_u32_e32 0x47800000, v4
	s_cbranch_execz .LBB191_2055
; %bb.2050:
	v_cmp_lt_u32_e32 vcc_lo, 0x37ffffff, v4
	s_mov_b32 s6, 0
                                        ; implicit-def: $vgpr4
	s_and_saveexec_b32 s7, vcc_lo
	s_delay_alu instid0(SALU_CYCLE_1)
	s_xor_b32 s7, exec_lo, s7
	s_cbranch_execz .LBB191_2222
; %bb.2051:
	v_bfe_u32 v4, v1, 21, 1
	s_mov_b32 s6, exec_lo
	s_delay_alu instid0(VALU_DEP_1) | instskip(NEXT) | instid1(VALU_DEP_1)
	v_add3_u32 v4, v1, v4, 0x88fffff
	v_lshrrev_b32_e32 v4, 21, v4
	s_and_not1_saveexec_b32 s7, s7
	s_cbranch_execnz .LBB191_2223
.LBB191_2052:
	s_or_b32 exec_lo, exec_lo, s7
	v_mov_b32_e32 v5, 0
	s_and_saveexec_b32 s7, s6
.LBB191_2053:
	v_lshrrev_b32_e32 v1, 24, v1
	s_delay_alu instid0(VALU_DEP_1)
	v_and_or_b32 v5, 0x80, v1, v4
.LBB191_2054:
	s_or_b32 exec_lo, exec_lo, s7
.LBB191_2055:
	s_delay_alu instid0(SALU_CYCLE_1)
	s_or_b32 exec_lo, exec_lo, s3
	s_mov_b32 s3, 0
	global_store_b8 v[2:3], v5, off
.LBB191_2056:
	s_and_b32 vcc_lo, exec_lo, s3
	s_cbranch_vccz .LBB191_2066
; %bb.2057:
	s_wait_loadcnt 0x0
	v_cvt_f32_i32_e32 v1, v14
	s_mov_b32 s3, exec_lo
                                        ; implicit-def: $vgpr4
	s_delay_alu instid0(VALU_DEP_1) | instskip(NEXT) | instid1(VALU_DEP_1)
	v_and_b32_e32 v5, 0x7fffffff, v1
	v_cmpx_gt_u32_e32 0x43f00000, v5
	s_xor_b32 s3, exec_lo, s3
	s_cbranch_execz .LBB191_2063
; %bb.2058:
	s_mov_b32 s6, exec_lo
                                        ; implicit-def: $vgpr4
	v_cmpx_lt_u32_e32 0x3c7fffff, v5
	s_xor_b32 s6, exec_lo, s6
; %bb.2059:
	v_bfe_u32 v4, v1, 20, 1
	s_delay_alu instid0(VALU_DEP_1) | instskip(NEXT) | instid1(VALU_DEP_1)
	v_add3_u32 v4, v1, v4, 0x407ffff
	v_and_b32_e32 v5, 0xff00000, v4
	v_lshrrev_b32_e32 v4, 20, v4
	s_delay_alu instid0(VALU_DEP_2) | instskip(NEXT) | instid1(VALU_DEP_2)
	v_cmp_ne_u32_e32 vcc_lo, 0x7f00000, v5
	v_cndmask_b32_e32 v4, 0x7e, v4, vcc_lo
; %bb.2060:
	s_and_not1_saveexec_b32 s6, s6
; %bb.2061:
	v_add_f32_e64 v4, 0x46800000, |v1|
; %bb.2062:
	s_or_b32 exec_lo, exec_lo, s6
                                        ; implicit-def: $vgpr5
.LBB191_2063:
	s_and_not1_saveexec_b32 s3, s3
; %bb.2064:
	v_mov_b32_e32 v4, 0x7f
	v_cmp_lt_u32_e32 vcc_lo, 0x7f800000, v5
	s_delay_alu instid0(VALU_DEP_2)
	v_cndmask_b32_e32 v4, 0x7e, v4, vcc_lo
; %bb.2065:
	s_or_b32 exec_lo, exec_lo, s3
	v_lshrrev_b32_e32 v1, 24, v1
	s_delay_alu instid0(VALU_DEP_1)
	v_and_or_b32 v1, 0x80, v1, v4
	global_store_b8 v[2:3], v1, off
.LBB191_2066:
	s_mov_b32 s3, 0
.LBB191_2067:
	s_delay_alu instid0(SALU_CYCLE_1)
	s_and_not1_b32 vcc_lo, exec_lo, s3
	s_cbranch_vccnz .LBB191_2077
; %bb.2068:
	s_wait_loadcnt 0x0
	v_cvt_f32_i32_e32 v1, v14
	s_mov_b32 s3, exec_lo
                                        ; implicit-def: $vgpr4
	s_delay_alu instid0(VALU_DEP_1) | instskip(NEXT) | instid1(VALU_DEP_1)
	v_and_b32_e32 v5, 0x7fffffff, v1
	v_cmpx_gt_u32_e32 0x47800000, v5
	s_xor_b32 s3, exec_lo, s3
	s_cbranch_execz .LBB191_2074
; %bb.2069:
	s_mov_b32 s6, exec_lo
                                        ; implicit-def: $vgpr4
	v_cmpx_lt_u32_e32 0x387fffff, v5
	s_xor_b32 s6, exec_lo, s6
; %bb.2070:
	v_bfe_u32 v4, v1, 21, 1
	s_delay_alu instid0(VALU_DEP_1) | instskip(NEXT) | instid1(VALU_DEP_1)
	v_add3_u32 v4, v1, v4, 0x80fffff
	v_lshrrev_b32_e32 v4, 21, v4
; %bb.2071:
	s_and_not1_saveexec_b32 s6, s6
; %bb.2072:
	v_add_f32_e64 v4, 0x43000000, |v1|
; %bb.2073:
	s_or_b32 exec_lo, exec_lo, s6
                                        ; implicit-def: $vgpr5
.LBB191_2074:
	s_and_not1_saveexec_b32 s3, s3
; %bb.2075:
	v_mov_b32_e32 v4, 0x7f
	v_cmp_lt_u32_e32 vcc_lo, 0x7f800000, v5
	s_delay_alu instid0(VALU_DEP_2)
	v_cndmask_b32_e32 v4, 0x7c, v4, vcc_lo
; %bb.2076:
	s_or_b32 exec_lo, exec_lo, s3
	v_lshrrev_b32_e32 v1, 24, v1
	s_delay_alu instid0(VALU_DEP_1)
	v_and_or_b32 v1, 0x80, v1, v4
	global_store_b8 v[2:3], v1, off
.LBB191_2077:
	s_mov_b32 s3, 0
	s_mov_b32 s6, -1
.LBB191_2078:
	s_and_not1_b32 vcc_lo, exec_lo, s3
	s_mov_b32 s3, 0
	s_cbranch_vccnz .LBB191_2085
; %bb.2079:
	s_cmp_gt_i32 s2, 14
	s_mov_b32 s3, -1
	s_cbranch_scc0 .LBB191_2083
; %bb.2080:
	s_cmp_eq_u32 s2, 15
	s_mov_b32 s0, -1
	s_cbranch_scc0 .LBB191_2082
; %bb.2081:
	s_wait_loadcnt 0x0
	v_cvt_f32_i32_e32 v1, v14
	s_mov_b32 s0, 0
	s_mov_b32 s6, -1
	s_delay_alu instid0(VALU_DEP_1) | instskip(NEXT) | instid1(VALU_DEP_1)
	v_bfe_u32 v4, v1, 16, 1
	v_add3_u32 v1, v1, v4, 0x7fff
	global_store_d16_hi_b16 v[2:3], v1, off
.LBB191_2082:
	s_mov_b32 s3, 0
.LBB191_2083:
	s_delay_alu instid0(SALU_CYCLE_1)
	s_and_b32 vcc_lo, exec_lo, s3
	s_mov_b32 s3, 0
	s_cbranch_vccz .LBB191_2085
; %bb.2084:
	s_cmp_lg_u32 s2, 11
	s_mov_b32 s3, -1
	s_cselect_b32 s0, -1, 0
.LBB191_2085:
	s_delay_alu instid0(SALU_CYCLE_1)
	s_and_b32 vcc_lo, exec_lo, s0
	s_cbranch_vccnz .LBB191_2221
; %bb.2086:
	s_and_not1_b32 vcc_lo, exec_lo, s3
	s_cbranch_vccnz .LBB191_2088
.LBB191_2087:
	v_cmp_ne_u32_e32 vcc_lo, 0, v14
	s_mov_b32 s6, -1
	s_wait_loadcnt 0x0
	v_cndmask_b32_e64 v1, 0, 1, vcc_lo
	global_store_b8 v[2:3], v1, off
.LBB191_2088:
	s_mov_b32 s0, 0
	s_branch .LBB191_2090
.LBB191_2089:
	s_mov_b32 s0, -1
	s_mov_b32 s6, 0
.LBB191_2090:
	s_and_b32 vcc_lo, exec_lo, s0
	s_cbranch_vccz .LBB191_2129
; %bb.2091:
	s_cmp_lt_i32 s2, 5
	s_mov_b32 s0, -1
	s_cbranch_scc1 .LBB191_2112
; %bb.2092:
	s_cmp_lt_i32 s2, 8
	s_cbranch_scc1 .LBB191_2102
; %bb.2093:
	s_cmp_lt_i32 s2, 9
	s_cbranch_scc1 .LBB191_2099
; %bb.2094:
	s_cmp_gt_i32 s2, 9
	s_cbranch_scc0 .LBB191_2096
; %bb.2095:
	s_wait_xcnt 0x0
	v_cvt_f64_i32_e32 v[4:5], v14
	v_mov_b32_e32 v6, 0
	s_mov_b32 s0, 0
	s_delay_alu instid0(VALU_DEP_1)
	v_mov_b32_e32 v7, v6
	global_store_b128 v[2:3], v[4:7], off
.LBB191_2096:
	s_and_not1_b32 vcc_lo, exec_lo, s0
	s_cbranch_vccnz .LBB191_2098
; %bb.2097:
	s_wait_xcnt 0x0
	v_cvt_f32_i32_e32 v4, v14
	v_mov_b32_e32 v5, 0
	global_store_b64 v[2:3], v[4:5], off
.LBB191_2098:
	s_mov_b32 s0, 0
.LBB191_2099:
	s_delay_alu instid0(SALU_CYCLE_1)
	s_and_not1_b32 vcc_lo, exec_lo, s0
	s_cbranch_vccnz .LBB191_2101
; %bb.2100:
	s_wait_loadcnt 0x0
	v_cvt_f32_i32_e32 v1, v14
	s_delay_alu instid0(VALU_DEP_1) | instskip(NEXT) | instid1(VALU_DEP_1)
	v_cvt_f16_f32_e32 v1, v1
	v_and_b32_e32 v1, 0xffff, v1
	global_store_b32 v[2:3], v1, off
.LBB191_2101:
	s_mov_b32 s0, 0
.LBB191_2102:
	s_delay_alu instid0(SALU_CYCLE_1)
	s_and_not1_b32 vcc_lo, exec_lo, s0
	s_cbranch_vccnz .LBB191_2111
; %bb.2103:
	s_cmp_lt_i32 s2, 6
	s_mov_b32 s0, -1
	s_cbranch_scc1 .LBB191_2109
; %bb.2104:
	s_cmp_gt_i32 s2, 6
	s_cbranch_scc0 .LBB191_2106
; %bb.2105:
	s_wait_xcnt 0x0
	v_cvt_f64_i32_e32 v[4:5], v14
	s_mov_b32 s0, 0
	global_store_b64 v[2:3], v[4:5], off
.LBB191_2106:
	s_and_not1_b32 vcc_lo, exec_lo, s0
	s_cbranch_vccnz .LBB191_2108
; %bb.2107:
	s_wait_loadcnt 0x0
	v_cvt_f32_i32_e32 v1, v14
	global_store_b32 v[2:3], v1, off
.LBB191_2108:
	s_mov_b32 s0, 0
.LBB191_2109:
	s_delay_alu instid0(SALU_CYCLE_1)
	s_and_not1_b32 vcc_lo, exec_lo, s0
	s_cbranch_vccnz .LBB191_2111
; %bb.2110:
	s_wait_loadcnt 0x0
	v_cvt_f32_i32_e32 v1, v14
	s_delay_alu instid0(VALU_DEP_1)
	v_cvt_f16_f32_e32 v1, v1
	global_store_b16 v[2:3], v1, off
.LBB191_2111:
	s_mov_b32 s0, 0
.LBB191_2112:
	s_delay_alu instid0(SALU_CYCLE_1)
	s_and_not1_b32 vcc_lo, exec_lo, s0
	s_cbranch_vccnz .LBB191_2128
; %bb.2113:
	s_cmp_lt_i32 s2, 2
	s_mov_b32 s0, -1
	s_cbranch_scc1 .LBB191_2123
; %bb.2114:
	s_cmp_lt_i32 s2, 3
	s_cbranch_scc1 .LBB191_2120
; %bb.2115:
	s_cmp_gt_i32 s2, 3
	s_cbranch_scc0 .LBB191_2117
; %bb.2116:
	s_wait_xcnt 0x0
	v_ashrrev_i32_e32 v15, 31, v14
	s_mov_b32 s0, 0
	global_store_b64 v[2:3], v[14:15], off
.LBB191_2117:
	s_and_not1_b32 vcc_lo, exec_lo, s0
	s_cbranch_vccnz .LBB191_2119
; %bb.2118:
	global_store_b32 v[2:3], v14, off
.LBB191_2119:
	s_mov_b32 s0, 0
.LBB191_2120:
	s_delay_alu instid0(SALU_CYCLE_1)
	s_and_not1_b32 vcc_lo, exec_lo, s0
	s_cbranch_vccnz .LBB191_2122
; %bb.2121:
	global_store_b16 v[2:3], v14, off
.LBB191_2122:
	s_mov_b32 s0, 0
.LBB191_2123:
	s_delay_alu instid0(SALU_CYCLE_1)
	s_and_not1_b32 vcc_lo, exec_lo, s0
	s_cbranch_vccnz .LBB191_2128
; %bb.2124:
	s_cmp_gt_i32 s2, 0
	s_mov_b32 s0, -1
	s_cbranch_scc0 .LBB191_2126
; %bb.2125:
	s_mov_b32 s0, 0
	global_store_b8 v[2:3], v14, off
.LBB191_2126:
	s_and_not1_b32 vcc_lo, exec_lo, s0
	s_cbranch_vccnz .LBB191_2128
; %bb.2127:
	global_store_b8 v[2:3], v14, off
.LBB191_2128:
	s_mov_b32 s6, -1
.LBB191_2129:
	s_delay_alu instid0(SALU_CYCLE_1)
	s_and_not1_b32 vcc_lo, exec_lo, s6
	s_cbranch_vccnz .LBB191_2206
; %bb.2130:
	s_wait_loadcnt 0x0
	v_mov_b32_e32 v1, 0
	s_cmp_lt_i32 s2, 11
	s_delay_alu instid0(VALU_DEP_1)
	v_add_nc_u64_e32 v[2:3], s[4:5], v[0:1]
	s_cbranch_scc1 .LBB191_2207
; %bb.2131:
	s_mov_b32 s4, -1
	s_mov_b32 s3, 0
	s_cmp_gt_i32 s2, 25
	s_mov_b32 s0, 0
	s_cbranch_scc0 .LBB191_2164
; %bb.2132:
	s_cmp_gt_i32 s2, 28
	s_cbranch_scc0 .LBB191_2148
; %bb.2133:
	s_cmp_gt_i32 s2, 43
	;; [unrolled: 3-line block ×3, first 2 shown]
	s_cbranch_scc0 .LBB191_2138
; %bb.2135:
	s_cmp_eq_u32 s2, 46
	s_mov_b32 s0, -1
	s_cbranch_scc0 .LBB191_2137
; %bb.2136:
	v_cvt_f32_i32_e32 v0, v10
	s_mov_b32 s0, 0
	s_delay_alu instid0(VALU_DEP_1) | instskip(NEXT) | instid1(VALU_DEP_1)
	v_bfe_u32 v1, v0, 16, 1
	v_add3_u32 v0, v0, v1, 0x7fff
	s_delay_alu instid0(VALU_DEP_1)
	v_lshrrev_b32_e32 v0, 16, v0
	global_store_b32 v[2:3], v0, off
.LBB191_2137:
	s_mov_b32 s4, 0
.LBB191_2138:
	s_delay_alu instid0(SALU_CYCLE_1)
	s_and_b32 vcc_lo, exec_lo, s4
	s_cbranch_vccz .LBB191_2143
; %bb.2139:
	s_cmp_eq_u32 s2, 44
	s_mov_b32 s0, -1
	s_cbranch_scc0 .LBB191_2143
; %bb.2140:
	s_wait_xcnt 0x0
	v_cvt_f32_i32_e32 v0, v10
	v_mov_b32_e32 v1, 0xff
	s_mov_b32 s4, exec_lo
	s_delay_alu instid0(VALU_DEP_2) | instskip(NEXT) | instid1(VALU_DEP_1)
	v_bfe_u32 v4, v0, 23, 8
	v_cmpx_ne_u32_e32 0xff, v4
	s_cbranch_execz .LBB191_2142
; %bb.2141:
	v_and_b32_e32 v1, 0x400000, v0
	v_and_or_b32 v4, 0x3fffff, v0, v4
	v_lshrrev_b32_e32 v0, 23, v0
	s_delay_alu instid0(VALU_DEP_3) | instskip(NEXT) | instid1(VALU_DEP_3)
	v_cmp_ne_u32_e32 vcc_lo, 0, v1
	v_cmp_ne_u32_e64 s0, 0, v4
	s_and_b32 s0, vcc_lo, s0
	s_delay_alu instid0(SALU_CYCLE_1) | instskip(NEXT) | instid1(VALU_DEP_1)
	v_cndmask_b32_e64 v1, 0, 1, s0
	v_add_nc_u32_e32 v1, v0, v1
.LBB191_2142:
	s_or_b32 exec_lo, exec_lo, s4
	s_mov_b32 s0, 0
	global_store_b8 v[2:3], v1, off
.LBB191_2143:
	s_mov_b32 s4, 0
.LBB191_2144:
	s_delay_alu instid0(SALU_CYCLE_1)
	s_and_b32 vcc_lo, exec_lo, s4
	s_cbranch_vccz .LBB191_2147
; %bb.2145:
	s_cmp_eq_u32 s2, 29
	s_mov_b32 s0, -1
	s_cbranch_scc0 .LBB191_2147
; %bb.2146:
	v_ashrrev_i32_e32 v11, 31, v10
	s_mov_b32 s0, 0
	global_store_b64 v[2:3], v[10:11], off
.LBB191_2147:
	s_mov_b32 s4, 0
.LBB191_2148:
	s_delay_alu instid0(SALU_CYCLE_1)
	s_and_b32 vcc_lo, exec_lo, s4
	s_cbranch_vccz .LBB191_2163
; %bb.2149:
	s_cmp_lt_i32 s2, 27
	s_mov_b32 s4, -1
	s_cbranch_scc1 .LBB191_2155
; %bb.2150:
	s_cmp_gt_i32 s2, 27
	s_cbranch_scc0 .LBB191_2152
; %bb.2151:
	s_mov_b32 s4, 0
	global_store_b32 v[2:3], v10, off
.LBB191_2152:
	s_and_not1_b32 vcc_lo, exec_lo, s4
	s_cbranch_vccnz .LBB191_2154
; %bb.2153:
	global_store_b16 v[2:3], v10, off
.LBB191_2154:
	s_mov_b32 s4, 0
.LBB191_2155:
	s_delay_alu instid0(SALU_CYCLE_1)
	s_and_not1_b32 vcc_lo, exec_lo, s4
	s_cbranch_vccnz .LBB191_2163
; %bb.2156:
	s_wait_xcnt 0x0
	v_cvt_f32_i32_e32 v0, v10
	v_mov_b32_e32 v4, 0x80
	s_mov_b32 s4, exec_lo
	s_delay_alu instid0(VALU_DEP_2) | instskip(NEXT) | instid1(VALU_DEP_1)
	v_and_b32_e32 v1, 0x7fffffff, v0
	v_cmpx_gt_u32_e32 0x43800000, v1
	s_cbranch_execz .LBB191_2162
; %bb.2157:
	v_cmp_lt_u32_e32 vcc_lo, 0x3bffffff, v1
	s_mov_b32 s5, 0
                                        ; implicit-def: $vgpr1
	s_and_saveexec_b32 s6, vcc_lo
	s_delay_alu instid0(SALU_CYCLE_1)
	s_xor_b32 s6, exec_lo, s6
	s_cbranch_execz .LBB191_2224
; %bb.2158:
	v_bfe_u32 v1, v0, 20, 1
	s_mov_b32 s5, exec_lo
	s_delay_alu instid0(VALU_DEP_1) | instskip(NEXT) | instid1(VALU_DEP_1)
	v_add3_u32 v1, v0, v1, 0x487ffff
	v_lshrrev_b32_e32 v1, 20, v1
	s_and_not1_saveexec_b32 s6, s6
	s_cbranch_execnz .LBB191_2225
.LBB191_2159:
	s_or_b32 exec_lo, exec_lo, s6
	v_mov_b32_e32 v4, 0
	s_and_saveexec_b32 s6, s5
.LBB191_2160:
	v_lshrrev_b32_e32 v0, 24, v0
	s_delay_alu instid0(VALU_DEP_1)
	v_and_or_b32 v4, 0x80, v0, v1
.LBB191_2161:
	s_or_b32 exec_lo, exec_lo, s6
.LBB191_2162:
	s_delay_alu instid0(SALU_CYCLE_1)
	s_or_b32 exec_lo, exec_lo, s4
	global_store_b8 v[2:3], v4, off
.LBB191_2163:
	s_mov_b32 s4, 0
.LBB191_2164:
	s_delay_alu instid0(SALU_CYCLE_1)
	s_and_b32 vcc_lo, exec_lo, s4
	s_cbranch_vccz .LBB191_2204
; %bb.2165:
	s_cmp_gt_i32 s2, 22
	s_mov_b32 s3, -1
	s_cbranch_scc0 .LBB191_2197
; %bb.2166:
	s_cmp_lt_i32 s2, 24
	s_cbranch_scc1 .LBB191_2186
; %bb.2167:
	s_cmp_gt_i32 s2, 24
	s_cbranch_scc0 .LBB191_2175
; %bb.2168:
	s_wait_xcnt 0x0
	v_cvt_f32_i32_e32 v0, v10
	v_mov_b32_e32 v4, 0x80
	s_mov_b32 s3, exec_lo
	s_delay_alu instid0(VALU_DEP_2) | instskip(NEXT) | instid1(VALU_DEP_1)
	v_and_b32_e32 v1, 0x7fffffff, v0
	v_cmpx_gt_u32_e32 0x47800000, v1
	s_cbranch_execz .LBB191_2174
; %bb.2169:
	v_cmp_lt_u32_e32 vcc_lo, 0x37ffffff, v1
	s_mov_b32 s4, 0
                                        ; implicit-def: $vgpr1
	s_and_saveexec_b32 s5, vcc_lo
	s_delay_alu instid0(SALU_CYCLE_1)
	s_xor_b32 s5, exec_lo, s5
	s_cbranch_execz .LBB191_2227
; %bb.2170:
	v_bfe_u32 v1, v0, 21, 1
	s_mov_b32 s4, exec_lo
	s_delay_alu instid0(VALU_DEP_1) | instskip(NEXT) | instid1(VALU_DEP_1)
	v_add3_u32 v1, v0, v1, 0x88fffff
	v_lshrrev_b32_e32 v1, 21, v1
	s_and_not1_saveexec_b32 s5, s5
	s_cbranch_execnz .LBB191_2228
.LBB191_2171:
	s_or_b32 exec_lo, exec_lo, s5
	v_mov_b32_e32 v4, 0
	s_and_saveexec_b32 s5, s4
.LBB191_2172:
	v_lshrrev_b32_e32 v0, 24, v0
	s_delay_alu instid0(VALU_DEP_1)
	v_and_or_b32 v4, 0x80, v0, v1
.LBB191_2173:
	s_or_b32 exec_lo, exec_lo, s5
.LBB191_2174:
	s_delay_alu instid0(SALU_CYCLE_1)
	s_or_b32 exec_lo, exec_lo, s3
	s_mov_b32 s3, 0
	global_store_b8 v[2:3], v4, off
.LBB191_2175:
	s_and_b32 vcc_lo, exec_lo, s3
	s_cbranch_vccz .LBB191_2185
; %bb.2176:
	s_wait_xcnt 0x0
	v_cvt_f32_i32_e32 v0, v10
	s_mov_b32 s3, exec_lo
                                        ; implicit-def: $vgpr1
	s_delay_alu instid0(VALU_DEP_1) | instskip(NEXT) | instid1(VALU_DEP_1)
	v_and_b32_e32 v4, 0x7fffffff, v0
	v_cmpx_gt_u32_e32 0x43f00000, v4
	s_xor_b32 s3, exec_lo, s3
	s_cbranch_execz .LBB191_2182
; %bb.2177:
	s_mov_b32 s4, exec_lo
                                        ; implicit-def: $vgpr1
	v_cmpx_lt_u32_e32 0x3c7fffff, v4
	s_xor_b32 s4, exec_lo, s4
; %bb.2178:
	v_bfe_u32 v1, v0, 20, 1
	s_delay_alu instid0(VALU_DEP_1) | instskip(NEXT) | instid1(VALU_DEP_1)
	v_add3_u32 v1, v0, v1, 0x407ffff
	v_and_b32_e32 v4, 0xff00000, v1
	v_lshrrev_b32_e32 v1, 20, v1
	s_delay_alu instid0(VALU_DEP_2) | instskip(NEXT) | instid1(VALU_DEP_2)
	v_cmp_ne_u32_e32 vcc_lo, 0x7f00000, v4
	v_cndmask_b32_e32 v1, 0x7e, v1, vcc_lo
; %bb.2179:
	s_and_not1_saveexec_b32 s4, s4
; %bb.2180:
	v_add_f32_e64 v1, 0x46800000, |v0|
; %bb.2181:
	s_or_b32 exec_lo, exec_lo, s4
                                        ; implicit-def: $vgpr4
.LBB191_2182:
	s_and_not1_saveexec_b32 s3, s3
; %bb.2183:
	v_mov_b32_e32 v1, 0x7f
	v_cmp_lt_u32_e32 vcc_lo, 0x7f800000, v4
	s_delay_alu instid0(VALU_DEP_2)
	v_cndmask_b32_e32 v1, 0x7e, v1, vcc_lo
; %bb.2184:
	s_or_b32 exec_lo, exec_lo, s3
	v_lshrrev_b32_e32 v0, 24, v0
	s_delay_alu instid0(VALU_DEP_1)
	v_and_or_b32 v0, 0x80, v0, v1
	global_store_b8 v[2:3], v0, off
.LBB191_2185:
	s_mov_b32 s3, 0
.LBB191_2186:
	s_delay_alu instid0(SALU_CYCLE_1)
	s_and_not1_b32 vcc_lo, exec_lo, s3
	s_cbranch_vccnz .LBB191_2196
; %bb.2187:
	s_wait_xcnt 0x0
	v_cvt_f32_i32_e32 v0, v10
	s_mov_b32 s3, exec_lo
                                        ; implicit-def: $vgpr1
	s_delay_alu instid0(VALU_DEP_1) | instskip(NEXT) | instid1(VALU_DEP_1)
	v_and_b32_e32 v4, 0x7fffffff, v0
	v_cmpx_gt_u32_e32 0x47800000, v4
	s_xor_b32 s3, exec_lo, s3
	s_cbranch_execz .LBB191_2193
; %bb.2188:
	s_mov_b32 s4, exec_lo
                                        ; implicit-def: $vgpr1
	v_cmpx_lt_u32_e32 0x387fffff, v4
	s_xor_b32 s4, exec_lo, s4
; %bb.2189:
	v_bfe_u32 v1, v0, 21, 1
	s_delay_alu instid0(VALU_DEP_1) | instskip(NEXT) | instid1(VALU_DEP_1)
	v_add3_u32 v1, v0, v1, 0x80fffff
	v_lshrrev_b32_e32 v1, 21, v1
; %bb.2190:
	s_and_not1_saveexec_b32 s4, s4
; %bb.2191:
	v_add_f32_e64 v1, 0x43000000, |v0|
; %bb.2192:
	s_or_b32 exec_lo, exec_lo, s4
                                        ; implicit-def: $vgpr4
.LBB191_2193:
	s_and_not1_saveexec_b32 s3, s3
; %bb.2194:
	v_mov_b32_e32 v1, 0x7f
	v_cmp_lt_u32_e32 vcc_lo, 0x7f800000, v4
	s_delay_alu instid0(VALU_DEP_2)
	v_cndmask_b32_e32 v1, 0x7c, v1, vcc_lo
; %bb.2195:
	s_or_b32 exec_lo, exec_lo, s3
	v_lshrrev_b32_e32 v0, 24, v0
	s_delay_alu instid0(VALU_DEP_1)
	v_and_or_b32 v0, 0x80, v0, v1
	global_store_b8 v[2:3], v0, off
.LBB191_2196:
	s_mov_b32 s3, 0
.LBB191_2197:
	s_delay_alu instid0(SALU_CYCLE_1)
	s_and_not1_b32 vcc_lo, exec_lo, s3
	s_mov_b32 s3, 0
	s_cbranch_vccnz .LBB191_2204
; %bb.2198:
	s_cmp_gt_i32 s2, 14
	s_mov_b32 s3, -1
	s_cbranch_scc0 .LBB191_2202
; %bb.2199:
	s_cmp_eq_u32 s2, 15
	s_mov_b32 s0, -1
	s_cbranch_scc0 .LBB191_2201
; %bb.2200:
	s_wait_xcnt 0x0
	v_cvt_f32_i32_e32 v0, v10
	s_mov_b32 s0, 0
	s_delay_alu instid0(VALU_DEP_1) | instskip(NEXT) | instid1(VALU_DEP_1)
	v_bfe_u32 v1, v0, 16, 1
	v_add3_u32 v0, v0, v1, 0x7fff
	global_store_d16_hi_b16 v[2:3], v0, off
.LBB191_2201:
	s_mov_b32 s3, 0
.LBB191_2202:
	s_delay_alu instid0(SALU_CYCLE_1)
	s_and_b32 vcc_lo, exec_lo, s3
	s_mov_b32 s3, 0
	s_cbranch_vccz .LBB191_2204
; %bb.2203:
	s_cmp_lg_u32 s2, 11
	s_mov_b32 s3, -1
	s_cselect_b32 s0, -1, 0
.LBB191_2204:
	s_delay_alu instid0(SALU_CYCLE_1)
	s_and_b32 vcc_lo, exec_lo, s0
	s_cbranch_vccnz .LBB191_2226
.LBB191_2205:
	s_mov_b32 s0, 0
	s_branch .LBB191_1720
.LBB191_2206:
	s_mov_b32 s0, 0
	s_mov_b32 s3, 0
                                        ; implicit-def: $vgpr2_vgpr3
                                        ; implicit-def: $sgpr1
	s_branch .LBB191_1720
.LBB191_2207:
	s_mov_b32 s3, 0
	s_mov_b32 s0, -1
	s_branch .LBB191_1720
.LBB191_2208:
	s_or_b32 s10, s10, exec_lo
	s_trap 2
	s_cbranch_execz .LBB191_1664
	s_branch .LBB191_1665
.LBB191_2209:
	s_and_not1_saveexec_b32 s11, s11
	s_cbranch_execz .LBB191_1799
.LBB191_2210:
	v_add_f32_e64 v3, 0x46000000, |v1|
	s_and_not1_b32 s7, s7, exec_lo
	s_delay_alu instid0(VALU_DEP_1) | instskip(NEXT) | instid1(VALU_DEP_1)
	v_and_b32_e32 v3, 0xff, v3
	v_cmp_ne_u32_e32 vcc_lo, 0, v3
	s_and_b32 s12, vcc_lo, exec_lo
	s_delay_alu instid0(SALU_CYCLE_1)
	s_or_b32 s7, s7, s12
	s_or_b32 exec_lo, exec_lo, s11
	v_mov_b32_e32 v5, 0
	s_and_saveexec_b32 s11, s7
	s_cbranch_execnz .LBB191_1800
	s_branch .LBB191_1801
.LBB191_2211:
	s_or_b32 s10, s10, exec_lo
	s_trap 2
	s_cbranch_execz .LBB191_1847
	s_branch .LBB191_1848
.LBB191_2212:
	s_and_not1_saveexec_b32 s7, s7
	s_cbranch_execz .LBB191_1812
.LBB191_2213:
	v_add_f32_e64 v3, 0x42800000, |v1|
	s_and_not1_b32 s6, s6, exec_lo
	s_delay_alu instid0(VALU_DEP_1) | instskip(NEXT) | instid1(VALU_DEP_1)
	v_and_b32_e32 v3, 0xff, v3
	v_cmp_ne_u32_e32 vcc_lo, 0, v3
	s_and_b32 s11, vcc_lo, exec_lo
	s_delay_alu instid0(SALU_CYCLE_1)
	s_or_b32 s6, s6, s11
	s_or_b32 exec_lo, exec_lo, s7
	v_mov_b32_e32 v5, 0
	s_and_saveexec_b32 s7, s6
	s_cbranch_execnz .LBB191_1813
	s_branch .LBB191_1814
.LBB191_2214:
	s_and_not1_saveexec_b32 s11, s11
	s_cbranch_execz .LBB191_1920
.LBB191_2215:
	v_add_f32_e64 v3, 0x46000000, |v1|
	s_and_not1_b32 s7, s7, exec_lo
	s_delay_alu instid0(VALU_DEP_1) | instskip(NEXT) | instid1(VALU_DEP_1)
	v_and_b32_e32 v3, 0xff, v3
	v_cmp_ne_u32_e32 vcc_lo, 0, v3
	s_and_b32 s12, vcc_lo, exec_lo
	s_delay_alu instid0(SALU_CYCLE_1)
	s_or_b32 s7, s7, s12
	s_or_b32 exec_lo, exec_lo, s11
	v_mov_b32_e32 v6, 0
	s_and_saveexec_b32 s11, s7
	s_cbranch_execnz .LBB191_1921
	s_branch .LBB191_1922
.LBB191_2216:
	s_or_b32 s10, s10, exec_lo
	s_trap 2
	s_cbranch_execz .LBB191_1968
	s_branch .LBB191_1969
.LBB191_2217:
	s_and_not1_saveexec_b32 s7, s7
	s_cbranch_execz .LBB191_1933
.LBB191_2218:
	v_add_f32_e64 v3, 0x42800000, |v1|
	s_and_not1_b32 s6, s6, exec_lo
	s_delay_alu instid0(VALU_DEP_1) | instskip(NEXT) | instid1(VALU_DEP_1)
	v_and_b32_e32 v3, 0xff, v3
	v_cmp_ne_u32_e32 vcc_lo, 0, v3
	s_and_b32 s11, vcc_lo, exec_lo
	s_delay_alu instid0(SALU_CYCLE_1)
	s_or_b32 s6, s6, s11
	s_or_b32 exec_lo, exec_lo, s7
	v_mov_b32_e32 v6, 0
	s_and_saveexec_b32 s7, s6
	s_cbranch_execnz .LBB191_1934
	s_branch .LBB191_1935
.LBB191_2219:
	s_and_not1_saveexec_b32 s11, s11
	s_cbranch_execz .LBB191_2039
.LBB191_2220:
	v_add_f32_e64 v4, 0x46000000, |v1|
	s_and_not1_b32 s7, s7, exec_lo
	s_delay_alu instid0(VALU_DEP_1) | instskip(NEXT) | instid1(VALU_DEP_1)
	v_and_b32_e32 v4, 0xff, v4
	v_cmp_ne_u32_e32 vcc_lo, 0, v4
	s_and_b32 s12, vcc_lo, exec_lo
	s_delay_alu instid0(SALU_CYCLE_1)
	s_or_b32 s7, s7, s12
	s_or_b32 exec_lo, exec_lo, s11
	v_mov_b32_e32 v5, 0
	s_and_saveexec_b32 s11, s7
	s_cbranch_execnz .LBB191_2040
	s_branch .LBB191_2041
.LBB191_2221:
	s_or_b32 s10, s10, exec_lo
	s_trap 2
	s_cbranch_execz .LBB191_2087
	s_branch .LBB191_2088
.LBB191_2222:
	s_and_not1_saveexec_b32 s7, s7
	s_cbranch_execz .LBB191_2052
.LBB191_2223:
	v_add_f32_e64 v4, 0x42800000, |v1|
	s_and_not1_b32 s6, s6, exec_lo
	s_delay_alu instid0(VALU_DEP_1) | instskip(NEXT) | instid1(VALU_DEP_1)
	v_and_b32_e32 v4, 0xff, v4
	v_cmp_ne_u32_e32 vcc_lo, 0, v4
	s_and_b32 s11, vcc_lo, exec_lo
	s_delay_alu instid0(SALU_CYCLE_1)
	s_or_b32 s6, s6, s11
	s_or_b32 exec_lo, exec_lo, s7
	v_mov_b32_e32 v5, 0
	s_and_saveexec_b32 s7, s6
	s_cbranch_execnz .LBB191_2053
	s_branch .LBB191_2054
.LBB191_2224:
	s_and_not1_saveexec_b32 s6, s6
	s_cbranch_execz .LBB191_2159
.LBB191_2225:
	v_add_f32_e64 v1, 0x46000000, |v0|
	s_and_not1_b32 s5, s5, exec_lo
	s_delay_alu instid0(VALU_DEP_1) | instskip(NEXT) | instid1(VALU_DEP_1)
	v_and_b32_e32 v1, 0xff, v1
	v_cmp_ne_u32_e32 vcc_lo, 0, v1
	s_and_b32 s7, vcc_lo, exec_lo
	s_delay_alu instid0(SALU_CYCLE_1)
	s_or_b32 s5, s5, s7
	s_or_b32 exec_lo, exec_lo, s6
	v_mov_b32_e32 v4, 0
	s_and_saveexec_b32 s6, s5
	s_cbranch_execnz .LBB191_2160
	s_branch .LBB191_2161
.LBB191_2226:
	s_mov_b32 s3, 0
	s_or_b32 s10, s10, exec_lo
	s_trap 2
	s_branch .LBB191_2205
.LBB191_2227:
	s_and_not1_saveexec_b32 s5, s5
	s_cbranch_execz .LBB191_2171
.LBB191_2228:
	v_add_f32_e64 v1, 0x42800000, |v0|
	s_and_not1_b32 s4, s4, exec_lo
	s_delay_alu instid0(VALU_DEP_1) | instskip(NEXT) | instid1(VALU_DEP_1)
	v_and_b32_e32 v1, 0xff, v1
	v_cmp_ne_u32_e32 vcc_lo, 0, v1
	s_and_b32 s6, vcc_lo, exec_lo
	s_delay_alu instid0(SALU_CYCLE_1)
	s_or_b32 s4, s4, s6
	s_or_b32 exec_lo, exec_lo, s5
	v_mov_b32_e32 v4, 0
	s_and_saveexec_b32 s5, s4
	s_cbranch_execnz .LBB191_2172
	s_branch .LBB191_2173
	.section	.rodata,"a",@progbits
	.p2align	6, 0x0
	.amdhsa_kernel _ZN2at6native32elementwise_kernel_manual_unrollILi128ELi4EZNS0_15gpu_kernel_implIZZZNS0_12_GLOBAL__N_119launch_clamp_scalarERNS_18TensorIteratorBaseEN3c106ScalarES7_NS0_6detail11ClampLimitsEENKUlvE_clEvENKUlvE1_clEvEUliE_EEvS5_RKT_EUlibE0_EEviT1_
		.amdhsa_group_segment_fixed_size 0
		.amdhsa_private_segment_fixed_size 0
		.amdhsa_kernarg_size 368
		.amdhsa_user_sgpr_count 2
		.amdhsa_user_sgpr_dispatch_ptr 0
		.amdhsa_user_sgpr_queue_ptr 0
		.amdhsa_user_sgpr_kernarg_segment_ptr 1
		.amdhsa_user_sgpr_dispatch_id 0
		.amdhsa_user_sgpr_kernarg_preload_length 0
		.amdhsa_user_sgpr_kernarg_preload_offset 0
		.amdhsa_user_sgpr_private_segment_size 0
		.amdhsa_wavefront_size32 1
		.amdhsa_uses_dynamic_stack 0
		.amdhsa_enable_private_segment 0
		.amdhsa_system_sgpr_workgroup_id_x 1
		.amdhsa_system_sgpr_workgroup_id_y 0
		.amdhsa_system_sgpr_workgroup_id_z 0
		.amdhsa_system_sgpr_workgroup_info 0
		.amdhsa_system_vgpr_workitem_id 0
		.amdhsa_next_free_vgpr 20
		.amdhsa_next_free_sgpr 72
		.amdhsa_named_barrier_count 0
		.amdhsa_reserve_vcc 1
		.amdhsa_float_round_mode_32 0
		.amdhsa_float_round_mode_16_64 0
		.amdhsa_float_denorm_mode_32 3
		.amdhsa_float_denorm_mode_16_64 3
		.amdhsa_fp16_overflow 0
		.amdhsa_memory_ordered 1
		.amdhsa_forward_progress 1
		.amdhsa_inst_pref_size 255
		.amdhsa_round_robin_scheduling 0
		.amdhsa_exception_fp_ieee_invalid_op 0
		.amdhsa_exception_fp_denorm_src 0
		.amdhsa_exception_fp_ieee_div_zero 0
		.amdhsa_exception_fp_ieee_overflow 0
		.amdhsa_exception_fp_ieee_underflow 0
		.amdhsa_exception_fp_ieee_inexact 0
		.amdhsa_exception_int_div_zero 0
	.end_amdhsa_kernel
	.section	.text._ZN2at6native32elementwise_kernel_manual_unrollILi128ELi4EZNS0_15gpu_kernel_implIZZZNS0_12_GLOBAL__N_119launch_clamp_scalarERNS_18TensorIteratorBaseEN3c106ScalarES7_NS0_6detail11ClampLimitsEENKUlvE_clEvENKUlvE1_clEvEUliE_EEvS5_RKT_EUlibE0_EEviT1_,"axG",@progbits,_ZN2at6native32elementwise_kernel_manual_unrollILi128ELi4EZNS0_15gpu_kernel_implIZZZNS0_12_GLOBAL__N_119launch_clamp_scalarERNS_18TensorIteratorBaseEN3c106ScalarES7_NS0_6detail11ClampLimitsEENKUlvE_clEvENKUlvE1_clEvEUliE_EEvS5_RKT_EUlibE0_EEviT1_,comdat
.Lfunc_end191:
	.size	_ZN2at6native32elementwise_kernel_manual_unrollILi128ELi4EZNS0_15gpu_kernel_implIZZZNS0_12_GLOBAL__N_119launch_clamp_scalarERNS_18TensorIteratorBaseEN3c106ScalarES7_NS0_6detail11ClampLimitsEENKUlvE_clEvENKUlvE1_clEvEUliE_EEvS5_RKT_EUlibE0_EEviT1_, .Lfunc_end191-_ZN2at6native32elementwise_kernel_manual_unrollILi128ELi4EZNS0_15gpu_kernel_implIZZZNS0_12_GLOBAL__N_119launch_clamp_scalarERNS_18TensorIteratorBaseEN3c106ScalarES7_NS0_6detail11ClampLimitsEENKUlvE_clEvENKUlvE1_clEvEUliE_EEvS5_RKT_EUlibE0_EEviT1_
                                        ; -- End function
	.set _ZN2at6native32elementwise_kernel_manual_unrollILi128ELi4EZNS0_15gpu_kernel_implIZZZNS0_12_GLOBAL__N_119launch_clamp_scalarERNS_18TensorIteratorBaseEN3c106ScalarES7_NS0_6detail11ClampLimitsEENKUlvE_clEvENKUlvE1_clEvEUliE_EEvS5_RKT_EUlibE0_EEviT1_.num_vgpr, 20
	.set _ZN2at6native32elementwise_kernel_manual_unrollILi128ELi4EZNS0_15gpu_kernel_implIZZZNS0_12_GLOBAL__N_119launch_clamp_scalarERNS_18TensorIteratorBaseEN3c106ScalarES7_NS0_6detail11ClampLimitsEENKUlvE_clEvENKUlvE1_clEvEUliE_EEvS5_RKT_EUlibE0_EEviT1_.num_agpr, 0
	.set _ZN2at6native32elementwise_kernel_manual_unrollILi128ELi4EZNS0_15gpu_kernel_implIZZZNS0_12_GLOBAL__N_119launch_clamp_scalarERNS_18TensorIteratorBaseEN3c106ScalarES7_NS0_6detail11ClampLimitsEENKUlvE_clEvENKUlvE1_clEvEUliE_EEvS5_RKT_EUlibE0_EEviT1_.numbered_sgpr, 72
	.set _ZN2at6native32elementwise_kernel_manual_unrollILi128ELi4EZNS0_15gpu_kernel_implIZZZNS0_12_GLOBAL__N_119launch_clamp_scalarERNS_18TensorIteratorBaseEN3c106ScalarES7_NS0_6detail11ClampLimitsEENKUlvE_clEvENKUlvE1_clEvEUliE_EEvS5_RKT_EUlibE0_EEviT1_.num_named_barrier, 0
	.set _ZN2at6native32elementwise_kernel_manual_unrollILi128ELi4EZNS0_15gpu_kernel_implIZZZNS0_12_GLOBAL__N_119launch_clamp_scalarERNS_18TensorIteratorBaseEN3c106ScalarES7_NS0_6detail11ClampLimitsEENKUlvE_clEvENKUlvE1_clEvEUliE_EEvS5_RKT_EUlibE0_EEviT1_.private_seg_size, 0
	.set _ZN2at6native32elementwise_kernel_manual_unrollILi128ELi4EZNS0_15gpu_kernel_implIZZZNS0_12_GLOBAL__N_119launch_clamp_scalarERNS_18TensorIteratorBaseEN3c106ScalarES7_NS0_6detail11ClampLimitsEENKUlvE_clEvENKUlvE1_clEvEUliE_EEvS5_RKT_EUlibE0_EEviT1_.uses_vcc, 1
	.set _ZN2at6native32elementwise_kernel_manual_unrollILi128ELi4EZNS0_15gpu_kernel_implIZZZNS0_12_GLOBAL__N_119launch_clamp_scalarERNS_18TensorIteratorBaseEN3c106ScalarES7_NS0_6detail11ClampLimitsEENKUlvE_clEvENKUlvE1_clEvEUliE_EEvS5_RKT_EUlibE0_EEviT1_.uses_flat_scratch, 0
	.set _ZN2at6native32elementwise_kernel_manual_unrollILi128ELi4EZNS0_15gpu_kernel_implIZZZNS0_12_GLOBAL__N_119launch_clamp_scalarERNS_18TensorIteratorBaseEN3c106ScalarES7_NS0_6detail11ClampLimitsEENKUlvE_clEvENKUlvE1_clEvEUliE_EEvS5_RKT_EUlibE0_EEviT1_.has_dyn_sized_stack, 0
	.set _ZN2at6native32elementwise_kernel_manual_unrollILi128ELi4EZNS0_15gpu_kernel_implIZZZNS0_12_GLOBAL__N_119launch_clamp_scalarERNS_18TensorIteratorBaseEN3c106ScalarES7_NS0_6detail11ClampLimitsEENKUlvE_clEvENKUlvE1_clEvEUliE_EEvS5_RKT_EUlibE0_EEviT1_.has_recursion, 0
	.set _ZN2at6native32elementwise_kernel_manual_unrollILi128ELi4EZNS0_15gpu_kernel_implIZZZNS0_12_GLOBAL__N_119launch_clamp_scalarERNS_18TensorIteratorBaseEN3c106ScalarES7_NS0_6detail11ClampLimitsEENKUlvE_clEvENKUlvE1_clEvEUliE_EEvS5_RKT_EUlibE0_EEviT1_.has_indirect_call, 0
	.section	.AMDGPU.csdata,"",@progbits
; Kernel info:
; codeLenInByte = 41316
; TotalNumSgprs: 74
; NumVgprs: 20
; ScratchSize: 0
; MemoryBound: 1
; FloatMode: 240
; IeeeMode: 1
; LDSByteSize: 0 bytes/workgroup (compile time only)
; SGPRBlocks: 0
; VGPRBlocks: 1
; NumSGPRsForWavesPerEU: 74
; NumVGPRsForWavesPerEU: 20
; NamedBarCnt: 0
; Occupancy: 16
; WaveLimiterHint : 1
; COMPUTE_PGM_RSRC2:SCRATCH_EN: 0
; COMPUTE_PGM_RSRC2:USER_SGPR: 2
; COMPUTE_PGM_RSRC2:TRAP_HANDLER: 0
; COMPUTE_PGM_RSRC2:TGID_X_EN: 1
; COMPUTE_PGM_RSRC2:TGID_Y_EN: 0
; COMPUTE_PGM_RSRC2:TGID_Z_EN: 0
; COMPUTE_PGM_RSRC2:TIDIG_COMP_CNT: 0
	.section	.text._ZN2at6native29vectorized_elementwise_kernelILi16EZZZNS0_12_GLOBAL__N_119launch_clamp_scalarERNS_18TensorIteratorBaseEN3c106ScalarES6_NS0_6detail11ClampLimitsEENKUlvE_clEvENKUlvE2_clEvEUllE_St5arrayIPcLm2EEEEviT0_T1_,"axG",@progbits,_ZN2at6native29vectorized_elementwise_kernelILi16EZZZNS0_12_GLOBAL__N_119launch_clamp_scalarERNS_18TensorIteratorBaseEN3c106ScalarES6_NS0_6detail11ClampLimitsEENKUlvE_clEvENKUlvE2_clEvEUllE_St5arrayIPcLm2EEEEviT0_T1_,comdat
	.globl	_ZN2at6native29vectorized_elementwise_kernelILi16EZZZNS0_12_GLOBAL__N_119launch_clamp_scalarERNS_18TensorIteratorBaseEN3c106ScalarES6_NS0_6detail11ClampLimitsEENKUlvE_clEvENKUlvE2_clEvEUllE_St5arrayIPcLm2EEEEviT0_T1_ ; -- Begin function _ZN2at6native29vectorized_elementwise_kernelILi16EZZZNS0_12_GLOBAL__N_119launch_clamp_scalarERNS_18TensorIteratorBaseEN3c106ScalarES6_NS0_6detail11ClampLimitsEENKUlvE_clEvENKUlvE2_clEvEUllE_St5arrayIPcLm2EEEEviT0_T1_
	.p2align	8
	.type	_ZN2at6native29vectorized_elementwise_kernelILi16EZZZNS0_12_GLOBAL__N_119launch_clamp_scalarERNS_18TensorIteratorBaseEN3c106ScalarES6_NS0_6detail11ClampLimitsEENKUlvE_clEvENKUlvE2_clEvEUllE_St5arrayIPcLm2EEEEviT0_T1_,@function
_ZN2at6native29vectorized_elementwise_kernelILi16EZZZNS0_12_GLOBAL__N_119launch_clamp_scalarERNS_18TensorIteratorBaseEN3c106ScalarES6_NS0_6detail11ClampLimitsEENKUlvE_clEvENKUlvE2_clEvEUllE_St5arrayIPcLm2EEEEviT0_T1_: ; @_ZN2at6native29vectorized_elementwise_kernelILi16EZZZNS0_12_GLOBAL__N_119launch_clamp_scalarERNS_18TensorIteratorBaseEN3c106ScalarES6_NS0_6detail11ClampLimitsEENKUlvE_clEvENKUlvE2_clEvEUllE_St5arrayIPcLm2EEEEviT0_T1_
; %bb.0:
	s_clause 0x2
	s_load_b32 s3, s[0:1], 0x0
	s_load_b32 s13, s[0:1], 0x8
	s_load_b256 s[4:11], s[0:1], 0x10
	s_wait_xcnt 0x0
	s_bfe_u32 s0, ttmp6, 0x4000c
	s_and_b32 s1, ttmp6, 15
	s_add_co_i32 s0, s0, 1
	s_getreg_b32 s2, hwreg(HW_REG_IB_STS2, 6, 4)
	s_mul_i32 s0, ttmp9, s0
	s_mov_b32 s14, 0
	s_add_co_i32 s1, s1, s0
	s_cmp_eq_u32 s2, 0
	s_cselect_b32 s0, ttmp9, s1
	s_delay_alu instid0(SALU_CYCLE_1) | instskip(SKIP_3) | instid1(SALU_CYCLE_1)
	s_lshl_b32 s2, s0, 10
	s_mov_b32 s0, -1
	s_wait_kmcnt 0x0
	s_sub_co_i32 s12, s3, s2
	s_cmp_gt_i32 s12, 0x3ff
	s_cbranch_scc0 .LBB192_45
; %bb.1:
	s_ashr_i32 s3, s2, 31
	v_lshlrev_b32_e32 v1, 5, v0
	s_lshl_b64 s[0:1], s[2:3], 3
	s_cmp_lt_i32 s13, 1
	s_add_nc_u64 s[16:17], s[10:11], s[0:1]
	s_clause 0x1
	global_load_b128 v[6:9], v1, s[16:17] offset:16
	global_load_b128 v[10:13], v1, s[16:17]
	s_cbranch_scc1 .LBB192_4
; %bb.2:
	s_cmp_eq_u32 s13, 1
	s_cbranch_scc0 .LBB192_5
; %bb.3:
	s_wait_loadcnt 0x0
	v_min_i64 v[2:3], v[10:11], s[4:5]
	s_branch .LBB192_6
.LBB192_4:
                                        ; implicit-def: $vgpr2_vgpr3
	s_mov_b32 s3, 0
	s_cbranch_execnz .LBB192_7
	s_branch .LBB192_8
.LBB192_5:
	s_mov_b32 s14, -1
                                        ; implicit-def: $vgpr2_vgpr3
.LBB192_6:
	s_mov_b32 s3, 0
	s_branch .LBB192_8
.LBB192_7:
	s_cmp_lg_u32 s13, 0
	s_mov_b32 s3, -1
	s_cselect_b32 s14, -1, 0
.LBB192_8:
	s_wait_loadcnt 0x0
	v_max_i64 v[4:5], v[10:11], s[4:5]
	s_and_not1_b32 vcc_lo, exec_lo, s14
	s_cbranch_vccz .LBB192_13
; %bb.9:
	s_and_not1_b32 vcc_lo, exec_lo, s3
	s_cbranch_vccz .LBB192_14
.LBB192_10:
	s_cmp_lt_i32 s13, 1
	s_mov_b32 s3, 0
	s_cbranch_scc1 .LBB192_15
.LBB192_11:
	s_cmp_eq_u32 s13, 1
	s_cbranch_scc0 .LBB192_16
; %bb.12:
	v_min_i64 v[4:5], v[12:13], s[4:5]
	s_mov_b32 s14, 0
	s_branch .LBB192_17
.LBB192_13:
	v_max_i64 v[2:3], v[10:11], s[4:5]
	s_delay_alu instid0(VALU_DEP_1)
	v_min_i64 v[2:3], v[2:3], s[6:7]
	s_cbranch_execnz .LBB192_10
.LBB192_14:
	s_delay_alu instid0(VALU_DEP_1)
	v_mov_b64_e32 v[2:3], v[4:5]
	s_cmp_lt_i32 s13, 1
	s_mov_b32 s3, 0
	s_cbranch_scc0 .LBB192_11
.LBB192_15:
	s_mov_b32 s14, 0
	s_cbranch_execnz .LBB192_18
	s_branch .LBB192_19
.LBB192_16:
	s_mov_b32 s14, -1
.LBB192_17:
	s_branch .LBB192_19
.LBB192_18:
	s_cmp_lg_u32 s13, 0
	s_mov_b32 s3, -1
	s_cselect_b32 s14, -1, 0
.LBB192_19:
	v_max_i64 v[10:11], v[12:13], s[4:5]
	s_and_not1_b32 vcc_lo, exec_lo, s14
	s_cbranch_vccz .LBB192_24
; %bb.20:
	s_and_not1_b32 vcc_lo, exec_lo, s3
	s_cbranch_vccz .LBB192_25
.LBB192_21:
	s_cmp_lt_i32 s13, 1
	s_mov_b32 s3, 0
	s_cbranch_scc1 .LBB192_26
.LBB192_22:
	s_cmp_eq_u32 s13, 1
	s_cbranch_scc0 .LBB192_27
; %bb.23:
	v_min_i64 v[10:11], v[6:7], s[4:5]
	s_mov_b32 s14, 0
	s_branch .LBB192_28
.LBB192_24:
	v_max_i64 v[4:5], v[12:13], s[4:5]
	s_delay_alu instid0(VALU_DEP_1)
	v_min_i64 v[4:5], v[4:5], s[6:7]
	s_cbranch_execnz .LBB192_21
.LBB192_25:
	s_delay_alu instid0(VALU_DEP_1)
	v_mov_b64_e32 v[4:5], v[10:11]
	s_cmp_lt_i32 s13, 1
	s_mov_b32 s3, 0
	s_cbranch_scc0 .LBB192_22
.LBB192_26:
	s_mov_b32 s14, 0
                                        ; implicit-def: $vgpr10_vgpr11
	s_cbranch_execnz .LBB192_29
	s_branch .LBB192_30
.LBB192_27:
	s_mov_b32 s14, -1
                                        ; implicit-def: $vgpr10_vgpr11
.LBB192_28:
	s_branch .LBB192_30
.LBB192_29:
	s_cmp_lg_u32 s13, 0
	s_mov_b32 s3, -1
	s_cselect_b32 s14, -1, 0
.LBB192_30:
	v_max_i64 v[12:13], v[6:7], s[4:5]
	s_and_not1_b32 vcc_lo, exec_lo, s14
	s_cbranch_vccz .LBB192_35
; %bb.31:
	s_and_not1_b32 vcc_lo, exec_lo, s3
	s_cbranch_vccz .LBB192_36
.LBB192_32:
	s_cmp_lt_i32 s13, 1
	s_mov_b32 s3, 0
	s_cbranch_scc1 .LBB192_37
.LBB192_33:
	s_cmp_eq_u32 s13, 1
	s_cbranch_scc0 .LBB192_38
; %bb.34:
	v_min_i64 v[12:13], v[8:9], s[4:5]
	s_mov_b32 s14, 0
	s_branch .LBB192_39
.LBB192_35:
	v_max_i64 v[6:7], v[6:7], s[4:5]
	s_delay_alu instid0(VALU_DEP_1)
	v_min_i64 v[10:11], v[6:7], s[6:7]
	s_cbranch_execnz .LBB192_32
.LBB192_36:
	s_delay_alu instid0(VALU_DEP_1)
	v_mov_b64_e32 v[10:11], v[12:13]
	s_cmp_lt_i32 s13, 1
	s_mov_b32 s3, 0
	s_cbranch_scc0 .LBB192_33
.LBB192_37:
	s_mov_b32 s14, 0
	s_cbranch_execnz .LBB192_40
	s_branch .LBB192_41
.LBB192_38:
	s_mov_b32 s14, -1
.LBB192_39:
	s_branch .LBB192_41
.LBB192_40:
	s_cmp_lg_u32 s13, 0
	s_mov_b32 s3, -1
	s_cselect_b32 s14, -1, 0
.LBB192_41:
	v_max_i64 v[6:7], v[8:9], s[4:5]
	s_and_not1_b32 vcc_lo, exec_lo, s14
	s_cbranch_vccz .LBB192_58
; %bb.42:
	s_and_not1_b32 vcc_lo, exec_lo, s3
	s_cbranch_vccnz .LBB192_44
.LBB192_43:
	s_delay_alu instid0(VALU_DEP_1)
	v_mov_b64_e32 v[12:13], v[6:7]
.LBB192_44:
	s_add_nc_u64 s[14:15], s[8:9], s[0:1]
	s_mov_b32 s0, 0
	s_clause 0x1
	global_store_b128 v1, v[2:5], s[14:15]
	global_store_b128 v1, v[10:13], s[14:15] offset:16
.LBB192_45:
	s_and_b32 vcc_lo, exec_lo, s0
	s_cbranch_vccz .LBB192_109
; %bb.46:
	v_mov_b64_e32 v[14:15], 0
	v_mov_b64_e32 v[16:17], 0
	v_cmp_gt_i32_e64 s0, s12, v0
	s_wait_xcnt 0x0
	v_dual_mov_b32 v4, v0 :: v_dual_bitop2_b32 v1, s2, v0 bitop3:0x54
	v_or_b32_e32 v18, 0x100, v0
	s_and_saveexec_b32 s1, s0
	s_cbranch_execz .LBB192_48
; %bb.47:
	global_load_b64 v[16:17], v1, s[10:11] scale_offset
	v_or_b32_e32 v4, 0x100, v0
.LBB192_48:
	s_wait_xcnt 0x0
	s_or_b32 exec_lo, exec_lo, s1
	s_delay_alu instid0(SALU_CYCLE_1) | instskip(NEXT) | instid1(VALU_DEP_1)
	s_mov_b32 s1, exec_lo
	v_cmpx_gt_i32_e64 s12, v4
	s_cbranch_execz .LBB192_50
; %bb.49:
	v_add_nc_u32_e32 v2, s2, v4
	v_add_nc_u32_e32 v4, 0x100, v4
	global_load_b64 v[14:15], v2, s[10:11] scale_offset
.LBB192_50:
	s_wait_xcnt 0x0
	s_or_b32 exec_lo, exec_lo, s1
	v_mov_b64_e32 v[2:3], 0
	v_mov_b64_e32 v[12:13], 0
	s_mov_b32 s1, exec_lo
	v_cmpx_gt_i32_e64 s12, v4
	s_cbranch_execz .LBB192_52
; %bb.51:
	v_add_nc_u32_e32 v5, s2, v4
	v_add_nc_u32_e32 v4, 0x100, v4
	global_load_b64 v[12:13], v5, s[10:11] scale_offset
.LBB192_52:
	s_wait_xcnt 0x0
	s_or_b32 exec_lo, exec_lo, s1
	s_delay_alu instid0(SALU_CYCLE_1)
	s_mov_b32 s1, exec_lo
	v_cmpx_gt_i32_e64 s12, v4
	s_cbranch_execz .LBB192_54
; %bb.53:
	v_add_nc_u32_e32 v2, s2, v4
	global_load_b64 v[2:3], v2, s[10:11] scale_offset
.LBB192_54:
	s_wait_xcnt 0x0
	s_or_b32 exec_lo, exec_lo, s1
	v_mov_b32_e32 v4, 0
	s_delay_alu instid0(VALU_DEP_1)
	v_dual_mov_b32 v5, v4 :: v_dual_mov_b32 v10, v4
	v_dual_mov_b32 v11, v4 :: v_dual_mov_b32 v8, v4
	;; [unrolled: 1-line block ×3, first 2 shown]
	v_mov_b32_e32 v7, v4
	s_and_saveexec_b32 s1, s0
	s_cbranch_execz .LBB192_67
; %bb.55:
	s_cmp_lt_i32 s13, 1
	s_mov_b32 s3, 0
	s_cbranch_scc1 .LBB192_59
; %bb.56:
	s_cmp_eq_u32 s13, 1
	s_cbranch_scc0 .LBB192_60
; %bb.57:
	s_wait_loadcnt 0x0
	v_min_i64 v[4:5], v[16:17], s[4:5]
	s_mov_b32 s10, 0
	s_branch .LBB192_61
.LBB192_58:
	v_max_i64 v[8:9], v[8:9], s[4:5]
	s_delay_alu instid0(VALU_DEP_1)
	v_min_i64 v[12:13], v[8:9], s[6:7]
	s_cbranch_execz .LBB192_43
	s_branch .LBB192_44
.LBB192_59:
	s_mov_b32 s10, 0
                                        ; implicit-def: $vgpr4_vgpr5
	s_cbranch_execnz .LBB192_62
	s_branch .LBB192_63
.LBB192_60:
	s_mov_b32 s10, -1
                                        ; implicit-def: $vgpr4_vgpr5
.LBB192_61:
	s_branch .LBB192_63
.LBB192_62:
	s_cmp_lg_u32 s13, 0
	s_mov_b32 s3, -1
	s_cselect_b32 s10, -1, 0
.LBB192_63:
	s_wait_loadcnt 0x0
	v_max_i64 v[6:7], v[16:17], s[4:5]
	s_and_not1_b32 vcc_lo, exec_lo, s10
	s_cbranch_vccz .LBB192_71
; %bb.64:
	s_and_not1_b32 vcc_lo, exec_lo, s3
	s_cbranch_vccnz .LBB192_66
.LBB192_65:
	s_delay_alu instid0(VALU_DEP_1)
	v_mov_b64_e32 v[4:5], v[6:7]
.LBB192_66:
	v_mov_b32_e32 v10, 0
	s_delay_alu instid0(VALU_DEP_1)
	v_dual_mov_b32 v11, v10 :: v_dual_mov_b32 v8, v10
	v_dual_mov_b32 v9, v10 :: v_dual_mov_b32 v6, v10
	v_mov_b32_e32 v7, v10
.LBB192_67:
	s_or_b32 exec_lo, exec_lo, s1
	s_delay_alu instid0(SALU_CYCLE_1)
	s_mov_b32 s1, exec_lo
	v_cmpx_gt_i32_e64 s12, v18
	s_cbranch_execz .LBB192_79
; %bb.68:
	s_cmp_lt_i32 s13, 1
	s_mov_b32 s3, 0
	s_cbranch_scc1 .LBB192_72
; %bb.69:
	s_cmp_eq_u32 s13, 1
	s_cbranch_scc0 .LBB192_73
; %bb.70:
	s_wait_loadcnt 0x0
	v_min_i64 v[10:11], v[14:15], s[4:5]
	s_mov_b32 s10, 0
	s_branch .LBB192_74
.LBB192_71:
	v_max_i64 v[4:5], v[16:17], s[4:5]
	s_delay_alu instid0(VALU_DEP_1)
	v_min_i64 v[4:5], v[4:5], s[6:7]
	s_cbranch_execz .LBB192_65
	s_branch .LBB192_66
.LBB192_72:
	s_mov_b32 s10, 0
                                        ; implicit-def: $vgpr10_vgpr11
	s_cbranch_execnz .LBB192_75
	s_branch .LBB192_76
.LBB192_73:
	s_mov_b32 s10, -1
                                        ; implicit-def: $vgpr10_vgpr11
.LBB192_74:
	s_branch .LBB192_76
.LBB192_75:
	s_cmp_lg_u32 s13, 0
	s_mov_b32 s3, -1
	s_cselect_b32 s10, -1, 0
.LBB192_76:
	s_wait_loadcnt 0x0
	v_max_i64 v[16:17], v[14:15], s[4:5]
	s_and_not1_b32 vcc_lo, exec_lo, s10
	s_cbranch_vccz .LBB192_83
; %bb.77:
	s_and_not1_b32 vcc_lo, exec_lo, s3
	s_cbranch_vccnz .LBB192_79
.LBB192_78:
	s_delay_alu instid0(VALU_DEP_1)
	v_mov_b64_e32 v[10:11], v[16:17]
.LBB192_79:
	s_or_b32 exec_lo, exec_lo, s1
	s_wait_loadcnt 0x0
	v_or_b32_e32 v14, 0x200, v0
	s_mov_b32 s1, exec_lo
	s_delay_alu instid0(VALU_DEP_1)
	v_cmpx_gt_i32_e64 s12, v14
	s_cbranch_execz .LBB192_91
; %bb.80:
	s_cmp_lt_i32 s13, 1
	s_mov_b32 s3, 0
	s_cbranch_scc1 .LBB192_84
; %bb.81:
	s_cmp_eq_u32 s13, 1
	s_cbranch_scc0 .LBB192_85
; %bb.82:
	v_min_i64 v[8:9], v[12:13], s[4:5]
	s_mov_b32 s10, 0
	s_branch .LBB192_86
.LBB192_83:
	v_max_i64 v[10:11], v[14:15], s[4:5]
	s_delay_alu instid0(VALU_DEP_1)
	v_min_i64 v[10:11], v[10:11], s[6:7]
	s_cbranch_execz .LBB192_78
	s_branch .LBB192_79
.LBB192_84:
	s_mov_b32 s10, 0
                                        ; implicit-def: $vgpr8_vgpr9
	s_cbranch_execnz .LBB192_87
	s_branch .LBB192_88
.LBB192_85:
	s_mov_b32 s10, -1
                                        ; implicit-def: $vgpr8_vgpr9
.LBB192_86:
	s_branch .LBB192_88
.LBB192_87:
	s_cmp_lg_u32 s13, 0
	s_mov_b32 s3, -1
	s_cselect_b32 s10, -1, 0
.LBB192_88:
	v_max_i64 v[14:15], v[12:13], s[4:5]
	s_and_not1_b32 vcc_lo, exec_lo, s10
	s_cbranch_vccz .LBB192_95
; %bb.89:
	s_and_not1_b32 vcc_lo, exec_lo, s3
	s_cbranch_vccnz .LBB192_91
.LBB192_90:
	s_delay_alu instid0(VALU_DEP_1)
	v_mov_b64_e32 v[8:9], v[14:15]
.LBB192_91:
	s_or_b32 exec_lo, exec_lo, s1
	v_or_b32_e32 v12, 0x300, v0
	s_mov_b32 s1, exec_lo
	s_delay_alu instid0(VALU_DEP_1)
	v_cmpx_gt_i32_e64 s12, v12
	s_cbranch_execz .LBB192_103
; %bb.92:
	s_cmp_lt_i32 s13, 1
	s_mov_b32 s3, 0
	s_cbranch_scc1 .LBB192_96
; %bb.93:
	s_cmp_eq_u32 s13, 1
	s_cbranch_scc0 .LBB192_97
; %bb.94:
	v_min_i64 v[6:7], v[2:3], s[4:5]
	s_mov_b32 s10, 0
	s_branch .LBB192_98
.LBB192_95:
	v_max_i64 v[8:9], v[12:13], s[4:5]
	s_delay_alu instid0(VALU_DEP_1)
	v_min_i64 v[8:9], v[8:9], s[6:7]
	s_cbranch_execz .LBB192_90
	s_branch .LBB192_91
.LBB192_96:
	s_mov_b32 s10, 0
                                        ; implicit-def: $vgpr6_vgpr7
	s_cbranch_execnz .LBB192_99
	s_branch .LBB192_100
.LBB192_97:
	s_mov_b32 s10, -1
                                        ; implicit-def: $vgpr6_vgpr7
.LBB192_98:
	s_branch .LBB192_100
.LBB192_99:
	s_cmp_lg_u32 s13, 0
	s_mov_b32 s3, -1
	s_cselect_b32 s10, -1, 0
.LBB192_100:
	v_max_i64 v[12:13], v[2:3], s[4:5]
	s_and_not1_b32 vcc_lo, exec_lo, s10
	s_cbranch_vccz .LBB192_112
; %bb.101:
	s_and_not1_b32 vcc_lo, exec_lo, s3
	s_cbranch_vccnz .LBB192_103
.LBB192_102:
	s_delay_alu instid0(VALU_DEP_1)
	v_mov_b64_e32 v[6:7], v[12:13]
.LBB192_103:
	s_or_b32 exec_lo, exec_lo, s1
	s_and_saveexec_b32 s1, s0
	s_delay_alu instid0(SALU_CYCLE_1)
	s_xor_b32 s0, exec_lo, s1
	s_cbranch_execz .LBB192_105
; %bb.104:
	v_mov_b32_e32 v0, v18
	global_store_b64 v1, v[4:5], s[8:9] scale_offset
.LBB192_105:
	s_wait_xcnt 0x0
	s_or_b32 exec_lo, exec_lo, s0
	s_delay_alu instid0(SALU_CYCLE_1)
	s_mov_b32 s0, exec_lo
	v_cmpx_gt_i32_e64 s12, v0
	s_cbranch_execnz .LBB192_110
; %bb.106:
	s_or_b32 exec_lo, exec_lo, s0
	s_delay_alu instid0(SALU_CYCLE_1)
	s_mov_b32 s0, exec_lo
	v_cmpx_gt_i32_e64 s12, v0
	s_cbranch_execnz .LBB192_111
.LBB192_107:
	s_or_b32 exec_lo, exec_lo, s0
	s_delay_alu instid0(SALU_CYCLE_1)
	s_mov_b32 s0, exec_lo
	v_cmpx_gt_i32_e64 s12, v0
	s_cbranch_execz .LBB192_109
.LBB192_108:
	v_add_nc_u32_e32 v0, s2, v0
	global_store_b64 v0, v[6:7], s[8:9] scale_offset
.LBB192_109:
	s_endpgm
.LBB192_110:
	v_add_nc_u32_e32 v1, s2, v0
	v_add_nc_u32_e32 v0, 0x100, v0
	global_store_b64 v1, v[10:11], s[8:9] scale_offset
	s_wait_xcnt 0x0
	s_or_b32 exec_lo, exec_lo, s0
	s_delay_alu instid0(SALU_CYCLE_1)
	s_mov_b32 s0, exec_lo
	v_cmpx_gt_i32_e64 s12, v0
	s_cbranch_execz .LBB192_107
.LBB192_111:
	v_add_nc_u32_e32 v1, s2, v0
	v_add_nc_u32_e32 v0, 0x100, v0
	global_store_b64 v1, v[8:9], s[8:9] scale_offset
	s_wait_xcnt 0x0
	s_or_b32 exec_lo, exec_lo, s0
	s_delay_alu instid0(SALU_CYCLE_1)
	s_mov_b32 s0, exec_lo
	v_cmpx_gt_i32_e64 s12, v0
	s_cbranch_execnz .LBB192_108
	s_branch .LBB192_109
.LBB192_112:
	v_max_i64 v[2:3], v[2:3], s[4:5]
	s_delay_alu instid0(VALU_DEP_1)
	v_min_i64 v[6:7], v[2:3], s[6:7]
	s_cbranch_execz .LBB192_102
	s_branch .LBB192_103
	.section	.rodata,"a",@progbits
	.p2align	6, 0x0
	.amdhsa_kernel _ZN2at6native29vectorized_elementwise_kernelILi16EZZZNS0_12_GLOBAL__N_119launch_clamp_scalarERNS_18TensorIteratorBaseEN3c106ScalarES6_NS0_6detail11ClampLimitsEENKUlvE_clEvENKUlvE2_clEvEUllE_St5arrayIPcLm2EEEEviT0_T1_
		.amdhsa_group_segment_fixed_size 0
		.amdhsa_private_segment_fixed_size 0
		.amdhsa_kernarg_size 48
		.amdhsa_user_sgpr_count 2
		.amdhsa_user_sgpr_dispatch_ptr 0
		.amdhsa_user_sgpr_queue_ptr 0
		.amdhsa_user_sgpr_kernarg_segment_ptr 1
		.amdhsa_user_sgpr_dispatch_id 0
		.amdhsa_user_sgpr_kernarg_preload_length 0
		.amdhsa_user_sgpr_kernarg_preload_offset 0
		.amdhsa_user_sgpr_private_segment_size 0
		.amdhsa_wavefront_size32 1
		.amdhsa_uses_dynamic_stack 0
		.amdhsa_enable_private_segment 0
		.amdhsa_system_sgpr_workgroup_id_x 1
		.amdhsa_system_sgpr_workgroup_id_y 0
		.amdhsa_system_sgpr_workgroup_id_z 0
		.amdhsa_system_sgpr_workgroup_info 0
		.amdhsa_system_vgpr_workitem_id 0
		.amdhsa_next_free_vgpr 19
		.amdhsa_next_free_sgpr 18
		.amdhsa_named_barrier_count 0
		.amdhsa_reserve_vcc 1
		.amdhsa_float_round_mode_32 0
		.amdhsa_float_round_mode_16_64 0
		.amdhsa_float_denorm_mode_32 3
		.amdhsa_float_denorm_mode_16_64 3
		.amdhsa_fp16_overflow 0
		.amdhsa_memory_ordered 1
		.amdhsa_forward_progress 1
		.amdhsa_inst_pref_size 15
		.amdhsa_round_robin_scheduling 0
		.amdhsa_exception_fp_ieee_invalid_op 0
		.amdhsa_exception_fp_denorm_src 0
		.amdhsa_exception_fp_ieee_div_zero 0
		.amdhsa_exception_fp_ieee_overflow 0
		.amdhsa_exception_fp_ieee_underflow 0
		.amdhsa_exception_fp_ieee_inexact 0
		.amdhsa_exception_int_div_zero 0
	.end_amdhsa_kernel
	.section	.text._ZN2at6native29vectorized_elementwise_kernelILi16EZZZNS0_12_GLOBAL__N_119launch_clamp_scalarERNS_18TensorIteratorBaseEN3c106ScalarES6_NS0_6detail11ClampLimitsEENKUlvE_clEvENKUlvE2_clEvEUllE_St5arrayIPcLm2EEEEviT0_T1_,"axG",@progbits,_ZN2at6native29vectorized_elementwise_kernelILi16EZZZNS0_12_GLOBAL__N_119launch_clamp_scalarERNS_18TensorIteratorBaseEN3c106ScalarES6_NS0_6detail11ClampLimitsEENKUlvE_clEvENKUlvE2_clEvEUllE_St5arrayIPcLm2EEEEviT0_T1_,comdat
.Lfunc_end192:
	.size	_ZN2at6native29vectorized_elementwise_kernelILi16EZZZNS0_12_GLOBAL__N_119launch_clamp_scalarERNS_18TensorIteratorBaseEN3c106ScalarES6_NS0_6detail11ClampLimitsEENKUlvE_clEvENKUlvE2_clEvEUllE_St5arrayIPcLm2EEEEviT0_T1_, .Lfunc_end192-_ZN2at6native29vectorized_elementwise_kernelILi16EZZZNS0_12_GLOBAL__N_119launch_clamp_scalarERNS_18TensorIteratorBaseEN3c106ScalarES6_NS0_6detail11ClampLimitsEENKUlvE_clEvENKUlvE2_clEvEUllE_St5arrayIPcLm2EEEEviT0_T1_
                                        ; -- End function
	.set _ZN2at6native29vectorized_elementwise_kernelILi16EZZZNS0_12_GLOBAL__N_119launch_clamp_scalarERNS_18TensorIteratorBaseEN3c106ScalarES6_NS0_6detail11ClampLimitsEENKUlvE_clEvENKUlvE2_clEvEUllE_St5arrayIPcLm2EEEEviT0_T1_.num_vgpr, 19
	.set _ZN2at6native29vectorized_elementwise_kernelILi16EZZZNS0_12_GLOBAL__N_119launch_clamp_scalarERNS_18TensorIteratorBaseEN3c106ScalarES6_NS0_6detail11ClampLimitsEENKUlvE_clEvENKUlvE2_clEvEUllE_St5arrayIPcLm2EEEEviT0_T1_.num_agpr, 0
	.set _ZN2at6native29vectorized_elementwise_kernelILi16EZZZNS0_12_GLOBAL__N_119launch_clamp_scalarERNS_18TensorIteratorBaseEN3c106ScalarES6_NS0_6detail11ClampLimitsEENKUlvE_clEvENKUlvE2_clEvEUllE_St5arrayIPcLm2EEEEviT0_T1_.numbered_sgpr, 18
	.set _ZN2at6native29vectorized_elementwise_kernelILi16EZZZNS0_12_GLOBAL__N_119launch_clamp_scalarERNS_18TensorIteratorBaseEN3c106ScalarES6_NS0_6detail11ClampLimitsEENKUlvE_clEvENKUlvE2_clEvEUllE_St5arrayIPcLm2EEEEviT0_T1_.num_named_barrier, 0
	.set _ZN2at6native29vectorized_elementwise_kernelILi16EZZZNS0_12_GLOBAL__N_119launch_clamp_scalarERNS_18TensorIteratorBaseEN3c106ScalarES6_NS0_6detail11ClampLimitsEENKUlvE_clEvENKUlvE2_clEvEUllE_St5arrayIPcLm2EEEEviT0_T1_.private_seg_size, 0
	.set _ZN2at6native29vectorized_elementwise_kernelILi16EZZZNS0_12_GLOBAL__N_119launch_clamp_scalarERNS_18TensorIteratorBaseEN3c106ScalarES6_NS0_6detail11ClampLimitsEENKUlvE_clEvENKUlvE2_clEvEUllE_St5arrayIPcLm2EEEEviT0_T1_.uses_vcc, 1
	.set _ZN2at6native29vectorized_elementwise_kernelILi16EZZZNS0_12_GLOBAL__N_119launch_clamp_scalarERNS_18TensorIteratorBaseEN3c106ScalarES6_NS0_6detail11ClampLimitsEENKUlvE_clEvENKUlvE2_clEvEUllE_St5arrayIPcLm2EEEEviT0_T1_.uses_flat_scratch, 0
	.set _ZN2at6native29vectorized_elementwise_kernelILi16EZZZNS0_12_GLOBAL__N_119launch_clamp_scalarERNS_18TensorIteratorBaseEN3c106ScalarES6_NS0_6detail11ClampLimitsEENKUlvE_clEvENKUlvE2_clEvEUllE_St5arrayIPcLm2EEEEviT0_T1_.has_dyn_sized_stack, 0
	.set _ZN2at6native29vectorized_elementwise_kernelILi16EZZZNS0_12_GLOBAL__N_119launch_clamp_scalarERNS_18TensorIteratorBaseEN3c106ScalarES6_NS0_6detail11ClampLimitsEENKUlvE_clEvENKUlvE2_clEvEUllE_St5arrayIPcLm2EEEEviT0_T1_.has_recursion, 0
	.set _ZN2at6native29vectorized_elementwise_kernelILi16EZZZNS0_12_GLOBAL__N_119launch_clamp_scalarERNS_18TensorIteratorBaseEN3c106ScalarES6_NS0_6detail11ClampLimitsEENKUlvE_clEvENKUlvE2_clEvEUllE_St5arrayIPcLm2EEEEviT0_T1_.has_indirect_call, 0
	.section	.AMDGPU.csdata,"",@progbits
; Kernel info:
; codeLenInByte = 1892
; TotalNumSgprs: 20
; NumVgprs: 19
; ScratchSize: 0
; MemoryBound: 1
; FloatMode: 240
; IeeeMode: 1
; LDSByteSize: 0 bytes/workgroup (compile time only)
; SGPRBlocks: 0
; VGPRBlocks: 1
; NumSGPRsForWavesPerEU: 20
; NumVGPRsForWavesPerEU: 19
; NamedBarCnt: 0
; Occupancy: 16
; WaveLimiterHint : 0
; COMPUTE_PGM_RSRC2:SCRATCH_EN: 0
; COMPUTE_PGM_RSRC2:USER_SGPR: 2
; COMPUTE_PGM_RSRC2:TRAP_HANDLER: 0
; COMPUTE_PGM_RSRC2:TGID_X_EN: 1
; COMPUTE_PGM_RSRC2:TGID_Y_EN: 0
; COMPUTE_PGM_RSRC2:TGID_Z_EN: 0
; COMPUTE_PGM_RSRC2:TIDIG_COMP_CNT: 0
	.section	.text._ZN2at6native29vectorized_elementwise_kernelILi8EZZZNS0_12_GLOBAL__N_119launch_clamp_scalarERNS_18TensorIteratorBaseEN3c106ScalarES6_NS0_6detail11ClampLimitsEENKUlvE_clEvENKUlvE2_clEvEUllE_St5arrayIPcLm2EEEEviT0_T1_,"axG",@progbits,_ZN2at6native29vectorized_elementwise_kernelILi8EZZZNS0_12_GLOBAL__N_119launch_clamp_scalarERNS_18TensorIteratorBaseEN3c106ScalarES6_NS0_6detail11ClampLimitsEENKUlvE_clEvENKUlvE2_clEvEUllE_St5arrayIPcLm2EEEEviT0_T1_,comdat
	.globl	_ZN2at6native29vectorized_elementwise_kernelILi8EZZZNS0_12_GLOBAL__N_119launch_clamp_scalarERNS_18TensorIteratorBaseEN3c106ScalarES6_NS0_6detail11ClampLimitsEENKUlvE_clEvENKUlvE2_clEvEUllE_St5arrayIPcLm2EEEEviT0_T1_ ; -- Begin function _ZN2at6native29vectorized_elementwise_kernelILi8EZZZNS0_12_GLOBAL__N_119launch_clamp_scalarERNS_18TensorIteratorBaseEN3c106ScalarES6_NS0_6detail11ClampLimitsEENKUlvE_clEvENKUlvE2_clEvEUllE_St5arrayIPcLm2EEEEviT0_T1_
	.p2align	8
	.type	_ZN2at6native29vectorized_elementwise_kernelILi8EZZZNS0_12_GLOBAL__N_119launch_clamp_scalarERNS_18TensorIteratorBaseEN3c106ScalarES6_NS0_6detail11ClampLimitsEENKUlvE_clEvENKUlvE2_clEvEUllE_St5arrayIPcLm2EEEEviT0_T1_,@function
_ZN2at6native29vectorized_elementwise_kernelILi8EZZZNS0_12_GLOBAL__N_119launch_clamp_scalarERNS_18TensorIteratorBaseEN3c106ScalarES6_NS0_6detail11ClampLimitsEENKUlvE_clEvENKUlvE2_clEvEUllE_St5arrayIPcLm2EEEEviT0_T1_: ; @_ZN2at6native29vectorized_elementwise_kernelILi8EZZZNS0_12_GLOBAL__N_119launch_clamp_scalarERNS_18TensorIteratorBaseEN3c106ScalarES6_NS0_6detail11ClampLimitsEENKUlvE_clEvENKUlvE2_clEvEUllE_St5arrayIPcLm2EEEEviT0_T1_
; %bb.0:
	s_clause 0x2
	s_load_b32 s3, s[0:1], 0x0
	s_load_b32 s13, s[0:1], 0x8
	s_load_b256 s[4:11], s[0:1], 0x10
	s_wait_xcnt 0x0
	s_bfe_u32 s0, ttmp6, 0x4000c
	s_and_b32 s1, ttmp6, 15
	s_add_co_i32 s0, s0, 1
	s_getreg_b32 s2, hwreg(HW_REG_IB_STS2, 6, 4)
	s_mul_i32 s0, ttmp9, s0
	s_mov_b32 s14, 0
	s_add_co_i32 s1, s1, s0
	s_cmp_eq_u32 s2, 0
	s_cselect_b32 s0, ttmp9, s1
	s_delay_alu instid0(SALU_CYCLE_1) | instskip(SKIP_3) | instid1(SALU_CYCLE_1)
	s_lshl_b32 s2, s0, 10
	s_mov_b32 s0, -1
	s_wait_kmcnt 0x0
	s_sub_co_i32 s12, s3, s2
	s_cmp_gt_i32 s12, 0x3ff
	s_cbranch_scc0 .LBB193_45
; %bb.1:
	s_ashr_i32 s3, s2, 31
	v_lshlrev_b32_e32 v1, 5, v0
	s_lshl_b64 s[0:1], s[2:3], 3
	s_cmp_lt_i32 s13, 1
	s_add_nc_u64 s[16:17], s[10:11], s[0:1]
	s_clause 0x1
	global_load_b128 v[6:9], v1, s[16:17] offset:16
	global_load_b128 v[10:13], v1, s[16:17]
	s_cbranch_scc1 .LBB193_4
; %bb.2:
	s_cmp_eq_u32 s13, 1
	s_cbranch_scc0 .LBB193_5
; %bb.3:
	s_wait_loadcnt 0x0
	v_min_i64 v[2:3], v[10:11], s[4:5]
	s_branch .LBB193_6
.LBB193_4:
                                        ; implicit-def: $vgpr2_vgpr3
	s_mov_b32 s3, 0
	s_cbranch_execnz .LBB193_7
	s_branch .LBB193_8
.LBB193_5:
	s_mov_b32 s14, -1
                                        ; implicit-def: $vgpr2_vgpr3
.LBB193_6:
	s_mov_b32 s3, 0
	s_branch .LBB193_8
.LBB193_7:
	s_cmp_lg_u32 s13, 0
	s_mov_b32 s3, -1
	s_cselect_b32 s14, -1, 0
.LBB193_8:
	s_wait_loadcnt 0x0
	v_max_i64 v[4:5], v[10:11], s[4:5]
	s_and_not1_b32 vcc_lo, exec_lo, s14
	s_cbranch_vccz .LBB193_13
; %bb.9:
	s_and_not1_b32 vcc_lo, exec_lo, s3
	s_cbranch_vccz .LBB193_14
.LBB193_10:
	s_cmp_lt_i32 s13, 1
	s_mov_b32 s3, 0
	s_cbranch_scc1 .LBB193_15
.LBB193_11:
	s_cmp_eq_u32 s13, 1
	s_cbranch_scc0 .LBB193_16
; %bb.12:
	v_min_i64 v[4:5], v[12:13], s[4:5]
	s_mov_b32 s14, 0
	s_branch .LBB193_17
.LBB193_13:
	v_max_i64 v[2:3], v[10:11], s[4:5]
	s_delay_alu instid0(VALU_DEP_1)
	v_min_i64 v[2:3], v[2:3], s[6:7]
	s_cbranch_execnz .LBB193_10
.LBB193_14:
	s_delay_alu instid0(VALU_DEP_1)
	v_mov_b64_e32 v[2:3], v[4:5]
	s_cmp_lt_i32 s13, 1
	s_mov_b32 s3, 0
	s_cbranch_scc0 .LBB193_11
.LBB193_15:
	s_mov_b32 s14, 0
	s_cbranch_execnz .LBB193_18
	s_branch .LBB193_19
.LBB193_16:
	s_mov_b32 s14, -1
.LBB193_17:
	s_branch .LBB193_19
.LBB193_18:
	s_cmp_lg_u32 s13, 0
	s_mov_b32 s3, -1
	s_cselect_b32 s14, -1, 0
.LBB193_19:
	v_max_i64 v[10:11], v[12:13], s[4:5]
	s_and_not1_b32 vcc_lo, exec_lo, s14
	s_cbranch_vccz .LBB193_24
; %bb.20:
	s_and_not1_b32 vcc_lo, exec_lo, s3
	s_cbranch_vccz .LBB193_25
.LBB193_21:
	s_cmp_lt_i32 s13, 1
	s_mov_b32 s3, 0
	s_cbranch_scc1 .LBB193_26
.LBB193_22:
	s_cmp_eq_u32 s13, 1
	s_cbranch_scc0 .LBB193_27
; %bb.23:
	v_min_i64 v[10:11], v[6:7], s[4:5]
	s_mov_b32 s14, 0
	s_branch .LBB193_28
.LBB193_24:
	v_max_i64 v[4:5], v[12:13], s[4:5]
	s_delay_alu instid0(VALU_DEP_1)
	v_min_i64 v[4:5], v[4:5], s[6:7]
	s_cbranch_execnz .LBB193_21
.LBB193_25:
	s_delay_alu instid0(VALU_DEP_1)
	v_mov_b64_e32 v[4:5], v[10:11]
	s_cmp_lt_i32 s13, 1
	s_mov_b32 s3, 0
	s_cbranch_scc0 .LBB193_22
.LBB193_26:
	s_mov_b32 s14, 0
                                        ; implicit-def: $vgpr10_vgpr11
	s_cbranch_execnz .LBB193_29
	s_branch .LBB193_30
.LBB193_27:
	s_mov_b32 s14, -1
                                        ; implicit-def: $vgpr10_vgpr11
.LBB193_28:
	s_branch .LBB193_30
.LBB193_29:
	s_cmp_lg_u32 s13, 0
	s_mov_b32 s3, -1
	s_cselect_b32 s14, -1, 0
.LBB193_30:
	v_max_i64 v[12:13], v[6:7], s[4:5]
	s_and_not1_b32 vcc_lo, exec_lo, s14
	s_cbranch_vccz .LBB193_35
; %bb.31:
	s_and_not1_b32 vcc_lo, exec_lo, s3
	s_cbranch_vccz .LBB193_36
.LBB193_32:
	s_cmp_lt_i32 s13, 1
	s_mov_b32 s3, 0
	s_cbranch_scc1 .LBB193_37
.LBB193_33:
	s_cmp_eq_u32 s13, 1
	s_cbranch_scc0 .LBB193_38
; %bb.34:
	v_min_i64 v[12:13], v[8:9], s[4:5]
	s_mov_b32 s14, 0
	s_branch .LBB193_39
.LBB193_35:
	v_max_i64 v[6:7], v[6:7], s[4:5]
	s_delay_alu instid0(VALU_DEP_1)
	v_min_i64 v[10:11], v[6:7], s[6:7]
	s_cbranch_execnz .LBB193_32
.LBB193_36:
	s_delay_alu instid0(VALU_DEP_1)
	v_mov_b64_e32 v[10:11], v[12:13]
	s_cmp_lt_i32 s13, 1
	s_mov_b32 s3, 0
	s_cbranch_scc0 .LBB193_33
.LBB193_37:
	s_mov_b32 s14, 0
	s_cbranch_execnz .LBB193_40
	s_branch .LBB193_41
.LBB193_38:
	s_mov_b32 s14, -1
.LBB193_39:
	s_branch .LBB193_41
.LBB193_40:
	s_cmp_lg_u32 s13, 0
	s_mov_b32 s3, -1
	s_cselect_b32 s14, -1, 0
.LBB193_41:
	v_max_i64 v[6:7], v[8:9], s[4:5]
	s_and_not1_b32 vcc_lo, exec_lo, s14
	s_cbranch_vccz .LBB193_58
; %bb.42:
	s_and_not1_b32 vcc_lo, exec_lo, s3
	s_cbranch_vccnz .LBB193_44
.LBB193_43:
	s_delay_alu instid0(VALU_DEP_1)
	v_mov_b64_e32 v[12:13], v[6:7]
.LBB193_44:
	s_add_nc_u64 s[14:15], s[8:9], s[0:1]
	s_mov_b32 s0, 0
	s_clause 0x1
	global_store_b128 v1, v[2:5], s[14:15]
	global_store_b128 v1, v[10:13], s[14:15] offset:16
.LBB193_45:
	s_and_b32 vcc_lo, exec_lo, s0
	s_cbranch_vccz .LBB193_109
; %bb.46:
	v_mov_b64_e32 v[14:15], 0
	v_mov_b64_e32 v[16:17], 0
	v_cmp_gt_i32_e64 s0, s12, v0
	s_wait_xcnt 0x0
	v_dual_mov_b32 v4, v0 :: v_dual_bitop2_b32 v1, s2, v0 bitop3:0x54
	v_or_b32_e32 v18, 0x100, v0
	s_and_saveexec_b32 s1, s0
	s_cbranch_execz .LBB193_48
; %bb.47:
	global_load_b64 v[16:17], v1, s[10:11] scale_offset
	v_or_b32_e32 v4, 0x100, v0
.LBB193_48:
	s_wait_xcnt 0x0
	s_or_b32 exec_lo, exec_lo, s1
	s_delay_alu instid0(SALU_CYCLE_1) | instskip(NEXT) | instid1(VALU_DEP_1)
	s_mov_b32 s1, exec_lo
	v_cmpx_gt_i32_e64 s12, v4
	s_cbranch_execz .LBB193_50
; %bb.49:
	v_add_nc_u32_e32 v2, s2, v4
	v_add_nc_u32_e32 v4, 0x100, v4
	global_load_b64 v[14:15], v2, s[10:11] scale_offset
.LBB193_50:
	s_wait_xcnt 0x0
	s_or_b32 exec_lo, exec_lo, s1
	v_mov_b64_e32 v[2:3], 0
	v_mov_b64_e32 v[12:13], 0
	s_mov_b32 s1, exec_lo
	v_cmpx_gt_i32_e64 s12, v4
	s_cbranch_execz .LBB193_52
; %bb.51:
	v_add_nc_u32_e32 v5, s2, v4
	v_add_nc_u32_e32 v4, 0x100, v4
	global_load_b64 v[12:13], v5, s[10:11] scale_offset
.LBB193_52:
	s_wait_xcnt 0x0
	s_or_b32 exec_lo, exec_lo, s1
	s_delay_alu instid0(SALU_CYCLE_1)
	s_mov_b32 s1, exec_lo
	v_cmpx_gt_i32_e64 s12, v4
	s_cbranch_execz .LBB193_54
; %bb.53:
	v_add_nc_u32_e32 v2, s2, v4
	global_load_b64 v[2:3], v2, s[10:11] scale_offset
.LBB193_54:
	s_wait_xcnt 0x0
	s_or_b32 exec_lo, exec_lo, s1
	v_mov_b32_e32 v4, 0
	s_delay_alu instid0(VALU_DEP_1)
	v_dual_mov_b32 v5, v4 :: v_dual_mov_b32 v10, v4
	v_dual_mov_b32 v11, v4 :: v_dual_mov_b32 v8, v4
	;; [unrolled: 1-line block ×3, first 2 shown]
	v_mov_b32_e32 v7, v4
	s_and_saveexec_b32 s1, s0
	s_cbranch_execz .LBB193_67
; %bb.55:
	s_cmp_lt_i32 s13, 1
	s_mov_b32 s3, 0
	s_cbranch_scc1 .LBB193_59
; %bb.56:
	s_cmp_eq_u32 s13, 1
	s_cbranch_scc0 .LBB193_60
; %bb.57:
	s_wait_loadcnt 0x0
	v_min_i64 v[4:5], v[16:17], s[4:5]
	s_mov_b32 s10, 0
	s_branch .LBB193_61
.LBB193_58:
	v_max_i64 v[8:9], v[8:9], s[4:5]
	s_delay_alu instid0(VALU_DEP_1)
	v_min_i64 v[12:13], v[8:9], s[6:7]
	s_cbranch_execz .LBB193_43
	s_branch .LBB193_44
.LBB193_59:
	s_mov_b32 s10, 0
                                        ; implicit-def: $vgpr4_vgpr5
	s_cbranch_execnz .LBB193_62
	s_branch .LBB193_63
.LBB193_60:
	s_mov_b32 s10, -1
                                        ; implicit-def: $vgpr4_vgpr5
.LBB193_61:
	s_branch .LBB193_63
.LBB193_62:
	s_cmp_lg_u32 s13, 0
	s_mov_b32 s3, -1
	s_cselect_b32 s10, -1, 0
.LBB193_63:
	s_wait_loadcnt 0x0
	v_max_i64 v[6:7], v[16:17], s[4:5]
	s_and_not1_b32 vcc_lo, exec_lo, s10
	s_cbranch_vccz .LBB193_71
; %bb.64:
	s_and_not1_b32 vcc_lo, exec_lo, s3
	s_cbranch_vccnz .LBB193_66
.LBB193_65:
	s_delay_alu instid0(VALU_DEP_1)
	v_mov_b64_e32 v[4:5], v[6:7]
.LBB193_66:
	v_mov_b32_e32 v10, 0
	s_delay_alu instid0(VALU_DEP_1)
	v_dual_mov_b32 v11, v10 :: v_dual_mov_b32 v8, v10
	v_dual_mov_b32 v9, v10 :: v_dual_mov_b32 v6, v10
	v_mov_b32_e32 v7, v10
.LBB193_67:
	s_or_b32 exec_lo, exec_lo, s1
	s_delay_alu instid0(SALU_CYCLE_1)
	s_mov_b32 s1, exec_lo
	v_cmpx_gt_i32_e64 s12, v18
	s_cbranch_execz .LBB193_79
; %bb.68:
	s_cmp_lt_i32 s13, 1
	s_mov_b32 s3, 0
	s_cbranch_scc1 .LBB193_72
; %bb.69:
	s_cmp_eq_u32 s13, 1
	s_cbranch_scc0 .LBB193_73
; %bb.70:
	s_wait_loadcnt 0x0
	v_min_i64 v[10:11], v[14:15], s[4:5]
	s_mov_b32 s10, 0
	s_branch .LBB193_74
.LBB193_71:
	v_max_i64 v[4:5], v[16:17], s[4:5]
	s_delay_alu instid0(VALU_DEP_1)
	v_min_i64 v[4:5], v[4:5], s[6:7]
	s_cbranch_execz .LBB193_65
	s_branch .LBB193_66
.LBB193_72:
	s_mov_b32 s10, 0
                                        ; implicit-def: $vgpr10_vgpr11
	s_cbranch_execnz .LBB193_75
	s_branch .LBB193_76
.LBB193_73:
	s_mov_b32 s10, -1
                                        ; implicit-def: $vgpr10_vgpr11
.LBB193_74:
	s_branch .LBB193_76
.LBB193_75:
	s_cmp_lg_u32 s13, 0
	s_mov_b32 s3, -1
	s_cselect_b32 s10, -1, 0
.LBB193_76:
	s_wait_loadcnt 0x0
	v_max_i64 v[16:17], v[14:15], s[4:5]
	s_and_not1_b32 vcc_lo, exec_lo, s10
	s_cbranch_vccz .LBB193_83
; %bb.77:
	s_and_not1_b32 vcc_lo, exec_lo, s3
	s_cbranch_vccnz .LBB193_79
.LBB193_78:
	s_delay_alu instid0(VALU_DEP_1)
	v_mov_b64_e32 v[10:11], v[16:17]
.LBB193_79:
	s_or_b32 exec_lo, exec_lo, s1
	s_wait_loadcnt 0x0
	v_or_b32_e32 v14, 0x200, v0
	s_mov_b32 s1, exec_lo
	s_delay_alu instid0(VALU_DEP_1)
	v_cmpx_gt_i32_e64 s12, v14
	s_cbranch_execz .LBB193_91
; %bb.80:
	s_cmp_lt_i32 s13, 1
	s_mov_b32 s3, 0
	s_cbranch_scc1 .LBB193_84
; %bb.81:
	s_cmp_eq_u32 s13, 1
	s_cbranch_scc0 .LBB193_85
; %bb.82:
	v_min_i64 v[8:9], v[12:13], s[4:5]
	s_mov_b32 s10, 0
	s_branch .LBB193_86
.LBB193_83:
	v_max_i64 v[10:11], v[14:15], s[4:5]
	s_delay_alu instid0(VALU_DEP_1)
	v_min_i64 v[10:11], v[10:11], s[6:7]
	s_cbranch_execz .LBB193_78
	s_branch .LBB193_79
.LBB193_84:
	s_mov_b32 s10, 0
                                        ; implicit-def: $vgpr8_vgpr9
	s_cbranch_execnz .LBB193_87
	s_branch .LBB193_88
.LBB193_85:
	s_mov_b32 s10, -1
                                        ; implicit-def: $vgpr8_vgpr9
.LBB193_86:
	s_branch .LBB193_88
.LBB193_87:
	s_cmp_lg_u32 s13, 0
	s_mov_b32 s3, -1
	s_cselect_b32 s10, -1, 0
.LBB193_88:
	v_max_i64 v[14:15], v[12:13], s[4:5]
	s_and_not1_b32 vcc_lo, exec_lo, s10
	s_cbranch_vccz .LBB193_95
; %bb.89:
	s_and_not1_b32 vcc_lo, exec_lo, s3
	s_cbranch_vccnz .LBB193_91
.LBB193_90:
	s_delay_alu instid0(VALU_DEP_1)
	v_mov_b64_e32 v[8:9], v[14:15]
.LBB193_91:
	s_or_b32 exec_lo, exec_lo, s1
	v_or_b32_e32 v12, 0x300, v0
	s_mov_b32 s1, exec_lo
	s_delay_alu instid0(VALU_DEP_1)
	v_cmpx_gt_i32_e64 s12, v12
	s_cbranch_execz .LBB193_103
; %bb.92:
	s_cmp_lt_i32 s13, 1
	s_mov_b32 s3, 0
	s_cbranch_scc1 .LBB193_96
; %bb.93:
	s_cmp_eq_u32 s13, 1
	s_cbranch_scc0 .LBB193_97
; %bb.94:
	v_min_i64 v[6:7], v[2:3], s[4:5]
	s_mov_b32 s10, 0
	s_branch .LBB193_98
.LBB193_95:
	v_max_i64 v[8:9], v[12:13], s[4:5]
	s_delay_alu instid0(VALU_DEP_1)
	v_min_i64 v[8:9], v[8:9], s[6:7]
	s_cbranch_execz .LBB193_90
	s_branch .LBB193_91
.LBB193_96:
	s_mov_b32 s10, 0
                                        ; implicit-def: $vgpr6_vgpr7
	s_cbranch_execnz .LBB193_99
	s_branch .LBB193_100
.LBB193_97:
	s_mov_b32 s10, -1
                                        ; implicit-def: $vgpr6_vgpr7
.LBB193_98:
	s_branch .LBB193_100
.LBB193_99:
	s_cmp_lg_u32 s13, 0
	s_mov_b32 s3, -1
	s_cselect_b32 s10, -1, 0
.LBB193_100:
	v_max_i64 v[12:13], v[2:3], s[4:5]
	s_and_not1_b32 vcc_lo, exec_lo, s10
	s_cbranch_vccz .LBB193_112
; %bb.101:
	s_and_not1_b32 vcc_lo, exec_lo, s3
	s_cbranch_vccnz .LBB193_103
.LBB193_102:
	s_delay_alu instid0(VALU_DEP_1)
	v_mov_b64_e32 v[6:7], v[12:13]
.LBB193_103:
	s_or_b32 exec_lo, exec_lo, s1
	s_and_saveexec_b32 s1, s0
	s_delay_alu instid0(SALU_CYCLE_1)
	s_xor_b32 s0, exec_lo, s1
	s_cbranch_execz .LBB193_105
; %bb.104:
	v_mov_b32_e32 v0, v18
	global_store_b64 v1, v[4:5], s[8:9] scale_offset
.LBB193_105:
	s_wait_xcnt 0x0
	s_or_b32 exec_lo, exec_lo, s0
	s_delay_alu instid0(SALU_CYCLE_1)
	s_mov_b32 s0, exec_lo
	v_cmpx_gt_i32_e64 s12, v0
	s_cbranch_execnz .LBB193_110
; %bb.106:
	s_or_b32 exec_lo, exec_lo, s0
	s_delay_alu instid0(SALU_CYCLE_1)
	s_mov_b32 s0, exec_lo
	v_cmpx_gt_i32_e64 s12, v0
	s_cbranch_execnz .LBB193_111
.LBB193_107:
	s_or_b32 exec_lo, exec_lo, s0
	s_delay_alu instid0(SALU_CYCLE_1)
	s_mov_b32 s0, exec_lo
	v_cmpx_gt_i32_e64 s12, v0
	s_cbranch_execz .LBB193_109
.LBB193_108:
	v_add_nc_u32_e32 v0, s2, v0
	global_store_b64 v0, v[6:7], s[8:9] scale_offset
.LBB193_109:
	s_endpgm
.LBB193_110:
	v_add_nc_u32_e32 v1, s2, v0
	v_add_nc_u32_e32 v0, 0x100, v0
	global_store_b64 v1, v[10:11], s[8:9] scale_offset
	s_wait_xcnt 0x0
	s_or_b32 exec_lo, exec_lo, s0
	s_delay_alu instid0(SALU_CYCLE_1)
	s_mov_b32 s0, exec_lo
	v_cmpx_gt_i32_e64 s12, v0
	s_cbranch_execz .LBB193_107
.LBB193_111:
	v_add_nc_u32_e32 v1, s2, v0
	v_add_nc_u32_e32 v0, 0x100, v0
	global_store_b64 v1, v[8:9], s[8:9] scale_offset
	s_wait_xcnt 0x0
	s_or_b32 exec_lo, exec_lo, s0
	s_delay_alu instid0(SALU_CYCLE_1)
	s_mov_b32 s0, exec_lo
	v_cmpx_gt_i32_e64 s12, v0
	s_cbranch_execnz .LBB193_108
	s_branch .LBB193_109
.LBB193_112:
	v_max_i64 v[2:3], v[2:3], s[4:5]
	s_delay_alu instid0(VALU_DEP_1)
	v_min_i64 v[6:7], v[2:3], s[6:7]
	s_cbranch_execz .LBB193_102
	s_branch .LBB193_103
	.section	.rodata,"a",@progbits
	.p2align	6, 0x0
	.amdhsa_kernel _ZN2at6native29vectorized_elementwise_kernelILi8EZZZNS0_12_GLOBAL__N_119launch_clamp_scalarERNS_18TensorIteratorBaseEN3c106ScalarES6_NS0_6detail11ClampLimitsEENKUlvE_clEvENKUlvE2_clEvEUllE_St5arrayIPcLm2EEEEviT0_T1_
		.amdhsa_group_segment_fixed_size 0
		.amdhsa_private_segment_fixed_size 0
		.amdhsa_kernarg_size 48
		.amdhsa_user_sgpr_count 2
		.amdhsa_user_sgpr_dispatch_ptr 0
		.amdhsa_user_sgpr_queue_ptr 0
		.amdhsa_user_sgpr_kernarg_segment_ptr 1
		.amdhsa_user_sgpr_dispatch_id 0
		.amdhsa_user_sgpr_kernarg_preload_length 0
		.amdhsa_user_sgpr_kernarg_preload_offset 0
		.amdhsa_user_sgpr_private_segment_size 0
		.amdhsa_wavefront_size32 1
		.amdhsa_uses_dynamic_stack 0
		.amdhsa_enable_private_segment 0
		.amdhsa_system_sgpr_workgroup_id_x 1
		.amdhsa_system_sgpr_workgroup_id_y 0
		.amdhsa_system_sgpr_workgroup_id_z 0
		.amdhsa_system_sgpr_workgroup_info 0
		.amdhsa_system_vgpr_workitem_id 0
		.amdhsa_next_free_vgpr 19
		.amdhsa_next_free_sgpr 18
		.amdhsa_named_barrier_count 0
		.amdhsa_reserve_vcc 1
		.amdhsa_float_round_mode_32 0
		.amdhsa_float_round_mode_16_64 0
		.amdhsa_float_denorm_mode_32 3
		.amdhsa_float_denorm_mode_16_64 3
		.amdhsa_fp16_overflow 0
		.amdhsa_memory_ordered 1
		.amdhsa_forward_progress 1
		.amdhsa_inst_pref_size 15
		.amdhsa_round_robin_scheduling 0
		.amdhsa_exception_fp_ieee_invalid_op 0
		.amdhsa_exception_fp_denorm_src 0
		.amdhsa_exception_fp_ieee_div_zero 0
		.amdhsa_exception_fp_ieee_overflow 0
		.amdhsa_exception_fp_ieee_underflow 0
		.amdhsa_exception_fp_ieee_inexact 0
		.amdhsa_exception_int_div_zero 0
	.end_amdhsa_kernel
	.section	.text._ZN2at6native29vectorized_elementwise_kernelILi8EZZZNS0_12_GLOBAL__N_119launch_clamp_scalarERNS_18TensorIteratorBaseEN3c106ScalarES6_NS0_6detail11ClampLimitsEENKUlvE_clEvENKUlvE2_clEvEUllE_St5arrayIPcLm2EEEEviT0_T1_,"axG",@progbits,_ZN2at6native29vectorized_elementwise_kernelILi8EZZZNS0_12_GLOBAL__N_119launch_clamp_scalarERNS_18TensorIteratorBaseEN3c106ScalarES6_NS0_6detail11ClampLimitsEENKUlvE_clEvENKUlvE2_clEvEUllE_St5arrayIPcLm2EEEEviT0_T1_,comdat
.Lfunc_end193:
	.size	_ZN2at6native29vectorized_elementwise_kernelILi8EZZZNS0_12_GLOBAL__N_119launch_clamp_scalarERNS_18TensorIteratorBaseEN3c106ScalarES6_NS0_6detail11ClampLimitsEENKUlvE_clEvENKUlvE2_clEvEUllE_St5arrayIPcLm2EEEEviT0_T1_, .Lfunc_end193-_ZN2at6native29vectorized_elementwise_kernelILi8EZZZNS0_12_GLOBAL__N_119launch_clamp_scalarERNS_18TensorIteratorBaseEN3c106ScalarES6_NS0_6detail11ClampLimitsEENKUlvE_clEvENKUlvE2_clEvEUllE_St5arrayIPcLm2EEEEviT0_T1_
                                        ; -- End function
	.set _ZN2at6native29vectorized_elementwise_kernelILi8EZZZNS0_12_GLOBAL__N_119launch_clamp_scalarERNS_18TensorIteratorBaseEN3c106ScalarES6_NS0_6detail11ClampLimitsEENKUlvE_clEvENKUlvE2_clEvEUllE_St5arrayIPcLm2EEEEviT0_T1_.num_vgpr, 19
	.set _ZN2at6native29vectorized_elementwise_kernelILi8EZZZNS0_12_GLOBAL__N_119launch_clamp_scalarERNS_18TensorIteratorBaseEN3c106ScalarES6_NS0_6detail11ClampLimitsEENKUlvE_clEvENKUlvE2_clEvEUllE_St5arrayIPcLm2EEEEviT0_T1_.num_agpr, 0
	.set _ZN2at6native29vectorized_elementwise_kernelILi8EZZZNS0_12_GLOBAL__N_119launch_clamp_scalarERNS_18TensorIteratorBaseEN3c106ScalarES6_NS0_6detail11ClampLimitsEENKUlvE_clEvENKUlvE2_clEvEUllE_St5arrayIPcLm2EEEEviT0_T1_.numbered_sgpr, 18
	.set _ZN2at6native29vectorized_elementwise_kernelILi8EZZZNS0_12_GLOBAL__N_119launch_clamp_scalarERNS_18TensorIteratorBaseEN3c106ScalarES6_NS0_6detail11ClampLimitsEENKUlvE_clEvENKUlvE2_clEvEUllE_St5arrayIPcLm2EEEEviT0_T1_.num_named_barrier, 0
	.set _ZN2at6native29vectorized_elementwise_kernelILi8EZZZNS0_12_GLOBAL__N_119launch_clamp_scalarERNS_18TensorIteratorBaseEN3c106ScalarES6_NS0_6detail11ClampLimitsEENKUlvE_clEvENKUlvE2_clEvEUllE_St5arrayIPcLm2EEEEviT0_T1_.private_seg_size, 0
	.set _ZN2at6native29vectorized_elementwise_kernelILi8EZZZNS0_12_GLOBAL__N_119launch_clamp_scalarERNS_18TensorIteratorBaseEN3c106ScalarES6_NS0_6detail11ClampLimitsEENKUlvE_clEvENKUlvE2_clEvEUllE_St5arrayIPcLm2EEEEviT0_T1_.uses_vcc, 1
	.set _ZN2at6native29vectorized_elementwise_kernelILi8EZZZNS0_12_GLOBAL__N_119launch_clamp_scalarERNS_18TensorIteratorBaseEN3c106ScalarES6_NS0_6detail11ClampLimitsEENKUlvE_clEvENKUlvE2_clEvEUllE_St5arrayIPcLm2EEEEviT0_T1_.uses_flat_scratch, 0
	.set _ZN2at6native29vectorized_elementwise_kernelILi8EZZZNS0_12_GLOBAL__N_119launch_clamp_scalarERNS_18TensorIteratorBaseEN3c106ScalarES6_NS0_6detail11ClampLimitsEENKUlvE_clEvENKUlvE2_clEvEUllE_St5arrayIPcLm2EEEEviT0_T1_.has_dyn_sized_stack, 0
	.set _ZN2at6native29vectorized_elementwise_kernelILi8EZZZNS0_12_GLOBAL__N_119launch_clamp_scalarERNS_18TensorIteratorBaseEN3c106ScalarES6_NS0_6detail11ClampLimitsEENKUlvE_clEvENKUlvE2_clEvEUllE_St5arrayIPcLm2EEEEviT0_T1_.has_recursion, 0
	.set _ZN2at6native29vectorized_elementwise_kernelILi8EZZZNS0_12_GLOBAL__N_119launch_clamp_scalarERNS_18TensorIteratorBaseEN3c106ScalarES6_NS0_6detail11ClampLimitsEENKUlvE_clEvENKUlvE2_clEvEUllE_St5arrayIPcLm2EEEEviT0_T1_.has_indirect_call, 0
	.section	.AMDGPU.csdata,"",@progbits
; Kernel info:
; codeLenInByte = 1892
; TotalNumSgprs: 20
; NumVgprs: 19
; ScratchSize: 0
; MemoryBound: 1
; FloatMode: 240
; IeeeMode: 1
; LDSByteSize: 0 bytes/workgroup (compile time only)
; SGPRBlocks: 0
; VGPRBlocks: 1
; NumSGPRsForWavesPerEU: 20
; NumVGPRsForWavesPerEU: 19
; NamedBarCnt: 0
; Occupancy: 16
; WaveLimiterHint : 0
; COMPUTE_PGM_RSRC2:SCRATCH_EN: 0
; COMPUTE_PGM_RSRC2:USER_SGPR: 2
; COMPUTE_PGM_RSRC2:TRAP_HANDLER: 0
; COMPUTE_PGM_RSRC2:TGID_X_EN: 1
; COMPUTE_PGM_RSRC2:TGID_Y_EN: 0
; COMPUTE_PGM_RSRC2:TGID_Z_EN: 0
; COMPUTE_PGM_RSRC2:TIDIG_COMP_CNT: 0
	.section	.text._ZN2at6native29vectorized_elementwise_kernelILi4EZZZNS0_12_GLOBAL__N_119launch_clamp_scalarERNS_18TensorIteratorBaseEN3c106ScalarES6_NS0_6detail11ClampLimitsEENKUlvE_clEvENKUlvE2_clEvEUllE_St5arrayIPcLm2EEEEviT0_T1_,"axG",@progbits,_ZN2at6native29vectorized_elementwise_kernelILi4EZZZNS0_12_GLOBAL__N_119launch_clamp_scalarERNS_18TensorIteratorBaseEN3c106ScalarES6_NS0_6detail11ClampLimitsEENKUlvE_clEvENKUlvE2_clEvEUllE_St5arrayIPcLm2EEEEviT0_T1_,comdat
	.globl	_ZN2at6native29vectorized_elementwise_kernelILi4EZZZNS0_12_GLOBAL__N_119launch_clamp_scalarERNS_18TensorIteratorBaseEN3c106ScalarES6_NS0_6detail11ClampLimitsEENKUlvE_clEvENKUlvE2_clEvEUllE_St5arrayIPcLm2EEEEviT0_T1_ ; -- Begin function _ZN2at6native29vectorized_elementwise_kernelILi4EZZZNS0_12_GLOBAL__N_119launch_clamp_scalarERNS_18TensorIteratorBaseEN3c106ScalarES6_NS0_6detail11ClampLimitsEENKUlvE_clEvENKUlvE2_clEvEUllE_St5arrayIPcLm2EEEEviT0_T1_
	.p2align	8
	.type	_ZN2at6native29vectorized_elementwise_kernelILi4EZZZNS0_12_GLOBAL__N_119launch_clamp_scalarERNS_18TensorIteratorBaseEN3c106ScalarES6_NS0_6detail11ClampLimitsEENKUlvE_clEvENKUlvE2_clEvEUllE_St5arrayIPcLm2EEEEviT0_T1_,@function
_ZN2at6native29vectorized_elementwise_kernelILi4EZZZNS0_12_GLOBAL__N_119launch_clamp_scalarERNS_18TensorIteratorBaseEN3c106ScalarES6_NS0_6detail11ClampLimitsEENKUlvE_clEvENKUlvE2_clEvEUllE_St5arrayIPcLm2EEEEviT0_T1_: ; @_ZN2at6native29vectorized_elementwise_kernelILi4EZZZNS0_12_GLOBAL__N_119launch_clamp_scalarERNS_18TensorIteratorBaseEN3c106ScalarES6_NS0_6detail11ClampLimitsEENKUlvE_clEvENKUlvE2_clEvEUllE_St5arrayIPcLm2EEEEviT0_T1_
; %bb.0:
	s_clause 0x2
	s_load_b32 s3, s[0:1], 0x0
	s_load_b32 s13, s[0:1], 0x8
	s_load_b256 s[4:11], s[0:1], 0x10
	s_wait_xcnt 0x0
	s_bfe_u32 s0, ttmp6, 0x4000c
	s_and_b32 s1, ttmp6, 15
	s_add_co_i32 s0, s0, 1
	s_getreg_b32 s2, hwreg(HW_REG_IB_STS2, 6, 4)
	s_mul_i32 s0, ttmp9, s0
	s_mov_b32 s14, 0
	s_add_co_i32 s1, s1, s0
	s_cmp_eq_u32 s2, 0
	s_cselect_b32 s0, ttmp9, s1
	s_delay_alu instid0(SALU_CYCLE_1) | instskip(SKIP_3) | instid1(SALU_CYCLE_1)
	s_lshl_b32 s2, s0, 10
	s_mov_b32 s0, -1
	s_wait_kmcnt 0x0
	s_sub_co_i32 s12, s3, s2
	s_cmp_gt_i32 s12, 0x3ff
	s_cbranch_scc0 .LBB194_45
; %bb.1:
	s_ashr_i32 s3, s2, 31
	v_lshlrev_b32_e32 v1, 5, v0
	s_lshl_b64 s[0:1], s[2:3], 3
	s_cmp_lt_i32 s13, 1
	s_add_nc_u64 s[16:17], s[10:11], s[0:1]
	s_clause 0x1
	global_load_b128 v[6:9], v1, s[16:17] offset:16
	global_load_b128 v[10:13], v1, s[16:17]
	s_cbranch_scc1 .LBB194_4
; %bb.2:
	s_cmp_eq_u32 s13, 1
	s_cbranch_scc0 .LBB194_5
; %bb.3:
	s_wait_loadcnt 0x0
	v_min_i64 v[2:3], v[10:11], s[4:5]
	s_branch .LBB194_6
.LBB194_4:
                                        ; implicit-def: $vgpr2_vgpr3
	s_mov_b32 s3, 0
	s_cbranch_execnz .LBB194_7
	s_branch .LBB194_8
.LBB194_5:
	s_mov_b32 s14, -1
                                        ; implicit-def: $vgpr2_vgpr3
.LBB194_6:
	s_mov_b32 s3, 0
	s_branch .LBB194_8
.LBB194_7:
	s_cmp_lg_u32 s13, 0
	s_mov_b32 s3, -1
	s_cselect_b32 s14, -1, 0
.LBB194_8:
	s_wait_loadcnt 0x0
	v_max_i64 v[4:5], v[10:11], s[4:5]
	s_and_not1_b32 vcc_lo, exec_lo, s14
	s_cbranch_vccz .LBB194_13
; %bb.9:
	s_and_not1_b32 vcc_lo, exec_lo, s3
	s_cbranch_vccz .LBB194_14
.LBB194_10:
	s_cmp_lt_i32 s13, 1
	s_mov_b32 s3, 0
	s_cbranch_scc1 .LBB194_15
.LBB194_11:
	s_cmp_eq_u32 s13, 1
	s_cbranch_scc0 .LBB194_16
; %bb.12:
	v_min_i64 v[4:5], v[12:13], s[4:5]
	s_mov_b32 s14, 0
	s_branch .LBB194_17
.LBB194_13:
	v_max_i64 v[2:3], v[10:11], s[4:5]
	s_delay_alu instid0(VALU_DEP_1)
	v_min_i64 v[2:3], v[2:3], s[6:7]
	s_cbranch_execnz .LBB194_10
.LBB194_14:
	s_delay_alu instid0(VALU_DEP_1)
	v_mov_b64_e32 v[2:3], v[4:5]
	s_cmp_lt_i32 s13, 1
	s_mov_b32 s3, 0
	s_cbranch_scc0 .LBB194_11
.LBB194_15:
	s_mov_b32 s14, 0
	s_cbranch_execnz .LBB194_18
	s_branch .LBB194_19
.LBB194_16:
	s_mov_b32 s14, -1
.LBB194_17:
	s_branch .LBB194_19
.LBB194_18:
	s_cmp_lg_u32 s13, 0
	s_mov_b32 s3, -1
	s_cselect_b32 s14, -1, 0
.LBB194_19:
	v_max_i64 v[10:11], v[12:13], s[4:5]
	s_and_not1_b32 vcc_lo, exec_lo, s14
	s_cbranch_vccz .LBB194_24
; %bb.20:
	s_and_not1_b32 vcc_lo, exec_lo, s3
	s_cbranch_vccz .LBB194_25
.LBB194_21:
	s_cmp_lt_i32 s13, 1
	s_mov_b32 s3, 0
	s_cbranch_scc1 .LBB194_26
.LBB194_22:
	s_cmp_eq_u32 s13, 1
	s_cbranch_scc0 .LBB194_27
; %bb.23:
	v_min_i64 v[10:11], v[6:7], s[4:5]
	s_mov_b32 s14, 0
	s_branch .LBB194_28
.LBB194_24:
	v_max_i64 v[4:5], v[12:13], s[4:5]
	s_delay_alu instid0(VALU_DEP_1)
	v_min_i64 v[4:5], v[4:5], s[6:7]
	s_cbranch_execnz .LBB194_21
.LBB194_25:
	s_delay_alu instid0(VALU_DEP_1)
	v_mov_b64_e32 v[4:5], v[10:11]
	s_cmp_lt_i32 s13, 1
	s_mov_b32 s3, 0
	s_cbranch_scc0 .LBB194_22
.LBB194_26:
	s_mov_b32 s14, 0
                                        ; implicit-def: $vgpr10_vgpr11
	s_cbranch_execnz .LBB194_29
	s_branch .LBB194_30
.LBB194_27:
	s_mov_b32 s14, -1
                                        ; implicit-def: $vgpr10_vgpr11
.LBB194_28:
	s_branch .LBB194_30
.LBB194_29:
	s_cmp_lg_u32 s13, 0
	s_mov_b32 s3, -1
	s_cselect_b32 s14, -1, 0
.LBB194_30:
	v_max_i64 v[12:13], v[6:7], s[4:5]
	s_and_not1_b32 vcc_lo, exec_lo, s14
	s_cbranch_vccz .LBB194_35
; %bb.31:
	s_and_not1_b32 vcc_lo, exec_lo, s3
	s_cbranch_vccz .LBB194_36
.LBB194_32:
	s_cmp_lt_i32 s13, 1
	s_mov_b32 s3, 0
	s_cbranch_scc1 .LBB194_37
.LBB194_33:
	s_cmp_eq_u32 s13, 1
	s_cbranch_scc0 .LBB194_38
; %bb.34:
	v_min_i64 v[12:13], v[8:9], s[4:5]
	s_mov_b32 s14, 0
	s_branch .LBB194_39
.LBB194_35:
	v_max_i64 v[6:7], v[6:7], s[4:5]
	s_delay_alu instid0(VALU_DEP_1)
	v_min_i64 v[10:11], v[6:7], s[6:7]
	s_cbranch_execnz .LBB194_32
.LBB194_36:
	s_delay_alu instid0(VALU_DEP_1)
	v_mov_b64_e32 v[10:11], v[12:13]
	s_cmp_lt_i32 s13, 1
	s_mov_b32 s3, 0
	s_cbranch_scc0 .LBB194_33
.LBB194_37:
	s_mov_b32 s14, 0
	s_cbranch_execnz .LBB194_40
	s_branch .LBB194_41
.LBB194_38:
	s_mov_b32 s14, -1
.LBB194_39:
	s_branch .LBB194_41
.LBB194_40:
	s_cmp_lg_u32 s13, 0
	s_mov_b32 s3, -1
	s_cselect_b32 s14, -1, 0
.LBB194_41:
	v_max_i64 v[6:7], v[8:9], s[4:5]
	s_and_not1_b32 vcc_lo, exec_lo, s14
	s_cbranch_vccz .LBB194_58
; %bb.42:
	s_and_not1_b32 vcc_lo, exec_lo, s3
	s_cbranch_vccnz .LBB194_44
.LBB194_43:
	s_delay_alu instid0(VALU_DEP_1)
	v_mov_b64_e32 v[12:13], v[6:7]
.LBB194_44:
	s_add_nc_u64 s[14:15], s[8:9], s[0:1]
	s_mov_b32 s0, 0
	s_clause 0x1
	global_store_b128 v1, v[2:5], s[14:15]
	global_store_b128 v1, v[10:13], s[14:15] offset:16
.LBB194_45:
	s_and_b32 vcc_lo, exec_lo, s0
	s_cbranch_vccz .LBB194_109
; %bb.46:
	v_mov_b64_e32 v[14:15], 0
	v_mov_b64_e32 v[16:17], 0
	v_cmp_gt_i32_e64 s0, s12, v0
	s_wait_xcnt 0x0
	v_dual_mov_b32 v4, v0 :: v_dual_bitop2_b32 v1, s2, v0 bitop3:0x54
	v_or_b32_e32 v18, 0x100, v0
	s_and_saveexec_b32 s1, s0
	s_cbranch_execz .LBB194_48
; %bb.47:
	global_load_b64 v[16:17], v1, s[10:11] scale_offset
	v_or_b32_e32 v4, 0x100, v0
.LBB194_48:
	s_wait_xcnt 0x0
	s_or_b32 exec_lo, exec_lo, s1
	s_delay_alu instid0(SALU_CYCLE_1) | instskip(NEXT) | instid1(VALU_DEP_1)
	s_mov_b32 s1, exec_lo
	v_cmpx_gt_i32_e64 s12, v4
	s_cbranch_execz .LBB194_50
; %bb.49:
	v_add_nc_u32_e32 v2, s2, v4
	v_add_nc_u32_e32 v4, 0x100, v4
	global_load_b64 v[14:15], v2, s[10:11] scale_offset
.LBB194_50:
	s_wait_xcnt 0x0
	s_or_b32 exec_lo, exec_lo, s1
	v_mov_b64_e32 v[2:3], 0
	v_mov_b64_e32 v[12:13], 0
	s_mov_b32 s1, exec_lo
	v_cmpx_gt_i32_e64 s12, v4
	s_cbranch_execz .LBB194_52
; %bb.51:
	v_add_nc_u32_e32 v5, s2, v4
	v_add_nc_u32_e32 v4, 0x100, v4
	global_load_b64 v[12:13], v5, s[10:11] scale_offset
.LBB194_52:
	s_wait_xcnt 0x0
	s_or_b32 exec_lo, exec_lo, s1
	s_delay_alu instid0(SALU_CYCLE_1)
	s_mov_b32 s1, exec_lo
	v_cmpx_gt_i32_e64 s12, v4
	s_cbranch_execz .LBB194_54
; %bb.53:
	v_add_nc_u32_e32 v2, s2, v4
	global_load_b64 v[2:3], v2, s[10:11] scale_offset
.LBB194_54:
	s_wait_xcnt 0x0
	s_or_b32 exec_lo, exec_lo, s1
	v_mov_b32_e32 v4, 0
	s_delay_alu instid0(VALU_DEP_1)
	v_dual_mov_b32 v5, v4 :: v_dual_mov_b32 v10, v4
	v_dual_mov_b32 v11, v4 :: v_dual_mov_b32 v8, v4
	;; [unrolled: 1-line block ×3, first 2 shown]
	v_mov_b32_e32 v7, v4
	s_and_saveexec_b32 s1, s0
	s_cbranch_execz .LBB194_67
; %bb.55:
	s_cmp_lt_i32 s13, 1
	s_mov_b32 s3, 0
	s_cbranch_scc1 .LBB194_59
; %bb.56:
	s_cmp_eq_u32 s13, 1
	s_cbranch_scc0 .LBB194_60
; %bb.57:
	s_wait_loadcnt 0x0
	v_min_i64 v[4:5], v[16:17], s[4:5]
	s_mov_b32 s10, 0
	s_branch .LBB194_61
.LBB194_58:
	v_max_i64 v[8:9], v[8:9], s[4:5]
	s_delay_alu instid0(VALU_DEP_1)
	v_min_i64 v[12:13], v[8:9], s[6:7]
	s_cbranch_execz .LBB194_43
	s_branch .LBB194_44
.LBB194_59:
	s_mov_b32 s10, 0
                                        ; implicit-def: $vgpr4_vgpr5
	s_cbranch_execnz .LBB194_62
	s_branch .LBB194_63
.LBB194_60:
	s_mov_b32 s10, -1
                                        ; implicit-def: $vgpr4_vgpr5
.LBB194_61:
	s_branch .LBB194_63
.LBB194_62:
	s_cmp_lg_u32 s13, 0
	s_mov_b32 s3, -1
	s_cselect_b32 s10, -1, 0
.LBB194_63:
	s_wait_loadcnt 0x0
	v_max_i64 v[6:7], v[16:17], s[4:5]
	s_and_not1_b32 vcc_lo, exec_lo, s10
	s_cbranch_vccz .LBB194_71
; %bb.64:
	s_and_not1_b32 vcc_lo, exec_lo, s3
	s_cbranch_vccnz .LBB194_66
.LBB194_65:
	s_delay_alu instid0(VALU_DEP_1)
	v_mov_b64_e32 v[4:5], v[6:7]
.LBB194_66:
	v_mov_b32_e32 v10, 0
	s_delay_alu instid0(VALU_DEP_1)
	v_dual_mov_b32 v11, v10 :: v_dual_mov_b32 v8, v10
	v_dual_mov_b32 v9, v10 :: v_dual_mov_b32 v6, v10
	v_mov_b32_e32 v7, v10
.LBB194_67:
	s_or_b32 exec_lo, exec_lo, s1
	s_delay_alu instid0(SALU_CYCLE_1)
	s_mov_b32 s1, exec_lo
	v_cmpx_gt_i32_e64 s12, v18
	s_cbranch_execz .LBB194_79
; %bb.68:
	s_cmp_lt_i32 s13, 1
	s_mov_b32 s3, 0
	s_cbranch_scc1 .LBB194_72
; %bb.69:
	s_cmp_eq_u32 s13, 1
	s_cbranch_scc0 .LBB194_73
; %bb.70:
	s_wait_loadcnt 0x0
	v_min_i64 v[10:11], v[14:15], s[4:5]
	s_mov_b32 s10, 0
	s_branch .LBB194_74
.LBB194_71:
	v_max_i64 v[4:5], v[16:17], s[4:5]
	s_delay_alu instid0(VALU_DEP_1)
	v_min_i64 v[4:5], v[4:5], s[6:7]
	s_cbranch_execz .LBB194_65
	s_branch .LBB194_66
.LBB194_72:
	s_mov_b32 s10, 0
                                        ; implicit-def: $vgpr10_vgpr11
	s_cbranch_execnz .LBB194_75
	s_branch .LBB194_76
.LBB194_73:
	s_mov_b32 s10, -1
                                        ; implicit-def: $vgpr10_vgpr11
.LBB194_74:
	s_branch .LBB194_76
.LBB194_75:
	s_cmp_lg_u32 s13, 0
	s_mov_b32 s3, -1
	s_cselect_b32 s10, -1, 0
.LBB194_76:
	s_wait_loadcnt 0x0
	v_max_i64 v[16:17], v[14:15], s[4:5]
	s_and_not1_b32 vcc_lo, exec_lo, s10
	s_cbranch_vccz .LBB194_83
; %bb.77:
	s_and_not1_b32 vcc_lo, exec_lo, s3
	s_cbranch_vccnz .LBB194_79
.LBB194_78:
	s_delay_alu instid0(VALU_DEP_1)
	v_mov_b64_e32 v[10:11], v[16:17]
.LBB194_79:
	s_or_b32 exec_lo, exec_lo, s1
	s_wait_loadcnt 0x0
	v_or_b32_e32 v14, 0x200, v0
	s_mov_b32 s1, exec_lo
	s_delay_alu instid0(VALU_DEP_1)
	v_cmpx_gt_i32_e64 s12, v14
	s_cbranch_execz .LBB194_91
; %bb.80:
	s_cmp_lt_i32 s13, 1
	s_mov_b32 s3, 0
	s_cbranch_scc1 .LBB194_84
; %bb.81:
	s_cmp_eq_u32 s13, 1
	s_cbranch_scc0 .LBB194_85
; %bb.82:
	v_min_i64 v[8:9], v[12:13], s[4:5]
	s_mov_b32 s10, 0
	s_branch .LBB194_86
.LBB194_83:
	v_max_i64 v[10:11], v[14:15], s[4:5]
	s_delay_alu instid0(VALU_DEP_1)
	v_min_i64 v[10:11], v[10:11], s[6:7]
	s_cbranch_execz .LBB194_78
	s_branch .LBB194_79
.LBB194_84:
	s_mov_b32 s10, 0
                                        ; implicit-def: $vgpr8_vgpr9
	s_cbranch_execnz .LBB194_87
	s_branch .LBB194_88
.LBB194_85:
	s_mov_b32 s10, -1
                                        ; implicit-def: $vgpr8_vgpr9
.LBB194_86:
	s_branch .LBB194_88
.LBB194_87:
	s_cmp_lg_u32 s13, 0
	s_mov_b32 s3, -1
	s_cselect_b32 s10, -1, 0
.LBB194_88:
	v_max_i64 v[14:15], v[12:13], s[4:5]
	s_and_not1_b32 vcc_lo, exec_lo, s10
	s_cbranch_vccz .LBB194_95
; %bb.89:
	s_and_not1_b32 vcc_lo, exec_lo, s3
	s_cbranch_vccnz .LBB194_91
.LBB194_90:
	s_delay_alu instid0(VALU_DEP_1)
	v_mov_b64_e32 v[8:9], v[14:15]
.LBB194_91:
	s_or_b32 exec_lo, exec_lo, s1
	v_or_b32_e32 v12, 0x300, v0
	s_mov_b32 s1, exec_lo
	s_delay_alu instid0(VALU_DEP_1)
	v_cmpx_gt_i32_e64 s12, v12
	s_cbranch_execz .LBB194_103
; %bb.92:
	s_cmp_lt_i32 s13, 1
	s_mov_b32 s3, 0
	s_cbranch_scc1 .LBB194_96
; %bb.93:
	s_cmp_eq_u32 s13, 1
	s_cbranch_scc0 .LBB194_97
; %bb.94:
	v_min_i64 v[6:7], v[2:3], s[4:5]
	s_mov_b32 s10, 0
	s_branch .LBB194_98
.LBB194_95:
	v_max_i64 v[8:9], v[12:13], s[4:5]
	s_delay_alu instid0(VALU_DEP_1)
	v_min_i64 v[8:9], v[8:9], s[6:7]
	s_cbranch_execz .LBB194_90
	s_branch .LBB194_91
.LBB194_96:
	s_mov_b32 s10, 0
                                        ; implicit-def: $vgpr6_vgpr7
	s_cbranch_execnz .LBB194_99
	s_branch .LBB194_100
.LBB194_97:
	s_mov_b32 s10, -1
                                        ; implicit-def: $vgpr6_vgpr7
.LBB194_98:
	s_branch .LBB194_100
.LBB194_99:
	s_cmp_lg_u32 s13, 0
	s_mov_b32 s3, -1
	s_cselect_b32 s10, -1, 0
.LBB194_100:
	v_max_i64 v[12:13], v[2:3], s[4:5]
	s_and_not1_b32 vcc_lo, exec_lo, s10
	s_cbranch_vccz .LBB194_112
; %bb.101:
	s_and_not1_b32 vcc_lo, exec_lo, s3
	s_cbranch_vccnz .LBB194_103
.LBB194_102:
	s_delay_alu instid0(VALU_DEP_1)
	v_mov_b64_e32 v[6:7], v[12:13]
.LBB194_103:
	s_or_b32 exec_lo, exec_lo, s1
	s_and_saveexec_b32 s1, s0
	s_delay_alu instid0(SALU_CYCLE_1)
	s_xor_b32 s0, exec_lo, s1
	s_cbranch_execz .LBB194_105
; %bb.104:
	v_mov_b32_e32 v0, v18
	global_store_b64 v1, v[4:5], s[8:9] scale_offset
.LBB194_105:
	s_wait_xcnt 0x0
	s_or_b32 exec_lo, exec_lo, s0
	s_delay_alu instid0(SALU_CYCLE_1)
	s_mov_b32 s0, exec_lo
	v_cmpx_gt_i32_e64 s12, v0
	s_cbranch_execnz .LBB194_110
; %bb.106:
	s_or_b32 exec_lo, exec_lo, s0
	s_delay_alu instid0(SALU_CYCLE_1)
	s_mov_b32 s0, exec_lo
	v_cmpx_gt_i32_e64 s12, v0
	s_cbranch_execnz .LBB194_111
.LBB194_107:
	s_or_b32 exec_lo, exec_lo, s0
	s_delay_alu instid0(SALU_CYCLE_1)
	s_mov_b32 s0, exec_lo
	v_cmpx_gt_i32_e64 s12, v0
	s_cbranch_execz .LBB194_109
.LBB194_108:
	v_add_nc_u32_e32 v0, s2, v0
	global_store_b64 v0, v[6:7], s[8:9] scale_offset
.LBB194_109:
	s_endpgm
.LBB194_110:
	v_add_nc_u32_e32 v1, s2, v0
	v_add_nc_u32_e32 v0, 0x100, v0
	global_store_b64 v1, v[10:11], s[8:9] scale_offset
	s_wait_xcnt 0x0
	s_or_b32 exec_lo, exec_lo, s0
	s_delay_alu instid0(SALU_CYCLE_1)
	s_mov_b32 s0, exec_lo
	v_cmpx_gt_i32_e64 s12, v0
	s_cbranch_execz .LBB194_107
.LBB194_111:
	v_add_nc_u32_e32 v1, s2, v0
	v_add_nc_u32_e32 v0, 0x100, v0
	global_store_b64 v1, v[8:9], s[8:9] scale_offset
	s_wait_xcnt 0x0
	s_or_b32 exec_lo, exec_lo, s0
	s_delay_alu instid0(SALU_CYCLE_1)
	s_mov_b32 s0, exec_lo
	v_cmpx_gt_i32_e64 s12, v0
	s_cbranch_execnz .LBB194_108
	s_branch .LBB194_109
.LBB194_112:
	v_max_i64 v[2:3], v[2:3], s[4:5]
	s_delay_alu instid0(VALU_DEP_1)
	v_min_i64 v[6:7], v[2:3], s[6:7]
	s_cbranch_execz .LBB194_102
	s_branch .LBB194_103
	.section	.rodata,"a",@progbits
	.p2align	6, 0x0
	.amdhsa_kernel _ZN2at6native29vectorized_elementwise_kernelILi4EZZZNS0_12_GLOBAL__N_119launch_clamp_scalarERNS_18TensorIteratorBaseEN3c106ScalarES6_NS0_6detail11ClampLimitsEENKUlvE_clEvENKUlvE2_clEvEUllE_St5arrayIPcLm2EEEEviT0_T1_
		.amdhsa_group_segment_fixed_size 0
		.amdhsa_private_segment_fixed_size 0
		.amdhsa_kernarg_size 48
		.amdhsa_user_sgpr_count 2
		.amdhsa_user_sgpr_dispatch_ptr 0
		.amdhsa_user_sgpr_queue_ptr 0
		.amdhsa_user_sgpr_kernarg_segment_ptr 1
		.amdhsa_user_sgpr_dispatch_id 0
		.amdhsa_user_sgpr_kernarg_preload_length 0
		.amdhsa_user_sgpr_kernarg_preload_offset 0
		.amdhsa_user_sgpr_private_segment_size 0
		.amdhsa_wavefront_size32 1
		.amdhsa_uses_dynamic_stack 0
		.amdhsa_enable_private_segment 0
		.amdhsa_system_sgpr_workgroup_id_x 1
		.amdhsa_system_sgpr_workgroup_id_y 0
		.amdhsa_system_sgpr_workgroup_id_z 0
		.amdhsa_system_sgpr_workgroup_info 0
		.amdhsa_system_vgpr_workitem_id 0
		.amdhsa_next_free_vgpr 19
		.amdhsa_next_free_sgpr 18
		.amdhsa_named_barrier_count 0
		.amdhsa_reserve_vcc 1
		.amdhsa_float_round_mode_32 0
		.amdhsa_float_round_mode_16_64 0
		.amdhsa_float_denorm_mode_32 3
		.amdhsa_float_denorm_mode_16_64 3
		.amdhsa_fp16_overflow 0
		.amdhsa_memory_ordered 1
		.amdhsa_forward_progress 1
		.amdhsa_inst_pref_size 15
		.amdhsa_round_robin_scheduling 0
		.amdhsa_exception_fp_ieee_invalid_op 0
		.amdhsa_exception_fp_denorm_src 0
		.amdhsa_exception_fp_ieee_div_zero 0
		.amdhsa_exception_fp_ieee_overflow 0
		.amdhsa_exception_fp_ieee_underflow 0
		.amdhsa_exception_fp_ieee_inexact 0
		.amdhsa_exception_int_div_zero 0
	.end_amdhsa_kernel
	.section	.text._ZN2at6native29vectorized_elementwise_kernelILi4EZZZNS0_12_GLOBAL__N_119launch_clamp_scalarERNS_18TensorIteratorBaseEN3c106ScalarES6_NS0_6detail11ClampLimitsEENKUlvE_clEvENKUlvE2_clEvEUllE_St5arrayIPcLm2EEEEviT0_T1_,"axG",@progbits,_ZN2at6native29vectorized_elementwise_kernelILi4EZZZNS0_12_GLOBAL__N_119launch_clamp_scalarERNS_18TensorIteratorBaseEN3c106ScalarES6_NS0_6detail11ClampLimitsEENKUlvE_clEvENKUlvE2_clEvEUllE_St5arrayIPcLm2EEEEviT0_T1_,comdat
.Lfunc_end194:
	.size	_ZN2at6native29vectorized_elementwise_kernelILi4EZZZNS0_12_GLOBAL__N_119launch_clamp_scalarERNS_18TensorIteratorBaseEN3c106ScalarES6_NS0_6detail11ClampLimitsEENKUlvE_clEvENKUlvE2_clEvEUllE_St5arrayIPcLm2EEEEviT0_T1_, .Lfunc_end194-_ZN2at6native29vectorized_elementwise_kernelILi4EZZZNS0_12_GLOBAL__N_119launch_clamp_scalarERNS_18TensorIteratorBaseEN3c106ScalarES6_NS0_6detail11ClampLimitsEENKUlvE_clEvENKUlvE2_clEvEUllE_St5arrayIPcLm2EEEEviT0_T1_
                                        ; -- End function
	.set _ZN2at6native29vectorized_elementwise_kernelILi4EZZZNS0_12_GLOBAL__N_119launch_clamp_scalarERNS_18TensorIteratorBaseEN3c106ScalarES6_NS0_6detail11ClampLimitsEENKUlvE_clEvENKUlvE2_clEvEUllE_St5arrayIPcLm2EEEEviT0_T1_.num_vgpr, 19
	.set _ZN2at6native29vectorized_elementwise_kernelILi4EZZZNS0_12_GLOBAL__N_119launch_clamp_scalarERNS_18TensorIteratorBaseEN3c106ScalarES6_NS0_6detail11ClampLimitsEENKUlvE_clEvENKUlvE2_clEvEUllE_St5arrayIPcLm2EEEEviT0_T1_.num_agpr, 0
	.set _ZN2at6native29vectorized_elementwise_kernelILi4EZZZNS0_12_GLOBAL__N_119launch_clamp_scalarERNS_18TensorIteratorBaseEN3c106ScalarES6_NS0_6detail11ClampLimitsEENKUlvE_clEvENKUlvE2_clEvEUllE_St5arrayIPcLm2EEEEviT0_T1_.numbered_sgpr, 18
	.set _ZN2at6native29vectorized_elementwise_kernelILi4EZZZNS0_12_GLOBAL__N_119launch_clamp_scalarERNS_18TensorIteratorBaseEN3c106ScalarES6_NS0_6detail11ClampLimitsEENKUlvE_clEvENKUlvE2_clEvEUllE_St5arrayIPcLm2EEEEviT0_T1_.num_named_barrier, 0
	.set _ZN2at6native29vectorized_elementwise_kernelILi4EZZZNS0_12_GLOBAL__N_119launch_clamp_scalarERNS_18TensorIteratorBaseEN3c106ScalarES6_NS0_6detail11ClampLimitsEENKUlvE_clEvENKUlvE2_clEvEUllE_St5arrayIPcLm2EEEEviT0_T1_.private_seg_size, 0
	.set _ZN2at6native29vectorized_elementwise_kernelILi4EZZZNS0_12_GLOBAL__N_119launch_clamp_scalarERNS_18TensorIteratorBaseEN3c106ScalarES6_NS0_6detail11ClampLimitsEENKUlvE_clEvENKUlvE2_clEvEUllE_St5arrayIPcLm2EEEEviT0_T1_.uses_vcc, 1
	.set _ZN2at6native29vectorized_elementwise_kernelILi4EZZZNS0_12_GLOBAL__N_119launch_clamp_scalarERNS_18TensorIteratorBaseEN3c106ScalarES6_NS0_6detail11ClampLimitsEENKUlvE_clEvENKUlvE2_clEvEUllE_St5arrayIPcLm2EEEEviT0_T1_.uses_flat_scratch, 0
	.set _ZN2at6native29vectorized_elementwise_kernelILi4EZZZNS0_12_GLOBAL__N_119launch_clamp_scalarERNS_18TensorIteratorBaseEN3c106ScalarES6_NS0_6detail11ClampLimitsEENKUlvE_clEvENKUlvE2_clEvEUllE_St5arrayIPcLm2EEEEviT0_T1_.has_dyn_sized_stack, 0
	.set _ZN2at6native29vectorized_elementwise_kernelILi4EZZZNS0_12_GLOBAL__N_119launch_clamp_scalarERNS_18TensorIteratorBaseEN3c106ScalarES6_NS0_6detail11ClampLimitsEENKUlvE_clEvENKUlvE2_clEvEUllE_St5arrayIPcLm2EEEEviT0_T1_.has_recursion, 0
	.set _ZN2at6native29vectorized_elementwise_kernelILi4EZZZNS0_12_GLOBAL__N_119launch_clamp_scalarERNS_18TensorIteratorBaseEN3c106ScalarES6_NS0_6detail11ClampLimitsEENKUlvE_clEvENKUlvE2_clEvEUllE_St5arrayIPcLm2EEEEviT0_T1_.has_indirect_call, 0
	.section	.AMDGPU.csdata,"",@progbits
; Kernel info:
; codeLenInByte = 1892
; TotalNumSgprs: 20
; NumVgprs: 19
; ScratchSize: 0
; MemoryBound: 1
; FloatMode: 240
; IeeeMode: 1
; LDSByteSize: 0 bytes/workgroup (compile time only)
; SGPRBlocks: 0
; VGPRBlocks: 1
; NumSGPRsForWavesPerEU: 20
; NumVGPRsForWavesPerEU: 19
; NamedBarCnt: 0
; Occupancy: 16
; WaveLimiterHint : 0
; COMPUTE_PGM_RSRC2:SCRATCH_EN: 0
; COMPUTE_PGM_RSRC2:USER_SGPR: 2
; COMPUTE_PGM_RSRC2:TRAP_HANDLER: 0
; COMPUTE_PGM_RSRC2:TGID_X_EN: 1
; COMPUTE_PGM_RSRC2:TGID_Y_EN: 0
; COMPUTE_PGM_RSRC2:TGID_Z_EN: 0
; COMPUTE_PGM_RSRC2:TIDIG_COMP_CNT: 0
	.section	.text._ZN2at6native29vectorized_elementwise_kernelILi2EZZZNS0_12_GLOBAL__N_119launch_clamp_scalarERNS_18TensorIteratorBaseEN3c106ScalarES6_NS0_6detail11ClampLimitsEENKUlvE_clEvENKUlvE2_clEvEUllE_St5arrayIPcLm2EEEEviT0_T1_,"axG",@progbits,_ZN2at6native29vectorized_elementwise_kernelILi2EZZZNS0_12_GLOBAL__N_119launch_clamp_scalarERNS_18TensorIteratorBaseEN3c106ScalarES6_NS0_6detail11ClampLimitsEENKUlvE_clEvENKUlvE2_clEvEUllE_St5arrayIPcLm2EEEEviT0_T1_,comdat
	.globl	_ZN2at6native29vectorized_elementwise_kernelILi2EZZZNS0_12_GLOBAL__N_119launch_clamp_scalarERNS_18TensorIteratorBaseEN3c106ScalarES6_NS0_6detail11ClampLimitsEENKUlvE_clEvENKUlvE2_clEvEUllE_St5arrayIPcLm2EEEEviT0_T1_ ; -- Begin function _ZN2at6native29vectorized_elementwise_kernelILi2EZZZNS0_12_GLOBAL__N_119launch_clamp_scalarERNS_18TensorIteratorBaseEN3c106ScalarES6_NS0_6detail11ClampLimitsEENKUlvE_clEvENKUlvE2_clEvEUllE_St5arrayIPcLm2EEEEviT0_T1_
	.p2align	8
	.type	_ZN2at6native29vectorized_elementwise_kernelILi2EZZZNS0_12_GLOBAL__N_119launch_clamp_scalarERNS_18TensorIteratorBaseEN3c106ScalarES6_NS0_6detail11ClampLimitsEENKUlvE_clEvENKUlvE2_clEvEUllE_St5arrayIPcLm2EEEEviT0_T1_,@function
_ZN2at6native29vectorized_elementwise_kernelILi2EZZZNS0_12_GLOBAL__N_119launch_clamp_scalarERNS_18TensorIteratorBaseEN3c106ScalarES6_NS0_6detail11ClampLimitsEENKUlvE_clEvENKUlvE2_clEvEUllE_St5arrayIPcLm2EEEEviT0_T1_: ; @_ZN2at6native29vectorized_elementwise_kernelILi2EZZZNS0_12_GLOBAL__N_119launch_clamp_scalarERNS_18TensorIteratorBaseEN3c106ScalarES6_NS0_6detail11ClampLimitsEENKUlvE_clEvENKUlvE2_clEvEUllE_St5arrayIPcLm2EEEEviT0_T1_
; %bb.0:
	s_clause 0x2
	s_load_b32 s3, s[0:1], 0x0
	s_load_b32 s13, s[0:1], 0x8
	s_load_b256 s[4:11], s[0:1], 0x10
	s_wait_xcnt 0x0
	s_bfe_u32 s0, ttmp6, 0x4000c
	s_and_b32 s1, ttmp6, 15
	s_add_co_i32 s0, s0, 1
	s_getreg_b32 s2, hwreg(HW_REG_IB_STS2, 6, 4)
	s_mul_i32 s0, ttmp9, s0
	s_mov_b32 s14, 0
	s_add_co_i32 s1, s1, s0
	s_cmp_eq_u32 s2, 0
	s_cselect_b32 s0, ttmp9, s1
	s_delay_alu instid0(SALU_CYCLE_1) | instskip(SKIP_3) | instid1(SALU_CYCLE_1)
	s_lshl_b32 s2, s0, 10
	s_mov_b32 s0, -1
	s_wait_kmcnt 0x0
	s_sub_co_i32 s12, s3, s2
	s_cmp_gt_i32 s12, 0x3ff
	s_cbranch_scc0 .LBB195_45
; %bb.1:
	s_ashr_i32 s3, s2, 31
	s_delay_alu instid0(SALU_CYCLE_1)
	s_lshl_b64 s[0:1], s[2:3], 3
	s_cmp_lt_i32 s13, 1
	s_add_nc_u64 s[16:17], s[10:11], s[0:1]
	s_clause 0x1
	global_load_b128 v[10:13], v0, s[16:17] scale_offset
	global_load_b128 v[6:9], v0, s[16:17] offset:4096 scale_offset
	s_cbranch_scc1 .LBB195_4
; %bb.2:
	s_cmp_eq_u32 s13, 1
	s_cbranch_scc0 .LBB195_5
; %bb.3:
	s_wait_loadcnt 0x1
	v_min_i64 v[2:3], v[10:11], s[4:5]
	s_branch .LBB195_6
.LBB195_4:
                                        ; implicit-def: $vgpr2_vgpr3
	s_mov_b32 s3, 0
	s_cbranch_execnz .LBB195_7
	s_branch .LBB195_8
.LBB195_5:
	s_mov_b32 s14, -1
                                        ; implicit-def: $vgpr2_vgpr3
.LBB195_6:
	s_mov_b32 s3, 0
	s_branch .LBB195_8
.LBB195_7:
	s_cmp_lg_u32 s13, 0
	s_mov_b32 s3, -1
	s_cselect_b32 s14, -1, 0
.LBB195_8:
	s_wait_loadcnt 0x1
	v_max_i64 v[4:5], v[10:11], s[4:5]
	s_and_not1_b32 vcc_lo, exec_lo, s14
	s_cbranch_vccz .LBB195_13
; %bb.9:
	s_and_not1_b32 vcc_lo, exec_lo, s3
	s_cbranch_vccz .LBB195_14
.LBB195_10:
	s_cmp_lt_i32 s13, 1
	s_mov_b32 s3, 0
	s_cbranch_scc1 .LBB195_15
.LBB195_11:
	s_cmp_eq_u32 s13, 1
	s_cbranch_scc0 .LBB195_16
; %bb.12:
	v_min_i64 v[4:5], v[12:13], s[4:5]
	s_mov_b32 s14, 0
	s_branch .LBB195_17
.LBB195_13:
	v_max_i64 v[2:3], v[10:11], s[4:5]
	s_delay_alu instid0(VALU_DEP_1)
	v_min_i64 v[2:3], v[2:3], s[6:7]
	s_cbranch_execnz .LBB195_10
.LBB195_14:
	s_delay_alu instid0(VALU_DEP_1)
	v_mov_b64_e32 v[2:3], v[4:5]
	s_cmp_lt_i32 s13, 1
	s_mov_b32 s3, 0
	s_cbranch_scc0 .LBB195_11
.LBB195_15:
	s_mov_b32 s14, 0
	s_cbranch_execnz .LBB195_18
	s_branch .LBB195_19
.LBB195_16:
	s_mov_b32 s14, -1
.LBB195_17:
	s_branch .LBB195_19
.LBB195_18:
	s_cmp_lg_u32 s13, 0
	s_mov_b32 s3, -1
	s_cselect_b32 s14, -1, 0
.LBB195_19:
	v_max_i64 v[10:11], v[12:13], s[4:5]
	s_and_not1_b32 vcc_lo, exec_lo, s14
	s_cbranch_vccz .LBB195_24
; %bb.20:
	s_and_not1_b32 vcc_lo, exec_lo, s3
	s_cbranch_vccz .LBB195_25
.LBB195_21:
	s_cmp_lt_i32 s13, 1
	s_mov_b32 s3, 0
	s_cbranch_scc1 .LBB195_26
.LBB195_22:
	s_cmp_eq_u32 s13, 1
	s_cbranch_scc0 .LBB195_27
; %bb.23:
	s_wait_loadcnt 0x0
	v_min_i64 v[10:11], v[6:7], s[4:5]
	s_mov_b32 s14, 0
	s_branch .LBB195_28
.LBB195_24:
	v_max_i64 v[4:5], v[12:13], s[4:5]
	s_delay_alu instid0(VALU_DEP_1)
	v_min_i64 v[4:5], v[4:5], s[6:7]
	s_cbranch_execnz .LBB195_21
.LBB195_25:
	s_delay_alu instid0(VALU_DEP_1)
	v_mov_b64_e32 v[4:5], v[10:11]
	s_cmp_lt_i32 s13, 1
	s_mov_b32 s3, 0
	s_cbranch_scc0 .LBB195_22
.LBB195_26:
	s_mov_b32 s14, 0
                                        ; implicit-def: $vgpr10_vgpr11
	s_cbranch_execnz .LBB195_29
	s_branch .LBB195_30
.LBB195_27:
	s_mov_b32 s14, -1
                                        ; implicit-def: $vgpr10_vgpr11
.LBB195_28:
	s_branch .LBB195_30
.LBB195_29:
	s_cmp_lg_u32 s13, 0
	s_mov_b32 s3, -1
	s_cselect_b32 s14, -1, 0
.LBB195_30:
	s_wait_loadcnt 0x0
	v_max_i64 v[12:13], v[6:7], s[4:5]
	s_and_not1_b32 vcc_lo, exec_lo, s14
	s_cbranch_vccz .LBB195_35
; %bb.31:
	s_and_not1_b32 vcc_lo, exec_lo, s3
	s_cbranch_vccz .LBB195_36
.LBB195_32:
	s_cmp_lt_i32 s13, 1
	s_mov_b32 s3, 0
	s_cbranch_scc1 .LBB195_37
.LBB195_33:
	s_cmp_eq_u32 s13, 1
	s_cbranch_scc0 .LBB195_38
; %bb.34:
	v_min_i64 v[12:13], v[8:9], s[4:5]
	s_mov_b32 s14, 0
	s_branch .LBB195_39
.LBB195_35:
	v_max_i64 v[6:7], v[6:7], s[4:5]
	s_delay_alu instid0(VALU_DEP_1)
	v_min_i64 v[10:11], v[6:7], s[6:7]
	s_cbranch_execnz .LBB195_32
.LBB195_36:
	s_delay_alu instid0(VALU_DEP_1)
	v_mov_b64_e32 v[10:11], v[12:13]
	s_cmp_lt_i32 s13, 1
	s_mov_b32 s3, 0
	s_cbranch_scc0 .LBB195_33
.LBB195_37:
	s_mov_b32 s14, 0
	s_cbranch_execnz .LBB195_40
	s_branch .LBB195_41
.LBB195_38:
	s_mov_b32 s14, -1
.LBB195_39:
	s_branch .LBB195_41
.LBB195_40:
	s_cmp_lg_u32 s13, 0
	s_mov_b32 s3, -1
	s_cselect_b32 s14, -1, 0
.LBB195_41:
	v_max_i64 v[6:7], v[8:9], s[4:5]
	s_and_not1_b32 vcc_lo, exec_lo, s14
	s_cbranch_vccz .LBB195_58
; %bb.42:
	s_and_not1_b32 vcc_lo, exec_lo, s3
	s_cbranch_vccnz .LBB195_44
.LBB195_43:
	s_delay_alu instid0(VALU_DEP_1)
	v_mov_b64_e32 v[12:13], v[6:7]
.LBB195_44:
	s_add_nc_u64 s[14:15], s[8:9], s[0:1]
	s_mov_b32 s0, 0
	s_clause 0x1
	global_store_b128 v0, v[2:5], s[14:15] scale_offset
	global_store_b128 v0, v[10:13], s[14:15] offset:4096 scale_offset
.LBB195_45:
	s_and_b32 vcc_lo, exec_lo, s0
	s_cbranch_vccz .LBB195_109
; %bb.46:
	v_mov_b64_e32 v[14:15], 0
	v_mov_b64_e32 v[16:17], 0
	v_cmp_gt_i32_e64 s0, s12, v0
	s_wait_xcnt 0x1
	v_dual_mov_b32 v4, v0 :: v_dual_bitop2_b32 v1, s2, v0 bitop3:0x54
	v_or_b32_e32 v18, 0x100, v0
	s_wait_xcnt 0x0
	s_and_saveexec_b32 s1, s0
	s_cbranch_execz .LBB195_48
; %bb.47:
	global_load_b64 v[16:17], v1, s[10:11] scale_offset
	v_or_b32_e32 v4, 0x100, v0
.LBB195_48:
	s_wait_xcnt 0x0
	s_or_b32 exec_lo, exec_lo, s1
	s_delay_alu instid0(SALU_CYCLE_1) | instskip(NEXT) | instid1(VALU_DEP_1)
	s_mov_b32 s1, exec_lo
	v_cmpx_gt_i32_e64 s12, v4
	s_cbranch_execz .LBB195_50
; %bb.49:
	v_add_nc_u32_e32 v2, s2, v4
	v_add_nc_u32_e32 v4, 0x100, v4
	global_load_b64 v[14:15], v2, s[10:11] scale_offset
.LBB195_50:
	s_wait_xcnt 0x0
	s_or_b32 exec_lo, exec_lo, s1
	v_mov_b64_e32 v[2:3], 0
	v_mov_b64_e32 v[12:13], 0
	s_mov_b32 s1, exec_lo
	v_cmpx_gt_i32_e64 s12, v4
	s_cbranch_execz .LBB195_52
; %bb.51:
	v_add_nc_u32_e32 v5, s2, v4
	v_add_nc_u32_e32 v4, 0x100, v4
	global_load_b64 v[12:13], v5, s[10:11] scale_offset
.LBB195_52:
	s_wait_xcnt 0x0
	s_or_b32 exec_lo, exec_lo, s1
	s_delay_alu instid0(SALU_CYCLE_1)
	s_mov_b32 s1, exec_lo
	v_cmpx_gt_i32_e64 s12, v4
	s_cbranch_execz .LBB195_54
; %bb.53:
	v_add_nc_u32_e32 v2, s2, v4
	global_load_b64 v[2:3], v2, s[10:11] scale_offset
.LBB195_54:
	s_wait_xcnt 0x0
	s_or_b32 exec_lo, exec_lo, s1
	v_mov_b32_e32 v4, 0
	s_delay_alu instid0(VALU_DEP_1)
	v_dual_mov_b32 v5, v4 :: v_dual_mov_b32 v10, v4
	v_dual_mov_b32 v11, v4 :: v_dual_mov_b32 v8, v4
	;; [unrolled: 1-line block ×3, first 2 shown]
	v_mov_b32_e32 v7, v4
	s_and_saveexec_b32 s1, s0
	s_cbranch_execz .LBB195_67
; %bb.55:
	s_cmp_lt_i32 s13, 1
	s_mov_b32 s3, 0
	s_cbranch_scc1 .LBB195_59
; %bb.56:
	s_cmp_eq_u32 s13, 1
	s_cbranch_scc0 .LBB195_60
; %bb.57:
	s_wait_loadcnt 0x0
	v_min_i64 v[4:5], v[16:17], s[4:5]
	s_mov_b32 s10, 0
	s_branch .LBB195_61
.LBB195_58:
	v_max_i64 v[8:9], v[8:9], s[4:5]
	s_delay_alu instid0(VALU_DEP_1)
	v_min_i64 v[12:13], v[8:9], s[6:7]
	s_cbranch_execz .LBB195_43
	s_branch .LBB195_44
.LBB195_59:
	s_mov_b32 s10, 0
                                        ; implicit-def: $vgpr4_vgpr5
	s_cbranch_execnz .LBB195_62
	s_branch .LBB195_63
.LBB195_60:
	s_mov_b32 s10, -1
                                        ; implicit-def: $vgpr4_vgpr5
.LBB195_61:
	s_branch .LBB195_63
.LBB195_62:
	s_cmp_lg_u32 s13, 0
	s_mov_b32 s3, -1
	s_cselect_b32 s10, -1, 0
.LBB195_63:
	s_wait_loadcnt 0x0
	v_max_i64 v[6:7], v[16:17], s[4:5]
	s_and_not1_b32 vcc_lo, exec_lo, s10
	s_cbranch_vccz .LBB195_71
; %bb.64:
	s_and_not1_b32 vcc_lo, exec_lo, s3
	s_cbranch_vccnz .LBB195_66
.LBB195_65:
	s_delay_alu instid0(VALU_DEP_1)
	v_mov_b64_e32 v[4:5], v[6:7]
.LBB195_66:
	v_mov_b32_e32 v10, 0
	s_delay_alu instid0(VALU_DEP_1)
	v_dual_mov_b32 v11, v10 :: v_dual_mov_b32 v8, v10
	v_dual_mov_b32 v9, v10 :: v_dual_mov_b32 v6, v10
	v_mov_b32_e32 v7, v10
.LBB195_67:
	s_or_b32 exec_lo, exec_lo, s1
	s_delay_alu instid0(SALU_CYCLE_1)
	s_mov_b32 s1, exec_lo
	v_cmpx_gt_i32_e64 s12, v18
	s_cbranch_execz .LBB195_79
; %bb.68:
	s_cmp_lt_i32 s13, 1
	s_mov_b32 s3, 0
	s_cbranch_scc1 .LBB195_72
; %bb.69:
	s_cmp_eq_u32 s13, 1
	s_cbranch_scc0 .LBB195_73
; %bb.70:
	s_wait_loadcnt 0x0
	v_min_i64 v[10:11], v[14:15], s[4:5]
	s_mov_b32 s10, 0
	s_branch .LBB195_74
.LBB195_71:
	v_max_i64 v[4:5], v[16:17], s[4:5]
	s_delay_alu instid0(VALU_DEP_1)
	v_min_i64 v[4:5], v[4:5], s[6:7]
	s_cbranch_execz .LBB195_65
	s_branch .LBB195_66
.LBB195_72:
	s_mov_b32 s10, 0
                                        ; implicit-def: $vgpr10_vgpr11
	s_cbranch_execnz .LBB195_75
	s_branch .LBB195_76
.LBB195_73:
	s_mov_b32 s10, -1
                                        ; implicit-def: $vgpr10_vgpr11
.LBB195_74:
	s_branch .LBB195_76
.LBB195_75:
	s_cmp_lg_u32 s13, 0
	s_mov_b32 s3, -1
	s_cselect_b32 s10, -1, 0
.LBB195_76:
	s_wait_loadcnt 0x0
	v_max_i64 v[16:17], v[14:15], s[4:5]
	s_and_not1_b32 vcc_lo, exec_lo, s10
	s_cbranch_vccz .LBB195_83
; %bb.77:
	s_and_not1_b32 vcc_lo, exec_lo, s3
	s_cbranch_vccnz .LBB195_79
.LBB195_78:
	s_delay_alu instid0(VALU_DEP_1)
	v_mov_b64_e32 v[10:11], v[16:17]
.LBB195_79:
	s_or_b32 exec_lo, exec_lo, s1
	s_wait_loadcnt 0x0
	v_or_b32_e32 v14, 0x200, v0
	s_mov_b32 s1, exec_lo
	s_delay_alu instid0(VALU_DEP_1)
	v_cmpx_gt_i32_e64 s12, v14
	s_cbranch_execz .LBB195_91
; %bb.80:
	s_cmp_lt_i32 s13, 1
	s_mov_b32 s3, 0
	s_cbranch_scc1 .LBB195_84
; %bb.81:
	s_cmp_eq_u32 s13, 1
	s_cbranch_scc0 .LBB195_85
; %bb.82:
	v_min_i64 v[8:9], v[12:13], s[4:5]
	s_mov_b32 s10, 0
	s_branch .LBB195_86
.LBB195_83:
	v_max_i64 v[10:11], v[14:15], s[4:5]
	s_delay_alu instid0(VALU_DEP_1)
	v_min_i64 v[10:11], v[10:11], s[6:7]
	s_cbranch_execz .LBB195_78
	s_branch .LBB195_79
.LBB195_84:
	s_mov_b32 s10, 0
                                        ; implicit-def: $vgpr8_vgpr9
	s_cbranch_execnz .LBB195_87
	s_branch .LBB195_88
.LBB195_85:
	s_mov_b32 s10, -1
                                        ; implicit-def: $vgpr8_vgpr9
.LBB195_86:
	s_branch .LBB195_88
.LBB195_87:
	s_cmp_lg_u32 s13, 0
	s_mov_b32 s3, -1
	s_cselect_b32 s10, -1, 0
.LBB195_88:
	v_max_i64 v[14:15], v[12:13], s[4:5]
	s_and_not1_b32 vcc_lo, exec_lo, s10
	s_cbranch_vccz .LBB195_95
; %bb.89:
	s_and_not1_b32 vcc_lo, exec_lo, s3
	s_cbranch_vccnz .LBB195_91
.LBB195_90:
	s_delay_alu instid0(VALU_DEP_1)
	v_mov_b64_e32 v[8:9], v[14:15]
.LBB195_91:
	s_or_b32 exec_lo, exec_lo, s1
	v_or_b32_e32 v12, 0x300, v0
	s_mov_b32 s1, exec_lo
	s_delay_alu instid0(VALU_DEP_1)
	v_cmpx_gt_i32_e64 s12, v12
	s_cbranch_execz .LBB195_103
; %bb.92:
	s_cmp_lt_i32 s13, 1
	s_mov_b32 s3, 0
	s_cbranch_scc1 .LBB195_96
; %bb.93:
	s_cmp_eq_u32 s13, 1
	s_cbranch_scc0 .LBB195_97
; %bb.94:
	v_min_i64 v[6:7], v[2:3], s[4:5]
	s_mov_b32 s10, 0
	s_branch .LBB195_98
.LBB195_95:
	v_max_i64 v[8:9], v[12:13], s[4:5]
	s_delay_alu instid0(VALU_DEP_1)
	v_min_i64 v[8:9], v[8:9], s[6:7]
	s_cbranch_execz .LBB195_90
	s_branch .LBB195_91
.LBB195_96:
	s_mov_b32 s10, 0
                                        ; implicit-def: $vgpr6_vgpr7
	s_cbranch_execnz .LBB195_99
	s_branch .LBB195_100
.LBB195_97:
	s_mov_b32 s10, -1
                                        ; implicit-def: $vgpr6_vgpr7
.LBB195_98:
	s_branch .LBB195_100
.LBB195_99:
	s_cmp_lg_u32 s13, 0
	s_mov_b32 s3, -1
	s_cselect_b32 s10, -1, 0
.LBB195_100:
	v_max_i64 v[12:13], v[2:3], s[4:5]
	s_and_not1_b32 vcc_lo, exec_lo, s10
	s_cbranch_vccz .LBB195_112
; %bb.101:
	s_and_not1_b32 vcc_lo, exec_lo, s3
	s_cbranch_vccnz .LBB195_103
.LBB195_102:
	s_delay_alu instid0(VALU_DEP_1)
	v_mov_b64_e32 v[6:7], v[12:13]
.LBB195_103:
	s_or_b32 exec_lo, exec_lo, s1
	s_and_saveexec_b32 s1, s0
	s_delay_alu instid0(SALU_CYCLE_1)
	s_xor_b32 s0, exec_lo, s1
	s_cbranch_execz .LBB195_105
; %bb.104:
	v_mov_b32_e32 v0, v18
	global_store_b64 v1, v[4:5], s[8:9] scale_offset
.LBB195_105:
	s_wait_xcnt 0x0
	s_or_b32 exec_lo, exec_lo, s0
	s_delay_alu instid0(SALU_CYCLE_1)
	s_mov_b32 s0, exec_lo
	v_cmpx_gt_i32_e64 s12, v0
	s_cbranch_execnz .LBB195_110
; %bb.106:
	s_or_b32 exec_lo, exec_lo, s0
	s_delay_alu instid0(SALU_CYCLE_1)
	s_mov_b32 s0, exec_lo
	v_cmpx_gt_i32_e64 s12, v0
	s_cbranch_execnz .LBB195_111
.LBB195_107:
	s_or_b32 exec_lo, exec_lo, s0
	s_delay_alu instid0(SALU_CYCLE_1)
	s_mov_b32 s0, exec_lo
	v_cmpx_gt_i32_e64 s12, v0
	s_cbranch_execz .LBB195_109
.LBB195_108:
	v_add_nc_u32_e32 v0, s2, v0
	global_store_b64 v0, v[6:7], s[8:9] scale_offset
.LBB195_109:
	s_endpgm
.LBB195_110:
	v_add_nc_u32_e32 v1, s2, v0
	v_add_nc_u32_e32 v0, 0x100, v0
	global_store_b64 v1, v[10:11], s[8:9] scale_offset
	s_wait_xcnt 0x0
	s_or_b32 exec_lo, exec_lo, s0
	s_delay_alu instid0(SALU_CYCLE_1)
	s_mov_b32 s0, exec_lo
	v_cmpx_gt_i32_e64 s12, v0
	s_cbranch_execz .LBB195_107
.LBB195_111:
	v_add_nc_u32_e32 v1, s2, v0
	v_add_nc_u32_e32 v0, 0x100, v0
	global_store_b64 v1, v[8:9], s[8:9] scale_offset
	s_wait_xcnt 0x0
	s_or_b32 exec_lo, exec_lo, s0
	s_delay_alu instid0(SALU_CYCLE_1)
	s_mov_b32 s0, exec_lo
	v_cmpx_gt_i32_e64 s12, v0
	s_cbranch_execnz .LBB195_108
	s_branch .LBB195_109
.LBB195_112:
	v_max_i64 v[2:3], v[2:3], s[4:5]
	s_delay_alu instid0(VALU_DEP_1)
	v_min_i64 v[6:7], v[2:3], s[6:7]
	s_cbranch_execz .LBB195_102
	s_branch .LBB195_103
	.section	.rodata,"a",@progbits
	.p2align	6, 0x0
	.amdhsa_kernel _ZN2at6native29vectorized_elementwise_kernelILi2EZZZNS0_12_GLOBAL__N_119launch_clamp_scalarERNS_18TensorIteratorBaseEN3c106ScalarES6_NS0_6detail11ClampLimitsEENKUlvE_clEvENKUlvE2_clEvEUllE_St5arrayIPcLm2EEEEviT0_T1_
		.amdhsa_group_segment_fixed_size 0
		.amdhsa_private_segment_fixed_size 0
		.amdhsa_kernarg_size 48
		.amdhsa_user_sgpr_count 2
		.amdhsa_user_sgpr_dispatch_ptr 0
		.amdhsa_user_sgpr_queue_ptr 0
		.amdhsa_user_sgpr_kernarg_segment_ptr 1
		.amdhsa_user_sgpr_dispatch_id 0
		.amdhsa_user_sgpr_kernarg_preload_length 0
		.amdhsa_user_sgpr_kernarg_preload_offset 0
		.amdhsa_user_sgpr_private_segment_size 0
		.amdhsa_wavefront_size32 1
		.amdhsa_uses_dynamic_stack 0
		.amdhsa_enable_private_segment 0
		.amdhsa_system_sgpr_workgroup_id_x 1
		.amdhsa_system_sgpr_workgroup_id_y 0
		.amdhsa_system_sgpr_workgroup_id_z 0
		.amdhsa_system_sgpr_workgroup_info 0
		.amdhsa_system_vgpr_workitem_id 0
		.amdhsa_next_free_vgpr 19
		.amdhsa_next_free_sgpr 18
		.amdhsa_named_barrier_count 0
		.amdhsa_reserve_vcc 1
		.amdhsa_float_round_mode_32 0
		.amdhsa_float_round_mode_16_64 0
		.amdhsa_float_denorm_mode_32 3
		.amdhsa_float_denorm_mode_16_64 3
		.amdhsa_fp16_overflow 0
		.amdhsa_memory_ordered 1
		.amdhsa_forward_progress 1
		.amdhsa_inst_pref_size 15
		.amdhsa_round_robin_scheduling 0
		.amdhsa_exception_fp_ieee_invalid_op 0
		.amdhsa_exception_fp_denorm_src 0
		.amdhsa_exception_fp_ieee_div_zero 0
		.amdhsa_exception_fp_ieee_overflow 0
		.amdhsa_exception_fp_ieee_underflow 0
		.amdhsa_exception_fp_ieee_inexact 0
		.amdhsa_exception_int_div_zero 0
	.end_amdhsa_kernel
	.section	.text._ZN2at6native29vectorized_elementwise_kernelILi2EZZZNS0_12_GLOBAL__N_119launch_clamp_scalarERNS_18TensorIteratorBaseEN3c106ScalarES6_NS0_6detail11ClampLimitsEENKUlvE_clEvENKUlvE2_clEvEUllE_St5arrayIPcLm2EEEEviT0_T1_,"axG",@progbits,_ZN2at6native29vectorized_elementwise_kernelILi2EZZZNS0_12_GLOBAL__N_119launch_clamp_scalarERNS_18TensorIteratorBaseEN3c106ScalarES6_NS0_6detail11ClampLimitsEENKUlvE_clEvENKUlvE2_clEvEUllE_St5arrayIPcLm2EEEEviT0_T1_,comdat
.Lfunc_end195:
	.size	_ZN2at6native29vectorized_elementwise_kernelILi2EZZZNS0_12_GLOBAL__N_119launch_clamp_scalarERNS_18TensorIteratorBaseEN3c106ScalarES6_NS0_6detail11ClampLimitsEENKUlvE_clEvENKUlvE2_clEvEUllE_St5arrayIPcLm2EEEEviT0_T1_, .Lfunc_end195-_ZN2at6native29vectorized_elementwise_kernelILi2EZZZNS0_12_GLOBAL__N_119launch_clamp_scalarERNS_18TensorIteratorBaseEN3c106ScalarES6_NS0_6detail11ClampLimitsEENKUlvE_clEvENKUlvE2_clEvEUllE_St5arrayIPcLm2EEEEviT0_T1_
                                        ; -- End function
	.set _ZN2at6native29vectorized_elementwise_kernelILi2EZZZNS0_12_GLOBAL__N_119launch_clamp_scalarERNS_18TensorIteratorBaseEN3c106ScalarES6_NS0_6detail11ClampLimitsEENKUlvE_clEvENKUlvE2_clEvEUllE_St5arrayIPcLm2EEEEviT0_T1_.num_vgpr, 19
	.set _ZN2at6native29vectorized_elementwise_kernelILi2EZZZNS0_12_GLOBAL__N_119launch_clamp_scalarERNS_18TensorIteratorBaseEN3c106ScalarES6_NS0_6detail11ClampLimitsEENKUlvE_clEvENKUlvE2_clEvEUllE_St5arrayIPcLm2EEEEviT0_T1_.num_agpr, 0
	.set _ZN2at6native29vectorized_elementwise_kernelILi2EZZZNS0_12_GLOBAL__N_119launch_clamp_scalarERNS_18TensorIteratorBaseEN3c106ScalarES6_NS0_6detail11ClampLimitsEENKUlvE_clEvENKUlvE2_clEvEUllE_St5arrayIPcLm2EEEEviT0_T1_.numbered_sgpr, 18
	.set _ZN2at6native29vectorized_elementwise_kernelILi2EZZZNS0_12_GLOBAL__N_119launch_clamp_scalarERNS_18TensorIteratorBaseEN3c106ScalarES6_NS0_6detail11ClampLimitsEENKUlvE_clEvENKUlvE2_clEvEUllE_St5arrayIPcLm2EEEEviT0_T1_.num_named_barrier, 0
	.set _ZN2at6native29vectorized_elementwise_kernelILi2EZZZNS0_12_GLOBAL__N_119launch_clamp_scalarERNS_18TensorIteratorBaseEN3c106ScalarES6_NS0_6detail11ClampLimitsEENKUlvE_clEvENKUlvE2_clEvEUllE_St5arrayIPcLm2EEEEviT0_T1_.private_seg_size, 0
	.set _ZN2at6native29vectorized_elementwise_kernelILi2EZZZNS0_12_GLOBAL__N_119launch_clamp_scalarERNS_18TensorIteratorBaseEN3c106ScalarES6_NS0_6detail11ClampLimitsEENKUlvE_clEvENKUlvE2_clEvEUllE_St5arrayIPcLm2EEEEviT0_T1_.uses_vcc, 1
	.set _ZN2at6native29vectorized_elementwise_kernelILi2EZZZNS0_12_GLOBAL__N_119launch_clamp_scalarERNS_18TensorIteratorBaseEN3c106ScalarES6_NS0_6detail11ClampLimitsEENKUlvE_clEvENKUlvE2_clEvEUllE_St5arrayIPcLm2EEEEviT0_T1_.uses_flat_scratch, 0
	.set _ZN2at6native29vectorized_elementwise_kernelILi2EZZZNS0_12_GLOBAL__N_119launch_clamp_scalarERNS_18TensorIteratorBaseEN3c106ScalarES6_NS0_6detail11ClampLimitsEENKUlvE_clEvENKUlvE2_clEvEUllE_St5arrayIPcLm2EEEEviT0_T1_.has_dyn_sized_stack, 0
	.set _ZN2at6native29vectorized_elementwise_kernelILi2EZZZNS0_12_GLOBAL__N_119launch_clamp_scalarERNS_18TensorIteratorBaseEN3c106ScalarES6_NS0_6detail11ClampLimitsEENKUlvE_clEvENKUlvE2_clEvEUllE_St5arrayIPcLm2EEEEviT0_T1_.has_recursion, 0
	.set _ZN2at6native29vectorized_elementwise_kernelILi2EZZZNS0_12_GLOBAL__N_119launch_clamp_scalarERNS_18TensorIteratorBaseEN3c106ScalarES6_NS0_6detail11ClampLimitsEENKUlvE_clEvENKUlvE2_clEvEUllE_St5arrayIPcLm2EEEEviT0_T1_.has_indirect_call, 0
	.section	.AMDGPU.csdata,"",@progbits
; Kernel info:
; codeLenInByte = 1904
; TotalNumSgprs: 20
; NumVgprs: 19
; ScratchSize: 0
; MemoryBound: 0
; FloatMode: 240
; IeeeMode: 1
; LDSByteSize: 0 bytes/workgroup (compile time only)
; SGPRBlocks: 0
; VGPRBlocks: 1
; NumSGPRsForWavesPerEU: 20
; NumVGPRsForWavesPerEU: 19
; NamedBarCnt: 0
; Occupancy: 16
; WaveLimiterHint : 1
; COMPUTE_PGM_RSRC2:SCRATCH_EN: 0
; COMPUTE_PGM_RSRC2:USER_SGPR: 2
; COMPUTE_PGM_RSRC2:TRAP_HANDLER: 0
; COMPUTE_PGM_RSRC2:TGID_X_EN: 1
; COMPUTE_PGM_RSRC2:TGID_Y_EN: 0
; COMPUTE_PGM_RSRC2:TGID_Z_EN: 0
; COMPUTE_PGM_RSRC2:TIDIG_COMP_CNT: 0
	.section	.text._ZN2at6native27unrolled_elementwise_kernelIZZZNS0_12_GLOBAL__N_119launch_clamp_scalarERNS_18TensorIteratorBaseEN3c106ScalarES6_NS0_6detail11ClampLimitsEENKUlvE_clEvENKUlvE2_clEvEUllE_St5arrayIPcLm2EELi4E23TrivialOffsetCalculatorILi1EjESG_NS0_6memory15LoadWithoutCastENSH_16StoreWithoutCastEEEviT_T0_T2_T3_T4_T5_,"axG",@progbits,_ZN2at6native27unrolled_elementwise_kernelIZZZNS0_12_GLOBAL__N_119launch_clamp_scalarERNS_18TensorIteratorBaseEN3c106ScalarES6_NS0_6detail11ClampLimitsEENKUlvE_clEvENKUlvE2_clEvEUllE_St5arrayIPcLm2EELi4E23TrivialOffsetCalculatorILi1EjESG_NS0_6memory15LoadWithoutCastENSH_16StoreWithoutCastEEEviT_T0_T2_T3_T4_T5_,comdat
	.globl	_ZN2at6native27unrolled_elementwise_kernelIZZZNS0_12_GLOBAL__N_119launch_clamp_scalarERNS_18TensorIteratorBaseEN3c106ScalarES6_NS0_6detail11ClampLimitsEENKUlvE_clEvENKUlvE2_clEvEUllE_St5arrayIPcLm2EELi4E23TrivialOffsetCalculatorILi1EjESG_NS0_6memory15LoadWithoutCastENSH_16StoreWithoutCastEEEviT_T0_T2_T3_T4_T5_ ; -- Begin function _ZN2at6native27unrolled_elementwise_kernelIZZZNS0_12_GLOBAL__N_119launch_clamp_scalarERNS_18TensorIteratorBaseEN3c106ScalarES6_NS0_6detail11ClampLimitsEENKUlvE_clEvENKUlvE2_clEvEUllE_St5arrayIPcLm2EELi4E23TrivialOffsetCalculatorILi1EjESG_NS0_6memory15LoadWithoutCastENSH_16StoreWithoutCastEEEviT_T0_T2_T3_T4_T5_
	.p2align	8
	.type	_ZN2at6native27unrolled_elementwise_kernelIZZZNS0_12_GLOBAL__N_119launch_clamp_scalarERNS_18TensorIteratorBaseEN3c106ScalarES6_NS0_6detail11ClampLimitsEENKUlvE_clEvENKUlvE2_clEvEUllE_St5arrayIPcLm2EELi4E23TrivialOffsetCalculatorILi1EjESG_NS0_6memory15LoadWithoutCastENSH_16StoreWithoutCastEEEviT_T0_T2_T3_T4_T5_,@function
_ZN2at6native27unrolled_elementwise_kernelIZZZNS0_12_GLOBAL__N_119launch_clamp_scalarERNS_18TensorIteratorBaseEN3c106ScalarES6_NS0_6detail11ClampLimitsEENKUlvE_clEvENKUlvE2_clEvEUllE_St5arrayIPcLm2EELi4E23TrivialOffsetCalculatorILi1EjESG_NS0_6memory15LoadWithoutCastENSH_16StoreWithoutCastEEEviT_T0_T2_T3_T4_T5_: ; @_ZN2at6native27unrolled_elementwise_kernelIZZZNS0_12_GLOBAL__N_119launch_clamp_scalarERNS_18TensorIteratorBaseEN3c106ScalarES6_NS0_6detail11ClampLimitsEENKUlvE_clEvENKUlvE2_clEvEUllE_St5arrayIPcLm2EELi4E23TrivialOffsetCalculatorILi1EjESG_NS0_6memory15LoadWithoutCastENSH_16StoreWithoutCastEEEviT_T0_T2_T3_T4_T5_
; %bb.0:
	s_load_b32 s2, s[0:1], 0x0
	s_bfe_u32 s3, ttmp6, 0x4000c
	s_load_b256 s[4:11], s[0:1], 0x10
	s_add_co_i32 s3, s3, 1
	s_and_b32 s12, ttmp6, 15
	s_mul_i32 s3, ttmp9, s3
	s_getreg_b32 s13, hwreg(HW_REG_IB_STS2, 6, 4)
	s_add_co_i32 s12, s12, s3
	s_cmp_eq_u32 s13, 0
	v_mov_b64_e32 v[14:15], 0
	s_cselect_b32 s3, ttmp9, s12
	v_mov_b64_e32 v[16:17], 0
	s_lshl_b32 s3, s3, 10
	v_or_b32_e32 v1, 0x100, v0
	v_dual_mov_b32 v4, v0 :: v_dual_bitop2_b32 v18, s3, v0 bitop3:0x54
	s_wait_kmcnt 0x0
	s_sub_co_i32 s12, s2, s3
	s_delay_alu instid0(SALU_CYCLE_1)
	v_cmp_gt_i32_e64 s2, s12, v0
	s_and_saveexec_b32 s13, s2
	s_cbranch_execz .LBB196_2
; %bb.1:
	global_load_b64 v[16:17], v18, s[10:11] scale_offset
	v_or_b32_e32 v4, 0x100, v0
.LBB196_2:
	s_wait_xcnt 0x0
	s_or_b32 exec_lo, exec_lo, s13
	s_delay_alu instid0(SALU_CYCLE_1) | instskip(NEXT) | instid1(VALU_DEP_1)
	s_mov_b32 s13, exec_lo
	v_cmpx_gt_i32_e64 s12, v4
	s_cbranch_execz .LBB196_4
; %bb.3:
	v_add_nc_u32_e32 v2, s3, v4
	v_add_nc_u32_e32 v4, 0x100, v4
	global_load_b64 v[14:15], v2, s[10:11] scale_offset
.LBB196_4:
	s_wait_xcnt 0x0
	s_or_b32 exec_lo, exec_lo, s13
	v_mov_b64_e32 v[2:3], 0
	v_mov_b64_e32 v[12:13], 0
	s_mov_b32 s13, exec_lo
	v_cmpx_gt_i32_e64 s12, v4
	s_cbranch_execz .LBB196_6
; %bb.5:
	v_add_nc_u32_e32 v5, s3, v4
	v_add_nc_u32_e32 v4, 0x100, v4
	global_load_b64 v[12:13], v5, s[10:11] scale_offset
.LBB196_6:
	s_wait_xcnt 0x0
	s_or_b32 exec_lo, exec_lo, s13
	s_delay_alu instid0(SALU_CYCLE_1)
	s_mov_b32 s13, exec_lo
	v_cmpx_gt_i32_e64 s12, v4
	s_cbranch_execz .LBB196_8
; %bb.7:
	v_add_nc_u32_e32 v2, s3, v4
	global_load_b64 v[2:3], v2, s[10:11] scale_offset
.LBB196_8:
	s_wait_xcnt 0x0
	s_or_b32 exec_lo, exec_lo, s13
	s_load_b32 s0, s[0:1], 0x8
	v_mov_b32_e32 v4, 0
	s_delay_alu instid0(VALU_DEP_1)
	v_dual_mov_b32 v5, v4 :: v_dual_mov_b32 v10, v4
	v_dual_mov_b32 v11, v4 :: v_dual_mov_b32 v8, v4
	v_dual_mov_b32 v9, v4 :: v_dual_mov_b32 v6, v4
	v_mov_b32_e32 v7, v4
	s_wait_xcnt 0x0
	s_and_saveexec_b32 s1, s2
	s_cbranch_execz .LBB196_20
; %bb.9:
	s_wait_kmcnt 0x0
	s_cmp_lt_i32 s0, 1
	s_mov_b32 s10, 0
	s_cbranch_scc1 .LBB196_12
; %bb.10:
	s_cmp_eq_u32 s0, 1
	s_cbranch_scc0 .LBB196_13
; %bb.11:
	s_wait_loadcnt 0x0
	v_min_i64 v[4:5], v[16:17], s[4:5]
	s_mov_b32 s11, 0
	s_branch .LBB196_14
.LBB196_12:
	s_mov_b32 s11, 0
                                        ; implicit-def: $vgpr4_vgpr5
	s_cbranch_execnz .LBB196_15
	s_branch .LBB196_16
.LBB196_13:
	s_mov_b32 s11, -1
                                        ; implicit-def: $vgpr4_vgpr5
.LBB196_14:
	s_branch .LBB196_16
.LBB196_15:
	s_cmp_lg_u32 s0, 0
	s_mov_b32 s10, -1
	s_cselect_b32 s11, -1, 0
.LBB196_16:
	s_wait_loadcnt 0x0
	v_max_i64 v[6:7], v[16:17], s[4:5]
	s_and_not1_b32 vcc_lo, exec_lo, s11
	s_cbranch_vccz .LBB196_24
; %bb.17:
	s_and_not1_b32 vcc_lo, exec_lo, s10
	s_cbranch_vccnz .LBB196_19
.LBB196_18:
	s_delay_alu instid0(VALU_DEP_1)
	v_mov_b64_e32 v[4:5], v[6:7]
.LBB196_19:
	v_mov_b32_e32 v10, 0
	s_delay_alu instid0(VALU_DEP_1)
	v_dual_mov_b32 v11, v10 :: v_dual_mov_b32 v8, v10
	v_dual_mov_b32 v9, v10 :: v_dual_mov_b32 v6, v10
	v_mov_b32_e32 v7, v10
.LBB196_20:
	s_or_b32 exec_lo, exec_lo, s1
	s_delay_alu instid0(SALU_CYCLE_1)
	s_mov_b32 s1, exec_lo
	v_cmpx_gt_i32_e64 s12, v1
	s_cbranch_execz .LBB196_32
; %bb.21:
	s_wait_kmcnt 0x0
	s_cmp_lt_i32 s0, 1
	s_mov_b32 s10, 0
	s_cbranch_scc1 .LBB196_25
; %bb.22:
	s_cmp_eq_u32 s0, 1
	s_cbranch_scc0 .LBB196_26
; %bb.23:
	s_wait_loadcnt 0x0
	v_min_i64 v[10:11], v[14:15], s[4:5]
	s_mov_b32 s11, 0
	s_branch .LBB196_27
.LBB196_24:
	v_max_i64 v[4:5], v[16:17], s[4:5]
	s_delay_alu instid0(VALU_DEP_1)
	v_min_i64 v[4:5], v[4:5], s[6:7]
	s_cbranch_execz .LBB196_18
	s_branch .LBB196_19
.LBB196_25:
	s_mov_b32 s11, 0
                                        ; implicit-def: $vgpr10_vgpr11
	s_cbranch_execnz .LBB196_28
	s_branch .LBB196_29
.LBB196_26:
	s_mov_b32 s11, -1
                                        ; implicit-def: $vgpr10_vgpr11
.LBB196_27:
	s_branch .LBB196_29
.LBB196_28:
	s_cmp_lg_u32 s0, 0
	s_mov_b32 s10, -1
	s_cselect_b32 s11, -1, 0
.LBB196_29:
	s_wait_loadcnt 0x0
	v_max_i64 v[16:17], v[14:15], s[4:5]
	s_and_not1_b32 vcc_lo, exec_lo, s11
	s_cbranch_vccz .LBB196_36
; %bb.30:
	s_and_not1_b32 vcc_lo, exec_lo, s10
	s_cbranch_vccnz .LBB196_32
.LBB196_31:
	s_delay_alu instid0(VALU_DEP_1)
	v_mov_b64_e32 v[10:11], v[16:17]
.LBB196_32:
	s_or_b32 exec_lo, exec_lo, s1
	s_wait_loadcnt 0x0
	v_or_b32_e32 v14, 0x200, v0
	s_mov_b32 s1, exec_lo
	s_delay_alu instid0(VALU_DEP_1)
	v_cmpx_gt_i32_e64 s12, v14
	s_cbranch_execz .LBB196_44
; %bb.33:
	s_wait_kmcnt 0x0
	s_cmp_lt_i32 s0, 1
	s_mov_b32 s10, 0
	s_cbranch_scc1 .LBB196_37
; %bb.34:
	s_cmp_eq_u32 s0, 1
	s_cbranch_scc0 .LBB196_38
; %bb.35:
	v_min_i64 v[8:9], v[12:13], s[4:5]
	s_mov_b32 s11, 0
	s_branch .LBB196_39
.LBB196_36:
	v_max_i64 v[10:11], v[14:15], s[4:5]
	s_delay_alu instid0(VALU_DEP_1)
	v_min_i64 v[10:11], v[10:11], s[6:7]
	s_cbranch_execz .LBB196_31
	s_branch .LBB196_32
.LBB196_37:
	s_mov_b32 s11, 0
                                        ; implicit-def: $vgpr8_vgpr9
	s_cbranch_execnz .LBB196_40
	s_branch .LBB196_41
.LBB196_38:
	s_mov_b32 s11, -1
                                        ; implicit-def: $vgpr8_vgpr9
.LBB196_39:
	s_branch .LBB196_41
.LBB196_40:
	s_cmp_lg_u32 s0, 0
	s_mov_b32 s10, -1
	s_cselect_b32 s11, -1, 0
.LBB196_41:
	v_max_i64 v[14:15], v[12:13], s[4:5]
	s_and_not1_b32 vcc_lo, exec_lo, s11
	s_cbranch_vccz .LBB196_48
; %bb.42:
	s_and_not1_b32 vcc_lo, exec_lo, s10
	s_cbranch_vccnz .LBB196_44
.LBB196_43:
	s_delay_alu instid0(VALU_DEP_1)
	v_mov_b64_e32 v[8:9], v[14:15]
.LBB196_44:
	s_or_b32 exec_lo, exec_lo, s1
	v_or_b32_e32 v12, 0x300, v0
	s_mov_b32 s1, exec_lo
	s_delay_alu instid0(VALU_DEP_1)
	v_cmpx_gt_i32_e64 s12, v12
	s_cbranch_execz .LBB196_56
; %bb.45:
	s_wait_kmcnt 0x0
	s_cmp_lt_i32 s0, 1
	s_mov_b32 s10, 0
	s_cbranch_scc1 .LBB196_49
; %bb.46:
	s_cmp_eq_u32 s0, 1
	s_cbranch_scc0 .LBB196_50
; %bb.47:
	v_min_i64 v[6:7], v[2:3], s[4:5]
	s_mov_b32 s11, 0
	s_branch .LBB196_51
.LBB196_48:
	v_max_i64 v[8:9], v[12:13], s[4:5]
	s_delay_alu instid0(VALU_DEP_1)
	v_min_i64 v[8:9], v[8:9], s[6:7]
	s_cbranch_execz .LBB196_43
	s_branch .LBB196_44
.LBB196_49:
	s_mov_b32 s11, 0
                                        ; implicit-def: $vgpr6_vgpr7
	s_cbranch_execnz .LBB196_52
	s_branch .LBB196_53
.LBB196_50:
	s_mov_b32 s11, -1
                                        ; implicit-def: $vgpr6_vgpr7
.LBB196_51:
	s_branch .LBB196_53
.LBB196_52:
	s_cmp_lg_u32 s0, 0
	s_mov_b32 s10, -1
	s_cselect_b32 s11, -1, 0
.LBB196_53:
	v_max_i64 v[12:13], v[2:3], s[4:5]
	s_and_not1_b32 vcc_lo, exec_lo, s11
	s_cbranch_vccz .LBB196_65
; %bb.54:
	s_and_not1_b32 vcc_lo, exec_lo, s10
	s_cbranch_vccnz .LBB196_56
.LBB196_55:
	s_delay_alu instid0(VALU_DEP_1)
	v_mov_b64_e32 v[6:7], v[12:13]
.LBB196_56:
	s_or_b32 exec_lo, exec_lo, s1
	s_wait_kmcnt 0x0
	s_and_saveexec_b32 s0, s2
	s_delay_alu instid0(SALU_CYCLE_1)
	s_xor_b32 s0, exec_lo, s0
	s_cbranch_execz .LBB196_58
; %bb.57:
	v_mov_b32_e32 v0, v1
	global_store_b64 v18, v[4:5], s[8:9] scale_offset
.LBB196_58:
	s_wait_xcnt 0x0
	s_or_b32 exec_lo, exec_lo, s0
	s_delay_alu instid0(SALU_CYCLE_1)
	s_mov_b32 s0, exec_lo
	v_cmpx_gt_i32_e64 s12, v0
	s_cbranch_execnz .LBB196_62
; %bb.59:
	s_or_b32 exec_lo, exec_lo, s0
	s_delay_alu instid0(SALU_CYCLE_1)
	s_mov_b32 s0, exec_lo
	v_cmpx_gt_i32_e64 s12, v0
	s_cbranch_execnz .LBB196_63
.LBB196_60:
	s_or_b32 exec_lo, exec_lo, s0
	s_delay_alu instid0(SALU_CYCLE_1)
	s_mov_b32 s0, exec_lo
	v_cmpx_gt_i32_e64 s12, v0
	s_cbranch_execnz .LBB196_64
.LBB196_61:
	s_endpgm
.LBB196_62:
	v_add_nc_u32_e32 v1, 0x100, v0
	s_delay_alu instid0(VALU_DEP_1) | instskip(SKIP_3) | instid1(SALU_CYCLE_1)
	v_dual_add_nc_u32 v2, s3, v0 :: v_dual_mov_b32 v0, v1
	global_store_b64 v2, v[10:11], s[8:9] scale_offset
	s_wait_xcnt 0x0
	s_or_b32 exec_lo, exec_lo, s0
	s_mov_b32 s0, exec_lo
	v_cmpx_gt_i32_e64 s12, v0
	s_cbranch_execz .LBB196_60
.LBB196_63:
	v_add_nc_u32_e32 v1, 0x100, v0
	s_delay_alu instid0(VALU_DEP_1) | instskip(SKIP_3) | instid1(SALU_CYCLE_1)
	v_dual_add_nc_u32 v2, s3, v0 :: v_dual_mov_b32 v0, v1
	global_store_b64 v2, v[8:9], s[8:9] scale_offset
	s_wait_xcnt 0x0
	s_or_b32 exec_lo, exec_lo, s0
	s_mov_b32 s0, exec_lo
	v_cmpx_gt_i32_e64 s12, v0
	s_cbranch_execz .LBB196_61
.LBB196_64:
	v_add_nc_u32_e32 v0, s3, v0
	global_store_b64 v0, v[6:7], s[8:9] scale_offset
	s_endpgm
.LBB196_65:
	v_max_i64 v[2:3], v[2:3], s[4:5]
	s_delay_alu instid0(VALU_DEP_1)
	v_min_i64 v[6:7], v[2:3], s[6:7]
	s_cbranch_execz .LBB196_55
	s_branch .LBB196_56
	.section	.rodata,"a",@progbits
	.p2align	6, 0x0
	.amdhsa_kernel _ZN2at6native27unrolled_elementwise_kernelIZZZNS0_12_GLOBAL__N_119launch_clamp_scalarERNS_18TensorIteratorBaseEN3c106ScalarES6_NS0_6detail11ClampLimitsEENKUlvE_clEvENKUlvE2_clEvEUllE_St5arrayIPcLm2EELi4E23TrivialOffsetCalculatorILi1EjESG_NS0_6memory15LoadWithoutCastENSH_16StoreWithoutCastEEEviT_T0_T2_T3_T4_T5_
		.amdhsa_group_segment_fixed_size 0
		.amdhsa_private_segment_fixed_size 0
		.amdhsa_kernarg_size 52
		.amdhsa_user_sgpr_count 2
		.amdhsa_user_sgpr_dispatch_ptr 0
		.amdhsa_user_sgpr_queue_ptr 0
		.amdhsa_user_sgpr_kernarg_segment_ptr 1
		.amdhsa_user_sgpr_dispatch_id 0
		.amdhsa_user_sgpr_kernarg_preload_length 0
		.amdhsa_user_sgpr_kernarg_preload_offset 0
		.amdhsa_user_sgpr_private_segment_size 0
		.amdhsa_wavefront_size32 1
		.amdhsa_uses_dynamic_stack 0
		.amdhsa_enable_private_segment 0
		.amdhsa_system_sgpr_workgroup_id_x 1
		.amdhsa_system_sgpr_workgroup_id_y 0
		.amdhsa_system_sgpr_workgroup_id_z 0
		.amdhsa_system_sgpr_workgroup_info 0
		.amdhsa_system_vgpr_workitem_id 0
		.amdhsa_next_free_vgpr 19
		.amdhsa_next_free_sgpr 14
		.amdhsa_named_barrier_count 0
		.amdhsa_reserve_vcc 1
		.amdhsa_float_round_mode_32 0
		.amdhsa_float_round_mode_16_64 0
		.amdhsa_float_denorm_mode_32 3
		.amdhsa_float_denorm_mode_16_64 3
		.amdhsa_fp16_overflow 0
		.amdhsa_memory_ordered 1
		.amdhsa_forward_progress 1
		.amdhsa_inst_pref_size 10
		.amdhsa_round_robin_scheduling 0
		.amdhsa_exception_fp_ieee_invalid_op 0
		.amdhsa_exception_fp_denorm_src 0
		.amdhsa_exception_fp_ieee_div_zero 0
		.amdhsa_exception_fp_ieee_overflow 0
		.amdhsa_exception_fp_ieee_underflow 0
		.amdhsa_exception_fp_ieee_inexact 0
		.amdhsa_exception_int_div_zero 0
	.end_amdhsa_kernel
	.section	.text._ZN2at6native27unrolled_elementwise_kernelIZZZNS0_12_GLOBAL__N_119launch_clamp_scalarERNS_18TensorIteratorBaseEN3c106ScalarES6_NS0_6detail11ClampLimitsEENKUlvE_clEvENKUlvE2_clEvEUllE_St5arrayIPcLm2EELi4E23TrivialOffsetCalculatorILi1EjESG_NS0_6memory15LoadWithoutCastENSH_16StoreWithoutCastEEEviT_T0_T2_T3_T4_T5_,"axG",@progbits,_ZN2at6native27unrolled_elementwise_kernelIZZZNS0_12_GLOBAL__N_119launch_clamp_scalarERNS_18TensorIteratorBaseEN3c106ScalarES6_NS0_6detail11ClampLimitsEENKUlvE_clEvENKUlvE2_clEvEUllE_St5arrayIPcLm2EELi4E23TrivialOffsetCalculatorILi1EjESG_NS0_6memory15LoadWithoutCastENSH_16StoreWithoutCastEEEviT_T0_T2_T3_T4_T5_,comdat
.Lfunc_end196:
	.size	_ZN2at6native27unrolled_elementwise_kernelIZZZNS0_12_GLOBAL__N_119launch_clamp_scalarERNS_18TensorIteratorBaseEN3c106ScalarES6_NS0_6detail11ClampLimitsEENKUlvE_clEvENKUlvE2_clEvEUllE_St5arrayIPcLm2EELi4E23TrivialOffsetCalculatorILi1EjESG_NS0_6memory15LoadWithoutCastENSH_16StoreWithoutCastEEEviT_T0_T2_T3_T4_T5_, .Lfunc_end196-_ZN2at6native27unrolled_elementwise_kernelIZZZNS0_12_GLOBAL__N_119launch_clamp_scalarERNS_18TensorIteratorBaseEN3c106ScalarES6_NS0_6detail11ClampLimitsEENKUlvE_clEvENKUlvE2_clEvEUllE_St5arrayIPcLm2EELi4E23TrivialOffsetCalculatorILi1EjESG_NS0_6memory15LoadWithoutCastENSH_16StoreWithoutCastEEEviT_T0_T2_T3_T4_T5_
                                        ; -- End function
	.set _ZN2at6native27unrolled_elementwise_kernelIZZZNS0_12_GLOBAL__N_119launch_clamp_scalarERNS_18TensorIteratorBaseEN3c106ScalarES6_NS0_6detail11ClampLimitsEENKUlvE_clEvENKUlvE2_clEvEUllE_St5arrayIPcLm2EELi4E23TrivialOffsetCalculatorILi1EjESG_NS0_6memory15LoadWithoutCastENSH_16StoreWithoutCastEEEviT_T0_T2_T3_T4_T5_.num_vgpr, 19
	.set _ZN2at6native27unrolled_elementwise_kernelIZZZNS0_12_GLOBAL__N_119launch_clamp_scalarERNS_18TensorIteratorBaseEN3c106ScalarES6_NS0_6detail11ClampLimitsEENKUlvE_clEvENKUlvE2_clEvEUllE_St5arrayIPcLm2EELi4E23TrivialOffsetCalculatorILi1EjESG_NS0_6memory15LoadWithoutCastENSH_16StoreWithoutCastEEEviT_T0_T2_T3_T4_T5_.num_agpr, 0
	.set _ZN2at6native27unrolled_elementwise_kernelIZZZNS0_12_GLOBAL__N_119launch_clamp_scalarERNS_18TensorIteratorBaseEN3c106ScalarES6_NS0_6detail11ClampLimitsEENKUlvE_clEvENKUlvE2_clEvEUllE_St5arrayIPcLm2EELi4E23TrivialOffsetCalculatorILi1EjESG_NS0_6memory15LoadWithoutCastENSH_16StoreWithoutCastEEEviT_T0_T2_T3_T4_T5_.numbered_sgpr, 14
	.set _ZN2at6native27unrolled_elementwise_kernelIZZZNS0_12_GLOBAL__N_119launch_clamp_scalarERNS_18TensorIteratorBaseEN3c106ScalarES6_NS0_6detail11ClampLimitsEENKUlvE_clEvENKUlvE2_clEvEUllE_St5arrayIPcLm2EELi4E23TrivialOffsetCalculatorILi1EjESG_NS0_6memory15LoadWithoutCastENSH_16StoreWithoutCastEEEviT_T0_T2_T3_T4_T5_.num_named_barrier, 0
	.set _ZN2at6native27unrolled_elementwise_kernelIZZZNS0_12_GLOBAL__N_119launch_clamp_scalarERNS_18TensorIteratorBaseEN3c106ScalarES6_NS0_6detail11ClampLimitsEENKUlvE_clEvENKUlvE2_clEvEUllE_St5arrayIPcLm2EELi4E23TrivialOffsetCalculatorILi1EjESG_NS0_6memory15LoadWithoutCastENSH_16StoreWithoutCastEEEviT_T0_T2_T3_T4_T5_.private_seg_size, 0
	.set _ZN2at6native27unrolled_elementwise_kernelIZZZNS0_12_GLOBAL__N_119launch_clamp_scalarERNS_18TensorIteratorBaseEN3c106ScalarES6_NS0_6detail11ClampLimitsEENKUlvE_clEvENKUlvE2_clEvEUllE_St5arrayIPcLm2EELi4E23TrivialOffsetCalculatorILi1EjESG_NS0_6memory15LoadWithoutCastENSH_16StoreWithoutCastEEEviT_T0_T2_T3_T4_T5_.uses_vcc, 1
	.set _ZN2at6native27unrolled_elementwise_kernelIZZZNS0_12_GLOBAL__N_119launch_clamp_scalarERNS_18TensorIteratorBaseEN3c106ScalarES6_NS0_6detail11ClampLimitsEENKUlvE_clEvENKUlvE2_clEvEUllE_St5arrayIPcLm2EELi4E23TrivialOffsetCalculatorILi1EjESG_NS0_6memory15LoadWithoutCastENSH_16StoreWithoutCastEEEviT_T0_T2_T3_T4_T5_.uses_flat_scratch, 0
	.set _ZN2at6native27unrolled_elementwise_kernelIZZZNS0_12_GLOBAL__N_119launch_clamp_scalarERNS_18TensorIteratorBaseEN3c106ScalarES6_NS0_6detail11ClampLimitsEENKUlvE_clEvENKUlvE2_clEvEUllE_St5arrayIPcLm2EELi4E23TrivialOffsetCalculatorILi1EjESG_NS0_6memory15LoadWithoutCastENSH_16StoreWithoutCastEEEviT_T0_T2_T3_T4_T5_.has_dyn_sized_stack, 0
	.set _ZN2at6native27unrolled_elementwise_kernelIZZZNS0_12_GLOBAL__N_119launch_clamp_scalarERNS_18TensorIteratorBaseEN3c106ScalarES6_NS0_6detail11ClampLimitsEENKUlvE_clEvENKUlvE2_clEvEUllE_St5arrayIPcLm2EELi4E23TrivialOffsetCalculatorILi1EjESG_NS0_6memory15LoadWithoutCastENSH_16StoreWithoutCastEEEviT_T0_T2_T3_T4_T5_.has_recursion, 0
	.set _ZN2at6native27unrolled_elementwise_kernelIZZZNS0_12_GLOBAL__N_119launch_clamp_scalarERNS_18TensorIteratorBaseEN3c106ScalarES6_NS0_6detail11ClampLimitsEENKUlvE_clEvENKUlvE2_clEvEUllE_St5arrayIPcLm2EELi4E23TrivialOffsetCalculatorILi1EjESG_NS0_6memory15LoadWithoutCastENSH_16StoreWithoutCastEEEviT_T0_T2_T3_T4_T5_.has_indirect_call, 0
	.section	.AMDGPU.csdata,"",@progbits
; Kernel info:
; codeLenInByte = 1272
; TotalNumSgprs: 16
; NumVgprs: 19
; ScratchSize: 0
; MemoryBound: 0
; FloatMode: 240
; IeeeMode: 1
; LDSByteSize: 0 bytes/workgroup (compile time only)
; SGPRBlocks: 0
; VGPRBlocks: 1
; NumSGPRsForWavesPerEU: 16
; NumVGPRsForWavesPerEU: 19
; NamedBarCnt: 0
; Occupancy: 16
; WaveLimiterHint : 0
; COMPUTE_PGM_RSRC2:SCRATCH_EN: 0
; COMPUTE_PGM_RSRC2:USER_SGPR: 2
; COMPUTE_PGM_RSRC2:TRAP_HANDLER: 0
; COMPUTE_PGM_RSRC2:TGID_X_EN: 1
; COMPUTE_PGM_RSRC2:TGID_Y_EN: 0
; COMPUTE_PGM_RSRC2:TGID_Z_EN: 0
; COMPUTE_PGM_RSRC2:TIDIG_COMP_CNT: 0
	.section	.text._ZN2at6native32elementwise_kernel_manual_unrollILi128ELi4EZNS0_22gpu_kernel_impl_nocastIZZZNS0_12_GLOBAL__N_119launch_clamp_scalarERNS_18TensorIteratorBaseEN3c106ScalarES7_NS0_6detail11ClampLimitsEENKUlvE_clEvENKUlvE2_clEvEUllE_EEvS5_RKT_EUlibE_EEviT1_,"axG",@progbits,_ZN2at6native32elementwise_kernel_manual_unrollILi128ELi4EZNS0_22gpu_kernel_impl_nocastIZZZNS0_12_GLOBAL__N_119launch_clamp_scalarERNS_18TensorIteratorBaseEN3c106ScalarES7_NS0_6detail11ClampLimitsEENKUlvE_clEvENKUlvE2_clEvEUllE_EEvS5_RKT_EUlibE_EEviT1_,comdat
	.globl	_ZN2at6native32elementwise_kernel_manual_unrollILi128ELi4EZNS0_22gpu_kernel_impl_nocastIZZZNS0_12_GLOBAL__N_119launch_clamp_scalarERNS_18TensorIteratorBaseEN3c106ScalarES7_NS0_6detail11ClampLimitsEENKUlvE_clEvENKUlvE2_clEvEUllE_EEvS5_RKT_EUlibE_EEviT1_ ; -- Begin function _ZN2at6native32elementwise_kernel_manual_unrollILi128ELi4EZNS0_22gpu_kernel_impl_nocastIZZZNS0_12_GLOBAL__N_119launch_clamp_scalarERNS_18TensorIteratorBaseEN3c106ScalarES7_NS0_6detail11ClampLimitsEENKUlvE_clEvENKUlvE2_clEvEUllE_EEvS5_RKT_EUlibE_EEviT1_
	.p2align	8
	.type	_ZN2at6native32elementwise_kernel_manual_unrollILi128ELi4EZNS0_22gpu_kernel_impl_nocastIZZZNS0_12_GLOBAL__N_119launch_clamp_scalarERNS_18TensorIteratorBaseEN3c106ScalarES7_NS0_6detail11ClampLimitsEENKUlvE_clEvENKUlvE2_clEvEUllE_EEvS5_RKT_EUlibE_EEviT1_,@function
_ZN2at6native32elementwise_kernel_manual_unrollILi128ELi4EZNS0_22gpu_kernel_impl_nocastIZZZNS0_12_GLOBAL__N_119launch_clamp_scalarERNS_18TensorIteratorBaseEN3c106ScalarES7_NS0_6detail11ClampLimitsEENKUlvE_clEvENKUlvE2_clEvEUllE_EEvS5_RKT_EUlibE_EEviT1_: ; @_ZN2at6native32elementwise_kernel_manual_unrollILi128ELi4EZNS0_22gpu_kernel_impl_nocastIZZZNS0_12_GLOBAL__N_119launch_clamp_scalarERNS_18TensorIteratorBaseEN3c106ScalarES7_NS0_6detail11ClampLimitsEENKUlvE_clEvENKUlvE2_clEvEUllE_EEvS5_RKT_EUlibE_EEviT1_
; %bb.0:
	s_clause 0x1
	s_load_b32 s33, s[0:1], 0x8
	s_load_b32 s39, s[0:1], 0x0
	s_bfe_u32 s2, ttmp6, 0x4000c
	s_and_b32 s3, ttmp6, 15
	s_add_co_i32 s2, s2, 1
	s_getreg_b32 s4, hwreg(HW_REG_IB_STS2, 6, 4)
	s_mul_i32 s2, ttmp9, s2
	s_add_nc_u64 s[16:17], s[0:1], 8
	s_add_co_i32 s3, s3, s2
	s_cmp_eq_u32 s4, 0
	s_mov_b32 s21, 0
	s_cselect_b32 s2, ttmp9, s3
	s_wait_xcnt 0x0
	s_mov_b32 s0, exec_lo
	v_lshl_or_b32 v0, s2, 9, v0
	s_delay_alu instid0(VALU_DEP_1) | instskip(SKIP_2) | instid1(SALU_CYCLE_1)
	v_or_b32_e32 v8, 0x180, v0
	s_wait_kmcnt 0x0
	s_add_co_i32 s34, s33, -1
	s_cmp_gt_u32 s34, 1
	s_cselect_b32 s35, -1, 0
	v_cmpx_le_i32_e64 s39, v8
	s_xor_b32 s36, exec_lo, s0
	s_cbranch_execz .LBB197_109
; %bb.1:
	s_clause 0x5
	s_load_b128 s[8:11], s[16:17], 0x4
	s_load_b64 s[18:19], s[16:17], 0x14
	s_load_b128 s[12:15], s[16:17], 0xc4
	s_load_b128 s[0:3], s[16:17], 0x148
	s_load_b32 s37, s[16:17], 0x158
	s_load_b128 s[4:7], s[16:17], 0x160
	s_cmp_lg_u32 s33, 0
	s_add_nc_u64 s[24:25], s[16:17], 0xc4
	s_cselect_b32 s41, -1, 0
	s_min_u32 s40, s34, 15
	s_cmp_gt_u32 s33, 1
	s_mov_b32 s23, s21
	s_cselect_b32 s38, -1, 0
	s_wait_kmcnt 0x0
	s_mov_b32 s20, s9
	s_mov_b32 s22, s18
	s_mov_b32 s9, exec_lo
	v_cmpx_gt_i32_e64 s39, v0
	s_cbranch_execnz .LBB197_5
; %bb.2:
	s_or_b32 exec_lo, exec_lo, s9
	s_delay_alu instid0(SALU_CYCLE_1)
	s_mov_b32 s9, exec_lo
	v_cmpx_gt_i32_e64 s39, v0
	s_cbranch_execnz .LBB197_30
.LBB197_3:
	s_or_b32 exec_lo, exec_lo, s9
	s_delay_alu instid0(SALU_CYCLE_1)
	s_mov_b32 s9, exec_lo
	v_cmpx_gt_i32_e64 s39, v0
	s_cbranch_execnz .LBB197_56
.LBB197_4:
	s_or_b32 exec_lo, exec_lo, s9
	s_delay_alu instid0(SALU_CYCLE_1)
	s_mov_b32 s9, exec_lo
	v_cmpx_gt_i32_e64 s39, v0
	s_cbranch_execnz .LBB197_82
	s_branch .LBB197_108
.LBB197_5:
	s_and_not1_b32 vcc_lo, exec_lo, s35
	s_cbranch_vccnz .LBB197_10
; %bb.6:
	s_and_not1_b32 vcc_lo, exec_lo, s41
	s_cbranch_vccnz .LBB197_11
; %bb.7:
	s_add_co_i32 s18, s40, 1
	s_cmp_eq_u32 s34, 2
	s_cbranch_scc1 .LBB197_12
; %bb.8:
	v_dual_mov_b32 v2, 0 :: v_dual_mov_b32 v3, 0
	v_mov_b32_e32 v1, v0
	s_and_b32 s26, s18, 28
	s_mov_b32 s27, 0
	s_mov_b64 s[28:29], s[16:17]
	s_mov_b64 s[30:31], s[24:25]
.LBB197_9:                              ; =>This Inner Loop Header: Depth=1
	s_clause 0x1
	s_load_b256 s[44:51], s[28:29], 0x4
	s_load_b128 s[60:63], s[28:29], 0x24
	s_load_b256 s[52:59], s[30:31], 0x0
	s_add_co_i32 s27, s27, 4
	s_wait_xcnt 0x0
	s_add_nc_u64 s[28:29], s[28:29], 48
	s_cmp_lg_u32 s26, s27
	s_add_nc_u64 s[30:31], s[30:31], 32
	s_wait_kmcnt 0x0
	v_mul_hi_u32 v4, s45, v1
	s_delay_alu instid0(VALU_DEP_1) | instskip(NEXT) | instid1(VALU_DEP_1)
	v_add_nc_u32_e32 v4, v1, v4
	v_lshrrev_b32_e32 v4, s46, v4
	s_delay_alu instid0(VALU_DEP_1) | instskip(NEXT) | instid1(VALU_DEP_1)
	v_mul_hi_u32 v5, s48, v4
	v_add_nc_u32_e32 v5, v4, v5
	s_delay_alu instid0(VALU_DEP_1) | instskip(NEXT) | instid1(VALU_DEP_1)
	v_lshrrev_b32_e32 v5, s49, v5
	v_mul_hi_u32 v6, s51, v5
	s_delay_alu instid0(VALU_DEP_1) | instskip(SKIP_1) | instid1(VALU_DEP_1)
	v_add_nc_u32_e32 v6, v5, v6
	v_mul_lo_u32 v7, v4, s44
	v_sub_nc_u32_e32 v1, v1, v7
	v_mul_lo_u32 v7, v5, s47
	s_delay_alu instid0(VALU_DEP_4) | instskip(NEXT) | instid1(VALU_DEP_3)
	v_lshrrev_b32_e32 v6, s60, v6
	v_mad_u32 v3, v1, s53, v3
	v_mad_u32 v1, v1, s52, v2
	s_delay_alu instid0(VALU_DEP_4) | instskip(NEXT) | instid1(VALU_DEP_4)
	v_sub_nc_u32_e32 v2, v4, v7
	v_mul_hi_u32 v8, s62, v6
	v_mul_lo_u32 v4, v6, s50
	s_delay_alu instid0(VALU_DEP_3) | instskip(SKIP_1) | instid1(VALU_DEP_4)
	v_mad_u32 v3, v2, s55, v3
	v_mad_u32 v2, v2, s54, v1
	v_add_nc_u32_e32 v7, v6, v8
	s_delay_alu instid0(VALU_DEP_1) | instskip(NEXT) | instid1(VALU_DEP_1)
	v_dual_sub_nc_u32 v4, v5, v4 :: v_dual_lshrrev_b32 v1, s63, v7
	v_mad_u32 v3, v4, s57, v3
	s_delay_alu instid0(VALU_DEP_4) | instskip(NEXT) | instid1(VALU_DEP_3)
	v_mad_u32 v2, v4, s56, v2
	v_mul_lo_u32 v5, v1, s61
	s_delay_alu instid0(VALU_DEP_1) | instskip(NEXT) | instid1(VALU_DEP_1)
	v_sub_nc_u32_e32 v4, v6, v5
	v_mad_u32 v3, v4, s59, v3
	s_delay_alu instid0(VALU_DEP_4)
	v_mad_u32 v2, v4, s58, v2
	s_cbranch_scc1 .LBB197_9
	s_branch .LBB197_13
.LBB197_10:
                                        ; implicit-def: $vgpr3
	s_branch .LBB197_17
.LBB197_11:
	v_dual_mov_b32 v3, 0 :: v_dual_mov_b32 v2, 0
	s_branch .LBB197_16
.LBB197_12:
	v_mov_b64_e32 v[2:3], 0
	v_mov_b32_e32 v1, v0
	s_mov_b32 s26, 0
.LBB197_13:
	s_and_b32 s18, s18, 3
	s_mov_b32 s27, 0
	s_cmp_eq_u32 s18, 0
	s_cbranch_scc1 .LBB197_16
; %bb.14:
	s_lshl_b32 s28, s26, 3
	s_mov_b32 s29, s27
	s_mul_u64 s[30:31], s[26:27], 12
	s_add_nc_u64 s[28:29], s[16:17], s[28:29]
	s_delay_alu instid0(SALU_CYCLE_1)
	s_add_nc_u64 s[26:27], s[28:29], 0xc4
	s_add_nc_u64 s[28:29], s[16:17], s[30:31]
.LBB197_15:                             ; =>This Inner Loop Header: Depth=1
	s_load_b96 s[44:46], s[28:29], 0x4
	s_load_b64 s[30:31], s[26:27], 0x0
	s_add_co_i32 s18, s18, -1
	s_wait_xcnt 0x0
	s_add_nc_u64 s[28:29], s[28:29], 12
	s_cmp_lg_u32 s18, 0
	s_add_nc_u64 s[26:27], s[26:27], 8
	s_wait_kmcnt 0x0
	v_mul_hi_u32 v4, s45, v1
	s_delay_alu instid0(VALU_DEP_1) | instskip(NEXT) | instid1(VALU_DEP_1)
	v_add_nc_u32_e32 v4, v1, v4
	v_lshrrev_b32_e32 v4, s46, v4
	s_delay_alu instid0(VALU_DEP_1) | instskip(NEXT) | instid1(VALU_DEP_1)
	v_mul_lo_u32 v5, v4, s44
	v_sub_nc_u32_e32 v1, v1, v5
	s_delay_alu instid0(VALU_DEP_1)
	v_mad_u32 v3, v1, s31, v3
	v_mad_u32 v2, v1, s30, v2
	v_mov_b32_e32 v1, v4
	s_cbranch_scc1 .LBB197_15
.LBB197_16:
	s_cbranch_execnz .LBB197_19
.LBB197_17:
	v_mov_b32_e32 v1, 0
	s_and_not1_b32 vcc_lo, exec_lo, s38
	s_delay_alu instid0(VALU_DEP_1) | instskip(NEXT) | instid1(VALU_DEP_1)
	v_mul_u64_e32 v[2:3], s[20:21], v[0:1]
	v_add_nc_u32_e32 v2, v0, v3
	s_delay_alu instid0(VALU_DEP_1) | instskip(NEXT) | instid1(VALU_DEP_1)
	v_lshrrev_b32_e32 v4, s10, v2
	v_mul_lo_u32 v2, v4, s8
	s_delay_alu instid0(VALU_DEP_1) | instskip(NEXT) | instid1(VALU_DEP_1)
	v_sub_nc_u32_e32 v2, v0, v2
	v_mul_lo_u32 v3, v2, s13
	v_mul_lo_u32 v2, v2, s12
	s_cbranch_vccnz .LBB197_19
; %bb.18:
	v_mov_b32_e32 v5, v1
	s_delay_alu instid0(VALU_DEP_1) | instskip(NEXT) | instid1(VALU_DEP_1)
	v_mul_u64_e32 v[6:7], s[22:23], v[4:5]
	v_add_nc_u32_e32 v1, v4, v7
	s_delay_alu instid0(VALU_DEP_1) | instskip(NEXT) | instid1(VALU_DEP_1)
	v_lshrrev_b32_e32 v1, s19, v1
	v_mul_lo_u32 v1, v1, s11
	s_delay_alu instid0(VALU_DEP_1) | instskip(NEXT) | instid1(VALU_DEP_1)
	v_sub_nc_u32_e32 v1, v4, v1
	v_mad_u32 v2, v1, s14, v2
	v_mad_u32 v3, v1, s15, v3
.LBB197_19:
	global_load_b64 v[6:7], v3, s[2:3]
	s_cmp_lt_i32 s37, 1
	s_mov_b32 s18, 0
	s_cbranch_scc1 .LBB197_22
; %bb.20:
	s_cmp_eq_u32 s37, 1
	s_cbranch_scc0 .LBB197_23
; %bb.21:
	s_wait_loadcnt 0x0
	v_min_i64 v[4:5], v[6:7], s[4:5]
	s_mov_b32 s26, 0
	s_branch .LBB197_24
.LBB197_22:
	s_mov_b32 s26, 0
                                        ; implicit-def: $vgpr4_vgpr5
	s_cbranch_execnz .LBB197_25
	s_branch .LBB197_26
.LBB197_23:
	s_mov_b32 s26, -1
                                        ; implicit-def: $vgpr4_vgpr5
.LBB197_24:
	s_branch .LBB197_26
.LBB197_25:
	s_cmp_lg_u32 s37, 0
	s_mov_b32 s18, -1
	s_cselect_b32 s26, -1, 0
.LBB197_26:
	s_wait_loadcnt 0x0
	v_max_i64 v[8:9], v[6:7], s[4:5]
	s_and_not1_b32 vcc_lo, exec_lo, s26
	s_cbranch_vccz .LBB197_35
; %bb.27:
	s_and_not1_b32 vcc_lo, exec_lo, s18
	s_cbranch_vccnz .LBB197_29
.LBB197_28:
	s_delay_alu instid0(VALU_DEP_1)
	v_mov_b64_e32 v[4:5], v[8:9]
.LBB197_29:
	v_add_nc_u32_e32 v0, 0x80, v0
	global_store_b64 v2, v[4:5], s[0:1]
	s_wait_xcnt 0x0
	s_or_b32 exec_lo, exec_lo, s9
	s_delay_alu instid0(SALU_CYCLE_1)
	s_mov_b32 s9, exec_lo
	v_cmpx_gt_i32_e64 s39, v0
	s_cbranch_execz .LBB197_3
.LBB197_30:
	s_and_not1_b32 vcc_lo, exec_lo, s35
	s_cbranch_vccnz .LBB197_36
; %bb.31:
	s_and_not1_b32 vcc_lo, exec_lo, s41
	s_cbranch_vccnz .LBB197_37
; %bb.32:
	s_add_co_i32 s18, s40, 1
	s_cmp_eq_u32 s34, 2
	s_cbranch_scc1 .LBB197_38
; %bb.33:
	v_dual_mov_b32 v2, 0 :: v_dual_mov_b32 v3, 0
	v_mov_b32_e32 v1, v0
	s_and_b32 s26, s18, 28
	s_mov_b32 s27, 0
	s_mov_b64 s[28:29], s[16:17]
	s_mov_b64 s[30:31], s[24:25]
.LBB197_34:                             ; =>This Inner Loop Header: Depth=1
	s_clause 0x1
	s_load_b256 s[44:51], s[28:29], 0x4
	s_load_b128 s[60:63], s[28:29], 0x24
	s_load_b256 s[52:59], s[30:31], 0x0
	s_add_co_i32 s27, s27, 4
	s_wait_xcnt 0x0
	s_add_nc_u64 s[28:29], s[28:29], 48
	s_cmp_eq_u32 s26, s27
	s_add_nc_u64 s[30:31], s[30:31], 32
	s_wait_kmcnt 0x0
	v_mul_hi_u32 v4, s45, v1
	s_delay_alu instid0(VALU_DEP_1) | instskip(NEXT) | instid1(VALU_DEP_1)
	v_add_nc_u32_e32 v4, v1, v4
	v_lshrrev_b32_e32 v4, s46, v4
	s_delay_alu instid0(VALU_DEP_1) | instskip(NEXT) | instid1(VALU_DEP_1)
	v_mul_hi_u32 v5, s48, v4
	v_add_nc_u32_e32 v5, v4, v5
	s_delay_alu instid0(VALU_DEP_1) | instskip(NEXT) | instid1(VALU_DEP_1)
	v_lshrrev_b32_e32 v5, s49, v5
	v_mul_hi_u32 v6, s51, v5
	s_delay_alu instid0(VALU_DEP_1) | instskip(SKIP_1) | instid1(VALU_DEP_1)
	v_add_nc_u32_e32 v6, v5, v6
	v_mul_lo_u32 v7, v4, s44
	v_sub_nc_u32_e32 v1, v1, v7
	v_mul_lo_u32 v7, v5, s47
	s_delay_alu instid0(VALU_DEP_4) | instskip(NEXT) | instid1(VALU_DEP_3)
	v_lshrrev_b32_e32 v6, s60, v6
	v_mad_u32 v3, v1, s53, v3
	v_mad_u32 v1, v1, s52, v2
	s_delay_alu instid0(VALU_DEP_4) | instskip(NEXT) | instid1(VALU_DEP_4)
	v_sub_nc_u32_e32 v2, v4, v7
	v_mul_hi_u32 v8, s62, v6
	v_mul_lo_u32 v4, v6, s50
	s_delay_alu instid0(VALU_DEP_3) | instskip(SKIP_1) | instid1(VALU_DEP_4)
	v_mad_u32 v3, v2, s55, v3
	v_mad_u32 v2, v2, s54, v1
	v_add_nc_u32_e32 v7, v6, v8
	s_delay_alu instid0(VALU_DEP_1) | instskip(NEXT) | instid1(VALU_DEP_1)
	v_dual_sub_nc_u32 v4, v5, v4 :: v_dual_lshrrev_b32 v1, s63, v7
	v_mad_u32 v3, v4, s57, v3
	s_delay_alu instid0(VALU_DEP_4) | instskip(NEXT) | instid1(VALU_DEP_3)
	v_mad_u32 v2, v4, s56, v2
	v_mul_lo_u32 v5, v1, s61
	s_delay_alu instid0(VALU_DEP_1) | instskip(NEXT) | instid1(VALU_DEP_1)
	v_sub_nc_u32_e32 v4, v6, v5
	v_mad_u32 v3, v4, s59, v3
	s_delay_alu instid0(VALU_DEP_4)
	v_mad_u32 v2, v4, s58, v2
	s_cbranch_scc0 .LBB197_34
	s_branch .LBB197_39
.LBB197_35:
	v_max_i64 v[4:5], v[6:7], s[4:5]
	s_delay_alu instid0(VALU_DEP_1)
	v_min_i64 v[4:5], v[4:5], s[6:7]
	s_cbranch_execz .LBB197_28
	s_branch .LBB197_29
.LBB197_36:
                                        ; implicit-def: $vgpr3
	s_branch .LBB197_43
.LBB197_37:
	v_dual_mov_b32 v3, 0 :: v_dual_mov_b32 v2, 0
	s_branch .LBB197_42
.LBB197_38:
	v_mov_b64_e32 v[2:3], 0
	v_mov_b32_e32 v1, v0
	s_mov_b32 s26, 0
.LBB197_39:
	s_and_b32 s18, s18, 3
	s_mov_b32 s27, 0
	s_cmp_eq_u32 s18, 0
	s_cbranch_scc1 .LBB197_42
; %bb.40:
	s_lshl_b32 s28, s26, 3
	s_mov_b32 s29, s27
	s_mul_u64 s[30:31], s[26:27], 12
	s_add_nc_u64 s[28:29], s[16:17], s[28:29]
	s_delay_alu instid0(SALU_CYCLE_1)
	s_add_nc_u64 s[26:27], s[28:29], 0xc4
	s_add_nc_u64 s[28:29], s[16:17], s[30:31]
.LBB197_41:                             ; =>This Inner Loop Header: Depth=1
	s_load_b96 s[44:46], s[28:29], 0x4
	s_load_b64 s[30:31], s[26:27], 0x0
	s_add_co_i32 s18, s18, -1
	s_wait_xcnt 0x0
	s_add_nc_u64 s[28:29], s[28:29], 12
	s_cmp_lg_u32 s18, 0
	s_add_nc_u64 s[26:27], s[26:27], 8
	s_wait_kmcnt 0x0
	v_mul_hi_u32 v4, s45, v1
	s_delay_alu instid0(VALU_DEP_1) | instskip(NEXT) | instid1(VALU_DEP_1)
	v_add_nc_u32_e32 v4, v1, v4
	v_lshrrev_b32_e32 v4, s46, v4
	s_delay_alu instid0(VALU_DEP_1) | instskip(NEXT) | instid1(VALU_DEP_1)
	v_mul_lo_u32 v5, v4, s44
	v_sub_nc_u32_e32 v1, v1, v5
	s_delay_alu instid0(VALU_DEP_1)
	v_mad_u32 v3, v1, s31, v3
	v_mad_u32 v2, v1, s30, v2
	v_mov_b32_e32 v1, v4
	s_cbranch_scc1 .LBB197_41
.LBB197_42:
	s_cbranch_execnz .LBB197_45
.LBB197_43:
	v_mov_b32_e32 v1, 0
	s_and_not1_b32 vcc_lo, exec_lo, s38
	s_delay_alu instid0(VALU_DEP_1) | instskip(NEXT) | instid1(VALU_DEP_1)
	v_mul_u64_e32 v[2:3], s[20:21], v[0:1]
	v_add_nc_u32_e32 v2, v0, v3
	s_delay_alu instid0(VALU_DEP_1) | instskip(NEXT) | instid1(VALU_DEP_1)
	v_lshrrev_b32_e32 v4, s10, v2
	v_mul_lo_u32 v2, v4, s8
	s_delay_alu instid0(VALU_DEP_1) | instskip(NEXT) | instid1(VALU_DEP_1)
	v_sub_nc_u32_e32 v2, v0, v2
	v_mul_lo_u32 v3, v2, s13
	v_mul_lo_u32 v2, v2, s12
	s_cbranch_vccnz .LBB197_45
; %bb.44:
	v_mov_b32_e32 v5, v1
	s_delay_alu instid0(VALU_DEP_1) | instskip(NEXT) | instid1(VALU_DEP_1)
	v_mul_u64_e32 v[6:7], s[22:23], v[4:5]
	v_add_nc_u32_e32 v1, v4, v7
	s_delay_alu instid0(VALU_DEP_1) | instskip(NEXT) | instid1(VALU_DEP_1)
	v_lshrrev_b32_e32 v1, s19, v1
	v_mul_lo_u32 v1, v1, s11
	s_delay_alu instid0(VALU_DEP_1) | instskip(NEXT) | instid1(VALU_DEP_1)
	v_sub_nc_u32_e32 v1, v4, v1
	v_mad_u32 v2, v1, s14, v2
	v_mad_u32 v3, v1, s15, v3
.LBB197_45:
	global_load_b64 v[6:7], v3, s[2:3]
	s_cmp_lt_i32 s37, 1
	s_mov_b32 s18, 0
	s_cbranch_scc1 .LBB197_48
; %bb.46:
	s_cmp_eq_u32 s37, 1
	s_cbranch_scc0 .LBB197_49
; %bb.47:
	s_wait_loadcnt 0x0
	v_min_i64 v[4:5], v[6:7], s[4:5]
	s_mov_b32 s26, 0
	s_branch .LBB197_50
.LBB197_48:
	s_mov_b32 s26, 0
                                        ; implicit-def: $vgpr4_vgpr5
	s_cbranch_execnz .LBB197_51
	s_branch .LBB197_52
.LBB197_49:
	s_mov_b32 s26, -1
                                        ; implicit-def: $vgpr4_vgpr5
.LBB197_50:
	s_branch .LBB197_52
.LBB197_51:
	s_cmp_lg_u32 s37, 0
	s_mov_b32 s18, -1
	s_cselect_b32 s26, -1, 0
.LBB197_52:
	s_wait_loadcnt 0x0
	v_max_i64 v[8:9], v[6:7], s[4:5]
	s_and_not1_b32 vcc_lo, exec_lo, s26
	s_cbranch_vccz .LBB197_61
; %bb.53:
	s_and_not1_b32 vcc_lo, exec_lo, s18
	s_cbranch_vccnz .LBB197_55
.LBB197_54:
	s_delay_alu instid0(VALU_DEP_1)
	v_mov_b64_e32 v[4:5], v[8:9]
.LBB197_55:
	v_add_nc_u32_e32 v0, 0x80, v0
	global_store_b64 v2, v[4:5], s[0:1]
	s_wait_xcnt 0x0
	s_or_b32 exec_lo, exec_lo, s9
	s_delay_alu instid0(SALU_CYCLE_1)
	s_mov_b32 s9, exec_lo
	v_cmpx_gt_i32_e64 s39, v0
	s_cbranch_execz .LBB197_4
.LBB197_56:
	s_and_not1_b32 vcc_lo, exec_lo, s35
	s_cbranch_vccnz .LBB197_62
; %bb.57:
	s_and_not1_b32 vcc_lo, exec_lo, s41
	s_cbranch_vccnz .LBB197_63
; %bb.58:
	s_add_co_i32 s18, s40, 1
	s_cmp_eq_u32 s34, 2
	s_cbranch_scc1 .LBB197_64
; %bb.59:
	v_dual_mov_b32 v2, 0 :: v_dual_mov_b32 v3, 0
	v_mov_b32_e32 v1, v0
	s_and_b32 s26, s18, 28
	s_mov_b32 s27, 0
	s_mov_b64 s[28:29], s[16:17]
	s_mov_b64 s[30:31], s[24:25]
.LBB197_60:                             ; =>This Inner Loop Header: Depth=1
	s_clause 0x1
	s_load_b256 s[44:51], s[28:29], 0x4
	s_load_b128 s[60:63], s[28:29], 0x24
	s_load_b256 s[52:59], s[30:31], 0x0
	s_add_co_i32 s27, s27, 4
	s_wait_xcnt 0x0
	s_add_nc_u64 s[28:29], s[28:29], 48
	s_cmp_eq_u32 s26, s27
	s_add_nc_u64 s[30:31], s[30:31], 32
	s_wait_kmcnt 0x0
	v_mul_hi_u32 v4, s45, v1
	s_delay_alu instid0(VALU_DEP_1) | instskip(NEXT) | instid1(VALU_DEP_1)
	v_add_nc_u32_e32 v4, v1, v4
	v_lshrrev_b32_e32 v4, s46, v4
	s_delay_alu instid0(VALU_DEP_1) | instskip(NEXT) | instid1(VALU_DEP_1)
	v_mul_hi_u32 v5, s48, v4
	v_add_nc_u32_e32 v5, v4, v5
	s_delay_alu instid0(VALU_DEP_1) | instskip(NEXT) | instid1(VALU_DEP_1)
	v_lshrrev_b32_e32 v5, s49, v5
	v_mul_hi_u32 v6, s51, v5
	s_delay_alu instid0(VALU_DEP_1) | instskip(SKIP_1) | instid1(VALU_DEP_1)
	v_add_nc_u32_e32 v6, v5, v6
	v_mul_lo_u32 v7, v4, s44
	v_sub_nc_u32_e32 v1, v1, v7
	v_mul_lo_u32 v7, v5, s47
	s_delay_alu instid0(VALU_DEP_4) | instskip(NEXT) | instid1(VALU_DEP_3)
	v_lshrrev_b32_e32 v6, s60, v6
	v_mad_u32 v3, v1, s53, v3
	v_mad_u32 v1, v1, s52, v2
	s_delay_alu instid0(VALU_DEP_4) | instskip(NEXT) | instid1(VALU_DEP_4)
	v_sub_nc_u32_e32 v2, v4, v7
	v_mul_hi_u32 v8, s62, v6
	v_mul_lo_u32 v4, v6, s50
	s_delay_alu instid0(VALU_DEP_3) | instskip(SKIP_1) | instid1(VALU_DEP_4)
	v_mad_u32 v3, v2, s55, v3
	v_mad_u32 v2, v2, s54, v1
	v_add_nc_u32_e32 v7, v6, v8
	s_delay_alu instid0(VALU_DEP_1) | instskip(NEXT) | instid1(VALU_DEP_1)
	v_dual_sub_nc_u32 v4, v5, v4 :: v_dual_lshrrev_b32 v1, s63, v7
	v_mad_u32 v3, v4, s57, v3
	s_delay_alu instid0(VALU_DEP_4) | instskip(NEXT) | instid1(VALU_DEP_3)
	v_mad_u32 v2, v4, s56, v2
	v_mul_lo_u32 v5, v1, s61
	s_delay_alu instid0(VALU_DEP_1) | instskip(NEXT) | instid1(VALU_DEP_1)
	v_sub_nc_u32_e32 v4, v6, v5
	v_mad_u32 v3, v4, s59, v3
	s_delay_alu instid0(VALU_DEP_4)
	v_mad_u32 v2, v4, s58, v2
	s_cbranch_scc0 .LBB197_60
	s_branch .LBB197_65
.LBB197_61:
	v_max_i64 v[4:5], v[6:7], s[4:5]
	s_delay_alu instid0(VALU_DEP_1)
	v_min_i64 v[4:5], v[4:5], s[6:7]
	s_cbranch_execz .LBB197_54
	s_branch .LBB197_55
.LBB197_62:
                                        ; implicit-def: $vgpr3
	s_branch .LBB197_69
.LBB197_63:
	v_dual_mov_b32 v3, 0 :: v_dual_mov_b32 v2, 0
	s_branch .LBB197_68
.LBB197_64:
	v_mov_b64_e32 v[2:3], 0
	v_mov_b32_e32 v1, v0
	s_mov_b32 s26, 0
.LBB197_65:
	s_and_b32 s18, s18, 3
	s_mov_b32 s27, 0
	s_cmp_eq_u32 s18, 0
	s_cbranch_scc1 .LBB197_68
; %bb.66:
	s_lshl_b32 s28, s26, 3
	s_mov_b32 s29, s27
	s_mul_u64 s[30:31], s[26:27], 12
	s_add_nc_u64 s[28:29], s[16:17], s[28:29]
	s_delay_alu instid0(SALU_CYCLE_1)
	s_add_nc_u64 s[26:27], s[28:29], 0xc4
	s_add_nc_u64 s[28:29], s[16:17], s[30:31]
.LBB197_67:                             ; =>This Inner Loop Header: Depth=1
	s_load_b96 s[44:46], s[28:29], 0x4
	s_load_b64 s[30:31], s[26:27], 0x0
	s_add_co_i32 s18, s18, -1
	s_wait_xcnt 0x0
	s_add_nc_u64 s[28:29], s[28:29], 12
	s_cmp_lg_u32 s18, 0
	s_add_nc_u64 s[26:27], s[26:27], 8
	s_wait_kmcnt 0x0
	v_mul_hi_u32 v4, s45, v1
	s_delay_alu instid0(VALU_DEP_1) | instskip(NEXT) | instid1(VALU_DEP_1)
	v_add_nc_u32_e32 v4, v1, v4
	v_lshrrev_b32_e32 v4, s46, v4
	s_delay_alu instid0(VALU_DEP_1) | instskip(NEXT) | instid1(VALU_DEP_1)
	v_mul_lo_u32 v5, v4, s44
	v_sub_nc_u32_e32 v1, v1, v5
	s_delay_alu instid0(VALU_DEP_1)
	v_mad_u32 v3, v1, s31, v3
	v_mad_u32 v2, v1, s30, v2
	v_mov_b32_e32 v1, v4
	s_cbranch_scc1 .LBB197_67
.LBB197_68:
	s_cbranch_execnz .LBB197_71
.LBB197_69:
	v_mov_b32_e32 v1, 0
	s_and_not1_b32 vcc_lo, exec_lo, s38
	s_delay_alu instid0(VALU_DEP_1) | instskip(NEXT) | instid1(VALU_DEP_1)
	v_mul_u64_e32 v[2:3], s[20:21], v[0:1]
	v_add_nc_u32_e32 v2, v0, v3
	s_delay_alu instid0(VALU_DEP_1) | instskip(NEXT) | instid1(VALU_DEP_1)
	v_lshrrev_b32_e32 v4, s10, v2
	v_mul_lo_u32 v2, v4, s8
	s_delay_alu instid0(VALU_DEP_1) | instskip(NEXT) | instid1(VALU_DEP_1)
	v_sub_nc_u32_e32 v2, v0, v2
	v_mul_lo_u32 v3, v2, s13
	v_mul_lo_u32 v2, v2, s12
	s_cbranch_vccnz .LBB197_71
; %bb.70:
	v_mov_b32_e32 v5, v1
	s_delay_alu instid0(VALU_DEP_1) | instskip(NEXT) | instid1(VALU_DEP_1)
	v_mul_u64_e32 v[6:7], s[22:23], v[4:5]
	v_add_nc_u32_e32 v1, v4, v7
	s_delay_alu instid0(VALU_DEP_1) | instskip(NEXT) | instid1(VALU_DEP_1)
	v_lshrrev_b32_e32 v1, s19, v1
	v_mul_lo_u32 v1, v1, s11
	s_delay_alu instid0(VALU_DEP_1) | instskip(NEXT) | instid1(VALU_DEP_1)
	v_sub_nc_u32_e32 v1, v4, v1
	v_mad_u32 v2, v1, s14, v2
	v_mad_u32 v3, v1, s15, v3
.LBB197_71:
	global_load_b64 v[6:7], v3, s[2:3]
	s_cmp_lt_i32 s37, 1
	s_mov_b32 s18, 0
	s_cbranch_scc1 .LBB197_74
; %bb.72:
	s_cmp_eq_u32 s37, 1
	s_cbranch_scc0 .LBB197_75
; %bb.73:
	s_wait_loadcnt 0x0
	v_min_i64 v[4:5], v[6:7], s[4:5]
	s_mov_b32 s26, 0
	s_branch .LBB197_76
.LBB197_74:
	s_mov_b32 s26, 0
                                        ; implicit-def: $vgpr4_vgpr5
	s_cbranch_execnz .LBB197_77
	s_branch .LBB197_78
.LBB197_75:
	s_mov_b32 s26, -1
                                        ; implicit-def: $vgpr4_vgpr5
.LBB197_76:
	s_branch .LBB197_78
.LBB197_77:
	s_cmp_lg_u32 s37, 0
	s_mov_b32 s18, -1
	s_cselect_b32 s26, -1, 0
.LBB197_78:
	s_wait_loadcnt 0x0
	v_max_i64 v[8:9], v[6:7], s[4:5]
	s_and_not1_b32 vcc_lo, exec_lo, s26
	s_cbranch_vccz .LBB197_87
; %bb.79:
	s_and_not1_b32 vcc_lo, exec_lo, s18
	s_cbranch_vccnz .LBB197_81
.LBB197_80:
	s_delay_alu instid0(VALU_DEP_1)
	v_mov_b64_e32 v[4:5], v[8:9]
.LBB197_81:
	v_add_nc_u32_e32 v0, 0x80, v0
	global_store_b64 v2, v[4:5], s[0:1]
	s_wait_xcnt 0x0
	s_or_b32 exec_lo, exec_lo, s9
	s_delay_alu instid0(SALU_CYCLE_1)
	s_mov_b32 s9, exec_lo
	v_cmpx_gt_i32_e64 s39, v0
	s_cbranch_execz .LBB197_108
.LBB197_82:
	s_and_not1_b32 vcc_lo, exec_lo, s35
	s_cbranch_vccnz .LBB197_88
; %bb.83:
	s_and_not1_b32 vcc_lo, exec_lo, s41
	s_cbranch_vccnz .LBB197_89
; %bb.84:
	s_add_co_i32 s40, s40, 1
	s_cmp_eq_u32 s34, 2
	s_cbranch_scc1 .LBB197_90
; %bb.85:
	v_dual_mov_b32 v2, 0 :: v_dual_mov_b32 v3, 0
	v_mov_b32_e32 v1, v0
	s_and_b32 s26, s40, 28
	s_mov_b32 s18, 0
	s_mov_b64 s[28:29], s[16:17]
.LBB197_86:                             ; =>This Inner Loop Header: Depth=1
	s_clause 0x1
	s_load_b256 s[44:51], s[28:29], 0x4
	s_load_b128 s[60:63], s[28:29], 0x24
	s_load_b256 s[52:59], s[24:25], 0x0
	s_add_co_i32 s18, s18, 4
	s_wait_xcnt 0x0
	s_add_nc_u64 s[28:29], s[28:29], 48
	s_cmp_eq_u32 s26, s18
	s_add_nc_u64 s[24:25], s[24:25], 32
	s_wait_kmcnt 0x0
	v_mul_hi_u32 v4, s45, v1
	s_delay_alu instid0(VALU_DEP_1) | instskip(NEXT) | instid1(VALU_DEP_1)
	v_add_nc_u32_e32 v4, v1, v4
	v_lshrrev_b32_e32 v4, s46, v4
	s_delay_alu instid0(VALU_DEP_1) | instskip(NEXT) | instid1(VALU_DEP_1)
	v_mul_hi_u32 v5, s48, v4
	v_add_nc_u32_e32 v5, v4, v5
	s_delay_alu instid0(VALU_DEP_1) | instskip(NEXT) | instid1(VALU_DEP_1)
	v_lshrrev_b32_e32 v5, s49, v5
	v_mul_hi_u32 v6, s51, v5
	s_delay_alu instid0(VALU_DEP_1) | instskip(SKIP_1) | instid1(VALU_DEP_1)
	v_add_nc_u32_e32 v6, v5, v6
	v_mul_lo_u32 v7, v4, s44
	v_sub_nc_u32_e32 v1, v1, v7
	v_mul_lo_u32 v7, v5, s47
	s_delay_alu instid0(VALU_DEP_4) | instskip(NEXT) | instid1(VALU_DEP_3)
	v_lshrrev_b32_e32 v6, s60, v6
	v_mad_u32 v3, v1, s53, v3
	v_mad_u32 v1, v1, s52, v2
	s_delay_alu instid0(VALU_DEP_4) | instskip(NEXT) | instid1(VALU_DEP_4)
	v_sub_nc_u32_e32 v2, v4, v7
	v_mul_hi_u32 v8, s62, v6
	v_mul_lo_u32 v4, v6, s50
	s_delay_alu instid0(VALU_DEP_3) | instskip(SKIP_1) | instid1(VALU_DEP_4)
	v_mad_u32 v3, v2, s55, v3
	v_mad_u32 v2, v2, s54, v1
	v_add_nc_u32_e32 v7, v6, v8
	s_delay_alu instid0(VALU_DEP_1) | instskip(NEXT) | instid1(VALU_DEP_1)
	v_dual_sub_nc_u32 v4, v5, v4 :: v_dual_lshrrev_b32 v1, s63, v7
	v_mad_u32 v3, v4, s57, v3
	s_delay_alu instid0(VALU_DEP_4) | instskip(NEXT) | instid1(VALU_DEP_3)
	v_mad_u32 v2, v4, s56, v2
	v_mul_lo_u32 v5, v1, s61
	s_delay_alu instid0(VALU_DEP_1) | instskip(NEXT) | instid1(VALU_DEP_1)
	v_sub_nc_u32_e32 v4, v6, v5
	v_mad_u32 v3, v4, s59, v3
	s_delay_alu instid0(VALU_DEP_4)
	v_mad_u32 v2, v4, s58, v2
	s_cbranch_scc0 .LBB197_86
	s_branch .LBB197_91
.LBB197_87:
	v_max_i64 v[4:5], v[6:7], s[4:5]
	s_delay_alu instid0(VALU_DEP_1)
	v_min_i64 v[4:5], v[4:5], s[6:7]
	s_cbranch_execz .LBB197_80
	s_branch .LBB197_81
.LBB197_88:
                                        ; implicit-def: $vgpr3
	s_branch .LBB197_95
.LBB197_89:
	v_dual_mov_b32 v3, 0 :: v_dual_mov_b32 v2, 0
	s_branch .LBB197_94
.LBB197_90:
	v_mov_b64_e32 v[2:3], 0
	v_mov_b32_e32 v1, v0
	s_mov_b32 s26, 0
.LBB197_91:
	s_and_b32 s18, s40, 3
	s_mov_b32 s27, 0
	s_cmp_eq_u32 s18, 0
	s_cbranch_scc1 .LBB197_94
; %bb.92:
	s_lshl_b32 s24, s26, 3
	s_mov_b32 s25, s27
	s_mul_u64 s[26:27], s[26:27], 12
	s_add_nc_u64 s[24:25], s[16:17], s[24:25]
	s_add_nc_u64 s[26:27], s[16:17], s[26:27]
	;; [unrolled: 1-line block ×3, first 2 shown]
.LBB197_93:                             ; =>This Inner Loop Header: Depth=1
	s_load_b96 s[28:30], s[26:27], 0x4
	s_add_co_i32 s18, s18, -1
	s_wait_xcnt 0x0
	s_add_nc_u64 s[26:27], s[26:27], 12
	s_cmp_lg_u32 s18, 0
	s_wait_kmcnt 0x0
	v_mul_hi_u32 v4, s29, v1
	s_delay_alu instid0(VALU_DEP_1) | instskip(NEXT) | instid1(VALU_DEP_1)
	v_add_nc_u32_e32 v4, v1, v4
	v_lshrrev_b32_e32 v4, s30, v4
	s_load_b64 s[30:31], s[24:25], 0x0
	s_wait_xcnt 0x0
	s_add_nc_u64 s[24:25], s[24:25], 8
	s_delay_alu instid0(VALU_DEP_1) | instskip(NEXT) | instid1(VALU_DEP_1)
	v_mul_lo_u32 v5, v4, s28
	v_sub_nc_u32_e32 v1, v1, v5
	s_wait_kmcnt 0x0
	s_delay_alu instid0(VALU_DEP_1)
	v_mad_u32 v3, v1, s31, v3
	v_mad_u32 v2, v1, s30, v2
	v_mov_b32_e32 v1, v4
	s_cbranch_scc1 .LBB197_93
.LBB197_94:
	s_cbranch_execnz .LBB197_97
.LBB197_95:
	v_mov_b32_e32 v1, 0
	s_and_not1_b32 vcc_lo, exec_lo, s38
	s_delay_alu instid0(VALU_DEP_1) | instskip(NEXT) | instid1(VALU_DEP_1)
	v_mul_u64_e32 v[2:3], s[20:21], v[0:1]
	v_add_nc_u32_e32 v2, v0, v3
	s_delay_alu instid0(VALU_DEP_1) | instskip(NEXT) | instid1(VALU_DEP_1)
	v_lshrrev_b32_e32 v4, s10, v2
	v_mul_lo_u32 v2, v4, s8
	s_delay_alu instid0(VALU_DEP_1) | instskip(NEXT) | instid1(VALU_DEP_1)
	v_sub_nc_u32_e32 v0, v0, v2
	v_mul_lo_u32 v3, v0, s13
	v_mul_lo_u32 v2, v0, s12
	s_cbranch_vccnz .LBB197_97
; %bb.96:
	v_mov_b32_e32 v5, v1
	s_delay_alu instid0(VALU_DEP_1) | instskip(NEXT) | instid1(VALU_DEP_1)
	v_mul_u64_e32 v[0:1], s[22:23], v[4:5]
	v_add_nc_u32_e32 v0, v4, v1
	s_delay_alu instid0(VALU_DEP_1) | instskip(NEXT) | instid1(VALU_DEP_1)
	v_lshrrev_b32_e32 v0, s19, v0
	v_mul_lo_u32 v0, v0, s11
	s_delay_alu instid0(VALU_DEP_1) | instskip(NEXT) | instid1(VALU_DEP_1)
	v_sub_nc_u32_e32 v0, v4, v0
	v_mad_u32 v2, v0, s14, v2
	v_mad_u32 v3, v0, s15, v3
.LBB197_97:
	global_load_b64 v[4:5], v3, s[2:3]
	s_cmp_lt_i32 s37, 1
	s_wait_xcnt 0x0
	s_mov_b32 s2, 0
	s_cbranch_scc1 .LBB197_100
; %bb.98:
	s_cmp_eq_u32 s37, 1
	s_cbranch_scc0 .LBB197_101
; %bb.99:
	s_wait_loadcnt 0x0
	v_min_i64 v[0:1], v[4:5], s[4:5]
	s_mov_b32 s3, 0
	s_branch .LBB197_102
.LBB197_100:
	s_mov_b32 s3, 0
                                        ; implicit-def: $vgpr0_vgpr1
	s_cbranch_execnz .LBB197_103
	s_branch .LBB197_104
.LBB197_101:
	s_mov_b32 s3, -1
                                        ; implicit-def: $vgpr0_vgpr1
.LBB197_102:
	s_branch .LBB197_104
.LBB197_103:
	s_cmp_lg_u32 s37, 0
	s_mov_b32 s2, -1
	s_cselect_b32 s3, -1, 0
.LBB197_104:
	s_wait_loadcnt 0x0
	v_max_i64 v[6:7], v[4:5], s[4:5]
	s_and_not1_b32 vcc_lo, exec_lo, s3
	s_cbranch_vccz .LBB197_118
; %bb.105:
	s_and_not1_b32 vcc_lo, exec_lo, s2
	s_cbranch_vccnz .LBB197_107
.LBB197_106:
	s_delay_alu instid0(VALU_DEP_1)
	v_mov_b64_e32 v[0:1], v[6:7]
.LBB197_107:
	global_store_b64 v2, v[0:1], s[0:1]
.LBB197_108:
	s_wait_xcnt 0x0
	s_or_b32 exec_lo, exec_lo, s9
                                        ; implicit-def: $vgpr8
                                        ; implicit-def: $vgpr0
.LBB197_109:
	s_and_not1_saveexec_b32 s0, s36
	s_cbranch_execz .LBB197_116
; %bb.110:
	v_cndmask_b32_e64 v6, 0, 1, s35
	s_and_not1_b32 vcc_lo, exec_lo, s35
	s_cbranch_vccnz .LBB197_117
; %bb.111:
	s_cmp_lg_u32 s33, 0
	s_mov_b32 s6, 0
	s_cbranch_scc0 .LBB197_119
; %bb.112:
	s_min_u32 s1, s34, 15
	s_delay_alu instid0(SALU_CYCLE_1)
	s_add_co_i32 s1, s1, 1
	s_cmp_eq_u32 s34, 2
	s_cbranch_scc1 .LBB197_120
; %bb.113:
	v_dual_mov_b32 v2, 0 :: v_dual_mov_b32 v3, 0
	v_mov_b32_e32 v1, v0
	s_and_b32 s0, s1, 28
	s_add_nc_u64 s[2:3], s[16:17], 0xc4
	s_mov_b32 s7, 0
	s_mov_b64 s[4:5], s[16:17]
.LBB197_114:                            ; =>This Inner Loop Header: Depth=1
	s_clause 0x1
	s_load_b256 s[8:15], s[4:5], 0x4
	s_load_b128 s[28:31], s[4:5], 0x24
	s_load_b256 s[20:27], s[2:3], 0x0
	s_add_co_i32 s7, s7, 4
	s_wait_xcnt 0x0
	s_add_nc_u64 s[4:5], s[4:5], 48
	s_cmp_lg_u32 s0, s7
	s_add_nc_u64 s[2:3], s[2:3], 32
	s_wait_kmcnt 0x0
	v_mul_hi_u32 v4, s9, v1
	s_delay_alu instid0(VALU_DEP_1) | instskip(NEXT) | instid1(VALU_DEP_1)
	v_add_nc_u32_e32 v4, v1, v4
	v_lshrrev_b32_e32 v4, s10, v4
	s_delay_alu instid0(VALU_DEP_1) | instskip(NEXT) | instid1(VALU_DEP_1)
	v_mul_hi_u32 v5, s12, v4
	v_add_nc_u32_e32 v5, v4, v5
	s_delay_alu instid0(VALU_DEP_1) | instskip(NEXT) | instid1(VALU_DEP_1)
	v_lshrrev_b32_e32 v5, s13, v5
	v_mul_hi_u32 v7, s15, v5
	s_delay_alu instid0(VALU_DEP_1) | instskip(SKIP_1) | instid1(VALU_DEP_2)
	v_add_nc_u32_e32 v7, v5, v7
	v_mul_lo_u32 v9, v4, s8
	v_lshrrev_b32_e32 v7, s28, v7
	s_delay_alu instid0(VALU_DEP_1) | instskip(NEXT) | instid1(VALU_DEP_3)
	v_mul_hi_u32 v10, s30, v7
	v_sub_nc_u32_e32 v1, v1, v9
	v_mul_lo_u32 v9, v5, s11
	s_delay_alu instid0(VALU_DEP_2) | instskip(SKIP_1) | instid1(VALU_DEP_3)
	v_mad_u32 v3, v1, s21, v3
	v_mad_u32 v1, v1, s20, v2
	v_sub_nc_u32_e32 v2, v4, v9
	v_mul_lo_u32 v4, v7, s14
	v_add_nc_u32_e32 v9, v7, v10
	s_delay_alu instid0(VALU_DEP_3) | instskip(SKIP_1) | instid1(VALU_DEP_3)
	v_mad_u32 v3, v2, s23, v3
	v_mad_u32 v2, v2, s22, v1
	v_dual_sub_nc_u32 v4, v5, v4 :: v_dual_lshrrev_b32 v1, s31, v9
	s_delay_alu instid0(VALU_DEP_1) | instskip(NEXT) | instid1(VALU_DEP_2)
	v_mad_u32 v3, v4, s25, v3
	v_mul_lo_u32 v5, v1, s29
	s_delay_alu instid0(VALU_DEP_4) | instskip(NEXT) | instid1(VALU_DEP_2)
	v_mad_u32 v2, v4, s24, v2
	v_sub_nc_u32_e32 v4, v7, v5
	s_delay_alu instid0(VALU_DEP_1) | instskip(NEXT) | instid1(VALU_DEP_3)
	v_mad_u32 v3, v4, s27, v3
	v_mad_u32 v2, v4, s26, v2
	s_cbranch_scc1 .LBB197_114
; %bb.115:
	s_and_b32 s4, s1, 3
	s_mov_b32 s1, 0
	s_cmp_eq_u32 s4, 0
	s_cbranch_scc0 .LBB197_121
	s_branch .LBB197_123
.LBB197_116:
	s_endpgm
.LBB197_117:
	s_mov_b32 s6, -1
                                        ; implicit-def: $vgpr3
	s_branch .LBB197_123
.LBB197_118:
	v_max_i64 v[0:1], v[4:5], s[4:5]
	s_delay_alu instid0(VALU_DEP_1)
	v_min_i64 v[0:1], v[0:1], s[6:7]
	s_cbranch_execz .LBB197_106
	s_branch .LBB197_107
.LBB197_119:
	v_dual_mov_b32 v3, 0 :: v_dual_mov_b32 v2, 0
	s_branch .LBB197_123
.LBB197_120:
	v_mov_b64_e32 v[2:3], 0
	v_mov_b32_e32 v1, v0
	s_mov_b32 s0, 0
	s_and_b32 s4, s1, 3
	s_mov_b32 s1, 0
	s_cmp_eq_u32 s4, 0
	s_cbranch_scc1 .LBB197_123
.LBB197_121:
	s_lshl_b32 s2, s0, 3
	s_mov_b32 s3, s1
	s_mul_u64 s[8:9], s[0:1], 12
	s_add_nc_u64 s[2:3], s[16:17], s[2:3]
	s_delay_alu instid0(SALU_CYCLE_1)
	s_add_nc_u64 s[0:1], s[2:3], 0xc4
	s_add_nc_u64 s[2:3], s[16:17], s[8:9]
.LBB197_122:                            ; =>This Inner Loop Header: Depth=1
	s_load_b96 s[8:10], s[2:3], 0x4
	s_add_co_i32 s4, s4, -1
	s_wait_xcnt 0x0
	s_add_nc_u64 s[2:3], s[2:3], 12
	s_cmp_lg_u32 s4, 0
	s_wait_kmcnt 0x0
	v_mul_hi_u32 v4, s9, v1
	s_delay_alu instid0(VALU_DEP_1) | instskip(NEXT) | instid1(VALU_DEP_1)
	v_add_nc_u32_e32 v4, v1, v4
	v_lshrrev_b32_e32 v4, s10, v4
	s_load_b64 s[10:11], s[0:1], 0x0
	s_wait_xcnt 0x0
	s_add_nc_u64 s[0:1], s[0:1], 8
	s_delay_alu instid0(VALU_DEP_1) | instskip(NEXT) | instid1(VALU_DEP_1)
	v_mul_lo_u32 v5, v4, s8
	v_sub_nc_u32_e32 v1, v1, v5
	s_wait_kmcnt 0x0
	s_delay_alu instid0(VALU_DEP_1)
	v_mad_u32 v3, v1, s11, v3
	v_mad_u32 v2, v1, s10, v2
	v_mov_b32_e32 v1, v4
	s_cbranch_scc1 .LBB197_122
.LBB197_123:
	s_and_not1_b32 vcc_lo, exec_lo, s6
	s_cbranch_vccnz .LBB197_126
; %bb.124:
	s_clause 0x1
	s_load_b96 s[0:2], s[16:17], 0x4
	s_load_b64 s[4:5], s[16:17], 0xc4
	s_cmp_lt_u32 s33, 2
	s_wait_kmcnt 0x0
	v_mul_hi_u32 v1, s1, v0
	s_delay_alu instid0(VALU_DEP_1) | instskip(NEXT) | instid1(VALU_DEP_1)
	v_add_nc_u32_e32 v1, v0, v1
	v_lshrrev_b32_e32 v1, s2, v1
	s_delay_alu instid0(VALU_DEP_1) | instskip(NEXT) | instid1(VALU_DEP_1)
	v_mul_lo_u32 v2, v1, s0
	v_sub_nc_u32_e32 v2, v0, v2
	s_delay_alu instid0(VALU_DEP_1)
	v_mul_lo_u32 v3, v2, s5
	v_mul_lo_u32 v2, v2, s4
	s_cbranch_scc1 .LBB197_126
; %bb.125:
	s_clause 0x1
	s_load_b96 s[0:2], s[16:17], 0x10
	s_load_b64 s[4:5], s[16:17], 0xcc
	s_wait_kmcnt 0x0
	v_mul_hi_u32 v4, s1, v1
	s_delay_alu instid0(VALU_DEP_1) | instskip(NEXT) | instid1(VALU_DEP_1)
	v_add_nc_u32_e32 v4, v1, v4
	v_lshrrev_b32_e32 v4, s2, v4
	s_delay_alu instid0(VALU_DEP_1) | instskip(NEXT) | instid1(VALU_DEP_1)
	v_mul_lo_u32 v4, v4, s0
	v_sub_nc_u32_e32 v1, v1, v4
	s_delay_alu instid0(VALU_DEP_1)
	v_mad_u32 v2, v1, s4, v2
	v_mad_u32 v3, v1, s5, v3
.LBB197_126:
	v_cmp_ne_u32_e32 vcc_lo, 1, v6
	v_add_nc_u32_e32 v1, 0x80, v0
	s_cbranch_vccnz .LBB197_132
; %bb.127:
	s_cmp_lg_u32 s33, 0
	s_mov_b32 s6, 0
	s_cbranch_scc0 .LBB197_133
; %bb.128:
	s_min_u32 s1, s34, 15
	s_delay_alu instid0(SALU_CYCLE_1)
	s_add_co_i32 s1, s1, 1
	s_cmp_eq_u32 s34, 2
	s_cbranch_scc1 .LBB197_134
; %bb.129:
	v_dual_mov_b32 v4, 0 :: v_dual_mov_b32 v5, 0
	v_mov_b32_e32 v7, v1
	s_and_b32 s0, s1, 28
	s_add_nc_u64 s[2:3], s[16:17], 0xc4
	s_mov_b32 s7, 0
	s_mov_b64 s[4:5], s[16:17]
.LBB197_130:                            ; =>This Inner Loop Header: Depth=1
	s_clause 0x1
	s_load_b256 s[8:15], s[4:5], 0x4
	s_load_b128 s[28:31], s[4:5], 0x24
	s_load_b256 s[20:27], s[2:3], 0x0
	s_add_co_i32 s7, s7, 4
	s_wait_xcnt 0x0
	s_add_nc_u64 s[4:5], s[4:5], 48
	s_cmp_lg_u32 s0, s7
	s_add_nc_u64 s[2:3], s[2:3], 32
	s_wait_kmcnt 0x0
	v_mul_hi_u32 v9, s9, v7
	s_delay_alu instid0(VALU_DEP_1) | instskip(NEXT) | instid1(VALU_DEP_1)
	v_add_nc_u32_e32 v9, v7, v9
	v_lshrrev_b32_e32 v9, s10, v9
	s_delay_alu instid0(VALU_DEP_1) | instskip(NEXT) | instid1(VALU_DEP_1)
	v_mul_hi_u32 v10, s12, v9
	v_add_nc_u32_e32 v10, v9, v10
	s_delay_alu instid0(VALU_DEP_1) | instskip(NEXT) | instid1(VALU_DEP_1)
	v_lshrrev_b32_e32 v10, s13, v10
	v_mul_hi_u32 v11, s15, v10
	s_delay_alu instid0(VALU_DEP_1) | instskip(SKIP_1) | instid1(VALU_DEP_1)
	v_add_nc_u32_e32 v11, v10, v11
	v_mul_lo_u32 v12, v9, s8
	v_sub_nc_u32_e32 v7, v7, v12
	v_mul_lo_u32 v12, v10, s11
	s_delay_alu instid0(VALU_DEP_4) | instskip(NEXT) | instid1(VALU_DEP_3)
	v_lshrrev_b32_e32 v11, s28, v11
	v_mad_u32 v5, v7, s21, v5
	v_mad_u32 v4, v7, s20, v4
	s_delay_alu instid0(VALU_DEP_4) | instskip(NEXT) | instid1(VALU_DEP_4)
	v_sub_nc_u32_e32 v7, v9, v12
	v_mul_hi_u32 v13, s30, v11
	v_mul_lo_u32 v9, v11, s14
	s_delay_alu instid0(VALU_DEP_3) | instskip(SKIP_1) | instid1(VALU_DEP_4)
	v_mad_u32 v5, v7, s23, v5
	v_mad_u32 v4, v7, s22, v4
	v_add_nc_u32_e32 v12, v11, v13
	s_delay_alu instid0(VALU_DEP_1) | instskip(NEXT) | instid1(VALU_DEP_1)
	v_dual_sub_nc_u32 v9, v10, v9 :: v_dual_lshrrev_b32 v7, s31, v12
	v_mad_u32 v5, v9, s25, v5
	s_delay_alu instid0(VALU_DEP_4) | instskip(NEXT) | instid1(VALU_DEP_3)
	v_mad_u32 v4, v9, s24, v4
	v_mul_lo_u32 v10, v7, s29
	s_delay_alu instid0(VALU_DEP_1) | instskip(NEXT) | instid1(VALU_DEP_1)
	v_sub_nc_u32_e32 v9, v11, v10
	v_mad_u32 v5, v9, s27, v5
	s_delay_alu instid0(VALU_DEP_4)
	v_mad_u32 v4, v9, s26, v4
	s_cbranch_scc1 .LBB197_130
; %bb.131:
	s_and_b32 s4, s1, 3
	s_mov_b32 s1, 0
	s_cmp_eq_u32 s4, 0
	s_cbranch_scc0 .LBB197_135
	s_branch .LBB197_137
.LBB197_132:
	s_mov_b32 s6, -1
                                        ; implicit-def: $vgpr5
	s_branch .LBB197_137
.LBB197_133:
	v_dual_mov_b32 v5, 0 :: v_dual_mov_b32 v4, 0
	s_branch .LBB197_137
.LBB197_134:
	v_mov_b64_e32 v[4:5], 0
	v_mov_b32_e32 v7, v1
	s_mov_b32 s0, 0
	s_and_b32 s4, s1, 3
	s_mov_b32 s1, 0
	s_cmp_eq_u32 s4, 0
	s_cbranch_scc1 .LBB197_137
.LBB197_135:
	s_lshl_b32 s2, s0, 3
	s_mov_b32 s3, s1
	s_mul_u64 s[8:9], s[0:1], 12
	s_add_nc_u64 s[2:3], s[16:17], s[2:3]
	s_delay_alu instid0(SALU_CYCLE_1)
	s_add_nc_u64 s[0:1], s[2:3], 0xc4
	s_add_nc_u64 s[2:3], s[16:17], s[8:9]
.LBB197_136:                            ; =>This Inner Loop Header: Depth=1
	s_load_b96 s[8:10], s[2:3], 0x4
	s_add_co_i32 s4, s4, -1
	s_wait_xcnt 0x0
	s_add_nc_u64 s[2:3], s[2:3], 12
	s_cmp_lg_u32 s4, 0
	s_wait_kmcnt 0x0
	v_mul_hi_u32 v9, s9, v7
	s_delay_alu instid0(VALU_DEP_1) | instskip(NEXT) | instid1(VALU_DEP_1)
	v_add_nc_u32_e32 v9, v7, v9
	v_lshrrev_b32_e32 v9, s10, v9
	s_load_b64 s[10:11], s[0:1], 0x0
	s_wait_xcnt 0x0
	s_add_nc_u64 s[0:1], s[0:1], 8
	s_delay_alu instid0(VALU_DEP_1) | instskip(NEXT) | instid1(VALU_DEP_1)
	v_mul_lo_u32 v10, v9, s8
	v_sub_nc_u32_e32 v7, v7, v10
	s_wait_kmcnt 0x0
	s_delay_alu instid0(VALU_DEP_1)
	v_mad_u32 v5, v7, s11, v5
	v_mad_u32 v4, v7, s10, v4
	v_mov_b32_e32 v7, v9
	s_cbranch_scc1 .LBB197_136
.LBB197_137:
	s_and_not1_b32 vcc_lo, exec_lo, s6
	s_cbranch_vccnz .LBB197_140
; %bb.138:
	s_clause 0x1
	s_load_b96 s[0:2], s[16:17], 0x4
	s_load_b64 s[4:5], s[16:17], 0xc4
	s_cmp_lt_u32 s33, 2
	s_wait_kmcnt 0x0
	v_mul_hi_u32 v4, s1, v1
	s_delay_alu instid0(VALU_DEP_1) | instskip(NEXT) | instid1(VALU_DEP_1)
	v_add_nc_u32_e32 v4, v1, v4
	v_lshrrev_b32_e32 v7, s2, v4
	s_delay_alu instid0(VALU_DEP_1) | instskip(NEXT) | instid1(VALU_DEP_1)
	v_mul_lo_u32 v4, v7, s0
	v_sub_nc_u32_e32 v1, v1, v4
	s_delay_alu instid0(VALU_DEP_1)
	v_mul_lo_u32 v5, v1, s5
	v_mul_lo_u32 v4, v1, s4
	s_cbranch_scc1 .LBB197_140
; %bb.139:
	s_clause 0x1
	s_load_b96 s[0:2], s[16:17], 0x10
	s_load_b64 s[4:5], s[16:17], 0xcc
	s_wait_kmcnt 0x0
	v_mul_hi_u32 v1, s1, v7
	s_delay_alu instid0(VALU_DEP_1) | instskip(NEXT) | instid1(VALU_DEP_1)
	v_add_nc_u32_e32 v1, v7, v1
	v_lshrrev_b32_e32 v1, s2, v1
	s_delay_alu instid0(VALU_DEP_1) | instskip(NEXT) | instid1(VALU_DEP_1)
	v_mul_lo_u32 v1, v1, s0
	v_sub_nc_u32_e32 v1, v7, v1
	s_delay_alu instid0(VALU_DEP_1)
	v_mad_u32 v4, v1, s4, v4
	v_mad_u32 v5, v1, s5, v5
.LBB197_140:
	v_cmp_ne_u32_e32 vcc_lo, 1, v6
	v_add_nc_u32_e32 v7, 0x100, v0
	s_cbranch_vccnz .LBB197_146
; %bb.141:
	s_cmp_lg_u32 s33, 0
	s_mov_b32 s6, 0
	s_cbranch_scc0 .LBB197_147
; %bb.142:
	s_min_u32 s1, s34, 15
	s_delay_alu instid0(SALU_CYCLE_1)
	s_add_co_i32 s1, s1, 1
	s_cmp_eq_u32 s34, 2
	s_cbranch_scc1 .LBB197_148
; %bb.143:
	v_dual_mov_b32 v0, 0 :: v_dual_mov_b32 v1, 0
	v_mov_b32_e32 v9, v7
	s_and_b32 s0, s1, 28
	s_add_nc_u64 s[2:3], s[16:17], 0xc4
	s_mov_b32 s7, 0
	s_mov_b64 s[4:5], s[16:17]
.LBB197_144:                            ; =>This Inner Loop Header: Depth=1
	s_clause 0x1
	s_load_b256 s[8:15], s[4:5], 0x4
	s_load_b128 s[28:31], s[4:5], 0x24
	s_load_b256 s[20:27], s[2:3], 0x0
	s_add_co_i32 s7, s7, 4
	s_wait_xcnt 0x0
	s_add_nc_u64 s[4:5], s[4:5], 48
	s_cmp_lg_u32 s0, s7
	s_add_nc_u64 s[2:3], s[2:3], 32
	s_wait_kmcnt 0x0
	v_mul_hi_u32 v10, s9, v9
	s_delay_alu instid0(VALU_DEP_1) | instskip(NEXT) | instid1(VALU_DEP_1)
	v_add_nc_u32_e32 v10, v9, v10
	v_lshrrev_b32_e32 v10, s10, v10
	s_delay_alu instid0(VALU_DEP_1) | instskip(NEXT) | instid1(VALU_DEP_1)
	v_mul_hi_u32 v11, s12, v10
	v_add_nc_u32_e32 v11, v10, v11
	s_delay_alu instid0(VALU_DEP_1) | instskip(NEXT) | instid1(VALU_DEP_1)
	v_lshrrev_b32_e32 v11, s13, v11
	v_mul_hi_u32 v12, s15, v11
	s_delay_alu instid0(VALU_DEP_1) | instskip(SKIP_1) | instid1(VALU_DEP_1)
	v_add_nc_u32_e32 v12, v11, v12
	v_mul_lo_u32 v13, v10, s8
	v_sub_nc_u32_e32 v9, v9, v13
	v_mul_lo_u32 v13, v11, s11
	s_delay_alu instid0(VALU_DEP_4) | instskip(NEXT) | instid1(VALU_DEP_3)
	v_lshrrev_b32_e32 v12, s28, v12
	v_mad_u32 v1, v9, s21, v1
	v_mad_u32 v0, v9, s20, v0
	s_delay_alu instid0(VALU_DEP_4) | instskip(NEXT) | instid1(VALU_DEP_4)
	v_sub_nc_u32_e32 v9, v10, v13
	v_mul_hi_u32 v14, s30, v12
	v_mul_lo_u32 v10, v12, s14
	s_delay_alu instid0(VALU_DEP_3) | instskip(SKIP_1) | instid1(VALU_DEP_4)
	v_mad_u32 v1, v9, s23, v1
	v_mad_u32 v0, v9, s22, v0
	v_add_nc_u32_e32 v13, v12, v14
	s_delay_alu instid0(VALU_DEP_1) | instskip(NEXT) | instid1(VALU_DEP_1)
	v_dual_sub_nc_u32 v10, v11, v10 :: v_dual_lshrrev_b32 v9, s31, v13
	v_mad_u32 v1, v10, s25, v1
	s_delay_alu instid0(VALU_DEP_4) | instskip(NEXT) | instid1(VALU_DEP_3)
	v_mad_u32 v0, v10, s24, v0
	v_mul_lo_u32 v11, v9, s29
	s_delay_alu instid0(VALU_DEP_1) | instskip(NEXT) | instid1(VALU_DEP_1)
	v_sub_nc_u32_e32 v10, v12, v11
	v_mad_u32 v1, v10, s27, v1
	s_delay_alu instid0(VALU_DEP_4)
	v_mad_u32 v0, v10, s26, v0
	s_cbranch_scc1 .LBB197_144
; %bb.145:
	s_and_b32 s4, s1, 3
	s_mov_b32 s1, 0
	s_cmp_eq_u32 s4, 0
	s_cbranch_scc0 .LBB197_149
	s_branch .LBB197_151
.LBB197_146:
	s_mov_b32 s6, -1
                                        ; implicit-def: $vgpr1
	s_branch .LBB197_151
.LBB197_147:
	v_dual_mov_b32 v1, 0 :: v_dual_mov_b32 v0, 0
	s_branch .LBB197_151
.LBB197_148:
	v_mov_b64_e32 v[0:1], 0
	v_mov_b32_e32 v9, v7
	s_mov_b32 s0, 0
	s_and_b32 s4, s1, 3
	s_mov_b32 s1, 0
	s_cmp_eq_u32 s4, 0
	s_cbranch_scc1 .LBB197_151
.LBB197_149:
	s_lshl_b32 s2, s0, 3
	s_mov_b32 s3, s1
	s_mul_u64 s[8:9], s[0:1], 12
	s_add_nc_u64 s[2:3], s[16:17], s[2:3]
	s_delay_alu instid0(SALU_CYCLE_1)
	s_add_nc_u64 s[0:1], s[2:3], 0xc4
	s_add_nc_u64 s[2:3], s[16:17], s[8:9]
.LBB197_150:                            ; =>This Inner Loop Header: Depth=1
	s_load_b96 s[8:10], s[2:3], 0x4
	s_add_co_i32 s4, s4, -1
	s_wait_xcnt 0x0
	s_add_nc_u64 s[2:3], s[2:3], 12
	s_cmp_lg_u32 s4, 0
	s_wait_kmcnt 0x0
	v_mul_hi_u32 v10, s9, v9
	s_delay_alu instid0(VALU_DEP_1) | instskip(NEXT) | instid1(VALU_DEP_1)
	v_add_nc_u32_e32 v10, v9, v10
	v_lshrrev_b32_e32 v10, s10, v10
	s_load_b64 s[10:11], s[0:1], 0x0
	s_wait_xcnt 0x0
	s_add_nc_u64 s[0:1], s[0:1], 8
	s_delay_alu instid0(VALU_DEP_1) | instskip(NEXT) | instid1(VALU_DEP_1)
	v_mul_lo_u32 v11, v10, s8
	v_sub_nc_u32_e32 v9, v9, v11
	s_wait_kmcnt 0x0
	s_delay_alu instid0(VALU_DEP_1)
	v_mad_u32 v1, v9, s11, v1
	v_mad_u32 v0, v9, s10, v0
	v_mov_b32_e32 v9, v10
	s_cbranch_scc1 .LBB197_150
.LBB197_151:
	s_and_not1_b32 vcc_lo, exec_lo, s6
	s_cbranch_vccnz .LBB197_154
; %bb.152:
	s_clause 0x1
	s_load_b96 s[0:2], s[16:17], 0x4
	s_load_b64 s[4:5], s[16:17], 0xc4
	s_cmp_lt_u32 s33, 2
	s_wait_kmcnt 0x0
	v_mul_hi_u32 v0, s1, v7
	s_delay_alu instid0(VALU_DEP_1) | instskip(NEXT) | instid1(VALU_DEP_1)
	v_add_nc_u32_e32 v0, v7, v0
	v_lshrrev_b32_e32 v9, s2, v0
	s_delay_alu instid0(VALU_DEP_1) | instskip(NEXT) | instid1(VALU_DEP_1)
	v_mul_lo_u32 v0, v9, s0
	v_sub_nc_u32_e32 v0, v7, v0
	s_delay_alu instid0(VALU_DEP_1)
	v_mul_lo_u32 v1, v0, s5
	v_mul_lo_u32 v0, v0, s4
	s_cbranch_scc1 .LBB197_154
; %bb.153:
	s_clause 0x1
	s_load_b96 s[0:2], s[16:17], 0x10
	s_load_b64 s[4:5], s[16:17], 0xcc
	s_wait_kmcnt 0x0
	v_mul_hi_u32 v7, s1, v9
	s_delay_alu instid0(VALU_DEP_1) | instskip(NEXT) | instid1(VALU_DEP_1)
	v_add_nc_u32_e32 v7, v9, v7
	v_lshrrev_b32_e32 v7, s2, v7
	s_delay_alu instid0(VALU_DEP_1) | instskip(NEXT) | instid1(VALU_DEP_1)
	v_mul_lo_u32 v7, v7, s0
	v_sub_nc_u32_e32 v7, v9, v7
	s_delay_alu instid0(VALU_DEP_1)
	v_mad_u32 v0, v7, s4, v0
	v_mad_u32 v1, v7, s5, v1
.LBB197_154:
	v_cmp_ne_u32_e32 vcc_lo, 1, v6
	s_cbranch_vccnz .LBB197_160
; %bb.155:
	s_cmp_lg_u32 s33, 0
	s_mov_b32 s6, 0
	s_cbranch_scc0 .LBB197_161
; %bb.156:
	s_min_u32 s1, s34, 15
	s_delay_alu instid0(SALU_CYCLE_1)
	s_add_co_i32 s1, s1, 1
	s_cmp_eq_u32 s34, 2
	s_cbranch_scc1 .LBB197_162
; %bb.157:
	v_dual_mov_b32 v6, 0 :: v_dual_mov_b32 v7, 0
	v_mov_b32_e32 v9, v8
	s_and_b32 s0, s1, 28
	s_add_nc_u64 s[2:3], s[16:17], 0xc4
	s_mov_b32 s7, 0
	s_mov_b64 s[4:5], s[16:17]
.LBB197_158:                            ; =>This Inner Loop Header: Depth=1
	s_clause 0x1
	s_load_b256 s[8:15], s[4:5], 0x4
	s_load_b128 s[28:31], s[4:5], 0x24
	s_load_b256 s[20:27], s[2:3], 0x0
	s_add_co_i32 s7, s7, 4
	s_wait_xcnt 0x0
	s_add_nc_u64 s[4:5], s[4:5], 48
	s_cmp_lg_u32 s0, s7
	s_add_nc_u64 s[2:3], s[2:3], 32
	s_wait_kmcnt 0x0
	v_mul_hi_u32 v10, s9, v9
	s_delay_alu instid0(VALU_DEP_1) | instskip(NEXT) | instid1(VALU_DEP_1)
	v_add_nc_u32_e32 v10, v9, v10
	v_lshrrev_b32_e32 v10, s10, v10
	s_delay_alu instid0(VALU_DEP_1) | instskip(NEXT) | instid1(VALU_DEP_1)
	v_mul_hi_u32 v11, s12, v10
	v_add_nc_u32_e32 v11, v10, v11
	s_delay_alu instid0(VALU_DEP_1) | instskip(NEXT) | instid1(VALU_DEP_1)
	v_lshrrev_b32_e32 v11, s13, v11
	v_mul_hi_u32 v12, s15, v11
	s_delay_alu instid0(VALU_DEP_1) | instskip(SKIP_1) | instid1(VALU_DEP_1)
	v_add_nc_u32_e32 v12, v11, v12
	v_mul_lo_u32 v13, v10, s8
	v_sub_nc_u32_e32 v9, v9, v13
	v_mul_lo_u32 v13, v11, s11
	s_delay_alu instid0(VALU_DEP_4) | instskip(NEXT) | instid1(VALU_DEP_3)
	v_lshrrev_b32_e32 v12, s28, v12
	v_mad_u32 v7, v9, s21, v7
	v_mad_u32 v6, v9, s20, v6
	s_delay_alu instid0(VALU_DEP_4) | instskip(NEXT) | instid1(VALU_DEP_4)
	v_sub_nc_u32_e32 v9, v10, v13
	v_mul_hi_u32 v14, s30, v12
	v_mul_lo_u32 v10, v12, s14
	s_delay_alu instid0(VALU_DEP_3) | instskip(SKIP_1) | instid1(VALU_DEP_4)
	v_mad_u32 v7, v9, s23, v7
	v_mad_u32 v6, v9, s22, v6
	v_add_nc_u32_e32 v13, v12, v14
	s_delay_alu instid0(VALU_DEP_1) | instskip(NEXT) | instid1(VALU_DEP_1)
	v_dual_sub_nc_u32 v10, v11, v10 :: v_dual_lshrrev_b32 v9, s31, v13
	v_mad_u32 v7, v10, s25, v7
	s_delay_alu instid0(VALU_DEP_4) | instskip(NEXT) | instid1(VALU_DEP_3)
	v_mad_u32 v6, v10, s24, v6
	v_mul_lo_u32 v11, v9, s29
	s_delay_alu instid0(VALU_DEP_1) | instskip(NEXT) | instid1(VALU_DEP_1)
	v_sub_nc_u32_e32 v10, v12, v11
	v_mad_u32 v7, v10, s27, v7
	s_delay_alu instid0(VALU_DEP_4)
	v_mad_u32 v6, v10, s26, v6
	s_cbranch_scc1 .LBB197_158
; %bb.159:
	s_and_b32 s4, s1, 3
	s_mov_b32 s1, 0
	s_cmp_eq_u32 s4, 0
	s_cbranch_scc0 .LBB197_163
	s_branch .LBB197_165
.LBB197_160:
	s_mov_b32 s6, -1
                                        ; implicit-def: $vgpr7
	s_branch .LBB197_165
.LBB197_161:
	v_dual_mov_b32 v7, 0 :: v_dual_mov_b32 v6, 0
	s_branch .LBB197_165
.LBB197_162:
	v_mov_b64_e32 v[6:7], 0
	v_mov_b32_e32 v9, v8
	s_mov_b32 s0, 0
	s_and_b32 s4, s1, 3
	s_mov_b32 s1, 0
	s_cmp_eq_u32 s4, 0
	s_cbranch_scc1 .LBB197_165
.LBB197_163:
	s_lshl_b32 s2, s0, 3
	s_mov_b32 s3, s1
	s_mul_u64 s[8:9], s[0:1], 12
	s_add_nc_u64 s[2:3], s[16:17], s[2:3]
	s_delay_alu instid0(SALU_CYCLE_1)
	s_add_nc_u64 s[0:1], s[2:3], 0xc4
	s_add_nc_u64 s[2:3], s[16:17], s[8:9]
.LBB197_164:                            ; =>This Inner Loop Header: Depth=1
	s_load_b96 s[8:10], s[2:3], 0x4
	s_add_co_i32 s4, s4, -1
	s_wait_xcnt 0x0
	s_add_nc_u64 s[2:3], s[2:3], 12
	s_cmp_lg_u32 s4, 0
	s_wait_kmcnt 0x0
	v_mul_hi_u32 v10, s9, v9
	s_delay_alu instid0(VALU_DEP_1) | instskip(NEXT) | instid1(VALU_DEP_1)
	v_add_nc_u32_e32 v10, v9, v10
	v_lshrrev_b32_e32 v10, s10, v10
	s_load_b64 s[10:11], s[0:1], 0x0
	s_wait_xcnt 0x0
	s_add_nc_u64 s[0:1], s[0:1], 8
	s_delay_alu instid0(VALU_DEP_1) | instskip(NEXT) | instid1(VALU_DEP_1)
	v_mul_lo_u32 v11, v10, s8
	v_sub_nc_u32_e32 v9, v9, v11
	s_wait_kmcnt 0x0
	s_delay_alu instid0(VALU_DEP_1)
	v_mad_u32 v7, v9, s11, v7
	v_mad_u32 v6, v9, s10, v6
	v_mov_b32_e32 v9, v10
	s_cbranch_scc1 .LBB197_164
.LBB197_165:
	s_and_not1_b32 vcc_lo, exec_lo, s6
	s_cbranch_vccnz .LBB197_168
; %bb.166:
	s_clause 0x1
	s_load_b96 s[0:2], s[16:17], 0x4
	s_load_b64 s[4:5], s[16:17], 0xc4
	s_cmp_lt_u32 s33, 2
	s_wait_kmcnt 0x0
	v_mul_hi_u32 v6, s1, v8
	s_delay_alu instid0(VALU_DEP_1) | instskip(NEXT) | instid1(VALU_DEP_1)
	v_add_nc_u32_e32 v6, v8, v6
	v_lshrrev_b32_e32 v9, s2, v6
	s_delay_alu instid0(VALU_DEP_1) | instskip(NEXT) | instid1(VALU_DEP_1)
	v_mul_lo_u32 v6, v9, s0
	v_sub_nc_u32_e32 v6, v8, v6
	s_delay_alu instid0(VALU_DEP_1)
	v_mul_lo_u32 v7, v6, s5
	v_mul_lo_u32 v6, v6, s4
	s_cbranch_scc1 .LBB197_168
; %bb.167:
	s_clause 0x1
	s_load_b96 s[0:2], s[16:17], 0x10
	s_load_b64 s[4:5], s[16:17], 0xcc
	s_wait_kmcnt 0x0
	v_mul_hi_u32 v8, s1, v9
	s_delay_alu instid0(VALU_DEP_1) | instskip(NEXT) | instid1(VALU_DEP_1)
	v_add_nc_u32_e32 v8, v9, v8
	v_lshrrev_b32_e32 v8, s2, v8
	s_delay_alu instid0(VALU_DEP_1) | instskip(NEXT) | instid1(VALU_DEP_1)
	v_mul_lo_u32 v8, v8, s0
	v_sub_nc_u32_e32 v8, v9, v8
	s_delay_alu instid0(VALU_DEP_1)
	v_mad_u32 v6, v8, s4, v6
	v_mad_u32 v7, v8, s5, v7
.LBB197_168:
	s_clause 0x2
	s_load_b128 s[0:3], s[16:17], 0x148
	s_load_b32 s6, s[16:17], 0x158
	s_load_b64 s[4:5], s[16:17], 0x160
	s_mov_b32 s7, 0
	s_wait_kmcnt 0x0
	global_load_b64 v[10:11], v3, s[2:3]
	s_cmp_lt_i32 s6, 1
	s_cbranch_scc1 .LBB197_171
; %bb.169:
	s_cmp_eq_u32 s6, 1
	s_cbranch_scc0 .LBB197_172
; %bb.170:
	s_wait_loadcnt 0x0
	v_min_i64 v[8:9], v[10:11], s[4:5]
	s_mov_b32 s8, 0
	s_branch .LBB197_173
.LBB197_171:
	s_mov_b32 s8, 0
                                        ; implicit-def: $vgpr8_vgpr9
	s_cbranch_execnz .LBB197_174
	s_branch .LBB197_175
.LBB197_172:
	s_mov_b32 s8, -1
                                        ; implicit-def: $vgpr8_vgpr9
.LBB197_173:
	s_branch .LBB197_175
.LBB197_174:
	s_cmp_lg_u32 s6, 0
	s_mov_b32 s7, -1
	s_cselect_b32 s8, -1, 0
.LBB197_175:
	s_delay_alu instid0(SALU_CYCLE_1)
	s_and_not1_b32 vcc_lo, exec_lo, s8
	s_cbranch_vccz .LBB197_180
; %bb.176:
	s_and_not1_b32 vcc_lo, exec_lo, s7
	s_cbranch_vccz .LBB197_181
.LBB197_177:
	global_load_b64 v[12:13], v5, s[2:3]
	s_cmp_lt_i32 s6, 1
	s_mov_b32 s7, 0
	s_cbranch_scc1 .LBB197_182
.LBB197_178:
	s_cmp_eq_u32 s6, 1
	s_cbranch_scc0 .LBB197_183
; %bb.179:
	s_wait_loadcnt 0x0
	v_min_i64 v[10:11], v[12:13], s[4:5]
	s_mov_b32 s8, 0
	s_branch .LBB197_184
.LBB197_180:
	s_wait_loadcnt 0x0
	v_max_i64 v[8:9], v[10:11], s[4:5]
	s_load_b64 s[8:9], s[16:17], 0x168
	s_wait_kmcnt 0x0
	s_delay_alu instid0(VALU_DEP_1)
	v_min_i64 v[8:9], v[8:9], s[8:9]
	s_cbranch_execnz .LBB197_177
.LBB197_181:
	s_wait_loadcnt 0x0
	v_max_i64 v[8:9], v[10:11], s[4:5]
	global_load_b64 v[12:13], v5, s[2:3]
	s_cmp_lt_i32 s6, 1
	s_mov_b32 s7, 0
	s_cbranch_scc0 .LBB197_178
.LBB197_182:
	s_mov_b32 s8, 0
                                        ; implicit-def: $vgpr10_vgpr11
	s_cbranch_execnz .LBB197_185
	s_branch .LBB197_186
.LBB197_183:
	s_mov_b32 s8, -1
                                        ; implicit-def: $vgpr10_vgpr11
.LBB197_184:
	s_branch .LBB197_186
.LBB197_185:
	s_cmp_lg_u32 s6, 0
	s_mov_b32 s7, -1
	s_cselect_b32 s8, -1, 0
.LBB197_186:
	s_delay_alu instid0(SALU_CYCLE_1)
	s_and_not1_b32 vcc_lo, exec_lo, s8
	s_cbranch_vccz .LBB197_191
; %bb.187:
	s_and_not1_b32 vcc_lo, exec_lo, s7
	s_cbranch_vccz .LBB197_192
.LBB197_188:
	global_load_b64 v[14:15], v1, s[2:3]
	s_cmp_lt_i32 s6, 1
	s_mov_b32 s7, 0
	s_cbranch_scc1 .LBB197_193
.LBB197_189:
	s_cmp_eq_u32 s6, 1
	s_cbranch_scc0 .LBB197_194
; %bb.190:
	s_wait_loadcnt 0x0
	v_min_i64 v[12:13], v[14:15], s[4:5]
	s_mov_b32 s8, 0
	s_branch .LBB197_195
.LBB197_191:
	s_wait_loadcnt 0x0
	v_max_i64 v[10:11], v[12:13], s[4:5]
	s_load_b64 s[8:9], s[16:17], 0x168
	s_wait_kmcnt 0x0
	s_delay_alu instid0(VALU_DEP_1)
	v_min_i64 v[10:11], v[10:11], s[8:9]
	s_cbranch_execnz .LBB197_188
.LBB197_192:
	s_wait_loadcnt 0x0
	v_max_i64 v[10:11], v[12:13], s[4:5]
	global_load_b64 v[14:15], v1, s[2:3]
	s_cmp_lt_i32 s6, 1
	s_mov_b32 s7, 0
	s_cbranch_scc0 .LBB197_189
.LBB197_193:
	s_mov_b32 s8, 0
                                        ; implicit-def: $vgpr12_vgpr13
	s_cbranch_execnz .LBB197_196
	s_branch .LBB197_197
.LBB197_194:
	s_mov_b32 s8, -1
                                        ; implicit-def: $vgpr12_vgpr13
.LBB197_195:
	s_branch .LBB197_197
.LBB197_196:
	s_cmp_lg_u32 s6, 0
	s_mov_b32 s7, -1
	s_cselect_b32 s8, -1, 0
.LBB197_197:
	s_delay_alu instid0(SALU_CYCLE_1)
	s_and_not1_b32 vcc_lo, exec_lo, s8
	s_cbranch_vccz .LBB197_202
; %bb.198:
	s_and_not1_b32 vcc_lo, exec_lo, s7
	s_cbranch_vccz .LBB197_203
.LBB197_199:
	s_wait_loadcnt 0x0
	global_load_b64 v[14:15], v7, s[2:3]
	s_cmp_lt_i32 s6, 1
	s_wait_xcnt 0x0
	s_mov_b32 s2, 0
	s_cbranch_scc1 .LBB197_204
.LBB197_200:
	s_cmp_eq_u32 s6, 1
	s_cbranch_scc0 .LBB197_205
; %bb.201:
	s_wait_loadcnt 0x0
	v_min_i64 v[16:17], v[14:15], s[4:5]
	s_mov_b32 s3, 0
	s_branch .LBB197_206
.LBB197_202:
	s_wait_loadcnt 0x0
	v_max_i64 v[12:13], v[14:15], s[4:5]
	s_load_b64 s[8:9], s[16:17], 0x168
	s_wait_kmcnt 0x0
	s_delay_alu instid0(VALU_DEP_1)
	v_min_i64 v[12:13], v[12:13], s[8:9]
	s_cbranch_execnz .LBB197_199
.LBB197_203:
	s_wait_loadcnt 0x0
	v_max_i64 v[12:13], v[14:15], s[4:5]
	global_load_b64 v[14:15], v7, s[2:3]
	s_cmp_lt_i32 s6, 1
	s_wait_xcnt 0x0
	s_mov_b32 s2, 0
	s_cbranch_scc0 .LBB197_200
.LBB197_204:
	s_mov_b32 s3, 0
                                        ; implicit-def: $vgpr16_vgpr17
	s_cbranch_execnz .LBB197_207
	s_branch .LBB197_208
.LBB197_205:
	s_mov_b32 s3, -1
                                        ; implicit-def: $vgpr16_vgpr17
.LBB197_206:
	s_branch .LBB197_208
.LBB197_207:
	s_cmp_lg_u32 s6, 0
	s_mov_b32 s2, -1
	s_cselect_b32 s3, -1, 0
.LBB197_208:
	s_delay_alu instid0(SALU_CYCLE_1)
	s_and_not1_b32 vcc_lo, exec_lo, s3
	s_cbranch_vccz .LBB197_212
; %bb.209:
	s_and_not1_b32 vcc_lo, exec_lo, s2
	s_cbranch_vccnz .LBB197_211
.LBB197_210:
	s_wait_loadcnt 0x0
	v_max_i64 v[16:17], v[14:15], s[4:5]
.LBB197_211:
	s_clause 0x3
	global_store_b64 v2, v[8:9], s[0:1]
	global_store_b64 v4, v[10:11], s[0:1]
	;; [unrolled: 1-line block ×4, first 2 shown]
	s_endpgm
.LBB197_212:
	s_wait_loadcnt 0x0
	v_max_i64 v[16:17], v[14:15], s[4:5]
	s_load_b64 s[2:3], s[16:17], 0x168
	s_wait_kmcnt 0x0
	s_delay_alu instid0(VALU_DEP_1)
	v_min_i64 v[16:17], v[16:17], s[2:3]
	s_cbranch_execz .LBB197_210
	s_branch .LBB197_211
	.section	.rodata,"a",@progbits
	.p2align	6, 0x0
	.amdhsa_kernel _ZN2at6native32elementwise_kernel_manual_unrollILi128ELi4EZNS0_22gpu_kernel_impl_nocastIZZZNS0_12_GLOBAL__N_119launch_clamp_scalarERNS_18TensorIteratorBaseEN3c106ScalarES7_NS0_6detail11ClampLimitsEENKUlvE_clEvENKUlvE2_clEvEUllE_EEvS5_RKT_EUlibE_EEviT1_
		.amdhsa_group_segment_fixed_size 0
		.amdhsa_private_segment_fixed_size 0
		.amdhsa_kernarg_size 376
		.amdhsa_user_sgpr_count 2
		.amdhsa_user_sgpr_dispatch_ptr 0
		.amdhsa_user_sgpr_queue_ptr 0
		.amdhsa_user_sgpr_kernarg_segment_ptr 1
		.amdhsa_user_sgpr_dispatch_id 0
		.amdhsa_user_sgpr_kernarg_preload_length 0
		.amdhsa_user_sgpr_kernarg_preload_offset 0
		.amdhsa_user_sgpr_private_segment_size 0
		.amdhsa_wavefront_size32 1
		.amdhsa_uses_dynamic_stack 0
		.amdhsa_enable_private_segment 0
		.amdhsa_system_sgpr_workgroup_id_x 1
		.amdhsa_system_sgpr_workgroup_id_y 0
		.amdhsa_system_sgpr_workgroup_id_z 0
		.amdhsa_system_sgpr_workgroup_info 0
		.amdhsa_system_vgpr_workitem_id 0
		.amdhsa_next_free_vgpr 18
		.amdhsa_next_free_sgpr 64
		.amdhsa_named_barrier_count 0
		.amdhsa_reserve_vcc 1
		.amdhsa_float_round_mode_32 0
		.amdhsa_float_round_mode_16_64 0
		.amdhsa_float_denorm_mode_32 3
		.amdhsa_float_denorm_mode_16_64 3
		.amdhsa_fp16_overflow 0
		.amdhsa_memory_ordered 1
		.amdhsa_forward_progress 1
		.amdhsa_inst_pref_size 59
		.amdhsa_round_robin_scheduling 0
		.amdhsa_exception_fp_ieee_invalid_op 0
		.amdhsa_exception_fp_denorm_src 0
		.amdhsa_exception_fp_ieee_div_zero 0
		.amdhsa_exception_fp_ieee_overflow 0
		.amdhsa_exception_fp_ieee_underflow 0
		.amdhsa_exception_fp_ieee_inexact 0
		.amdhsa_exception_int_div_zero 0
	.end_amdhsa_kernel
	.section	.text._ZN2at6native32elementwise_kernel_manual_unrollILi128ELi4EZNS0_22gpu_kernel_impl_nocastIZZZNS0_12_GLOBAL__N_119launch_clamp_scalarERNS_18TensorIteratorBaseEN3c106ScalarES7_NS0_6detail11ClampLimitsEENKUlvE_clEvENKUlvE2_clEvEUllE_EEvS5_RKT_EUlibE_EEviT1_,"axG",@progbits,_ZN2at6native32elementwise_kernel_manual_unrollILi128ELi4EZNS0_22gpu_kernel_impl_nocastIZZZNS0_12_GLOBAL__N_119launch_clamp_scalarERNS_18TensorIteratorBaseEN3c106ScalarES7_NS0_6detail11ClampLimitsEENKUlvE_clEvENKUlvE2_clEvEUllE_EEvS5_RKT_EUlibE_EEviT1_,comdat
.Lfunc_end197:
	.size	_ZN2at6native32elementwise_kernel_manual_unrollILi128ELi4EZNS0_22gpu_kernel_impl_nocastIZZZNS0_12_GLOBAL__N_119launch_clamp_scalarERNS_18TensorIteratorBaseEN3c106ScalarES7_NS0_6detail11ClampLimitsEENKUlvE_clEvENKUlvE2_clEvEUllE_EEvS5_RKT_EUlibE_EEviT1_, .Lfunc_end197-_ZN2at6native32elementwise_kernel_manual_unrollILi128ELi4EZNS0_22gpu_kernel_impl_nocastIZZZNS0_12_GLOBAL__N_119launch_clamp_scalarERNS_18TensorIteratorBaseEN3c106ScalarES7_NS0_6detail11ClampLimitsEENKUlvE_clEvENKUlvE2_clEvEUllE_EEvS5_RKT_EUlibE_EEviT1_
                                        ; -- End function
	.set _ZN2at6native32elementwise_kernel_manual_unrollILi128ELi4EZNS0_22gpu_kernel_impl_nocastIZZZNS0_12_GLOBAL__N_119launch_clamp_scalarERNS_18TensorIteratorBaseEN3c106ScalarES7_NS0_6detail11ClampLimitsEENKUlvE_clEvENKUlvE2_clEvEUllE_EEvS5_RKT_EUlibE_EEviT1_.num_vgpr, 18
	.set _ZN2at6native32elementwise_kernel_manual_unrollILi128ELi4EZNS0_22gpu_kernel_impl_nocastIZZZNS0_12_GLOBAL__N_119launch_clamp_scalarERNS_18TensorIteratorBaseEN3c106ScalarES7_NS0_6detail11ClampLimitsEENKUlvE_clEvENKUlvE2_clEvEUllE_EEvS5_RKT_EUlibE_EEviT1_.num_agpr, 0
	.set _ZN2at6native32elementwise_kernel_manual_unrollILi128ELi4EZNS0_22gpu_kernel_impl_nocastIZZZNS0_12_GLOBAL__N_119launch_clamp_scalarERNS_18TensorIteratorBaseEN3c106ScalarES7_NS0_6detail11ClampLimitsEENKUlvE_clEvENKUlvE2_clEvEUllE_EEvS5_RKT_EUlibE_EEviT1_.numbered_sgpr, 64
	.set _ZN2at6native32elementwise_kernel_manual_unrollILi128ELi4EZNS0_22gpu_kernel_impl_nocastIZZZNS0_12_GLOBAL__N_119launch_clamp_scalarERNS_18TensorIteratorBaseEN3c106ScalarES7_NS0_6detail11ClampLimitsEENKUlvE_clEvENKUlvE2_clEvEUllE_EEvS5_RKT_EUlibE_EEviT1_.num_named_barrier, 0
	.set _ZN2at6native32elementwise_kernel_manual_unrollILi128ELi4EZNS0_22gpu_kernel_impl_nocastIZZZNS0_12_GLOBAL__N_119launch_clamp_scalarERNS_18TensorIteratorBaseEN3c106ScalarES7_NS0_6detail11ClampLimitsEENKUlvE_clEvENKUlvE2_clEvEUllE_EEvS5_RKT_EUlibE_EEviT1_.private_seg_size, 0
	.set _ZN2at6native32elementwise_kernel_manual_unrollILi128ELi4EZNS0_22gpu_kernel_impl_nocastIZZZNS0_12_GLOBAL__N_119launch_clamp_scalarERNS_18TensorIteratorBaseEN3c106ScalarES7_NS0_6detail11ClampLimitsEENKUlvE_clEvENKUlvE2_clEvEUllE_EEvS5_RKT_EUlibE_EEviT1_.uses_vcc, 1
	.set _ZN2at6native32elementwise_kernel_manual_unrollILi128ELi4EZNS0_22gpu_kernel_impl_nocastIZZZNS0_12_GLOBAL__N_119launch_clamp_scalarERNS_18TensorIteratorBaseEN3c106ScalarES7_NS0_6detail11ClampLimitsEENKUlvE_clEvENKUlvE2_clEvEUllE_EEvS5_RKT_EUlibE_EEviT1_.uses_flat_scratch, 0
	.set _ZN2at6native32elementwise_kernel_manual_unrollILi128ELi4EZNS0_22gpu_kernel_impl_nocastIZZZNS0_12_GLOBAL__N_119launch_clamp_scalarERNS_18TensorIteratorBaseEN3c106ScalarES7_NS0_6detail11ClampLimitsEENKUlvE_clEvENKUlvE2_clEvEUllE_EEvS5_RKT_EUlibE_EEviT1_.has_dyn_sized_stack, 0
	.set _ZN2at6native32elementwise_kernel_manual_unrollILi128ELi4EZNS0_22gpu_kernel_impl_nocastIZZZNS0_12_GLOBAL__N_119launch_clamp_scalarERNS_18TensorIteratorBaseEN3c106ScalarES7_NS0_6detail11ClampLimitsEENKUlvE_clEvENKUlvE2_clEvEUllE_EEvS5_RKT_EUlibE_EEviT1_.has_recursion, 0
	.set _ZN2at6native32elementwise_kernel_manual_unrollILi128ELi4EZNS0_22gpu_kernel_impl_nocastIZZZNS0_12_GLOBAL__N_119launch_clamp_scalarERNS_18TensorIteratorBaseEN3c106ScalarES7_NS0_6detail11ClampLimitsEENKUlvE_clEvENKUlvE2_clEvEUllE_EEvS5_RKT_EUlibE_EEviT1_.has_indirect_call, 0
	.section	.AMDGPU.csdata,"",@progbits
; Kernel info:
; codeLenInByte = 7440
; TotalNumSgprs: 66
; NumVgprs: 18
; ScratchSize: 0
; MemoryBound: 0
; FloatMode: 240
; IeeeMode: 1
; LDSByteSize: 0 bytes/workgroup (compile time only)
; SGPRBlocks: 0
; VGPRBlocks: 1
; NumSGPRsForWavesPerEU: 66
; NumVGPRsForWavesPerEU: 18
; NamedBarCnt: 0
; Occupancy: 16
; WaveLimiterHint : 1
; COMPUTE_PGM_RSRC2:SCRATCH_EN: 0
; COMPUTE_PGM_RSRC2:USER_SGPR: 2
; COMPUTE_PGM_RSRC2:TRAP_HANDLER: 0
; COMPUTE_PGM_RSRC2:TGID_X_EN: 1
; COMPUTE_PGM_RSRC2:TGID_Y_EN: 0
; COMPUTE_PGM_RSRC2:TGID_Z_EN: 0
; COMPUTE_PGM_RSRC2:TIDIG_COMP_CNT: 0
	.section	.text._ZN2at6native32elementwise_kernel_manual_unrollILi128ELi4EZNS0_15gpu_kernel_implIZZZNS0_12_GLOBAL__N_119launch_clamp_scalarERNS_18TensorIteratorBaseEN3c106ScalarES7_NS0_6detail11ClampLimitsEENKUlvE_clEvENKUlvE2_clEvEUllE_EEvS5_RKT_EUlibE_EEviT1_,"axG",@progbits,_ZN2at6native32elementwise_kernel_manual_unrollILi128ELi4EZNS0_15gpu_kernel_implIZZZNS0_12_GLOBAL__N_119launch_clamp_scalarERNS_18TensorIteratorBaseEN3c106ScalarES7_NS0_6detail11ClampLimitsEENKUlvE_clEvENKUlvE2_clEvEUllE_EEvS5_RKT_EUlibE_EEviT1_,comdat
	.globl	_ZN2at6native32elementwise_kernel_manual_unrollILi128ELi4EZNS0_15gpu_kernel_implIZZZNS0_12_GLOBAL__N_119launch_clamp_scalarERNS_18TensorIteratorBaseEN3c106ScalarES7_NS0_6detail11ClampLimitsEENKUlvE_clEvENKUlvE2_clEvEUllE_EEvS5_RKT_EUlibE_EEviT1_ ; -- Begin function _ZN2at6native32elementwise_kernel_manual_unrollILi128ELi4EZNS0_15gpu_kernel_implIZZZNS0_12_GLOBAL__N_119launch_clamp_scalarERNS_18TensorIteratorBaseEN3c106ScalarES7_NS0_6detail11ClampLimitsEENKUlvE_clEvENKUlvE2_clEvEUllE_EEvS5_RKT_EUlibE_EEviT1_
	.p2align	8
	.type	_ZN2at6native32elementwise_kernel_manual_unrollILi128ELi4EZNS0_15gpu_kernel_implIZZZNS0_12_GLOBAL__N_119launch_clamp_scalarERNS_18TensorIteratorBaseEN3c106ScalarES7_NS0_6detail11ClampLimitsEENKUlvE_clEvENKUlvE2_clEvEUllE_EEvS5_RKT_EUlibE_EEviT1_,@function
_ZN2at6native32elementwise_kernel_manual_unrollILi128ELi4EZNS0_15gpu_kernel_implIZZZNS0_12_GLOBAL__N_119launch_clamp_scalarERNS_18TensorIteratorBaseEN3c106ScalarES7_NS0_6detail11ClampLimitsEENKUlvE_clEvENKUlvE2_clEvEUllE_EEvS5_RKT_EUlibE_EEviT1_: ; @_ZN2at6native32elementwise_kernel_manual_unrollILi128ELi4EZNS0_15gpu_kernel_implIZZZNS0_12_GLOBAL__N_119launch_clamp_scalarERNS_18TensorIteratorBaseEN3c106ScalarES7_NS0_6detail11ClampLimitsEENKUlvE_clEvENKUlvE2_clEvEUllE_EEvS5_RKT_EUlibE_EEviT1_
; %bb.0:
	s_load_b32 s2, s[0:1], 0x38
	s_bfe_u32 s3, ttmp6, 0x4000c
	s_clause 0x3
	s_load_b32 s17, s[0:1], 0x0
	s_load_b128 s[4:7], s[0:1], 0x8
	s_load_b96 s[12:14], s[0:1], 0x18
	s_load_b128 s[8:11], s[0:1], 0x28
	s_add_co_i32 s3, s3, 1
	s_and_b32 s15, ttmp6, 15
	s_wait_xcnt 0x0
	s_mul_i32 s0, ttmp9, s3
	s_getreg_b32 s16, hwreg(HW_REG_IB_STS2, 6, 4)
	s_add_co_i32 s15, s15, s0
	s_mov_b32 s1, 0
	s_wait_kmcnt 0x0
	s_bfe_u32 s3, s2, 0x80008
	s_cmp_eq_u32 s16, 0
	s_mov_b32 s16, 0
	s_cselect_b32 s0, ttmp9, s15
	s_delay_alu instid0(SALU_CYCLE_1) | instskip(SKIP_1) | instid1(VALU_DEP_1)
	v_lshl_or_b32 v12, s0, 9, v0
	s_mov_b32 s0, exec_lo
	v_or_b32_e32 v0, 0x180, v12
	s_delay_alu instid0(VALU_DEP_1)
	v_cmpx_le_i32_e64 s17, v0
	s_xor_b32 s15, exec_lo, s0
	s_cbranch_execz .LBB198_1059
; %bb.1:
	s_mov_b32 s22, -1
	s_mov_b32 s20, 0
	s_mov_b32 s18, 0
	s_mov_b32 s19, exec_lo
	v_cmpx_gt_i32_e64 s17, v12
	s_cbranch_execz .LBB198_259
; %bb.2:
	v_mul_lo_u32 v0, v12, s13
	s_and_b32 s0, 0xffff, s3
	s_delay_alu instid0(SALU_CYCLE_1) | instskip(NEXT) | instid1(VALU_DEP_1)
	s_cmp_lt_i32 s0, 11
	v_ashrrev_i32_e32 v1, 31, v0
	s_delay_alu instid0(VALU_DEP_1)
	v_add_nc_u64_e32 v[0:1], s[6:7], v[0:1]
	s_cbranch_scc1 .LBB198_9
; %bb.3:
	s_cmp_gt_i32 s0, 25
	s_cbranch_scc0 .LBB198_14
; %bb.4:
	s_cmp_gt_i32 s0, 28
	s_cbranch_scc0 .LBB198_16
	;; [unrolled: 3-line block ×4, first 2 shown]
; %bb.7:
	s_cmp_eq_u32 s0, 46
	s_mov_b32 s21, 0
	s_cbranch_scc0 .LBB198_38
; %bb.8:
	global_load_b32 v2, v[0:1], off
	s_mov_b32 s16, -1
	s_wait_loadcnt 0x0
	v_lshlrev_b32_e32 v2, 16, v2
	s_delay_alu instid0(VALU_DEP_1) | instskip(NEXT) | instid1(VALU_DEP_1)
	v_trunc_f32_e32 v2, v2
	v_mul_f32_e64 v3, 0x2f800000, |v2|
	s_delay_alu instid0(VALU_DEP_1) | instskip(NEXT) | instid1(VALU_DEP_1)
	v_floor_f32_e32 v3, v3
	v_fma_f32 v4, 0xcf800000, v3, |v2|
	v_ashrrev_i32_e32 v2, 31, v2
	v_cvt_u32_f32_e32 v5, v3
	s_delay_alu instid0(VALU_DEP_3) | instskip(NEXT) | instid1(VALU_DEP_2)
	v_cvt_u32_f32_e32 v4, v4
	v_dual_mov_b32 v3, v2 :: v_dual_bitop2_b32 v5, v5, v2 bitop3:0x14
	s_delay_alu instid0(VALU_DEP_2) | instskip(NEXT) | instid1(VALU_DEP_1)
	v_xor_b32_e32 v4, v4, v2
	v_sub_nc_u64_e32 v[2:3], v[4:5], v[2:3]
	s_branch .LBB198_40
.LBB198_9:
                                        ; implicit-def: $vgpr2_vgpr3
	s_cbranch_execnz .LBB198_209
.LBB198_10:
	s_and_not1_b32 vcc_lo, exec_lo, s16
	s_cbranch_vccnz .LBB198_256
.LBB198_11:
	s_cmp_lt_i32 s14, 1
	s_mov_b32 s0, 0
	s_cbranch_scc1 .LBB198_15
; %bb.12:
	s_cmp_eq_u32 s14, 1
	s_cbranch_scc0 .LBB198_17
; %bb.13:
	s_wait_loadcnt 0x0
	s_delay_alu instid0(VALU_DEP_1)
	v_min_i64 v[0:1], v[2:3], s[8:9]
	s_mov_b32 s16, 0
	s_branch .LBB198_18
.LBB198_14:
                                        ; implicit-def: $vgpr2_vgpr3
	s_cbranch_execnz .LBB198_176
	s_branch .LBB198_208
.LBB198_15:
	s_mov_b32 s16, 0
                                        ; implicit-def: $vgpr0_vgpr1
	s_cbranch_execnz .LBB198_19
	s_branch .LBB198_20
.LBB198_16:
	s_mov_b32 s21, -1
                                        ; implicit-def: $vgpr2_vgpr3
	s_branch .LBB198_159
.LBB198_17:
	s_mov_b32 s16, -1
                                        ; implicit-def: $vgpr0_vgpr1
.LBB198_18:
	s_branch .LBB198_20
.LBB198_19:
	s_cmp_lg_u32 s14, 0
	s_mov_b32 s0, -1
	s_cselect_b32 s16, -1, 0
.LBB198_20:
	s_wait_loadcnt 0x0
	s_delay_alu instid0(VALU_DEP_1)
	v_max_i64 v[4:5], v[2:3], s[8:9]
	s_and_not1_b32 vcc_lo, exec_lo, s16
	s_cbranch_vccnz .LBB198_22
; %bb.21:
	v_max_i64 v[0:1], v[2:3], s[8:9]
	s_delay_alu instid0(VALU_DEP_1)
	v_min_i64 v[0:1], v[0:1], s[10:11]
	s_cbranch_execz .LBB198_23
	s_branch .LBB198_24
.LBB198_22:
	s_and_not1_b32 vcc_lo, exec_lo, s0
	s_cbranch_vccnz .LBB198_24
.LBB198_23:
	s_delay_alu instid0(VALU_DEP_1)
	v_mov_b64_e32 v[0:1], v[4:5]
.LBB198_24:
	v_mul_lo_u32 v2, v12, s12
	s_and_b32 s16, s2, 0xff
	s_delay_alu instid0(SALU_CYCLE_1) | instskip(NEXT) | instid1(VALU_DEP_1)
	s_cmp_lt_i32 s16, 11
	v_ashrrev_i32_e32 v3, 31, v2
	s_delay_alu instid0(VALU_DEP_1)
	v_add_nc_u64_e32 v[2:3], s[4:5], v[2:3]
	s_cbranch_scc1 .LBB198_31
; %bb.25:
	s_and_b32 s21, 0xffff, s16
	s_delay_alu instid0(SALU_CYCLE_1)
	s_cmp_gt_i32 s21, 25
	s_cbranch_scc0 .LBB198_33
; %bb.26:
	s_cmp_gt_i32 s21, 28
	s_cbranch_scc0 .LBB198_35
; %bb.27:
	s_cmp_gt_i32 s21, 43
	s_cbranch_scc0 .LBB198_37
; %bb.28:
	s_cmp_gt_i32 s21, 45
	s_cbranch_scc0 .LBB198_43
; %bb.29:
	s_mov_b32 s23, 0
	s_mov_b32 s0, -1
	s_cmp_eq_u32 s21, 46
	s_mov_b32 s22, 0
	s_cbranch_scc0 .LBB198_44
; %bb.30:
	s_delay_alu instid0(VALU_DEP_4) | instskip(SKIP_3) | instid1(VALU_DEP_2)
	v_xor_b32_e32 v4, v0, v1
	v_cls_i32_e32 v5, v1
	s_mov_b32 s22, -1
	s_mov_b32 s0, 0
	v_ashrrev_i32_e32 v4, 31, v4
	s_delay_alu instid0(VALU_DEP_1) | instskip(NEXT) | instid1(VALU_DEP_1)
	v_add_nc_u32_e32 v4, 32, v4
	v_add_min_u32_e64 v6, v5, -1, v4
	s_delay_alu instid0(VALU_DEP_1) | instskip(NEXT) | instid1(VALU_DEP_1)
	v_lshlrev_b64_e32 v[4:5], v6, v[0:1]
	v_min_u32_e32 v4, 1, v4
	s_delay_alu instid0(VALU_DEP_1) | instskip(NEXT) | instid1(VALU_DEP_1)
	v_dual_sub_nc_u32 v5, 32, v6 :: v_dual_bitop2_b32 v4, v5, v4 bitop3:0x54
	v_cvt_f32_i32_e32 v4, v4
	s_delay_alu instid0(VALU_DEP_1) | instskip(NEXT) | instid1(VALU_DEP_1)
	v_ldexp_f32 v4, v4, v5
	v_bfe_u32 v5, v4, 16, 1
	s_delay_alu instid0(VALU_DEP_1) | instskip(NEXT) | instid1(VALU_DEP_1)
	v_add3_u32 v4, v4, v5, 0x7fff
	v_lshrrev_b32_e32 v4, 16, v4
	global_store_b32 v[2:3], v4, off
	s_branch .LBB198_44
.LBB198_31:
	s_mov_b32 s0, 0
	s_mov_b32 s22, 0
	s_cbranch_execnz .LBB198_113
.LBB198_32:
	s_and_not1_b32 vcc_lo, exec_lo, s22
	s_cbranch_vccnz .LBB198_257
	s_branch .LBB198_151
.LBB198_33:
	s_mov_b32 s23, -1
	s_mov_b32 s0, 0
	s_mov_b32 s22, 0
	s_branch .LBB198_71
.LBB198_34:
	s_mov_b32 s21, -1
                                        ; implicit-def: $vgpr2_vgpr3
	s_branch .LBB198_154
.LBB198_35:
	s_mov_b32 s23, -1
	s_mov_b32 s0, 0
	s_mov_b32 s22, 0
	s_branch .LBB198_54
.LBB198_36:
	s_mov_b32 s21, -1
	s_branch .LBB198_39
.LBB198_37:
	s_mov_b32 s23, -1
	s_mov_b32 s0, 0
	s_mov_b32 s22, 0
	s_branch .LBB198_50
.LBB198_38:
	s_mov_b32 s18, -1
.LBB198_39:
                                        ; implicit-def: $vgpr2_vgpr3
.LBB198_40:
	s_and_b32 vcc_lo, exec_lo, s21
	s_cbranch_vccz .LBB198_153
; %bb.41:
	s_cmp_eq_u32 s0, 44
	s_cbranch_scc0 .LBB198_152
; %bb.42:
	global_load_u8 v6, v[0:1], off
	s_mov_b32 s18, 0
	s_mov_b32 s16, -1
	s_wait_loadcnt 0x0
	v_cmp_ne_u32_e32 vcc_lo, 0, v6
	v_lshlrev_b32_e32 v2, 23, v6
	s_delay_alu instid0(VALU_DEP_1) | instskip(NEXT) | instid1(VALU_DEP_1)
	v_trunc_f32_e32 v2, v2
	v_mul_f32_e64 v3, 0x2f800000, |v2|
	s_delay_alu instid0(VALU_DEP_1) | instskip(NEXT) | instid1(VALU_DEP_1)
	v_floor_f32_e32 v3, v3
	v_fma_f32 v4, 0xcf800000, v3, |v2|
	v_ashrrev_i32_e32 v2, 31, v2
	v_cvt_u32_f32_e32 v5, v3
	s_delay_alu instid0(VALU_DEP_3) | instskip(NEXT) | instid1(VALU_DEP_2)
	v_cvt_u32_f32_e32 v4, v4
	v_dual_mov_b32 v3, v2 :: v_dual_bitop2_b32 v5, v5, v2 bitop3:0x14
	s_delay_alu instid0(VALU_DEP_2) | instskip(NEXT) | instid1(VALU_DEP_1)
	v_xor_b32_e32 v4, v4, v2
	v_sub_nc_u64_e32 v[2:3], v[4:5], v[2:3]
	s_delay_alu instid0(VALU_DEP_1)
	v_dual_cndmask_b32 v3, 0, v3 :: v_dual_cndmask_b32 v2, 0, v2
	s_branch .LBB198_153
.LBB198_43:
	s_mov_b32 s23, -1
	s_mov_b32 s0, 0
	s_mov_b32 s22, 0
.LBB198_44:
	s_and_b32 vcc_lo, exec_lo, s23
	s_cbranch_vccz .LBB198_49
; %bb.45:
	s_cmp_eq_u32 s21, 44
	s_mov_b32 s0, -1
	s_cbranch_scc0 .LBB198_49
; %bb.46:
	s_wait_xcnt 0x0
	s_delay_alu instid0(VALU_DEP_4) | instskip(SKIP_3) | instid1(VALU_DEP_2)
	v_xor_b32_e32 v4, v0, v1
	v_cls_i32_e32 v5, v1
	s_mov_b32 s22, -1
	s_mov_b32 s23, exec_lo
	v_ashrrev_i32_e32 v4, 31, v4
	s_delay_alu instid0(VALU_DEP_1) | instskip(NEXT) | instid1(VALU_DEP_1)
	v_add_nc_u32_e32 v4, 32, v4
	v_add_min_u32_e64 v6, v5, -1, v4
	s_delay_alu instid0(VALU_DEP_1) | instskip(NEXT) | instid1(VALU_DEP_1)
	v_lshlrev_b64_e32 v[4:5], v6, v[0:1]
	v_min_u32_e32 v4, 1, v4
	s_delay_alu instid0(VALU_DEP_1) | instskip(NEXT) | instid1(VALU_DEP_1)
	v_dual_sub_nc_u32 v5, 32, v6 :: v_dual_bitop2_b32 v4, v5, v4 bitop3:0x54
	v_cvt_f32_i32_e32 v4, v4
	s_delay_alu instid0(VALU_DEP_1) | instskip(SKIP_1) | instid1(VALU_DEP_2)
	v_ldexp_f32 v4, v4, v5
	v_mov_b32_e32 v5, 0xff
	v_bfe_u32 v6, v4, 23, 8
	s_delay_alu instid0(VALU_DEP_1)
	v_cmpx_ne_u32_e32 0xff, v6
	s_cbranch_execz .LBB198_48
; %bb.47:
	v_and_b32_e32 v5, 0x400000, v4
	v_and_or_b32 v6, 0x3fffff, v4, v6
	v_lshrrev_b32_e32 v4, 23, v4
	s_delay_alu instid0(VALU_DEP_3) | instskip(NEXT) | instid1(VALU_DEP_3)
	v_cmp_ne_u32_e32 vcc_lo, 0, v5
	v_cmp_ne_u32_e64 s0, 0, v6
	s_and_b32 s0, vcc_lo, s0
	s_delay_alu instid0(SALU_CYCLE_1) | instskip(NEXT) | instid1(VALU_DEP_1)
	v_cndmask_b32_e64 v5, 0, 1, s0
	v_add_nc_u32_e32 v5, v4, v5
.LBB198_48:
	s_or_b32 exec_lo, exec_lo, s23
	s_mov_b32 s0, 0
	global_store_b8 v[2:3], v5, off
.LBB198_49:
	s_mov_b32 s23, 0
.LBB198_50:
	s_delay_alu instid0(SALU_CYCLE_1)
	s_and_b32 vcc_lo, exec_lo, s23
	s_cbranch_vccz .LBB198_53
; %bb.51:
	s_cmp_eq_u32 s21, 29
	s_mov_b32 s0, -1
	s_cbranch_scc0 .LBB198_53
; %bb.52:
	s_mov_b32 s22, -1
	s_mov_b32 s0, 0
	global_store_b64 v[2:3], v[0:1], off
.LBB198_53:
	s_mov_b32 s23, 0
.LBB198_54:
	s_delay_alu instid0(SALU_CYCLE_1)
	s_and_b32 vcc_lo, exec_lo, s23
	s_cbranch_vccz .LBB198_70
; %bb.55:
	s_cmp_lt_i32 s21, 27
	s_mov_b32 s22, -1
	s_cbranch_scc1 .LBB198_61
; %bb.56:
	s_cmp_gt_i32 s21, 27
	s_cbranch_scc0 .LBB198_58
; %bb.57:
	s_mov_b32 s22, 0
	global_store_b32 v[2:3], v0, off
.LBB198_58:
	s_and_not1_b32 vcc_lo, exec_lo, s22
	s_cbranch_vccnz .LBB198_60
; %bb.59:
	global_store_b16 v[2:3], v0, off
.LBB198_60:
	s_mov_b32 s22, 0
.LBB198_61:
	s_delay_alu instid0(SALU_CYCLE_1)
	s_and_not1_b32 vcc_lo, exec_lo, s22
	s_cbranch_vccnz .LBB198_69
; %bb.62:
	s_wait_xcnt 0x0
	s_delay_alu instid0(VALU_DEP_4) | instskip(SKIP_2) | instid1(VALU_DEP_2)
	v_xor_b32_e32 v4, v0, v1
	v_cls_i32_e32 v5, v1
	s_mov_b32 s22, exec_lo
	v_ashrrev_i32_e32 v4, 31, v4
	s_delay_alu instid0(VALU_DEP_1) | instskip(NEXT) | instid1(VALU_DEP_1)
	v_add_nc_u32_e32 v4, 32, v4
	v_add_min_u32_e64 v6, v5, -1, v4
	s_delay_alu instid0(VALU_DEP_1) | instskip(NEXT) | instid1(VALU_DEP_1)
	v_lshlrev_b64_e32 v[4:5], v6, v[0:1]
	v_min_u32_e32 v4, 1, v4
	s_delay_alu instid0(VALU_DEP_1) | instskip(SKIP_1) | instid1(VALU_DEP_2)
	v_dual_sub_nc_u32 v5, 32, v6 :: v_dual_bitop2_b32 v4, v5, v4 bitop3:0x54
	v_mov_b32_e32 v6, 0x80
	v_cvt_f32_i32_e32 v4, v4
	s_delay_alu instid0(VALU_DEP_1) | instskip(NEXT) | instid1(VALU_DEP_1)
	v_ldexp_f32 v4, v4, v5
	v_and_b32_e32 v5, 0x7fffffff, v4
	s_delay_alu instid0(VALU_DEP_1)
	v_cmpx_gt_u32_e32 0x43800000, v5
	s_cbranch_execz .LBB198_68
; %bb.63:
	v_cmp_lt_u32_e32 vcc_lo, 0x3bffffff, v5
	s_mov_b32 s23, 0
                                        ; implicit-def: $vgpr5
	s_and_saveexec_b32 s24, vcc_lo
	s_delay_alu instid0(SALU_CYCLE_1)
	s_xor_b32 s24, exec_lo, s24
	s_cbranch_execz .LBB198_297
; %bb.64:
	v_bfe_u32 v5, v4, 20, 1
	s_mov_b32 s23, exec_lo
	s_delay_alu instid0(VALU_DEP_1) | instskip(NEXT) | instid1(VALU_DEP_1)
	v_add3_u32 v5, v4, v5, 0x487ffff
	v_lshrrev_b32_e32 v5, 20, v5
	s_and_not1_saveexec_b32 s24, s24
	s_cbranch_execnz .LBB198_298
.LBB198_65:
	s_or_b32 exec_lo, exec_lo, s24
	v_mov_b32_e32 v6, 0
	s_and_saveexec_b32 s24, s23
.LBB198_66:
	v_lshrrev_b32_e32 v4, 24, v4
	s_delay_alu instid0(VALU_DEP_1)
	v_and_or_b32 v6, 0x80, v4, v5
.LBB198_67:
	s_or_b32 exec_lo, exec_lo, s24
.LBB198_68:
	s_delay_alu instid0(SALU_CYCLE_1)
	s_or_b32 exec_lo, exec_lo, s22
	global_store_b8 v[2:3], v6, off
.LBB198_69:
	s_mov_b32 s22, -1
.LBB198_70:
	s_mov_b32 s23, 0
.LBB198_71:
	s_delay_alu instid0(SALU_CYCLE_1)
	s_and_b32 vcc_lo, exec_lo, s23
	s_cbranch_vccz .LBB198_112
; %bb.72:
	s_cmp_gt_i32 s21, 22
	s_mov_b32 s23, -1
	s_cbranch_scc0 .LBB198_104
; %bb.73:
	s_cmp_lt_i32 s21, 24
	s_mov_b32 s22, -1
	s_cbranch_scc1 .LBB198_93
; %bb.74:
	s_cmp_gt_i32 s21, 24
	s_cbranch_scc0 .LBB198_82
; %bb.75:
	s_wait_xcnt 0x0
	s_delay_alu instid0(VALU_DEP_4) | instskip(SKIP_2) | instid1(VALU_DEP_2)
	v_xor_b32_e32 v4, v0, v1
	v_cls_i32_e32 v5, v1
	s_mov_b32 s22, exec_lo
	v_ashrrev_i32_e32 v4, 31, v4
	s_delay_alu instid0(VALU_DEP_1) | instskip(NEXT) | instid1(VALU_DEP_1)
	v_add_nc_u32_e32 v4, 32, v4
	v_add_min_u32_e64 v6, v5, -1, v4
	s_delay_alu instid0(VALU_DEP_1) | instskip(NEXT) | instid1(VALU_DEP_1)
	v_lshlrev_b64_e32 v[4:5], v6, v[0:1]
	v_min_u32_e32 v4, 1, v4
	s_delay_alu instid0(VALU_DEP_1) | instskip(SKIP_1) | instid1(VALU_DEP_2)
	v_dual_sub_nc_u32 v5, 32, v6 :: v_dual_bitop2_b32 v4, v5, v4 bitop3:0x54
	v_mov_b32_e32 v6, 0x80
	v_cvt_f32_i32_e32 v4, v4
	s_delay_alu instid0(VALU_DEP_1) | instskip(NEXT) | instid1(VALU_DEP_1)
	v_ldexp_f32 v4, v4, v5
	v_and_b32_e32 v5, 0x7fffffff, v4
	s_delay_alu instid0(VALU_DEP_1)
	v_cmpx_gt_u32_e32 0x47800000, v5
	s_cbranch_execz .LBB198_81
; %bb.76:
	v_cmp_lt_u32_e32 vcc_lo, 0x37ffffff, v5
	s_mov_b32 s23, 0
                                        ; implicit-def: $vgpr5
	s_and_saveexec_b32 s24, vcc_lo
	s_delay_alu instid0(SALU_CYCLE_1)
	s_xor_b32 s24, exec_lo, s24
	s_cbranch_execz .LBB198_301
; %bb.77:
	v_bfe_u32 v5, v4, 21, 1
	s_mov_b32 s23, exec_lo
	s_delay_alu instid0(VALU_DEP_1) | instskip(NEXT) | instid1(VALU_DEP_1)
	v_add3_u32 v5, v4, v5, 0x88fffff
	v_lshrrev_b32_e32 v5, 21, v5
	s_and_not1_saveexec_b32 s24, s24
	s_cbranch_execnz .LBB198_302
.LBB198_78:
	s_or_b32 exec_lo, exec_lo, s24
	v_mov_b32_e32 v6, 0
	s_and_saveexec_b32 s24, s23
.LBB198_79:
	v_lshrrev_b32_e32 v4, 24, v4
	s_delay_alu instid0(VALU_DEP_1)
	v_and_or_b32 v6, 0x80, v4, v5
.LBB198_80:
	s_or_b32 exec_lo, exec_lo, s24
.LBB198_81:
	s_delay_alu instid0(SALU_CYCLE_1)
	s_or_b32 exec_lo, exec_lo, s22
	s_mov_b32 s22, 0
	global_store_b8 v[2:3], v6, off
.LBB198_82:
	s_and_b32 vcc_lo, exec_lo, s22
	s_cbranch_vccz .LBB198_92
; %bb.83:
	s_wait_xcnt 0x0
	s_delay_alu instid0(VALU_DEP_4) | instskip(SKIP_2) | instid1(VALU_DEP_2)
	v_xor_b32_e32 v4, v0, v1
	v_cls_i32_e32 v5, v1
	s_mov_b32 s22, exec_lo
	v_ashrrev_i32_e32 v4, 31, v4
	s_delay_alu instid0(VALU_DEP_1) | instskip(NEXT) | instid1(VALU_DEP_1)
	v_add_nc_u32_e32 v4, 32, v4
	v_add_min_u32_e64 v6, v5, -1, v4
	s_delay_alu instid0(VALU_DEP_1) | instskip(NEXT) | instid1(VALU_DEP_1)
	v_lshlrev_b64_e32 v[4:5], v6, v[0:1]
	v_min_u32_e32 v4, 1, v4
	s_delay_alu instid0(VALU_DEP_1) | instskip(NEXT) | instid1(VALU_DEP_1)
	v_dual_sub_nc_u32 v5, 32, v6 :: v_dual_bitop2_b32 v4, v5, v4 bitop3:0x54
	v_cvt_f32_i32_e32 v4, v4
	s_delay_alu instid0(VALU_DEP_1) | instskip(NEXT) | instid1(VALU_DEP_1)
	v_ldexp_f32 v4, v4, v5
                                        ; implicit-def: $vgpr5
	v_and_b32_e32 v6, 0x7fffffff, v4
	s_delay_alu instid0(VALU_DEP_1)
	v_cmpx_gt_u32_e32 0x43f00000, v6
	s_xor_b32 s22, exec_lo, s22
	s_cbranch_execz .LBB198_89
; %bb.84:
	s_mov_b32 s23, exec_lo
                                        ; implicit-def: $vgpr5
	v_cmpx_lt_u32_e32 0x3c7fffff, v6
	s_xor_b32 s23, exec_lo, s23
; %bb.85:
	v_bfe_u32 v5, v4, 20, 1
	s_delay_alu instid0(VALU_DEP_1) | instskip(NEXT) | instid1(VALU_DEP_1)
	v_add3_u32 v5, v4, v5, 0x407ffff
	v_and_b32_e32 v6, 0xff00000, v5
	v_lshrrev_b32_e32 v5, 20, v5
	s_delay_alu instid0(VALU_DEP_2) | instskip(NEXT) | instid1(VALU_DEP_2)
	v_cmp_ne_u32_e32 vcc_lo, 0x7f00000, v6
	v_cndmask_b32_e32 v5, 0x7e, v5, vcc_lo
; %bb.86:
	s_and_not1_saveexec_b32 s23, s23
; %bb.87:
	v_add_f32_e64 v5, 0x46800000, |v4|
; %bb.88:
	s_or_b32 exec_lo, exec_lo, s23
                                        ; implicit-def: $vgpr6
.LBB198_89:
	s_and_not1_saveexec_b32 s22, s22
; %bb.90:
	v_mov_b32_e32 v5, 0x7f
	v_cmp_lt_u32_e32 vcc_lo, 0x7f800000, v6
	s_delay_alu instid0(VALU_DEP_2)
	v_cndmask_b32_e32 v5, 0x7e, v5, vcc_lo
; %bb.91:
	s_or_b32 exec_lo, exec_lo, s22
	v_lshrrev_b32_e32 v4, 24, v4
	s_delay_alu instid0(VALU_DEP_1)
	v_and_or_b32 v4, 0x80, v4, v5
	global_store_b8 v[2:3], v4, off
.LBB198_92:
	s_mov_b32 s22, 0
.LBB198_93:
	s_delay_alu instid0(SALU_CYCLE_1)
	s_and_not1_b32 vcc_lo, exec_lo, s22
	s_cbranch_vccnz .LBB198_103
; %bb.94:
	s_wait_xcnt 0x0
	s_delay_alu instid0(VALU_DEP_4) | instskip(SKIP_2) | instid1(VALU_DEP_2)
	v_xor_b32_e32 v4, v0, v1
	v_cls_i32_e32 v5, v1
	s_mov_b32 s22, exec_lo
	v_ashrrev_i32_e32 v4, 31, v4
	s_delay_alu instid0(VALU_DEP_1) | instskip(NEXT) | instid1(VALU_DEP_1)
	v_add_nc_u32_e32 v4, 32, v4
	v_add_min_u32_e64 v6, v5, -1, v4
	s_delay_alu instid0(VALU_DEP_1) | instskip(NEXT) | instid1(VALU_DEP_1)
	v_lshlrev_b64_e32 v[4:5], v6, v[0:1]
	v_min_u32_e32 v4, 1, v4
	s_delay_alu instid0(VALU_DEP_1) | instskip(NEXT) | instid1(VALU_DEP_1)
	v_dual_sub_nc_u32 v5, 32, v6 :: v_dual_bitop2_b32 v4, v5, v4 bitop3:0x54
	v_cvt_f32_i32_e32 v4, v4
	s_delay_alu instid0(VALU_DEP_1) | instskip(NEXT) | instid1(VALU_DEP_1)
	v_ldexp_f32 v4, v4, v5
                                        ; implicit-def: $vgpr5
	v_and_b32_e32 v6, 0x7fffffff, v4
	s_delay_alu instid0(VALU_DEP_1)
	v_cmpx_gt_u32_e32 0x47800000, v6
	s_xor_b32 s22, exec_lo, s22
	s_cbranch_execz .LBB198_100
; %bb.95:
	s_mov_b32 s23, exec_lo
                                        ; implicit-def: $vgpr5
	v_cmpx_lt_u32_e32 0x387fffff, v6
	s_xor_b32 s23, exec_lo, s23
; %bb.96:
	v_bfe_u32 v5, v4, 21, 1
	s_delay_alu instid0(VALU_DEP_1) | instskip(NEXT) | instid1(VALU_DEP_1)
	v_add3_u32 v5, v4, v5, 0x80fffff
	v_lshrrev_b32_e32 v5, 21, v5
; %bb.97:
	s_and_not1_saveexec_b32 s23, s23
; %bb.98:
	v_add_f32_e64 v5, 0x43000000, |v4|
; %bb.99:
	s_or_b32 exec_lo, exec_lo, s23
                                        ; implicit-def: $vgpr6
.LBB198_100:
	s_and_not1_saveexec_b32 s22, s22
; %bb.101:
	v_mov_b32_e32 v5, 0x7f
	v_cmp_lt_u32_e32 vcc_lo, 0x7f800000, v6
	s_delay_alu instid0(VALU_DEP_2)
	v_cndmask_b32_e32 v5, 0x7c, v5, vcc_lo
; %bb.102:
	s_or_b32 exec_lo, exec_lo, s22
	v_lshrrev_b32_e32 v4, 24, v4
	s_delay_alu instid0(VALU_DEP_1)
	v_and_or_b32 v4, 0x80, v4, v5
	global_store_b8 v[2:3], v4, off
.LBB198_103:
	s_mov_b32 s23, 0
	s_mov_b32 s22, -1
.LBB198_104:
	s_and_not1_b32 vcc_lo, exec_lo, s23
	s_cbranch_vccnz .LBB198_112
; %bb.105:
	s_cmp_gt_i32 s21, 14
	s_mov_b32 s23, -1
	s_cbranch_scc0 .LBB198_109
; %bb.106:
	s_cmp_eq_u32 s21, 15
	s_mov_b32 s0, -1
	s_cbranch_scc0 .LBB198_108
; %bb.107:
	s_wait_xcnt 0x0
	s_delay_alu instid0(VALU_DEP_4) | instskip(SKIP_3) | instid1(VALU_DEP_2)
	v_xor_b32_e32 v4, v0, v1
	v_cls_i32_e32 v5, v1
	s_mov_b32 s22, -1
	s_mov_b32 s0, 0
	v_ashrrev_i32_e32 v4, 31, v4
	s_delay_alu instid0(VALU_DEP_1) | instskip(NEXT) | instid1(VALU_DEP_1)
	v_add_nc_u32_e32 v4, 32, v4
	v_add_min_u32_e64 v6, v5, -1, v4
	s_delay_alu instid0(VALU_DEP_1) | instskip(NEXT) | instid1(VALU_DEP_1)
	v_lshlrev_b64_e32 v[4:5], v6, v[0:1]
	v_min_u32_e32 v4, 1, v4
	s_delay_alu instid0(VALU_DEP_1) | instskip(NEXT) | instid1(VALU_DEP_1)
	v_dual_sub_nc_u32 v5, 32, v6 :: v_dual_bitop2_b32 v4, v5, v4 bitop3:0x54
	v_cvt_f32_i32_e32 v4, v4
	s_delay_alu instid0(VALU_DEP_1) | instskip(NEXT) | instid1(VALU_DEP_1)
	v_ldexp_f32 v4, v4, v5
	v_bfe_u32 v5, v4, 16, 1
	s_delay_alu instid0(VALU_DEP_1)
	v_add3_u32 v4, v4, v5, 0x7fff
	global_store_d16_hi_b16 v[2:3], v4, off
.LBB198_108:
	s_mov_b32 s23, 0
.LBB198_109:
	s_delay_alu instid0(SALU_CYCLE_1)
	s_and_b32 vcc_lo, exec_lo, s23
	s_cbranch_vccz .LBB198_112
; %bb.110:
	s_cmp_eq_u32 s21, 11
	s_mov_b32 s0, -1
	s_cbranch_scc0 .LBB198_112
; %bb.111:
	s_delay_alu instid0(VALU_DEP_4)
	v_cmp_ne_u64_e32 vcc_lo, 0, v[0:1]
	s_mov_b32 s22, -1
	s_mov_b32 s0, 0
	s_wait_xcnt 0x0
	v_cndmask_b32_e64 v4, 0, 1, vcc_lo
	global_store_b8 v[2:3], v4, off
.LBB198_112:
	s_branch .LBB198_32
.LBB198_113:
	s_and_b32 s16, 0xffff, s16
	s_mov_b32 s21, -1
	s_cmp_lt_i32 s16, 5
	s_cbranch_scc1 .LBB198_134
; %bb.114:
	s_cmp_lt_i32 s16, 8
	s_cbranch_scc1 .LBB198_124
; %bb.115:
	;; [unrolled: 3-line block ×3, first 2 shown]
	s_cmp_gt_i32 s16, 9
	s_cbranch_scc0 .LBB198_118
; %bb.117:
	s_wait_xcnt 0x0
	s_delay_alu instid0(VALU_DEP_4) | instskip(SKIP_2) | instid1(VALU_DEP_2)
	v_cvt_f64_i32_e32 v[4:5], v1
	v_cvt_f64_u32_e32 v[6:7], v0
	s_mov_b32 s21, 0
	v_ldexp_f64 v[4:5], v[4:5], 32
	s_delay_alu instid0(VALU_DEP_1) | instskip(NEXT) | instid1(VALU_DEP_1)
	v_dual_add_f64 v[4:5], v[4:5], v[6:7] :: v_dual_mov_b32 v6, 0
	v_mov_b32_e32 v7, v6
	global_store_b128 v[2:3], v[4:7], off
.LBB198_118:
	s_and_not1_b32 vcc_lo, exec_lo, s21
	s_cbranch_vccnz .LBB198_120
; %bb.119:
	s_wait_xcnt 0x0
	s_delay_alu instid0(VALU_DEP_4) | instskip(SKIP_1) | instid1(VALU_DEP_2)
	v_xor_b32_e32 v4, v0, v1
	v_cls_i32_e32 v5, v1
	v_ashrrev_i32_e32 v4, 31, v4
	s_delay_alu instid0(VALU_DEP_1) | instskip(NEXT) | instid1(VALU_DEP_1)
	v_add_nc_u32_e32 v4, 32, v4
	v_add_min_u32_e64 v6, v5, -1, v4
	s_delay_alu instid0(VALU_DEP_1) | instskip(NEXT) | instid1(VALU_DEP_1)
	v_lshlrev_b64_e32 v[4:5], v6, v[0:1]
	v_min_u32_e32 v4, 1, v4
	s_delay_alu instid0(VALU_DEP_1) | instskip(NEXT) | instid1(VALU_DEP_1)
	v_dual_sub_nc_u32 v5, 32, v6 :: v_dual_bitop2_b32 v4, v5, v4 bitop3:0x54
	v_cvt_f32_i32_e32 v4, v4
	s_delay_alu instid0(VALU_DEP_1)
	v_ldexp_f32 v4, v4, v5
	v_mov_b32_e32 v5, 0
	global_store_b64 v[2:3], v[4:5], off
.LBB198_120:
	s_mov_b32 s21, 0
.LBB198_121:
	s_delay_alu instid0(SALU_CYCLE_1)
	s_and_not1_b32 vcc_lo, exec_lo, s21
	s_cbranch_vccnz .LBB198_123
; %bb.122:
	s_wait_xcnt 0x0
	s_delay_alu instid0(VALU_DEP_4) | instskip(SKIP_1) | instid1(VALU_DEP_2)
	v_xor_b32_e32 v4, v0, v1
	v_cls_i32_e32 v5, v1
	v_ashrrev_i32_e32 v4, 31, v4
	s_delay_alu instid0(VALU_DEP_1) | instskip(NEXT) | instid1(VALU_DEP_1)
	v_add_nc_u32_e32 v4, 32, v4
	v_add_min_u32_e64 v6, v5, -1, v4
	s_delay_alu instid0(VALU_DEP_1) | instskip(NEXT) | instid1(VALU_DEP_1)
	v_lshlrev_b64_e32 v[4:5], v6, v[0:1]
	v_min_u32_e32 v4, 1, v4
	s_delay_alu instid0(VALU_DEP_1) | instskip(NEXT) | instid1(VALU_DEP_1)
	v_dual_sub_nc_u32 v5, 32, v6 :: v_dual_bitop2_b32 v4, v5, v4 bitop3:0x54
	v_cvt_f32_i32_e32 v4, v4
	s_delay_alu instid0(VALU_DEP_1) | instskip(NEXT) | instid1(VALU_DEP_1)
	v_ldexp_f32 v4, v4, v5
	v_cvt_f16_f32_e32 v4, v4
	s_delay_alu instid0(VALU_DEP_1)
	v_and_b32_e32 v4, 0xffff, v4
	global_store_b32 v[2:3], v4, off
.LBB198_123:
	s_mov_b32 s21, 0
.LBB198_124:
	s_delay_alu instid0(SALU_CYCLE_1)
	s_and_not1_b32 vcc_lo, exec_lo, s21
	s_cbranch_vccnz .LBB198_133
; %bb.125:
	s_cmp_lt_i32 s16, 6
	s_mov_b32 s21, -1
	s_cbranch_scc1 .LBB198_131
; %bb.126:
	s_cmp_gt_i32 s16, 6
	s_cbranch_scc0 .LBB198_128
; %bb.127:
	s_wait_xcnt 0x0
	s_delay_alu instid0(VALU_DEP_4) | instskip(SKIP_2) | instid1(VALU_DEP_2)
	v_cvt_f64_i32_e32 v[4:5], v1
	v_cvt_f64_u32_e32 v[6:7], v0
	s_mov_b32 s21, 0
	v_ldexp_f64 v[4:5], v[4:5], 32
	s_delay_alu instid0(VALU_DEP_1)
	v_add_f64_e32 v[4:5], v[4:5], v[6:7]
	global_store_b64 v[2:3], v[4:5], off
.LBB198_128:
	s_and_not1_b32 vcc_lo, exec_lo, s21
	s_cbranch_vccnz .LBB198_130
; %bb.129:
	s_wait_xcnt 0x0
	s_delay_alu instid0(VALU_DEP_4) | instskip(SKIP_1) | instid1(VALU_DEP_2)
	v_xor_b32_e32 v4, v0, v1
	v_cls_i32_e32 v5, v1
	v_ashrrev_i32_e32 v4, 31, v4
	s_delay_alu instid0(VALU_DEP_1) | instskip(NEXT) | instid1(VALU_DEP_1)
	v_add_nc_u32_e32 v4, 32, v4
	v_add_min_u32_e64 v6, v5, -1, v4
	s_delay_alu instid0(VALU_DEP_1) | instskip(NEXT) | instid1(VALU_DEP_1)
	v_lshlrev_b64_e32 v[4:5], v6, v[0:1]
	v_min_u32_e32 v4, 1, v4
	s_delay_alu instid0(VALU_DEP_1) | instskip(NEXT) | instid1(VALU_DEP_1)
	v_dual_sub_nc_u32 v5, 32, v6 :: v_dual_bitop2_b32 v4, v5, v4 bitop3:0x54
	v_cvt_f32_i32_e32 v4, v4
	s_delay_alu instid0(VALU_DEP_1)
	v_ldexp_f32 v4, v4, v5
	global_store_b32 v[2:3], v4, off
.LBB198_130:
	s_mov_b32 s21, 0
.LBB198_131:
	s_delay_alu instid0(SALU_CYCLE_1)
	s_and_not1_b32 vcc_lo, exec_lo, s21
	s_cbranch_vccnz .LBB198_133
; %bb.132:
	s_wait_xcnt 0x0
	s_delay_alu instid0(VALU_DEP_4) | instskip(SKIP_1) | instid1(VALU_DEP_2)
	v_xor_b32_e32 v4, v0, v1
	v_cls_i32_e32 v5, v1
	v_ashrrev_i32_e32 v4, 31, v4
	s_delay_alu instid0(VALU_DEP_1) | instskip(NEXT) | instid1(VALU_DEP_1)
	v_add_nc_u32_e32 v4, 32, v4
	v_add_min_u32_e64 v6, v5, -1, v4
	s_delay_alu instid0(VALU_DEP_1) | instskip(NEXT) | instid1(VALU_DEP_1)
	v_lshlrev_b64_e32 v[4:5], v6, v[0:1]
	v_min_u32_e32 v4, 1, v4
	s_delay_alu instid0(VALU_DEP_1) | instskip(NEXT) | instid1(VALU_DEP_1)
	v_dual_sub_nc_u32 v5, 32, v6 :: v_dual_bitop2_b32 v4, v5, v4 bitop3:0x54
	v_cvt_f32_i32_e32 v4, v4
	s_delay_alu instid0(VALU_DEP_1) | instskip(NEXT) | instid1(VALU_DEP_1)
	v_ldexp_f32 v4, v4, v5
	v_cvt_f16_f32_e32 v4, v4
	global_store_b16 v[2:3], v4, off
.LBB198_133:
	s_mov_b32 s21, 0
.LBB198_134:
	s_delay_alu instid0(SALU_CYCLE_1)
	s_and_not1_b32 vcc_lo, exec_lo, s21
	s_cbranch_vccnz .LBB198_150
; %bb.135:
	s_cmp_lt_i32 s16, 2
	s_mov_b32 s21, -1
	s_cbranch_scc1 .LBB198_145
; %bb.136:
	s_cmp_lt_i32 s16, 3
	s_cbranch_scc1 .LBB198_142
; %bb.137:
	s_cmp_gt_i32 s16, 3
	s_cbranch_scc0 .LBB198_139
; %bb.138:
	s_mov_b32 s21, 0
	global_store_b64 v[2:3], v[0:1], off
.LBB198_139:
	s_and_not1_b32 vcc_lo, exec_lo, s21
	s_cbranch_vccnz .LBB198_141
; %bb.140:
	global_store_b32 v[2:3], v0, off
.LBB198_141:
	s_mov_b32 s21, 0
.LBB198_142:
	s_delay_alu instid0(SALU_CYCLE_1)
	s_and_not1_b32 vcc_lo, exec_lo, s21
	s_cbranch_vccnz .LBB198_144
; %bb.143:
	global_store_b16 v[2:3], v0, off
.LBB198_144:
	s_mov_b32 s21, 0
.LBB198_145:
	s_delay_alu instid0(SALU_CYCLE_1)
	s_and_not1_b32 vcc_lo, exec_lo, s21
	s_cbranch_vccnz .LBB198_150
; %bb.146:
	s_cmp_gt_i32 s16, 0
	s_mov_b32 s16, -1
	s_cbranch_scc0 .LBB198_148
; %bb.147:
	s_mov_b32 s16, 0
	global_store_b8 v[2:3], v0, off
.LBB198_148:
	s_and_not1_b32 vcc_lo, exec_lo, s16
	s_cbranch_vccnz .LBB198_150
; %bb.149:
	global_store_b8 v[2:3], v0, off
.LBB198_150:
.LBB198_151:
	v_add_nc_u32_e32 v12, 0x80, v12
	s_mov_b32 s21, -1
	s_branch .LBB198_258
.LBB198_152:
	s_mov_b32 s18, -1
                                        ; implicit-def: $vgpr2_vgpr3
.LBB198_153:
	s_mov_b32 s21, 0
.LBB198_154:
	s_delay_alu instid0(SALU_CYCLE_1)
	s_and_b32 vcc_lo, exec_lo, s21
	s_cbranch_vccz .LBB198_158
; %bb.155:
	s_cmp_eq_u32 s0, 29
	s_cbranch_scc0 .LBB198_157
; %bb.156:
	global_load_b64 v[2:3], v[0:1], off
	s_mov_b32 s16, -1
	s_mov_b32 s18, 0
	s_branch .LBB198_158
.LBB198_157:
	s_mov_b32 s18, -1
                                        ; implicit-def: $vgpr2_vgpr3
.LBB198_158:
	s_mov_b32 s21, 0
.LBB198_159:
	s_delay_alu instid0(SALU_CYCLE_1)
	s_and_b32 vcc_lo, exec_lo, s21
	s_cbranch_vccz .LBB198_175
; %bb.160:
	s_cmp_lt_i32 s0, 27
	s_cbranch_scc1 .LBB198_163
; %bb.161:
	s_cmp_gt_i32 s0, 27
	s_cbranch_scc0 .LBB198_164
; %bb.162:
	s_wait_loadcnt 0x0
	global_load_b32 v2, v[0:1], off
	v_mov_b32_e32 v3, 0
	s_mov_b32 s16, 0
	s_branch .LBB198_165
.LBB198_163:
	s_mov_b32 s16, -1
                                        ; implicit-def: $vgpr2_vgpr3
	s_branch .LBB198_168
.LBB198_164:
	s_mov_b32 s16, -1
                                        ; implicit-def: $vgpr2_vgpr3
.LBB198_165:
	s_delay_alu instid0(SALU_CYCLE_1)
	s_and_not1_b32 vcc_lo, exec_lo, s16
	s_cbranch_vccnz .LBB198_167
; %bb.166:
	s_wait_loadcnt 0x0
	global_load_u16 v2, v[0:1], off
	s_mov_b32 s16, 0
	s_delay_alu instid0(SALU_CYCLE_1)
	v_mov_b32_e32 v3, s16
	s_wait_loadcnt 0x0
	v_and_b32_e32 v2, 0xffff, v2
.LBB198_167:
	s_mov_b32 s16, 0
.LBB198_168:
	s_delay_alu instid0(SALU_CYCLE_1)
	s_and_not1_b32 vcc_lo, exec_lo, s16
	s_cbranch_vccnz .LBB198_174
; %bb.169:
	global_load_u8 v4, v[0:1], off
	s_mov_b32 s21, 0
	s_mov_b32 s16, exec_lo
	s_wait_loadcnt 0x0
	v_cmpx_lt_i16_e32 0x7f, v4
	s_xor_b32 s16, exec_lo, s16
	s_cbranch_execz .LBB198_185
; %bb.170:
	v_cmp_ne_u16_e32 vcc_lo, 0x80, v4
	s_and_b32 s21, vcc_lo, exec_lo
	s_and_not1_saveexec_b32 s16, s16
	s_cbranch_execnz .LBB198_186
.LBB198_171:
	s_or_b32 exec_lo, exec_lo, s16
	v_mov_b64_e32 v[2:3], 0
	s_and_saveexec_b32 s16, s21
	s_cbranch_execz .LBB198_173
.LBB198_172:
	v_and_b32_e32 v2, 0xffff, v4
	s_delay_alu instid0(VALU_DEP_1) | instskip(SKIP_1) | instid1(VALU_DEP_2)
	v_and_b32_e32 v3, 7, v2
	v_bfe_u32 v7, v2, 3, 4
	v_clz_i32_u32_e32 v5, v3
	s_delay_alu instid0(VALU_DEP_2) | instskip(NEXT) | instid1(VALU_DEP_2)
	v_cmp_eq_u32_e32 vcc_lo, 0, v7
	v_min_u32_e32 v5, 32, v5
	s_delay_alu instid0(VALU_DEP_1) | instskip(NEXT) | instid1(VALU_DEP_1)
	v_subrev_nc_u32_e32 v6, 28, v5
	v_dual_lshlrev_b32 v2, v6, v2 :: v_dual_sub_nc_u32 v5, 29, v5
	s_delay_alu instid0(VALU_DEP_1) | instskip(NEXT) | instid1(VALU_DEP_2)
	v_dual_lshlrev_b32 v4, 24, v4 :: v_dual_bitop2_b32 v2, 7, v2 bitop3:0x40
	v_cndmask_b32_e32 v5, v7, v5, vcc_lo
	s_delay_alu instid0(VALU_DEP_2) | instskip(NEXT) | instid1(VALU_DEP_3)
	v_cndmask_b32_e32 v2, v3, v2, vcc_lo
	v_and_b32_e32 v3, 0x80000000, v4
	s_delay_alu instid0(VALU_DEP_3) | instskip(NEXT) | instid1(VALU_DEP_3)
	v_lshl_add_u32 v4, v5, 23, 0x3b800000
	v_lshlrev_b32_e32 v2, 20, v2
	s_delay_alu instid0(VALU_DEP_1) | instskip(NEXT) | instid1(VALU_DEP_1)
	v_or3_b32 v2, v3, v4, v2
	v_trunc_f32_e32 v2, v2
	s_delay_alu instid0(VALU_DEP_1) | instskip(NEXT) | instid1(VALU_DEP_1)
	v_mul_f32_e64 v3, 0x2f800000, |v2|
	v_floor_f32_e32 v3, v3
	s_delay_alu instid0(VALU_DEP_1) | instskip(SKIP_2) | instid1(VALU_DEP_3)
	v_fma_f32 v4, 0xcf800000, v3, |v2|
	v_ashrrev_i32_e32 v2, 31, v2
	v_cvt_u32_f32_e32 v5, v3
	v_cvt_u32_f32_e32 v4, v4
	s_delay_alu instid0(VALU_DEP_2) | instskip(NEXT) | instid1(VALU_DEP_2)
	v_dual_mov_b32 v3, v2 :: v_dual_bitop2_b32 v5, v5, v2 bitop3:0x14
	v_xor_b32_e32 v4, v4, v2
	s_delay_alu instid0(VALU_DEP_1)
	v_sub_nc_u64_e32 v[2:3], v[4:5], v[2:3]
.LBB198_173:
	s_or_b32 exec_lo, exec_lo, s16
.LBB198_174:
	s_mov_b32 s16, -1
.LBB198_175:
	s_branch .LBB198_208
.LBB198_176:
	s_cmp_gt_i32 s0, 22
	s_cbranch_scc0 .LBB198_184
; %bb.177:
	s_cmp_lt_i32 s0, 24
	s_cbranch_scc1 .LBB198_187
; %bb.178:
	s_cmp_gt_i32 s0, 24
	s_cbranch_scc0 .LBB198_188
; %bb.179:
	global_load_u8 v4, v[0:1], off
	s_mov_b32 s21, 0
	s_mov_b32 s16, exec_lo
	s_wait_loadcnt 0x0
	v_cmpx_lt_i16_e32 0x7f, v4
	s_xor_b32 s16, exec_lo, s16
	s_cbranch_execz .LBB198_200
; %bb.180:
	v_cmp_ne_u16_e32 vcc_lo, 0x80, v4
	s_and_b32 s21, vcc_lo, exec_lo
	s_and_not1_saveexec_b32 s16, s16
	s_cbranch_execnz .LBB198_201
.LBB198_181:
	s_or_b32 exec_lo, exec_lo, s16
	v_mov_b64_e32 v[2:3], 0
	s_and_saveexec_b32 s16, s21
	s_cbranch_execz .LBB198_183
.LBB198_182:
	v_and_b32_e32 v2, 0xffff, v4
	s_delay_alu instid0(VALU_DEP_1) | instskip(SKIP_1) | instid1(VALU_DEP_2)
	v_and_b32_e32 v3, 3, v2
	v_bfe_u32 v7, v2, 2, 5
	v_clz_i32_u32_e32 v5, v3
	s_delay_alu instid0(VALU_DEP_2) | instskip(NEXT) | instid1(VALU_DEP_2)
	v_cmp_eq_u32_e32 vcc_lo, 0, v7
	v_min_u32_e32 v5, 32, v5
	s_delay_alu instid0(VALU_DEP_1) | instskip(NEXT) | instid1(VALU_DEP_1)
	v_subrev_nc_u32_e32 v6, 29, v5
	v_dual_lshlrev_b32 v2, v6, v2 :: v_dual_sub_nc_u32 v5, 30, v5
	s_delay_alu instid0(VALU_DEP_1) | instskip(NEXT) | instid1(VALU_DEP_2)
	v_dual_lshlrev_b32 v4, 24, v4 :: v_dual_bitop2_b32 v2, 3, v2 bitop3:0x40
	v_cndmask_b32_e32 v5, v7, v5, vcc_lo
	s_delay_alu instid0(VALU_DEP_2) | instskip(NEXT) | instid1(VALU_DEP_3)
	v_cndmask_b32_e32 v2, v3, v2, vcc_lo
	v_and_b32_e32 v3, 0x80000000, v4
	s_delay_alu instid0(VALU_DEP_3) | instskip(NEXT) | instid1(VALU_DEP_3)
	v_lshl_add_u32 v4, v5, 23, 0x37800000
	v_lshlrev_b32_e32 v2, 21, v2
	s_delay_alu instid0(VALU_DEP_1) | instskip(NEXT) | instid1(VALU_DEP_1)
	v_or3_b32 v2, v3, v4, v2
	v_trunc_f32_e32 v2, v2
	s_delay_alu instid0(VALU_DEP_1) | instskip(NEXT) | instid1(VALU_DEP_1)
	v_mul_f32_e64 v3, 0x2f800000, |v2|
	v_floor_f32_e32 v3, v3
	s_delay_alu instid0(VALU_DEP_1) | instskip(SKIP_2) | instid1(VALU_DEP_3)
	v_fma_f32 v4, 0xcf800000, v3, |v2|
	v_ashrrev_i32_e32 v2, 31, v2
	v_cvt_u32_f32_e32 v5, v3
	v_cvt_u32_f32_e32 v4, v4
	s_delay_alu instid0(VALU_DEP_2) | instskip(NEXT) | instid1(VALU_DEP_2)
	v_dual_mov_b32 v3, v2 :: v_dual_bitop2_b32 v5, v5, v2 bitop3:0x14
	v_xor_b32_e32 v4, v4, v2
	s_delay_alu instid0(VALU_DEP_1)
	v_sub_nc_u64_e32 v[2:3], v[4:5], v[2:3]
.LBB198_183:
	s_or_b32 exec_lo, exec_lo, s16
	s_mov_b32 s16, 0
	s_branch .LBB198_189
.LBB198_184:
	s_mov_b32 s21, -1
                                        ; implicit-def: $vgpr2_vgpr3
	s_branch .LBB198_195
.LBB198_185:
	s_and_not1_saveexec_b32 s16, s16
	s_cbranch_execz .LBB198_171
.LBB198_186:
	v_cmp_ne_u16_e32 vcc_lo, 0, v4
	s_and_not1_b32 s21, s21, exec_lo
	s_and_b32 s22, vcc_lo, exec_lo
	s_delay_alu instid0(SALU_CYCLE_1)
	s_or_b32 s21, s21, s22
	s_or_b32 exec_lo, exec_lo, s16
	v_mov_b64_e32 v[2:3], 0
	s_and_saveexec_b32 s16, s21
	s_cbranch_execnz .LBB198_172
	s_branch .LBB198_173
.LBB198_187:
	s_mov_b32 s16, -1
                                        ; implicit-def: $vgpr2_vgpr3
	s_branch .LBB198_192
.LBB198_188:
	s_mov_b32 s16, -1
                                        ; implicit-def: $vgpr2_vgpr3
.LBB198_189:
	s_delay_alu instid0(SALU_CYCLE_1)
	s_and_b32 vcc_lo, exec_lo, s16
	s_cbranch_vccz .LBB198_191
; %bb.190:
	s_wait_loadcnt 0x0
	global_load_u8 v2, v[0:1], off
	s_wait_loadcnt 0x0
	v_lshlrev_b32_e32 v2, 24, v2
	s_delay_alu instid0(VALU_DEP_1) | instskip(NEXT) | instid1(VALU_DEP_1)
	v_and_b32_e32 v3, 0x7f000000, v2
	v_clz_i32_u32_e32 v4, v3
	v_cmp_ne_u32_e32 vcc_lo, 0, v3
	v_add_nc_u32_e32 v6, 0x1000000, v3
	s_delay_alu instid0(VALU_DEP_3) | instskip(NEXT) | instid1(VALU_DEP_1)
	v_min_u32_e32 v4, 32, v4
	v_sub_nc_u32_e64 v4, v4, 4 clamp
	s_delay_alu instid0(VALU_DEP_1) | instskip(NEXT) | instid1(VALU_DEP_1)
	v_dual_lshlrev_b32 v5, v4, v3 :: v_dual_lshlrev_b32 v4, 23, v4
	v_lshrrev_b32_e32 v5, 4, v5
	s_delay_alu instid0(VALU_DEP_1) | instskip(NEXT) | instid1(VALU_DEP_1)
	v_dual_sub_nc_u32 v4, v5, v4 :: v_dual_ashrrev_i32 v5, 8, v6
	v_add_nc_u32_e32 v4, 0x3c000000, v4
	s_delay_alu instid0(VALU_DEP_1) | instskip(NEXT) | instid1(VALU_DEP_1)
	v_and_or_b32 v4, 0x7f800000, v5, v4
	v_cndmask_b32_e32 v3, 0, v4, vcc_lo
	s_delay_alu instid0(VALU_DEP_1) | instskip(NEXT) | instid1(VALU_DEP_1)
	v_and_or_b32 v2, 0x80000000, v2, v3
	v_trunc_f32_e32 v2, v2
	s_delay_alu instid0(VALU_DEP_1) | instskip(NEXT) | instid1(VALU_DEP_1)
	v_mul_f32_e64 v3, 0x2f800000, |v2|
	v_floor_f32_e32 v3, v3
	s_delay_alu instid0(VALU_DEP_1) | instskip(SKIP_2) | instid1(VALU_DEP_3)
	v_fma_f32 v4, 0xcf800000, v3, |v2|
	v_ashrrev_i32_e32 v2, 31, v2
	v_cvt_u32_f32_e32 v5, v3
	v_cvt_u32_f32_e32 v4, v4
	s_delay_alu instid0(VALU_DEP_2) | instskip(NEXT) | instid1(VALU_DEP_2)
	v_dual_mov_b32 v3, v2 :: v_dual_bitop2_b32 v5, v5, v2 bitop3:0x14
	v_xor_b32_e32 v4, v4, v2
	s_delay_alu instid0(VALU_DEP_1)
	v_sub_nc_u64_e32 v[2:3], v[4:5], v[2:3]
.LBB198_191:
	s_mov_b32 s16, 0
.LBB198_192:
	s_delay_alu instid0(SALU_CYCLE_1)
	s_and_not1_b32 vcc_lo, exec_lo, s16
	s_cbranch_vccnz .LBB198_194
; %bb.193:
	s_wait_loadcnt 0x0
	global_load_u8 v2, v[0:1], off
	s_wait_loadcnt 0x0
	v_lshlrev_b32_e32 v3, 25, v2
	v_lshlrev_b16 v2, 8, v2
	s_delay_alu instid0(VALU_DEP_1) | instskip(SKIP_1) | instid1(VALU_DEP_2)
	v_and_or_b32 v5, 0x7f00, v2, 0.5
	v_bfe_i32 v2, v2, 0, 16
	v_dual_add_f32 v5, -0.5, v5 :: v_dual_lshrrev_b32 v4, 4, v3
	v_cmp_gt_u32_e32 vcc_lo, 0x8000000, v3
	s_delay_alu instid0(VALU_DEP_2) | instskip(NEXT) | instid1(VALU_DEP_1)
	v_or_b32_e32 v4, 0x70000000, v4
	v_mul_f32_e32 v4, 0x7800000, v4
	s_delay_alu instid0(VALU_DEP_1) | instskip(NEXT) | instid1(VALU_DEP_1)
	v_cndmask_b32_e32 v3, v4, v5, vcc_lo
	v_and_or_b32 v2, 0x80000000, v2, v3
	s_delay_alu instid0(VALU_DEP_1) | instskip(NEXT) | instid1(VALU_DEP_1)
	v_trunc_f32_e32 v2, v2
	v_mul_f32_e64 v3, 0x2f800000, |v2|
	s_delay_alu instid0(VALU_DEP_1) | instskip(NEXT) | instid1(VALU_DEP_1)
	v_floor_f32_e32 v3, v3
	v_fma_f32 v4, 0xcf800000, v3, |v2|
	v_ashrrev_i32_e32 v2, 31, v2
	v_cvt_u32_f32_e32 v5, v3
	s_delay_alu instid0(VALU_DEP_3) | instskip(NEXT) | instid1(VALU_DEP_2)
	v_cvt_u32_f32_e32 v4, v4
	v_dual_mov_b32 v3, v2 :: v_dual_bitop2_b32 v5, v5, v2 bitop3:0x14
	s_delay_alu instid0(VALU_DEP_2) | instskip(NEXT) | instid1(VALU_DEP_1)
	v_xor_b32_e32 v4, v4, v2
	v_sub_nc_u64_e32 v[2:3], v[4:5], v[2:3]
.LBB198_194:
	s_mov_b32 s21, 0
	s_mov_b32 s16, -1
.LBB198_195:
	s_and_not1_b32 vcc_lo, exec_lo, s21
	s_cbranch_vccnz .LBB198_208
; %bb.196:
	s_cmp_gt_i32 s0, 14
	s_cbranch_scc0 .LBB198_199
; %bb.197:
	s_cmp_eq_u32 s0, 15
	s_cbranch_scc0 .LBB198_202
; %bb.198:
	s_wait_loadcnt 0x0
	global_load_u16 v2, v[0:1], off
	s_mov_b32 s16, -1
	s_mov_b32 s18, 0
	s_wait_loadcnt 0x0
	v_lshlrev_b32_e32 v2, 16, v2
	s_delay_alu instid0(VALU_DEP_1) | instskip(NEXT) | instid1(VALU_DEP_1)
	v_trunc_f32_e32 v2, v2
	v_mul_f32_e64 v3, 0x2f800000, |v2|
	s_delay_alu instid0(VALU_DEP_1) | instskip(NEXT) | instid1(VALU_DEP_1)
	v_floor_f32_e32 v3, v3
	v_fma_f32 v4, 0xcf800000, v3, |v2|
	v_ashrrev_i32_e32 v2, 31, v2
	v_cvt_u32_f32_e32 v5, v3
	s_delay_alu instid0(VALU_DEP_3) | instskip(NEXT) | instid1(VALU_DEP_2)
	v_cvt_u32_f32_e32 v4, v4
	v_dual_mov_b32 v3, v2 :: v_dual_bitop2_b32 v5, v5, v2 bitop3:0x14
	s_delay_alu instid0(VALU_DEP_2) | instskip(NEXT) | instid1(VALU_DEP_1)
	v_xor_b32_e32 v4, v4, v2
	v_sub_nc_u64_e32 v[2:3], v[4:5], v[2:3]
	s_branch .LBB198_203
.LBB198_199:
	s_mov_b32 s21, -1
                                        ; implicit-def: $vgpr2_vgpr3
	s_branch .LBB198_204
.LBB198_200:
	s_and_not1_saveexec_b32 s16, s16
	s_cbranch_execz .LBB198_181
.LBB198_201:
	v_cmp_ne_u16_e32 vcc_lo, 0, v4
	s_and_not1_b32 s21, s21, exec_lo
	s_and_b32 s22, vcc_lo, exec_lo
	s_delay_alu instid0(SALU_CYCLE_1)
	s_or_b32 s21, s21, s22
	s_or_b32 exec_lo, exec_lo, s16
	v_mov_b64_e32 v[2:3], 0
	s_and_saveexec_b32 s16, s21
	s_cbranch_execnz .LBB198_182
	s_branch .LBB198_183
.LBB198_202:
	s_mov_b32 s18, -1
                                        ; implicit-def: $vgpr2_vgpr3
.LBB198_203:
	s_mov_b32 s21, 0
.LBB198_204:
	s_delay_alu instid0(SALU_CYCLE_1)
	s_and_b32 vcc_lo, exec_lo, s21
	s_cbranch_vccz .LBB198_208
; %bb.205:
	s_cmp_eq_u32 s0, 11
	s_cbranch_scc0 .LBB198_207
; %bb.206:
	s_wait_loadcnt 0x0
	global_load_u8 v2, v[0:1], off
	s_mov_b32 s18, 0
	s_mov_b32 s16, -1
	v_mov_b32_e32 v3, s18
	s_wait_loadcnt 0x0
	v_cmp_ne_u16_e32 vcc_lo, 0, v2
	v_cndmask_b32_e64 v2, 0, 1, vcc_lo
	s_branch .LBB198_208
.LBB198_207:
	s_mov_b32 s18, -1
                                        ; implicit-def: $vgpr2_vgpr3
.LBB198_208:
	s_branch .LBB198_10
.LBB198_209:
	s_cmp_lt_i32 s0, 5
	s_cbranch_scc1 .LBB198_214
; %bb.210:
	s_cmp_lt_i32 s0, 8
	s_cbranch_scc1 .LBB198_215
; %bb.211:
	;; [unrolled: 3-line block ×3, first 2 shown]
	s_cmp_gt_i32 s0, 9
	s_cbranch_scc0 .LBB198_217
; %bb.213:
	s_wait_loadcnt 0x0
	global_load_b64 v[2:3], v[0:1], off
	s_mov_b32 s16, 0
	s_wait_loadcnt 0x0
	v_trunc_f64_e32 v[2:3], v[2:3]
	s_delay_alu instid0(VALU_DEP_1) | instskip(NEXT) | instid1(VALU_DEP_1)
	v_ldexp_f64 v[4:5], v[2:3], 0xffffffe0
	v_floor_f64_e32 v[4:5], v[4:5]
	s_delay_alu instid0(VALU_DEP_1) | instskip(SKIP_1) | instid1(VALU_DEP_2)
	v_fmamk_f64 v[6:7], v[4:5], 0xc1f00000, v[2:3]
	v_cvt_i32_f64_e32 v3, v[4:5]
	v_cvt_u32_f64_e32 v2, v[6:7]
	s_branch .LBB198_218
.LBB198_214:
                                        ; implicit-def: $vgpr2_vgpr3
	s_branch .LBB198_236
.LBB198_215:
	s_mov_b32 s16, -1
                                        ; implicit-def: $vgpr2_vgpr3
	s_branch .LBB198_224
.LBB198_216:
	s_mov_b32 s16, -1
                                        ; implicit-def: $vgpr2_vgpr3
	s_branch .LBB198_221
.LBB198_217:
	s_mov_b32 s16, -1
                                        ; implicit-def: $vgpr2_vgpr3
.LBB198_218:
	s_delay_alu instid0(SALU_CYCLE_1)
	s_and_not1_b32 vcc_lo, exec_lo, s16
	s_cbranch_vccnz .LBB198_220
; %bb.219:
	s_wait_loadcnt 0x0
	global_load_b32 v2, v[0:1], off
	s_wait_loadcnt 0x0
	v_trunc_f32_e32 v2, v2
	s_delay_alu instid0(VALU_DEP_1) | instskip(NEXT) | instid1(VALU_DEP_1)
	v_mul_f32_e64 v3, 0x2f800000, |v2|
	v_floor_f32_e32 v3, v3
	s_delay_alu instid0(VALU_DEP_1) | instskip(SKIP_2) | instid1(VALU_DEP_3)
	v_fma_f32 v4, 0xcf800000, v3, |v2|
	v_ashrrev_i32_e32 v2, 31, v2
	v_cvt_u32_f32_e32 v5, v3
	v_cvt_u32_f32_e32 v4, v4
	s_delay_alu instid0(VALU_DEP_2) | instskip(NEXT) | instid1(VALU_DEP_2)
	v_dual_mov_b32 v3, v2 :: v_dual_bitop2_b32 v5, v5, v2 bitop3:0x14
	v_xor_b32_e32 v4, v4, v2
	s_delay_alu instid0(VALU_DEP_1)
	v_sub_nc_u64_e32 v[2:3], v[4:5], v[2:3]
.LBB198_220:
	s_mov_b32 s16, 0
.LBB198_221:
	s_delay_alu instid0(SALU_CYCLE_1)
	s_and_not1_b32 vcc_lo, exec_lo, s16
	s_cbranch_vccnz .LBB198_223
; %bb.222:
	s_wait_loadcnt 0x0
	global_load_b32 v2, v[0:1], off
	s_wait_loadcnt 0x0
	v_cvt_f32_f16_e32 v2, v2
	s_delay_alu instid0(VALU_DEP_1) | instskip(NEXT) | instid1(VALU_DEP_1)
	v_cvt_i32_f32_e32 v2, v2
	v_ashrrev_i32_e32 v3, 31, v2
.LBB198_223:
	s_mov_b32 s16, 0
.LBB198_224:
	s_delay_alu instid0(SALU_CYCLE_1)
	s_and_not1_b32 vcc_lo, exec_lo, s16
	s_cbranch_vccnz .LBB198_235
; %bb.225:
	s_cmp_lt_i32 s0, 6
	s_cbranch_scc1 .LBB198_228
; %bb.226:
	s_cmp_gt_i32 s0, 6
	s_cbranch_scc0 .LBB198_229
; %bb.227:
	s_wait_loadcnt 0x0
	global_load_b64 v[2:3], v[0:1], off
	s_mov_b32 s16, 0
	s_wait_loadcnt 0x0
	v_trunc_f64_e32 v[2:3], v[2:3]
	s_delay_alu instid0(VALU_DEP_1) | instskip(NEXT) | instid1(VALU_DEP_1)
	v_ldexp_f64 v[4:5], v[2:3], 0xffffffe0
	v_floor_f64_e32 v[4:5], v[4:5]
	s_delay_alu instid0(VALU_DEP_1) | instskip(SKIP_1) | instid1(VALU_DEP_2)
	v_fmamk_f64 v[6:7], v[4:5], 0xc1f00000, v[2:3]
	v_cvt_i32_f64_e32 v3, v[4:5]
	v_cvt_u32_f64_e32 v2, v[6:7]
	s_branch .LBB198_230
.LBB198_228:
	s_mov_b32 s16, -1
                                        ; implicit-def: $vgpr2_vgpr3
	s_branch .LBB198_233
.LBB198_229:
	s_mov_b32 s16, -1
                                        ; implicit-def: $vgpr2_vgpr3
.LBB198_230:
	s_delay_alu instid0(SALU_CYCLE_1)
	s_and_not1_b32 vcc_lo, exec_lo, s16
	s_cbranch_vccnz .LBB198_232
; %bb.231:
	s_wait_loadcnt 0x0
	global_load_b32 v2, v[0:1], off
	s_wait_loadcnt 0x0
	v_trunc_f32_e32 v2, v2
	s_delay_alu instid0(VALU_DEP_1) | instskip(NEXT) | instid1(VALU_DEP_1)
	v_mul_f32_e64 v3, 0x2f800000, |v2|
	v_floor_f32_e32 v3, v3
	s_delay_alu instid0(VALU_DEP_1) | instskip(SKIP_2) | instid1(VALU_DEP_3)
	v_fma_f32 v4, 0xcf800000, v3, |v2|
	v_ashrrev_i32_e32 v2, 31, v2
	v_cvt_u32_f32_e32 v5, v3
	v_cvt_u32_f32_e32 v4, v4
	s_delay_alu instid0(VALU_DEP_2) | instskip(NEXT) | instid1(VALU_DEP_2)
	v_dual_mov_b32 v3, v2 :: v_dual_bitop2_b32 v5, v5, v2 bitop3:0x14
	v_xor_b32_e32 v4, v4, v2
	s_delay_alu instid0(VALU_DEP_1)
	v_sub_nc_u64_e32 v[2:3], v[4:5], v[2:3]
.LBB198_232:
	s_mov_b32 s16, 0
.LBB198_233:
	s_delay_alu instid0(SALU_CYCLE_1)
	s_and_not1_b32 vcc_lo, exec_lo, s16
	s_cbranch_vccnz .LBB198_235
; %bb.234:
	s_wait_loadcnt 0x0
	global_load_u16 v2, v[0:1], off
	s_wait_loadcnt 0x0
	v_cvt_f32_f16_e32 v2, v2
	s_delay_alu instid0(VALU_DEP_1) | instskip(NEXT) | instid1(VALU_DEP_1)
	v_cvt_i32_f32_e32 v2, v2
	v_ashrrev_i32_e32 v3, 31, v2
.LBB198_235:
	s_cbranch_execnz .LBB198_255
.LBB198_236:
	s_cmp_lt_i32 s0, 2
	s_cbranch_scc1 .LBB198_240
; %bb.237:
	s_cmp_lt_i32 s0, 3
	s_cbranch_scc1 .LBB198_241
; %bb.238:
	s_cmp_gt_i32 s0, 3
	s_cbranch_scc0 .LBB198_242
; %bb.239:
	s_wait_loadcnt 0x0
	global_load_b64 v[2:3], v[0:1], off
	s_mov_b32 s16, 0
	s_branch .LBB198_243
.LBB198_240:
	s_mov_b32 s16, -1
                                        ; implicit-def: $vgpr2_vgpr3
	s_branch .LBB198_249
.LBB198_241:
	s_mov_b32 s16, -1
                                        ; implicit-def: $vgpr2_vgpr3
	s_branch .LBB198_246
.LBB198_242:
	s_mov_b32 s16, -1
                                        ; implicit-def: $vgpr2_vgpr3
.LBB198_243:
	s_delay_alu instid0(SALU_CYCLE_1)
	s_and_not1_b32 vcc_lo, exec_lo, s16
	s_cbranch_vccnz .LBB198_245
; %bb.244:
	s_wait_loadcnt 0x0
	global_load_b32 v2, v[0:1], off
	s_wait_loadcnt 0x0
	v_ashrrev_i32_e32 v3, 31, v2
.LBB198_245:
	s_mov_b32 s16, 0
.LBB198_246:
	s_delay_alu instid0(SALU_CYCLE_1)
	s_and_not1_b32 vcc_lo, exec_lo, s16
	s_cbranch_vccnz .LBB198_248
; %bb.247:
	s_wait_loadcnt 0x0
	global_load_u16 v2, v[0:1], off
	s_wait_loadcnt 0x0
	v_bfe_i32 v2, v2, 0, 16
	s_delay_alu instid0(VALU_DEP_1)
	v_ashrrev_i32_e32 v3, 31, v2
.LBB198_248:
	s_mov_b32 s16, 0
.LBB198_249:
	s_delay_alu instid0(SALU_CYCLE_1)
	s_and_not1_b32 vcc_lo, exec_lo, s16
	s_cbranch_vccnz .LBB198_255
; %bb.250:
	s_cmp_gt_i32 s0, 0
	s_mov_b32 s0, 0
	s_cbranch_scc0 .LBB198_252
; %bb.251:
	s_wait_loadcnt 0x0
	global_load_i8 v2, v[0:1], off
	s_wait_loadcnt 0x0
	v_bfe_i32 v2, v2, 0, 16
	s_delay_alu instid0(VALU_DEP_1)
	v_ashrrev_i32_e32 v3, 31, v2
	s_branch .LBB198_253
.LBB198_252:
	s_mov_b32 s0, -1
                                        ; implicit-def: $vgpr2_vgpr3
.LBB198_253:
	s_delay_alu instid0(SALU_CYCLE_1)
	s_and_not1_b32 vcc_lo, exec_lo, s0
	s_cbranch_vccnz .LBB198_255
; %bb.254:
	global_load_u8 v0, v[0:1], off
	s_mov_b32 s0, 0
	s_wait_loadcnt 0x1
	v_mov_b32_e32 v3, s0
	s_wait_loadcnt 0x0
	v_and_b32_e32 v2, 0xffff, v0
.LBB198_255:
	s_branch .LBB198_11
.LBB198_256:
	s_mov_b32 s0, 0
.LBB198_257:
	s_mov_b32 s21, 0
                                        ; implicit-def: $vgpr12
.LBB198_258:
	s_and_b32 s16, s0, exec_lo
	s_and_b32 s18, s18, exec_lo
	s_or_not1_b32 s22, s21, exec_lo
.LBB198_259:
	s_wait_xcnt 0x0
	s_or_b32 exec_lo, exec_lo, s19
	s_mov_b32 s21, 0
	s_mov_b32 s0, 0
                                        ; implicit-def: $vgpr0_vgpr1
                                        ; implicit-def: $vgpr4_vgpr5
	s_and_saveexec_b32 s19, s22
	s_cbranch_execz .LBB198_268
; %bb.260:
	s_mov_b32 s0, -1
	s_mov_b32 s20, s18
	s_mov_b32 s21, s16
	s_mov_b32 s22, exec_lo
	v_cmpx_gt_i32_e64 s17, v12
	s_cbranch_execz .LBB198_529
; %bb.261:
	v_mul_lo_u32 v0, v12, s13
	s_and_b32 s0, 0xffff, s3
	s_delay_alu instid0(SALU_CYCLE_1) | instskip(NEXT) | instid1(VALU_DEP_1)
	s_cmp_lt_i32 s0, 11
	v_ashrrev_i32_e32 v1, 31, v0
	s_delay_alu instid0(VALU_DEP_1)
	v_add_nc_u64_e32 v[0:1], s[6:7], v[0:1]
	s_cbranch_scc1 .LBB198_271
; %bb.262:
	s_cmp_gt_i32 s0, 25
	s_cbranch_scc0 .LBB198_276
; %bb.263:
	s_cmp_gt_i32 s0, 28
	s_cbranch_scc0 .LBB198_280
	;; [unrolled: 3-line block ×4, first 2 shown]
; %bb.266:
	s_cmp_eq_u32 s0, 46
	s_mov_b32 s23, 0
	s_cbranch_scc0 .LBB198_303
; %bb.267:
	s_wait_loadcnt 0x0
	global_load_b32 v2, v[0:1], off
	s_mov_b32 s21, -1
	s_mov_b32 s20, 0
	s_wait_loadcnt 0x0
	v_lshlrev_b32_e32 v2, 16, v2
	s_delay_alu instid0(VALU_DEP_1) | instskip(NEXT) | instid1(VALU_DEP_1)
	v_trunc_f32_e32 v2, v2
	v_mul_f32_e64 v3, 0x2f800000, |v2|
	s_delay_alu instid0(VALU_DEP_1) | instskip(NEXT) | instid1(VALU_DEP_1)
	v_floor_f32_e32 v3, v3
	v_fma_f32 v4, 0xcf800000, v3, |v2|
	v_ashrrev_i32_e32 v2, 31, v2
	v_cvt_u32_f32_e32 v5, v3
	s_delay_alu instid0(VALU_DEP_3) | instskip(NEXT) | instid1(VALU_DEP_2)
	v_cvt_u32_f32_e32 v4, v4
	v_dual_mov_b32 v3, v2 :: v_dual_bitop2_b32 v5, v5, v2 bitop3:0x14
	s_delay_alu instid0(VALU_DEP_2) | instskip(NEXT) | instid1(VALU_DEP_1)
	v_xor_b32_e32 v4, v4, v2
	v_sub_nc_u64_e32 v[2:3], v[4:5], v[2:3]
	s_branch .LBB198_305
.LBB198_268:
	s_or_b32 exec_lo, exec_lo, s19
	s_mov_b32 s17, 0
	s_and_saveexec_b32 s19, s18
	s_cbranch_execnz .LBB198_881
.LBB198_269:
	s_or_b32 exec_lo, exec_lo, s19
	s_and_saveexec_b32 s18, s20
	s_delay_alu instid0(SALU_CYCLE_1)
	s_xor_b32 s18, exec_lo, s18
	s_cbranch_execz .LBB198_882
.LBB198_270:
	s_wait_loadcnt 0x0
	global_load_u8 v2, v[0:1], off
	s_mov_b32 s19, 0
	s_or_b32 s0, s0, exec_lo
	v_mov_b32_e32 v5, s19
	s_wait_loadcnt 0x0
	v_cmp_ne_u16_e32 vcc_lo, 0, v2
	v_cndmask_b32_e64 v4, 0, 1, vcc_lo
	s_wait_xcnt 0x0
	s_or_b32 exec_lo, exec_lo, s18
	s_and_saveexec_b32 s18, s21
	s_cbranch_execz .LBB198_928
	s_branch .LBB198_883
.LBB198_271:
	s_mov_b32 s21, 0
	s_mov_b32 s20, s18
                                        ; implicit-def: $vgpr2_vgpr3
	s_cbranch_execnz .LBB198_478
.LBB198_272:
	s_and_not1_b32 vcc_lo, exec_lo, s21
	s_cbranch_vccnz .LBB198_526
.LBB198_273:
	s_cmp_lt_i32 s14, 1
	s_mov_b32 s0, 0
	s_cbranch_scc1 .LBB198_277
; %bb.274:
	s_cmp_eq_u32 s14, 1
	s_cbranch_scc0 .LBB198_281
; %bb.275:
	s_wait_loadcnt 0x0
	s_delay_alu instid0(VALU_DEP_1)
	v_min_i64 v[0:1], v[2:3], s[8:9]
	s_mov_b32 s21, 0
	s_branch .LBB198_282
.LBB198_276:
	s_mov_b32 s23, -1
	s_mov_b32 s21, 0
	s_mov_b32 s20, s18
                                        ; implicit-def: $vgpr2_vgpr3
	s_branch .LBB198_444
.LBB198_277:
	s_mov_b32 s21, 0
                                        ; implicit-def: $vgpr0_vgpr1
	s_cbranch_execnz .LBB198_283
.LBB198_278:
	s_wait_loadcnt 0x0
	s_delay_alu instid0(VALU_DEP_1)
	v_max_i64 v[4:5], v[2:3], s[8:9]
	s_and_not1_b32 vcc_lo, exec_lo, s21
	s_cbranch_vccnz .LBB198_284
.LBB198_279:
	s_wait_xcnt 0x0
	v_max_i64 v[0:1], v[2:3], s[8:9]
	s_delay_alu instid0(VALU_DEP_1)
	v_min_i64 v[0:1], v[0:1], s[10:11]
	s_cbranch_execz .LBB198_285
	s_branch .LBB198_286
.LBB198_280:
	s_mov_b32 s23, -1
	s_mov_b32 s21, 0
	s_mov_b32 s20, s18
                                        ; implicit-def: $vgpr2_vgpr3
	s_branch .LBB198_427
.LBB198_281:
	s_mov_b32 s21, -1
                                        ; implicit-def: $vgpr0_vgpr1
.LBB198_282:
	s_branch .LBB198_278
.LBB198_283:
	s_cmp_lg_u32 s14, 0
	s_mov_b32 s0, -1
	s_cselect_b32 s21, -1, 0
	s_wait_loadcnt 0x0
	s_delay_alu instid0(VALU_DEP_1)
	v_max_i64 v[4:5], v[2:3], s[8:9]
	s_and_not1_b32 vcc_lo, exec_lo, s21
	s_cbranch_vccz .LBB198_279
.LBB198_284:
	s_and_not1_b32 vcc_lo, exec_lo, s0
	s_cbranch_vccnz .LBB198_286
.LBB198_285:
	s_wait_xcnt 0x0
	s_delay_alu instid0(VALU_DEP_1)
	v_mov_b64_e32 v[0:1], v[4:5]
.LBB198_286:
	v_mul_lo_u32 v2, v12, s12
	s_and_b32 s21, s2, 0xff
	s_delay_alu instid0(SALU_CYCLE_1) | instskip(NEXT) | instid1(VALU_DEP_1)
	s_cmp_lt_i32 s21, 11
	v_ashrrev_i32_e32 v3, 31, v2
	s_delay_alu instid0(VALU_DEP_1)
	v_add_nc_u64_e32 v[2:3], s[4:5], v[2:3]
	s_cbranch_scc1 .LBB198_293
; %bb.287:
	s_and_b32 s23, 0xffff, s21
	s_delay_alu instid0(SALU_CYCLE_1)
	s_cmp_gt_i32 s23, 25
	s_cbranch_scc0 .LBB198_294
; %bb.288:
	s_cmp_gt_i32 s23, 28
	s_cbranch_scc0 .LBB198_296
; %bb.289:
	;; [unrolled: 3-line block ×4, first 2 shown]
	s_mov_b32 s25, 0
	s_mov_b32 s0, -1
	s_cmp_eq_u32 s23, 46
	s_mov_b32 s24, 0
	s_cbranch_scc0 .LBB198_309
; %bb.292:
	s_delay_alu instid0(VALU_DEP_4) | instskip(SKIP_3) | instid1(VALU_DEP_2)
	v_xor_b32_e32 v4, v0, v1
	v_cls_i32_e32 v5, v1
	s_mov_b32 s24, -1
	s_mov_b32 s0, 0
	v_ashrrev_i32_e32 v4, 31, v4
	s_delay_alu instid0(VALU_DEP_1) | instskip(NEXT) | instid1(VALU_DEP_1)
	v_add_nc_u32_e32 v4, 32, v4
	v_add_min_u32_e64 v6, v5, -1, v4
	s_delay_alu instid0(VALU_DEP_1) | instskip(NEXT) | instid1(VALU_DEP_1)
	v_lshlrev_b64_e32 v[4:5], v6, v[0:1]
	v_min_u32_e32 v4, 1, v4
	s_delay_alu instid0(VALU_DEP_1) | instskip(NEXT) | instid1(VALU_DEP_1)
	v_dual_sub_nc_u32 v5, 32, v6 :: v_dual_bitop2_b32 v4, v5, v4 bitop3:0x54
	v_cvt_f32_i32_e32 v4, v4
	s_delay_alu instid0(VALU_DEP_1) | instskip(NEXT) | instid1(VALU_DEP_1)
	v_ldexp_f32 v4, v4, v5
	v_bfe_u32 v5, v4, 16, 1
	s_delay_alu instid0(VALU_DEP_1) | instskip(NEXT) | instid1(VALU_DEP_1)
	v_add3_u32 v4, v4, v5, 0x7fff
	v_lshrrev_b32_e32 v4, 16, v4
	global_store_b32 v[2:3], v4, off
	s_branch .LBB198_309
.LBB198_293:
	s_mov_b32 s23, -1
	s_mov_b32 s24, 0
	s_mov_b32 s0, s16
	s_branch .LBB198_378
.LBB198_294:
	s_mov_b32 s25, -1
	s_mov_b32 s24, 0
	s_mov_b32 s0, s16
	s_branch .LBB198_336
.LBB198_295:
	s_mov_b32 s23, -1
	s_mov_b32 s21, 0
	s_mov_b32 s20, s18
                                        ; implicit-def: $vgpr2_vgpr3
	s_branch .LBB198_422
.LBB198_296:
	s_mov_b32 s25, -1
	s_mov_b32 s24, 0
	s_mov_b32 s0, s16
	s_branch .LBB198_319
.LBB198_297:
	s_and_not1_saveexec_b32 s24, s24
	s_cbranch_execz .LBB198_65
.LBB198_298:
	v_add_f32_e64 v5, 0x46000000, |v4|
	s_and_not1_b32 s23, s23, exec_lo
	s_delay_alu instid0(VALU_DEP_1) | instskip(NEXT) | instid1(VALU_DEP_1)
	v_and_b32_e32 v5, 0xff, v5
	v_cmp_ne_u32_e32 vcc_lo, 0, v5
	s_and_b32 s25, vcc_lo, exec_lo
	s_delay_alu instid0(SALU_CYCLE_1)
	s_or_b32 s23, s23, s25
	s_or_b32 exec_lo, exec_lo, s24
	v_mov_b32_e32 v6, 0
	s_and_saveexec_b32 s24, s23
	s_cbranch_execnz .LBB198_66
	s_branch .LBB198_67
.LBB198_299:
	s_mov_b32 s23, -1
	s_mov_b32 s21, 0
	s_mov_b32 s20, s18
	s_branch .LBB198_304
.LBB198_300:
	s_mov_b32 s25, -1
	s_mov_b32 s24, 0
	s_mov_b32 s0, s16
	s_branch .LBB198_315
.LBB198_301:
	s_and_not1_saveexec_b32 s24, s24
	s_cbranch_execz .LBB198_78
.LBB198_302:
	v_add_f32_e64 v5, 0x42800000, |v4|
	s_and_not1_b32 s23, s23, exec_lo
	s_delay_alu instid0(VALU_DEP_1) | instskip(NEXT) | instid1(VALU_DEP_1)
	v_and_b32_e32 v5, 0xff, v5
	v_cmp_ne_u32_e32 vcc_lo, 0, v5
	s_and_b32 s25, vcc_lo, exec_lo
	s_delay_alu instid0(SALU_CYCLE_1)
	s_or_b32 s23, s23, s25
	s_or_b32 exec_lo, exec_lo, s24
	v_mov_b32_e32 v6, 0
	s_and_saveexec_b32 s24, s23
	s_cbranch_execnz .LBB198_79
	s_branch .LBB198_80
.LBB198_303:
	s_mov_b32 s20, -1
	s_mov_b32 s21, 0
.LBB198_304:
                                        ; implicit-def: $vgpr2_vgpr3
.LBB198_305:
	s_and_b32 vcc_lo, exec_lo, s23
	s_cbranch_vccz .LBB198_421
; %bb.306:
	s_cmp_eq_u32 s0, 44
	s_cbranch_scc0 .LBB198_420
; %bb.307:
	global_load_u8 v6, v[0:1], off
	s_mov_b32 s20, 0
	s_mov_b32 s21, -1
	s_wait_loadcnt 0x0
	v_cmp_ne_u32_e32 vcc_lo, 0, v6
	v_lshlrev_b32_e32 v2, 23, v6
	s_delay_alu instid0(VALU_DEP_1) | instskip(NEXT) | instid1(VALU_DEP_1)
	v_trunc_f32_e32 v2, v2
	v_mul_f32_e64 v3, 0x2f800000, |v2|
	s_delay_alu instid0(VALU_DEP_1) | instskip(NEXT) | instid1(VALU_DEP_1)
	v_floor_f32_e32 v3, v3
	v_fma_f32 v4, 0xcf800000, v3, |v2|
	v_ashrrev_i32_e32 v2, 31, v2
	v_cvt_u32_f32_e32 v5, v3
	s_delay_alu instid0(VALU_DEP_3) | instskip(NEXT) | instid1(VALU_DEP_2)
	v_cvt_u32_f32_e32 v4, v4
	v_dual_mov_b32 v3, v2 :: v_dual_bitop2_b32 v5, v5, v2 bitop3:0x14
	s_delay_alu instid0(VALU_DEP_2) | instskip(NEXT) | instid1(VALU_DEP_1)
	v_xor_b32_e32 v4, v4, v2
	v_sub_nc_u64_e32 v[2:3], v[4:5], v[2:3]
	s_delay_alu instid0(VALU_DEP_1)
	v_dual_cndmask_b32 v3, 0, v3 :: v_dual_cndmask_b32 v2, 0, v2
	s_branch .LBB198_421
.LBB198_308:
	s_mov_b32 s25, -1
	s_mov_b32 s24, 0
	s_mov_b32 s0, s16
.LBB198_309:
	s_and_b32 vcc_lo, exec_lo, s25
	s_cbranch_vccz .LBB198_314
; %bb.310:
	s_cmp_eq_u32 s23, 44
	s_mov_b32 s0, -1
	s_cbranch_scc0 .LBB198_314
; %bb.311:
	s_wait_xcnt 0x0
	s_delay_alu instid0(VALU_DEP_4) | instskip(SKIP_3) | instid1(VALU_DEP_2)
	v_xor_b32_e32 v4, v0, v1
	v_cls_i32_e32 v5, v1
	s_mov_b32 s24, -1
	s_mov_b32 s25, exec_lo
	v_ashrrev_i32_e32 v4, 31, v4
	s_delay_alu instid0(VALU_DEP_1) | instskip(NEXT) | instid1(VALU_DEP_1)
	v_add_nc_u32_e32 v4, 32, v4
	v_add_min_u32_e64 v6, v5, -1, v4
	s_delay_alu instid0(VALU_DEP_1) | instskip(NEXT) | instid1(VALU_DEP_1)
	v_lshlrev_b64_e32 v[4:5], v6, v[0:1]
	v_min_u32_e32 v4, 1, v4
	s_delay_alu instid0(VALU_DEP_1) | instskip(NEXT) | instid1(VALU_DEP_1)
	v_dual_sub_nc_u32 v5, 32, v6 :: v_dual_bitop2_b32 v4, v5, v4 bitop3:0x54
	v_cvt_f32_i32_e32 v4, v4
	s_delay_alu instid0(VALU_DEP_1) | instskip(SKIP_1) | instid1(VALU_DEP_2)
	v_ldexp_f32 v4, v4, v5
	v_mov_b32_e32 v5, 0xff
	v_bfe_u32 v6, v4, 23, 8
	s_delay_alu instid0(VALU_DEP_1)
	v_cmpx_ne_u32_e32 0xff, v6
	s_cbranch_execz .LBB198_313
; %bb.312:
	v_and_b32_e32 v5, 0x400000, v4
	v_and_or_b32 v6, 0x3fffff, v4, v6
	v_lshrrev_b32_e32 v4, 23, v4
	s_delay_alu instid0(VALU_DEP_3) | instskip(NEXT) | instid1(VALU_DEP_3)
	v_cmp_ne_u32_e32 vcc_lo, 0, v5
	v_cmp_ne_u32_e64 s0, 0, v6
	s_and_b32 s0, vcc_lo, s0
	s_delay_alu instid0(SALU_CYCLE_1) | instskip(NEXT) | instid1(VALU_DEP_1)
	v_cndmask_b32_e64 v5, 0, 1, s0
	v_add_nc_u32_e32 v5, v4, v5
.LBB198_313:
	s_or_b32 exec_lo, exec_lo, s25
	s_mov_b32 s0, 0
	global_store_b8 v[2:3], v5, off
.LBB198_314:
	s_mov_b32 s25, 0
.LBB198_315:
	s_delay_alu instid0(SALU_CYCLE_1)
	s_and_b32 vcc_lo, exec_lo, s25
	s_cbranch_vccz .LBB198_318
; %bb.316:
	s_cmp_eq_u32 s23, 29
	s_mov_b32 s0, -1
	s_cbranch_scc0 .LBB198_318
; %bb.317:
	s_mov_b32 s24, -1
	s_mov_b32 s0, 0
	global_store_b64 v[2:3], v[0:1], off
.LBB198_318:
	s_mov_b32 s25, 0
.LBB198_319:
	s_delay_alu instid0(SALU_CYCLE_1)
	s_and_b32 vcc_lo, exec_lo, s25
	s_cbranch_vccz .LBB198_335
; %bb.320:
	s_cmp_lt_i32 s23, 27
	s_mov_b32 s24, -1
	s_cbranch_scc1 .LBB198_326
; %bb.321:
	s_cmp_gt_i32 s23, 27
	s_cbranch_scc0 .LBB198_323
; %bb.322:
	s_mov_b32 s24, 0
	global_store_b32 v[2:3], v0, off
.LBB198_323:
	s_and_not1_b32 vcc_lo, exec_lo, s24
	s_cbranch_vccnz .LBB198_325
; %bb.324:
	global_store_b16 v[2:3], v0, off
.LBB198_325:
	s_mov_b32 s24, 0
.LBB198_326:
	s_delay_alu instid0(SALU_CYCLE_1)
	s_and_not1_b32 vcc_lo, exec_lo, s24
	s_cbranch_vccnz .LBB198_334
; %bb.327:
	s_wait_xcnt 0x0
	s_delay_alu instid0(VALU_DEP_4) | instskip(SKIP_2) | instid1(VALU_DEP_2)
	v_xor_b32_e32 v4, v0, v1
	v_cls_i32_e32 v5, v1
	s_mov_b32 s24, exec_lo
	v_ashrrev_i32_e32 v4, 31, v4
	s_delay_alu instid0(VALU_DEP_1) | instskip(NEXT) | instid1(VALU_DEP_1)
	v_add_nc_u32_e32 v4, 32, v4
	v_add_min_u32_e64 v6, v5, -1, v4
	s_delay_alu instid0(VALU_DEP_1) | instskip(NEXT) | instid1(VALU_DEP_1)
	v_lshlrev_b64_e32 v[4:5], v6, v[0:1]
	v_min_u32_e32 v4, 1, v4
	s_delay_alu instid0(VALU_DEP_1) | instskip(SKIP_1) | instid1(VALU_DEP_2)
	v_dual_sub_nc_u32 v5, 32, v6 :: v_dual_bitop2_b32 v4, v5, v4 bitop3:0x54
	v_mov_b32_e32 v6, 0x80
	v_cvt_f32_i32_e32 v4, v4
	s_delay_alu instid0(VALU_DEP_1) | instskip(NEXT) | instid1(VALU_DEP_1)
	v_ldexp_f32 v4, v4, v5
	v_and_b32_e32 v5, 0x7fffffff, v4
	s_delay_alu instid0(VALU_DEP_1)
	v_cmpx_gt_u32_e32 0x43800000, v5
	s_cbranch_execz .LBB198_333
; %bb.328:
	v_cmp_lt_u32_e32 vcc_lo, 0x3bffffff, v5
	s_mov_b32 s25, 0
                                        ; implicit-def: $vgpr5
	s_and_saveexec_b32 s26, vcc_lo
	s_delay_alu instid0(SALU_CYCLE_1)
	s_xor_b32 s26, exec_lo, s26
	s_cbranch_execz .LBB198_542
; %bb.329:
	v_bfe_u32 v5, v4, 20, 1
	s_mov_b32 s25, exec_lo
	s_delay_alu instid0(VALU_DEP_1) | instskip(NEXT) | instid1(VALU_DEP_1)
	v_add3_u32 v5, v4, v5, 0x487ffff
	v_lshrrev_b32_e32 v5, 20, v5
	s_and_not1_saveexec_b32 s26, s26
	s_cbranch_execnz .LBB198_543
.LBB198_330:
	s_or_b32 exec_lo, exec_lo, s26
	v_mov_b32_e32 v6, 0
	s_and_saveexec_b32 s26, s25
.LBB198_331:
	v_lshrrev_b32_e32 v4, 24, v4
	s_delay_alu instid0(VALU_DEP_1)
	v_and_or_b32 v6, 0x80, v4, v5
.LBB198_332:
	s_or_b32 exec_lo, exec_lo, s26
.LBB198_333:
	s_delay_alu instid0(SALU_CYCLE_1)
	s_or_b32 exec_lo, exec_lo, s24
	global_store_b8 v[2:3], v6, off
.LBB198_334:
	s_mov_b32 s24, -1
.LBB198_335:
	s_mov_b32 s25, 0
.LBB198_336:
	s_delay_alu instid0(SALU_CYCLE_1)
	s_and_b32 vcc_lo, exec_lo, s25
	s_cbranch_vccz .LBB198_377
; %bb.337:
	s_cmp_gt_i32 s23, 22
	s_mov_b32 s25, -1
	s_cbranch_scc0 .LBB198_369
; %bb.338:
	s_cmp_lt_i32 s23, 24
	s_mov_b32 s24, -1
	s_cbranch_scc1 .LBB198_358
; %bb.339:
	s_cmp_gt_i32 s23, 24
	s_cbranch_scc0 .LBB198_347
; %bb.340:
	s_wait_xcnt 0x0
	s_delay_alu instid0(VALU_DEP_4) | instskip(SKIP_2) | instid1(VALU_DEP_2)
	v_xor_b32_e32 v4, v0, v1
	v_cls_i32_e32 v5, v1
	s_mov_b32 s24, exec_lo
	v_ashrrev_i32_e32 v4, 31, v4
	s_delay_alu instid0(VALU_DEP_1) | instskip(NEXT) | instid1(VALU_DEP_1)
	v_add_nc_u32_e32 v4, 32, v4
	v_add_min_u32_e64 v6, v5, -1, v4
	s_delay_alu instid0(VALU_DEP_1) | instskip(NEXT) | instid1(VALU_DEP_1)
	v_lshlrev_b64_e32 v[4:5], v6, v[0:1]
	v_min_u32_e32 v4, 1, v4
	s_delay_alu instid0(VALU_DEP_1) | instskip(SKIP_1) | instid1(VALU_DEP_2)
	v_dual_sub_nc_u32 v5, 32, v6 :: v_dual_bitop2_b32 v4, v5, v4 bitop3:0x54
	v_mov_b32_e32 v6, 0x80
	v_cvt_f32_i32_e32 v4, v4
	s_delay_alu instid0(VALU_DEP_1) | instskip(NEXT) | instid1(VALU_DEP_1)
	v_ldexp_f32 v4, v4, v5
	v_and_b32_e32 v5, 0x7fffffff, v4
	s_delay_alu instid0(VALU_DEP_1)
	v_cmpx_gt_u32_e32 0x47800000, v5
	s_cbranch_execz .LBB198_346
; %bb.341:
	v_cmp_lt_u32_e32 vcc_lo, 0x37ffffff, v5
	s_mov_b32 s25, 0
                                        ; implicit-def: $vgpr5
	s_and_saveexec_b32 s26, vcc_lo
	s_delay_alu instid0(SALU_CYCLE_1)
	s_xor_b32 s26, exec_lo, s26
	s_cbranch_execz .LBB198_545
; %bb.342:
	v_bfe_u32 v5, v4, 21, 1
	s_mov_b32 s25, exec_lo
	s_delay_alu instid0(VALU_DEP_1) | instskip(NEXT) | instid1(VALU_DEP_1)
	v_add3_u32 v5, v4, v5, 0x88fffff
	v_lshrrev_b32_e32 v5, 21, v5
	s_and_not1_saveexec_b32 s26, s26
	s_cbranch_execnz .LBB198_546
.LBB198_343:
	s_or_b32 exec_lo, exec_lo, s26
	v_mov_b32_e32 v6, 0
	s_and_saveexec_b32 s26, s25
.LBB198_344:
	v_lshrrev_b32_e32 v4, 24, v4
	s_delay_alu instid0(VALU_DEP_1)
	v_and_or_b32 v6, 0x80, v4, v5
.LBB198_345:
	s_or_b32 exec_lo, exec_lo, s26
.LBB198_346:
	s_delay_alu instid0(SALU_CYCLE_1)
	s_or_b32 exec_lo, exec_lo, s24
	s_mov_b32 s24, 0
	global_store_b8 v[2:3], v6, off
.LBB198_347:
	s_and_b32 vcc_lo, exec_lo, s24
	s_cbranch_vccz .LBB198_357
; %bb.348:
	s_wait_xcnt 0x0
	s_delay_alu instid0(VALU_DEP_4) | instskip(SKIP_2) | instid1(VALU_DEP_2)
	v_xor_b32_e32 v4, v0, v1
	v_cls_i32_e32 v5, v1
	s_mov_b32 s24, exec_lo
	v_ashrrev_i32_e32 v4, 31, v4
	s_delay_alu instid0(VALU_DEP_1) | instskip(NEXT) | instid1(VALU_DEP_1)
	v_add_nc_u32_e32 v4, 32, v4
	v_add_min_u32_e64 v6, v5, -1, v4
	s_delay_alu instid0(VALU_DEP_1) | instskip(NEXT) | instid1(VALU_DEP_1)
	v_lshlrev_b64_e32 v[4:5], v6, v[0:1]
	v_min_u32_e32 v4, 1, v4
	s_delay_alu instid0(VALU_DEP_1) | instskip(NEXT) | instid1(VALU_DEP_1)
	v_dual_sub_nc_u32 v5, 32, v6 :: v_dual_bitop2_b32 v4, v5, v4 bitop3:0x54
	v_cvt_f32_i32_e32 v4, v4
	s_delay_alu instid0(VALU_DEP_1) | instskip(NEXT) | instid1(VALU_DEP_1)
	v_ldexp_f32 v4, v4, v5
                                        ; implicit-def: $vgpr5
	v_and_b32_e32 v6, 0x7fffffff, v4
	s_delay_alu instid0(VALU_DEP_1)
	v_cmpx_gt_u32_e32 0x43f00000, v6
	s_xor_b32 s24, exec_lo, s24
	s_cbranch_execz .LBB198_354
; %bb.349:
	s_mov_b32 s25, exec_lo
                                        ; implicit-def: $vgpr5
	v_cmpx_lt_u32_e32 0x3c7fffff, v6
	s_xor_b32 s25, exec_lo, s25
; %bb.350:
	v_bfe_u32 v5, v4, 20, 1
	s_delay_alu instid0(VALU_DEP_1) | instskip(NEXT) | instid1(VALU_DEP_1)
	v_add3_u32 v5, v4, v5, 0x407ffff
	v_and_b32_e32 v6, 0xff00000, v5
	v_lshrrev_b32_e32 v5, 20, v5
	s_delay_alu instid0(VALU_DEP_2) | instskip(NEXT) | instid1(VALU_DEP_2)
	v_cmp_ne_u32_e32 vcc_lo, 0x7f00000, v6
	v_cndmask_b32_e32 v5, 0x7e, v5, vcc_lo
; %bb.351:
	s_and_not1_saveexec_b32 s25, s25
; %bb.352:
	v_add_f32_e64 v5, 0x46800000, |v4|
; %bb.353:
	s_or_b32 exec_lo, exec_lo, s25
                                        ; implicit-def: $vgpr6
.LBB198_354:
	s_and_not1_saveexec_b32 s24, s24
; %bb.355:
	v_mov_b32_e32 v5, 0x7f
	v_cmp_lt_u32_e32 vcc_lo, 0x7f800000, v6
	s_delay_alu instid0(VALU_DEP_2)
	v_cndmask_b32_e32 v5, 0x7e, v5, vcc_lo
; %bb.356:
	s_or_b32 exec_lo, exec_lo, s24
	v_lshrrev_b32_e32 v4, 24, v4
	s_delay_alu instid0(VALU_DEP_1)
	v_and_or_b32 v4, 0x80, v4, v5
	global_store_b8 v[2:3], v4, off
.LBB198_357:
	s_mov_b32 s24, 0
.LBB198_358:
	s_delay_alu instid0(SALU_CYCLE_1)
	s_and_not1_b32 vcc_lo, exec_lo, s24
	s_cbranch_vccnz .LBB198_368
; %bb.359:
	s_wait_xcnt 0x0
	s_delay_alu instid0(VALU_DEP_4) | instskip(SKIP_2) | instid1(VALU_DEP_2)
	v_xor_b32_e32 v4, v0, v1
	v_cls_i32_e32 v5, v1
	s_mov_b32 s24, exec_lo
	v_ashrrev_i32_e32 v4, 31, v4
	s_delay_alu instid0(VALU_DEP_1) | instskip(NEXT) | instid1(VALU_DEP_1)
	v_add_nc_u32_e32 v4, 32, v4
	v_add_min_u32_e64 v6, v5, -1, v4
	s_delay_alu instid0(VALU_DEP_1) | instskip(NEXT) | instid1(VALU_DEP_1)
	v_lshlrev_b64_e32 v[4:5], v6, v[0:1]
	v_min_u32_e32 v4, 1, v4
	s_delay_alu instid0(VALU_DEP_1) | instskip(NEXT) | instid1(VALU_DEP_1)
	v_dual_sub_nc_u32 v5, 32, v6 :: v_dual_bitop2_b32 v4, v5, v4 bitop3:0x54
	v_cvt_f32_i32_e32 v4, v4
	s_delay_alu instid0(VALU_DEP_1) | instskip(NEXT) | instid1(VALU_DEP_1)
	v_ldexp_f32 v4, v4, v5
                                        ; implicit-def: $vgpr5
	v_and_b32_e32 v6, 0x7fffffff, v4
	s_delay_alu instid0(VALU_DEP_1)
	v_cmpx_gt_u32_e32 0x47800000, v6
	s_xor_b32 s24, exec_lo, s24
	s_cbranch_execz .LBB198_365
; %bb.360:
	s_mov_b32 s25, exec_lo
                                        ; implicit-def: $vgpr5
	v_cmpx_lt_u32_e32 0x387fffff, v6
	s_xor_b32 s25, exec_lo, s25
; %bb.361:
	v_bfe_u32 v5, v4, 21, 1
	s_delay_alu instid0(VALU_DEP_1) | instskip(NEXT) | instid1(VALU_DEP_1)
	v_add3_u32 v5, v4, v5, 0x80fffff
	v_lshrrev_b32_e32 v5, 21, v5
; %bb.362:
	s_and_not1_saveexec_b32 s25, s25
; %bb.363:
	v_add_f32_e64 v5, 0x43000000, |v4|
; %bb.364:
	s_or_b32 exec_lo, exec_lo, s25
                                        ; implicit-def: $vgpr6
.LBB198_365:
	s_and_not1_saveexec_b32 s24, s24
; %bb.366:
	v_mov_b32_e32 v5, 0x7f
	v_cmp_lt_u32_e32 vcc_lo, 0x7f800000, v6
	s_delay_alu instid0(VALU_DEP_2)
	v_cndmask_b32_e32 v5, 0x7c, v5, vcc_lo
; %bb.367:
	s_or_b32 exec_lo, exec_lo, s24
	v_lshrrev_b32_e32 v4, 24, v4
	s_delay_alu instid0(VALU_DEP_1)
	v_and_or_b32 v4, 0x80, v4, v5
	global_store_b8 v[2:3], v4, off
.LBB198_368:
	s_mov_b32 s25, 0
	s_mov_b32 s24, -1
.LBB198_369:
	s_and_not1_b32 vcc_lo, exec_lo, s25
	s_cbranch_vccnz .LBB198_377
; %bb.370:
	s_cmp_gt_i32 s23, 14
	s_mov_b32 s25, -1
	s_cbranch_scc0 .LBB198_374
; %bb.371:
	s_cmp_eq_u32 s23, 15
	s_mov_b32 s0, -1
	s_cbranch_scc0 .LBB198_373
; %bb.372:
	s_wait_xcnt 0x0
	s_delay_alu instid0(VALU_DEP_4) | instskip(SKIP_3) | instid1(VALU_DEP_2)
	v_xor_b32_e32 v4, v0, v1
	v_cls_i32_e32 v5, v1
	s_mov_b32 s24, -1
	s_mov_b32 s0, 0
	v_ashrrev_i32_e32 v4, 31, v4
	s_delay_alu instid0(VALU_DEP_1) | instskip(NEXT) | instid1(VALU_DEP_1)
	v_add_nc_u32_e32 v4, 32, v4
	v_add_min_u32_e64 v6, v5, -1, v4
	s_delay_alu instid0(VALU_DEP_1) | instskip(NEXT) | instid1(VALU_DEP_1)
	v_lshlrev_b64_e32 v[4:5], v6, v[0:1]
	v_min_u32_e32 v4, 1, v4
	s_delay_alu instid0(VALU_DEP_1) | instskip(NEXT) | instid1(VALU_DEP_1)
	v_dual_sub_nc_u32 v5, 32, v6 :: v_dual_bitop2_b32 v4, v5, v4 bitop3:0x54
	v_cvt_f32_i32_e32 v4, v4
	s_delay_alu instid0(VALU_DEP_1) | instskip(NEXT) | instid1(VALU_DEP_1)
	v_ldexp_f32 v4, v4, v5
	v_bfe_u32 v5, v4, 16, 1
	s_delay_alu instid0(VALU_DEP_1)
	v_add3_u32 v4, v4, v5, 0x7fff
	global_store_d16_hi_b16 v[2:3], v4, off
.LBB198_373:
	s_mov_b32 s25, 0
.LBB198_374:
	s_delay_alu instid0(SALU_CYCLE_1)
	s_and_b32 vcc_lo, exec_lo, s25
	s_cbranch_vccz .LBB198_377
; %bb.375:
	s_cmp_eq_u32 s23, 11
	s_mov_b32 s0, -1
	s_cbranch_scc0 .LBB198_377
; %bb.376:
	s_delay_alu instid0(VALU_DEP_4)
	v_cmp_ne_u64_e32 vcc_lo, 0, v[0:1]
	s_mov_b32 s24, -1
	s_mov_b32 s0, 0
	s_wait_xcnt 0x0
	v_cndmask_b32_e64 v4, 0, 1, vcc_lo
	global_store_b8 v[2:3], v4, off
.LBB198_377:
	s_mov_b32 s23, 0
.LBB198_378:
	s_delay_alu instid0(SALU_CYCLE_1)
	s_and_b32 vcc_lo, exec_lo, s23
	s_cbranch_vccz .LBB198_417
; %bb.379:
	s_and_b32 s21, 0xffff, s21
	s_mov_b32 s23, -1
	s_cmp_lt_i32 s21, 5
	s_cbranch_scc1 .LBB198_400
; %bb.380:
	s_cmp_lt_i32 s21, 8
	s_cbranch_scc1 .LBB198_390
; %bb.381:
	;; [unrolled: 3-line block ×3, first 2 shown]
	s_cmp_gt_i32 s21, 9
	s_cbranch_scc0 .LBB198_384
; %bb.383:
	s_wait_xcnt 0x0
	s_delay_alu instid0(VALU_DEP_4) | instskip(SKIP_2) | instid1(VALU_DEP_2)
	v_cvt_f64_i32_e32 v[4:5], v1
	v_cvt_f64_u32_e32 v[6:7], v0
	s_mov_b32 s23, 0
	v_ldexp_f64 v[4:5], v[4:5], 32
	s_delay_alu instid0(VALU_DEP_1) | instskip(NEXT) | instid1(VALU_DEP_1)
	v_dual_add_f64 v[4:5], v[4:5], v[6:7] :: v_dual_mov_b32 v6, 0
	v_mov_b32_e32 v7, v6
	global_store_b128 v[2:3], v[4:7], off
.LBB198_384:
	s_and_not1_b32 vcc_lo, exec_lo, s23
	s_cbranch_vccnz .LBB198_386
; %bb.385:
	s_wait_xcnt 0x0
	s_delay_alu instid0(VALU_DEP_4) | instskip(SKIP_1) | instid1(VALU_DEP_2)
	v_xor_b32_e32 v4, v0, v1
	v_cls_i32_e32 v5, v1
	v_ashrrev_i32_e32 v4, 31, v4
	s_delay_alu instid0(VALU_DEP_1) | instskip(NEXT) | instid1(VALU_DEP_1)
	v_add_nc_u32_e32 v4, 32, v4
	v_add_min_u32_e64 v6, v5, -1, v4
	s_delay_alu instid0(VALU_DEP_1) | instskip(NEXT) | instid1(VALU_DEP_1)
	v_lshlrev_b64_e32 v[4:5], v6, v[0:1]
	v_min_u32_e32 v4, 1, v4
	s_delay_alu instid0(VALU_DEP_1) | instskip(NEXT) | instid1(VALU_DEP_1)
	v_dual_sub_nc_u32 v5, 32, v6 :: v_dual_bitop2_b32 v4, v5, v4 bitop3:0x54
	v_cvt_f32_i32_e32 v4, v4
	s_delay_alu instid0(VALU_DEP_1)
	v_ldexp_f32 v4, v4, v5
	v_mov_b32_e32 v5, 0
	global_store_b64 v[2:3], v[4:5], off
.LBB198_386:
	s_mov_b32 s23, 0
.LBB198_387:
	s_delay_alu instid0(SALU_CYCLE_1)
	s_and_not1_b32 vcc_lo, exec_lo, s23
	s_cbranch_vccnz .LBB198_389
; %bb.388:
	s_wait_xcnt 0x0
	s_delay_alu instid0(VALU_DEP_4) | instskip(SKIP_1) | instid1(VALU_DEP_2)
	v_xor_b32_e32 v4, v0, v1
	v_cls_i32_e32 v5, v1
	v_ashrrev_i32_e32 v4, 31, v4
	s_delay_alu instid0(VALU_DEP_1) | instskip(NEXT) | instid1(VALU_DEP_1)
	v_add_nc_u32_e32 v4, 32, v4
	v_add_min_u32_e64 v6, v5, -1, v4
	s_delay_alu instid0(VALU_DEP_1) | instskip(NEXT) | instid1(VALU_DEP_1)
	v_lshlrev_b64_e32 v[4:5], v6, v[0:1]
	v_min_u32_e32 v4, 1, v4
	s_delay_alu instid0(VALU_DEP_1) | instskip(NEXT) | instid1(VALU_DEP_1)
	v_dual_sub_nc_u32 v5, 32, v6 :: v_dual_bitop2_b32 v4, v5, v4 bitop3:0x54
	v_cvt_f32_i32_e32 v4, v4
	s_delay_alu instid0(VALU_DEP_1) | instskip(NEXT) | instid1(VALU_DEP_1)
	v_ldexp_f32 v4, v4, v5
	v_cvt_f16_f32_e32 v4, v4
	s_delay_alu instid0(VALU_DEP_1)
	v_and_b32_e32 v4, 0xffff, v4
	global_store_b32 v[2:3], v4, off
.LBB198_389:
	s_mov_b32 s23, 0
.LBB198_390:
	s_delay_alu instid0(SALU_CYCLE_1)
	s_and_not1_b32 vcc_lo, exec_lo, s23
	s_cbranch_vccnz .LBB198_399
; %bb.391:
	s_cmp_lt_i32 s21, 6
	s_mov_b32 s23, -1
	s_cbranch_scc1 .LBB198_397
; %bb.392:
	s_cmp_gt_i32 s21, 6
	s_cbranch_scc0 .LBB198_394
; %bb.393:
	s_wait_xcnt 0x0
	s_delay_alu instid0(VALU_DEP_4) | instskip(SKIP_2) | instid1(VALU_DEP_2)
	v_cvt_f64_i32_e32 v[4:5], v1
	v_cvt_f64_u32_e32 v[6:7], v0
	s_mov_b32 s23, 0
	v_ldexp_f64 v[4:5], v[4:5], 32
	s_delay_alu instid0(VALU_DEP_1)
	v_add_f64_e32 v[4:5], v[4:5], v[6:7]
	global_store_b64 v[2:3], v[4:5], off
.LBB198_394:
	s_and_not1_b32 vcc_lo, exec_lo, s23
	s_cbranch_vccnz .LBB198_396
; %bb.395:
	s_wait_xcnt 0x0
	s_delay_alu instid0(VALU_DEP_4) | instskip(SKIP_1) | instid1(VALU_DEP_2)
	v_xor_b32_e32 v4, v0, v1
	v_cls_i32_e32 v5, v1
	v_ashrrev_i32_e32 v4, 31, v4
	s_delay_alu instid0(VALU_DEP_1) | instskip(NEXT) | instid1(VALU_DEP_1)
	v_add_nc_u32_e32 v4, 32, v4
	v_add_min_u32_e64 v6, v5, -1, v4
	s_delay_alu instid0(VALU_DEP_1) | instskip(NEXT) | instid1(VALU_DEP_1)
	v_lshlrev_b64_e32 v[4:5], v6, v[0:1]
	v_min_u32_e32 v4, 1, v4
	s_delay_alu instid0(VALU_DEP_1) | instskip(NEXT) | instid1(VALU_DEP_1)
	v_dual_sub_nc_u32 v5, 32, v6 :: v_dual_bitop2_b32 v4, v5, v4 bitop3:0x54
	v_cvt_f32_i32_e32 v4, v4
	s_delay_alu instid0(VALU_DEP_1)
	v_ldexp_f32 v4, v4, v5
	global_store_b32 v[2:3], v4, off
.LBB198_396:
	s_mov_b32 s23, 0
.LBB198_397:
	s_delay_alu instid0(SALU_CYCLE_1)
	s_and_not1_b32 vcc_lo, exec_lo, s23
	s_cbranch_vccnz .LBB198_399
; %bb.398:
	s_wait_xcnt 0x0
	s_delay_alu instid0(VALU_DEP_4) | instskip(SKIP_1) | instid1(VALU_DEP_2)
	v_xor_b32_e32 v4, v0, v1
	v_cls_i32_e32 v5, v1
	v_ashrrev_i32_e32 v4, 31, v4
	s_delay_alu instid0(VALU_DEP_1) | instskip(NEXT) | instid1(VALU_DEP_1)
	v_add_nc_u32_e32 v4, 32, v4
	v_add_min_u32_e64 v6, v5, -1, v4
	s_delay_alu instid0(VALU_DEP_1) | instskip(NEXT) | instid1(VALU_DEP_1)
	v_lshlrev_b64_e32 v[4:5], v6, v[0:1]
	v_min_u32_e32 v4, 1, v4
	s_delay_alu instid0(VALU_DEP_1) | instskip(NEXT) | instid1(VALU_DEP_1)
	v_dual_sub_nc_u32 v5, 32, v6 :: v_dual_bitop2_b32 v4, v5, v4 bitop3:0x54
	v_cvt_f32_i32_e32 v4, v4
	s_delay_alu instid0(VALU_DEP_1) | instskip(NEXT) | instid1(VALU_DEP_1)
	v_ldexp_f32 v4, v4, v5
	v_cvt_f16_f32_e32 v4, v4
	global_store_b16 v[2:3], v4, off
.LBB198_399:
	s_mov_b32 s23, 0
.LBB198_400:
	s_delay_alu instid0(SALU_CYCLE_1)
	s_and_not1_b32 vcc_lo, exec_lo, s23
	s_cbranch_vccnz .LBB198_416
; %bb.401:
	s_cmp_lt_i32 s21, 2
	s_mov_b32 s23, -1
	s_cbranch_scc1 .LBB198_411
; %bb.402:
	s_cmp_lt_i32 s21, 3
	s_cbranch_scc1 .LBB198_408
; %bb.403:
	s_cmp_gt_i32 s21, 3
	s_cbranch_scc0 .LBB198_405
; %bb.404:
	s_mov_b32 s23, 0
	global_store_b64 v[2:3], v[0:1], off
.LBB198_405:
	s_and_not1_b32 vcc_lo, exec_lo, s23
	s_cbranch_vccnz .LBB198_407
; %bb.406:
	global_store_b32 v[2:3], v0, off
.LBB198_407:
	s_mov_b32 s23, 0
.LBB198_408:
	s_delay_alu instid0(SALU_CYCLE_1)
	s_and_not1_b32 vcc_lo, exec_lo, s23
	s_cbranch_vccnz .LBB198_410
; %bb.409:
	global_store_b16 v[2:3], v0, off
.LBB198_410:
	s_mov_b32 s23, 0
.LBB198_411:
	s_delay_alu instid0(SALU_CYCLE_1)
	s_and_not1_b32 vcc_lo, exec_lo, s23
	s_cbranch_vccnz .LBB198_416
; %bb.412:
	s_cmp_gt_i32 s21, 0
	s_mov_b32 s21, -1
	s_cbranch_scc0 .LBB198_414
; %bb.413:
	s_mov_b32 s21, 0
	global_store_b8 v[2:3], v0, off
.LBB198_414:
	s_and_not1_b32 vcc_lo, exec_lo, s21
	s_cbranch_vccnz .LBB198_416
; %bb.415:
	global_store_b8 v[2:3], v0, off
.LBB198_416:
	s_mov_b32 s24, -1
.LBB198_417:
	s_delay_alu instid0(SALU_CYCLE_1)
	s_and_not1_b32 vcc_lo, exec_lo, s24
	s_cbranch_vccnz .LBB198_419
; %bb.418:
	v_add_nc_u32_e32 v12, 0x80, v12
	s_mov_b32 s23, -1
	s_branch .LBB198_528
.LBB198_419:
	s_mov_b32 s23, 0
	s_branch .LBB198_527
.LBB198_420:
	s_mov_b32 s20, -1
                                        ; implicit-def: $vgpr2_vgpr3
.LBB198_421:
	s_mov_b32 s23, 0
.LBB198_422:
	s_delay_alu instid0(SALU_CYCLE_1)
	s_and_b32 vcc_lo, exec_lo, s23
	s_cbranch_vccz .LBB198_426
; %bb.423:
	s_cmp_eq_u32 s0, 29
	s_cbranch_scc0 .LBB198_425
; %bb.424:
	s_wait_loadcnt 0x0
	global_load_b64 v[2:3], v[0:1], off
	s_mov_b32 s21, -1
	s_mov_b32 s20, 0
	s_branch .LBB198_426
.LBB198_425:
	s_mov_b32 s20, -1
                                        ; implicit-def: $vgpr2_vgpr3
.LBB198_426:
	s_mov_b32 s23, 0
.LBB198_427:
	s_delay_alu instid0(SALU_CYCLE_1)
	s_and_b32 vcc_lo, exec_lo, s23
	s_cbranch_vccz .LBB198_443
; %bb.428:
	s_cmp_lt_i32 s0, 27
	s_cbranch_scc1 .LBB198_431
; %bb.429:
	s_cmp_gt_i32 s0, 27
	s_cbranch_scc0 .LBB198_432
; %bb.430:
	s_wait_loadcnt 0x0
	global_load_b32 v2, v[0:1], off
	v_mov_b32_e32 v3, 0
	s_mov_b32 s21, 0
	s_branch .LBB198_433
.LBB198_431:
	s_mov_b32 s21, -1
                                        ; implicit-def: $vgpr2_vgpr3
	s_branch .LBB198_436
.LBB198_432:
	s_mov_b32 s21, -1
                                        ; implicit-def: $vgpr2_vgpr3
.LBB198_433:
	s_delay_alu instid0(SALU_CYCLE_1)
	s_and_not1_b32 vcc_lo, exec_lo, s21
	s_cbranch_vccnz .LBB198_435
; %bb.434:
	s_wait_loadcnt 0x0
	global_load_u16 v2, v[0:1], off
	s_mov_b32 s21, 0
	s_delay_alu instid0(SALU_CYCLE_1)
	v_mov_b32_e32 v3, s21
	s_wait_loadcnt 0x0
	v_and_b32_e32 v2, 0xffff, v2
.LBB198_435:
	s_mov_b32 s21, 0
.LBB198_436:
	s_delay_alu instid0(SALU_CYCLE_1)
	s_and_not1_b32 vcc_lo, exec_lo, s21
	s_cbranch_vccnz .LBB198_442
; %bb.437:
	global_load_u8 v4, v[0:1], off
	s_mov_b32 s23, 0
	s_mov_b32 s21, exec_lo
	s_wait_loadcnt 0x0
	v_cmpx_lt_i16_e32 0x7f, v4
	s_xor_b32 s21, exec_lo, s21
	s_cbranch_execz .LBB198_454
; %bb.438:
	v_cmp_ne_u16_e32 vcc_lo, 0x80, v4
	s_and_b32 s23, vcc_lo, exec_lo
	s_and_not1_saveexec_b32 s21, s21
	s_cbranch_execnz .LBB198_455
.LBB198_439:
	s_or_b32 exec_lo, exec_lo, s21
	v_mov_b64_e32 v[2:3], 0
	s_and_saveexec_b32 s21, s23
	s_cbranch_execz .LBB198_441
.LBB198_440:
	v_and_b32_e32 v2, 0xffff, v4
	s_delay_alu instid0(VALU_DEP_1) | instskip(SKIP_1) | instid1(VALU_DEP_2)
	v_and_b32_e32 v3, 7, v2
	v_bfe_u32 v7, v2, 3, 4
	v_clz_i32_u32_e32 v5, v3
	s_delay_alu instid0(VALU_DEP_2) | instskip(NEXT) | instid1(VALU_DEP_2)
	v_cmp_eq_u32_e32 vcc_lo, 0, v7
	v_min_u32_e32 v5, 32, v5
	s_delay_alu instid0(VALU_DEP_1) | instskip(NEXT) | instid1(VALU_DEP_1)
	v_subrev_nc_u32_e32 v6, 28, v5
	v_dual_lshlrev_b32 v2, v6, v2 :: v_dual_sub_nc_u32 v5, 29, v5
	s_delay_alu instid0(VALU_DEP_1) | instskip(NEXT) | instid1(VALU_DEP_2)
	v_dual_lshlrev_b32 v4, 24, v4 :: v_dual_bitop2_b32 v2, 7, v2 bitop3:0x40
	v_cndmask_b32_e32 v5, v7, v5, vcc_lo
	s_delay_alu instid0(VALU_DEP_2) | instskip(NEXT) | instid1(VALU_DEP_3)
	v_cndmask_b32_e32 v2, v3, v2, vcc_lo
	v_and_b32_e32 v3, 0x80000000, v4
	s_delay_alu instid0(VALU_DEP_3) | instskip(NEXT) | instid1(VALU_DEP_3)
	v_lshl_add_u32 v4, v5, 23, 0x3b800000
	v_lshlrev_b32_e32 v2, 20, v2
	s_delay_alu instid0(VALU_DEP_1) | instskip(NEXT) | instid1(VALU_DEP_1)
	v_or3_b32 v2, v3, v4, v2
	v_trunc_f32_e32 v2, v2
	s_delay_alu instid0(VALU_DEP_1) | instskip(NEXT) | instid1(VALU_DEP_1)
	v_mul_f32_e64 v3, 0x2f800000, |v2|
	v_floor_f32_e32 v3, v3
	s_delay_alu instid0(VALU_DEP_1) | instskip(SKIP_2) | instid1(VALU_DEP_3)
	v_fma_f32 v4, 0xcf800000, v3, |v2|
	v_ashrrev_i32_e32 v2, 31, v2
	v_cvt_u32_f32_e32 v5, v3
	v_cvt_u32_f32_e32 v4, v4
	s_delay_alu instid0(VALU_DEP_2) | instskip(NEXT) | instid1(VALU_DEP_2)
	v_dual_mov_b32 v3, v2 :: v_dual_bitop2_b32 v5, v5, v2 bitop3:0x14
	v_xor_b32_e32 v4, v4, v2
	s_delay_alu instid0(VALU_DEP_1)
	v_sub_nc_u64_e32 v[2:3], v[4:5], v[2:3]
.LBB198_441:
	s_or_b32 exec_lo, exec_lo, s21
.LBB198_442:
	s_mov_b32 s21, -1
.LBB198_443:
	s_mov_b32 s23, 0
.LBB198_444:
	s_delay_alu instid0(SALU_CYCLE_1)
	s_and_b32 vcc_lo, exec_lo, s23
	s_cbranch_vccz .LBB198_477
; %bb.445:
	s_cmp_gt_i32 s0, 22
	s_cbranch_scc0 .LBB198_453
; %bb.446:
	s_cmp_lt_i32 s0, 24
	s_cbranch_scc1 .LBB198_456
; %bb.447:
	s_cmp_gt_i32 s0, 24
	s_cbranch_scc0 .LBB198_457
; %bb.448:
	global_load_u8 v4, v[0:1], off
	s_mov_b32 s23, 0
	s_mov_b32 s21, exec_lo
	s_wait_loadcnt 0x0
	v_cmpx_lt_i16_e32 0x7f, v4
	s_xor_b32 s21, exec_lo, s21
	s_cbranch_execz .LBB198_469
; %bb.449:
	v_cmp_ne_u16_e32 vcc_lo, 0x80, v4
	s_and_b32 s23, vcc_lo, exec_lo
	s_and_not1_saveexec_b32 s21, s21
	s_cbranch_execnz .LBB198_470
.LBB198_450:
	s_or_b32 exec_lo, exec_lo, s21
	v_mov_b64_e32 v[2:3], 0
	s_and_saveexec_b32 s21, s23
	s_cbranch_execz .LBB198_452
.LBB198_451:
	v_and_b32_e32 v2, 0xffff, v4
	s_delay_alu instid0(VALU_DEP_1) | instskip(SKIP_1) | instid1(VALU_DEP_2)
	v_and_b32_e32 v3, 3, v2
	v_bfe_u32 v7, v2, 2, 5
	v_clz_i32_u32_e32 v5, v3
	s_delay_alu instid0(VALU_DEP_2) | instskip(NEXT) | instid1(VALU_DEP_2)
	v_cmp_eq_u32_e32 vcc_lo, 0, v7
	v_min_u32_e32 v5, 32, v5
	s_delay_alu instid0(VALU_DEP_1) | instskip(NEXT) | instid1(VALU_DEP_1)
	v_subrev_nc_u32_e32 v6, 29, v5
	v_dual_lshlrev_b32 v2, v6, v2 :: v_dual_sub_nc_u32 v5, 30, v5
	s_delay_alu instid0(VALU_DEP_1) | instskip(NEXT) | instid1(VALU_DEP_2)
	v_dual_lshlrev_b32 v4, 24, v4 :: v_dual_bitop2_b32 v2, 3, v2 bitop3:0x40
	v_cndmask_b32_e32 v5, v7, v5, vcc_lo
	s_delay_alu instid0(VALU_DEP_2) | instskip(NEXT) | instid1(VALU_DEP_3)
	v_cndmask_b32_e32 v2, v3, v2, vcc_lo
	v_and_b32_e32 v3, 0x80000000, v4
	s_delay_alu instid0(VALU_DEP_3) | instskip(NEXT) | instid1(VALU_DEP_3)
	v_lshl_add_u32 v4, v5, 23, 0x37800000
	v_lshlrev_b32_e32 v2, 21, v2
	s_delay_alu instid0(VALU_DEP_1) | instskip(NEXT) | instid1(VALU_DEP_1)
	v_or3_b32 v2, v3, v4, v2
	v_trunc_f32_e32 v2, v2
	s_delay_alu instid0(VALU_DEP_1) | instskip(NEXT) | instid1(VALU_DEP_1)
	v_mul_f32_e64 v3, 0x2f800000, |v2|
	v_floor_f32_e32 v3, v3
	s_delay_alu instid0(VALU_DEP_1) | instskip(SKIP_2) | instid1(VALU_DEP_3)
	v_fma_f32 v4, 0xcf800000, v3, |v2|
	v_ashrrev_i32_e32 v2, 31, v2
	v_cvt_u32_f32_e32 v5, v3
	v_cvt_u32_f32_e32 v4, v4
	s_delay_alu instid0(VALU_DEP_2) | instskip(NEXT) | instid1(VALU_DEP_2)
	v_dual_mov_b32 v3, v2 :: v_dual_bitop2_b32 v5, v5, v2 bitop3:0x14
	v_xor_b32_e32 v4, v4, v2
	s_delay_alu instid0(VALU_DEP_1)
	v_sub_nc_u64_e32 v[2:3], v[4:5], v[2:3]
.LBB198_452:
	s_or_b32 exec_lo, exec_lo, s21
	s_mov_b32 s21, 0
	s_branch .LBB198_458
.LBB198_453:
	s_mov_b32 s23, -1
                                        ; implicit-def: $vgpr2_vgpr3
	s_branch .LBB198_464
.LBB198_454:
	s_and_not1_saveexec_b32 s21, s21
	s_cbranch_execz .LBB198_439
.LBB198_455:
	v_cmp_ne_u16_e32 vcc_lo, 0, v4
	s_and_not1_b32 s23, s23, exec_lo
	s_and_b32 s24, vcc_lo, exec_lo
	s_delay_alu instid0(SALU_CYCLE_1)
	s_or_b32 s23, s23, s24
	s_or_b32 exec_lo, exec_lo, s21
	v_mov_b64_e32 v[2:3], 0
	s_and_saveexec_b32 s21, s23
	s_cbranch_execnz .LBB198_440
	s_branch .LBB198_441
.LBB198_456:
	s_mov_b32 s21, -1
                                        ; implicit-def: $vgpr2_vgpr3
	s_branch .LBB198_461
.LBB198_457:
	s_mov_b32 s21, -1
                                        ; implicit-def: $vgpr2_vgpr3
.LBB198_458:
	s_delay_alu instid0(SALU_CYCLE_1)
	s_and_b32 vcc_lo, exec_lo, s21
	s_cbranch_vccz .LBB198_460
; %bb.459:
	s_wait_loadcnt 0x0
	global_load_u8 v2, v[0:1], off
	s_wait_loadcnt 0x0
	v_lshlrev_b32_e32 v2, 24, v2
	s_delay_alu instid0(VALU_DEP_1) | instskip(NEXT) | instid1(VALU_DEP_1)
	v_and_b32_e32 v3, 0x7f000000, v2
	v_clz_i32_u32_e32 v4, v3
	v_cmp_ne_u32_e32 vcc_lo, 0, v3
	v_add_nc_u32_e32 v6, 0x1000000, v3
	s_delay_alu instid0(VALU_DEP_3) | instskip(NEXT) | instid1(VALU_DEP_1)
	v_min_u32_e32 v4, 32, v4
	v_sub_nc_u32_e64 v4, v4, 4 clamp
	s_delay_alu instid0(VALU_DEP_1) | instskip(NEXT) | instid1(VALU_DEP_1)
	v_dual_lshlrev_b32 v5, v4, v3 :: v_dual_lshlrev_b32 v4, 23, v4
	v_lshrrev_b32_e32 v5, 4, v5
	s_delay_alu instid0(VALU_DEP_1) | instskip(NEXT) | instid1(VALU_DEP_1)
	v_dual_sub_nc_u32 v4, v5, v4 :: v_dual_ashrrev_i32 v5, 8, v6
	v_add_nc_u32_e32 v4, 0x3c000000, v4
	s_delay_alu instid0(VALU_DEP_1) | instskip(NEXT) | instid1(VALU_DEP_1)
	v_and_or_b32 v4, 0x7f800000, v5, v4
	v_cndmask_b32_e32 v3, 0, v4, vcc_lo
	s_delay_alu instid0(VALU_DEP_1) | instskip(NEXT) | instid1(VALU_DEP_1)
	v_and_or_b32 v2, 0x80000000, v2, v3
	v_trunc_f32_e32 v2, v2
	s_delay_alu instid0(VALU_DEP_1) | instskip(NEXT) | instid1(VALU_DEP_1)
	v_mul_f32_e64 v3, 0x2f800000, |v2|
	v_floor_f32_e32 v3, v3
	s_delay_alu instid0(VALU_DEP_1) | instskip(SKIP_2) | instid1(VALU_DEP_3)
	v_fma_f32 v4, 0xcf800000, v3, |v2|
	v_ashrrev_i32_e32 v2, 31, v2
	v_cvt_u32_f32_e32 v5, v3
	v_cvt_u32_f32_e32 v4, v4
	s_delay_alu instid0(VALU_DEP_2) | instskip(NEXT) | instid1(VALU_DEP_2)
	v_dual_mov_b32 v3, v2 :: v_dual_bitop2_b32 v5, v5, v2 bitop3:0x14
	v_xor_b32_e32 v4, v4, v2
	s_delay_alu instid0(VALU_DEP_1)
	v_sub_nc_u64_e32 v[2:3], v[4:5], v[2:3]
.LBB198_460:
	s_mov_b32 s21, 0
.LBB198_461:
	s_delay_alu instid0(SALU_CYCLE_1)
	s_and_not1_b32 vcc_lo, exec_lo, s21
	s_cbranch_vccnz .LBB198_463
; %bb.462:
	s_wait_loadcnt 0x0
	global_load_u8 v2, v[0:1], off
	s_wait_loadcnt 0x0
	v_lshlrev_b32_e32 v3, 25, v2
	v_lshlrev_b16 v2, 8, v2
	s_delay_alu instid0(VALU_DEP_1) | instskip(SKIP_1) | instid1(VALU_DEP_2)
	v_and_or_b32 v5, 0x7f00, v2, 0.5
	v_bfe_i32 v2, v2, 0, 16
	v_dual_add_f32 v5, -0.5, v5 :: v_dual_lshrrev_b32 v4, 4, v3
	v_cmp_gt_u32_e32 vcc_lo, 0x8000000, v3
	s_delay_alu instid0(VALU_DEP_2) | instskip(NEXT) | instid1(VALU_DEP_1)
	v_or_b32_e32 v4, 0x70000000, v4
	v_mul_f32_e32 v4, 0x7800000, v4
	s_delay_alu instid0(VALU_DEP_1) | instskip(NEXT) | instid1(VALU_DEP_1)
	v_cndmask_b32_e32 v3, v4, v5, vcc_lo
	v_and_or_b32 v2, 0x80000000, v2, v3
	s_delay_alu instid0(VALU_DEP_1) | instskip(NEXT) | instid1(VALU_DEP_1)
	v_trunc_f32_e32 v2, v2
	v_mul_f32_e64 v3, 0x2f800000, |v2|
	s_delay_alu instid0(VALU_DEP_1) | instskip(NEXT) | instid1(VALU_DEP_1)
	v_floor_f32_e32 v3, v3
	v_fma_f32 v4, 0xcf800000, v3, |v2|
	v_ashrrev_i32_e32 v2, 31, v2
	v_cvt_u32_f32_e32 v5, v3
	s_delay_alu instid0(VALU_DEP_3) | instskip(NEXT) | instid1(VALU_DEP_2)
	v_cvt_u32_f32_e32 v4, v4
	v_dual_mov_b32 v3, v2 :: v_dual_bitop2_b32 v5, v5, v2 bitop3:0x14
	s_delay_alu instid0(VALU_DEP_2) | instskip(NEXT) | instid1(VALU_DEP_1)
	v_xor_b32_e32 v4, v4, v2
	v_sub_nc_u64_e32 v[2:3], v[4:5], v[2:3]
.LBB198_463:
	s_mov_b32 s23, 0
	s_mov_b32 s21, -1
.LBB198_464:
	s_and_not1_b32 vcc_lo, exec_lo, s23
	s_cbranch_vccnz .LBB198_477
; %bb.465:
	s_cmp_gt_i32 s0, 14
	s_cbranch_scc0 .LBB198_468
; %bb.466:
	s_cmp_eq_u32 s0, 15
	s_cbranch_scc0 .LBB198_471
; %bb.467:
	s_wait_loadcnt 0x0
	global_load_u16 v2, v[0:1], off
	s_mov_b32 s21, -1
	s_mov_b32 s20, 0
	s_wait_loadcnt 0x0
	v_lshlrev_b32_e32 v2, 16, v2
	s_delay_alu instid0(VALU_DEP_1) | instskip(NEXT) | instid1(VALU_DEP_1)
	v_trunc_f32_e32 v2, v2
	v_mul_f32_e64 v3, 0x2f800000, |v2|
	s_delay_alu instid0(VALU_DEP_1) | instskip(NEXT) | instid1(VALU_DEP_1)
	v_floor_f32_e32 v3, v3
	v_fma_f32 v4, 0xcf800000, v3, |v2|
	v_ashrrev_i32_e32 v2, 31, v2
	v_cvt_u32_f32_e32 v5, v3
	s_delay_alu instid0(VALU_DEP_3) | instskip(NEXT) | instid1(VALU_DEP_2)
	v_cvt_u32_f32_e32 v4, v4
	v_dual_mov_b32 v3, v2 :: v_dual_bitop2_b32 v5, v5, v2 bitop3:0x14
	s_delay_alu instid0(VALU_DEP_2) | instskip(NEXT) | instid1(VALU_DEP_1)
	v_xor_b32_e32 v4, v4, v2
	v_sub_nc_u64_e32 v[2:3], v[4:5], v[2:3]
	s_branch .LBB198_472
.LBB198_468:
	s_mov_b32 s23, -1
                                        ; implicit-def: $vgpr2_vgpr3
	s_branch .LBB198_473
.LBB198_469:
	s_and_not1_saveexec_b32 s21, s21
	s_cbranch_execz .LBB198_450
.LBB198_470:
	v_cmp_ne_u16_e32 vcc_lo, 0, v4
	s_and_not1_b32 s23, s23, exec_lo
	s_and_b32 s24, vcc_lo, exec_lo
	s_delay_alu instid0(SALU_CYCLE_1)
	s_or_b32 s23, s23, s24
	s_or_b32 exec_lo, exec_lo, s21
	v_mov_b64_e32 v[2:3], 0
	s_and_saveexec_b32 s21, s23
	s_cbranch_execnz .LBB198_451
	s_branch .LBB198_452
.LBB198_471:
	s_mov_b32 s20, -1
                                        ; implicit-def: $vgpr2_vgpr3
.LBB198_472:
	s_mov_b32 s23, 0
.LBB198_473:
	s_delay_alu instid0(SALU_CYCLE_1)
	s_and_b32 vcc_lo, exec_lo, s23
	s_cbranch_vccz .LBB198_477
; %bb.474:
	s_cmp_eq_u32 s0, 11
	s_cbranch_scc0 .LBB198_476
; %bb.475:
	s_wait_loadcnt 0x0
	global_load_u8 v2, v[0:1], off
	s_mov_b32 s20, 0
	s_mov_b32 s21, -1
	v_mov_b32_e32 v3, s20
	s_wait_loadcnt 0x0
	v_cmp_ne_u16_e32 vcc_lo, 0, v2
	v_cndmask_b32_e64 v2, 0, 1, vcc_lo
	s_branch .LBB198_477
.LBB198_476:
	s_mov_b32 s20, -1
                                        ; implicit-def: $vgpr2_vgpr3
.LBB198_477:
	s_branch .LBB198_272
.LBB198_478:
	s_cmp_lt_i32 s0, 5
	s_cbranch_scc1 .LBB198_483
; %bb.479:
	s_cmp_lt_i32 s0, 8
	s_cbranch_scc1 .LBB198_484
; %bb.480:
	;; [unrolled: 3-line block ×3, first 2 shown]
	s_cmp_gt_i32 s0, 9
	s_cbranch_scc0 .LBB198_486
; %bb.482:
	s_wait_loadcnt 0x0
	global_load_b64 v[2:3], v[0:1], off
	s_mov_b32 s21, 0
	s_wait_loadcnt 0x0
	v_trunc_f64_e32 v[2:3], v[2:3]
	s_delay_alu instid0(VALU_DEP_1) | instskip(NEXT) | instid1(VALU_DEP_1)
	v_ldexp_f64 v[4:5], v[2:3], 0xffffffe0
	v_floor_f64_e32 v[4:5], v[4:5]
	s_delay_alu instid0(VALU_DEP_1) | instskip(SKIP_1) | instid1(VALU_DEP_2)
	v_fmamk_f64 v[6:7], v[4:5], 0xc1f00000, v[2:3]
	v_cvt_i32_f64_e32 v3, v[4:5]
	v_cvt_u32_f64_e32 v2, v[6:7]
	s_branch .LBB198_487
.LBB198_483:
	s_mov_b32 s21, -1
                                        ; implicit-def: $vgpr2_vgpr3
	s_branch .LBB198_505
.LBB198_484:
	s_mov_b32 s21, -1
                                        ; implicit-def: $vgpr2_vgpr3
	s_branch .LBB198_493
.LBB198_485:
	s_mov_b32 s21, -1
                                        ; implicit-def: $vgpr2_vgpr3
	s_branch .LBB198_490
.LBB198_486:
	s_mov_b32 s21, -1
                                        ; implicit-def: $vgpr2_vgpr3
.LBB198_487:
	s_delay_alu instid0(SALU_CYCLE_1)
	s_and_not1_b32 vcc_lo, exec_lo, s21
	s_cbranch_vccnz .LBB198_489
; %bb.488:
	s_wait_loadcnt 0x0
	global_load_b32 v2, v[0:1], off
	s_wait_loadcnt 0x0
	v_trunc_f32_e32 v2, v2
	s_delay_alu instid0(VALU_DEP_1) | instskip(NEXT) | instid1(VALU_DEP_1)
	v_mul_f32_e64 v3, 0x2f800000, |v2|
	v_floor_f32_e32 v3, v3
	s_delay_alu instid0(VALU_DEP_1) | instskip(SKIP_2) | instid1(VALU_DEP_3)
	v_fma_f32 v4, 0xcf800000, v3, |v2|
	v_ashrrev_i32_e32 v2, 31, v2
	v_cvt_u32_f32_e32 v5, v3
	v_cvt_u32_f32_e32 v4, v4
	s_delay_alu instid0(VALU_DEP_2) | instskip(NEXT) | instid1(VALU_DEP_2)
	v_dual_mov_b32 v3, v2 :: v_dual_bitop2_b32 v5, v5, v2 bitop3:0x14
	v_xor_b32_e32 v4, v4, v2
	s_delay_alu instid0(VALU_DEP_1)
	v_sub_nc_u64_e32 v[2:3], v[4:5], v[2:3]
.LBB198_489:
	s_mov_b32 s21, 0
.LBB198_490:
	s_delay_alu instid0(SALU_CYCLE_1)
	s_and_not1_b32 vcc_lo, exec_lo, s21
	s_cbranch_vccnz .LBB198_492
; %bb.491:
	s_wait_loadcnt 0x0
	global_load_b32 v2, v[0:1], off
	s_wait_loadcnt 0x0
	v_cvt_f32_f16_e32 v2, v2
	s_delay_alu instid0(VALU_DEP_1) | instskip(NEXT) | instid1(VALU_DEP_1)
	v_cvt_i32_f32_e32 v2, v2
	v_ashrrev_i32_e32 v3, 31, v2
.LBB198_492:
	s_mov_b32 s21, 0
.LBB198_493:
	s_delay_alu instid0(SALU_CYCLE_1)
	s_and_not1_b32 vcc_lo, exec_lo, s21
	s_cbranch_vccnz .LBB198_504
; %bb.494:
	s_cmp_lt_i32 s0, 6
	s_cbranch_scc1 .LBB198_497
; %bb.495:
	s_cmp_gt_i32 s0, 6
	s_cbranch_scc0 .LBB198_498
; %bb.496:
	s_wait_loadcnt 0x0
	global_load_b64 v[2:3], v[0:1], off
	s_mov_b32 s21, 0
	s_wait_loadcnt 0x0
	v_trunc_f64_e32 v[2:3], v[2:3]
	s_delay_alu instid0(VALU_DEP_1) | instskip(NEXT) | instid1(VALU_DEP_1)
	v_ldexp_f64 v[4:5], v[2:3], 0xffffffe0
	v_floor_f64_e32 v[4:5], v[4:5]
	s_delay_alu instid0(VALU_DEP_1) | instskip(SKIP_1) | instid1(VALU_DEP_2)
	v_fmamk_f64 v[6:7], v[4:5], 0xc1f00000, v[2:3]
	v_cvt_i32_f64_e32 v3, v[4:5]
	v_cvt_u32_f64_e32 v2, v[6:7]
	s_branch .LBB198_499
.LBB198_497:
	s_mov_b32 s21, -1
                                        ; implicit-def: $vgpr2_vgpr3
	s_branch .LBB198_502
.LBB198_498:
	s_mov_b32 s21, -1
                                        ; implicit-def: $vgpr2_vgpr3
.LBB198_499:
	s_delay_alu instid0(SALU_CYCLE_1)
	s_and_not1_b32 vcc_lo, exec_lo, s21
	s_cbranch_vccnz .LBB198_501
; %bb.500:
	s_wait_loadcnt 0x0
	global_load_b32 v2, v[0:1], off
	s_wait_loadcnt 0x0
	v_trunc_f32_e32 v2, v2
	s_delay_alu instid0(VALU_DEP_1) | instskip(NEXT) | instid1(VALU_DEP_1)
	v_mul_f32_e64 v3, 0x2f800000, |v2|
	v_floor_f32_e32 v3, v3
	s_delay_alu instid0(VALU_DEP_1) | instskip(SKIP_2) | instid1(VALU_DEP_3)
	v_fma_f32 v4, 0xcf800000, v3, |v2|
	v_ashrrev_i32_e32 v2, 31, v2
	v_cvt_u32_f32_e32 v5, v3
	v_cvt_u32_f32_e32 v4, v4
	s_delay_alu instid0(VALU_DEP_2) | instskip(NEXT) | instid1(VALU_DEP_2)
	v_dual_mov_b32 v3, v2 :: v_dual_bitop2_b32 v5, v5, v2 bitop3:0x14
	v_xor_b32_e32 v4, v4, v2
	s_delay_alu instid0(VALU_DEP_1)
	v_sub_nc_u64_e32 v[2:3], v[4:5], v[2:3]
.LBB198_501:
	s_mov_b32 s21, 0
.LBB198_502:
	s_delay_alu instid0(SALU_CYCLE_1)
	s_and_not1_b32 vcc_lo, exec_lo, s21
	s_cbranch_vccnz .LBB198_504
; %bb.503:
	s_wait_loadcnt 0x0
	global_load_u16 v2, v[0:1], off
	s_wait_loadcnt 0x0
	v_cvt_f32_f16_e32 v2, v2
	s_delay_alu instid0(VALU_DEP_1) | instskip(NEXT) | instid1(VALU_DEP_1)
	v_cvt_i32_f32_e32 v2, v2
	v_ashrrev_i32_e32 v3, 31, v2
.LBB198_504:
	s_mov_b32 s21, 0
.LBB198_505:
	s_delay_alu instid0(SALU_CYCLE_1)
	s_and_not1_b32 vcc_lo, exec_lo, s21
	s_cbranch_vccnz .LBB198_525
; %bb.506:
	s_cmp_lt_i32 s0, 2
	s_cbranch_scc1 .LBB198_510
; %bb.507:
	s_cmp_lt_i32 s0, 3
	s_cbranch_scc1 .LBB198_511
; %bb.508:
	s_cmp_gt_i32 s0, 3
	s_cbranch_scc0 .LBB198_512
; %bb.509:
	s_wait_loadcnt 0x0
	global_load_b64 v[2:3], v[0:1], off
	s_mov_b32 s21, 0
	s_branch .LBB198_513
.LBB198_510:
	s_mov_b32 s21, -1
                                        ; implicit-def: $vgpr2_vgpr3
	s_branch .LBB198_519
.LBB198_511:
	s_mov_b32 s21, -1
                                        ; implicit-def: $vgpr2_vgpr3
	s_branch .LBB198_516
.LBB198_512:
	s_mov_b32 s21, -1
                                        ; implicit-def: $vgpr2_vgpr3
.LBB198_513:
	s_delay_alu instid0(SALU_CYCLE_1)
	s_and_not1_b32 vcc_lo, exec_lo, s21
	s_cbranch_vccnz .LBB198_515
; %bb.514:
	s_wait_loadcnt 0x0
	global_load_b32 v2, v[0:1], off
	s_wait_loadcnt 0x0
	v_ashrrev_i32_e32 v3, 31, v2
.LBB198_515:
	s_mov_b32 s21, 0
.LBB198_516:
	s_delay_alu instid0(SALU_CYCLE_1)
	s_and_not1_b32 vcc_lo, exec_lo, s21
	s_cbranch_vccnz .LBB198_518
; %bb.517:
	s_wait_loadcnt 0x0
	global_load_u16 v2, v[0:1], off
	s_wait_loadcnt 0x0
	v_bfe_i32 v2, v2, 0, 16
	s_delay_alu instid0(VALU_DEP_1)
	v_ashrrev_i32_e32 v3, 31, v2
.LBB198_518:
	s_mov_b32 s21, 0
.LBB198_519:
	s_delay_alu instid0(SALU_CYCLE_1)
	s_and_not1_b32 vcc_lo, exec_lo, s21
	s_cbranch_vccnz .LBB198_525
; %bb.520:
	s_cmp_gt_i32 s0, 0
	s_mov_b32 s0, 0
	s_cbranch_scc0 .LBB198_522
; %bb.521:
	s_wait_loadcnt 0x0
	global_load_i8 v2, v[0:1], off
	s_wait_loadcnt 0x0
	v_bfe_i32 v2, v2, 0, 16
	s_delay_alu instid0(VALU_DEP_1)
	v_ashrrev_i32_e32 v3, 31, v2
	s_branch .LBB198_523
.LBB198_522:
	s_mov_b32 s0, -1
                                        ; implicit-def: $vgpr2_vgpr3
.LBB198_523:
	s_delay_alu instid0(SALU_CYCLE_1)
	s_and_not1_b32 vcc_lo, exec_lo, s0
	s_cbranch_vccnz .LBB198_525
; %bb.524:
	global_load_u8 v0, v[0:1], off
	s_mov_b32 s0, 0
	s_wait_loadcnt 0x1
	v_mov_b32_e32 v3, s0
	s_wait_loadcnt 0x0
	v_and_b32_e32 v2, 0xffff, v0
.LBB198_525:
	s_branch .LBB198_273
.LBB198_526:
	s_mov_b32 s23, 0
	s_mov_b32 s0, s16
.LBB198_527:
                                        ; implicit-def: $vgpr12
.LBB198_528:
	s_and_not1_b32 s21, s16, exec_lo
	s_and_b32 s0, s0, exec_lo
	s_and_not1_b32 s24, s18, exec_lo
	s_and_b32 s20, s20, exec_lo
	s_or_b32 s21, s21, s0
	s_or_b32 s20, s24, s20
	s_or_not1_b32 s0, s23, exec_lo
.LBB198_529:
	s_wait_xcnt 0x0
	s_or_b32 exec_lo, exec_lo, s22
	s_mov_b32 s23, 0
	s_mov_b32 s24, 0
	;; [unrolled: 1-line block ×3, first 2 shown]
                                        ; implicit-def: $vgpr0_vgpr1
                                        ; implicit-def: $vgpr4_vgpr5
	s_and_saveexec_b32 s22, s0
	s_cbranch_execz .LBB198_880
; %bb.530:
	s_mov_b32 s25, -1
	s_mov_b32 s0, s20
	s_mov_b32 s24, s21
	s_mov_b32 s23, exec_lo
	v_cmpx_gt_i32_e64 s17, v12
	s_cbranch_execz .LBB198_798
; %bb.531:
	v_mul_lo_u32 v0, v12, s13
	s_and_b32 s0, 0xffff, s3
	s_delay_alu instid0(SALU_CYCLE_1) | instskip(NEXT) | instid1(VALU_DEP_1)
	s_cmp_lt_i32 s0, 11
	v_ashrrev_i32_e32 v1, 31, v0
	s_delay_alu instid0(VALU_DEP_1)
	v_add_nc_u64_e32 v[0:1], s[6:7], v[0:1]
	s_cbranch_scc1 .LBB198_538
; %bb.532:
	s_cmp_gt_i32 s0, 25
	s_cbranch_scc0 .LBB198_539
; %bb.533:
	s_cmp_gt_i32 s0, 28
	s_cbranch_scc0 .LBB198_540
	;; [unrolled: 3-line block ×4, first 2 shown]
; %bb.536:
	s_cmp_eq_u32 s0, 46
	s_mov_b32 s26, 0
	s_cbranch_scc0 .LBB198_547
; %bb.537:
	s_wait_loadcnt 0x0
	global_load_b32 v2, v[0:1], off
	s_mov_b32 s24, 0
	s_wait_loadcnt 0x0
	v_lshlrev_b32_e32 v2, 16, v2
	s_delay_alu instid0(VALU_DEP_1) | instskip(NEXT) | instid1(VALU_DEP_1)
	v_trunc_f32_e32 v2, v2
	v_mul_f32_e64 v3, 0x2f800000, |v2|
	s_delay_alu instid0(VALU_DEP_1) | instskip(NEXT) | instid1(VALU_DEP_1)
	v_floor_f32_e32 v3, v3
	v_fma_f32 v4, 0xcf800000, v3, |v2|
	v_ashrrev_i32_e32 v2, 31, v2
	v_cvt_u32_f32_e32 v5, v3
	s_delay_alu instid0(VALU_DEP_3) | instskip(NEXT) | instid1(VALU_DEP_2)
	v_cvt_u32_f32_e32 v4, v4
	v_dual_mov_b32 v3, v2 :: v_dual_bitop2_b32 v5, v5, v2 bitop3:0x14
	s_delay_alu instid0(VALU_DEP_2) | instskip(NEXT) | instid1(VALU_DEP_1)
	v_xor_b32_e32 v4, v4, v2
	v_sub_nc_u64_e32 v[2:3], v[4:5], v[2:3]
	s_branch .LBB198_549
.LBB198_538:
	s_mov_b32 s26, -1
	s_mov_b32 s25, 0
	s_mov_b32 s24, s20
                                        ; implicit-def: $vgpr2_vgpr3
	s_branch .LBB198_610
.LBB198_539:
	s_mov_b32 s26, -1
	s_mov_b32 s25, 0
	s_mov_b32 s24, s20
                                        ; implicit-def: $vgpr2_vgpr3
	s_branch .LBB198_576
.LBB198_540:
	s_mov_b32 s26, -1
	s_mov_b32 s25, 0
	s_mov_b32 s24, s20
                                        ; implicit-def: $vgpr2_vgpr3
	s_branch .LBB198_559
.LBB198_541:
	s_mov_b32 s26, -1
	s_mov_b32 s25, 0
	s_mov_b32 s24, s20
                                        ; implicit-def: $vgpr2_vgpr3
	s_branch .LBB198_554
.LBB198_542:
	s_and_not1_saveexec_b32 s26, s26
	s_cbranch_execz .LBB198_330
.LBB198_543:
	v_add_f32_e64 v5, 0x46000000, |v4|
	s_and_not1_b32 s25, s25, exec_lo
	s_delay_alu instid0(VALU_DEP_1) | instskip(NEXT) | instid1(VALU_DEP_1)
	v_and_b32_e32 v5, 0xff, v5
	v_cmp_ne_u32_e32 vcc_lo, 0, v5
	s_and_b32 s27, vcc_lo, exec_lo
	s_delay_alu instid0(SALU_CYCLE_1)
	s_or_b32 s25, s25, s27
	s_or_b32 exec_lo, exec_lo, s26
	v_mov_b32_e32 v6, 0
	s_and_saveexec_b32 s26, s25
	s_cbranch_execnz .LBB198_331
	s_branch .LBB198_332
.LBB198_544:
	s_mov_b32 s26, -1
	s_mov_b32 s25, 0
	s_mov_b32 s24, s20
	s_branch .LBB198_548
.LBB198_545:
	s_and_not1_saveexec_b32 s26, s26
	s_cbranch_execz .LBB198_343
.LBB198_546:
	v_add_f32_e64 v5, 0x42800000, |v4|
	s_and_not1_b32 s25, s25, exec_lo
	s_delay_alu instid0(VALU_DEP_1) | instskip(NEXT) | instid1(VALU_DEP_1)
	v_and_b32_e32 v5, 0xff, v5
	v_cmp_ne_u32_e32 vcc_lo, 0, v5
	s_and_b32 s27, vcc_lo, exec_lo
	s_delay_alu instid0(SALU_CYCLE_1)
	s_or_b32 s25, s25, s27
	s_or_b32 exec_lo, exec_lo, s26
	v_mov_b32_e32 v6, 0
	s_and_saveexec_b32 s26, s25
	s_cbranch_execnz .LBB198_344
	s_branch .LBB198_345
.LBB198_547:
	s_mov_b32 s24, -1
	s_mov_b32 s25, 0
.LBB198_548:
                                        ; implicit-def: $vgpr2_vgpr3
.LBB198_549:
	s_and_b32 vcc_lo, exec_lo, s26
	s_cbranch_vccz .LBB198_553
; %bb.550:
	s_cmp_eq_u32 s0, 44
	s_cbranch_scc0 .LBB198_552
; %bb.551:
	global_load_u8 v6, v[0:1], off
	s_mov_b32 s24, 0
	s_mov_b32 s25, -1
	s_wait_loadcnt 0x0
	v_cmp_ne_u32_e32 vcc_lo, 0, v6
	v_lshlrev_b32_e32 v2, 23, v6
	s_delay_alu instid0(VALU_DEP_1) | instskip(NEXT) | instid1(VALU_DEP_1)
	v_trunc_f32_e32 v2, v2
	v_mul_f32_e64 v3, 0x2f800000, |v2|
	s_delay_alu instid0(VALU_DEP_1) | instskip(NEXT) | instid1(VALU_DEP_1)
	v_floor_f32_e32 v3, v3
	v_fma_f32 v4, 0xcf800000, v3, |v2|
	v_ashrrev_i32_e32 v2, 31, v2
	v_cvt_u32_f32_e32 v5, v3
	s_delay_alu instid0(VALU_DEP_3) | instskip(NEXT) | instid1(VALU_DEP_2)
	v_cvt_u32_f32_e32 v4, v4
	v_dual_mov_b32 v3, v2 :: v_dual_bitop2_b32 v5, v5, v2 bitop3:0x14
	s_delay_alu instid0(VALU_DEP_2) | instskip(NEXT) | instid1(VALU_DEP_1)
	v_xor_b32_e32 v4, v4, v2
	v_sub_nc_u64_e32 v[2:3], v[4:5], v[2:3]
	s_delay_alu instid0(VALU_DEP_1)
	v_dual_cndmask_b32 v3, 0, v3 :: v_dual_cndmask_b32 v2, 0, v2
	s_branch .LBB198_553
.LBB198_552:
	s_mov_b32 s24, -1
                                        ; implicit-def: $vgpr2_vgpr3
.LBB198_553:
	s_mov_b32 s26, 0
.LBB198_554:
	s_delay_alu instid0(SALU_CYCLE_1)
	s_and_b32 vcc_lo, exec_lo, s26
	s_cbranch_vccz .LBB198_558
; %bb.555:
	s_cmp_eq_u32 s0, 29
	s_cbranch_scc0 .LBB198_557
; %bb.556:
	s_wait_loadcnt 0x0
	global_load_b64 v[2:3], v[0:1], off
	s_mov_b32 s25, -1
	s_mov_b32 s24, 0
	s_branch .LBB198_558
.LBB198_557:
	s_mov_b32 s24, -1
                                        ; implicit-def: $vgpr2_vgpr3
.LBB198_558:
	s_mov_b32 s26, 0
.LBB198_559:
	s_delay_alu instid0(SALU_CYCLE_1)
	s_and_b32 vcc_lo, exec_lo, s26
	s_cbranch_vccz .LBB198_575
; %bb.560:
	s_cmp_lt_i32 s0, 27
	s_cbranch_scc1 .LBB198_563
; %bb.561:
	s_cmp_gt_i32 s0, 27
	s_cbranch_scc0 .LBB198_564
; %bb.562:
	s_wait_loadcnt 0x0
	global_load_b32 v2, v[0:1], off
	v_mov_b32_e32 v3, 0
	s_mov_b32 s25, 0
	s_branch .LBB198_565
.LBB198_563:
	s_mov_b32 s25, -1
                                        ; implicit-def: $vgpr2_vgpr3
	s_branch .LBB198_568
.LBB198_564:
	s_mov_b32 s25, -1
                                        ; implicit-def: $vgpr2_vgpr3
.LBB198_565:
	s_delay_alu instid0(SALU_CYCLE_1)
	s_and_not1_b32 vcc_lo, exec_lo, s25
	s_cbranch_vccnz .LBB198_567
; %bb.566:
	s_wait_loadcnt 0x0
	global_load_u16 v2, v[0:1], off
	s_mov_b32 s25, 0
	s_delay_alu instid0(SALU_CYCLE_1)
	v_mov_b32_e32 v3, s25
	s_wait_loadcnt 0x0
	v_and_b32_e32 v2, 0xffff, v2
.LBB198_567:
	s_mov_b32 s25, 0
.LBB198_568:
	s_delay_alu instid0(SALU_CYCLE_1)
	s_and_not1_b32 vcc_lo, exec_lo, s25
	s_cbranch_vccnz .LBB198_574
; %bb.569:
	global_load_u8 v4, v[0:1], off
	s_mov_b32 s26, 0
	s_mov_b32 s25, exec_lo
	s_wait_loadcnt 0x0
	v_cmpx_lt_i16_e32 0x7f, v4
	s_xor_b32 s25, exec_lo, s25
	s_cbranch_execz .LBB198_586
; %bb.570:
	v_cmp_ne_u16_e32 vcc_lo, 0x80, v4
	s_and_b32 s26, vcc_lo, exec_lo
	s_and_not1_saveexec_b32 s25, s25
	s_cbranch_execnz .LBB198_587
.LBB198_571:
	s_or_b32 exec_lo, exec_lo, s25
	v_mov_b64_e32 v[2:3], 0
	s_and_saveexec_b32 s25, s26
	s_cbranch_execz .LBB198_573
.LBB198_572:
	v_and_b32_e32 v2, 0xffff, v4
	s_delay_alu instid0(VALU_DEP_1) | instskip(SKIP_1) | instid1(VALU_DEP_2)
	v_and_b32_e32 v3, 7, v2
	v_bfe_u32 v7, v2, 3, 4
	v_clz_i32_u32_e32 v5, v3
	s_delay_alu instid0(VALU_DEP_2) | instskip(NEXT) | instid1(VALU_DEP_2)
	v_cmp_eq_u32_e32 vcc_lo, 0, v7
	v_min_u32_e32 v5, 32, v5
	s_delay_alu instid0(VALU_DEP_1) | instskip(NEXT) | instid1(VALU_DEP_1)
	v_subrev_nc_u32_e32 v6, 28, v5
	v_dual_lshlrev_b32 v2, v6, v2 :: v_dual_sub_nc_u32 v5, 29, v5
	s_delay_alu instid0(VALU_DEP_1) | instskip(NEXT) | instid1(VALU_DEP_2)
	v_dual_lshlrev_b32 v4, 24, v4 :: v_dual_bitop2_b32 v2, 7, v2 bitop3:0x40
	v_cndmask_b32_e32 v5, v7, v5, vcc_lo
	s_delay_alu instid0(VALU_DEP_2) | instskip(NEXT) | instid1(VALU_DEP_3)
	v_cndmask_b32_e32 v2, v3, v2, vcc_lo
	v_and_b32_e32 v3, 0x80000000, v4
	s_delay_alu instid0(VALU_DEP_3) | instskip(NEXT) | instid1(VALU_DEP_3)
	v_lshl_add_u32 v4, v5, 23, 0x3b800000
	v_lshlrev_b32_e32 v2, 20, v2
	s_delay_alu instid0(VALU_DEP_1) | instskip(NEXT) | instid1(VALU_DEP_1)
	v_or3_b32 v2, v3, v4, v2
	v_trunc_f32_e32 v2, v2
	s_delay_alu instid0(VALU_DEP_1) | instskip(NEXT) | instid1(VALU_DEP_1)
	v_mul_f32_e64 v3, 0x2f800000, |v2|
	v_floor_f32_e32 v3, v3
	s_delay_alu instid0(VALU_DEP_1) | instskip(SKIP_2) | instid1(VALU_DEP_3)
	v_fma_f32 v4, 0xcf800000, v3, |v2|
	v_ashrrev_i32_e32 v2, 31, v2
	v_cvt_u32_f32_e32 v5, v3
	v_cvt_u32_f32_e32 v4, v4
	s_delay_alu instid0(VALU_DEP_2) | instskip(NEXT) | instid1(VALU_DEP_2)
	v_dual_mov_b32 v3, v2 :: v_dual_bitop2_b32 v5, v5, v2 bitop3:0x14
	v_xor_b32_e32 v4, v4, v2
	s_delay_alu instid0(VALU_DEP_1)
	v_sub_nc_u64_e32 v[2:3], v[4:5], v[2:3]
.LBB198_573:
	s_or_b32 exec_lo, exec_lo, s25
.LBB198_574:
	s_mov_b32 s25, -1
.LBB198_575:
	s_mov_b32 s26, 0
.LBB198_576:
	s_delay_alu instid0(SALU_CYCLE_1)
	s_and_b32 vcc_lo, exec_lo, s26
	s_cbranch_vccz .LBB198_609
; %bb.577:
	s_cmp_gt_i32 s0, 22
	s_cbranch_scc0 .LBB198_585
; %bb.578:
	s_cmp_lt_i32 s0, 24
	s_cbranch_scc1 .LBB198_588
; %bb.579:
	s_cmp_gt_i32 s0, 24
	s_cbranch_scc0 .LBB198_589
; %bb.580:
	global_load_u8 v4, v[0:1], off
	s_mov_b32 s26, 0
	s_mov_b32 s25, exec_lo
	s_wait_loadcnt 0x0
	v_cmpx_lt_i16_e32 0x7f, v4
	s_xor_b32 s25, exec_lo, s25
	s_cbranch_execz .LBB198_601
; %bb.581:
	v_cmp_ne_u16_e32 vcc_lo, 0x80, v4
	s_and_b32 s26, vcc_lo, exec_lo
	s_and_not1_saveexec_b32 s25, s25
	s_cbranch_execnz .LBB198_602
.LBB198_582:
	s_or_b32 exec_lo, exec_lo, s25
	v_mov_b64_e32 v[2:3], 0
	s_and_saveexec_b32 s25, s26
	s_cbranch_execz .LBB198_584
.LBB198_583:
	v_and_b32_e32 v2, 0xffff, v4
	s_delay_alu instid0(VALU_DEP_1) | instskip(SKIP_1) | instid1(VALU_DEP_2)
	v_and_b32_e32 v3, 3, v2
	v_bfe_u32 v7, v2, 2, 5
	v_clz_i32_u32_e32 v5, v3
	s_delay_alu instid0(VALU_DEP_2) | instskip(NEXT) | instid1(VALU_DEP_2)
	v_cmp_eq_u32_e32 vcc_lo, 0, v7
	v_min_u32_e32 v5, 32, v5
	s_delay_alu instid0(VALU_DEP_1) | instskip(NEXT) | instid1(VALU_DEP_1)
	v_subrev_nc_u32_e32 v6, 29, v5
	v_dual_lshlrev_b32 v2, v6, v2 :: v_dual_sub_nc_u32 v5, 30, v5
	s_delay_alu instid0(VALU_DEP_1) | instskip(NEXT) | instid1(VALU_DEP_2)
	v_dual_lshlrev_b32 v4, 24, v4 :: v_dual_bitop2_b32 v2, 3, v2 bitop3:0x40
	v_cndmask_b32_e32 v5, v7, v5, vcc_lo
	s_delay_alu instid0(VALU_DEP_2) | instskip(NEXT) | instid1(VALU_DEP_3)
	v_cndmask_b32_e32 v2, v3, v2, vcc_lo
	v_and_b32_e32 v3, 0x80000000, v4
	s_delay_alu instid0(VALU_DEP_3) | instskip(NEXT) | instid1(VALU_DEP_3)
	v_lshl_add_u32 v4, v5, 23, 0x37800000
	v_lshlrev_b32_e32 v2, 21, v2
	s_delay_alu instid0(VALU_DEP_1) | instskip(NEXT) | instid1(VALU_DEP_1)
	v_or3_b32 v2, v3, v4, v2
	v_trunc_f32_e32 v2, v2
	s_delay_alu instid0(VALU_DEP_1) | instskip(NEXT) | instid1(VALU_DEP_1)
	v_mul_f32_e64 v3, 0x2f800000, |v2|
	v_floor_f32_e32 v3, v3
	s_delay_alu instid0(VALU_DEP_1) | instskip(SKIP_2) | instid1(VALU_DEP_3)
	v_fma_f32 v4, 0xcf800000, v3, |v2|
	v_ashrrev_i32_e32 v2, 31, v2
	v_cvt_u32_f32_e32 v5, v3
	v_cvt_u32_f32_e32 v4, v4
	s_delay_alu instid0(VALU_DEP_2) | instskip(NEXT) | instid1(VALU_DEP_2)
	v_dual_mov_b32 v3, v2 :: v_dual_bitop2_b32 v5, v5, v2 bitop3:0x14
	v_xor_b32_e32 v4, v4, v2
	s_delay_alu instid0(VALU_DEP_1)
	v_sub_nc_u64_e32 v[2:3], v[4:5], v[2:3]
.LBB198_584:
	s_or_b32 exec_lo, exec_lo, s25
	s_mov_b32 s25, 0
	s_branch .LBB198_590
.LBB198_585:
	s_mov_b32 s26, -1
                                        ; implicit-def: $vgpr2_vgpr3
	s_branch .LBB198_596
.LBB198_586:
	s_and_not1_saveexec_b32 s25, s25
	s_cbranch_execz .LBB198_571
.LBB198_587:
	v_cmp_ne_u16_e32 vcc_lo, 0, v4
	s_and_not1_b32 s26, s26, exec_lo
	s_and_b32 s27, vcc_lo, exec_lo
	s_delay_alu instid0(SALU_CYCLE_1)
	s_or_b32 s26, s26, s27
	s_or_b32 exec_lo, exec_lo, s25
	v_mov_b64_e32 v[2:3], 0
	s_and_saveexec_b32 s25, s26
	s_cbranch_execnz .LBB198_572
	s_branch .LBB198_573
.LBB198_588:
	s_mov_b32 s25, -1
                                        ; implicit-def: $vgpr2_vgpr3
	s_branch .LBB198_593
.LBB198_589:
	s_mov_b32 s25, -1
                                        ; implicit-def: $vgpr2_vgpr3
.LBB198_590:
	s_delay_alu instid0(SALU_CYCLE_1)
	s_and_b32 vcc_lo, exec_lo, s25
	s_cbranch_vccz .LBB198_592
; %bb.591:
	s_wait_loadcnt 0x0
	global_load_u8 v2, v[0:1], off
	s_wait_loadcnt 0x0
	v_lshlrev_b32_e32 v2, 24, v2
	s_delay_alu instid0(VALU_DEP_1) | instskip(NEXT) | instid1(VALU_DEP_1)
	v_and_b32_e32 v3, 0x7f000000, v2
	v_clz_i32_u32_e32 v4, v3
	v_cmp_ne_u32_e32 vcc_lo, 0, v3
	v_add_nc_u32_e32 v6, 0x1000000, v3
	s_delay_alu instid0(VALU_DEP_3) | instskip(NEXT) | instid1(VALU_DEP_1)
	v_min_u32_e32 v4, 32, v4
	v_sub_nc_u32_e64 v4, v4, 4 clamp
	s_delay_alu instid0(VALU_DEP_1) | instskip(NEXT) | instid1(VALU_DEP_1)
	v_dual_lshlrev_b32 v5, v4, v3 :: v_dual_lshlrev_b32 v4, 23, v4
	v_lshrrev_b32_e32 v5, 4, v5
	s_delay_alu instid0(VALU_DEP_1) | instskip(NEXT) | instid1(VALU_DEP_1)
	v_dual_sub_nc_u32 v4, v5, v4 :: v_dual_ashrrev_i32 v5, 8, v6
	v_add_nc_u32_e32 v4, 0x3c000000, v4
	s_delay_alu instid0(VALU_DEP_1) | instskip(NEXT) | instid1(VALU_DEP_1)
	v_and_or_b32 v4, 0x7f800000, v5, v4
	v_cndmask_b32_e32 v3, 0, v4, vcc_lo
	s_delay_alu instid0(VALU_DEP_1) | instskip(NEXT) | instid1(VALU_DEP_1)
	v_and_or_b32 v2, 0x80000000, v2, v3
	v_trunc_f32_e32 v2, v2
	s_delay_alu instid0(VALU_DEP_1) | instskip(NEXT) | instid1(VALU_DEP_1)
	v_mul_f32_e64 v3, 0x2f800000, |v2|
	v_floor_f32_e32 v3, v3
	s_delay_alu instid0(VALU_DEP_1) | instskip(SKIP_2) | instid1(VALU_DEP_3)
	v_fma_f32 v4, 0xcf800000, v3, |v2|
	v_ashrrev_i32_e32 v2, 31, v2
	v_cvt_u32_f32_e32 v5, v3
	v_cvt_u32_f32_e32 v4, v4
	s_delay_alu instid0(VALU_DEP_2) | instskip(NEXT) | instid1(VALU_DEP_2)
	v_dual_mov_b32 v3, v2 :: v_dual_bitop2_b32 v5, v5, v2 bitop3:0x14
	v_xor_b32_e32 v4, v4, v2
	s_delay_alu instid0(VALU_DEP_1)
	v_sub_nc_u64_e32 v[2:3], v[4:5], v[2:3]
.LBB198_592:
	s_mov_b32 s25, 0
.LBB198_593:
	s_delay_alu instid0(SALU_CYCLE_1)
	s_and_not1_b32 vcc_lo, exec_lo, s25
	s_cbranch_vccnz .LBB198_595
; %bb.594:
	s_wait_loadcnt 0x0
	global_load_u8 v2, v[0:1], off
	s_wait_loadcnt 0x0
	v_lshlrev_b32_e32 v3, 25, v2
	v_lshlrev_b16 v2, 8, v2
	s_delay_alu instid0(VALU_DEP_1) | instskip(SKIP_1) | instid1(VALU_DEP_2)
	v_and_or_b32 v5, 0x7f00, v2, 0.5
	v_bfe_i32 v2, v2, 0, 16
	v_dual_add_f32 v5, -0.5, v5 :: v_dual_lshrrev_b32 v4, 4, v3
	v_cmp_gt_u32_e32 vcc_lo, 0x8000000, v3
	s_delay_alu instid0(VALU_DEP_2) | instskip(NEXT) | instid1(VALU_DEP_1)
	v_or_b32_e32 v4, 0x70000000, v4
	v_mul_f32_e32 v4, 0x7800000, v4
	s_delay_alu instid0(VALU_DEP_1) | instskip(NEXT) | instid1(VALU_DEP_1)
	v_cndmask_b32_e32 v3, v4, v5, vcc_lo
	v_and_or_b32 v2, 0x80000000, v2, v3
	s_delay_alu instid0(VALU_DEP_1) | instskip(NEXT) | instid1(VALU_DEP_1)
	v_trunc_f32_e32 v2, v2
	v_mul_f32_e64 v3, 0x2f800000, |v2|
	s_delay_alu instid0(VALU_DEP_1) | instskip(NEXT) | instid1(VALU_DEP_1)
	v_floor_f32_e32 v3, v3
	v_fma_f32 v4, 0xcf800000, v3, |v2|
	v_ashrrev_i32_e32 v2, 31, v2
	v_cvt_u32_f32_e32 v5, v3
	s_delay_alu instid0(VALU_DEP_3) | instskip(NEXT) | instid1(VALU_DEP_2)
	v_cvt_u32_f32_e32 v4, v4
	v_dual_mov_b32 v3, v2 :: v_dual_bitop2_b32 v5, v5, v2 bitop3:0x14
	s_delay_alu instid0(VALU_DEP_2) | instskip(NEXT) | instid1(VALU_DEP_1)
	v_xor_b32_e32 v4, v4, v2
	v_sub_nc_u64_e32 v[2:3], v[4:5], v[2:3]
.LBB198_595:
	s_mov_b32 s26, 0
	s_mov_b32 s25, -1
.LBB198_596:
	s_and_not1_b32 vcc_lo, exec_lo, s26
	s_cbranch_vccnz .LBB198_609
; %bb.597:
	s_cmp_gt_i32 s0, 14
	s_cbranch_scc0 .LBB198_600
; %bb.598:
	s_cmp_eq_u32 s0, 15
	s_cbranch_scc0 .LBB198_603
; %bb.599:
	s_wait_loadcnt 0x0
	global_load_u16 v2, v[0:1], off
	s_mov_b32 s25, -1
	s_mov_b32 s24, 0
	s_wait_loadcnt 0x0
	v_lshlrev_b32_e32 v2, 16, v2
	s_delay_alu instid0(VALU_DEP_1) | instskip(NEXT) | instid1(VALU_DEP_1)
	v_trunc_f32_e32 v2, v2
	v_mul_f32_e64 v3, 0x2f800000, |v2|
	s_delay_alu instid0(VALU_DEP_1) | instskip(NEXT) | instid1(VALU_DEP_1)
	v_floor_f32_e32 v3, v3
	v_fma_f32 v4, 0xcf800000, v3, |v2|
	v_ashrrev_i32_e32 v2, 31, v2
	v_cvt_u32_f32_e32 v5, v3
	s_delay_alu instid0(VALU_DEP_3) | instskip(NEXT) | instid1(VALU_DEP_2)
	v_cvt_u32_f32_e32 v4, v4
	v_dual_mov_b32 v3, v2 :: v_dual_bitop2_b32 v5, v5, v2 bitop3:0x14
	s_delay_alu instid0(VALU_DEP_2) | instskip(NEXT) | instid1(VALU_DEP_1)
	v_xor_b32_e32 v4, v4, v2
	v_sub_nc_u64_e32 v[2:3], v[4:5], v[2:3]
	s_branch .LBB198_604
.LBB198_600:
	s_mov_b32 s26, -1
                                        ; implicit-def: $vgpr2_vgpr3
	s_branch .LBB198_605
.LBB198_601:
	s_and_not1_saveexec_b32 s25, s25
	s_cbranch_execz .LBB198_582
.LBB198_602:
	v_cmp_ne_u16_e32 vcc_lo, 0, v4
	s_and_not1_b32 s26, s26, exec_lo
	s_and_b32 s27, vcc_lo, exec_lo
	s_delay_alu instid0(SALU_CYCLE_1)
	s_or_b32 s26, s26, s27
	s_or_b32 exec_lo, exec_lo, s25
	v_mov_b64_e32 v[2:3], 0
	s_and_saveexec_b32 s25, s26
	s_cbranch_execnz .LBB198_583
	s_branch .LBB198_584
.LBB198_603:
	s_mov_b32 s24, -1
                                        ; implicit-def: $vgpr2_vgpr3
.LBB198_604:
	s_mov_b32 s26, 0
.LBB198_605:
	s_delay_alu instid0(SALU_CYCLE_1)
	s_and_b32 vcc_lo, exec_lo, s26
	s_cbranch_vccz .LBB198_609
; %bb.606:
	s_cmp_eq_u32 s0, 11
	s_cbranch_scc0 .LBB198_608
; %bb.607:
	s_wait_loadcnt 0x0
	global_load_u8 v2, v[0:1], off
	s_mov_b32 s24, 0
	s_mov_b32 s25, -1
	v_mov_b32_e32 v3, s24
	s_wait_loadcnt 0x0
	v_cmp_ne_u16_e32 vcc_lo, 0, v2
	v_cndmask_b32_e64 v2, 0, 1, vcc_lo
	s_branch .LBB198_609
.LBB198_608:
	s_mov_b32 s24, -1
                                        ; implicit-def: $vgpr2_vgpr3
.LBB198_609:
	s_mov_b32 s26, 0
.LBB198_610:
	s_delay_alu instid0(SALU_CYCLE_1)
	s_and_b32 vcc_lo, exec_lo, s26
	s_cbranch_vccz .LBB198_659
; %bb.611:
	s_cmp_lt_i32 s0, 5
	s_cbranch_scc1 .LBB198_616
; %bb.612:
	s_cmp_lt_i32 s0, 8
	s_cbranch_scc1 .LBB198_617
	;; [unrolled: 3-line block ×3, first 2 shown]
; %bb.614:
	s_cmp_gt_i32 s0, 9
	s_cbranch_scc0 .LBB198_619
; %bb.615:
	s_wait_loadcnt 0x0
	global_load_b64 v[2:3], v[0:1], off
	s_mov_b32 s25, 0
	s_wait_loadcnt 0x0
	v_trunc_f64_e32 v[2:3], v[2:3]
	s_delay_alu instid0(VALU_DEP_1) | instskip(NEXT) | instid1(VALU_DEP_1)
	v_ldexp_f64 v[4:5], v[2:3], 0xffffffe0
	v_floor_f64_e32 v[4:5], v[4:5]
	s_delay_alu instid0(VALU_DEP_1) | instskip(SKIP_1) | instid1(VALU_DEP_2)
	v_fmamk_f64 v[6:7], v[4:5], 0xc1f00000, v[2:3]
	v_cvt_i32_f64_e32 v3, v[4:5]
	v_cvt_u32_f64_e32 v2, v[6:7]
	s_branch .LBB198_620
.LBB198_616:
	s_mov_b32 s25, -1
                                        ; implicit-def: $vgpr2_vgpr3
	s_branch .LBB198_638
.LBB198_617:
	s_mov_b32 s25, -1
                                        ; implicit-def: $vgpr2_vgpr3
	s_branch .LBB198_626
.LBB198_618:
	s_mov_b32 s25, -1
                                        ; implicit-def: $vgpr2_vgpr3
	s_branch .LBB198_623
.LBB198_619:
	s_mov_b32 s25, -1
                                        ; implicit-def: $vgpr2_vgpr3
.LBB198_620:
	s_delay_alu instid0(SALU_CYCLE_1)
	s_and_not1_b32 vcc_lo, exec_lo, s25
	s_cbranch_vccnz .LBB198_622
; %bb.621:
	s_wait_loadcnt 0x0
	global_load_b32 v2, v[0:1], off
	s_wait_loadcnt 0x0
	v_trunc_f32_e32 v2, v2
	s_delay_alu instid0(VALU_DEP_1) | instskip(NEXT) | instid1(VALU_DEP_1)
	v_mul_f32_e64 v3, 0x2f800000, |v2|
	v_floor_f32_e32 v3, v3
	s_delay_alu instid0(VALU_DEP_1) | instskip(SKIP_2) | instid1(VALU_DEP_3)
	v_fma_f32 v4, 0xcf800000, v3, |v2|
	v_ashrrev_i32_e32 v2, 31, v2
	v_cvt_u32_f32_e32 v5, v3
	v_cvt_u32_f32_e32 v4, v4
	s_delay_alu instid0(VALU_DEP_2) | instskip(NEXT) | instid1(VALU_DEP_2)
	v_dual_mov_b32 v3, v2 :: v_dual_bitop2_b32 v5, v5, v2 bitop3:0x14
	v_xor_b32_e32 v4, v4, v2
	s_delay_alu instid0(VALU_DEP_1)
	v_sub_nc_u64_e32 v[2:3], v[4:5], v[2:3]
.LBB198_622:
	s_mov_b32 s25, 0
.LBB198_623:
	s_delay_alu instid0(SALU_CYCLE_1)
	s_and_not1_b32 vcc_lo, exec_lo, s25
	s_cbranch_vccnz .LBB198_625
; %bb.624:
	s_wait_loadcnt 0x0
	global_load_b32 v2, v[0:1], off
	s_wait_loadcnt 0x0
	v_cvt_f32_f16_e32 v2, v2
	s_delay_alu instid0(VALU_DEP_1) | instskip(NEXT) | instid1(VALU_DEP_1)
	v_cvt_i32_f32_e32 v2, v2
	v_ashrrev_i32_e32 v3, 31, v2
.LBB198_625:
	s_mov_b32 s25, 0
.LBB198_626:
	s_delay_alu instid0(SALU_CYCLE_1)
	s_and_not1_b32 vcc_lo, exec_lo, s25
	s_cbranch_vccnz .LBB198_637
; %bb.627:
	s_cmp_lt_i32 s0, 6
	s_cbranch_scc1 .LBB198_630
; %bb.628:
	s_cmp_gt_i32 s0, 6
	s_cbranch_scc0 .LBB198_631
; %bb.629:
	s_wait_loadcnt 0x0
	global_load_b64 v[2:3], v[0:1], off
	s_mov_b32 s25, 0
	s_wait_loadcnt 0x0
	v_trunc_f64_e32 v[2:3], v[2:3]
	s_delay_alu instid0(VALU_DEP_1) | instskip(NEXT) | instid1(VALU_DEP_1)
	v_ldexp_f64 v[4:5], v[2:3], 0xffffffe0
	v_floor_f64_e32 v[4:5], v[4:5]
	s_delay_alu instid0(VALU_DEP_1) | instskip(SKIP_1) | instid1(VALU_DEP_2)
	v_fmamk_f64 v[6:7], v[4:5], 0xc1f00000, v[2:3]
	v_cvt_i32_f64_e32 v3, v[4:5]
	v_cvt_u32_f64_e32 v2, v[6:7]
	s_branch .LBB198_632
.LBB198_630:
	s_mov_b32 s25, -1
                                        ; implicit-def: $vgpr2_vgpr3
	s_branch .LBB198_635
.LBB198_631:
	s_mov_b32 s25, -1
                                        ; implicit-def: $vgpr2_vgpr3
.LBB198_632:
	s_delay_alu instid0(SALU_CYCLE_1)
	s_and_not1_b32 vcc_lo, exec_lo, s25
	s_cbranch_vccnz .LBB198_634
; %bb.633:
	s_wait_loadcnt 0x0
	global_load_b32 v2, v[0:1], off
	s_wait_loadcnt 0x0
	v_trunc_f32_e32 v2, v2
	s_delay_alu instid0(VALU_DEP_1) | instskip(NEXT) | instid1(VALU_DEP_1)
	v_mul_f32_e64 v3, 0x2f800000, |v2|
	v_floor_f32_e32 v3, v3
	s_delay_alu instid0(VALU_DEP_1) | instskip(SKIP_2) | instid1(VALU_DEP_3)
	v_fma_f32 v4, 0xcf800000, v3, |v2|
	v_ashrrev_i32_e32 v2, 31, v2
	v_cvt_u32_f32_e32 v5, v3
	v_cvt_u32_f32_e32 v4, v4
	s_delay_alu instid0(VALU_DEP_2) | instskip(NEXT) | instid1(VALU_DEP_2)
	v_dual_mov_b32 v3, v2 :: v_dual_bitop2_b32 v5, v5, v2 bitop3:0x14
	v_xor_b32_e32 v4, v4, v2
	s_delay_alu instid0(VALU_DEP_1)
	v_sub_nc_u64_e32 v[2:3], v[4:5], v[2:3]
.LBB198_634:
	s_mov_b32 s25, 0
.LBB198_635:
	s_delay_alu instid0(SALU_CYCLE_1)
	s_and_not1_b32 vcc_lo, exec_lo, s25
	s_cbranch_vccnz .LBB198_637
; %bb.636:
	s_wait_loadcnt 0x0
	global_load_u16 v2, v[0:1], off
	s_wait_loadcnt 0x0
	v_cvt_f32_f16_e32 v2, v2
	s_delay_alu instid0(VALU_DEP_1) | instskip(NEXT) | instid1(VALU_DEP_1)
	v_cvt_i32_f32_e32 v2, v2
	v_ashrrev_i32_e32 v3, 31, v2
.LBB198_637:
	s_mov_b32 s25, 0
.LBB198_638:
	s_delay_alu instid0(SALU_CYCLE_1)
	s_and_not1_b32 vcc_lo, exec_lo, s25
	s_cbranch_vccnz .LBB198_658
; %bb.639:
	s_cmp_lt_i32 s0, 2
	s_cbranch_scc1 .LBB198_643
; %bb.640:
	s_cmp_lt_i32 s0, 3
	s_cbranch_scc1 .LBB198_644
; %bb.641:
	s_cmp_gt_i32 s0, 3
	s_cbranch_scc0 .LBB198_645
; %bb.642:
	s_wait_loadcnt 0x0
	global_load_b64 v[2:3], v[0:1], off
	s_mov_b32 s25, 0
	s_branch .LBB198_646
.LBB198_643:
	s_mov_b32 s25, -1
                                        ; implicit-def: $vgpr2_vgpr3
	s_branch .LBB198_652
.LBB198_644:
	s_mov_b32 s25, -1
                                        ; implicit-def: $vgpr2_vgpr3
	s_branch .LBB198_649
.LBB198_645:
	s_mov_b32 s25, -1
                                        ; implicit-def: $vgpr2_vgpr3
.LBB198_646:
	s_delay_alu instid0(SALU_CYCLE_1)
	s_and_not1_b32 vcc_lo, exec_lo, s25
	s_cbranch_vccnz .LBB198_648
; %bb.647:
	s_wait_loadcnt 0x0
	global_load_b32 v2, v[0:1], off
	s_wait_loadcnt 0x0
	v_ashrrev_i32_e32 v3, 31, v2
.LBB198_648:
	s_mov_b32 s25, 0
.LBB198_649:
	s_delay_alu instid0(SALU_CYCLE_1)
	s_and_not1_b32 vcc_lo, exec_lo, s25
	s_cbranch_vccnz .LBB198_651
; %bb.650:
	s_wait_loadcnt 0x0
	global_load_u16 v2, v[0:1], off
	s_wait_loadcnt 0x0
	v_bfe_i32 v2, v2, 0, 16
	s_delay_alu instid0(VALU_DEP_1)
	v_ashrrev_i32_e32 v3, 31, v2
.LBB198_651:
	s_mov_b32 s25, 0
.LBB198_652:
	s_delay_alu instid0(SALU_CYCLE_1)
	s_and_not1_b32 vcc_lo, exec_lo, s25
	s_cbranch_vccnz .LBB198_658
; %bb.653:
	s_cmp_gt_i32 s0, 0
	s_mov_b32 s0, 0
	s_cbranch_scc0 .LBB198_655
; %bb.654:
	s_wait_loadcnt 0x0
	global_load_i8 v2, v[0:1], off
	s_wait_loadcnt 0x0
	v_bfe_i32 v2, v2, 0, 16
	s_delay_alu instid0(VALU_DEP_1)
	v_ashrrev_i32_e32 v3, 31, v2
	s_branch .LBB198_656
.LBB198_655:
	s_mov_b32 s0, -1
                                        ; implicit-def: $vgpr2_vgpr3
.LBB198_656:
	s_delay_alu instid0(SALU_CYCLE_1)
	s_and_not1_b32 vcc_lo, exec_lo, s0
	s_cbranch_vccnz .LBB198_658
; %bb.657:
	global_load_u8 v0, v[0:1], off
	s_mov_b32 s0, 0
	s_wait_loadcnt 0x1
	v_mov_b32_e32 v3, s0
	s_wait_loadcnt 0x0
	v_and_b32_e32 v2, 0xffff, v0
.LBB198_658:
	s_mov_b32 s25, -1
.LBB198_659:
	s_delay_alu instid0(SALU_CYCLE_1)
	s_and_not1_b32 vcc_lo, exec_lo, s25
	s_cbranch_vccnz .LBB198_663
; %bb.660:
	s_cmp_lt_i32 s14, 1
	s_mov_b32 s0, 0
	s_cbranch_scc1 .LBB198_664
; %bb.661:
	s_cmp_eq_u32 s14, 1
	s_cbranch_scc0 .LBB198_665
; %bb.662:
	s_wait_loadcnt 0x0
	s_delay_alu instid0(VALU_DEP_1)
	v_min_i64 v[0:1], v[2:3], s[8:9]
	s_mov_b32 s25, 0
	s_branch .LBB198_666
.LBB198_663:
	s_mov_b32 s25, 0
	s_mov_b32 s0, s21
	s_branch .LBB198_796
.LBB198_664:
	s_mov_b32 s26, -1
	s_mov_b32 s25, 0
                                        ; implicit-def: $vgpr0_vgpr1
	s_branch .LBB198_667
.LBB198_665:
	s_mov_b32 s25, -1
                                        ; implicit-def: $vgpr0_vgpr1
.LBB198_666:
	s_mov_b32 s26, 0
.LBB198_667:
	s_delay_alu instid0(SALU_CYCLE_1)
	s_and_b32 vcc_lo, exec_lo, s26
	s_cbranch_vccz .LBB198_678
; %bb.668:
	s_cmp_lg_u32 s14, 0
	s_mov_b32 s0, -1
	s_cselect_b32 s25, -1, 0
	s_wait_loadcnt 0x0
	s_delay_alu instid0(VALU_DEP_1)
	v_max_i64 v[4:5], v[2:3], s[8:9]
	s_and_not1_b32 vcc_lo, exec_lo, s25
	s_cbranch_vccz .LBB198_679
.LBB198_669:
	s_and_not1_b32 vcc_lo, exec_lo, s0
	s_cbranch_vccnz .LBB198_671
.LBB198_670:
	s_wait_xcnt 0x0
	s_delay_alu instid0(VALU_DEP_1)
	v_mov_b64_e32 v[0:1], v[4:5]
.LBB198_671:
	v_mul_lo_u32 v2, v12, s12
	s_and_b32 s25, s2, 0xff
	s_delay_alu instid0(SALU_CYCLE_1) | instskip(NEXT) | instid1(VALU_DEP_1)
	s_cmp_lt_i32 s25, 11
	v_ashrrev_i32_e32 v3, 31, v2
	s_delay_alu instid0(VALU_DEP_1)
	v_add_nc_u64_e32 v[2:3], s[4:5], v[2:3]
	s_cbranch_scc1 .LBB198_680
; %bb.672:
	s_and_b32 s26, 0xffff, s25
	s_delay_alu instid0(SALU_CYCLE_1)
	s_cmp_gt_i32 s26, 25
	s_cbranch_scc0 .LBB198_681
; %bb.673:
	s_cmp_gt_i32 s26, 28
	s_cbranch_scc0 .LBB198_682
; %bb.674:
	;; [unrolled: 3-line block ×4, first 2 shown]
	s_mov_b32 s28, 0
	s_mov_b32 s0, -1
	s_cmp_eq_u32 s26, 46
	s_mov_b32 s27, 0
	s_cbranch_scc0 .LBB198_685
; %bb.677:
	s_delay_alu instid0(VALU_DEP_4) | instskip(SKIP_3) | instid1(VALU_DEP_2)
	v_xor_b32_e32 v4, v0, v1
	v_cls_i32_e32 v5, v1
	s_mov_b32 s27, -1
	s_mov_b32 s0, 0
	v_ashrrev_i32_e32 v4, 31, v4
	s_delay_alu instid0(VALU_DEP_1) | instskip(NEXT) | instid1(VALU_DEP_1)
	v_add_nc_u32_e32 v4, 32, v4
	v_add_min_u32_e64 v6, v5, -1, v4
	s_delay_alu instid0(VALU_DEP_1) | instskip(NEXT) | instid1(VALU_DEP_1)
	v_lshlrev_b64_e32 v[4:5], v6, v[0:1]
	v_min_u32_e32 v4, 1, v4
	s_delay_alu instid0(VALU_DEP_1) | instskip(NEXT) | instid1(VALU_DEP_1)
	v_dual_sub_nc_u32 v5, 32, v6 :: v_dual_bitop2_b32 v4, v5, v4 bitop3:0x54
	v_cvt_f32_i32_e32 v4, v4
	s_delay_alu instid0(VALU_DEP_1) | instskip(NEXT) | instid1(VALU_DEP_1)
	v_ldexp_f32 v4, v4, v5
	v_bfe_u32 v5, v4, 16, 1
	s_delay_alu instid0(VALU_DEP_1) | instskip(NEXT) | instid1(VALU_DEP_1)
	v_add3_u32 v4, v4, v5, 0x7fff
	v_lshrrev_b32_e32 v4, 16, v4
	global_store_b32 v[2:3], v4, off
	s_branch .LBB198_685
.LBB198_678:
	s_wait_loadcnt 0x0
	s_delay_alu instid0(VALU_DEP_1)
	v_max_i64 v[4:5], v[2:3], s[8:9]
	s_and_not1_b32 vcc_lo, exec_lo, s25
	s_cbranch_vccnz .LBB198_669
.LBB198_679:
	s_wait_xcnt 0x0
	v_max_i64 v[0:1], v[2:3], s[8:9]
	s_delay_alu instid0(VALU_DEP_1)
	v_min_i64 v[0:1], v[0:1], s[10:11]
	s_cbranch_execz .LBB198_670
	s_branch .LBB198_671
.LBB198_680:
	s_mov_b32 s26, -1
	s_mov_b32 s27, 0
	s_mov_b32 s0, s21
	s_branch .LBB198_754
.LBB198_681:
	s_mov_b32 s28, -1
	s_mov_b32 s27, 0
	s_mov_b32 s0, s21
	s_branch .LBB198_712
.LBB198_682:
	s_mov_b32 s28, -1
	s_mov_b32 s27, 0
	s_mov_b32 s0, s21
	s_branch .LBB198_695
.LBB198_683:
	s_mov_b32 s28, -1
	s_mov_b32 s27, 0
	s_mov_b32 s0, s21
	s_branch .LBB198_691
.LBB198_684:
	s_mov_b32 s28, -1
	s_mov_b32 s27, 0
	s_mov_b32 s0, s21
.LBB198_685:
	s_and_b32 vcc_lo, exec_lo, s28
	s_cbranch_vccz .LBB198_690
; %bb.686:
	s_cmp_eq_u32 s26, 44
	s_mov_b32 s0, -1
	s_cbranch_scc0 .LBB198_690
; %bb.687:
	s_wait_xcnt 0x0
	s_delay_alu instid0(VALU_DEP_4) | instskip(SKIP_3) | instid1(VALU_DEP_2)
	v_xor_b32_e32 v4, v0, v1
	v_cls_i32_e32 v5, v1
	s_mov_b32 s27, -1
	s_mov_b32 s28, exec_lo
	v_ashrrev_i32_e32 v4, 31, v4
	s_delay_alu instid0(VALU_DEP_1) | instskip(NEXT) | instid1(VALU_DEP_1)
	v_add_nc_u32_e32 v4, 32, v4
	v_add_min_u32_e64 v6, v5, -1, v4
	s_delay_alu instid0(VALU_DEP_1) | instskip(NEXT) | instid1(VALU_DEP_1)
	v_lshlrev_b64_e32 v[4:5], v6, v[0:1]
	v_min_u32_e32 v4, 1, v4
	s_delay_alu instid0(VALU_DEP_1) | instskip(NEXT) | instid1(VALU_DEP_1)
	v_dual_sub_nc_u32 v5, 32, v6 :: v_dual_bitop2_b32 v4, v5, v4 bitop3:0x54
	v_cvt_f32_i32_e32 v4, v4
	s_delay_alu instid0(VALU_DEP_1) | instskip(SKIP_1) | instid1(VALU_DEP_2)
	v_ldexp_f32 v4, v4, v5
	v_mov_b32_e32 v5, 0xff
	v_bfe_u32 v6, v4, 23, 8
	s_delay_alu instid0(VALU_DEP_1)
	v_cmpx_ne_u32_e32 0xff, v6
	s_cbranch_execz .LBB198_689
; %bb.688:
	v_and_b32_e32 v5, 0x400000, v4
	v_and_or_b32 v6, 0x3fffff, v4, v6
	v_lshrrev_b32_e32 v4, 23, v4
	s_delay_alu instid0(VALU_DEP_3) | instskip(NEXT) | instid1(VALU_DEP_3)
	v_cmp_ne_u32_e32 vcc_lo, 0, v5
	v_cmp_ne_u32_e64 s0, 0, v6
	s_and_b32 s0, vcc_lo, s0
	s_delay_alu instid0(SALU_CYCLE_1) | instskip(NEXT) | instid1(VALU_DEP_1)
	v_cndmask_b32_e64 v5, 0, 1, s0
	v_add_nc_u32_e32 v5, v4, v5
.LBB198_689:
	s_or_b32 exec_lo, exec_lo, s28
	s_mov_b32 s0, 0
	global_store_b8 v[2:3], v5, off
.LBB198_690:
	s_mov_b32 s28, 0
.LBB198_691:
	s_delay_alu instid0(SALU_CYCLE_1)
	s_and_b32 vcc_lo, exec_lo, s28
	s_cbranch_vccz .LBB198_694
; %bb.692:
	s_cmp_eq_u32 s26, 29
	s_mov_b32 s0, -1
	s_cbranch_scc0 .LBB198_694
; %bb.693:
	s_mov_b32 s27, -1
	s_mov_b32 s0, 0
	global_store_b64 v[2:3], v[0:1], off
.LBB198_694:
	s_mov_b32 s28, 0
.LBB198_695:
	s_delay_alu instid0(SALU_CYCLE_1)
	s_and_b32 vcc_lo, exec_lo, s28
	s_cbranch_vccz .LBB198_711
; %bb.696:
	s_cmp_lt_i32 s26, 27
	s_mov_b32 s27, -1
	s_cbranch_scc1 .LBB198_702
; %bb.697:
	s_cmp_gt_i32 s26, 27
	s_cbranch_scc0 .LBB198_699
; %bb.698:
	s_mov_b32 s27, 0
	global_store_b32 v[2:3], v0, off
.LBB198_699:
	s_and_not1_b32 vcc_lo, exec_lo, s27
	s_cbranch_vccnz .LBB198_701
; %bb.700:
	global_store_b16 v[2:3], v0, off
.LBB198_701:
	s_mov_b32 s27, 0
.LBB198_702:
	s_delay_alu instid0(SALU_CYCLE_1)
	s_and_not1_b32 vcc_lo, exec_lo, s27
	s_cbranch_vccnz .LBB198_710
; %bb.703:
	s_wait_xcnt 0x0
	s_delay_alu instid0(VALU_DEP_4) | instskip(SKIP_2) | instid1(VALU_DEP_2)
	v_xor_b32_e32 v4, v0, v1
	v_cls_i32_e32 v5, v1
	s_mov_b32 s27, exec_lo
	v_ashrrev_i32_e32 v4, 31, v4
	s_delay_alu instid0(VALU_DEP_1) | instskip(NEXT) | instid1(VALU_DEP_1)
	v_add_nc_u32_e32 v4, 32, v4
	v_add_min_u32_e64 v6, v5, -1, v4
	s_delay_alu instid0(VALU_DEP_1) | instskip(NEXT) | instid1(VALU_DEP_1)
	v_lshlrev_b64_e32 v[4:5], v6, v[0:1]
	v_min_u32_e32 v4, 1, v4
	s_delay_alu instid0(VALU_DEP_1) | instskip(SKIP_1) | instid1(VALU_DEP_2)
	v_dual_sub_nc_u32 v5, 32, v6 :: v_dual_bitop2_b32 v4, v5, v4 bitop3:0x54
	v_mov_b32_e32 v6, 0x80
	v_cvt_f32_i32_e32 v4, v4
	s_delay_alu instid0(VALU_DEP_1) | instskip(NEXT) | instid1(VALU_DEP_1)
	v_ldexp_f32 v4, v4, v5
	v_and_b32_e32 v5, 0x7fffffff, v4
	s_delay_alu instid0(VALU_DEP_1)
	v_cmpx_gt_u32_e32 0x43800000, v5
	s_cbranch_execz .LBB198_709
; %bb.704:
	v_cmp_lt_u32_e32 vcc_lo, 0x3bffffff, v5
	s_mov_b32 s28, 0
                                        ; implicit-def: $vgpr5
	s_and_saveexec_b32 s29, vcc_lo
	s_delay_alu instid0(SALU_CYCLE_1)
	s_xor_b32 s29, exec_lo, s29
	s_cbranch_execz .LBB198_811
; %bb.705:
	v_bfe_u32 v5, v4, 20, 1
	s_mov_b32 s28, exec_lo
	s_delay_alu instid0(VALU_DEP_1) | instskip(NEXT) | instid1(VALU_DEP_1)
	v_add3_u32 v5, v4, v5, 0x487ffff
	v_lshrrev_b32_e32 v5, 20, v5
	s_and_not1_saveexec_b32 s29, s29
	s_cbranch_execnz .LBB198_812
.LBB198_706:
	s_or_b32 exec_lo, exec_lo, s29
	v_mov_b32_e32 v6, 0
	s_and_saveexec_b32 s29, s28
.LBB198_707:
	v_lshrrev_b32_e32 v4, 24, v4
	s_delay_alu instid0(VALU_DEP_1)
	v_and_or_b32 v6, 0x80, v4, v5
.LBB198_708:
	s_or_b32 exec_lo, exec_lo, s29
.LBB198_709:
	s_delay_alu instid0(SALU_CYCLE_1)
	s_or_b32 exec_lo, exec_lo, s27
	global_store_b8 v[2:3], v6, off
.LBB198_710:
	s_mov_b32 s27, -1
.LBB198_711:
	s_mov_b32 s28, 0
.LBB198_712:
	s_delay_alu instid0(SALU_CYCLE_1)
	s_and_b32 vcc_lo, exec_lo, s28
	s_cbranch_vccz .LBB198_753
; %bb.713:
	s_cmp_gt_i32 s26, 22
	s_mov_b32 s28, -1
	s_cbranch_scc0 .LBB198_745
; %bb.714:
	s_cmp_lt_i32 s26, 24
	s_mov_b32 s27, -1
	s_cbranch_scc1 .LBB198_734
; %bb.715:
	s_cmp_gt_i32 s26, 24
	s_cbranch_scc0 .LBB198_723
; %bb.716:
	s_wait_xcnt 0x0
	s_delay_alu instid0(VALU_DEP_4) | instskip(SKIP_2) | instid1(VALU_DEP_2)
	v_xor_b32_e32 v4, v0, v1
	v_cls_i32_e32 v5, v1
	s_mov_b32 s27, exec_lo
	v_ashrrev_i32_e32 v4, 31, v4
	s_delay_alu instid0(VALU_DEP_1) | instskip(NEXT) | instid1(VALU_DEP_1)
	v_add_nc_u32_e32 v4, 32, v4
	v_add_min_u32_e64 v6, v5, -1, v4
	s_delay_alu instid0(VALU_DEP_1) | instskip(NEXT) | instid1(VALU_DEP_1)
	v_lshlrev_b64_e32 v[4:5], v6, v[0:1]
	v_min_u32_e32 v4, 1, v4
	s_delay_alu instid0(VALU_DEP_1) | instskip(SKIP_1) | instid1(VALU_DEP_2)
	v_dual_sub_nc_u32 v5, 32, v6 :: v_dual_bitop2_b32 v4, v5, v4 bitop3:0x54
	v_mov_b32_e32 v6, 0x80
	v_cvt_f32_i32_e32 v4, v4
	s_delay_alu instid0(VALU_DEP_1) | instskip(NEXT) | instid1(VALU_DEP_1)
	v_ldexp_f32 v4, v4, v5
	v_and_b32_e32 v5, 0x7fffffff, v4
	s_delay_alu instid0(VALU_DEP_1)
	v_cmpx_gt_u32_e32 0x47800000, v5
	s_cbranch_execz .LBB198_722
; %bb.717:
	v_cmp_lt_u32_e32 vcc_lo, 0x37ffffff, v5
	s_mov_b32 s28, 0
                                        ; implicit-def: $vgpr5
	s_and_saveexec_b32 s29, vcc_lo
	s_delay_alu instid0(SALU_CYCLE_1)
	s_xor_b32 s29, exec_lo, s29
	s_cbranch_execz .LBB198_814
; %bb.718:
	v_bfe_u32 v5, v4, 21, 1
	s_mov_b32 s28, exec_lo
	s_delay_alu instid0(VALU_DEP_1) | instskip(NEXT) | instid1(VALU_DEP_1)
	v_add3_u32 v5, v4, v5, 0x88fffff
	v_lshrrev_b32_e32 v5, 21, v5
	s_and_not1_saveexec_b32 s29, s29
	s_cbranch_execnz .LBB198_815
.LBB198_719:
	s_or_b32 exec_lo, exec_lo, s29
	v_mov_b32_e32 v6, 0
	s_and_saveexec_b32 s29, s28
.LBB198_720:
	v_lshrrev_b32_e32 v4, 24, v4
	s_delay_alu instid0(VALU_DEP_1)
	v_and_or_b32 v6, 0x80, v4, v5
.LBB198_721:
	s_or_b32 exec_lo, exec_lo, s29
.LBB198_722:
	s_delay_alu instid0(SALU_CYCLE_1)
	s_or_b32 exec_lo, exec_lo, s27
	s_mov_b32 s27, 0
	global_store_b8 v[2:3], v6, off
.LBB198_723:
	s_and_b32 vcc_lo, exec_lo, s27
	s_cbranch_vccz .LBB198_733
; %bb.724:
	s_wait_xcnt 0x0
	s_delay_alu instid0(VALU_DEP_4) | instskip(SKIP_2) | instid1(VALU_DEP_2)
	v_xor_b32_e32 v4, v0, v1
	v_cls_i32_e32 v5, v1
	s_mov_b32 s27, exec_lo
	v_ashrrev_i32_e32 v4, 31, v4
	s_delay_alu instid0(VALU_DEP_1) | instskip(NEXT) | instid1(VALU_DEP_1)
	v_add_nc_u32_e32 v4, 32, v4
	v_add_min_u32_e64 v6, v5, -1, v4
	s_delay_alu instid0(VALU_DEP_1) | instskip(NEXT) | instid1(VALU_DEP_1)
	v_lshlrev_b64_e32 v[4:5], v6, v[0:1]
	v_min_u32_e32 v4, 1, v4
	s_delay_alu instid0(VALU_DEP_1) | instskip(NEXT) | instid1(VALU_DEP_1)
	v_dual_sub_nc_u32 v5, 32, v6 :: v_dual_bitop2_b32 v4, v5, v4 bitop3:0x54
	v_cvt_f32_i32_e32 v4, v4
	s_delay_alu instid0(VALU_DEP_1) | instskip(NEXT) | instid1(VALU_DEP_1)
	v_ldexp_f32 v4, v4, v5
                                        ; implicit-def: $vgpr5
	v_and_b32_e32 v6, 0x7fffffff, v4
	s_delay_alu instid0(VALU_DEP_1)
	v_cmpx_gt_u32_e32 0x43f00000, v6
	s_xor_b32 s27, exec_lo, s27
	s_cbranch_execz .LBB198_730
; %bb.725:
	s_mov_b32 s28, exec_lo
                                        ; implicit-def: $vgpr5
	v_cmpx_lt_u32_e32 0x3c7fffff, v6
	s_xor_b32 s28, exec_lo, s28
; %bb.726:
	v_bfe_u32 v5, v4, 20, 1
	s_delay_alu instid0(VALU_DEP_1) | instskip(NEXT) | instid1(VALU_DEP_1)
	v_add3_u32 v5, v4, v5, 0x407ffff
	v_and_b32_e32 v6, 0xff00000, v5
	v_lshrrev_b32_e32 v5, 20, v5
	s_delay_alu instid0(VALU_DEP_2) | instskip(NEXT) | instid1(VALU_DEP_2)
	v_cmp_ne_u32_e32 vcc_lo, 0x7f00000, v6
	v_cndmask_b32_e32 v5, 0x7e, v5, vcc_lo
; %bb.727:
	s_and_not1_saveexec_b32 s28, s28
; %bb.728:
	v_add_f32_e64 v5, 0x46800000, |v4|
; %bb.729:
	s_or_b32 exec_lo, exec_lo, s28
                                        ; implicit-def: $vgpr6
.LBB198_730:
	s_and_not1_saveexec_b32 s27, s27
; %bb.731:
	v_mov_b32_e32 v5, 0x7f
	v_cmp_lt_u32_e32 vcc_lo, 0x7f800000, v6
	s_delay_alu instid0(VALU_DEP_2)
	v_cndmask_b32_e32 v5, 0x7e, v5, vcc_lo
; %bb.732:
	s_or_b32 exec_lo, exec_lo, s27
	v_lshrrev_b32_e32 v4, 24, v4
	s_delay_alu instid0(VALU_DEP_1)
	v_and_or_b32 v4, 0x80, v4, v5
	global_store_b8 v[2:3], v4, off
.LBB198_733:
	s_mov_b32 s27, 0
.LBB198_734:
	s_delay_alu instid0(SALU_CYCLE_1)
	s_and_not1_b32 vcc_lo, exec_lo, s27
	s_cbranch_vccnz .LBB198_744
; %bb.735:
	s_wait_xcnt 0x0
	s_delay_alu instid0(VALU_DEP_4) | instskip(SKIP_2) | instid1(VALU_DEP_2)
	v_xor_b32_e32 v4, v0, v1
	v_cls_i32_e32 v5, v1
	s_mov_b32 s27, exec_lo
	v_ashrrev_i32_e32 v4, 31, v4
	s_delay_alu instid0(VALU_DEP_1) | instskip(NEXT) | instid1(VALU_DEP_1)
	v_add_nc_u32_e32 v4, 32, v4
	v_add_min_u32_e64 v6, v5, -1, v4
	s_delay_alu instid0(VALU_DEP_1) | instskip(NEXT) | instid1(VALU_DEP_1)
	v_lshlrev_b64_e32 v[4:5], v6, v[0:1]
	v_min_u32_e32 v4, 1, v4
	s_delay_alu instid0(VALU_DEP_1) | instskip(NEXT) | instid1(VALU_DEP_1)
	v_dual_sub_nc_u32 v5, 32, v6 :: v_dual_bitop2_b32 v4, v5, v4 bitop3:0x54
	v_cvt_f32_i32_e32 v4, v4
	s_delay_alu instid0(VALU_DEP_1) | instskip(NEXT) | instid1(VALU_DEP_1)
	v_ldexp_f32 v4, v4, v5
                                        ; implicit-def: $vgpr5
	v_and_b32_e32 v6, 0x7fffffff, v4
	s_delay_alu instid0(VALU_DEP_1)
	v_cmpx_gt_u32_e32 0x47800000, v6
	s_xor_b32 s27, exec_lo, s27
	s_cbranch_execz .LBB198_741
; %bb.736:
	s_mov_b32 s28, exec_lo
                                        ; implicit-def: $vgpr5
	v_cmpx_lt_u32_e32 0x387fffff, v6
	s_xor_b32 s28, exec_lo, s28
; %bb.737:
	v_bfe_u32 v5, v4, 21, 1
	s_delay_alu instid0(VALU_DEP_1) | instskip(NEXT) | instid1(VALU_DEP_1)
	v_add3_u32 v5, v4, v5, 0x80fffff
	v_lshrrev_b32_e32 v5, 21, v5
; %bb.738:
	s_and_not1_saveexec_b32 s28, s28
; %bb.739:
	v_add_f32_e64 v5, 0x43000000, |v4|
; %bb.740:
	s_or_b32 exec_lo, exec_lo, s28
                                        ; implicit-def: $vgpr6
.LBB198_741:
	s_and_not1_saveexec_b32 s27, s27
; %bb.742:
	v_mov_b32_e32 v5, 0x7f
	v_cmp_lt_u32_e32 vcc_lo, 0x7f800000, v6
	s_delay_alu instid0(VALU_DEP_2)
	v_cndmask_b32_e32 v5, 0x7c, v5, vcc_lo
; %bb.743:
	s_or_b32 exec_lo, exec_lo, s27
	v_lshrrev_b32_e32 v4, 24, v4
	s_delay_alu instid0(VALU_DEP_1)
	v_and_or_b32 v4, 0x80, v4, v5
	global_store_b8 v[2:3], v4, off
.LBB198_744:
	s_mov_b32 s28, 0
	s_mov_b32 s27, -1
.LBB198_745:
	s_and_not1_b32 vcc_lo, exec_lo, s28
	s_cbranch_vccnz .LBB198_753
; %bb.746:
	s_cmp_gt_i32 s26, 14
	s_mov_b32 s28, -1
	s_cbranch_scc0 .LBB198_750
; %bb.747:
	s_cmp_eq_u32 s26, 15
	s_mov_b32 s0, -1
	s_cbranch_scc0 .LBB198_749
; %bb.748:
	s_wait_xcnt 0x0
	s_delay_alu instid0(VALU_DEP_4) | instskip(SKIP_3) | instid1(VALU_DEP_2)
	v_xor_b32_e32 v4, v0, v1
	v_cls_i32_e32 v5, v1
	s_mov_b32 s27, -1
	s_mov_b32 s0, 0
	v_ashrrev_i32_e32 v4, 31, v4
	s_delay_alu instid0(VALU_DEP_1) | instskip(NEXT) | instid1(VALU_DEP_1)
	v_add_nc_u32_e32 v4, 32, v4
	v_add_min_u32_e64 v6, v5, -1, v4
	s_delay_alu instid0(VALU_DEP_1) | instskip(NEXT) | instid1(VALU_DEP_1)
	v_lshlrev_b64_e32 v[4:5], v6, v[0:1]
	v_min_u32_e32 v4, 1, v4
	s_delay_alu instid0(VALU_DEP_1) | instskip(NEXT) | instid1(VALU_DEP_1)
	v_dual_sub_nc_u32 v5, 32, v6 :: v_dual_bitop2_b32 v4, v5, v4 bitop3:0x54
	v_cvt_f32_i32_e32 v4, v4
	s_delay_alu instid0(VALU_DEP_1) | instskip(NEXT) | instid1(VALU_DEP_1)
	v_ldexp_f32 v4, v4, v5
	v_bfe_u32 v5, v4, 16, 1
	s_delay_alu instid0(VALU_DEP_1)
	v_add3_u32 v4, v4, v5, 0x7fff
	global_store_d16_hi_b16 v[2:3], v4, off
.LBB198_749:
	s_mov_b32 s28, 0
.LBB198_750:
	s_delay_alu instid0(SALU_CYCLE_1)
	s_and_b32 vcc_lo, exec_lo, s28
	s_cbranch_vccz .LBB198_753
; %bb.751:
	s_cmp_eq_u32 s26, 11
	s_mov_b32 s0, -1
	s_cbranch_scc0 .LBB198_753
; %bb.752:
	s_delay_alu instid0(VALU_DEP_4)
	v_cmp_ne_u64_e32 vcc_lo, 0, v[0:1]
	s_mov_b32 s27, -1
	s_mov_b32 s0, 0
	s_wait_xcnt 0x0
	v_cndmask_b32_e64 v4, 0, 1, vcc_lo
	global_store_b8 v[2:3], v4, off
.LBB198_753:
	s_mov_b32 s26, 0
.LBB198_754:
	s_delay_alu instid0(SALU_CYCLE_1)
	s_and_b32 vcc_lo, exec_lo, s26
	s_cbranch_vccz .LBB198_793
; %bb.755:
	s_and_b32 s25, 0xffff, s25
	s_mov_b32 s26, -1
	s_cmp_lt_i32 s25, 5
	s_cbranch_scc1 .LBB198_776
; %bb.756:
	s_cmp_lt_i32 s25, 8
	s_cbranch_scc1 .LBB198_766
; %bb.757:
	;; [unrolled: 3-line block ×3, first 2 shown]
	s_cmp_gt_i32 s25, 9
	s_cbranch_scc0 .LBB198_760
; %bb.759:
	s_wait_xcnt 0x0
	s_delay_alu instid0(VALU_DEP_4) | instskip(SKIP_2) | instid1(VALU_DEP_2)
	v_cvt_f64_i32_e32 v[4:5], v1
	v_cvt_f64_u32_e32 v[6:7], v0
	s_mov_b32 s26, 0
	v_ldexp_f64 v[4:5], v[4:5], 32
	s_delay_alu instid0(VALU_DEP_1) | instskip(NEXT) | instid1(VALU_DEP_1)
	v_dual_add_f64 v[4:5], v[4:5], v[6:7] :: v_dual_mov_b32 v6, 0
	v_mov_b32_e32 v7, v6
	global_store_b128 v[2:3], v[4:7], off
.LBB198_760:
	s_and_not1_b32 vcc_lo, exec_lo, s26
	s_cbranch_vccnz .LBB198_762
; %bb.761:
	s_wait_xcnt 0x0
	s_delay_alu instid0(VALU_DEP_4) | instskip(SKIP_1) | instid1(VALU_DEP_2)
	v_xor_b32_e32 v4, v0, v1
	v_cls_i32_e32 v5, v1
	v_ashrrev_i32_e32 v4, 31, v4
	s_delay_alu instid0(VALU_DEP_1) | instskip(NEXT) | instid1(VALU_DEP_1)
	v_add_nc_u32_e32 v4, 32, v4
	v_add_min_u32_e64 v6, v5, -1, v4
	s_delay_alu instid0(VALU_DEP_1) | instskip(NEXT) | instid1(VALU_DEP_1)
	v_lshlrev_b64_e32 v[4:5], v6, v[0:1]
	v_min_u32_e32 v4, 1, v4
	s_delay_alu instid0(VALU_DEP_1) | instskip(NEXT) | instid1(VALU_DEP_1)
	v_dual_sub_nc_u32 v5, 32, v6 :: v_dual_bitop2_b32 v4, v5, v4 bitop3:0x54
	v_cvt_f32_i32_e32 v4, v4
	s_delay_alu instid0(VALU_DEP_1)
	v_ldexp_f32 v4, v4, v5
	v_mov_b32_e32 v5, 0
	global_store_b64 v[2:3], v[4:5], off
.LBB198_762:
	s_mov_b32 s26, 0
.LBB198_763:
	s_delay_alu instid0(SALU_CYCLE_1)
	s_and_not1_b32 vcc_lo, exec_lo, s26
	s_cbranch_vccnz .LBB198_765
; %bb.764:
	s_wait_xcnt 0x0
	s_delay_alu instid0(VALU_DEP_4) | instskip(SKIP_1) | instid1(VALU_DEP_2)
	v_xor_b32_e32 v4, v0, v1
	v_cls_i32_e32 v5, v1
	v_ashrrev_i32_e32 v4, 31, v4
	s_delay_alu instid0(VALU_DEP_1) | instskip(NEXT) | instid1(VALU_DEP_1)
	v_add_nc_u32_e32 v4, 32, v4
	v_add_min_u32_e64 v6, v5, -1, v4
	s_delay_alu instid0(VALU_DEP_1) | instskip(NEXT) | instid1(VALU_DEP_1)
	v_lshlrev_b64_e32 v[4:5], v6, v[0:1]
	v_min_u32_e32 v4, 1, v4
	s_delay_alu instid0(VALU_DEP_1) | instskip(NEXT) | instid1(VALU_DEP_1)
	v_dual_sub_nc_u32 v5, 32, v6 :: v_dual_bitop2_b32 v4, v5, v4 bitop3:0x54
	v_cvt_f32_i32_e32 v4, v4
	s_delay_alu instid0(VALU_DEP_1) | instskip(NEXT) | instid1(VALU_DEP_1)
	v_ldexp_f32 v4, v4, v5
	v_cvt_f16_f32_e32 v4, v4
	s_delay_alu instid0(VALU_DEP_1)
	v_and_b32_e32 v4, 0xffff, v4
	global_store_b32 v[2:3], v4, off
.LBB198_765:
	s_mov_b32 s26, 0
.LBB198_766:
	s_delay_alu instid0(SALU_CYCLE_1)
	s_and_not1_b32 vcc_lo, exec_lo, s26
	s_cbranch_vccnz .LBB198_775
; %bb.767:
	s_cmp_lt_i32 s25, 6
	s_mov_b32 s26, -1
	s_cbranch_scc1 .LBB198_773
; %bb.768:
	s_cmp_gt_i32 s25, 6
	s_cbranch_scc0 .LBB198_770
; %bb.769:
	s_wait_xcnt 0x0
	s_delay_alu instid0(VALU_DEP_4) | instskip(SKIP_2) | instid1(VALU_DEP_2)
	v_cvt_f64_i32_e32 v[4:5], v1
	v_cvt_f64_u32_e32 v[6:7], v0
	s_mov_b32 s26, 0
	v_ldexp_f64 v[4:5], v[4:5], 32
	s_delay_alu instid0(VALU_DEP_1)
	v_add_f64_e32 v[4:5], v[4:5], v[6:7]
	global_store_b64 v[2:3], v[4:5], off
.LBB198_770:
	s_and_not1_b32 vcc_lo, exec_lo, s26
	s_cbranch_vccnz .LBB198_772
; %bb.771:
	s_wait_xcnt 0x0
	s_delay_alu instid0(VALU_DEP_4) | instskip(SKIP_1) | instid1(VALU_DEP_2)
	v_xor_b32_e32 v4, v0, v1
	v_cls_i32_e32 v5, v1
	v_ashrrev_i32_e32 v4, 31, v4
	s_delay_alu instid0(VALU_DEP_1) | instskip(NEXT) | instid1(VALU_DEP_1)
	v_add_nc_u32_e32 v4, 32, v4
	v_add_min_u32_e64 v6, v5, -1, v4
	s_delay_alu instid0(VALU_DEP_1) | instskip(NEXT) | instid1(VALU_DEP_1)
	v_lshlrev_b64_e32 v[4:5], v6, v[0:1]
	v_min_u32_e32 v4, 1, v4
	s_delay_alu instid0(VALU_DEP_1) | instskip(NEXT) | instid1(VALU_DEP_1)
	v_dual_sub_nc_u32 v5, 32, v6 :: v_dual_bitop2_b32 v4, v5, v4 bitop3:0x54
	v_cvt_f32_i32_e32 v4, v4
	s_delay_alu instid0(VALU_DEP_1)
	v_ldexp_f32 v4, v4, v5
	global_store_b32 v[2:3], v4, off
.LBB198_772:
	s_mov_b32 s26, 0
.LBB198_773:
	s_delay_alu instid0(SALU_CYCLE_1)
	s_and_not1_b32 vcc_lo, exec_lo, s26
	s_cbranch_vccnz .LBB198_775
; %bb.774:
	s_wait_xcnt 0x0
	s_delay_alu instid0(VALU_DEP_4) | instskip(SKIP_1) | instid1(VALU_DEP_2)
	v_xor_b32_e32 v4, v0, v1
	v_cls_i32_e32 v5, v1
	v_ashrrev_i32_e32 v4, 31, v4
	s_delay_alu instid0(VALU_DEP_1) | instskip(NEXT) | instid1(VALU_DEP_1)
	v_add_nc_u32_e32 v4, 32, v4
	v_add_min_u32_e64 v6, v5, -1, v4
	s_delay_alu instid0(VALU_DEP_1) | instskip(NEXT) | instid1(VALU_DEP_1)
	v_lshlrev_b64_e32 v[4:5], v6, v[0:1]
	v_min_u32_e32 v4, 1, v4
	s_delay_alu instid0(VALU_DEP_1) | instskip(NEXT) | instid1(VALU_DEP_1)
	v_dual_sub_nc_u32 v5, 32, v6 :: v_dual_bitop2_b32 v4, v5, v4 bitop3:0x54
	v_cvt_f32_i32_e32 v4, v4
	s_delay_alu instid0(VALU_DEP_1) | instskip(NEXT) | instid1(VALU_DEP_1)
	v_ldexp_f32 v4, v4, v5
	v_cvt_f16_f32_e32 v4, v4
	global_store_b16 v[2:3], v4, off
.LBB198_775:
	s_mov_b32 s26, 0
.LBB198_776:
	s_delay_alu instid0(SALU_CYCLE_1)
	s_and_not1_b32 vcc_lo, exec_lo, s26
	s_cbranch_vccnz .LBB198_792
; %bb.777:
	s_cmp_lt_i32 s25, 2
	s_mov_b32 s26, -1
	s_cbranch_scc1 .LBB198_787
; %bb.778:
	s_cmp_lt_i32 s25, 3
	s_cbranch_scc1 .LBB198_784
; %bb.779:
	s_cmp_gt_i32 s25, 3
	s_cbranch_scc0 .LBB198_781
; %bb.780:
	s_mov_b32 s26, 0
	global_store_b64 v[2:3], v[0:1], off
.LBB198_781:
	s_and_not1_b32 vcc_lo, exec_lo, s26
	s_cbranch_vccnz .LBB198_783
; %bb.782:
	global_store_b32 v[2:3], v0, off
.LBB198_783:
	s_mov_b32 s26, 0
.LBB198_784:
	s_delay_alu instid0(SALU_CYCLE_1)
	s_and_not1_b32 vcc_lo, exec_lo, s26
	s_cbranch_vccnz .LBB198_786
; %bb.785:
	global_store_b16 v[2:3], v0, off
.LBB198_786:
	s_mov_b32 s26, 0
.LBB198_787:
	s_delay_alu instid0(SALU_CYCLE_1)
	s_and_not1_b32 vcc_lo, exec_lo, s26
	s_cbranch_vccnz .LBB198_792
; %bb.788:
	s_cmp_gt_i32 s25, 0
	s_mov_b32 s25, -1
	s_cbranch_scc0 .LBB198_790
; %bb.789:
	s_mov_b32 s25, 0
	global_store_b8 v[2:3], v0, off
.LBB198_790:
	s_and_not1_b32 vcc_lo, exec_lo, s25
	s_cbranch_vccnz .LBB198_792
; %bb.791:
	global_store_b8 v[2:3], v0, off
.LBB198_792:
	s_mov_b32 s27, -1
.LBB198_793:
	s_delay_alu instid0(SALU_CYCLE_1)
	s_and_not1_b32 vcc_lo, exec_lo, s27
	s_cbranch_vccnz .LBB198_795
; %bb.794:
	v_add_nc_u32_e32 v12, 0x80, v12
	s_mov_b32 s25, -1
	s_branch .LBB198_797
.LBB198_795:
	s_mov_b32 s25, 0
.LBB198_796:
                                        ; implicit-def: $vgpr12
.LBB198_797:
	s_and_not1_b32 s26, s21, exec_lo
	s_and_b32 s0, s0, exec_lo
	s_and_not1_b32 s27, s20, exec_lo
	s_and_b32 s28, s24, exec_lo
	s_or_b32 s24, s26, s0
	s_or_b32 s0, s27, s28
	s_or_not1_b32 s25, s25, exec_lo
.LBB198_798:
	s_wait_xcnt 0x0
	s_or_b32 exec_lo, exec_lo, s23
	s_mov_b32 s26, 0
	s_mov_b32 s27, 0
	;; [unrolled: 1-line block ×3, first 2 shown]
                                        ; implicit-def: $vgpr0_vgpr1
                                        ; implicit-def: $vgpr4_vgpr5
	s_and_saveexec_b32 s23, s25
	s_cbranch_execz .LBB198_879
; %bb.799:
	v_cmp_gt_i32_e32 vcc_lo, s17, v12
	s_mov_b32 s25, 0
	s_mov_b32 s26, s0
	;; [unrolled: 1-line block ×3, first 2 shown]
                                        ; implicit-def: $vgpr0_vgpr1
                                        ; implicit-def: $vgpr4_vgpr5
	s_and_saveexec_b32 s17, vcc_lo
	s_cbranch_execz .LBB198_878
; %bb.800:
	v_mul_lo_u32 v0, v12, s13
	s_and_b32 s25, 0xffff, s3
	s_delay_alu instid0(SALU_CYCLE_1) | instskip(NEXT) | instid1(VALU_DEP_1)
	s_cmp_lt_i32 s25, 11
	v_ashrrev_i32_e32 v1, 31, v0
	s_delay_alu instid0(VALU_DEP_1)
	v_add_nc_u64_e32 v[0:1], s[6:7], v[0:1]
	s_cbranch_scc1 .LBB198_807
; %bb.801:
	s_cmp_gt_i32 s25, 25
	s_cbranch_scc0 .LBB198_808
; %bb.802:
	s_cmp_gt_i32 s25, 28
	s_cbranch_scc0 .LBB198_809
	;; [unrolled: 3-line block ×4, first 2 shown]
; %bb.805:
	s_cmp_eq_u32 s25, 46
	s_cbranch_scc0 .LBB198_816
; %bb.806:
	s_wait_loadcnt 0x0
	global_load_b32 v2, v[0:1], off
	s_mov_b32 s26, 0
	s_mov_b32 s28, -1
	s_wait_loadcnt 0x0
	v_lshlrev_b32_e32 v2, 16, v2
	s_delay_alu instid0(VALU_DEP_1) | instskip(NEXT) | instid1(VALU_DEP_1)
	v_trunc_f32_e32 v2, v2
	v_mul_f32_e64 v3, 0x2f800000, |v2|
	s_delay_alu instid0(VALU_DEP_1) | instskip(NEXT) | instid1(VALU_DEP_1)
	v_floor_f32_e32 v3, v3
	v_fma_f32 v4, 0xcf800000, v3, |v2|
	v_ashrrev_i32_e32 v2, 31, v2
	v_cvt_u32_f32_e32 v5, v3
	s_delay_alu instid0(VALU_DEP_3) | instskip(NEXT) | instid1(VALU_DEP_2)
	v_cvt_u32_f32_e32 v4, v4
	v_dual_mov_b32 v3, v2 :: v_dual_bitop2_b32 v5, v5, v2 bitop3:0x14
	s_delay_alu instid0(VALU_DEP_2) | instskip(NEXT) | instid1(VALU_DEP_1)
	v_xor_b32_e32 v4, v4, v2
	v_sub_nc_u64_e32 v[4:5], v[4:5], v[2:3]
	s_branch .LBB198_818
.LBB198_807:
	s_mov_b32 s25, -1
	s_mov_b32 s26, s0
                                        ; implicit-def: $vgpr4_vgpr5
	s_branch .LBB198_877
.LBB198_808:
	s_mov_b32 s29, -1
	s_mov_b32 s26, s0
                                        ; implicit-def: $vgpr4_vgpr5
	s_branch .LBB198_845
.LBB198_809:
	s_mov_b32 s29, -1
	s_mov_b32 s26, s0
                                        ; implicit-def: $vgpr4_vgpr5
	s_branch .LBB198_828
.LBB198_810:
	s_mov_b32 s29, -1
	s_mov_b32 s26, s0
                                        ; implicit-def: $vgpr4_vgpr5
	s_branch .LBB198_823
.LBB198_811:
	s_and_not1_saveexec_b32 s29, s29
	s_cbranch_execz .LBB198_706
.LBB198_812:
	v_add_f32_e64 v5, 0x46000000, |v4|
	s_and_not1_b32 s28, s28, exec_lo
	s_delay_alu instid0(VALU_DEP_1) | instskip(NEXT) | instid1(VALU_DEP_1)
	v_and_b32_e32 v5, 0xff, v5
	v_cmp_ne_u32_e32 vcc_lo, 0, v5
	s_and_b32 s30, vcc_lo, exec_lo
	s_delay_alu instid0(SALU_CYCLE_1)
	s_or_b32 s28, s28, s30
	s_or_b32 exec_lo, exec_lo, s29
	v_mov_b32_e32 v6, 0
	s_and_saveexec_b32 s29, s28
	s_cbranch_execnz .LBB198_707
	s_branch .LBB198_708
.LBB198_813:
	s_mov_b32 s29, -1
	s_mov_b32 s26, s0
	s_branch .LBB198_817
.LBB198_814:
	s_and_not1_saveexec_b32 s29, s29
	s_cbranch_execz .LBB198_719
.LBB198_815:
	v_add_f32_e64 v5, 0x42800000, |v4|
	s_and_not1_b32 s28, s28, exec_lo
	s_delay_alu instid0(VALU_DEP_1) | instskip(NEXT) | instid1(VALU_DEP_1)
	v_and_b32_e32 v5, 0xff, v5
	v_cmp_ne_u32_e32 vcc_lo, 0, v5
	s_and_b32 s30, vcc_lo, exec_lo
	s_delay_alu instid0(SALU_CYCLE_1)
	s_or_b32 s28, s28, s30
	s_or_b32 exec_lo, exec_lo, s29
	v_mov_b32_e32 v6, 0
	s_and_saveexec_b32 s29, s28
	s_cbranch_execnz .LBB198_720
	s_branch .LBB198_721
.LBB198_816:
	s_mov_b32 s26, -1
.LBB198_817:
                                        ; implicit-def: $vgpr4_vgpr5
.LBB198_818:
	s_and_b32 vcc_lo, exec_lo, s29
	s_cbranch_vccz .LBB198_822
; %bb.819:
	s_cmp_eq_u32 s25, 44
	s_cbranch_scc0 .LBB198_821
; %bb.820:
	global_load_u8 v6, v[0:1], off
	s_mov_b32 s26, 0
	s_mov_b32 s28, -1
	s_wait_loadcnt 0x0
	v_cmp_ne_u32_e32 vcc_lo, 0, v6
	v_lshlrev_b32_e32 v2, 23, v6
	s_delay_alu instid0(VALU_DEP_1) | instskip(NEXT) | instid1(VALU_DEP_1)
	v_trunc_f32_e32 v2, v2
	v_mul_f32_e64 v3, 0x2f800000, |v2|
	s_delay_alu instid0(VALU_DEP_1) | instskip(NEXT) | instid1(VALU_DEP_1)
	v_floor_f32_e32 v3, v3
	v_fma_f32 v4, 0xcf800000, v3, |v2|
	v_ashrrev_i32_e32 v2, 31, v2
	v_cvt_u32_f32_e32 v5, v3
	s_delay_alu instid0(VALU_DEP_3) | instskip(NEXT) | instid1(VALU_DEP_2)
	v_cvt_u32_f32_e32 v4, v4
	v_dual_mov_b32 v3, v2 :: v_dual_bitop2_b32 v5, v5, v2 bitop3:0x14
	s_delay_alu instid0(VALU_DEP_2) | instskip(NEXT) | instid1(VALU_DEP_1)
	v_xor_b32_e32 v4, v4, v2
	v_sub_nc_u64_e32 v[2:3], v[4:5], v[2:3]
	s_delay_alu instid0(VALU_DEP_1)
	v_dual_cndmask_b32 v5, 0, v3 :: v_dual_cndmask_b32 v4, 0, v2
	s_branch .LBB198_822
.LBB198_821:
	s_mov_b32 s26, -1
                                        ; implicit-def: $vgpr4_vgpr5
.LBB198_822:
	s_mov_b32 s29, 0
.LBB198_823:
	s_delay_alu instid0(SALU_CYCLE_1)
	s_and_b32 vcc_lo, exec_lo, s29
	s_cbranch_vccz .LBB198_827
; %bb.824:
	s_cmp_eq_u32 s25, 29
	s_cbranch_scc0 .LBB198_826
; %bb.825:
	global_load_b64 v[4:5], v[0:1], off
	s_mov_b32 s26, 0
	s_mov_b32 s28, -1
	s_branch .LBB198_827
.LBB198_826:
	s_mov_b32 s26, -1
                                        ; implicit-def: $vgpr4_vgpr5
.LBB198_827:
	s_mov_b32 s29, 0
.LBB198_828:
	s_delay_alu instid0(SALU_CYCLE_1)
	s_and_b32 vcc_lo, exec_lo, s29
	s_cbranch_vccz .LBB198_844
; %bb.829:
	s_cmp_lt_i32 s25, 27
	s_cbranch_scc1 .LBB198_832
; %bb.830:
	s_cmp_gt_i32 s25, 27
	s_cbranch_scc0 .LBB198_833
; %bb.831:
	s_wait_loadcnt 0x0
	global_load_b32 v4, v[0:1], off
	v_mov_b32_e32 v5, 0
	s_mov_b32 s28, 0
	s_branch .LBB198_834
.LBB198_832:
	s_mov_b32 s28, -1
                                        ; implicit-def: $vgpr4_vgpr5
	s_branch .LBB198_837
.LBB198_833:
	s_mov_b32 s28, -1
                                        ; implicit-def: $vgpr4_vgpr5
.LBB198_834:
	s_delay_alu instid0(SALU_CYCLE_1)
	s_and_not1_b32 vcc_lo, exec_lo, s28
	s_cbranch_vccnz .LBB198_836
; %bb.835:
	s_wait_loadcnt 0x0
	global_load_u16 v2, v[0:1], off
	s_mov_b32 s28, 0
	s_delay_alu instid0(SALU_CYCLE_1)
	v_mov_b32_e32 v5, s28
	s_wait_loadcnt 0x0
	v_and_b32_e32 v4, 0xffff, v2
.LBB198_836:
	s_mov_b32 s28, 0
.LBB198_837:
	s_delay_alu instid0(SALU_CYCLE_1)
	s_and_not1_b32 vcc_lo, exec_lo, s28
	s_cbranch_vccnz .LBB198_843
; %bb.838:
	s_wait_loadcnt 0x0
	global_load_u8 v2, v[0:1], off
	s_mov_b32 s29, 0
	s_mov_b32 s28, exec_lo
	s_wait_loadcnt 0x0
	v_cmpx_lt_i16_e32 0x7f, v2
	s_xor_b32 s28, exec_lo, s28
	s_cbranch_execz .LBB198_855
; %bb.839:
	v_cmp_ne_u16_e32 vcc_lo, 0x80, v2
	s_and_b32 s29, vcc_lo, exec_lo
	s_and_not1_saveexec_b32 s28, s28
	s_cbranch_execnz .LBB198_856
.LBB198_840:
	s_or_b32 exec_lo, exec_lo, s28
	v_mov_b64_e32 v[4:5], 0
	s_and_saveexec_b32 s28, s29
	s_cbranch_execz .LBB198_842
.LBB198_841:
	v_and_b32_e32 v3, 0xffff, v2
	s_delay_alu instid0(VALU_DEP_1) | instskip(SKIP_1) | instid1(VALU_DEP_2)
	v_and_b32_e32 v4, 7, v3
	v_bfe_u32 v7, v3, 3, 4
	v_clz_i32_u32_e32 v5, v4
	s_delay_alu instid0(VALU_DEP_2) | instskip(NEXT) | instid1(VALU_DEP_2)
	v_cmp_eq_u32_e32 vcc_lo, 0, v7
	v_min_u32_e32 v5, 32, v5
	s_delay_alu instid0(VALU_DEP_1) | instskip(NEXT) | instid1(VALU_DEP_1)
	v_subrev_nc_u32_e32 v6, 28, v5
	v_dual_lshlrev_b32 v3, v6, v3 :: v_dual_sub_nc_u32 v5, 29, v5
	s_delay_alu instid0(VALU_DEP_1) | instskip(NEXT) | instid1(VALU_DEP_1)
	v_dual_lshlrev_b32 v2, 24, v2 :: v_dual_bitop2_b32 v3, 7, v3 bitop3:0x40
	v_dual_cndmask_b32 v5, v7, v5, vcc_lo :: v_dual_cndmask_b32 v3, v4, v3, vcc_lo
	s_delay_alu instid0(VALU_DEP_2) | instskip(NEXT) | instid1(VALU_DEP_2)
	v_and_b32_e32 v2, 0x80000000, v2
	v_lshl_add_u32 v4, v5, 23, 0x3b800000
	s_delay_alu instid0(VALU_DEP_3) | instskip(NEXT) | instid1(VALU_DEP_1)
	v_lshlrev_b32_e32 v3, 20, v3
	v_or3_b32 v2, v2, v4, v3
	s_delay_alu instid0(VALU_DEP_1) | instskip(NEXT) | instid1(VALU_DEP_1)
	v_trunc_f32_e32 v2, v2
	v_mul_f32_e64 v3, 0x2f800000, |v2|
	s_delay_alu instid0(VALU_DEP_1) | instskip(NEXT) | instid1(VALU_DEP_1)
	v_floor_f32_e32 v3, v3
	v_fma_f32 v4, 0xcf800000, v3, |v2|
	v_ashrrev_i32_e32 v2, 31, v2
	v_cvt_u32_f32_e32 v5, v3
	s_delay_alu instid0(VALU_DEP_3) | instskip(NEXT) | instid1(VALU_DEP_2)
	v_cvt_u32_f32_e32 v4, v4
	v_dual_mov_b32 v3, v2 :: v_dual_bitop2_b32 v5, v5, v2 bitop3:0x14
	s_delay_alu instid0(VALU_DEP_2) | instskip(NEXT) | instid1(VALU_DEP_1)
	v_xor_b32_e32 v4, v4, v2
	v_sub_nc_u64_e32 v[4:5], v[4:5], v[2:3]
.LBB198_842:
	s_or_b32 exec_lo, exec_lo, s28
.LBB198_843:
	s_mov_b32 s28, -1
.LBB198_844:
	s_mov_b32 s29, 0
.LBB198_845:
	s_delay_alu instid0(SALU_CYCLE_1)
	s_and_b32 vcc_lo, exec_lo, s29
	s_cbranch_vccz .LBB198_876
; %bb.846:
	s_cmp_gt_i32 s25, 22
	s_cbranch_scc0 .LBB198_854
; %bb.847:
	s_cmp_lt_i32 s25, 24
	s_cbranch_scc1 .LBB198_857
; %bb.848:
	s_cmp_gt_i32 s25, 24
	s_cbranch_scc0 .LBB198_858
; %bb.849:
	s_wait_loadcnt 0x0
	global_load_u8 v2, v[0:1], off
	s_mov_b32 s28, 0
	s_mov_b32 s27, exec_lo
	s_wait_loadcnt 0x0
	v_cmpx_lt_i16_e32 0x7f, v2
	s_xor_b32 s27, exec_lo, s27
	s_cbranch_execz .LBB198_870
; %bb.850:
	v_cmp_ne_u16_e32 vcc_lo, 0x80, v2
	s_and_b32 s28, vcc_lo, exec_lo
	s_and_not1_saveexec_b32 s27, s27
	s_cbranch_execnz .LBB198_871
.LBB198_851:
	s_or_b32 exec_lo, exec_lo, s27
	v_mov_b64_e32 v[4:5], 0
	s_and_saveexec_b32 s27, s28
	s_cbranch_execz .LBB198_853
.LBB198_852:
	v_and_b32_e32 v3, 0xffff, v2
	s_delay_alu instid0(VALU_DEP_1) | instskip(SKIP_1) | instid1(VALU_DEP_2)
	v_and_b32_e32 v4, 3, v3
	v_bfe_u32 v7, v3, 2, 5
	v_clz_i32_u32_e32 v5, v4
	s_delay_alu instid0(VALU_DEP_2) | instskip(NEXT) | instid1(VALU_DEP_2)
	v_cmp_eq_u32_e32 vcc_lo, 0, v7
	v_min_u32_e32 v5, 32, v5
	s_delay_alu instid0(VALU_DEP_1) | instskip(NEXT) | instid1(VALU_DEP_1)
	v_subrev_nc_u32_e32 v6, 29, v5
	v_dual_lshlrev_b32 v3, v6, v3 :: v_dual_sub_nc_u32 v5, 30, v5
	s_delay_alu instid0(VALU_DEP_1) | instskip(NEXT) | instid1(VALU_DEP_1)
	v_dual_lshlrev_b32 v2, 24, v2 :: v_dual_bitop2_b32 v3, 3, v3 bitop3:0x40
	v_dual_cndmask_b32 v5, v7, v5, vcc_lo :: v_dual_cndmask_b32 v3, v4, v3, vcc_lo
	s_delay_alu instid0(VALU_DEP_2) | instskip(NEXT) | instid1(VALU_DEP_2)
	v_and_b32_e32 v2, 0x80000000, v2
	v_lshl_add_u32 v4, v5, 23, 0x37800000
	s_delay_alu instid0(VALU_DEP_3) | instskip(NEXT) | instid1(VALU_DEP_1)
	v_lshlrev_b32_e32 v3, 21, v3
	v_or3_b32 v2, v2, v4, v3
	s_delay_alu instid0(VALU_DEP_1) | instskip(NEXT) | instid1(VALU_DEP_1)
	v_trunc_f32_e32 v2, v2
	v_mul_f32_e64 v3, 0x2f800000, |v2|
	s_delay_alu instid0(VALU_DEP_1) | instskip(NEXT) | instid1(VALU_DEP_1)
	v_floor_f32_e32 v3, v3
	v_fma_f32 v4, 0xcf800000, v3, |v2|
	v_ashrrev_i32_e32 v2, 31, v2
	v_cvt_u32_f32_e32 v5, v3
	s_delay_alu instid0(VALU_DEP_3) | instskip(NEXT) | instid1(VALU_DEP_2)
	v_cvt_u32_f32_e32 v4, v4
	v_dual_mov_b32 v3, v2 :: v_dual_bitop2_b32 v5, v5, v2 bitop3:0x14
	s_delay_alu instid0(VALU_DEP_2) | instskip(NEXT) | instid1(VALU_DEP_1)
	v_xor_b32_e32 v4, v4, v2
	v_sub_nc_u64_e32 v[4:5], v[4:5], v[2:3]
.LBB198_853:
	s_or_b32 exec_lo, exec_lo, s27
	s_mov_b32 s27, 0
	s_branch .LBB198_859
.LBB198_854:
	s_mov_b32 s27, -1
                                        ; implicit-def: $vgpr4_vgpr5
	s_branch .LBB198_865
.LBB198_855:
	s_and_not1_saveexec_b32 s28, s28
	s_cbranch_execz .LBB198_840
.LBB198_856:
	v_cmp_ne_u16_e32 vcc_lo, 0, v2
	s_and_not1_b32 s29, s29, exec_lo
	s_and_b32 s30, vcc_lo, exec_lo
	s_delay_alu instid0(SALU_CYCLE_1)
	s_or_b32 s29, s29, s30
	s_or_b32 exec_lo, exec_lo, s28
	v_mov_b64_e32 v[4:5], 0
	s_and_saveexec_b32 s28, s29
	s_cbranch_execnz .LBB198_841
	s_branch .LBB198_842
.LBB198_857:
	s_mov_b32 s27, -1
                                        ; implicit-def: $vgpr4_vgpr5
	s_branch .LBB198_862
.LBB198_858:
	s_mov_b32 s27, -1
                                        ; implicit-def: $vgpr4_vgpr5
.LBB198_859:
	s_delay_alu instid0(SALU_CYCLE_1)
	s_and_b32 vcc_lo, exec_lo, s27
	s_cbranch_vccz .LBB198_861
; %bb.860:
	s_wait_loadcnt 0x0
	global_load_u8 v2, v[0:1], off
	s_wait_loadcnt 0x0
	v_lshlrev_b32_e32 v2, 24, v2
	s_delay_alu instid0(VALU_DEP_1) | instskip(NEXT) | instid1(VALU_DEP_1)
	v_and_b32_e32 v3, 0x7f000000, v2
	v_clz_i32_u32_e32 v4, v3
	v_cmp_ne_u32_e32 vcc_lo, 0, v3
	v_add_nc_u32_e32 v6, 0x1000000, v3
	s_delay_alu instid0(VALU_DEP_3) | instskip(NEXT) | instid1(VALU_DEP_1)
	v_min_u32_e32 v4, 32, v4
	v_sub_nc_u32_e64 v4, v4, 4 clamp
	s_delay_alu instid0(VALU_DEP_1) | instskip(NEXT) | instid1(VALU_DEP_1)
	v_dual_lshlrev_b32 v5, v4, v3 :: v_dual_lshlrev_b32 v4, 23, v4
	v_lshrrev_b32_e32 v5, 4, v5
	s_delay_alu instid0(VALU_DEP_1) | instskip(NEXT) | instid1(VALU_DEP_1)
	v_dual_sub_nc_u32 v4, v5, v4 :: v_dual_ashrrev_i32 v5, 8, v6
	v_add_nc_u32_e32 v4, 0x3c000000, v4
	s_delay_alu instid0(VALU_DEP_1) | instskip(NEXT) | instid1(VALU_DEP_1)
	v_and_or_b32 v4, 0x7f800000, v5, v4
	v_cndmask_b32_e32 v3, 0, v4, vcc_lo
	s_delay_alu instid0(VALU_DEP_1) | instskip(NEXT) | instid1(VALU_DEP_1)
	v_and_or_b32 v2, 0x80000000, v2, v3
	v_trunc_f32_e32 v2, v2
	s_delay_alu instid0(VALU_DEP_1) | instskip(NEXT) | instid1(VALU_DEP_1)
	v_mul_f32_e64 v3, 0x2f800000, |v2|
	v_floor_f32_e32 v3, v3
	s_delay_alu instid0(VALU_DEP_1) | instskip(SKIP_2) | instid1(VALU_DEP_3)
	v_fma_f32 v4, 0xcf800000, v3, |v2|
	v_ashrrev_i32_e32 v2, 31, v2
	v_cvt_u32_f32_e32 v5, v3
	v_cvt_u32_f32_e32 v4, v4
	s_delay_alu instid0(VALU_DEP_2) | instskip(NEXT) | instid1(VALU_DEP_2)
	v_dual_mov_b32 v3, v2 :: v_dual_bitop2_b32 v5, v5, v2 bitop3:0x14
	v_xor_b32_e32 v4, v4, v2
	s_delay_alu instid0(VALU_DEP_1)
	v_sub_nc_u64_e32 v[4:5], v[4:5], v[2:3]
.LBB198_861:
	s_mov_b32 s27, 0
.LBB198_862:
	s_delay_alu instid0(SALU_CYCLE_1)
	s_and_not1_b32 vcc_lo, exec_lo, s27
	s_cbranch_vccnz .LBB198_864
; %bb.863:
	s_wait_loadcnt 0x0
	global_load_u8 v2, v[0:1], off
	s_wait_loadcnt 0x0
	v_lshlrev_b32_e32 v3, 25, v2
	v_lshlrev_b16 v2, 8, v2
	s_delay_alu instid0(VALU_DEP_1) | instskip(SKIP_1) | instid1(VALU_DEP_2)
	v_and_or_b32 v5, 0x7f00, v2, 0.5
	v_bfe_i32 v2, v2, 0, 16
	v_dual_add_f32 v5, -0.5, v5 :: v_dual_lshrrev_b32 v4, 4, v3
	v_cmp_gt_u32_e32 vcc_lo, 0x8000000, v3
	s_delay_alu instid0(VALU_DEP_2) | instskip(NEXT) | instid1(VALU_DEP_1)
	v_or_b32_e32 v4, 0x70000000, v4
	v_mul_f32_e32 v4, 0x7800000, v4
	s_delay_alu instid0(VALU_DEP_1) | instskip(NEXT) | instid1(VALU_DEP_1)
	v_cndmask_b32_e32 v3, v4, v5, vcc_lo
	v_and_or_b32 v2, 0x80000000, v2, v3
	s_delay_alu instid0(VALU_DEP_1) | instskip(NEXT) | instid1(VALU_DEP_1)
	v_trunc_f32_e32 v2, v2
	v_mul_f32_e64 v3, 0x2f800000, |v2|
	s_delay_alu instid0(VALU_DEP_1) | instskip(NEXT) | instid1(VALU_DEP_1)
	v_floor_f32_e32 v3, v3
	v_fma_f32 v4, 0xcf800000, v3, |v2|
	v_ashrrev_i32_e32 v2, 31, v2
	v_cvt_u32_f32_e32 v5, v3
	s_delay_alu instid0(VALU_DEP_3) | instskip(NEXT) | instid1(VALU_DEP_2)
	v_cvt_u32_f32_e32 v4, v4
	v_dual_mov_b32 v3, v2 :: v_dual_bitop2_b32 v5, v5, v2 bitop3:0x14
	s_delay_alu instid0(VALU_DEP_2) | instskip(NEXT) | instid1(VALU_DEP_1)
	v_xor_b32_e32 v4, v4, v2
	v_sub_nc_u64_e32 v[4:5], v[4:5], v[2:3]
.LBB198_864:
	s_mov_b32 s27, 0
	s_mov_b32 s28, -1
.LBB198_865:
	s_and_not1_b32 vcc_lo, exec_lo, s27
	s_mov_b32 s27, 0
	s_cbranch_vccnz .LBB198_876
; %bb.866:
	s_cmp_gt_i32 s25, 14
	s_cbranch_scc0 .LBB198_869
; %bb.867:
	s_cmp_eq_u32 s25, 15
	s_cbranch_scc0 .LBB198_872
; %bb.868:
	s_wait_loadcnt 0x0
	global_load_u16 v2, v[0:1], off
	s_mov_b32 s26, 0
	s_mov_b32 s28, -1
	s_wait_loadcnt 0x0
	v_lshlrev_b32_e32 v2, 16, v2
	s_delay_alu instid0(VALU_DEP_1) | instskip(NEXT) | instid1(VALU_DEP_1)
	v_trunc_f32_e32 v2, v2
	v_mul_f32_e64 v3, 0x2f800000, |v2|
	s_delay_alu instid0(VALU_DEP_1) | instskip(NEXT) | instid1(VALU_DEP_1)
	v_floor_f32_e32 v3, v3
	v_fma_f32 v4, 0xcf800000, v3, |v2|
	v_ashrrev_i32_e32 v2, 31, v2
	v_cvt_u32_f32_e32 v5, v3
	s_delay_alu instid0(VALU_DEP_3) | instskip(NEXT) | instid1(VALU_DEP_2)
	v_cvt_u32_f32_e32 v4, v4
	v_dual_mov_b32 v3, v2 :: v_dual_bitop2_b32 v5, v5, v2 bitop3:0x14
	s_delay_alu instid0(VALU_DEP_2) | instskip(NEXT) | instid1(VALU_DEP_1)
	v_xor_b32_e32 v4, v4, v2
	v_sub_nc_u64_e32 v[4:5], v[4:5], v[2:3]
	s_branch .LBB198_874
.LBB198_869:
	s_mov_b32 s27, -1
	s_branch .LBB198_873
.LBB198_870:
	s_and_not1_saveexec_b32 s27, s27
	s_cbranch_execz .LBB198_851
.LBB198_871:
	v_cmp_ne_u16_e32 vcc_lo, 0, v2
	s_and_not1_b32 s28, s28, exec_lo
	s_and_b32 s29, vcc_lo, exec_lo
	s_delay_alu instid0(SALU_CYCLE_1)
	s_or_b32 s28, s28, s29
	s_or_b32 exec_lo, exec_lo, s27
	v_mov_b64_e32 v[4:5], 0
	s_and_saveexec_b32 s27, s28
	s_cbranch_execnz .LBB198_852
	s_branch .LBB198_853
.LBB198_872:
	s_mov_b32 s26, -1
.LBB198_873:
                                        ; implicit-def: $vgpr4_vgpr5
.LBB198_874:
	s_and_b32 vcc_lo, exec_lo, s27
	s_mov_b32 s27, 0
	s_cbranch_vccz .LBB198_876
; %bb.875:
	s_cmp_lg_u32 s25, 11
	s_mov_b32 s27, -1
	s_cselect_b32 s25, -1, 0
	s_and_not1_b32 s26, s26, exec_lo
	s_and_b32 s25, s25, exec_lo
	s_delay_alu instid0(SALU_CYCLE_1)
	s_or_b32 s26, s26, s25
.LBB198_876:
	s_mov_b32 s25, 0
.LBB198_877:
	s_and_not1_b32 s30, s0, exec_lo
	s_and_b32 s26, s26, exec_lo
	s_and_b32 s28, s28, exec_lo
	;; [unrolled: 1-line block ×4, first 2 shown]
	s_or_b32 s26, s30, s26
.LBB198_878:
	s_wait_xcnt 0x0
	s_or_b32 exec_lo, exec_lo, s17
	s_delay_alu instid0(SALU_CYCLE_1)
	s_and_not1_b32 s0, s0, exec_lo
	s_and_b32 s17, s26, exec_lo
	s_and_b32 s28, s28, exec_lo
	;; [unrolled: 1-line block ×4, first 2 shown]
	s_or_b32 s0, s0, s17
.LBB198_879:
	s_or_b32 exec_lo, exec_lo, s23
	s_delay_alu instid0(SALU_CYCLE_1)
	s_and_not1_b32 s17, s21, exec_lo
	s_and_b32 s21, s24, exec_lo
	s_and_b32 s0, s0, exec_lo
	s_or_b32 s21, s17, s21
	s_and_not1_b32 s17, s20, exec_lo
	s_and_b32 s25, s28, exec_lo
	s_and_b32 s24, s27, exec_lo
	;; [unrolled: 1-line block ×3, first 2 shown]
	s_or_b32 s20, s17, s0
.LBB198_880:
	s_or_b32 exec_lo, exec_lo, s22
	s_delay_alu instid0(SALU_CYCLE_1)
	s_and_not1_b32 s0, s16, exec_lo
	s_and_b32 s16, s21, exec_lo
	s_and_not1_b32 s17, s18, exec_lo
	s_and_b32 s18, s20, exec_lo
	s_or_b32 s16, s0, s16
	s_and_b32 s0, s25, exec_lo
	s_and_b32 s21, s24, exec_lo
	;; [unrolled: 1-line block ×3, first 2 shown]
	s_or_b32 s18, s17, s18
	s_or_b32 exec_lo, exec_lo, s19
	s_mov_b32 s17, 0
	s_and_saveexec_b32 s19, s18
	s_cbranch_execz .LBB198_269
.LBB198_881:
	s_mov_b32 s17, exec_lo
	s_and_not1_b32 s20, s20, exec_lo
	s_trap 2
	s_or_b32 exec_lo, exec_lo, s19
	s_and_saveexec_b32 s18, s20
	s_delay_alu instid0(SALU_CYCLE_1)
	s_xor_b32 s18, exec_lo, s18
	s_cbranch_execnz .LBB198_270
.LBB198_882:
	s_or_b32 exec_lo, exec_lo, s18
	s_and_saveexec_b32 s18, s21
	s_cbranch_execz .LBB198_928
.LBB198_883:
	s_sext_i32_i16 s19, s3
	s_delay_alu instid0(SALU_CYCLE_1)
	s_cmp_lt_i32 s19, 5
	s_cbranch_scc1 .LBB198_888
; %bb.884:
	s_cmp_lt_i32 s19, 8
	s_cbranch_scc1 .LBB198_889
; %bb.885:
	;; [unrolled: 3-line block ×3, first 2 shown]
	s_cmp_gt_i32 s19, 9
	s_cbranch_scc0 .LBB198_891
; %bb.887:
	s_wait_loadcnt 0x0
	global_load_b64 v[2:3], v[0:1], off
	s_mov_b32 s19, 0
	s_wait_loadcnt 0x0
	v_trunc_f64_e32 v[2:3], v[2:3]
	s_delay_alu instid0(VALU_DEP_1) | instskip(NEXT) | instid1(VALU_DEP_1)
	v_ldexp_f64 v[4:5], v[2:3], 0xffffffe0
	v_floor_f64_e32 v[4:5], v[4:5]
	s_delay_alu instid0(VALU_DEP_1) | instskip(SKIP_1) | instid1(VALU_DEP_2)
	v_fmamk_f64 v[2:3], v[4:5], 0xc1f00000, v[2:3]
	v_cvt_i32_f64_e32 v5, v[4:5]
	v_cvt_u32_f64_e32 v4, v[2:3]
	s_branch .LBB198_892
.LBB198_888:
                                        ; implicit-def: $vgpr4_vgpr5
	s_branch .LBB198_909
.LBB198_889:
                                        ; implicit-def: $vgpr4_vgpr5
	s_branch .LBB198_898
.LBB198_890:
	s_mov_b32 s19, -1
                                        ; implicit-def: $vgpr4_vgpr5
	s_branch .LBB198_895
.LBB198_891:
	s_mov_b32 s19, -1
                                        ; implicit-def: $vgpr4_vgpr5
.LBB198_892:
	s_delay_alu instid0(SALU_CYCLE_1)
	s_and_not1_b32 vcc_lo, exec_lo, s19
	s_cbranch_vccnz .LBB198_894
; %bb.893:
	s_wait_loadcnt 0x0
	global_load_b32 v2, v[0:1], off
	s_wait_loadcnt 0x0
	v_trunc_f32_e32 v2, v2
	s_delay_alu instid0(VALU_DEP_1) | instskip(NEXT) | instid1(VALU_DEP_1)
	v_mul_f32_e64 v3, 0x2f800000, |v2|
	v_floor_f32_e32 v3, v3
	s_delay_alu instid0(VALU_DEP_1) | instskip(SKIP_2) | instid1(VALU_DEP_3)
	v_fma_f32 v4, 0xcf800000, v3, |v2|
	v_ashrrev_i32_e32 v2, 31, v2
	v_cvt_u32_f32_e32 v5, v3
	v_cvt_u32_f32_e32 v4, v4
	s_delay_alu instid0(VALU_DEP_2) | instskip(NEXT) | instid1(VALU_DEP_2)
	v_dual_mov_b32 v3, v2 :: v_dual_bitop2_b32 v5, v5, v2 bitop3:0x14
	v_xor_b32_e32 v4, v4, v2
	s_delay_alu instid0(VALU_DEP_1)
	v_sub_nc_u64_e32 v[4:5], v[4:5], v[2:3]
.LBB198_894:
	s_mov_b32 s19, 0
.LBB198_895:
	s_delay_alu instid0(SALU_CYCLE_1)
	s_and_not1_b32 vcc_lo, exec_lo, s19
	s_cbranch_vccnz .LBB198_897
; %bb.896:
	s_wait_loadcnt 0x0
	global_load_b32 v2, v[0:1], off
	s_wait_loadcnt 0x0
	v_cvt_f32_f16_e32 v2, v2
	s_delay_alu instid0(VALU_DEP_1) | instskip(NEXT) | instid1(VALU_DEP_1)
	v_cvt_i32_f32_e32 v4, v2
	v_ashrrev_i32_e32 v5, 31, v4
.LBB198_897:
	s_cbranch_execnz .LBB198_908
.LBB198_898:
	s_sext_i32_i16 s19, s3
	s_delay_alu instid0(SALU_CYCLE_1)
	s_cmp_lt_i32 s19, 6
	s_cbranch_scc1 .LBB198_901
; %bb.899:
	s_cmp_gt_i32 s19, 6
	s_cbranch_scc0 .LBB198_902
; %bb.900:
	s_wait_loadcnt 0x0
	global_load_b64 v[2:3], v[0:1], off
	s_mov_b32 s19, 0
	s_wait_loadcnt 0x0
	v_trunc_f64_e32 v[2:3], v[2:3]
	s_delay_alu instid0(VALU_DEP_1) | instskip(NEXT) | instid1(VALU_DEP_1)
	v_ldexp_f64 v[4:5], v[2:3], 0xffffffe0
	v_floor_f64_e32 v[4:5], v[4:5]
	s_delay_alu instid0(VALU_DEP_1) | instskip(SKIP_1) | instid1(VALU_DEP_2)
	v_fmamk_f64 v[2:3], v[4:5], 0xc1f00000, v[2:3]
	v_cvt_i32_f64_e32 v5, v[4:5]
	v_cvt_u32_f64_e32 v4, v[2:3]
	s_branch .LBB198_903
.LBB198_901:
	s_mov_b32 s19, -1
                                        ; implicit-def: $vgpr4_vgpr5
	s_branch .LBB198_906
.LBB198_902:
	s_mov_b32 s19, -1
                                        ; implicit-def: $vgpr4_vgpr5
.LBB198_903:
	s_delay_alu instid0(SALU_CYCLE_1)
	s_and_not1_b32 vcc_lo, exec_lo, s19
	s_cbranch_vccnz .LBB198_905
; %bb.904:
	s_wait_loadcnt 0x0
	global_load_b32 v2, v[0:1], off
	s_wait_loadcnt 0x0
	v_trunc_f32_e32 v2, v2
	s_delay_alu instid0(VALU_DEP_1) | instskip(NEXT) | instid1(VALU_DEP_1)
	v_mul_f32_e64 v3, 0x2f800000, |v2|
	v_floor_f32_e32 v3, v3
	s_delay_alu instid0(VALU_DEP_1) | instskip(SKIP_2) | instid1(VALU_DEP_3)
	v_fma_f32 v4, 0xcf800000, v3, |v2|
	v_ashrrev_i32_e32 v2, 31, v2
	v_cvt_u32_f32_e32 v5, v3
	v_cvt_u32_f32_e32 v4, v4
	s_delay_alu instid0(VALU_DEP_2) | instskip(NEXT) | instid1(VALU_DEP_2)
	v_dual_mov_b32 v3, v2 :: v_dual_bitop2_b32 v5, v5, v2 bitop3:0x14
	v_xor_b32_e32 v4, v4, v2
	s_delay_alu instid0(VALU_DEP_1)
	v_sub_nc_u64_e32 v[4:5], v[4:5], v[2:3]
.LBB198_905:
	s_mov_b32 s19, 0
.LBB198_906:
	s_delay_alu instid0(SALU_CYCLE_1)
	s_and_not1_b32 vcc_lo, exec_lo, s19
	s_cbranch_vccnz .LBB198_908
; %bb.907:
	s_wait_loadcnt 0x0
	global_load_u16 v2, v[0:1], off
	s_wait_loadcnt 0x0
	v_cvt_f32_f16_e32 v2, v2
	s_delay_alu instid0(VALU_DEP_1) | instskip(NEXT) | instid1(VALU_DEP_1)
	v_cvt_i32_f32_e32 v4, v2
	v_ashrrev_i32_e32 v5, 31, v4
.LBB198_908:
	s_cbranch_execnz .LBB198_927
.LBB198_909:
	s_sext_i32_i16 s19, s3
	s_delay_alu instid0(SALU_CYCLE_1)
	s_cmp_lt_i32 s19, 2
	s_cbranch_scc1 .LBB198_913
; %bb.910:
	s_cmp_lt_i32 s19, 3
	s_cbranch_scc1 .LBB198_914
; %bb.911:
	s_cmp_gt_i32 s19, 3
	s_cbranch_scc0 .LBB198_915
; %bb.912:
	s_wait_loadcnt 0x0
	global_load_b64 v[4:5], v[0:1], off
	s_mov_b32 s19, 0
	s_branch .LBB198_916
.LBB198_913:
                                        ; implicit-def: $vgpr4_vgpr5
	s_branch .LBB198_922
.LBB198_914:
	s_mov_b32 s19, -1
                                        ; implicit-def: $vgpr4_vgpr5
	s_branch .LBB198_919
.LBB198_915:
	s_mov_b32 s19, -1
                                        ; implicit-def: $vgpr4_vgpr5
.LBB198_916:
	s_delay_alu instid0(SALU_CYCLE_1)
	s_and_not1_b32 vcc_lo, exec_lo, s19
	s_cbranch_vccnz .LBB198_918
; %bb.917:
	s_wait_loadcnt 0x0
	global_load_b32 v4, v[0:1], off
	s_wait_loadcnt 0x0
	v_ashrrev_i32_e32 v5, 31, v4
.LBB198_918:
	s_mov_b32 s19, 0
.LBB198_919:
	s_delay_alu instid0(SALU_CYCLE_1)
	s_and_not1_b32 vcc_lo, exec_lo, s19
	s_cbranch_vccnz .LBB198_921
; %bb.920:
	s_wait_loadcnt 0x0
	global_load_u16 v2, v[0:1], off
	s_wait_loadcnt 0x0
	v_bfe_i32 v4, v2, 0, 16
	s_delay_alu instid0(VALU_DEP_1)
	v_ashrrev_i32_e32 v5, 31, v4
.LBB198_921:
	s_cbranch_execnz .LBB198_927
.LBB198_922:
	s_sext_i32_i16 s19, s3
	s_delay_alu instid0(SALU_CYCLE_1)
	s_cmp_gt_i32 s19, 0
	s_mov_b32 s19, 0
	s_cbranch_scc0 .LBB198_924
; %bb.923:
	s_wait_loadcnt 0x0
	global_load_i8 v2, v[0:1], off
	s_wait_loadcnt 0x0
	v_bfe_i32 v4, v2, 0, 16
	s_delay_alu instid0(VALU_DEP_1)
	v_ashrrev_i32_e32 v5, 31, v4
	s_branch .LBB198_925
.LBB198_924:
	s_mov_b32 s19, -1
                                        ; implicit-def: $vgpr4_vgpr5
.LBB198_925:
	s_delay_alu instid0(SALU_CYCLE_1)
	s_and_not1_b32 vcc_lo, exec_lo, s19
	s_cbranch_vccnz .LBB198_927
; %bb.926:
	global_load_u8 v0, v[0:1], off
	s_mov_b32 s19, 0
	s_wait_loadcnt 0x1
	v_mov_b32_e32 v5, s19
	s_wait_loadcnt 0x0
	v_and_b32_e32 v4, 0xffff, v0
.LBB198_927:
	s_or_b32 s0, s0, exec_lo
.LBB198_928:
	s_wait_xcnt 0x0
	s_or_b32 exec_lo, exec_lo, s18
	s_mov_b32 s21, 0
	s_mov_b32 s20, 0
                                        ; implicit-def: $sgpr18
                                        ; implicit-def: $vgpr2_vgpr3
                                        ; implicit-def: $vgpr0_vgpr1
	s_and_saveexec_b32 s19, s0
	s_cbranch_execz .LBB198_932
; %bb.929:
	s_cmp_lt_i32 s14, 1
	s_mov_b32 s0, 0
	s_cbranch_scc1 .LBB198_935
; %bb.930:
	s_cmp_eq_u32 s14, 1
	s_cbranch_scc0 .LBB198_949
; %bb.931:
	s_wait_loadcnt 0x0
	s_delay_alu instid0(VALU_DEP_1)
	v_min_i64 v[0:1], v[4:5], s[8:9]
	s_mov_b32 s18, 0
	s_and_b32 vcc_lo, exec_lo, s20
	s_cbranch_vccnz .LBB198_936
	s_branch .LBB198_937
.LBB198_932:
	s_or_b32 exec_lo, exec_lo, s19
	s_and_saveexec_b32 s0, s16
	s_cbranch_execnz .LBB198_1019
.LBB198_933:
	s_or_b32 exec_lo, exec_lo, s0
	s_and_saveexec_b32 s0, s21
	s_delay_alu instid0(SALU_CYCLE_1)
	s_xor_b32 s0, exec_lo, s0
	s_cbranch_execz .LBB198_1020
.LBB198_934:
	s_delay_alu instid0(VALU_DEP_4)
	v_cmp_ne_u64_e32 vcc_lo, 0, v[0:1]
	s_wait_loadcnt 0x0
	v_cndmask_b32_e64 v4, 0, 1, vcc_lo
	global_store_b8 v[2:3], v4, off
	s_wait_xcnt 0x0
	s_or_b32 exec_lo, exec_lo, s0
	s_and_saveexec_b32 s0, s20
	s_delay_alu instid0(SALU_CYCLE_1)
	s_xor_b32 s0, exec_lo, s0
	s_cbranch_execz .LBB198_1058
	s_branch .LBB198_1021
.LBB198_935:
	s_mov_b32 s18, 0
                                        ; implicit-def: $vgpr0_vgpr1
	s_cbranch_execz .LBB198_937
.LBB198_936:
	s_cmp_lg_u32 s14, 0
	s_mov_b32 s0, -1
	s_cselect_b32 s18, -1, 0
.LBB198_937:
	s_wait_loadcnt 0x0
	s_delay_alu instid0(VALU_DEP_1)
	v_max_i64 v[2:3], v[4:5], s[8:9]
	s_and_not1_b32 vcc_lo, exec_lo, s18
	s_cbranch_vccnz .LBB198_939
; %bb.938:
	v_max_i64 v[0:1], v[4:5], s[8:9]
	s_delay_alu instid0(VALU_DEP_1)
	v_min_i64 v[0:1], v[0:1], s[10:11]
	s_cbranch_execz .LBB198_940
	s_branch .LBB198_941
.LBB198_939:
	s_and_not1_b32 vcc_lo, exec_lo, s0
	s_cbranch_vccnz .LBB198_941
.LBB198_940:
	s_delay_alu instid0(VALU_DEP_1)
	v_mov_b64_e32 v[0:1], v[2:3]
.LBB198_941:
	v_mul_lo_u32 v2, v12, s12
	s_and_b32 s18, s2, 0xff
	s_delay_alu instid0(SALU_CYCLE_1) | instskip(NEXT) | instid1(VALU_DEP_1)
	s_cmp_lt_i32 s18, 11
	v_ashrrev_i32_e32 v3, 31, v2
	s_delay_alu instid0(VALU_DEP_1)
	v_add_nc_u64_e32 v[2:3], s[4:5], v[2:3]
	s_cbranch_scc1 .LBB198_948
; %bb.942:
	s_and_b32 s20, 0xffff, s18
	s_mov_b32 s21, -1
	s_cmp_gt_i32 s20, 25
	s_mov_b32 s0, s16
	s_cbranch_scc0 .LBB198_977
; %bb.943:
	s_cmp_gt_i32 s20, 28
	s_mov_b32 s0, s16
	s_cbranch_scc0 .LBB198_961
; %bb.944:
	;; [unrolled: 4-line block ×4, first 2 shown]
	s_cmp_eq_u32 s20, 46
	s_mov_b32 s0, -1
	s_cbranch_scc0 .LBB198_950
; %bb.947:
	s_delay_alu instid0(VALU_DEP_4) | instskip(SKIP_3) | instid1(VALU_DEP_2)
	v_xor_b32_e32 v4, v0, v1
	v_cls_i32_e32 v5, v1
	s_mov_b32 s0, 0
	s_mov_b32 s21, 0
	v_ashrrev_i32_e32 v4, 31, v4
	s_delay_alu instid0(VALU_DEP_1) | instskip(NEXT) | instid1(VALU_DEP_1)
	v_add_nc_u32_e32 v4, 32, v4
	v_add_min_u32_e64 v6, v5, -1, v4
	s_delay_alu instid0(VALU_DEP_1) | instskip(NEXT) | instid1(VALU_DEP_1)
	v_lshlrev_b64_e32 v[4:5], v6, v[0:1]
	v_min_u32_e32 v4, 1, v4
	s_delay_alu instid0(VALU_DEP_1) | instskip(NEXT) | instid1(VALU_DEP_1)
	v_dual_sub_nc_u32 v5, 32, v6 :: v_dual_bitop2_b32 v4, v5, v4 bitop3:0x54
	v_cvt_f32_i32_e32 v4, v4
	s_delay_alu instid0(VALU_DEP_1) | instskip(NEXT) | instid1(VALU_DEP_1)
	v_ldexp_f32 v4, v4, v5
	v_bfe_u32 v5, v4, 16, 1
	s_delay_alu instid0(VALU_DEP_1) | instskip(NEXT) | instid1(VALU_DEP_1)
	v_add3_u32 v4, v4, v5, 0x7fff
	v_lshrrev_b32_e32 v4, 16, v4
	global_store_b32 v[2:3], v4, off
	s_branch .LBB198_951
.LBB198_948:
	s_mov_b32 s22, 0
	s_mov_b32 s21, -1
	s_mov_b32 s0, s16
	s_branch .LBB198_1018
.LBB198_949:
	s_mov_b32 s18, -1
                                        ; implicit-def: $vgpr0_vgpr1
	s_and_b32 vcc_lo, exec_lo, s20
	s_cbranch_vccnz .LBB198_936
	s_branch .LBB198_937
.LBB198_950:
	s_mov_b32 s21, 0
.LBB198_951:
	s_delay_alu instid0(SALU_CYCLE_1)
	s_and_b32 vcc_lo, exec_lo, s21
	s_cbranch_vccz .LBB198_956
; %bb.952:
	s_cmp_eq_u32 s20, 44
	s_mov_b32 s0, -1
	s_cbranch_scc0 .LBB198_956
; %bb.953:
	s_wait_xcnt 0x0
	s_delay_alu instid0(VALU_DEP_4) | instskip(SKIP_2) | instid1(VALU_DEP_2)
	v_xor_b32_e32 v4, v0, v1
	v_cls_i32_e32 v5, v1
	s_mov_b32 s21, exec_lo
	v_ashrrev_i32_e32 v4, 31, v4
	s_delay_alu instid0(VALU_DEP_1) | instskip(NEXT) | instid1(VALU_DEP_1)
	v_add_nc_u32_e32 v4, 32, v4
	v_add_min_u32_e64 v6, v5, -1, v4
	s_delay_alu instid0(VALU_DEP_1) | instskip(NEXT) | instid1(VALU_DEP_1)
	v_lshlrev_b64_e32 v[4:5], v6, v[0:1]
	v_min_u32_e32 v4, 1, v4
	s_delay_alu instid0(VALU_DEP_1) | instskip(NEXT) | instid1(VALU_DEP_1)
	v_dual_sub_nc_u32 v5, 32, v6 :: v_dual_bitop2_b32 v4, v5, v4 bitop3:0x54
	v_cvt_f32_i32_e32 v4, v4
	s_delay_alu instid0(VALU_DEP_1) | instskip(SKIP_1) | instid1(VALU_DEP_2)
	v_ldexp_f32 v4, v4, v5
	v_mov_b32_e32 v5, 0xff
	v_bfe_u32 v6, v4, 23, 8
	s_delay_alu instid0(VALU_DEP_1)
	v_cmpx_ne_u32_e32 0xff, v6
	s_cbranch_execz .LBB198_955
; %bb.954:
	v_and_b32_e32 v5, 0x400000, v4
	v_and_or_b32 v6, 0x3fffff, v4, v6
	v_lshrrev_b32_e32 v4, 23, v4
	s_delay_alu instid0(VALU_DEP_3) | instskip(NEXT) | instid1(VALU_DEP_3)
	v_cmp_ne_u32_e32 vcc_lo, 0, v5
	v_cmp_ne_u32_e64 s0, 0, v6
	s_and_b32 s0, vcc_lo, s0
	s_delay_alu instid0(SALU_CYCLE_1) | instskip(NEXT) | instid1(VALU_DEP_1)
	v_cndmask_b32_e64 v5, 0, 1, s0
	v_add_nc_u32_e32 v5, v4, v5
.LBB198_955:
	s_or_b32 exec_lo, exec_lo, s21
	s_mov_b32 s0, 0
	global_store_b8 v[2:3], v5, off
.LBB198_956:
	s_mov_b32 s21, 0
.LBB198_957:
	s_delay_alu instid0(SALU_CYCLE_1)
	s_and_b32 vcc_lo, exec_lo, s21
	s_cbranch_vccz .LBB198_960
; %bb.958:
	s_cmp_eq_u32 s20, 29
	s_mov_b32 s0, -1
	s_cbranch_scc0 .LBB198_960
; %bb.959:
	s_mov_b32 s0, 0
	global_store_b64 v[2:3], v[0:1], off
.LBB198_960:
	s_mov_b32 s21, 0
.LBB198_961:
	s_delay_alu instid0(SALU_CYCLE_1)
	s_and_b32 vcc_lo, exec_lo, s21
	s_cbranch_vccz .LBB198_976
; %bb.962:
	s_cmp_lt_i32 s20, 27
	s_mov_b32 s21, -1
	s_cbranch_scc1 .LBB198_968
; %bb.963:
	s_cmp_gt_i32 s20, 27
	s_cbranch_scc0 .LBB198_965
; %bb.964:
	s_mov_b32 s21, 0
	global_store_b32 v[2:3], v0, off
.LBB198_965:
	s_and_not1_b32 vcc_lo, exec_lo, s21
	s_cbranch_vccnz .LBB198_967
; %bb.966:
	global_store_b16 v[2:3], v0, off
.LBB198_967:
	s_mov_b32 s21, 0
.LBB198_968:
	s_delay_alu instid0(SALU_CYCLE_1)
	s_and_not1_b32 vcc_lo, exec_lo, s21
	s_cbranch_vccnz .LBB198_976
; %bb.969:
	s_wait_xcnt 0x0
	s_delay_alu instid0(VALU_DEP_4) | instskip(SKIP_2) | instid1(VALU_DEP_2)
	v_xor_b32_e32 v4, v0, v1
	v_cls_i32_e32 v5, v1
	s_mov_b32 s21, exec_lo
	v_ashrrev_i32_e32 v4, 31, v4
	s_delay_alu instid0(VALU_DEP_1) | instskip(NEXT) | instid1(VALU_DEP_1)
	v_add_nc_u32_e32 v4, 32, v4
	v_add_min_u32_e64 v6, v5, -1, v4
	s_delay_alu instid0(VALU_DEP_1) | instskip(NEXT) | instid1(VALU_DEP_1)
	v_lshlrev_b64_e32 v[4:5], v6, v[0:1]
	v_min_u32_e32 v4, 1, v4
	s_delay_alu instid0(VALU_DEP_1) | instskip(SKIP_1) | instid1(VALU_DEP_2)
	v_dual_sub_nc_u32 v5, 32, v6 :: v_dual_bitop2_b32 v4, v5, v4 bitop3:0x54
	v_mov_b32_e32 v6, 0x80
	v_cvt_f32_i32_e32 v4, v4
	s_delay_alu instid0(VALU_DEP_1) | instskip(NEXT) | instid1(VALU_DEP_1)
	v_ldexp_f32 v4, v4, v5
	v_and_b32_e32 v5, 0x7fffffff, v4
	s_delay_alu instid0(VALU_DEP_1)
	v_cmpx_gt_u32_e32 0x43800000, v5
	s_cbranch_execz .LBB198_975
; %bb.970:
	v_cmp_lt_u32_e32 vcc_lo, 0x3bffffff, v5
	s_mov_b32 s22, 0
                                        ; implicit-def: $vgpr5
	s_and_saveexec_b32 s23, vcc_lo
	s_delay_alu instid0(SALU_CYCLE_1)
	s_xor_b32 s23, exec_lo, s23
	s_cbranch_execz .LBB198_1073
; %bb.971:
	v_bfe_u32 v5, v4, 20, 1
	s_mov_b32 s22, exec_lo
	s_delay_alu instid0(VALU_DEP_1) | instskip(NEXT) | instid1(VALU_DEP_1)
	v_add3_u32 v5, v4, v5, 0x487ffff
	v_lshrrev_b32_e32 v5, 20, v5
	s_and_not1_saveexec_b32 s23, s23
	s_cbranch_execnz .LBB198_1074
.LBB198_972:
	s_or_b32 exec_lo, exec_lo, s23
	v_mov_b32_e32 v6, 0
	s_and_saveexec_b32 s23, s22
.LBB198_973:
	v_lshrrev_b32_e32 v4, 24, v4
	s_delay_alu instid0(VALU_DEP_1)
	v_and_or_b32 v6, 0x80, v4, v5
.LBB198_974:
	s_or_b32 exec_lo, exec_lo, s23
.LBB198_975:
	s_delay_alu instid0(SALU_CYCLE_1)
	s_or_b32 exec_lo, exec_lo, s21
	global_store_b8 v[2:3], v6, off
.LBB198_976:
	s_mov_b32 s21, 0
.LBB198_977:
	s_delay_alu instid0(SALU_CYCLE_1)
	s_and_b32 vcc_lo, exec_lo, s21
	s_mov_b32 s21, 0
	s_cbranch_vccz .LBB198_1017
; %bb.978:
	s_cmp_gt_i32 s20, 22
	s_mov_b32 s22, -1
	s_cbranch_scc0 .LBB198_1010
; %bb.979:
	s_cmp_lt_i32 s20, 24
	s_cbranch_scc1 .LBB198_999
; %bb.980:
	s_cmp_gt_i32 s20, 24
	s_cbranch_scc0 .LBB198_988
; %bb.981:
	s_wait_xcnt 0x0
	s_delay_alu instid0(VALU_DEP_4) | instskip(SKIP_2) | instid1(VALU_DEP_2)
	v_xor_b32_e32 v4, v0, v1
	v_cls_i32_e32 v5, v1
	s_mov_b32 s22, exec_lo
	v_ashrrev_i32_e32 v4, 31, v4
	s_delay_alu instid0(VALU_DEP_1) | instskip(NEXT) | instid1(VALU_DEP_1)
	v_add_nc_u32_e32 v4, 32, v4
	v_add_min_u32_e64 v6, v5, -1, v4
	s_delay_alu instid0(VALU_DEP_1) | instskip(NEXT) | instid1(VALU_DEP_1)
	v_lshlrev_b64_e32 v[4:5], v6, v[0:1]
	v_min_u32_e32 v4, 1, v4
	s_delay_alu instid0(VALU_DEP_1) | instskip(SKIP_1) | instid1(VALU_DEP_2)
	v_dual_sub_nc_u32 v5, 32, v6 :: v_dual_bitop2_b32 v4, v5, v4 bitop3:0x54
	v_mov_b32_e32 v6, 0x80
	v_cvt_f32_i32_e32 v4, v4
	s_delay_alu instid0(VALU_DEP_1) | instskip(NEXT) | instid1(VALU_DEP_1)
	v_ldexp_f32 v4, v4, v5
	v_and_b32_e32 v5, 0x7fffffff, v4
	s_delay_alu instid0(VALU_DEP_1)
	v_cmpx_gt_u32_e32 0x47800000, v5
	s_cbranch_execz .LBB198_987
; %bb.982:
	v_cmp_lt_u32_e32 vcc_lo, 0x37ffffff, v5
	s_mov_b32 s23, 0
                                        ; implicit-def: $vgpr5
	s_and_saveexec_b32 s24, vcc_lo
	s_delay_alu instid0(SALU_CYCLE_1)
	s_xor_b32 s24, exec_lo, s24
	s_cbranch_execz .LBB198_1204
; %bb.983:
	v_bfe_u32 v5, v4, 21, 1
	s_mov_b32 s23, exec_lo
	s_delay_alu instid0(VALU_DEP_1) | instskip(NEXT) | instid1(VALU_DEP_1)
	v_add3_u32 v5, v4, v5, 0x88fffff
	v_lshrrev_b32_e32 v5, 21, v5
	s_and_not1_saveexec_b32 s24, s24
	s_cbranch_execnz .LBB198_1205
.LBB198_984:
	s_or_b32 exec_lo, exec_lo, s24
	v_mov_b32_e32 v6, 0
	s_and_saveexec_b32 s24, s23
.LBB198_985:
	v_lshrrev_b32_e32 v4, 24, v4
	s_delay_alu instid0(VALU_DEP_1)
	v_and_or_b32 v6, 0x80, v4, v5
.LBB198_986:
	s_or_b32 exec_lo, exec_lo, s24
.LBB198_987:
	s_delay_alu instid0(SALU_CYCLE_1)
	s_or_b32 exec_lo, exec_lo, s22
	s_mov_b32 s22, 0
	global_store_b8 v[2:3], v6, off
.LBB198_988:
	s_and_b32 vcc_lo, exec_lo, s22
	s_cbranch_vccz .LBB198_998
; %bb.989:
	s_wait_xcnt 0x0
	s_delay_alu instid0(VALU_DEP_4) | instskip(SKIP_2) | instid1(VALU_DEP_2)
	v_xor_b32_e32 v4, v0, v1
	v_cls_i32_e32 v5, v1
	s_mov_b32 s22, exec_lo
	v_ashrrev_i32_e32 v4, 31, v4
	s_delay_alu instid0(VALU_DEP_1) | instskip(NEXT) | instid1(VALU_DEP_1)
	v_add_nc_u32_e32 v4, 32, v4
	v_add_min_u32_e64 v6, v5, -1, v4
	s_delay_alu instid0(VALU_DEP_1) | instskip(NEXT) | instid1(VALU_DEP_1)
	v_lshlrev_b64_e32 v[4:5], v6, v[0:1]
	v_min_u32_e32 v4, 1, v4
	s_delay_alu instid0(VALU_DEP_1) | instskip(NEXT) | instid1(VALU_DEP_1)
	v_dual_sub_nc_u32 v5, 32, v6 :: v_dual_bitop2_b32 v4, v5, v4 bitop3:0x54
	v_cvt_f32_i32_e32 v4, v4
	s_delay_alu instid0(VALU_DEP_1) | instskip(NEXT) | instid1(VALU_DEP_1)
	v_ldexp_f32 v4, v4, v5
                                        ; implicit-def: $vgpr5
	v_and_b32_e32 v6, 0x7fffffff, v4
	s_delay_alu instid0(VALU_DEP_1)
	v_cmpx_gt_u32_e32 0x43f00000, v6
	s_xor_b32 s22, exec_lo, s22
	s_cbranch_execz .LBB198_995
; %bb.990:
	s_mov_b32 s23, exec_lo
                                        ; implicit-def: $vgpr5
	v_cmpx_lt_u32_e32 0x3c7fffff, v6
	s_xor_b32 s23, exec_lo, s23
; %bb.991:
	v_bfe_u32 v5, v4, 20, 1
	s_delay_alu instid0(VALU_DEP_1) | instskip(NEXT) | instid1(VALU_DEP_1)
	v_add3_u32 v5, v4, v5, 0x407ffff
	v_and_b32_e32 v6, 0xff00000, v5
	v_lshrrev_b32_e32 v5, 20, v5
	s_delay_alu instid0(VALU_DEP_2) | instskip(NEXT) | instid1(VALU_DEP_2)
	v_cmp_ne_u32_e32 vcc_lo, 0x7f00000, v6
	v_cndmask_b32_e32 v5, 0x7e, v5, vcc_lo
; %bb.992:
	s_and_not1_saveexec_b32 s23, s23
; %bb.993:
	v_add_f32_e64 v5, 0x46800000, |v4|
; %bb.994:
	s_or_b32 exec_lo, exec_lo, s23
                                        ; implicit-def: $vgpr6
.LBB198_995:
	s_and_not1_saveexec_b32 s22, s22
; %bb.996:
	v_mov_b32_e32 v5, 0x7f
	v_cmp_lt_u32_e32 vcc_lo, 0x7f800000, v6
	s_delay_alu instid0(VALU_DEP_2)
	v_cndmask_b32_e32 v5, 0x7e, v5, vcc_lo
; %bb.997:
	s_or_b32 exec_lo, exec_lo, s22
	v_lshrrev_b32_e32 v4, 24, v4
	s_delay_alu instid0(VALU_DEP_1)
	v_and_or_b32 v4, 0x80, v4, v5
	global_store_b8 v[2:3], v4, off
.LBB198_998:
	s_mov_b32 s22, 0
.LBB198_999:
	s_delay_alu instid0(SALU_CYCLE_1)
	s_and_not1_b32 vcc_lo, exec_lo, s22
	s_cbranch_vccnz .LBB198_1009
; %bb.1000:
	s_wait_xcnt 0x0
	s_delay_alu instid0(VALU_DEP_4) | instskip(SKIP_2) | instid1(VALU_DEP_2)
	v_xor_b32_e32 v4, v0, v1
	v_cls_i32_e32 v5, v1
	s_mov_b32 s22, exec_lo
	v_ashrrev_i32_e32 v4, 31, v4
	s_delay_alu instid0(VALU_DEP_1) | instskip(NEXT) | instid1(VALU_DEP_1)
	v_add_nc_u32_e32 v4, 32, v4
	v_add_min_u32_e64 v6, v5, -1, v4
	s_delay_alu instid0(VALU_DEP_1) | instskip(NEXT) | instid1(VALU_DEP_1)
	v_lshlrev_b64_e32 v[4:5], v6, v[0:1]
	v_min_u32_e32 v4, 1, v4
	s_delay_alu instid0(VALU_DEP_1) | instskip(NEXT) | instid1(VALU_DEP_1)
	v_dual_sub_nc_u32 v5, 32, v6 :: v_dual_bitop2_b32 v4, v5, v4 bitop3:0x54
	v_cvt_f32_i32_e32 v4, v4
	s_delay_alu instid0(VALU_DEP_1) | instskip(NEXT) | instid1(VALU_DEP_1)
	v_ldexp_f32 v4, v4, v5
                                        ; implicit-def: $vgpr5
	v_and_b32_e32 v6, 0x7fffffff, v4
	s_delay_alu instid0(VALU_DEP_1)
	v_cmpx_gt_u32_e32 0x47800000, v6
	s_xor_b32 s22, exec_lo, s22
	s_cbranch_execz .LBB198_1006
; %bb.1001:
	s_mov_b32 s23, exec_lo
                                        ; implicit-def: $vgpr5
	v_cmpx_lt_u32_e32 0x387fffff, v6
	s_xor_b32 s23, exec_lo, s23
; %bb.1002:
	v_bfe_u32 v5, v4, 21, 1
	s_delay_alu instid0(VALU_DEP_1) | instskip(NEXT) | instid1(VALU_DEP_1)
	v_add3_u32 v5, v4, v5, 0x80fffff
	v_lshrrev_b32_e32 v5, 21, v5
; %bb.1003:
	s_and_not1_saveexec_b32 s23, s23
; %bb.1004:
	v_add_f32_e64 v5, 0x43000000, |v4|
; %bb.1005:
	s_or_b32 exec_lo, exec_lo, s23
                                        ; implicit-def: $vgpr6
.LBB198_1006:
	s_and_not1_saveexec_b32 s22, s22
; %bb.1007:
	v_mov_b32_e32 v5, 0x7f
	v_cmp_lt_u32_e32 vcc_lo, 0x7f800000, v6
	s_delay_alu instid0(VALU_DEP_2)
	v_cndmask_b32_e32 v5, 0x7c, v5, vcc_lo
; %bb.1008:
	s_or_b32 exec_lo, exec_lo, s22
	v_lshrrev_b32_e32 v4, 24, v4
	s_delay_alu instid0(VALU_DEP_1)
	v_and_or_b32 v4, 0x80, v4, v5
	global_store_b8 v[2:3], v4, off
.LBB198_1009:
	s_mov_b32 s22, 0
.LBB198_1010:
	s_delay_alu instid0(SALU_CYCLE_1)
	s_and_not1_b32 vcc_lo, exec_lo, s22
	s_mov_b32 s22, 0
	s_cbranch_vccnz .LBB198_1018
; %bb.1011:
	s_cmp_gt_i32 s20, 14
	s_mov_b32 s22, -1
	s_cbranch_scc0 .LBB198_1015
; %bb.1012:
	s_cmp_eq_u32 s20, 15
	s_mov_b32 s0, -1
	s_cbranch_scc0 .LBB198_1014
; %bb.1013:
	s_wait_xcnt 0x0
	s_delay_alu instid0(VALU_DEP_4) | instskip(SKIP_2) | instid1(VALU_DEP_2)
	v_xor_b32_e32 v4, v0, v1
	v_cls_i32_e32 v5, v1
	s_mov_b32 s0, 0
	v_ashrrev_i32_e32 v4, 31, v4
	s_delay_alu instid0(VALU_DEP_1) | instskip(NEXT) | instid1(VALU_DEP_1)
	v_add_nc_u32_e32 v4, 32, v4
	v_add_min_u32_e64 v6, v5, -1, v4
	s_delay_alu instid0(VALU_DEP_1) | instskip(NEXT) | instid1(VALU_DEP_1)
	v_lshlrev_b64_e32 v[4:5], v6, v[0:1]
	v_min_u32_e32 v4, 1, v4
	s_delay_alu instid0(VALU_DEP_1) | instskip(NEXT) | instid1(VALU_DEP_1)
	v_dual_sub_nc_u32 v5, 32, v6 :: v_dual_bitop2_b32 v4, v5, v4 bitop3:0x54
	v_cvt_f32_i32_e32 v4, v4
	s_delay_alu instid0(VALU_DEP_1) | instskip(NEXT) | instid1(VALU_DEP_1)
	v_ldexp_f32 v4, v4, v5
	v_bfe_u32 v5, v4, 16, 1
	s_delay_alu instid0(VALU_DEP_1)
	v_add3_u32 v4, v4, v5, 0x7fff
	global_store_d16_hi_b16 v[2:3], v4, off
.LBB198_1014:
	s_mov_b32 s22, 0
.LBB198_1015:
	s_delay_alu instid0(SALU_CYCLE_1)
	s_and_b32 vcc_lo, exec_lo, s22
	s_mov_b32 s22, 0
	s_cbranch_vccz .LBB198_1018
; %bb.1016:
	s_cmp_lg_u32 s20, 11
	s_mov_b32 s22, -1
	s_cselect_b32 s20, -1, 0
	s_and_not1_b32 s0, s0, exec_lo
	s_and_b32 s20, s20, exec_lo
	s_delay_alu instid0(SALU_CYCLE_1)
	s_or_b32 s0, s0, s20
	s_branch .LBB198_1018
.LBB198_1017:
	s_mov_b32 s22, 0
.LBB198_1018:
	s_and_not1_b32 s16, s16, exec_lo
	s_and_b32 s0, s0, exec_lo
	s_and_b32 s20, s21, exec_lo
	;; [unrolled: 1-line block ×3, first 2 shown]
	s_or_b32 s16, s16, s0
	s_wait_xcnt 0x0
	s_or_b32 exec_lo, exec_lo, s19
	s_and_saveexec_b32 s0, s16
	s_cbranch_execz .LBB198_933
.LBB198_1019:
	s_or_b32 s17, s17, exec_lo
	s_and_not1_b32 s21, s21, exec_lo
	s_trap 2
	s_or_b32 exec_lo, exec_lo, s0
	s_and_saveexec_b32 s0, s21
	s_delay_alu instid0(SALU_CYCLE_1)
	s_xor_b32 s0, exec_lo, s0
	s_cbranch_execnz .LBB198_934
.LBB198_1020:
	s_or_b32 exec_lo, exec_lo, s0
	s_and_saveexec_b32 s0, s20
	s_delay_alu instid0(SALU_CYCLE_1)
	s_xor_b32 s0, exec_lo, s0
	s_cbranch_execz .LBB198_1058
.LBB198_1021:
	s_sext_i32_i16 s19, s18
	s_mov_b32 s16, -1
	s_cmp_lt_i32 s19, 5
	s_cbranch_scc1 .LBB198_1042
; %bb.1022:
	s_cmp_lt_i32 s19, 8
	s_cbranch_scc1 .LBB198_1032
; %bb.1023:
	s_cmp_lt_i32 s19, 9
	s_cbranch_scc1 .LBB198_1029
; %bb.1024:
	s_cmp_gt_i32 s19, 9
	s_cbranch_scc0 .LBB198_1026
; %bb.1025:
	s_wait_loadcnt 0x0
	v_cvt_f64_i32_e32 v[4:5], v1
	v_cvt_f64_u32_e32 v[6:7], v0
	s_mov_b32 s16, 0
	s_delay_alu instid0(VALU_DEP_2) | instskip(NEXT) | instid1(VALU_DEP_1)
	v_ldexp_f64 v[4:5], v[4:5], 32
	v_dual_add_f64 v[4:5], v[4:5], v[6:7] :: v_dual_mov_b32 v6, 0
	s_delay_alu instid0(VALU_DEP_1)
	v_mov_b32_e32 v7, v6
	global_store_b128 v[2:3], v[4:7], off
.LBB198_1026:
	s_and_not1_b32 vcc_lo, exec_lo, s16
	s_cbranch_vccnz .LBB198_1028
; %bb.1027:
	s_wait_loadcnt 0x0
	v_xor_b32_e32 v4, v0, v1
	v_cls_i32_e32 v5, v1
	s_delay_alu instid0(VALU_DEP_2) | instskip(NEXT) | instid1(VALU_DEP_1)
	v_ashrrev_i32_e32 v4, 31, v4
	v_add_nc_u32_e32 v4, 32, v4
	s_delay_alu instid0(VALU_DEP_1) | instskip(NEXT) | instid1(VALU_DEP_1)
	v_add_min_u32_e64 v6, v5, -1, v4
	v_lshlrev_b64_e32 v[4:5], v6, v[0:1]
	s_delay_alu instid0(VALU_DEP_1) | instskip(NEXT) | instid1(VALU_DEP_1)
	v_min_u32_e32 v4, 1, v4
	v_dual_sub_nc_u32 v5, 32, v6 :: v_dual_bitop2_b32 v4, v5, v4 bitop3:0x54
	s_delay_alu instid0(VALU_DEP_1) | instskip(NEXT) | instid1(VALU_DEP_1)
	v_cvt_f32_i32_e32 v4, v4
	v_ldexp_f32 v4, v4, v5
	v_mov_b32_e32 v5, 0
	global_store_b64 v[2:3], v[4:5], off
.LBB198_1028:
	s_mov_b32 s16, 0
.LBB198_1029:
	s_delay_alu instid0(SALU_CYCLE_1)
	s_and_not1_b32 vcc_lo, exec_lo, s16
	s_cbranch_vccnz .LBB198_1031
; %bb.1030:
	s_wait_loadcnt 0x0
	v_xor_b32_e32 v4, v0, v1
	v_cls_i32_e32 v5, v1
	s_delay_alu instid0(VALU_DEP_2) | instskip(NEXT) | instid1(VALU_DEP_1)
	v_ashrrev_i32_e32 v4, 31, v4
	v_add_nc_u32_e32 v4, 32, v4
	s_delay_alu instid0(VALU_DEP_1) | instskip(NEXT) | instid1(VALU_DEP_1)
	v_add_min_u32_e64 v6, v5, -1, v4
	v_lshlrev_b64_e32 v[4:5], v6, v[0:1]
	s_delay_alu instid0(VALU_DEP_1) | instskip(NEXT) | instid1(VALU_DEP_1)
	v_min_u32_e32 v4, 1, v4
	v_dual_sub_nc_u32 v5, 32, v6 :: v_dual_bitop2_b32 v4, v5, v4 bitop3:0x54
	s_delay_alu instid0(VALU_DEP_1) | instskip(NEXT) | instid1(VALU_DEP_1)
	v_cvt_f32_i32_e32 v4, v4
	v_ldexp_f32 v4, v4, v5
	s_delay_alu instid0(VALU_DEP_1) | instskip(NEXT) | instid1(VALU_DEP_1)
	v_cvt_f16_f32_e32 v4, v4
	v_and_b32_e32 v4, 0xffff, v4
	global_store_b32 v[2:3], v4, off
.LBB198_1031:
	s_mov_b32 s16, 0
.LBB198_1032:
	s_delay_alu instid0(SALU_CYCLE_1)
	s_and_not1_b32 vcc_lo, exec_lo, s16
	s_cbranch_vccnz .LBB198_1041
; %bb.1033:
	s_sext_i32_i16 s19, s18
	s_mov_b32 s16, -1
	s_cmp_lt_i32 s19, 6
	s_cbranch_scc1 .LBB198_1039
; %bb.1034:
	s_cmp_gt_i32 s19, 6
	s_cbranch_scc0 .LBB198_1036
; %bb.1035:
	s_wait_loadcnt 0x0
	v_cvt_f64_i32_e32 v[4:5], v1
	v_cvt_f64_u32_e32 v[6:7], v0
	s_mov_b32 s16, 0
	s_delay_alu instid0(VALU_DEP_2) | instskip(NEXT) | instid1(VALU_DEP_1)
	v_ldexp_f64 v[4:5], v[4:5], 32
	v_add_f64_e32 v[4:5], v[4:5], v[6:7]
	global_store_b64 v[2:3], v[4:5], off
.LBB198_1036:
	s_and_not1_b32 vcc_lo, exec_lo, s16
	s_cbranch_vccnz .LBB198_1038
; %bb.1037:
	s_wait_loadcnt 0x0
	v_xor_b32_e32 v4, v0, v1
	v_cls_i32_e32 v5, v1
	s_delay_alu instid0(VALU_DEP_2) | instskip(NEXT) | instid1(VALU_DEP_1)
	v_ashrrev_i32_e32 v4, 31, v4
	v_add_nc_u32_e32 v4, 32, v4
	s_delay_alu instid0(VALU_DEP_1) | instskip(NEXT) | instid1(VALU_DEP_1)
	v_add_min_u32_e64 v6, v5, -1, v4
	v_lshlrev_b64_e32 v[4:5], v6, v[0:1]
	s_delay_alu instid0(VALU_DEP_1) | instskip(NEXT) | instid1(VALU_DEP_1)
	v_min_u32_e32 v4, 1, v4
	v_dual_sub_nc_u32 v5, 32, v6 :: v_dual_bitop2_b32 v4, v5, v4 bitop3:0x54
	s_delay_alu instid0(VALU_DEP_1) | instskip(NEXT) | instid1(VALU_DEP_1)
	v_cvt_f32_i32_e32 v4, v4
	v_ldexp_f32 v4, v4, v5
	global_store_b32 v[2:3], v4, off
.LBB198_1038:
	s_mov_b32 s16, 0
.LBB198_1039:
	s_delay_alu instid0(SALU_CYCLE_1)
	s_and_not1_b32 vcc_lo, exec_lo, s16
	s_cbranch_vccnz .LBB198_1041
; %bb.1040:
	s_wait_loadcnt 0x0
	v_xor_b32_e32 v4, v0, v1
	v_cls_i32_e32 v5, v1
	s_delay_alu instid0(VALU_DEP_2) | instskip(NEXT) | instid1(VALU_DEP_1)
	v_ashrrev_i32_e32 v4, 31, v4
	v_add_nc_u32_e32 v4, 32, v4
	s_delay_alu instid0(VALU_DEP_1) | instskip(NEXT) | instid1(VALU_DEP_1)
	v_add_min_u32_e64 v6, v5, -1, v4
	v_lshlrev_b64_e32 v[4:5], v6, v[0:1]
	s_delay_alu instid0(VALU_DEP_1) | instskip(NEXT) | instid1(VALU_DEP_1)
	v_min_u32_e32 v4, 1, v4
	v_dual_sub_nc_u32 v5, 32, v6 :: v_dual_bitop2_b32 v4, v5, v4 bitop3:0x54
	s_delay_alu instid0(VALU_DEP_1) | instskip(NEXT) | instid1(VALU_DEP_1)
	v_cvt_f32_i32_e32 v4, v4
	v_ldexp_f32 v4, v4, v5
	s_delay_alu instid0(VALU_DEP_1)
	v_cvt_f16_f32_e32 v4, v4
	global_store_b16 v[2:3], v4, off
.LBB198_1041:
	s_mov_b32 s16, 0
.LBB198_1042:
	s_delay_alu instid0(SALU_CYCLE_1)
	s_and_not1_b32 vcc_lo, exec_lo, s16
	s_cbranch_vccnz .LBB198_1058
; %bb.1043:
	s_sext_i32_i16 s19, s18
	s_mov_b32 s16, -1
	s_cmp_lt_i32 s19, 2
	s_cbranch_scc1 .LBB198_1053
; %bb.1044:
	s_cmp_lt_i32 s19, 3
	s_cbranch_scc1 .LBB198_1050
; %bb.1045:
	s_cmp_gt_i32 s19, 3
	s_cbranch_scc0 .LBB198_1047
; %bb.1046:
	s_mov_b32 s16, 0
	s_wait_loadcnt 0x0
	global_store_b64 v[2:3], v[0:1], off
.LBB198_1047:
	s_and_not1_b32 vcc_lo, exec_lo, s16
	s_cbranch_vccnz .LBB198_1049
; %bb.1048:
	s_wait_loadcnt 0x0
	global_store_b32 v[2:3], v0, off
.LBB198_1049:
	s_mov_b32 s16, 0
.LBB198_1050:
	s_delay_alu instid0(SALU_CYCLE_1)
	s_and_not1_b32 vcc_lo, exec_lo, s16
	s_cbranch_vccnz .LBB198_1052
; %bb.1051:
	s_wait_loadcnt 0x0
	global_store_b16 v[2:3], v0, off
.LBB198_1052:
	s_mov_b32 s16, 0
.LBB198_1053:
	s_delay_alu instid0(SALU_CYCLE_1)
	s_and_not1_b32 vcc_lo, exec_lo, s16
	s_cbranch_vccnz .LBB198_1058
; %bb.1054:
	s_sext_i32_i16 s16, s18
	s_delay_alu instid0(SALU_CYCLE_1)
	s_cmp_gt_i32 s16, 0
	s_mov_b32 s16, -1
	s_cbranch_scc0 .LBB198_1056
; %bb.1055:
	s_mov_b32 s16, 0
	s_wait_loadcnt 0x0
	global_store_b8 v[2:3], v0, off
.LBB198_1056:
	s_and_not1_b32 vcc_lo, exec_lo, s16
	s_cbranch_vccnz .LBB198_1058
; %bb.1057:
	s_wait_loadcnt 0x0
	global_store_b8 v[2:3], v0, off
.LBB198_1058:
	s_wait_xcnt 0x0
	s_or_b32 exec_lo, exec_lo, s0
	s_delay_alu instid0(SALU_CYCLE_1)
	s_and_b32 s16, s17, exec_lo
                                        ; implicit-def: $vgpr12
.LBB198_1059:
	s_or_saveexec_b32 s15, s15
	s_mov_b32 s0, 0
                                        ; implicit-def: $sgpr17
                                        ; implicit-def: $vgpr0_vgpr1
                                        ; implicit-def: $vgpr4_vgpr5
	s_xor_b32 exec_lo, exec_lo, s15
	s_cbranch_execz .LBB198_1596
; %bb.1060:
	s_wait_loadcnt 0x0
	v_mul_lo_u32 v2, s13, v12
	s_and_b32 s0, 0xffff, s3
	s_delay_alu instid0(SALU_CYCLE_1) | instskip(NEXT) | instid1(VALU_DEP_1)
	s_cmp_lt_i32 s0, 11
	v_ashrrev_i32_e32 v3, 31, v2
	s_delay_alu instid0(VALU_DEP_1)
	v_add_nc_u64_e32 v[0:1], s[6:7], v[2:3]
	s_cbranch_scc1 .LBB198_1067
; %bb.1061:
	s_cmp_gt_i32 s0, 25
	s_mov_b32 s3, 0
	s_cbranch_scc0 .LBB198_1069
; %bb.1062:
	s_cmp_gt_i32 s0, 28
	s_cbranch_scc0 .LBB198_1070
; %bb.1063:
	s_cmp_gt_i32 s0, 43
	;; [unrolled: 3-line block ×3, first 2 shown]
	s_cbranch_scc0 .LBB198_1072
; %bb.1065:
	s_cmp_eq_u32 s0, 46
	s_mov_b32 s18, 0
	s_cbranch_scc0 .LBB198_1075
; %bb.1066:
	global_load_b32 v3, v[0:1], off
	s_mov_b32 s17, -1
	s_wait_loadcnt 0x0
	v_lshlrev_b32_e32 v3, 16, v3
	s_delay_alu instid0(VALU_DEP_1) | instskip(NEXT) | instid1(VALU_DEP_1)
	v_trunc_f32_e32 v3, v3
	v_mul_f32_e64 v4, 0x2f800000, |v3|
	s_delay_alu instid0(VALU_DEP_1) | instskip(SKIP_1) | instid1(VALU_DEP_2)
	v_floor_f32_e32 v5, v4
	v_ashrrev_i32_e32 v4, 31, v3
	v_fma_f32 v6, 0xcf800000, v5, |v3|
	v_cvt_u32_f32_e32 v3, v5
	s_delay_alu instid0(VALU_DEP_3) | instskip(NEXT) | instid1(VALU_DEP_3)
	v_mov_b32_e32 v5, v4
	v_cvt_u32_f32_e32 v6, v6
	s_delay_alu instid0(VALU_DEP_3) | instskip(NEXT) | instid1(VALU_DEP_2)
	v_xor_b32_e32 v7, v3, v4
	v_xor_b32_e32 v6, v6, v4
	s_delay_alu instid0(VALU_DEP_1)
	v_sub_nc_u64_e32 v[4:5], v[6:7], v[4:5]
	s_branch .LBB198_1077
.LBB198_1067:
	s_mov_b32 s17, 0
	s_mov_b32 s1, s16
                                        ; implicit-def: $vgpr4_vgpr5
	s_cbranch_execnz .LBB198_1135
.LBB198_1068:
	s_and_not1_b32 vcc_lo, exec_lo, s17
	s_cbranch_vccz .LBB198_1180
	s_branch .LBB198_1594
.LBB198_1069:
	s_mov_b32 s17, 0
                                        ; implicit-def: $vgpr4_vgpr5
	s_cbranch_execnz .LBB198_1102
	s_branch .LBB198_1131
.LBB198_1070:
	s_mov_b32 s17, 0
                                        ; implicit-def: $vgpr4_vgpr5
	s_cbranch_execz .LBB198_1101
	s_branch .LBB198_1086
.LBB198_1071:
	s_mov_b32 s17, 0
                                        ; implicit-def: $vgpr4_vgpr5
	s_cbranch_execnz .LBB198_1082
	s_branch .LBB198_1085
.LBB198_1072:
	s_mov_b32 s18, -1
	s_branch .LBB198_1076
.LBB198_1073:
	s_and_not1_saveexec_b32 s23, s23
	s_cbranch_execz .LBB198_972
.LBB198_1074:
	v_add_f32_e64 v5, 0x46000000, |v4|
	s_and_not1_b32 s22, s22, exec_lo
	s_delay_alu instid0(VALU_DEP_1) | instskip(NEXT) | instid1(VALU_DEP_1)
	v_and_b32_e32 v5, 0xff, v5
	v_cmp_ne_u32_e32 vcc_lo, 0, v5
	s_and_b32 s24, vcc_lo, exec_lo
	s_delay_alu instid0(SALU_CYCLE_1)
	s_or_b32 s22, s22, s24
	s_or_b32 exec_lo, exec_lo, s23
	v_mov_b32_e32 v6, 0
	s_and_saveexec_b32 s23, s22
	s_cbranch_execnz .LBB198_973
	s_branch .LBB198_974
.LBB198_1075:
	s_mov_b32 s1, -1
.LBB198_1076:
	s_mov_b32 s17, 0
                                        ; implicit-def: $vgpr4_vgpr5
.LBB198_1077:
	s_and_b32 vcc_lo, exec_lo, s18
	s_cbranch_vccz .LBB198_1080
; %bb.1078:
	s_cmp_eq_u32 s0, 44
	s_cbranch_scc0 .LBB198_1081
; %bb.1079:
	global_load_u8 v3, v[0:1], off
	s_mov_b32 s1, 0
	s_mov_b32 s17, -1
	s_wait_loadcnt 0x0
	v_cmp_ne_u32_e32 vcc_lo, 0, v3
	v_lshlrev_b32_e32 v4, 23, v3
	s_delay_alu instid0(VALU_DEP_1) | instskip(NEXT) | instid1(VALU_DEP_1)
	v_trunc_f32_e32 v4, v4
	v_mul_f32_e64 v5, 0x2f800000, |v4|
	s_delay_alu instid0(VALU_DEP_1) | instskip(NEXT) | instid1(VALU_DEP_1)
	v_floor_f32_e32 v5, v5
	v_fma_f32 v6, 0xcf800000, v5, |v4|
	v_ashrrev_i32_e32 v4, 31, v4
	v_cvt_u32_f32_e32 v7, v5
	s_delay_alu instid0(VALU_DEP_3) | instskip(NEXT) | instid1(VALU_DEP_2)
	v_cvt_u32_f32_e32 v6, v6
	v_dual_mov_b32 v5, v4 :: v_dual_bitop2_b32 v7, v7, v4 bitop3:0x14
	s_delay_alu instid0(VALU_DEP_2) | instskip(NEXT) | instid1(VALU_DEP_1)
	v_xor_b32_e32 v6, v6, v4
	v_sub_nc_u64_e32 v[4:5], v[6:7], v[4:5]
	s_delay_alu instid0(VALU_DEP_1)
	v_dual_cndmask_b32 v5, 0, v5 :: v_dual_cndmask_b32 v4, 0, v4
.LBB198_1080:
	s_branch .LBB198_1085
.LBB198_1081:
	s_mov_b32 s1, -1
                                        ; implicit-def: $vgpr4_vgpr5
	s_branch .LBB198_1085
.LBB198_1082:
	s_cmp_eq_u32 s0, 29
	s_cbranch_scc0 .LBB198_1084
; %bb.1083:
	global_load_b64 v[4:5], v[0:1], off
	s_mov_b32 s1, 0
	s_mov_b32 s17, -1
	s_branch .LBB198_1085
.LBB198_1084:
	s_mov_b32 s1, -1
                                        ; implicit-def: $vgpr4_vgpr5
.LBB198_1085:
	s_branch .LBB198_1101
.LBB198_1086:
	s_cmp_lt_i32 s0, 27
	s_cbranch_scc1 .LBB198_1089
; %bb.1087:
	s_cmp_gt_i32 s0, 27
	s_cbranch_scc0 .LBB198_1090
; %bb.1088:
	s_wait_loadcnt 0x0
	global_load_b32 v4, v[0:1], off
	v_mov_b32_e32 v5, 0
	s_mov_b32 s17, 0
	s_branch .LBB198_1091
.LBB198_1089:
	s_mov_b32 s17, -1
                                        ; implicit-def: $vgpr4_vgpr5
	s_branch .LBB198_1094
.LBB198_1090:
	s_mov_b32 s17, -1
                                        ; implicit-def: $vgpr4_vgpr5
.LBB198_1091:
	s_delay_alu instid0(SALU_CYCLE_1)
	s_and_not1_b32 vcc_lo, exec_lo, s17
	s_cbranch_vccnz .LBB198_1093
; %bb.1092:
	global_load_u16 v3, v[0:1], off
	s_mov_b32 s17, 0
	s_wait_loadcnt 0x1
	v_mov_b32_e32 v5, s17
	s_wait_loadcnt 0x0
	v_and_b32_e32 v4, 0xffff, v3
.LBB198_1093:
	s_mov_b32 s17, 0
.LBB198_1094:
	s_delay_alu instid0(SALU_CYCLE_1)
	s_and_not1_b32 vcc_lo, exec_lo, s17
	s_cbranch_vccnz .LBB198_1100
; %bb.1095:
	global_load_u8 v3, v[0:1], off
	s_mov_b32 s18, 0
	s_mov_b32 s17, exec_lo
	s_wait_loadcnt 0x0
	v_cmpx_lt_i16_e32 0x7f, v3
	s_xor_b32 s17, exec_lo, s17
	s_cbranch_execz .LBB198_1111
; %bb.1096:
	v_cmp_ne_u16_e32 vcc_lo, 0x80, v3
	s_and_b32 s18, vcc_lo, exec_lo
	s_and_not1_saveexec_b32 s17, s17
	s_cbranch_execnz .LBB198_1112
.LBB198_1097:
	s_or_b32 exec_lo, exec_lo, s17
	v_mov_b64_e32 v[4:5], 0
	s_and_saveexec_b32 s17, s18
	s_cbranch_execz .LBB198_1099
.LBB198_1098:
	v_and_b32_e32 v4, 0xffff, v3
	s_delay_alu instid0(VALU_DEP_1) | instskip(SKIP_1) | instid1(VALU_DEP_2)
	v_and_b32_e32 v5, 7, v4
	v_bfe_u32 v8, v4, 3, 4
	v_clz_i32_u32_e32 v6, v5
	s_delay_alu instid0(VALU_DEP_2) | instskip(NEXT) | instid1(VALU_DEP_2)
	v_cmp_eq_u32_e32 vcc_lo, 0, v8
	v_min_u32_e32 v6, 32, v6
	s_delay_alu instid0(VALU_DEP_1) | instskip(NEXT) | instid1(VALU_DEP_1)
	v_subrev_nc_u32_e32 v7, 28, v6
	v_dual_lshlrev_b32 v4, v7, v4 :: v_dual_sub_nc_u32 v6, 29, v6
	s_delay_alu instid0(VALU_DEP_1) | instskip(NEXT) | instid1(VALU_DEP_1)
	v_dual_lshlrev_b32 v3, 24, v3 :: v_dual_bitop2_b32 v4, 7, v4 bitop3:0x40
	v_dual_cndmask_b32 v6, v8, v6, vcc_lo :: v_dual_cndmask_b32 v4, v5, v4, vcc_lo
	s_delay_alu instid0(VALU_DEP_2) | instskip(NEXT) | instid1(VALU_DEP_2)
	v_and_b32_e32 v3, 0x80000000, v3
	v_lshl_add_u32 v5, v6, 23, 0x3b800000
	s_delay_alu instid0(VALU_DEP_3) | instskip(NEXT) | instid1(VALU_DEP_1)
	v_lshlrev_b32_e32 v4, 20, v4
	v_or3_b32 v3, v3, v5, v4
	s_delay_alu instid0(VALU_DEP_1) | instskip(NEXT) | instid1(VALU_DEP_1)
	v_trunc_f32_e32 v3, v3
	v_mul_f32_e64 v4, 0x2f800000, |v3|
	s_delay_alu instid0(VALU_DEP_1) | instskip(SKIP_1) | instid1(VALU_DEP_2)
	v_floor_f32_e32 v5, v4
	v_ashrrev_i32_e32 v4, 31, v3
	v_fma_f32 v6, 0xcf800000, v5, |v3|
	v_cvt_u32_f32_e32 v3, v5
	s_delay_alu instid0(VALU_DEP_3) | instskip(NEXT) | instid1(VALU_DEP_3)
	v_mov_b32_e32 v5, v4
	v_cvt_u32_f32_e32 v6, v6
	s_delay_alu instid0(VALU_DEP_3) | instskip(NEXT) | instid1(VALU_DEP_2)
	v_xor_b32_e32 v7, v3, v4
	v_xor_b32_e32 v6, v6, v4
	s_delay_alu instid0(VALU_DEP_1)
	v_sub_nc_u64_e32 v[4:5], v[6:7], v[4:5]
.LBB198_1099:
	s_or_b32 exec_lo, exec_lo, s17
.LBB198_1100:
	s_mov_b32 s17, -1
.LBB198_1101:
	s_branch .LBB198_1131
.LBB198_1102:
	s_cmp_gt_i32 s0, 22
	s_cbranch_scc0 .LBB198_1110
; %bb.1103:
	s_cmp_lt_i32 s0, 24
	s_cbranch_scc1 .LBB198_1113
; %bb.1104:
	s_cmp_gt_i32 s0, 24
	s_cbranch_scc0 .LBB198_1114
; %bb.1105:
	global_load_u8 v3, v[0:1], off
	s_mov_b32 s17, 0
	s_mov_b32 s3, exec_lo
	s_wait_loadcnt 0x0
	v_cmpx_lt_i16_e32 0x7f, v3
	s_xor_b32 s3, exec_lo, s3
	s_cbranch_execz .LBB198_1125
; %bb.1106:
	v_cmp_ne_u16_e32 vcc_lo, 0x80, v3
	s_and_b32 s17, vcc_lo, exec_lo
	s_and_not1_saveexec_b32 s3, s3
	s_cbranch_execnz .LBB198_1126
.LBB198_1107:
	s_or_b32 exec_lo, exec_lo, s3
	v_mov_b64_e32 v[4:5], 0
	s_and_saveexec_b32 s3, s17
	s_cbranch_execz .LBB198_1109
.LBB198_1108:
	v_and_b32_e32 v4, 0xffff, v3
	s_delay_alu instid0(VALU_DEP_1) | instskip(SKIP_1) | instid1(VALU_DEP_2)
	v_and_b32_e32 v5, 3, v4
	v_bfe_u32 v8, v4, 2, 5
	v_clz_i32_u32_e32 v6, v5
	s_delay_alu instid0(VALU_DEP_2) | instskip(NEXT) | instid1(VALU_DEP_2)
	v_cmp_eq_u32_e32 vcc_lo, 0, v8
	v_min_u32_e32 v6, 32, v6
	s_delay_alu instid0(VALU_DEP_1) | instskip(NEXT) | instid1(VALU_DEP_1)
	v_subrev_nc_u32_e32 v7, 29, v6
	v_dual_lshlrev_b32 v4, v7, v4 :: v_dual_sub_nc_u32 v6, 30, v6
	s_delay_alu instid0(VALU_DEP_1) | instskip(NEXT) | instid1(VALU_DEP_1)
	v_dual_lshlrev_b32 v3, 24, v3 :: v_dual_bitop2_b32 v4, 3, v4 bitop3:0x40
	v_dual_cndmask_b32 v6, v8, v6, vcc_lo :: v_dual_cndmask_b32 v4, v5, v4, vcc_lo
	s_delay_alu instid0(VALU_DEP_2) | instskip(NEXT) | instid1(VALU_DEP_2)
	v_and_b32_e32 v3, 0x80000000, v3
	v_lshl_add_u32 v5, v6, 23, 0x37800000
	s_delay_alu instid0(VALU_DEP_3) | instskip(NEXT) | instid1(VALU_DEP_1)
	v_lshlrev_b32_e32 v4, 21, v4
	v_or3_b32 v3, v3, v5, v4
	s_delay_alu instid0(VALU_DEP_1) | instskip(NEXT) | instid1(VALU_DEP_1)
	v_trunc_f32_e32 v3, v3
	v_mul_f32_e64 v4, 0x2f800000, |v3|
	s_delay_alu instid0(VALU_DEP_1) | instskip(SKIP_1) | instid1(VALU_DEP_2)
	v_floor_f32_e32 v5, v4
	v_ashrrev_i32_e32 v4, 31, v3
	v_fma_f32 v6, 0xcf800000, v5, |v3|
	v_cvt_u32_f32_e32 v3, v5
	s_delay_alu instid0(VALU_DEP_3) | instskip(NEXT) | instid1(VALU_DEP_3)
	v_mov_b32_e32 v5, v4
	v_cvt_u32_f32_e32 v6, v6
	s_delay_alu instid0(VALU_DEP_3) | instskip(NEXT) | instid1(VALU_DEP_2)
	v_xor_b32_e32 v7, v3, v4
	v_xor_b32_e32 v6, v6, v4
	s_delay_alu instid0(VALU_DEP_1)
	v_sub_nc_u64_e32 v[4:5], v[6:7], v[4:5]
.LBB198_1109:
	s_or_b32 exec_lo, exec_lo, s3
	s_mov_b32 s3, 0
	s_branch .LBB198_1115
.LBB198_1110:
                                        ; implicit-def: $vgpr4_vgpr5
	s_mov_b32 s3, 0
	s_branch .LBB198_1121
.LBB198_1111:
	s_and_not1_saveexec_b32 s17, s17
	s_cbranch_execz .LBB198_1097
.LBB198_1112:
	v_cmp_ne_u16_e32 vcc_lo, 0, v3
	s_and_not1_b32 s18, s18, exec_lo
	s_and_b32 s19, vcc_lo, exec_lo
	s_delay_alu instid0(SALU_CYCLE_1)
	s_or_b32 s18, s18, s19
	s_or_b32 exec_lo, exec_lo, s17
	v_mov_b64_e32 v[4:5], 0
	s_and_saveexec_b32 s17, s18
	s_cbranch_execnz .LBB198_1098
	s_branch .LBB198_1099
.LBB198_1113:
	s_mov_b32 s3, -1
                                        ; implicit-def: $vgpr4_vgpr5
	s_branch .LBB198_1118
.LBB198_1114:
	s_mov_b32 s3, -1
                                        ; implicit-def: $vgpr4_vgpr5
.LBB198_1115:
	s_delay_alu instid0(SALU_CYCLE_1)
	s_and_b32 vcc_lo, exec_lo, s3
	s_cbranch_vccz .LBB198_1117
; %bb.1116:
	global_load_u8 v3, v[0:1], off
	s_wait_loadcnt 0x0
	v_lshlrev_b32_e32 v3, 24, v3
	s_delay_alu instid0(VALU_DEP_1) | instskip(NEXT) | instid1(VALU_DEP_1)
	v_and_b32_e32 v4, 0x7f000000, v3
	v_clz_i32_u32_e32 v5, v4
	v_cmp_ne_u32_e32 vcc_lo, 0, v4
	v_add_nc_u32_e32 v7, 0x1000000, v4
	s_delay_alu instid0(VALU_DEP_3) | instskip(NEXT) | instid1(VALU_DEP_1)
	v_min_u32_e32 v5, 32, v5
	v_sub_nc_u32_e64 v5, v5, 4 clamp
	s_delay_alu instid0(VALU_DEP_1) | instskip(NEXT) | instid1(VALU_DEP_1)
	v_dual_lshlrev_b32 v6, v5, v4 :: v_dual_lshlrev_b32 v5, 23, v5
	v_lshrrev_b32_e32 v6, 4, v6
	s_delay_alu instid0(VALU_DEP_1) | instskip(NEXT) | instid1(VALU_DEP_1)
	v_dual_sub_nc_u32 v5, v6, v5 :: v_dual_ashrrev_i32 v6, 8, v7
	v_add_nc_u32_e32 v5, 0x3c000000, v5
	s_delay_alu instid0(VALU_DEP_1) | instskip(NEXT) | instid1(VALU_DEP_1)
	v_and_or_b32 v5, 0x7f800000, v6, v5
	v_cndmask_b32_e32 v4, 0, v5, vcc_lo
	s_delay_alu instid0(VALU_DEP_1) | instskip(NEXT) | instid1(VALU_DEP_1)
	v_and_or_b32 v3, 0x80000000, v3, v4
	v_trunc_f32_e32 v3, v3
	s_delay_alu instid0(VALU_DEP_1) | instskip(NEXT) | instid1(VALU_DEP_1)
	v_mul_f32_e64 v4, 0x2f800000, |v3|
	v_floor_f32_e32 v5, v4
	v_ashrrev_i32_e32 v4, 31, v3
	s_delay_alu instid0(VALU_DEP_2) | instskip(SKIP_1) | instid1(VALU_DEP_3)
	v_fma_f32 v6, 0xcf800000, v5, |v3|
	v_cvt_u32_f32_e32 v3, v5
	v_mov_b32_e32 v5, v4
	s_delay_alu instid0(VALU_DEP_3) | instskip(NEXT) | instid1(VALU_DEP_3)
	v_cvt_u32_f32_e32 v6, v6
	v_xor_b32_e32 v7, v3, v4
	s_delay_alu instid0(VALU_DEP_2) | instskip(NEXT) | instid1(VALU_DEP_1)
	v_xor_b32_e32 v6, v6, v4
	v_sub_nc_u64_e32 v[4:5], v[6:7], v[4:5]
.LBB198_1117:
	s_mov_b32 s3, 0
.LBB198_1118:
	s_delay_alu instid0(SALU_CYCLE_1)
	s_and_not1_b32 vcc_lo, exec_lo, s3
	s_cbranch_vccnz .LBB198_1120
; %bb.1119:
	global_load_u8 v3, v[0:1], off
	s_wait_loadcnt 0x0
	v_lshlrev_b32_e32 v4, 25, v3
	v_lshlrev_b16 v3, 8, v3
	s_delay_alu instid0(VALU_DEP_1) | instskip(SKIP_1) | instid1(VALU_DEP_2)
	v_and_or_b32 v6, 0x7f00, v3, 0.5
	v_bfe_i32 v3, v3, 0, 16
	v_dual_add_f32 v6, -0.5, v6 :: v_dual_lshrrev_b32 v5, 4, v4
	v_cmp_gt_u32_e32 vcc_lo, 0x8000000, v4
	s_delay_alu instid0(VALU_DEP_2) | instskip(NEXT) | instid1(VALU_DEP_1)
	v_or_b32_e32 v5, 0x70000000, v5
	v_mul_f32_e32 v5, 0x7800000, v5
	s_delay_alu instid0(VALU_DEP_1) | instskip(NEXT) | instid1(VALU_DEP_1)
	v_cndmask_b32_e32 v4, v5, v6, vcc_lo
	v_and_or_b32 v3, 0x80000000, v3, v4
	s_delay_alu instid0(VALU_DEP_1) | instskip(NEXT) | instid1(VALU_DEP_1)
	v_trunc_f32_e32 v3, v3
	v_mul_f32_e64 v4, 0x2f800000, |v3|
	s_delay_alu instid0(VALU_DEP_1) | instskip(SKIP_1) | instid1(VALU_DEP_2)
	v_floor_f32_e32 v5, v4
	v_ashrrev_i32_e32 v4, 31, v3
	v_fma_f32 v6, 0xcf800000, v5, |v3|
	v_cvt_u32_f32_e32 v3, v5
	s_delay_alu instid0(VALU_DEP_3) | instskip(NEXT) | instid1(VALU_DEP_3)
	v_mov_b32_e32 v5, v4
	v_cvt_u32_f32_e32 v6, v6
	s_delay_alu instid0(VALU_DEP_3) | instskip(NEXT) | instid1(VALU_DEP_2)
	v_xor_b32_e32 v7, v3, v4
	v_xor_b32_e32 v6, v6, v4
	s_delay_alu instid0(VALU_DEP_1)
	v_sub_nc_u64_e32 v[4:5], v[6:7], v[4:5]
.LBB198_1120:
	s_mov_b32 s17, -1
	s_mov_b32 s3, 0
	s_cbranch_execnz .LBB198_1131
.LBB198_1121:
	s_cmp_gt_i32 s0, 14
	s_cbranch_scc0 .LBB198_1124
; %bb.1122:
	s_cmp_eq_u32 s0, 15
	s_cbranch_scc0 .LBB198_1127
; %bb.1123:
	global_load_u16 v3, v[0:1], off
	s_mov_b32 s1, 0
	s_mov_b32 s17, -1
	s_wait_loadcnt 0x0
	v_lshlrev_b32_e32 v3, 16, v3
	s_delay_alu instid0(VALU_DEP_1) | instskip(NEXT) | instid1(VALU_DEP_1)
	v_trunc_f32_e32 v3, v3
	v_mul_f32_e64 v4, 0x2f800000, |v3|
	s_delay_alu instid0(VALU_DEP_1) | instskip(SKIP_1) | instid1(VALU_DEP_2)
	v_floor_f32_e32 v5, v4
	v_ashrrev_i32_e32 v4, 31, v3
	v_fma_f32 v6, 0xcf800000, v5, |v3|
	v_cvt_u32_f32_e32 v3, v5
	s_delay_alu instid0(VALU_DEP_3) | instskip(NEXT) | instid1(VALU_DEP_3)
	v_mov_b32_e32 v5, v4
	v_cvt_u32_f32_e32 v6, v6
	s_delay_alu instid0(VALU_DEP_3) | instskip(NEXT) | instid1(VALU_DEP_2)
	v_xor_b32_e32 v7, v3, v4
	v_xor_b32_e32 v6, v6, v4
	s_delay_alu instid0(VALU_DEP_1)
	v_sub_nc_u64_e32 v[4:5], v[6:7], v[4:5]
	s_branch .LBB198_1129
.LBB198_1124:
	s_mov_b32 s3, -1
	s_branch .LBB198_1128
.LBB198_1125:
	s_and_not1_saveexec_b32 s3, s3
	s_cbranch_execz .LBB198_1107
.LBB198_1126:
	v_cmp_ne_u16_e32 vcc_lo, 0, v3
	s_and_not1_b32 s17, s17, exec_lo
	s_and_b32 s18, vcc_lo, exec_lo
	s_delay_alu instid0(SALU_CYCLE_1)
	s_or_b32 s17, s17, s18
	s_or_b32 exec_lo, exec_lo, s3
	v_mov_b64_e32 v[4:5], 0
	s_and_saveexec_b32 s3, s17
	s_cbranch_execnz .LBB198_1108
	s_branch .LBB198_1109
.LBB198_1127:
	s_mov_b32 s1, -1
.LBB198_1128:
                                        ; implicit-def: $vgpr4_vgpr5
.LBB198_1129:
	s_and_b32 vcc_lo, exec_lo, s3
	s_mov_b32 s3, 0
	s_cbranch_vccz .LBB198_1131
; %bb.1130:
	s_cmp_lg_u32 s0, 11
	s_mov_b32 s3, -1
	s_cselect_b32 s1, -1, 0
.LBB198_1131:
	s_delay_alu instid0(SALU_CYCLE_1)
	s_and_b32 vcc_lo, exec_lo, s1
	s_mov_b32 s1, s16
	s_cbranch_vccnz .LBB198_1202
; %bb.1132:
	s_and_not1_b32 vcc_lo, exec_lo, s3
	s_cbranch_vccnz .LBB198_1134
.LBB198_1133:
	global_load_u8 v3, v[0:1], off
	s_mov_b32 s3, 0
	s_mov_b32 s17, -1
	s_wait_loadcnt 0x1
	v_mov_b32_e32 v5, s3
	s_wait_loadcnt 0x0
	v_cmp_ne_u16_e32 vcc_lo, 0, v3
	v_cndmask_b32_e64 v4, 0, 1, vcc_lo
.LBB198_1134:
	s_branch .LBB198_1068
.LBB198_1135:
	s_cmp_lt_i32 s0, 5
	s_cbranch_scc1 .LBB198_1140
; %bb.1136:
	s_cmp_lt_i32 s0, 8
	s_cbranch_scc1 .LBB198_1141
; %bb.1137:
	;; [unrolled: 3-line block ×3, first 2 shown]
	s_cmp_gt_i32 s0, 9
	s_cbranch_scc0 .LBB198_1143
; %bb.1139:
	s_wait_loadcnt 0x0
	global_load_b64 v[4:5], v[0:1], off
	s_mov_b32 s3, 0
	s_wait_loadcnt 0x0
	v_trunc_f64_e32 v[4:5], v[4:5]
	s_delay_alu instid0(VALU_DEP_1) | instskip(NEXT) | instid1(VALU_DEP_1)
	v_ldexp_f64 v[6:7], v[4:5], 0xffffffe0
	v_floor_f64_e32 v[6:7], v[6:7]
	s_delay_alu instid0(VALU_DEP_1) | instskip(SKIP_1) | instid1(VALU_DEP_2)
	v_fmamk_f64 v[8:9], v[6:7], 0xc1f00000, v[4:5]
	v_cvt_i32_f64_e32 v5, v[6:7]
	v_cvt_u32_f64_e32 v4, v[8:9]
	s_branch .LBB198_1144
.LBB198_1140:
                                        ; implicit-def: $vgpr4_vgpr5
	s_branch .LBB198_1161
.LBB198_1141:
                                        ; implicit-def: $vgpr4_vgpr5
	s_branch .LBB198_1150
.LBB198_1142:
	s_mov_b32 s3, -1
                                        ; implicit-def: $vgpr4_vgpr5
	s_branch .LBB198_1147
.LBB198_1143:
	s_mov_b32 s3, -1
                                        ; implicit-def: $vgpr4_vgpr5
.LBB198_1144:
	s_delay_alu instid0(SALU_CYCLE_1)
	s_and_not1_b32 vcc_lo, exec_lo, s3
	s_cbranch_vccnz .LBB198_1146
; %bb.1145:
	global_load_b32 v3, v[0:1], off
	s_wait_loadcnt 0x0
	v_trunc_f32_e32 v3, v3
	s_delay_alu instid0(VALU_DEP_1) | instskip(NEXT) | instid1(VALU_DEP_1)
	v_mul_f32_e64 v4, 0x2f800000, |v3|
	v_floor_f32_e32 v5, v4
	v_ashrrev_i32_e32 v4, 31, v3
	s_delay_alu instid0(VALU_DEP_2) | instskip(SKIP_1) | instid1(VALU_DEP_3)
	v_fma_f32 v6, 0xcf800000, v5, |v3|
	v_cvt_u32_f32_e32 v3, v5
	v_mov_b32_e32 v5, v4
	s_delay_alu instid0(VALU_DEP_3) | instskip(NEXT) | instid1(VALU_DEP_3)
	v_cvt_u32_f32_e32 v6, v6
	v_xor_b32_e32 v7, v3, v4
	s_delay_alu instid0(VALU_DEP_2) | instskip(NEXT) | instid1(VALU_DEP_1)
	v_xor_b32_e32 v6, v6, v4
	v_sub_nc_u64_e32 v[4:5], v[6:7], v[4:5]
.LBB198_1146:
	s_mov_b32 s3, 0
.LBB198_1147:
	s_delay_alu instid0(SALU_CYCLE_1)
	s_and_not1_b32 vcc_lo, exec_lo, s3
	s_cbranch_vccnz .LBB198_1149
; %bb.1148:
	global_load_b32 v3, v[0:1], off
	s_wait_loadcnt 0x0
	v_cvt_f32_f16_e32 v3, v3
	s_delay_alu instid0(VALU_DEP_1) | instskip(NEXT) | instid1(VALU_DEP_1)
	v_cvt_i32_f32_e32 v4, v3
	v_ashrrev_i32_e32 v5, 31, v4
.LBB198_1149:
	s_cbranch_execnz .LBB198_1160
.LBB198_1150:
	s_cmp_lt_i32 s0, 6
	s_cbranch_scc1 .LBB198_1153
; %bb.1151:
	s_cmp_gt_i32 s0, 6
	s_cbranch_scc0 .LBB198_1154
; %bb.1152:
	s_wait_loadcnt 0x0
	global_load_b64 v[4:5], v[0:1], off
	s_mov_b32 s3, 0
	s_wait_loadcnt 0x0
	v_trunc_f64_e32 v[4:5], v[4:5]
	s_delay_alu instid0(VALU_DEP_1) | instskip(NEXT) | instid1(VALU_DEP_1)
	v_ldexp_f64 v[6:7], v[4:5], 0xffffffe0
	v_floor_f64_e32 v[6:7], v[6:7]
	s_delay_alu instid0(VALU_DEP_1) | instskip(SKIP_1) | instid1(VALU_DEP_2)
	v_fmamk_f64 v[8:9], v[6:7], 0xc1f00000, v[4:5]
	v_cvt_i32_f64_e32 v5, v[6:7]
	v_cvt_u32_f64_e32 v4, v[8:9]
	s_branch .LBB198_1155
.LBB198_1153:
	s_mov_b32 s3, -1
                                        ; implicit-def: $vgpr4_vgpr5
	s_branch .LBB198_1158
.LBB198_1154:
	s_mov_b32 s3, -1
                                        ; implicit-def: $vgpr4_vgpr5
.LBB198_1155:
	s_delay_alu instid0(SALU_CYCLE_1)
	s_and_not1_b32 vcc_lo, exec_lo, s3
	s_cbranch_vccnz .LBB198_1157
; %bb.1156:
	global_load_b32 v3, v[0:1], off
	s_wait_loadcnt 0x0
	v_trunc_f32_e32 v3, v3
	s_delay_alu instid0(VALU_DEP_1) | instskip(NEXT) | instid1(VALU_DEP_1)
	v_mul_f32_e64 v4, 0x2f800000, |v3|
	v_floor_f32_e32 v5, v4
	v_ashrrev_i32_e32 v4, 31, v3
	s_delay_alu instid0(VALU_DEP_2) | instskip(SKIP_1) | instid1(VALU_DEP_3)
	v_fma_f32 v6, 0xcf800000, v5, |v3|
	v_cvt_u32_f32_e32 v3, v5
	v_mov_b32_e32 v5, v4
	s_delay_alu instid0(VALU_DEP_3) | instskip(NEXT) | instid1(VALU_DEP_3)
	v_cvt_u32_f32_e32 v6, v6
	v_xor_b32_e32 v7, v3, v4
	s_delay_alu instid0(VALU_DEP_2) | instskip(NEXT) | instid1(VALU_DEP_1)
	v_xor_b32_e32 v6, v6, v4
	v_sub_nc_u64_e32 v[4:5], v[6:7], v[4:5]
.LBB198_1157:
	s_mov_b32 s3, 0
.LBB198_1158:
	s_delay_alu instid0(SALU_CYCLE_1)
	s_and_not1_b32 vcc_lo, exec_lo, s3
	s_cbranch_vccnz .LBB198_1160
; %bb.1159:
	global_load_u16 v3, v[0:1], off
	s_wait_loadcnt 0x0
	v_cvt_f32_f16_e32 v3, v3
	s_delay_alu instid0(VALU_DEP_1) | instskip(NEXT) | instid1(VALU_DEP_1)
	v_cvt_i32_f32_e32 v4, v3
	v_ashrrev_i32_e32 v5, 31, v4
.LBB198_1160:
	s_cbranch_execnz .LBB198_1179
.LBB198_1161:
	s_cmp_lt_i32 s0, 2
	s_cbranch_scc1 .LBB198_1165
; %bb.1162:
	s_cmp_lt_i32 s0, 3
	s_cbranch_scc1 .LBB198_1166
; %bb.1163:
	s_cmp_gt_i32 s0, 3
	s_cbranch_scc0 .LBB198_1167
; %bb.1164:
	s_wait_loadcnt 0x0
	global_load_b64 v[4:5], v[0:1], off
	s_mov_b32 s3, 0
	s_branch .LBB198_1168
.LBB198_1165:
                                        ; implicit-def: $vgpr4_vgpr5
	s_branch .LBB198_1174
.LBB198_1166:
	s_mov_b32 s3, -1
                                        ; implicit-def: $vgpr4_vgpr5
	s_branch .LBB198_1171
.LBB198_1167:
	s_mov_b32 s3, -1
                                        ; implicit-def: $vgpr4_vgpr5
.LBB198_1168:
	s_delay_alu instid0(SALU_CYCLE_1)
	s_and_not1_b32 vcc_lo, exec_lo, s3
	s_cbranch_vccnz .LBB198_1170
; %bb.1169:
	s_wait_loadcnt 0x0
	global_load_b32 v4, v[0:1], off
	s_wait_loadcnt 0x0
	v_ashrrev_i32_e32 v5, 31, v4
.LBB198_1170:
	s_mov_b32 s3, 0
.LBB198_1171:
	s_delay_alu instid0(SALU_CYCLE_1)
	s_and_not1_b32 vcc_lo, exec_lo, s3
	s_cbranch_vccnz .LBB198_1173
; %bb.1172:
	global_load_u16 v3, v[0:1], off
	s_wait_loadcnt 0x0
	v_bfe_i32 v4, v3, 0, 16
	s_delay_alu instid0(VALU_DEP_1)
	v_ashrrev_i32_e32 v5, 31, v4
.LBB198_1173:
	s_cbranch_execnz .LBB198_1179
.LBB198_1174:
	s_cmp_gt_i32 s0, 0
	s_mov_b32 s3, 0
	s_cbranch_scc0 .LBB198_1176
; %bb.1175:
	global_load_i8 v3, v[0:1], off
	s_wait_loadcnt 0x0
	v_bfe_i32 v4, v3, 0, 16
	s_delay_alu instid0(VALU_DEP_1)
	v_ashrrev_i32_e32 v5, 31, v4
	s_branch .LBB198_1177
.LBB198_1176:
	s_mov_b32 s3, -1
                                        ; implicit-def: $vgpr4_vgpr5
.LBB198_1177:
	s_delay_alu instid0(SALU_CYCLE_1)
	s_and_not1_b32 vcc_lo, exec_lo, s3
	s_cbranch_vccnz .LBB198_1179
; %bb.1178:
	global_load_u8 v0, v[0:1], off
	s_mov_b32 s3, 0
	s_wait_loadcnt 0x1
	v_mov_b32_e32 v5, s3
	s_wait_loadcnt 0x0
	v_and_b32_e32 v4, 0xffff, v0
.LBB198_1179:
.LBB198_1180:
	s_cmp_lt_i32 s14, 1
	s_mov_b32 s3, 0
	s_cbranch_scc1 .LBB198_1183
; %bb.1181:
	s_cmp_eq_u32 s14, 1
	s_cbranch_scc0 .LBB198_1198
; %bb.1182:
	s_wait_loadcnt 0x0
	s_delay_alu instid0(VALU_DEP_1)
	v_min_i64 v[0:1], v[4:5], s[8:9]
	s_mov_b32 s17, 0
	s_branch .LBB198_1185
.LBB198_1183:
	s_mov_b32 s17, 0
                                        ; implicit-def: $vgpr0_vgpr1
	s_cbranch_execz .LBB198_1185
; %bb.1184:
	s_cmp_lg_u32 s14, 0
	s_mov_b32 s3, -1
	s_cselect_b32 s17, -1, 0
.LBB198_1185:
	s_wait_loadcnt 0x0
	s_delay_alu instid0(VALU_DEP_1)
	v_max_i64 v[6:7], v[4:5], s[8:9]
	s_and_not1_b32 vcc_lo, exec_lo, s17
	s_cbranch_vccnz .LBB198_1187
; %bb.1186:
	s_wait_xcnt 0x0
	v_max_i64 v[0:1], v[4:5], s[8:9]
	s_delay_alu instid0(VALU_DEP_1)
	v_min_i64 v[0:1], v[0:1], s[10:11]
	s_cbranch_execz .LBB198_1188
	s_branch .LBB198_1189
.LBB198_1187:
	s_and_not1_b32 vcc_lo, exec_lo, s3
	s_cbranch_vccnz .LBB198_1189
.LBB198_1188:
	s_wait_xcnt 0x0
	s_delay_alu instid0(VALU_DEP_1)
	v_mov_b64_e32 v[0:1], v[6:7]
.LBB198_1189:
	s_lshl_b32 s3, s13, 7
	s_cmp_lt_i32 s0, 11
	v_add_nc_u32_e32 v4, s3, v2
	s_delay_alu instid0(VALU_DEP_1) | instskip(NEXT) | instid1(VALU_DEP_1)
	v_ashrrev_i32_e32 v5, 31, v4
	v_add_nc_u64_e32 v[2:3], s[6:7], v[4:5]
	s_cbranch_scc1 .LBB198_1196
; %bb.1190:
	s_cmp_gt_i32 s0, 25
	s_mov_b32 s17, 0
	s_cbranch_scc0 .LBB198_1199
; %bb.1191:
	s_cmp_gt_i32 s0, 28
	s_cbranch_scc0 .LBB198_1200
; %bb.1192:
	s_cmp_gt_i32 s0, 43
	;; [unrolled: 3-line block ×3, first 2 shown]
	s_cbranch_scc0 .LBB198_1203
; %bb.1194:
	s_cmp_eq_u32 s0, 46
	s_mov_b32 s19, 0
	s_cbranch_scc0 .LBB198_1206
; %bb.1195:
	global_load_b32 v5, v[2:3], off
	s_mov_b32 s13, 0
	s_mov_b32 s18, -1
	s_wait_loadcnt 0x0
	v_lshlrev_b32_e32 v5, 16, v5
	s_delay_alu instid0(VALU_DEP_1) | instskip(NEXT) | instid1(VALU_DEP_1)
	v_trunc_f32_e32 v5, v5
	v_mul_f32_e64 v6, 0x2f800000, |v5|
	s_delay_alu instid0(VALU_DEP_1) | instskip(SKIP_1) | instid1(VALU_DEP_2)
	v_floor_f32_e32 v7, v6
	v_ashrrev_i32_e32 v6, 31, v5
	v_fma_f32 v8, 0xcf800000, v7, |v5|
	v_cvt_u32_f32_e32 v5, v7
	s_delay_alu instid0(VALU_DEP_3) | instskip(NEXT) | instid1(VALU_DEP_3)
	v_mov_b32_e32 v7, v6
	v_cvt_u32_f32_e32 v8, v8
	s_delay_alu instid0(VALU_DEP_3) | instskip(NEXT) | instid1(VALU_DEP_2)
	v_xor_b32_e32 v9, v5, v6
	v_xor_b32_e32 v8, v8, v6
	s_delay_alu instid0(VALU_DEP_1)
	v_sub_nc_u64_e32 v[6:7], v[8:9], v[6:7]
	s_branch .LBB198_1208
.LBB198_1196:
	s_mov_b32 s18, 0
                                        ; implicit-def: $vgpr6_vgpr7
	s_cbranch_execnz .LBB198_1269
.LBB198_1197:
	s_and_not1_b32 vcc_lo, exec_lo, s18
	s_cbranch_vccnz .LBB198_1594
	s_branch .LBB198_1316
.LBB198_1198:
	s_mov_b32 s17, -1
                                        ; implicit-def: $vgpr0_vgpr1
	s_branch .LBB198_1185
.LBB198_1199:
	s_mov_b32 s18, 0
	s_mov_b32 s13, 0
                                        ; implicit-def: $vgpr6_vgpr7
	s_cbranch_execnz .LBB198_1235
	s_branch .LBB198_1265
.LBB198_1200:
	s_mov_b32 s19, -1
	s_mov_b32 s18, 0
	s_mov_b32 s13, 0
                                        ; implicit-def: $vgpr6_vgpr7
	s_branch .LBB198_1218
.LBB198_1201:
	s_mov_b32 s19, -1
	s_mov_b32 s18, 0
	s_mov_b32 s13, 0
                                        ; implicit-def: $vgpr6_vgpr7
	s_branch .LBB198_1213
.LBB198_1202:
	s_or_b32 s1, s16, exec_lo
	s_trap 2
	s_cbranch_execz .LBB198_1133
	s_branch .LBB198_1134
.LBB198_1203:
	s_mov_b32 s19, -1
	s_mov_b32 s18, 0
	s_mov_b32 s13, 0
	s_branch .LBB198_1207
.LBB198_1204:
	s_and_not1_saveexec_b32 s24, s24
	s_cbranch_execz .LBB198_984
.LBB198_1205:
	v_add_f32_e64 v5, 0x42800000, |v4|
	s_and_not1_b32 s23, s23, exec_lo
	s_delay_alu instid0(VALU_DEP_1) | instskip(NEXT) | instid1(VALU_DEP_1)
	v_and_b32_e32 v5, 0xff, v5
	v_cmp_ne_u32_e32 vcc_lo, 0, v5
	s_and_b32 s25, vcc_lo, exec_lo
	s_delay_alu instid0(SALU_CYCLE_1)
	s_or_b32 s23, s23, s25
	s_or_b32 exec_lo, exec_lo, s24
	v_mov_b32_e32 v6, 0
	s_and_saveexec_b32 s24, s23
	s_cbranch_execnz .LBB198_985
	s_branch .LBB198_986
.LBB198_1206:
	s_mov_b32 s13, -1
	s_mov_b32 s18, 0
.LBB198_1207:
                                        ; implicit-def: $vgpr6_vgpr7
.LBB198_1208:
	s_and_b32 vcc_lo, exec_lo, s19
	s_cbranch_vccz .LBB198_1212
; %bb.1209:
	s_cmp_eq_u32 s0, 44
	s_cbranch_scc0 .LBB198_1211
; %bb.1210:
	global_load_u8 v5, v[2:3], off
	s_mov_b32 s13, 0
	s_mov_b32 s18, -1
	s_wait_loadcnt 0x0
	v_cmp_ne_u32_e32 vcc_lo, 0, v5
	v_lshlrev_b32_e32 v6, 23, v5
	s_delay_alu instid0(VALU_DEP_1) | instskip(NEXT) | instid1(VALU_DEP_1)
	v_trunc_f32_e32 v6, v6
	v_mul_f32_e64 v7, 0x2f800000, |v6|
	s_delay_alu instid0(VALU_DEP_1) | instskip(NEXT) | instid1(VALU_DEP_1)
	v_floor_f32_e32 v7, v7
	v_fma_f32 v8, 0xcf800000, v7, |v6|
	v_ashrrev_i32_e32 v6, 31, v6
	v_cvt_u32_f32_e32 v9, v7
	s_delay_alu instid0(VALU_DEP_3) | instskip(NEXT) | instid1(VALU_DEP_2)
	v_cvt_u32_f32_e32 v8, v8
	v_dual_mov_b32 v7, v6 :: v_dual_bitop2_b32 v9, v9, v6 bitop3:0x14
	s_delay_alu instid0(VALU_DEP_2) | instskip(NEXT) | instid1(VALU_DEP_1)
	v_xor_b32_e32 v8, v8, v6
	v_sub_nc_u64_e32 v[6:7], v[8:9], v[6:7]
	s_delay_alu instid0(VALU_DEP_1)
	v_dual_cndmask_b32 v7, 0, v7 :: v_dual_cndmask_b32 v6, 0, v6
	s_branch .LBB198_1212
.LBB198_1211:
	s_mov_b32 s13, -1
                                        ; implicit-def: $vgpr6_vgpr7
.LBB198_1212:
	s_mov_b32 s19, 0
.LBB198_1213:
	s_delay_alu instid0(SALU_CYCLE_1)
	s_and_b32 vcc_lo, exec_lo, s19
	s_cbranch_vccz .LBB198_1217
; %bb.1214:
	s_cmp_eq_u32 s0, 29
	s_cbranch_scc0 .LBB198_1216
; %bb.1215:
	global_load_b64 v[6:7], v[2:3], off
	s_mov_b32 s13, 0
	s_mov_b32 s18, -1
	s_branch .LBB198_1217
.LBB198_1216:
	s_mov_b32 s13, -1
                                        ; implicit-def: $vgpr6_vgpr7
.LBB198_1217:
	s_mov_b32 s19, 0
.LBB198_1218:
	s_delay_alu instid0(SALU_CYCLE_1)
	s_and_b32 vcc_lo, exec_lo, s19
	s_cbranch_vccz .LBB198_1234
; %bb.1219:
	s_cmp_lt_i32 s0, 27
	s_cbranch_scc1 .LBB198_1222
; %bb.1220:
	s_cmp_gt_i32 s0, 27
	s_cbranch_scc0 .LBB198_1223
; %bb.1221:
	s_wait_loadcnt 0x0
	global_load_b32 v6, v[2:3], off
	v_mov_b32_e32 v7, 0
	s_mov_b32 s18, 0
	s_branch .LBB198_1224
.LBB198_1222:
	s_mov_b32 s18, -1
                                        ; implicit-def: $vgpr6_vgpr7
	s_branch .LBB198_1227
.LBB198_1223:
	s_mov_b32 s18, -1
                                        ; implicit-def: $vgpr6_vgpr7
.LBB198_1224:
	s_delay_alu instid0(SALU_CYCLE_1)
	s_and_not1_b32 vcc_lo, exec_lo, s18
	s_cbranch_vccnz .LBB198_1226
; %bb.1225:
	global_load_u16 v5, v[2:3], off
	s_mov_b32 s18, 0
	s_wait_loadcnt 0x1
	v_mov_b32_e32 v7, s18
	s_wait_loadcnt 0x0
	v_and_b32_e32 v6, 0xffff, v5
.LBB198_1226:
	s_mov_b32 s18, 0
.LBB198_1227:
	s_delay_alu instid0(SALU_CYCLE_1)
	s_and_not1_b32 vcc_lo, exec_lo, s18
	s_cbranch_vccnz .LBB198_1233
; %bb.1228:
	global_load_u8 v5, v[2:3], off
	s_mov_b32 s19, 0
	s_mov_b32 s18, exec_lo
	s_wait_loadcnt 0x0
	v_cmpx_lt_i16_e32 0x7f, v5
	s_xor_b32 s18, exec_lo, s18
	s_cbranch_execz .LBB198_1244
; %bb.1229:
	v_cmp_ne_u16_e32 vcc_lo, 0x80, v5
	s_and_b32 s19, vcc_lo, exec_lo
	s_and_not1_saveexec_b32 s18, s18
	s_cbranch_execnz .LBB198_1245
.LBB198_1230:
	s_or_b32 exec_lo, exec_lo, s18
	v_mov_b64_e32 v[6:7], 0
	s_and_saveexec_b32 s18, s19
	s_cbranch_execz .LBB198_1232
.LBB198_1231:
	v_and_b32_e32 v6, 0xffff, v5
	s_delay_alu instid0(VALU_DEP_1) | instskip(SKIP_1) | instid1(VALU_DEP_2)
	v_and_b32_e32 v7, 7, v6
	v_bfe_u32 v10, v6, 3, 4
	v_clz_i32_u32_e32 v8, v7
	s_delay_alu instid0(VALU_DEP_2) | instskip(NEXT) | instid1(VALU_DEP_2)
	v_cmp_eq_u32_e32 vcc_lo, 0, v10
	v_min_u32_e32 v8, 32, v8
	s_delay_alu instid0(VALU_DEP_1) | instskip(NEXT) | instid1(VALU_DEP_1)
	v_subrev_nc_u32_e32 v9, 28, v8
	v_dual_lshlrev_b32 v6, v9, v6 :: v_dual_sub_nc_u32 v8, 29, v8
	s_delay_alu instid0(VALU_DEP_1) | instskip(NEXT) | instid1(VALU_DEP_1)
	v_dual_lshlrev_b32 v5, 24, v5 :: v_dual_bitop2_b32 v6, 7, v6 bitop3:0x40
	v_dual_cndmask_b32 v8, v10, v8, vcc_lo :: v_dual_cndmask_b32 v6, v7, v6, vcc_lo
	s_delay_alu instid0(VALU_DEP_2) | instskip(NEXT) | instid1(VALU_DEP_2)
	v_and_b32_e32 v5, 0x80000000, v5
	v_lshl_add_u32 v7, v8, 23, 0x3b800000
	s_delay_alu instid0(VALU_DEP_3) | instskip(NEXT) | instid1(VALU_DEP_1)
	v_lshlrev_b32_e32 v6, 20, v6
	v_or3_b32 v5, v5, v7, v6
	s_delay_alu instid0(VALU_DEP_1) | instskip(NEXT) | instid1(VALU_DEP_1)
	v_trunc_f32_e32 v5, v5
	v_mul_f32_e64 v6, 0x2f800000, |v5|
	s_delay_alu instid0(VALU_DEP_1) | instskip(SKIP_1) | instid1(VALU_DEP_2)
	v_floor_f32_e32 v7, v6
	v_ashrrev_i32_e32 v6, 31, v5
	v_fma_f32 v8, 0xcf800000, v7, |v5|
	v_cvt_u32_f32_e32 v5, v7
	s_delay_alu instid0(VALU_DEP_3) | instskip(NEXT) | instid1(VALU_DEP_3)
	v_mov_b32_e32 v7, v6
	v_cvt_u32_f32_e32 v8, v8
	s_delay_alu instid0(VALU_DEP_3) | instskip(NEXT) | instid1(VALU_DEP_2)
	v_xor_b32_e32 v9, v5, v6
	v_xor_b32_e32 v8, v8, v6
	s_delay_alu instid0(VALU_DEP_1)
	v_sub_nc_u64_e32 v[6:7], v[8:9], v[6:7]
.LBB198_1232:
	s_or_b32 exec_lo, exec_lo, s18
.LBB198_1233:
	s_mov_b32 s18, -1
.LBB198_1234:
	s_branch .LBB198_1265
.LBB198_1235:
	s_cmp_gt_i32 s0, 22
	s_cbranch_scc0 .LBB198_1243
; %bb.1236:
	s_cmp_lt_i32 s0, 24
	s_cbranch_scc1 .LBB198_1246
; %bb.1237:
	s_cmp_gt_i32 s0, 24
	s_cbranch_scc0 .LBB198_1247
; %bb.1238:
	global_load_u8 v5, v[2:3], off
	s_mov_b32 s18, 0
	s_mov_b32 s17, exec_lo
	s_wait_loadcnt 0x0
	v_cmpx_lt_i16_e32 0x7f, v5
	s_xor_b32 s17, exec_lo, s17
	s_cbranch_execz .LBB198_1259
; %bb.1239:
	v_cmp_ne_u16_e32 vcc_lo, 0x80, v5
	s_and_b32 s18, vcc_lo, exec_lo
	s_and_not1_saveexec_b32 s17, s17
	s_cbranch_execnz .LBB198_1260
.LBB198_1240:
	s_or_b32 exec_lo, exec_lo, s17
	v_mov_b64_e32 v[6:7], 0
	s_and_saveexec_b32 s17, s18
	s_cbranch_execz .LBB198_1242
.LBB198_1241:
	v_and_b32_e32 v6, 0xffff, v5
	s_delay_alu instid0(VALU_DEP_1) | instskip(SKIP_1) | instid1(VALU_DEP_2)
	v_and_b32_e32 v7, 3, v6
	v_bfe_u32 v10, v6, 2, 5
	v_clz_i32_u32_e32 v8, v7
	s_delay_alu instid0(VALU_DEP_2) | instskip(NEXT) | instid1(VALU_DEP_2)
	v_cmp_eq_u32_e32 vcc_lo, 0, v10
	v_min_u32_e32 v8, 32, v8
	s_delay_alu instid0(VALU_DEP_1) | instskip(NEXT) | instid1(VALU_DEP_1)
	v_subrev_nc_u32_e32 v9, 29, v8
	v_dual_lshlrev_b32 v6, v9, v6 :: v_dual_sub_nc_u32 v8, 30, v8
	s_delay_alu instid0(VALU_DEP_1) | instskip(NEXT) | instid1(VALU_DEP_1)
	v_dual_lshlrev_b32 v5, 24, v5 :: v_dual_bitop2_b32 v6, 3, v6 bitop3:0x40
	v_dual_cndmask_b32 v8, v10, v8, vcc_lo :: v_dual_cndmask_b32 v6, v7, v6, vcc_lo
	s_delay_alu instid0(VALU_DEP_2) | instskip(NEXT) | instid1(VALU_DEP_2)
	v_and_b32_e32 v5, 0x80000000, v5
	v_lshl_add_u32 v7, v8, 23, 0x37800000
	s_delay_alu instid0(VALU_DEP_3) | instskip(NEXT) | instid1(VALU_DEP_1)
	v_lshlrev_b32_e32 v6, 21, v6
	v_or3_b32 v5, v5, v7, v6
	s_delay_alu instid0(VALU_DEP_1) | instskip(NEXT) | instid1(VALU_DEP_1)
	v_trunc_f32_e32 v5, v5
	v_mul_f32_e64 v6, 0x2f800000, |v5|
	s_delay_alu instid0(VALU_DEP_1) | instskip(SKIP_1) | instid1(VALU_DEP_2)
	v_floor_f32_e32 v7, v6
	v_ashrrev_i32_e32 v6, 31, v5
	v_fma_f32 v8, 0xcf800000, v7, |v5|
	v_cvt_u32_f32_e32 v5, v7
	s_delay_alu instid0(VALU_DEP_3) | instskip(NEXT) | instid1(VALU_DEP_3)
	v_mov_b32_e32 v7, v6
	v_cvt_u32_f32_e32 v8, v8
	s_delay_alu instid0(VALU_DEP_3) | instskip(NEXT) | instid1(VALU_DEP_2)
	v_xor_b32_e32 v9, v5, v6
	v_xor_b32_e32 v8, v8, v6
	s_delay_alu instid0(VALU_DEP_1)
	v_sub_nc_u64_e32 v[6:7], v[8:9], v[6:7]
.LBB198_1242:
	s_or_b32 exec_lo, exec_lo, s17
	s_mov_b32 s17, 0
	s_branch .LBB198_1248
.LBB198_1243:
	s_mov_b32 s17, -1
                                        ; implicit-def: $vgpr6_vgpr7
	s_branch .LBB198_1254
.LBB198_1244:
	s_and_not1_saveexec_b32 s18, s18
	s_cbranch_execz .LBB198_1230
.LBB198_1245:
	v_cmp_ne_u16_e32 vcc_lo, 0, v5
	s_and_not1_b32 s19, s19, exec_lo
	s_and_b32 s20, vcc_lo, exec_lo
	s_delay_alu instid0(SALU_CYCLE_1)
	s_or_b32 s19, s19, s20
	s_or_b32 exec_lo, exec_lo, s18
	v_mov_b64_e32 v[6:7], 0
	s_and_saveexec_b32 s18, s19
	s_cbranch_execnz .LBB198_1231
	s_branch .LBB198_1232
.LBB198_1246:
	s_mov_b32 s17, -1
                                        ; implicit-def: $vgpr6_vgpr7
	s_branch .LBB198_1251
.LBB198_1247:
	s_mov_b32 s17, -1
                                        ; implicit-def: $vgpr6_vgpr7
.LBB198_1248:
	s_delay_alu instid0(SALU_CYCLE_1)
	s_and_b32 vcc_lo, exec_lo, s17
	s_cbranch_vccz .LBB198_1250
; %bb.1249:
	global_load_u8 v5, v[2:3], off
	s_wait_loadcnt 0x0
	v_lshlrev_b32_e32 v5, 24, v5
	s_delay_alu instid0(VALU_DEP_1) | instskip(NEXT) | instid1(VALU_DEP_1)
	v_and_b32_e32 v6, 0x7f000000, v5
	v_clz_i32_u32_e32 v7, v6
	v_cmp_ne_u32_e32 vcc_lo, 0, v6
	v_add_nc_u32_e32 v9, 0x1000000, v6
	s_delay_alu instid0(VALU_DEP_3) | instskip(NEXT) | instid1(VALU_DEP_1)
	v_min_u32_e32 v7, 32, v7
	v_sub_nc_u32_e64 v7, v7, 4 clamp
	s_delay_alu instid0(VALU_DEP_1) | instskip(NEXT) | instid1(VALU_DEP_1)
	v_dual_lshlrev_b32 v8, v7, v6 :: v_dual_lshlrev_b32 v7, 23, v7
	v_lshrrev_b32_e32 v8, 4, v8
	s_delay_alu instid0(VALU_DEP_1) | instskip(NEXT) | instid1(VALU_DEP_1)
	v_dual_sub_nc_u32 v7, v8, v7 :: v_dual_ashrrev_i32 v8, 8, v9
	v_add_nc_u32_e32 v7, 0x3c000000, v7
	s_delay_alu instid0(VALU_DEP_1) | instskip(NEXT) | instid1(VALU_DEP_1)
	v_and_or_b32 v7, 0x7f800000, v8, v7
	v_cndmask_b32_e32 v6, 0, v7, vcc_lo
	s_delay_alu instid0(VALU_DEP_1) | instskip(NEXT) | instid1(VALU_DEP_1)
	v_and_or_b32 v5, 0x80000000, v5, v6
	v_trunc_f32_e32 v5, v5
	s_delay_alu instid0(VALU_DEP_1) | instskip(NEXT) | instid1(VALU_DEP_1)
	v_mul_f32_e64 v6, 0x2f800000, |v5|
	v_floor_f32_e32 v7, v6
	v_ashrrev_i32_e32 v6, 31, v5
	s_delay_alu instid0(VALU_DEP_2) | instskip(SKIP_1) | instid1(VALU_DEP_3)
	v_fma_f32 v8, 0xcf800000, v7, |v5|
	v_cvt_u32_f32_e32 v5, v7
	v_mov_b32_e32 v7, v6
	s_delay_alu instid0(VALU_DEP_3) | instskip(NEXT) | instid1(VALU_DEP_3)
	v_cvt_u32_f32_e32 v8, v8
	v_xor_b32_e32 v9, v5, v6
	s_delay_alu instid0(VALU_DEP_2) | instskip(NEXT) | instid1(VALU_DEP_1)
	v_xor_b32_e32 v8, v8, v6
	v_sub_nc_u64_e32 v[6:7], v[8:9], v[6:7]
.LBB198_1250:
	s_mov_b32 s17, 0
.LBB198_1251:
	s_delay_alu instid0(SALU_CYCLE_1)
	s_and_not1_b32 vcc_lo, exec_lo, s17
	s_cbranch_vccnz .LBB198_1253
; %bb.1252:
	global_load_u8 v5, v[2:3], off
	s_wait_loadcnt 0x0
	v_lshlrev_b32_e32 v6, 25, v5
	v_lshlrev_b16 v5, 8, v5
	s_delay_alu instid0(VALU_DEP_1) | instskip(SKIP_1) | instid1(VALU_DEP_2)
	v_and_or_b32 v8, 0x7f00, v5, 0.5
	v_bfe_i32 v5, v5, 0, 16
	v_dual_add_f32 v8, -0.5, v8 :: v_dual_lshrrev_b32 v7, 4, v6
	v_cmp_gt_u32_e32 vcc_lo, 0x8000000, v6
	s_delay_alu instid0(VALU_DEP_2) | instskip(NEXT) | instid1(VALU_DEP_1)
	v_or_b32_e32 v7, 0x70000000, v7
	v_mul_f32_e32 v7, 0x7800000, v7
	s_delay_alu instid0(VALU_DEP_1) | instskip(NEXT) | instid1(VALU_DEP_1)
	v_cndmask_b32_e32 v6, v7, v8, vcc_lo
	v_and_or_b32 v5, 0x80000000, v5, v6
	s_delay_alu instid0(VALU_DEP_1) | instskip(NEXT) | instid1(VALU_DEP_1)
	v_trunc_f32_e32 v5, v5
	v_mul_f32_e64 v6, 0x2f800000, |v5|
	s_delay_alu instid0(VALU_DEP_1) | instskip(SKIP_1) | instid1(VALU_DEP_2)
	v_floor_f32_e32 v7, v6
	v_ashrrev_i32_e32 v6, 31, v5
	v_fma_f32 v8, 0xcf800000, v7, |v5|
	v_cvt_u32_f32_e32 v5, v7
	s_delay_alu instid0(VALU_DEP_3) | instskip(NEXT) | instid1(VALU_DEP_3)
	v_mov_b32_e32 v7, v6
	v_cvt_u32_f32_e32 v8, v8
	s_delay_alu instid0(VALU_DEP_3) | instskip(NEXT) | instid1(VALU_DEP_2)
	v_xor_b32_e32 v9, v5, v6
	v_xor_b32_e32 v8, v8, v6
	s_delay_alu instid0(VALU_DEP_1)
	v_sub_nc_u64_e32 v[6:7], v[8:9], v[6:7]
.LBB198_1253:
	s_mov_b32 s17, 0
	s_mov_b32 s18, -1
.LBB198_1254:
	s_and_not1_b32 vcc_lo, exec_lo, s17
	s_mov_b32 s17, 0
	s_cbranch_vccnz .LBB198_1265
; %bb.1255:
	s_cmp_gt_i32 s0, 14
	s_cbranch_scc0 .LBB198_1258
; %bb.1256:
	s_cmp_eq_u32 s0, 15
	s_cbranch_scc0 .LBB198_1261
; %bb.1257:
	global_load_u16 v5, v[2:3], off
	s_mov_b32 s13, 0
	s_mov_b32 s18, -1
	s_wait_loadcnt 0x0
	v_lshlrev_b32_e32 v5, 16, v5
	s_delay_alu instid0(VALU_DEP_1) | instskip(NEXT) | instid1(VALU_DEP_1)
	v_trunc_f32_e32 v5, v5
	v_mul_f32_e64 v6, 0x2f800000, |v5|
	s_delay_alu instid0(VALU_DEP_1) | instskip(SKIP_1) | instid1(VALU_DEP_2)
	v_floor_f32_e32 v7, v6
	v_ashrrev_i32_e32 v6, 31, v5
	v_fma_f32 v8, 0xcf800000, v7, |v5|
	v_cvt_u32_f32_e32 v5, v7
	s_delay_alu instid0(VALU_DEP_3) | instskip(NEXT) | instid1(VALU_DEP_3)
	v_mov_b32_e32 v7, v6
	v_cvt_u32_f32_e32 v8, v8
	s_delay_alu instid0(VALU_DEP_3) | instskip(NEXT) | instid1(VALU_DEP_2)
	v_xor_b32_e32 v9, v5, v6
	v_xor_b32_e32 v8, v8, v6
	s_delay_alu instid0(VALU_DEP_1)
	v_sub_nc_u64_e32 v[6:7], v[8:9], v[6:7]
	s_branch .LBB198_1263
.LBB198_1258:
	s_mov_b32 s17, -1
	s_branch .LBB198_1262
.LBB198_1259:
	s_and_not1_saveexec_b32 s17, s17
	s_cbranch_execz .LBB198_1240
.LBB198_1260:
	v_cmp_ne_u16_e32 vcc_lo, 0, v5
	s_and_not1_b32 s18, s18, exec_lo
	s_and_b32 s19, vcc_lo, exec_lo
	s_delay_alu instid0(SALU_CYCLE_1)
	s_or_b32 s18, s18, s19
	s_or_b32 exec_lo, exec_lo, s17
	v_mov_b64_e32 v[6:7], 0
	s_and_saveexec_b32 s17, s18
	s_cbranch_execnz .LBB198_1241
	s_branch .LBB198_1242
.LBB198_1261:
	s_mov_b32 s13, -1
.LBB198_1262:
                                        ; implicit-def: $vgpr6_vgpr7
.LBB198_1263:
	s_and_b32 vcc_lo, exec_lo, s17
	s_mov_b32 s17, 0
	s_cbranch_vccz .LBB198_1265
; %bb.1264:
	s_cmp_lg_u32 s0, 11
	s_mov_b32 s17, -1
	s_cselect_b32 s13, -1, 0
.LBB198_1265:
	s_delay_alu instid0(SALU_CYCLE_1)
	s_and_b32 vcc_lo, exec_lo, s13
	s_cbranch_vccnz .LBB198_1339
; %bb.1266:
	s_and_not1_b32 vcc_lo, exec_lo, s17
	s_cbranch_vccnz .LBB198_1268
.LBB198_1267:
	global_load_u8 v5, v[2:3], off
	s_mov_b32 s13, 0
	s_mov_b32 s18, -1
	s_wait_loadcnt 0x1
	v_mov_b32_e32 v7, s13
	s_wait_loadcnt 0x0
	v_cmp_ne_u16_e32 vcc_lo, 0, v5
	v_cndmask_b32_e64 v6, 0, 1, vcc_lo
.LBB198_1268:
	s_branch .LBB198_1197
.LBB198_1269:
	s_cmp_lt_i32 s0, 5
	s_cbranch_scc1 .LBB198_1274
; %bb.1270:
	s_cmp_lt_i32 s0, 8
	s_cbranch_scc1 .LBB198_1275
; %bb.1271:
	;; [unrolled: 3-line block ×3, first 2 shown]
	s_cmp_gt_i32 s0, 9
	s_cbranch_scc0 .LBB198_1277
; %bb.1273:
	s_wait_loadcnt 0x0
	global_load_b64 v[6:7], v[2:3], off
	s_mov_b32 s13, 0
	s_wait_loadcnt 0x0
	v_trunc_f64_e32 v[6:7], v[6:7]
	s_delay_alu instid0(VALU_DEP_1) | instskip(NEXT) | instid1(VALU_DEP_1)
	v_ldexp_f64 v[8:9], v[6:7], 0xffffffe0
	v_floor_f64_e32 v[8:9], v[8:9]
	s_delay_alu instid0(VALU_DEP_1) | instskip(SKIP_1) | instid1(VALU_DEP_2)
	v_fmamk_f64 v[10:11], v[8:9], 0xc1f00000, v[6:7]
	v_cvt_i32_f64_e32 v7, v[8:9]
	v_cvt_u32_f64_e32 v6, v[10:11]
	s_branch .LBB198_1278
.LBB198_1274:
                                        ; implicit-def: $vgpr6_vgpr7
	s_branch .LBB198_1296
.LBB198_1275:
	s_mov_b32 s13, -1
                                        ; implicit-def: $vgpr6_vgpr7
	s_branch .LBB198_1284
.LBB198_1276:
	s_mov_b32 s13, -1
                                        ; implicit-def: $vgpr6_vgpr7
	s_branch .LBB198_1281
.LBB198_1277:
	s_mov_b32 s13, -1
                                        ; implicit-def: $vgpr6_vgpr7
.LBB198_1278:
	s_delay_alu instid0(SALU_CYCLE_1)
	s_and_not1_b32 vcc_lo, exec_lo, s13
	s_cbranch_vccnz .LBB198_1280
; %bb.1279:
	global_load_b32 v5, v[2:3], off
	s_wait_loadcnt 0x0
	v_trunc_f32_e32 v5, v5
	s_delay_alu instid0(VALU_DEP_1) | instskip(NEXT) | instid1(VALU_DEP_1)
	v_mul_f32_e64 v6, 0x2f800000, |v5|
	v_floor_f32_e32 v7, v6
	v_ashrrev_i32_e32 v6, 31, v5
	s_delay_alu instid0(VALU_DEP_2) | instskip(SKIP_1) | instid1(VALU_DEP_3)
	v_fma_f32 v8, 0xcf800000, v7, |v5|
	v_cvt_u32_f32_e32 v5, v7
	v_mov_b32_e32 v7, v6
	s_delay_alu instid0(VALU_DEP_3) | instskip(NEXT) | instid1(VALU_DEP_3)
	v_cvt_u32_f32_e32 v8, v8
	v_xor_b32_e32 v9, v5, v6
	s_delay_alu instid0(VALU_DEP_2) | instskip(NEXT) | instid1(VALU_DEP_1)
	v_xor_b32_e32 v8, v8, v6
	v_sub_nc_u64_e32 v[6:7], v[8:9], v[6:7]
.LBB198_1280:
	s_mov_b32 s13, 0
.LBB198_1281:
	s_delay_alu instid0(SALU_CYCLE_1)
	s_and_not1_b32 vcc_lo, exec_lo, s13
	s_cbranch_vccnz .LBB198_1283
; %bb.1282:
	global_load_b32 v5, v[2:3], off
	s_wait_loadcnt 0x0
	v_cvt_f32_f16_e32 v5, v5
	s_delay_alu instid0(VALU_DEP_1) | instskip(NEXT) | instid1(VALU_DEP_1)
	v_cvt_i32_f32_e32 v6, v5
	v_ashrrev_i32_e32 v7, 31, v6
.LBB198_1283:
	s_mov_b32 s13, 0
.LBB198_1284:
	s_delay_alu instid0(SALU_CYCLE_1)
	s_and_not1_b32 vcc_lo, exec_lo, s13
	s_cbranch_vccnz .LBB198_1295
; %bb.1285:
	s_cmp_lt_i32 s0, 6
	s_cbranch_scc1 .LBB198_1288
; %bb.1286:
	s_cmp_gt_i32 s0, 6
	s_cbranch_scc0 .LBB198_1289
; %bb.1287:
	s_wait_loadcnt 0x0
	global_load_b64 v[6:7], v[2:3], off
	s_mov_b32 s13, 0
	s_wait_loadcnt 0x0
	v_trunc_f64_e32 v[6:7], v[6:7]
	s_delay_alu instid0(VALU_DEP_1) | instskip(NEXT) | instid1(VALU_DEP_1)
	v_ldexp_f64 v[8:9], v[6:7], 0xffffffe0
	v_floor_f64_e32 v[8:9], v[8:9]
	s_delay_alu instid0(VALU_DEP_1) | instskip(SKIP_1) | instid1(VALU_DEP_2)
	v_fmamk_f64 v[10:11], v[8:9], 0xc1f00000, v[6:7]
	v_cvt_i32_f64_e32 v7, v[8:9]
	v_cvt_u32_f64_e32 v6, v[10:11]
	s_branch .LBB198_1290
.LBB198_1288:
	s_mov_b32 s13, -1
                                        ; implicit-def: $vgpr6_vgpr7
	s_branch .LBB198_1293
.LBB198_1289:
	s_mov_b32 s13, -1
                                        ; implicit-def: $vgpr6_vgpr7
.LBB198_1290:
	s_delay_alu instid0(SALU_CYCLE_1)
	s_and_not1_b32 vcc_lo, exec_lo, s13
	s_cbranch_vccnz .LBB198_1292
; %bb.1291:
	global_load_b32 v5, v[2:3], off
	s_wait_loadcnt 0x0
	v_trunc_f32_e32 v5, v5
	s_delay_alu instid0(VALU_DEP_1) | instskip(NEXT) | instid1(VALU_DEP_1)
	v_mul_f32_e64 v6, 0x2f800000, |v5|
	v_floor_f32_e32 v7, v6
	v_ashrrev_i32_e32 v6, 31, v5
	s_delay_alu instid0(VALU_DEP_2) | instskip(SKIP_1) | instid1(VALU_DEP_3)
	v_fma_f32 v8, 0xcf800000, v7, |v5|
	v_cvt_u32_f32_e32 v5, v7
	v_mov_b32_e32 v7, v6
	s_delay_alu instid0(VALU_DEP_3) | instskip(NEXT) | instid1(VALU_DEP_3)
	v_cvt_u32_f32_e32 v8, v8
	v_xor_b32_e32 v9, v5, v6
	s_delay_alu instid0(VALU_DEP_2) | instskip(NEXT) | instid1(VALU_DEP_1)
	v_xor_b32_e32 v8, v8, v6
	v_sub_nc_u64_e32 v[6:7], v[8:9], v[6:7]
.LBB198_1292:
	s_mov_b32 s13, 0
.LBB198_1293:
	s_delay_alu instid0(SALU_CYCLE_1)
	s_and_not1_b32 vcc_lo, exec_lo, s13
	s_cbranch_vccnz .LBB198_1295
; %bb.1294:
	global_load_u16 v5, v[2:3], off
	s_wait_loadcnt 0x0
	v_cvt_f32_f16_e32 v5, v5
	s_delay_alu instid0(VALU_DEP_1) | instskip(NEXT) | instid1(VALU_DEP_1)
	v_cvt_i32_f32_e32 v6, v5
	v_ashrrev_i32_e32 v7, 31, v6
.LBB198_1295:
	s_cbranch_execnz .LBB198_1315
.LBB198_1296:
	s_cmp_lt_i32 s0, 2
	s_cbranch_scc1 .LBB198_1300
; %bb.1297:
	s_cmp_lt_i32 s0, 3
	s_cbranch_scc1 .LBB198_1301
; %bb.1298:
	s_cmp_gt_i32 s0, 3
	s_cbranch_scc0 .LBB198_1302
; %bb.1299:
	s_wait_loadcnt 0x0
	global_load_b64 v[6:7], v[2:3], off
	s_mov_b32 s13, 0
	s_branch .LBB198_1303
.LBB198_1300:
	s_mov_b32 s13, -1
                                        ; implicit-def: $vgpr6_vgpr7
	s_branch .LBB198_1309
.LBB198_1301:
	s_mov_b32 s13, -1
                                        ; implicit-def: $vgpr6_vgpr7
	s_branch .LBB198_1306
.LBB198_1302:
	s_mov_b32 s13, -1
                                        ; implicit-def: $vgpr6_vgpr7
.LBB198_1303:
	s_delay_alu instid0(SALU_CYCLE_1)
	s_and_not1_b32 vcc_lo, exec_lo, s13
	s_cbranch_vccnz .LBB198_1305
; %bb.1304:
	s_wait_loadcnt 0x0
	global_load_b32 v6, v[2:3], off
	s_wait_loadcnt 0x0
	v_ashrrev_i32_e32 v7, 31, v6
.LBB198_1305:
	s_mov_b32 s13, 0
.LBB198_1306:
	s_delay_alu instid0(SALU_CYCLE_1)
	s_and_not1_b32 vcc_lo, exec_lo, s13
	s_cbranch_vccnz .LBB198_1308
; %bb.1307:
	global_load_u16 v5, v[2:3], off
	s_wait_loadcnt 0x0
	v_bfe_i32 v6, v5, 0, 16
	s_delay_alu instid0(VALU_DEP_1)
	v_ashrrev_i32_e32 v7, 31, v6
.LBB198_1308:
	s_mov_b32 s13, 0
.LBB198_1309:
	s_delay_alu instid0(SALU_CYCLE_1)
	s_and_not1_b32 vcc_lo, exec_lo, s13
	s_cbranch_vccnz .LBB198_1315
; %bb.1310:
	s_cmp_gt_i32 s0, 0
	s_mov_b32 s13, 0
	s_cbranch_scc0 .LBB198_1312
; %bb.1311:
	global_load_i8 v5, v[2:3], off
	s_wait_loadcnt 0x0
	v_bfe_i32 v6, v5, 0, 16
	s_delay_alu instid0(VALU_DEP_1)
	v_ashrrev_i32_e32 v7, 31, v6
	s_branch .LBB198_1313
.LBB198_1312:
	s_mov_b32 s13, -1
                                        ; implicit-def: $vgpr6_vgpr7
.LBB198_1313:
	s_delay_alu instid0(SALU_CYCLE_1)
	s_and_not1_b32 vcc_lo, exec_lo, s13
	s_cbranch_vccnz .LBB198_1315
; %bb.1314:
	global_load_u8 v2, v[2:3], off
	s_mov_b32 s13, 0
	s_wait_loadcnt 0x1
	v_mov_b32_e32 v7, s13
	s_wait_loadcnt 0x0
	v_and_b32_e32 v6, 0xffff, v2
.LBB198_1315:
.LBB198_1316:
	s_cmp_lt_i32 s14, 1
	s_mov_b32 s13, 0
	s_cbranch_scc1 .LBB198_1319
; %bb.1317:
	s_cmp_eq_u32 s14, 1
	s_cbranch_scc0 .LBB198_1320
; %bb.1318:
	s_wait_loadcnt 0x0
	s_delay_alu instid0(VALU_DEP_1)
	v_min_i64 v[2:3], v[6:7], s[8:9]
	s_mov_b32 s17, 0
	s_branch .LBB198_1321
.LBB198_1319:
	s_mov_b32 s17, 0
                                        ; implicit-def: $vgpr2_vgpr3
	s_cbranch_execnz .LBB198_1322
	s_branch .LBB198_1323
.LBB198_1320:
	s_mov_b32 s17, -1
                                        ; implicit-def: $vgpr2_vgpr3
.LBB198_1321:
	s_branch .LBB198_1323
.LBB198_1322:
	s_cmp_lg_u32 s14, 0
	s_mov_b32 s13, -1
	s_cselect_b32 s17, -1, 0
.LBB198_1323:
	s_wait_loadcnt 0x0
	s_delay_alu instid0(VALU_DEP_1)
	v_max_i64 v[8:9], v[6:7], s[8:9]
	s_and_not1_b32 vcc_lo, exec_lo, s17
	s_cbranch_vccnz .LBB198_1325
; %bb.1324:
	s_wait_xcnt 0x0
	v_max_i64 v[2:3], v[6:7], s[8:9]
	s_delay_alu instid0(VALU_DEP_1)
	v_min_i64 v[2:3], v[2:3], s[10:11]
	s_cbranch_execz .LBB198_1326
	s_branch .LBB198_1327
.LBB198_1325:
	s_and_not1_b32 vcc_lo, exec_lo, s13
	s_cbranch_vccnz .LBB198_1327
.LBB198_1326:
	s_wait_xcnt 0x0
	s_delay_alu instid0(VALU_DEP_1)
	v_mov_b64_e32 v[2:3], v[8:9]
.LBB198_1327:
	v_add_nc_u32_e32 v4, s3, v4
	s_cmp_lt_i32 s0, 11
	s_delay_alu instid0(VALU_DEP_1) | instskip(NEXT) | instid1(VALU_DEP_1)
	v_ashrrev_i32_e32 v5, 31, v4
	v_add_nc_u64_e32 v[6:7], s[6:7], v[4:5]
	s_cbranch_scc1 .LBB198_1334
; %bb.1328:
	s_cmp_gt_i32 s0, 25
	s_mov_b32 s17, 0
	s_cbranch_scc0 .LBB198_1336
; %bb.1329:
	s_cmp_gt_i32 s0, 28
	s_cbranch_scc0 .LBB198_1337
; %bb.1330:
	s_cmp_gt_i32 s0, 43
	;; [unrolled: 3-line block ×3, first 2 shown]
	s_cbranch_scc0 .LBB198_1340
; %bb.1332:
	s_cmp_eq_u32 s0, 46
	s_mov_b32 s19, 0
	s_cbranch_scc0 .LBB198_1341
; %bb.1333:
	global_load_b32 v5, v[6:7], off
	s_mov_b32 s13, 0
	s_mov_b32 s18, -1
	s_wait_loadcnt 0x0
	v_lshlrev_b32_e32 v5, 16, v5
	s_delay_alu instid0(VALU_DEP_1) | instskip(NEXT) | instid1(VALU_DEP_1)
	v_trunc_f32_e32 v5, v5
	v_mul_f32_e64 v8, 0x2f800000, |v5|
	s_delay_alu instid0(VALU_DEP_1) | instskip(SKIP_1) | instid1(VALU_DEP_2)
	v_floor_f32_e32 v9, v8
	v_ashrrev_i32_e32 v8, 31, v5
	v_fma_f32 v10, 0xcf800000, v9, |v5|
	v_cvt_u32_f32_e32 v5, v9
	s_delay_alu instid0(VALU_DEP_3) | instskip(NEXT) | instid1(VALU_DEP_3)
	v_mov_b32_e32 v9, v8
	v_cvt_u32_f32_e32 v10, v10
	s_delay_alu instid0(VALU_DEP_3) | instskip(NEXT) | instid1(VALU_DEP_2)
	v_xor_b32_e32 v11, v5, v8
	v_xor_b32_e32 v10, v10, v8
	s_delay_alu instid0(VALU_DEP_1)
	v_sub_nc_u64_e32 v[8:9], v[10:11], v[8:9]
	s_branch .LBB198_1343
.LBB198_1334:
	s_mov_b32 s18, 0
                                        ; implicit-def: $vgpr8_vgpr9
	s_cbranch_execnz .LBB198_1405
.LBB198_1335:
	s_and_not1_b32 vcc_lo, exec_lo, s18
	s_cbranch_vccnz .LBB198_1594
	s_branch .LBB198_1453
.LBB198_1336:
	s_mov_b32 s19, -1
	s_mov_b32 s18, 0
	s_mov_b32 s13, 0
                                        ; implicit-def: $vgpr8_vgpr9
	s_branch .LBB198_1370
.LBB198_1337:
	s_mov_b32 s19, -1
	s_mov_b32 s18, 0
	s_mov_b32 s13, 0
                                        ; implicit-def: $vgpr8_vgpr9
	s_branch .LBB198_1353
.LBB198_1338:
	s_mov_b32 s19, -1
	s_mov_b32 s18, 0
	s_mov_b32 s13, 0
                                        ; implicit-def: $vgpr8_vgpr9
	s_branch .LBB198_1348
.LBB198_1339:
	s_or_b32 s1, s1, exec_lo
	s_trap 2
	s_cbranch_execz .LBB198_1267
	s_branch .LBB198_1268
.LBB198_1340:
	s_mov_b32 s19, -1
	s_mov_b32 s18, 0
	s_mov_b32 s13, 0
	s_branch .LBB198_1342
.LBB198_1341:
	s_mov_b32 s13, -1
	s_mov_b32 s18, 0
.LBB198_1342:
                                        ; implicit-def: $vgpr8_vgpr9
.LBB198_1343:
	s_and_b32 vcc_lo, exec_lo, s19
	s_cbranch_vccz .LBB198_1347
; %bb.1344:
	s_cmp_eq_u32 s0, 44
	s_cbranch_scc0 .LBB198_1346
; %bb.1345:
	global_load_u8 v5, v[6:7], off
	s_mov_b32 s13, 0
	s_mov_b32 s18, -1
	s_wait_loadcnt 0x0
	v_lshlrev_b32_e32 v8, 23, v5
	v_cmp_ne_u32_e32 vcc_lo, 0, v5
	s_delay_alu instid0(VALU_DEP_2) | instskip(NEXT) | instid1(VALU_DEP_1)
	v_trunc_f32_e32 v8, v8
	v_mul_f32_e64 v9, 0x2f800000, |v8|
	s_delay_alu instid0(VALU_DEP_1) | instskip(NEXT) | instid1(VALU_DEP_1)
	v_floor_f32_e32 v9, v9
	v_fma_f32 v10, 0xcf800000, v9, |v8|
	v_ashrrev_i32_e32 v8, 31, v8
	v_cvt_u32_f32_e32 v11, v9
	s_delay_alu instid0(VALU_DEP_3) | instskip(NEXT) | instid1(VALU_DEP_2)
	v_cvt_u32_f32_e32 v10, v10
	v_dual_mov_b32 v9, v8 :: v_dual_bitop2_b32 v11, v11, v8 bitop3:0x14
	s_delay_alu instid0(VALU_DEP_2) | instskip(NEXT) | instid1(VALU_DEP_1)
	v_xor_b32_e32 v10, v10, v8
	v_sub_nc_u64_e32 v[8:9], v[10:11], v[8:9]
	s_delay_alu instid0(VALU_DEP_1)
	v_dual_cndmask_b32 v9, 0, v9 :: v_dual_cndmask_b32 v8, 0, v8
	s_branch .LBB198_1347
.LBB198_1346:
	s_mov_b32 s13, -1
                                        ; implicit-def: $vgpr8_vgpr9
.LBB198_1347:
	s_mov_b32 s19, 0
.LBB198_1348:
	s_delay_alu instid0(SALU_CYCLE_1)
	s_and_b32 vcc_lo, exec_lo, s19
	s_cbranch_vccz .LBB198_1352
; %bb.1349:
	s_cmp_eq_u32 s0, 29
	s_cbranch_scc0 .LBB198_1351
; %bb.1350:
	global_load_b64 v[8:9], v[6:7], off
	s_mov_b32 s13, 0
	s_mov_b32 s18, -1
	s_branch .LBB198_1352
.LBB198_1351:
	s_mov_b32 s13, -1
                                        ; implicit-def: $vgpr8_vgpr9
.LBB198_1352:
	s_mov_b32 s19, 0
.LBB198_1353:
	s_delay_alu instid0(SALU_CYCLE_1)
	s_and_b32 vcc_lo, exec_lo, s19
	s_cbranch_vccz .LBB198_1369
; %bb.1354:
	s_cmp_lt_i32 s0, 27
	s_cbranch_scc1 .LBB198_1357
; %bb.1355:
	s_cmp_gt_i32 s0, 27
	s_cbranch_scc0 .LBB198_1358
; %bb.1356:
	s_wait_loadcnt 0x0
	global_load_b32 v8, v[6:7], off
	v_mov_b32_e32 v9, 0
	s_mov_b32 s18, 0
	s_branch .LBB198_1359
.LBB198_1357:
	s_mov_b32 s18, -1
                                        ; implicit-def: $vgpr8_vgpr9
	s_branch .LBB198_1362
.LBB198_1358:
	s_mov_b32 s18, -1
                                        ; implicit-def: $vgpr8_vgpr9
.LBB198_1359:
	s_delay_alu instid0(SALU_CYCLE_1)
	s_and_not1_b32 vcc_lo, exec_lo, s18
	s_cbranch_vccnz .LBB198_1361
; %bb.1360:
	global_load_u16 v5, v[6:7], off
	s_mov_b32 s18, 0
	s_wait_loadcnt 0x1
	v_mov_b32_e32 v9, s18
	s_wait_loadcnt 0x0
	v_and_b32_e32 v8, 0xffff, v5
.LBB198_1361:
	s_mov_b32 s18, 0
.LBB198_1362:
	s_delay_alu instid0(SALU_CYCLE_1)
	s_and_not1_b32 vcc_lo, exec_lo, s18
	s_cbranch_vccnz .LBB198_1368
; %bb.1363:
	global_load_u8 v5, v[6:7], off
	s_mov_b32 s19, 0
	s_mov_b32 s18, exec_lo
	s_wait_loadcnt 0x0
	v_cmpx_lt_i16_e32 0x7f, v5
	s_xor_b32 s18, exec_lo, s18
	s_cbranch_execz .LBB198_1380
; %bb.1364:
	v_cmp_ne_u16_e32 vcc_lo, 0x80, v5
	s_and_b32 s19, vcc_lo, exec_lo
	s_and_not1_saveexec_b32 s18, s18
	s_cbranch_execnz .LBB198_1381
.LBB198_1365:
	s_or_b32 exec_lo, exec_lo, s18
	v_mov_b64_e32 v[8:9], 0
	s_and_saveexec_b32 s18, s19
	s_cbranch_execz .LBB198_1367
.LBB198_1366:
	v_and_b32_e32 v8, 0xffff, v5
	s_delay_alu instid0(VALU_DEP_1) | instskip(SKIP_1) | instid1(VALU_DEP_2)
	v_and_b32_e32 v9, 7, v8
	v_bfe_u32 v13, v8, 3, 4
	v_clz_i32_u32_e32 v10, v9
	s_delay_alu instid0(VALU_DEP_2) | instskip(NEXT) | instid1(VALU_DEP_2)
	v_cmp_eq_u32_e32 vcc_lo, 0, v13
	v_min_u32_e32 v10, 32, v10
	s_delay_alu instid0(VALU_DEP_1) | instskip(NEXT) | instid1(VALU_DEP_1)
	v_subrev_nc_u32_e32 v11, 28, v10
	v_dual_lshlrev_b32 v8, v11, v8 :: v_dual_sub_nc_u32 v10, 29, v10
	s_delay_alu instid0(VALU_DEP_1) | instskip(NEXT) | instid1(VALU_DEP_2)
	v_dual_lshlrev_b32 v5, 24, v5 :: v_dual_bitop2_b32 v8, 7, v8 bitop3:0x40
	v_cndmask_b32_e32 v10, v13, v10, vcc_lo
	s_delay_alu instid0(VALU_DEP_2) | instskip(NEXT) | instid1(VALU_DEP_3)
	v_cndmask_b32_e32 v8, v9, v8, vcc_lo
	v_and_b32_e32 v5, 0x80000000, v5
	s_delay_alu instid0(VALU_DEP_3) | instskip(NEXT) | instid1(VALU_DEP_3)
	v_lshl_add_u32 v9, v10, 23, 0x3b800000
	v_lshlrev_b32_e32 v8, 20, v8
	s_delay_alu instid0(VALU_DEP_1) | instskip(NEXT) | instid1(VALU_DEP_1)
	v_or3_b32 v5, v5, v9, v8
	v_trunc_f32_e32 v5, v5
	s_delay_alu instid0(VALU_DEP_1) | instskip(NEXT) | instid1(VALU_DEP_1)
	v_mul_f32_e64 v8, 0x2f800000, |v5|
	v_floor_f32_e32 v9, v8
	v_ashrrev_i32_e32 v8, 31, v5
	s_delay_alu instid0(VALU_DEP_2) | instskip(SKIP_1) | instid1(VALU_DEP_3)
	v_fma_f32 v10, 0xcf800000, v9, |v5|
	v_cvt_u32_f32_e32 v5, v9
	v_mov_b32_e32 v9, v8
	s_delay_alu instid0(VALU_DEP_3) | instskip(NEXT) | instid1(VALU_DEP_3)
	v_cvt_u32_f32_e32 v10, v10
	v_xor_b32_e32 v11, v5, v8
	s_delay_alu instid0(VALU_DEP_2) | instskip(NEXT) | instid1(VALU_DEP_1)
	v_xor_b32_e32 v10, v10, v8
	v_sub_nc_u64_e32 v[8:9], v[10:11], v[8:9]
.LBB198_1367:
	s_or_b32 exec_lo, exec_lo, s18
.LBB198_1368:
	s_mov_b32 s18, -1
.LBB198_1369:
	s_mov_b32 s19, 0
.LBB198_1370:
	s_delay_alu instid0(SALU_CYCLE_1)
	s_and_b32 vcc_lo, exec_lo, s19
	s_cbranch_vccz .LBB198_1401
; %bb.1371:
	s_cmp_gt_i32 s0, 22
	s_cbranch_scc0 .LBB198_1379
; %bb.1372:
	s_cmp_lt_i32 s0, 24
	s_cbranch_scc1 .LBB198_1382
; %bb.1373:
	s_cmp_gt_i32 s0, 24
	s_cbranch_scc0 .LBB198_1383
; %bb.1374:
	global_load_u8 v5, v[6:7], off
	s_mov_b32 s18, 0
	s_mov_b32 s17, exec_lo
	s_wait_loadcnt 0x0
	v_cmpx_lt_i16_e32 0x7f, v5
	s_xor_b32 s17, exec_lo, s17
	s_cbranch_execz .LBB198_1395
; %bb.1375:
	v_cmp_ne_u16_e32 vcc_lo, 0x80, v5
	s_and_b32 s18, vcc_lo, exec_lo
	s_and_not1_saveexec_b32 s17, s17
	s_cbranch_execnz .LBB198_1396
.LBB198_1376:
	s_or_b32 exec_lo, exec_lo, s17
	v_mov_b64_e32 v[8:9], 0
	s_and_saveexec_b32 s17, s18
	s_cbranch_execz .LBB198_1378
.LBB198_1377:
	v_and_b32_e32 v8, 0xffff, v5
	s_delay_alu instid0(VALU_DEP_1) | instskip(SKIP_1) | instid1(VALU_DEP_2)
	v_and_b32_e32 v9, 3, v8
	v_bfe_u32 v13, v8, 2, 5
	v_clz_i32_u32_e32 v10, v9
	s_delay_alu instid0(VALU_DEP_2) | instskip(NEXT) | instid1(VALU_DEP_2)
	v_cmp_eq_u32_e32 vcc_lo, 0, v13
	v_min_u32_e32 v10, 32, v10
	s_delay_alu instid0(VALU_DEP_1) | instskip(NEXT) | instid1(VALU_DEP_1)
	v_subrev_nc_u32_e32 v11, 29, v10
	v_dual_lshlrev_b32 v8, v11, v8 :: v_dual_sub_nc_u32 v10, 30, v10
	s_delay_alu instid0(VALU_DEP_1) | instskip(NEXT) | instid1(VALU_DEP_2)
	v_dual_lshlrev_b32 v5, 24, v5 :: v_dual_bitop2_b32 v8, 3, v8 bitop3:0x40
	v_cndmask_b32_e32 v10, v13, v10, vcc_lo
	s_delay_alu instid0(VALU_DEP_2) | instskip(NEXT) | instid1(VALU_DEP_3)
	v_cndmask_b32_e32 v8, v9, v8, vcc_lo
	v_and_b32_e32 v5, 0x80000000, v5
	s_delay_alu instid0(VALU_DEP_3) | instskip(NEXT) | instid1(VALU_DEP_3)
	v_lshl_add_u32 v9, v10, 23, 0x37800000
	v_lshlrev_b32_e32 v8, 21, v8
	s_delay_alu instid0(VALU_DEP_1) | instskip(NEXT) | instid1(VALU_DEP_1)
	v_or3_b32 v5, v5, v9, v8
	v_trunc_f32_e32 v5, v5
	s_delay_alu instid0(VALU_DEP_1) | instskip(NEXT) | instid1(VALU_DEP_1)
	v_mul_f32_e64 v8, 0x2f800000, |v5|
	v_floor_f32_e32 v9, v8
	v_ashrrev_i32_e32 v8, 31, v5
	s_delay_alu instid0(VALU_DEP_2) | instskip(SKIP_1) | instid1(VALU_DEP_3)
	v_fma_f32 v10, 0xcf800000, v9, |v5|
	v_cvt_u32_f32_e32 v5, v9
	v_mov_b32_e32 v9, v8
	s_delay_alu instid0(VALU_DEP_3) | instskip(NEXT) | instid1(VALU_DEP_3)
	v_cvt_u32_f32_e32 v10, v10
	v_xor_b32_e32 v11, v5, v8
	s_delay_alu instid0(VALU_DEP_2) | instskip(NEXT) | instid1(VALU_DEP_1)
	v_xor_b32_e32 v10, v10, v8
	v_sub_nc_u64_e32 v[8:9], v[10:11], v[8:9]
.LBB198_1378:
	s_or_b32 exec_lo, exec_lo, s17
	s_mov_b32 s17, 0
	s_branch .LBB198_1384
.LBB198_1379:
	s_mov_b32 s17, -1
                                        ; implicit-def: $vgpr8_vgpr9
	s_branch .LBB198_1390
.LBB198_1380:
	s_and_not1_saveexec_b32 s18, s18
	s_cbranch_execz .LBB198_1365
.LBB198_1381:
	v_cmp_ne_u16_e32 vcc_lo, 0, v5
	s_and_not1_b32 s19, s19, exec_lo
	s_and_b32 s20, vcc_lo, exec_lo
	s_delay_alu instid0(SALU_CYCLE_1)
	s_or_b32 s19, s19, s20
	s_or_b32 exec_lo, exec_lo, s18
	v_mov_b64_e32 v[8:9], 0
	s_and_saveexec_b32 s18, s19
	s_cbranch_execnz .LBB198_1366
	s_branch .LBB198_1367
.LBB198_1382:
	s_mov_b32 s17, -1
                                        ; implicit-def: $vgpr8_vgpr9
	s_branch .LBB198_1387
.LBB198_1383:
	s_mov_b32 s17, -1
                                        ; implicit-def: $vgpr8_vgpr9
.LBB198_1384:
	s_delay_alu instid0(SALU_CYCLE_1)
	s_and_b32 vcc_lo, exec_lo, s17
	s_cbranch_vccz .LBB198_1386
; %bb.1385:
	global_load_u8 v5, v[6:7], off
	s_wait_loadcnt 0x0
	v_lshlrev_b32_e32 v5, 24, v5
	s_delay_alu instid0(VALU_DEP_1) | instskip(NEXT) | instid1(VALU_DEP_1)
	v_and_b32_e32 v8, 0x7f000000, v5
	v_clz_i32_u32_e32 v9, v8
	v_cmp_ne_u32_e32 vcc_lo, 0, v8
	v_add_nc_u32_e32 v11, 0x1000000, v8
	s_delay_alu instid0(VALU_DEP_3) | instskip(NEXT) | instid1(VALU_DEP_1)
	v_min_u32_e32 v9, 32, v9
	v_sub_nc_u32_e64 v9, v9, 4 clamp
	s_delay_alu instid0(VALU_DEP_1) | instskip(NEXT) | instid1(VALU_DEP_1)
	v_dual_lshlrev_b32 v10, v9, v8 :: v_dual_lshlrev_b32 v9, 23, v9
	v_lshrrev_b32_e32 v10, 4, v10
	s_delay_alu instid0(VALU_DEP_1) | instskip(NEXT) | instid1(VALU_DEP_1)
	v_dual_sub_nc_u32 v9, v10, v9 :: v_dual_ashrrev_i32 v10, 8, v11
	v_add_nc_u32_e32 v9, 0x3c000000, v9
	s_delay_alu instid0(VALU_DEP_1) | instskip(NEXT) | instid1(VALU_DEP_1)
	v_and_or_b32 v9, 0x7f800000, v10, v9
	v_cndmask_b32_e32 v8, 0, v9, vcc_lo
	s_delay_alu instid0(VALU_DEP_1) | instskip(NEXT) | instid1(VALU_DEP_1)
	v_and_or_b32 v5, 0x80000000, v5, v8
	v_trunc_f32_e32 v5, v5
	s_delay_alu instid0(VALU_DEP_1) | instskip(NEXT) | instid1(VALU_DEP_1)
	v_mul_f32_e64 v8, 0x2f800000, |v5|
	v_floor_f32_e32 v9, v8
	v_ashrrev_i32_e32 v8, 31, v5
	s_delay_alu instid0(VALU_DEP_2) | instskip(SKIP_1) | instid1(VALU_DEP_3)
	v_fma_f32 v10, 0xcf800000, v9, |v5|
	v_cvt_u32_f32_e32 v5, v9
	v_mov_b32_e32 v9, v8
	s_delay_alu instid0(VALU_DEP_3) | instskip(NEXT) | instid1(VALU_DEP_3)
	v_cvt_u32_f32_e32 v10, v10
	v_xor_b32_e32 v11, v5, v8
	s_delay_alu instid0(VALU_DEP_2) | instskip(NEXT) | instid1(VALU_DEP_1)
	v_xor_b32_e32 v10, v10, v8
	v_sub_nc_u64_e32 v[8:9], v[10:11], v[8:9]
.LBB198_1386:
	s_mov_b32 s17, 0
.LBB198_1387:
	s_delay_alu instid0(SALU_CYCLE_1)
	s_and_not1_b32 vcc_lo, exec_lo, s17
	s_cbranch_vccnz .LBB198_1389
; %bb.1388:
	global_load_u8 v5, v[6:7], off
	s_wait_loadcnt 0x0
	v_lshlrev_b32_e32 v8, 25, v5
	v_lshlrev_b16 v5, 8, v5
	s_delay_alu instid0(VALU_DEP_1) | instskip(SKIP_1) | instid1(VALU_DEP_2)
	v_and_or_b32 v10, 0x7f00, v5, 0.5
	v_bfe_i32 v5, v5, 0, 16
	v_dual_add_f32 v10, -0.5, v10 :: v_dual_lshrrev_b32 v9, 4, v8
	v_cmp_gt_u32_e32 vcc_lo, 0x8000000, v8
	s_delay_alu instid0(VALU_DEP_2) | instskip(NEXT) | instid1(VALU_DEP_1)
	v_or_b32_e32 v9, 0x70000000, v9
	v_mul_f32_e32 v9, 0x7800000, v9
	s_delay_alu instid0(VALU_DEP_1) | instskip(NEXT) | instid1(VALU_DEP_1)
	v_cndmask_b32_e32 v8, v9, v10, vcc_lo
	v_and_or_b32 v5, 0x80000000, v5, v8
	s_delay_alu instid0(VALU_DEP_1) | instskip(NEXT) | instid1(VALU_DEP_1)
	v_trunc_f32_e32 v5, v5
	v_mul_f32_e64 v8, 0x2f800000, |v5|
	s_delay_alu instid0(VALU_DEP_1) | instskip(SKIP_1) | instid1(VALU_DEP_2)
	v_floor_f32_e32 v9, v8
	v_ashrrev_i32_e32 v8, 31, v5
	v_fma_f32 v10, 0xcf800000, v9, |v5|
	v_cvt_u32_f32_e32 v5, v9
	s_delay_alu instid0(VALU_DEP_3) | instskip(NEXT) | instid1(VALU_DEP_3)
	v_mov_b32_e32 v9, v8
	v_cvt_u32_f32_e32 v10, v10
	s_delay_alu instid0(VALU_DEP_3) | instskip(NEXT) | instid1(VALU_DEP_2)
	v_xor_b32_e32 v11, v5, v8
	v_xor_b32_e32 v10, v10, v8
	s_delay_alu instid0(VALU_DEP_1)
	v_sub_nc_u64_e32 v[8:9], v[10:11], v[8:9]
.LBB198_1389:
	s_mov_b32 s17, 0
	s_mov_b32 s18, -1
.LBB198_1390:
	s_and_not1_b32 vcc_lo, exec_lo, s17
	s_mov_b32 s17, 0
	s_cbranch_vccnz .LBB198_1401
; %bb.1391:
	s_cmp_gt_i32 s0, 14
	s_cbranch_scc0 .LBB198_1394
; %bb.1392:
	s_cmp_eq_u32 s0, 15
	s_cbranch_scc0 .LBB198_1397
; %bb.1393:
	global_load_u16 v5, v[6:7], off
	s_mov_b32 s13, 0
	s_mov_b32 s18, -1
	s_wait_loadcnt 0x0
	v_lshlrev_b32_e32 v5, 16, v5
	s_delay_alu instid0(VALU_DEP_1) | instskip(NEXT) | instid1(VALU_DEP_1)
	v_trunc_f32_e32 v5, v5
	v_mul_f32_e64 v8, 0x2f800000, |v5|
	s_delay_alu instid0(VALU_DEP_1) | instskip(SKIP_1) | instid1(VALU_DEP_2)
	v_floor_f32_e32 v9, v8
	v_ashrrev_i32_e32 v8, 31, v5
	v_fma_f32 v10, 0xcf800000, v9, |v5|
	v_cvt_u32_f32_e32 v5, v9
	s_delay_alu instid0(VALU_DEP_3) | instskip(NEXT) | instid1(VALU_DEP_3)
	v_mov_b32_e32 v9, v8
	v_cvt_u32_f32_e32 v10, v10
	s_delay_alu instid0(VALU_DEP_3) | instskip(NEXT) | instid1(VALU_DEP_2)
	v_xor_b32_e32 v11, v5, v8
	v_xor_b32_e32 v10, v10, v8
	s_delay_alu instid0(VALU_DEP_1)
	v_sub_nc_u64_e32 v[8:9], v[10:11], v[8:9]
	s_branch .LBB198_1399
.LBB198_1394:
	s_mov_b32 s17, -1
	s_branch .LBB198_1398
.LBB198_1395:
	s_and_not1_saveexec_b32 s17, s17
	s_cbranch_execz .LBB198_1376
.LBB198_1396:
	v_cmp_ne_u16_e32 vcc_lo, 0, v5
	s_and_not1_b32 s18, s18, exec_lo
	s_and_b32 s19, vcc_lo, exec_lo
	s_delay_alu instid0(SALU_CYCLE_1)
	s_or_b32 s18, s18, s19
	s_or_b32 exec_lo, exec_lo, s17
	v_mov_b64_e32 v[8:9], 0
	s_and_saveexec_b32 s17, s18
	s_cbranch_execnz .LBB198_1377
	s_branch .LBB198_1378
.LBB198_1397:
	s_mov_b32 s13, -1
.LBB198_1398:
                                        ; implicit-def: $vgpr8_vgpr9
.LBB198_1399:
	s_and_b32 vcc_lo, exec_lo, s17
	s_mov_b32 s17, 0
	s_cbranch_vccz .LBB198_1401
; %bb.1400:
	s_cmp_lg_u32 s0, 11
	s_mov_b32 s17, -1
	s_cselect_b32 s13, -1, 0
.LBB198_1401:
	s_delay_alu instid0(SALU_CYCLE_1)
	s_and_b32 vcc_lo, exec_lo, s13
	s_cbranch_vccnz .LBB198_1475
; %bb.1402:
	s_and_not1_b32 vcc_lo, exec_lo, s17
	s_cbranch_vccnz .LBB198_1404
.LBB198_1403:
	global_load_u8 v5, v[6:7], off
	s_mov_b32 s13, 0
	s_mov_b32 s18, -1
	s_wait_loadcnt 0x1
	v_mov_b32_e32 v9, s13
	s_wait_loadcnt 0x0
	v_cmp_ne_u16_e32 vcc_lo, 0, v5
	v_cndmask_b32_e64 v8, 0, 1, vcc_lo
.LBB198_1404:
	s_branch .LBB198_1335
.LBB198_1405:
	s_cmp_lt_i32 s0, 5
	s_cbranch_scc1 .LBB198_1410
; %bb.1406:
	s_cmp_lt_i32 s0, 8
	s_cbranch_scc1 .LBB198_1411
; %bb.1407:
	;; [unrolled: 3-line block ×3, first 2 shown]
	s_cmp_gt_i32 s0, 9
	s_cbranch_scc0 .LBB198_1413
; %bb.1409:
	s_wait_loadcnt 0x0
	global_load_b64 v[8:9], v[6:7], off
	s_mov_b32 s13, 0
	s_wait_loadcnt 0x0
	v_trunc_f64_e32 v[8:9], v[8:9]
	s_delay_alu instid0(VALU_DEP_1) | instskip(NEXT) | instid1(VALU_DEP_1)
	v_ldexp_f64 v[10:11], v[8:9], 0xffffffe0
	v_floor_f64_e32 v[10:11], v[10:11]
	s_delay_alu instid0(VALU_DEP_1) | instskip(SKIP_1) | instid1(VALU_DEP_2)
	v_fmamk_f64 v[14:15], v[10:11], 0xc1f00000, v[8:9]
	v_cvt_i32_f64_e32 v9, v[10:11]
	v_cvt_u32_f64_e32 v8, v[14:15]
	s_branch .LBB198_1414
.LBB198_1410:
	s_mov_b32 s13, -1
                                        ; implicit-def: $vgpr8_vgpr9
	s_branch .LBB198_1432
.LBB198_1411:
	s_mov_b32 s13, -1
                                        ; implicit-def: $vgpr8_vgpr9
	s_branch .LBB198_1420
.LBB198_1412:
	s_mov_b32 s13, -1
                                        ; implicit-def: $vgpr8_vgpr9
	s_branch .LBB198_1417
.LBB198_1413:
	s_mov_b32 s13, -1
                                        ; implicit-def: $vgpr8_vgpr9
.LBB198_1414:
	s_delay_alu instid0(SALU_CYCLE_1)
	s_and_not1_b32 vcc_lo, exec_lo, s13
	s_cbranch_vccnz .LBB198_1416
; %bb.1415:
	global_load_b32 v5, v[6:7], off
	s_wait_loadcnt 0x0
	v_trunc_f32_e32 v5, v5
	s_delay_alu instid0(VALU_DEP_1) | instskip(NEXT) | instid1(VALU_DEP_1)
	v_mul_f32_e64 v8, 0x2f800000, |v5|
	v_floor_f32_e32 v9, v8
	v_ashrrev_i32_e32 v8, 31, v5
	s_delay_alu instid0(VALU_DEP_2) | instskip(SKIP_1) | instid1(VALU_DEP_3)
	v_fma_f32 v10, 0xcf800000, v9, |v5|
	v_cvt_u32_f32_e32 v5, v9
	v_mov_b32_e32 v9, v8
	s_delay_alu instid0(VALU_DEP_3) | instskip(NEXT) | instid1(VALU_DEP_3)
	v_cvt_u32_f32_e32 v10, v10
	v_xor_b32_e32 v11, v5, v8
	s_delay_alu instid0(VALU_DEP_2) | instskip(NEXT) | instid1(VALU_DEP_1)
	v_xor_b32_e32 v10, v10, v8
	v_sub_nc_u64_e32 v[8:9], v[10:11], v[8:9]
.LBB198_1416:
	s_mov_b32 s13, 0
.LBB198_1417:
	s_delay_alu instid0(SALU_CYCLE_1)
	s_and_not1_b32 vcc_lo, exec_lo, s13
	s_cbranch_vccnz .LBB198_1419
; %bb.1418:
	global_load_b32 v5, v[6:7], off
	s_wait_loadcnt 0x0
	v_cvt_f32_f16_e32 v5, v5
	s_delay_alu instid0(VALU_DEP_1) | instskip(NEXT) | instid1(VALU_DEP_1)
	v_cvt_i32_f32_e32 v8, v5
	v_ashrrev_i32_e32 v9, 31, v8
.LBB198_1419:
	s_mov_b32 s13, 0
.LBB198_1420:
	s_delay_alu instid0(SALU_CYCLE_1)
	s_and_not1_b32 vcc_lo, exec_lo, s13
	s_cbranch_vccnz .LBB198_1431
; %bb.1421:
	s_cmp_lt_i32 s0, 6
	s_cbranch_scc1 .LBB198_1424
; %bb.1422:
	s_cmp_gt_i32 s0, 6
	s_cbranch_scc0 .LBB198_1425
; %bb.1423:
	s_wait_loadcnt 0x0
	global_load_b64 v[8:9], v[6:7], off
	s_mov_b32 s13, 0
	s_wait_loadcnt 0x0
	v_trunc_f64_e32 v[8:9], v[8:9]
	s_delay_alu instid0(VALU_DEP_1) | instskip(NEXT) | instid1(VALU_DEP_1)
	v_ldexp_f64 v[10:11], v[8:9], 0xffffffe0
	v_floor_f64_e32 v[10:11], v[10:11]
	s_delay_alu instid0(VALU_DEP_1) | instskip(SKIP_1) | instid1(VALU_DEP_2)
	v_fmamk_f64 v[14:15], v[10:11], 0xc1f00000, v[8:9]
	v_cvt_i32_f64_e32 v9, v[10:11]
	v_cvt_u32_f64_e32 v8, v[14:15]
	s_branch .LBB198_1426
.LBB198_1424:
	s_mov_b32 s13, -1
                                        ; implicit-def: $vgpr8_vgpr9
	s_branch .LBB198_1429
.LBB198_1425:
	s_mov_b32 s13, -1
                                        ; implicit-def: $vgpr8_vgpr9
.LBB198_1426:
	s_delay_alu instid0(SALU_CYCLE_1)
	s_and_not1_b32 vcc_lo, exec_lo, s13
	s_cbranch_vccnz .LBB198_1428
; %bb.1427:
	global_load_b32 v5, v[6:7], off
	s_wait_loadcnt 0x0
	v_trunc_f32_e32 v5, v5
	s_delay_alu instid0(VALU_DEP_1) | instskip(NEXT) | instid1(VALU_DEP_1)
	v_mul_f32_e64 v8, 0x2f800000, |v5|
	v_floor_f32_e32 v9, v8
	v_ashrrev_i32_e32 v8, 31, v5
	s_delay_alu instid0(VALU_DEP_2) | instskip(SKIP_1) | instid1(VALU_DEP_3)
	v_fma_f32 v10, 0xcf800000, v9, |v5|
	v_cvt_u32_f32_e32 v5, v9
	v_mov_b32_e32 v9, v8
	s_delay_alu instid0(VALU_DEP_3) | instskip(NEXT) | instid1(VALU_DEP_3)
	v_cvt_u32_f32_e32 v10, v10
	v_xor_b32_e32 v11, v5, v8
	s_delay_alu instid0(VALU_DEP_2) | instskip(NEXT) | instid1(VALU_DEP_1)
	v_xor_b32_e32 v10, v10, v8
	v_sub_nc_u64_e32 v[8:9], v[10:11], v[8:9]
.LBB198_1428:
	s_mov_b32 s13, 0
.LBB198_1429:
	s_delay_alu instid0(SALU_CYCLE_1)
	s_and_not1_b32 vcc_lo, exec_lo, s13
	s_cbranch_vccnz .LBB198_1431
; %bb.1430:
	global_load_u16 v5, v[6:7], off
	s_wait_loadcnt 0x0
	v_cvt_f32_f16_e32 v5, v5
	s_delay_alu instid0(VALU_DEP_1) | instskip(NEXT) | instid1(VALU_DEP_1)
	v_cvt_i32_f32_e32 v8, v5
	v_ashrrev_i32_e32 v9, 31, v8
.LBB198_1431:
	s_mov_b32 s13, 0
.LBB198_1432:
	s_delay_alu instid0(SALU_CYCLE_1)
	s_and_not1_b32 vcc_lo, exec_lo, s13
	s_cbranch_vccnz .LBB198_1452
; %bb.1433:
	s_cmp_lt_i32 s0, 2
	s_cbranch_scc1 .LBB198_1437
; %bb.1434:
	s_cmp_lt_i32 s0, 3
	s_cbranch_scc1 .LBB198_1438
; %bb.1435:
	s_cmp_gt_i32 s0, 3
	s_cbranch_scc0 .LBB198_1439
; %bb.1436:
	s_wait_loadcnt 0x0
	global_load_b64 v[8:9], v[6:7], off
	s_mov_b32 s13, 0
	s_branch .LBB198_1440
.LBB198_1437:
	s_mov_b32 s13, -1
                                        ; implicit-def: $vgpr8_vgpr9
	s_branch .LBB198_1446
.LBB198_1438:
	s_mov_b32 s13, -1
                                        ; implicit-def: $vgpr8_vgpr9
	s_branch .LBB198_1443
.LBB198_1439:
	s_mov_b32 s13, -1
                                        ; implicit-def: $vgpr8_vgpr9
.LBB198_1440:
	s_delay_alu instid0(SALU_CYCLE_1)
	s_and_not1_b32 vcc_lo, exec_lo, s13
	s_cbranch_vccnz .LBB198_1442
; %bb.1441:
	s_wait_loadcnt 0x0
	global_load_b32 v8, v[6:7], off
	s_wait_loadcnt 0x0
	v_ashrrev_i32_e32 v9, 31, v8
.LBB198_1442:
	s_mov_b32 s13, 0
.LBB198_1443:
	s_delay_alu instid0(SALU_CYCLE_1)
	s_and_not1_b32 vcc_lo, exec_lo, s13
	s_cbranch_vccnz .LBB198_1445
; %bb.1444:
	global_load_u16 v5, v[6:7], off
	s_wait_loadcnt 0x0
	v_bfe_i32 v8, v5, 0, 16
	s_delay_alu instid0(VALU_DEP_1)
	v_ashrrev_i32_e32 v9, 31, v8
.LBB198_1445:
	s_mov_b32 s13, 0
.LBB198_1446:
	s_delay_alu instid0(SALU_CYCLE_1)
	s_and_not1_b32 vcc_lo, exec_lo, s13
	s_cbranch_vccnz .LBB198_1452
; %bb.1447:
	s_cmp_gt_i32 s0, 0
	s_mov_b32 s13, 0
	s_cbranch_scc0 .LBB198_1449
; %bb.1448:
	global_load_i8 v5, v[6:7], off
	s_wait_loadcnt 0x0
	v_bfe_i32 v8, v5, 0, 16
	s_delay_alu instid0(VALU_DEP_1)
	v_ashrrev_i32_e32 v9, 31, v8
	s_branch .LBB198_1450
.LBB198_1449:
	s_mov_b32 s13, -1
                                        ; implicit-def: $vgpr8_vgpr9
.LBB198_1450:
	s_delay_alu instid0(SALU_CYCLE_1)
	s_and_not1_b32 vcc_lo, exec_lo, s13
	s_cbranch_vccnz .LBB198_1452
; %bb.1451:
	global_load_u8 v5, v[6:7], off
	s_mov_b32 s13, 0
	s_wait_loadcnt 0x1
	v_mov_b32_e32 v9, s13
	s_wait_loadcnt 0x0
	v_and_b32_e32 v8, 0xffff, v5
.LBB198_1452:
.LBB198_1453:
	s_cmp_lt_i32 s14, 1
	s_mov_b32 s13, 0
	s_cbranch_scc1 .LBB198_1456
; %bb.1454:
	s_cmp_eq_u32 s14, 1
	s_cbranch_scc0 .LBB198_1459
; %bb.1455:
	s_wait_loadcnt 0x0
	s_delay_alu instid0(VALU_DEP_1)
	v_min_i64 v[6:7], v[8:9], s[8:9]
	s_mov_b32 s17, 0
	s_branch .LBB198_1460
.LBB198_1456:
	s_mov_b32 s17, 0
                                        ; implicit-def: $vgpr6_vgpr7
	s_cbranch_execnz .LBB198_1461
.LBB198_1457:
	s_wait_loadcnt 0x0
	s_delay_alu instid0(VALU_DEP_1)
	v_max_i64 v[10:11], v[8:9], s[8:9]
	s_and_not1_b32 vcc_lo, exec_lo, s17
	s_cbranch_vccnz .LBB198_1462
.LBB198_1458:
	s_wait_xcnt 0x0
	v_max_i64 v[6:7], v[8:9], s[8:9]
	s_delay_alu instid0(VALU_DEP_1)
	v_min_i64 v[6:7], v[6:7], s[10:11]
	s_cbranch_execz .LBB198_1463
	s_branch .LBB198_1464
.LBB198_1459:
	s_mov_b32 s17, -1
                                        ; implicit-def: $vgpr6_vgpr7
.LBB198_1460:
	s_branch .LBB198_1457
.LBB198_1461:
	s_cmp_lg_u32 s14, 0
	s_mov_b32 s13, -1
	s_cselect_b32 s17, -1, 0
	s_wait_loadcnt 0x0
	s_delay_alu instid0(VALU_DEP_1)
	v_max_i64 v[10:11], v[8:9], s[8:9]
	s_and_not1_b32 vcc_lo, exec_lo, s17
	s_cbranch_vccz .LBB198_1458
.LBB198_1462:
	s_and_not1_b32 vcc_lo, exec_lo, s13
	s_cbranch_vccnz .LBB198_1464
.LBB198_1463:
	s_wait_xcnt 0x0
	s_delay_alu instid0(VALU_DEP_1)
	v_mov_b64_e32 v[6:7], v[10:11]
.LBB198_1464:
	v_add_nc_u32_e32 v4, s3, v4
	s_cmp_lt_i32 s0, 11
	s_delay_alu instid0(VALU_DEP_1) | instskip(NEXT) | instid1(VALU_DEP_1)
	v_ashrrev_i32_e32 v5, 31, v4
	v_add_nc_u64_e32 v[4:5], s[6:7], v[4:5]
	s_cbranch_scc1 .LBB198_1471
; %bb.1465:
	s_cmp_gt_i32 s0, 25
	s_mov_b32 s6, 0
	s_cbranch_scc0 .LBB198_1472
; %bb.1466:
	s_cmp_gt_i32 s0, 28
	s_cbranch_scc0 .LBB198_1473
; %bb.1467:
	s_cmp_gt_i32 s0, 43
	;; [unrolled: 3-line block ×3, first 2 shown]
	s_cbranch_scc0 .LBB198_1476
; %bb.1469:
	s_cmp_eq_u32 s0, 46
	s_mov_b32 s13, 0
	s_cbranch_scc0 .LBB198_1477
; %bb.1470:
	global_load_b32 v8, v[4:5], off
	s_mov_b32 s3, 0
	s_mov_b32 s7, -1
	s_wait_loadcnt 0x0
	v_lshlrev_b32_e32 v8, 16, v8
	s_delay_alu instid0(VALU_DEP_1) | instskip(NEXT) | instid1(VALU_DEP_1)
	v_trunc_f32_e32 v8, v8
	v_mul_f32_e64 v9, 0x2f800000, |v8|
	s_delay_alu instid0(VALU_DEP_1) | instskip(NEXT) | instid1(VALU_DEP_1)
	v_floor_f32_e32 v9, v9
	v_fma_f32 v10, 0xcf800000, v9, |v8|
	v_ashrrev_i32_e32 v8, 31, v8
	v_cvt_u32_f32_e32 v11, v9
	s_delay_alu instid0(VALU_DEP_3) | instskip(NEXT) | instid1(VALU_DEP_2)
	v_cvt_u32_f32_e32 v10, v10
	v_dual_mov_b32 v9, v8 :: v_dual_bitop2_b32 v11, v11, v8 bitop3:0x14
	s_delay_alu instid0(VALU_DEP_2) | instskip(NEXT) | instid1(VALU_DEP_1)
	v_xor_b32_e32 v10, v10, v8
	v_sub_nc_u64_e32 v[8:9], v[10:11], v[8:9]
	s_branch .LBB198_1479
.LBB198_1471:
	s_mov_b32 s3, -1
	s_mov_b32 s7, 0
                                        ; implicit-def: $vgpr8_vgpr9
	s_branch .LBB198_1541
.LBB198_1472:
	s_mov_b32 s13, -1
	s_mov_b32 s7, 0
	s_mov_b32 s3, 0
                                        ; implicit-def: $vgpr8_vgpr9
	s_branch .LBB198_1506
.LBB198_1473:
	s_mov_b32 s13, -1
	s_mov_b32 s7, 0
	s_mov_b32 s3, 0
                                        ; implicit-def: $vgpr8_vgpr9
	s_branch .LBB198_1489
.LBB198_1474:
	s_mov_b32 s13, -1
	s_mov_b32 s7, 0
	s_mov_b32 s3, 0
                                        ; implicit-def: $vgpr8_vgpr9
	s_branch .LBB198_1484
.LBB198_1475:
	s_or_b32 s1, s1, exec_lo
	s_trap 2
	s_cbranch_execz .LBB198_1403
	s_branch .LBB198_1404
.LBB198_1476:
	s_mov_b32 s13, -1
	s_mov_b32 s7, 0
	s_mov_b32 s3, 0
	s_branch .LBB198_1478
.LBB198_1477:
	s_mov_b32 s3, -1
	s_mov_b32 s7, 0
.LBB198_1478:
                                        ; implicit-def: $vgpr8_vgpr9
.LBB198_1479:
	s_and_b32 vcc_lo, exec_lo, s13
	s_cbranch_vccz .LBB198_1483
; %bb.1480:
	s_cmp_eq_u32 s0, 44
	s_cbranch_scc0 .LBB198_1482
; %bb.1481:
	global_load_u8 v13, v[4:5], off
	s_mov_b32 s3, 0
	s_mov_b32 s7, -1
	s_wait_loadcnt 0x0
	v_lshlrev_b32_e32 v8, 23, v13
	v_cmp_ne_u32_e32 vcc_lo, 0, v13
	s_delay_alu instid0(VALU_DEP_2) | instskip(NEXT) | instid1(VALU_DEP_1)
	v_trunc_f32_e32 v8, v8
	v_mul_f32_e64 v9, 0x2f800000, |v8|
	s_delay_alu instid0(VALU_DEP_1) | instskip(NEXT) | instid1(VALU_DEP_1)
	v_floor_f32_e32 v9, v9
	v_fma_f32 v10, 0xcf800000, v9, |v8|
	v_ashrrev_i32_e32 v8, 31, v8
	v_cvt_u32_f32_e32 v11, v9
	s_delay_alu instid0(VALU_DEP_3) | instskip(NEXT) | instid1(VALU_DEP_2)
	v_cvt_u32_f32_e32 v10, v10
	v_dual_mov_b32 v9, v8 :: v_dual_bitop2_b32 v11, v11, v8 bitop3:0x14
	s_delay_alu instid0(VALU_DEP_2) | instskip(NEXT) | instid1(VALU_DEP_1)
	v_xor_b32_e32 v10, v10, v8
	v_sub_nc_u64_e32 v[8:9], v[10:11], v[8:9]
	s_delay_alu instid0(VALU_DEP_1)
	v_dual_cndmask_b32 v9, 0, v9 :: v_dual_cndmask_b32 v8, 0, v8
	s_branch .LBB198_1483
.LBB198_1482:
	s_mov_b32 s3, -1
                                        ; implicit-def: $vgpr8_vgpr9
.LBB198_1483:
	s_mov_b32 s13, 0
.LBB198_1484:
	s_delay_alu instid0(SALU_CYCLE_1)
	s_and_b32 vcc_lo, exec_lo, s13
	s_cbranch_vccz .LBB198_1488
; %bb.1485:
	s_cmp_eq_u32 s0, 29
	s_cbranch_scc0 .LBB198_1487
; %bb.1486:
	global_load_b64 v[8:9], v[4:5], off
	s_mov_b32 s3, 0
	s_mov_b32 s7, -1
	s_branch .LBB198_1488
.LBB198_1487:
	s_mov_b32 s3, -1
                                        ; implicit-def: $vgpr8_vgpr9
.LBB198_1488:
	s_mov_b32 s13, 0
.LBB198_1489:
	s_delay_alu instid0(SALU_CYCLE_1)
	s_and_b32 vcc_lo, exec_lo, s13
	s_cbranch_vccz .LBB198_1505
; %bb.1490:
	s_cmp_lt_i32 s0, 27
	s_cbranch_scc1 .LBB198_1493
; %bb.1491:
	s_cmp_gt_i32 s0, 27
	s_cbranch_scc0 .LBB198_1494
; %bb.1492:
	s_wait_loadcnt 0x0
	global_load_b32 v8, v[4:5], off
	v_mov_b32_e32 v9, 0
	s_mov_b32 s7, 0
	s_branch .LBB198_1495
.LBB198_1493:
	s_mov_b32 s7, -1
                                        ; implicit-def: $vgpr8_vgpr9
	s_branch .LBB198_1498
.LBB198_1494:
	s_mov_b32 s7, -1
                                        ; implicit-def: $vgpr8_vgpr9
.LBB198_1495:
	s_delay_alu instid0(SALU_CYCLE_1)
	s_and_not1_b32 vcc_lo, exec_lo, s7
	s_cbranch_vccnz .LBB198_1497
; %bb.1496:
	s_wait_loadcnt 0x0
	global_load_u16 v8, v[4:5], off
	s_mov_b32 s7, 0
	s_delay_alu instid0(SALU_CYCLE_1)
	v_mov_b32_e32 v9, s7
	s_wait_loadcnt 0x0
	v_and_b32_e32 v8, 0xffff, v8
.LBB198_1497:
	s_mov_b32 s7, 0
.LBB198_1498:
	s_delay_alu instid0(SALU_CYCLE_1)
	s_and_not1_b32 vcc_lo, exec_lo, s7
	s_cbranch_vccnz .LBB198_1504
; %bb.1499:
	global_load_u8 v10, v[4:5], off
	s_mov_b32 s13, 0
	s_mov_b32 s7, exec_lo
	s_wait_loadcnt 0x0
	v_cmpx_lt_i16_e32 0x7f, v10
	s_xor_b32 s7, exec_lo, s7
	s_cbranch_execz .LBB198_1516
; %bb.1500:
	v_cmp_ne_u16_e32 vcc_lo, 0x80, v10
	s_and_b32 s13, vcc_lo, exec_lo
	s_and_not1_saveexec_b32 s7, s7
	s_cbranch_execnz .LBB198_1517
.LBB198_1501:
	s_or_b32 exec_lo, exec_lo, s7
	v_mov_b64_e32 v[8:9], 0
	s_and_saveexec_b32 s7, s13
	s_cbranch_execz .LBB198_1503
.LBB198_1502:
	v_and_b32_e32 v8, 0xffff, v10
	s_delay_alu instid0(VALU_DEP_1) | instskip(SKIP_1) | instid1(VALU_DEP_2)
	v_and_b32_e32 v9, 7, v8
	v_bfe_u32 v14, v8, 3, 4
	v_clz_i32_u32_e32 v11, v9
	s_delay_alu instid0(VALU_DEP_2) | instskip(NEXT) | instid1(VALU_DEP_2)
	v_cmp_eq_u32_e32 vcc_lo, 0, v14
	v_min_u32_e32 v11, 32, v11
	s_delay_alu instid0(VALU_DEP_1) | instskip(NEXT) | instid1(VALU_DEP_1)
	v_subrev_nc_u32_e32 v13, 28, v11
	v_dual_lshlrev_b32 v8, v13, v8 :: v_dual_sub_nc_u32 v11, 29, v11
	s_delay_alu instid0(VALU_DEP_1) | instskip(NEXT) | instid1(VALU_DEP_1)
	v_dual_lshlrev_b32 v10, 24, v10 :: v_dual_bitop2_b32 v8, 7, v8 bitop3:0x40
	v_dual_cndmask_b32 v11, v14, v11 :: v_dual_cndmask_b32 v8, v9, v8
	s_delay_alu instid0(VALU_DEP_2) | instskip(NEXT) | instid1(VALU_DEP_2)
	v_and_b32_e32 v9, 0x80000000, v10
	v_lshl_add_u32 v10, v11, 23, 0x3b800000
	s_delay_alu instid0(VALU_DEP_3) | instskip(NEXT) | instid1(VALU_DEP_1)
	v_lshlrev_b32_e32 v8, 20, v8
	v_or3_b32 v8, v9, v10, v8
	s_delay_alu instid0(VALU_DEP_1) | instskip(NEXT) | instid1(VALU_DEP_1)
	v_trunc_f32_e32 v8, v8
	v_mul_f32_e64 v9, 0x2f800000, |v8|
	s_delay_alu instid0(VALU_DEP_1) | instskip(NEXT) | instid1(VALU_DEP_1)
	v_floor_f32_e32 v9, v9
	v_fma_f32 v10, 0xcf800000, v9, |v8|
	v_ashrrev_i32_e32 v8, 31, v8
	v_cvt_u32_f32_e32 v11, v9
	s_delay_alu instid0(VALU_DEP_3) | instskip(NEXT) | instid1(VALU_DEP_2)
	v_cvt_u32_f32_e32 v10, v10
	v_dual_mov_b32 v9, v8 :: v_dual_bitop2_b32 v11, v11, v8 bitop3:0x14
	s_delay_alu instid0(VALU_DEP_2) | instskip(NEXT) | instid1(VALU_DEP_1)
	v_xor_b32_e32 v10, v10, v8
	v_sub_nc_u64_e32 v[8:9], v[10:11], v[8:9]
.LBB198_1503:
	s_or_b32 exec_lo, exec_lo, s7
.LBB198_1504:
	s_mov_b32 s7, -1
.LBB198_1505:
	s_mov_b32 s13, 0
.LBB198_1506:
	s_delay_alu instid0(SALU_CYCLE_1)
	s_and_b32 vcc_lo, exec_lo, s13
	s_cbranch_vccz .LBB198_1537
; %bb.1507:
	s_cmp_gt_i32 s0, 22
	s_cbranch_scc0 .LBB198_1515
; %bb.1508:
	s_cmp_lt_i32 s0, 24
	s_cbranch_scc1 .LBB198_1518
; %bb.1509:
	s_cmp_gt_i32 s0, 24
	s_cbranch_scc0 .LBB198_1519
; %bb.1510:
	global_load_u8 v10, v[4:5], off
	s_mov_b32 s7, 0
	s_mov_b32 s6, exec_lo
	s_wait_loadcnt 0x0
	v_cmpx_lt_i16_e32 0x7f, v10
	s_xor_b32 s6, exec_lo, s6
	s_cbranch_execz .LBB198_1531
; %bb.1511:
	v_cmp_ne_u16_e32 vcc_lo, 0x80, v10
	s_and_b32 s7, vcc_lo, exec_lo
	s_and_not1_saveexec_b32 s6, s6
	s_cbranch_execnz .LBB198_1532
.LBB198_1512:
	s_or_b32 exec_lo, exec_lo, s6
	v_mov_b64_e32 v[8:9], 0
	s_and_saveexec_b32 s6, s7
	s_cbranch_execz .LBB198_1514
.LBB198_1513:
	v_and_b32_e32 v8, 0xffff, v10
	s_delay_alu instid0(VALU_DEP_1) | instskip(SKIP_1) | instid1(VALU_DEP_2)
	v_and_b32_e32 v9, 3, v8
	v_bfe_u32 v14, v8, 2, 5
	v_clz_i32_u32_e32 v11, v9
	s_delay_alu instid0(VALU_DEP_2) | instskip(NEXT) | instid1(VALU_DEP_2)
	v_cmp_eq_u32_e32 vcc_lo, 0, v14
	v_min_u32_e32 v11, 32, v11
	s_delay_alu instid0(VALU_DEP_1) | instskip(NEXT) | instid1(VALU_DEP_1)
	v_subrev_nc_u32_e32 v13, 29, v11
	v_dual_lshlrev_b32 v8, v13, v8 :: v_dual_sub_nc_u32 v11, 30, v11
	s_delay_alu instid0(VALU_DEP_1) | instskip(NEXT) | instid1(VALU_DEP_1)
	v_dual_lshlrev_b32 v10, 24, v10 :: v_dual_bitop2_b32 v8, 3, v8 bitop3:0x40
	v_dual_cndmask_b32 v11, v14, v11 :: v_dual_cndmask_b32 v8, v9, v8
	s_delay_alu instid0(VALU_DEP_2) | instskip(NEXT) | instid1(VALU_DEP_2)
	v_and_b32_e32 v9, 0x80000000, v10
	v_lshl_add_u32 v10, v11, 23, 0x37800000
	s_delay_alu instid0(VALU_DEP_3) | instskip(NEXT) | instid1(VALU_DEP_1)
	v_lshlrev_b32_e32 v8, 21, v8
	v_or3_b32 v8, v9, v10, v8
	s_delay_alu instid0(VALU_DEP_1) | instskip(NEXT) | instid1(VALU_DEP_1)
	v_trunc_f32_e32 v8, v8
	v_mul_f32_e64 v9, 0x2f800000, |v8|
	s_delay_alu instid0(VALU_DEP_1) | instskip(NEXT) | instid1(VALU_DEP_1)
	v_floor_f32_e32 v9, v9
	v_fma_f32 v10, 0xcf800000, v9, |v8|
	v_ashrrev_i32_e32 v8, 31, v8
	v_cvt_u32_f32_e32 v11, v9
	s_delay_alu instid0(VALU_DEP_3) | instskip(NEXT) | instid1(VALU_DEP_2)
	v_cvt_u32_f32_e32 v10, v10
	v_dual_mov_b32 v9, v8 :: v_dual_bitop2_b32 v11, v11, v8 bitop3:0x14
	s_delay_alu instid0(VALU_DEP_2) | instskip(NEXT) | instid1(VALU_DEP_1)
	v_xor_b32_e32 v10, v10, v8
	v_sub_nc_u64_e32 v[8:9], v[10:11], v[8:9]
.LBB198_1514:
	s_or_b32 exec_lo, exec_lo, s6
	s_mov_b32 s6, 0
	s_branch .LBB198_1520
.LBB198_1515:
	s_mov_b32 s6, -1
                                        ; implicit-def: $vgpr8_vgpr9
	s_branch .LBB198_1526
.LBB198_1516:
	s_and_not1_saveexec_b32 s7, s7
	s_cbranch_execz .LBB198_1501
.LBB198_1517:
	v_cmp_ne_u16_e32 vcc_lo, 0, v10
	s_and_not1_b32 s13, s13, exec_lo
	s_and_b32 s17, vcc_lo, exec_lo
	s_delay_alu instid0(SALU_CYCLE_1)
	s_or_b32 s13, s13, s17
	s_or_b32 exec_lo, exec_lo, s7
	v_mov_b64_e32 v[8:9], 0
	s_and_saveexec_b32 s7, s13
	s_cbranch_execnz .LBB198_1502
	s_branch .LBB198_1503
.LBB198_1518:
	s_mov_b32 s6, -1
                                        ; implicit-def: $vgpr8_vgpr9
	s_branch .LBB198_1523
.LBB198_1519:
	s_mov_b32 s6, -1
                                        ; implicit-def: $vgpr8_vgpr9
.LBB198_1520:
	s_delay_alu instid0(SALU_CYCLE_1)
	s_and_b32 vcc_lo, exec_lo, s6
	s_cbranch_vccz .LBB198_1522
; %bb.1521:
	s_wait_loadcnt 0x0
	global_load_u8 v8, v[4:5], off
	s_wait_loadcnt 0x0
	v_lshlrev_b32_e32 v8, 24, v8
	s_delay_alu instid0(VALU_DEP_1) | instskip(NEXT) | instid1(VALU_DEP_1)
	v_and_b32_e32 v9, 0x7f000000, v8
	v_clz_i32_u32_e32 v10, v9
	v_add_nc_u32_e32 v13, 0x1000000, v9
	v_cmp_ne_u32_e32 vcc_lo, 0, v9
	s_delay_alu instid0(VALU_DEP_3) | instskip(NEXT) | instid1(VALU_DEP_1)
	v_min_u32_e32 v10, 32, v10
	v_sub_nc_u32_e64 v10, v10, 4 clamp
	s_delay_alu instid0(VALU_DEP_1) | instskip(NEXT) | instid1(VALU_DEP_1)
	v_dual_lshlrev_b32 v11, v10, v9 :: v_dual_lshlrev_b32 v10, 23, v10
	v_lshrrev_b32_e32 v11, 4, v11
	s_delay_alu instid0(VALU_DEP_1) | instskip(NEXT) | instid1(VALU_DEP_1)
	v_dual_sub_nc_u32 v10, v11, v10 :: v_dual_ashrrev_i32 v11, 8, v13
	v_add_nc_u32_e32 v10, 0x3c000000, v10
	s_delay_alu instid0(VALU_DEP_1) | instskip(NEXT) | instid1(VALU_DEP_1)
	v_and_or_b32 v10, 0x7f800000, v11, v10
	v_cndmask_b32_e32 v9, 0, v10, vcc_lo
	s_delay_alu instid0(VALU_DEP_1) | instskip(NEXT) | instid1(VALU_DEP_1)
	v_and_or_b32 v8, 0x80000000, v8, v9
	v_trunc_f32_e32 v8, v8
	s_delay_alu instid0(VALU_DEP_1) | instskip(NEXT) | instid1(VALU_DEP_1)
	v_mul_f32_e64 v9, 0x2f800000, |v8|
	v_floor_f32_e32 v9, v9
	s_delay_alu instid0(VALU_DEP_1) | instskip(SKIP_2) | instid1(VALU_DEP_3)
	v_fma_f32 v10, 0xcf800000, v9, |v8|
	v_ashrrev_i32_e32 v8, 31, v8
	v_cvt_u32_f32_e32 v11, v9
	v_cvt_u32_f32_e32 v10, v10
	s_delay_alu instid0(VALU_DEP_2) | instskip(NEXT) | instid1(VALU_DEP_2)
	v_dual_mov_b32 v9, v8 :: v_dual_bitop2_b32 v11, v11, v8 bitop3:0x14
	v_xor_b32_e32 v10, v10, v8
	s_delay_alu instid0(VALU_DEP_1)
	v_sub_nc_u64_e32 v[8:9], v[10:11], v[8:9]
.LBB198_1522:
	s_mov_b32 s6, 0
.LBB198_1523:
	s_delay_alu instid0(SALU_CYCLE_1)
	s_and_not1_b32 vcc_lo, exec_lo, s6
	s_cbranch_vccnz .LBB198_1525
; %bb.1524:
	s_wait_loadcnt 0x0
	global_load_u8 v8, v[4:5], off
	s_wait_loadcnt 0x0
	v_lshlrev_b32_e32 v9, 25, v8
	v_lshlrev_b16 v8, 8, v8
	s_delay_alu instid0(VALU_DEP_1) | instskip(SKIP_1) | instid1(VALU_DEP_2)
	v_and_or_b32 v11, 0x7f00, v8, 0.5
	v_bfe_i32 v8, v8, 0, 16
	v_dual_add_f32 v11, -0.5, v11 :: v_dual_lshrrev_b32 v10, 4, v9
	v_cmp_gt_u32_e32 vcc_lo, 0x8000000, v9
	s_delay_alu instid0(VALU_DEP_2) | instskip(NEXT) | instid1(VALU_DEP_1)
	v_or_b32_e32 v10, 0x70000000, v10
	v_mul_f32_e32 v10, 0x7800000, v10
	s_delay_alu instid0(VALU_DEP_1) | instskip(NEXT) | instid1(VALU_DEP_1)
	v_cndmask_b32_e32 v9, v10, v11, vcc_lo
	v_and_or_b32 v8, 0x80000000, v8, v9
	s_delay_alu instid0(VALU_DEP_1) | instskip(NEXT) | instid1(VALU_DEP_1)
	v_trunc_f32_e32 v8, v8
	v_mul_f32_e64 v9, 0x2f800000, |v8|
	s_delay_alu instid0(VALU_DEP_1) | instskip(NEXT) | instid1(VALU_DEP_1)
	v_floor_f32_e32 v9, v9
	v_fma_f32 v10, 0xcf800000, v9, |v8|
	v_ashrrev_i32_e32 v8, 31, v8
	v_cvt_u32_f32_e32 v11, v9
	s_delay_alu instid0(VALU_DEP_3) | instskip(NEXT) | instid1(VALU_DEP_2)
	v_cvt_u32_f32_e32 v10, v10
	v_dual_mov_b32 v9, v8 :: v_dual_bitop2_b32 v11, v11, v8 bitop3:0x14
	s_delay_alu instid0(VALU_DEP_2) | instskip(NEXT) | instid1(VALU_DEP_1)
	v_xor_b32_e32 v10, v10, v8
	v_sub_nc_u64_e32 v[8:9], v[10:11], v[8:9]
.LBB198_1525:
	s_mov_b32 s6, 0
	s_mov_b32 s7, -1
.LBB198_1526:
	s_and_not1_b32 vcc_lo, exec_lo, s6
	s_mov_b32 s6, 0
	s_cbranch_vccnz .LBB198_1537
; %bb.1527:
	s_cmp_gt_i32 s0, 14
	s_cbranch_scc0 .LBB198_1530
; %bb.1528:
	s_cmp_eq_u32 s0, 15
	s_cbranch_scc0 .LBB198_1533
; %bb.1529:
	s_wait_loadcnt 0x0
	global_load_u16 v8, v[4:5], off
	s_mov_b32 s3, 0
	s_mov_b32 s7, -1
	s_wait_loadcnt 0x0
	v_lshlrev_b32_e32 v8, 16, v8
	s_delay_alu instid0(VALU_DEP_1) | instskip(NEXT) | instid1(VALU_DEP_1)
	v_trunc_f32_e32 v8, v8
	v_mul_f32_e64 v9, 0x2f800000, |v8|
	s_delay_alu instid0(VALU_DEP_1) | instskip(NEXT) | instid1(VALU_DEP_1)
	v_floor_f32_e32 v9, v9
	v_fma_f32 v10, 0xcf800000, v9, |v8|
	v_ashrrev_i32_e32 v8, 31, v8
	v_cvt_u32_f32_e32 v11, v9
	s_delay_alu instid0(VALU_DEP_3) | instskip(NEXT) | instid1(VALU_DEP_2)
	v_cvt_u32_f32_e32 v10, v10
	v_dual_mov_b32 v9, v8 :: v_dual_bitop2_b32 v11, v11, v8 bitop3:0x14
	s_delay_alu instid0(VALU_DEP_2) | instskip(NEXT) | instid1(VALU_DEP_1)
	v_xor_b32_e32 v10, v10, v8
	v_sub_nc_u64_e32 v[8:9], v[10:11], v[8:9]
	s_branch .LBB198_1535
.LBB198_1530:
	s_mov_b32 s6, -1
	s_branch .LBB198_1534
.LBB198_1531:
	s_and_not1_saveexec_b32 s6, s6
	s_cbranch_execz .LBB198_1512
.LBB198_1532:
	v_cmp_ne_u16_e32 vcc_lo, 0, v10
	s_and_not1_b32 s7, s7, exec_lo
	s_and_b32 s13, vcc_lo, exec_lo
	s_delay_alu instid0(SALU_CYCLE_1)
	s_or_b32 s7, s7, s13
	s_or_b32 exec_lo, exec_lo, s6
	v_mov_b64_e32 v[8:9], 0
	s_and_saveexec_b32 s6, s7
	s_cbranch_execnz .LBB198_1513
	s_branch .LBB198_1514
.LBB198_1533:
	s_mov_b32 s3, -1
.LBB198_1534:
                                        ; implicit-def: $vgpr8_vgpr9
.LBB198_1535:
	s_and_b32 vcc_lo, exec_lo, s6
	s_mov_b32 s6, 0
	s_cbranch_vccz .LBB198_1537
; %bb.1536:
	s_cmp_lg_u32 s0, 11
	s_mov_b32 s6, -1
	s_cselect_b32 s3, -1, 0
.LBB198_1537:
	s_delay_alu instid0(SALU_CYCLE_1)
	s_and_b32 vcc_lo, exec_lo, s3
	s_cbranch_vccnz .LBB198_2083
; %bb.1538:
	s_and_not1_b32 vcc_lo, exec_lo, s6
	s_cbranch_vccnz .LBB198_1540
.LBB198_1539:
	s_wait_loadcnt 0x0
	global_load_u8 v8, v[4:5], off
	s_mov_b32 s3, 0
	s_mov_b32 s7, -1
	v_mov_b32_e32 v9, s3
	s_wait_loadcnt 0x0
	v_cmp_ne_u16_e32 vcc_lo, 0, v8
	v_cndmask_b32_e64 v8, 0, 1, vcc_lo
.LBB198_1540:
	s_mov_b32 s3, 0
.LBB198_1541:
	s_delay_alu instid0(SALU_CYCLE_1)
	s_and_b32 vcc_lo, exec_lo, s3
	s_cbranch_vccz .LBB198_1590
; %bb.1542:
	s_cmp_lt_i32 s0, 5
	s_cbranch_scc1 .LBB198_1547
; %bb.1543:
	s_cmp_lt_i32 s0, 8
	s_cbranch_scc1 .LBB198_1548
	;; [unrolled: 3-line block ×3, first 2 shown]
; %bb.1545:
	s_cmp_gt_i32 s0, 9
	s_cbranch_scc0 .LBB198_1550
; %bb.1546:
	s_wait_loadcnt 0x0
	global_load_b64 v[8:9], v[4:5], off
	s_mov_b32 s3, 0
	s_wait_loadcnt 0x0
	v_trunc_f64_e32 v[8:9], v[8:9]
	s_delay_alu instid0(VALU_DEP_1) | instskip(NEXT) | instid1(VALU_DEP_1)
	v_ldexp_f64 v[10:11], v[8:9], 0xffffffe0
	v_floor_f64_e32 v[10:11], v[10:11]
	s_delay_alu instid0(VALU_DEP_1) | instskip(SKIP_1) | instid1(VALU_DEP_2)
	v_fmamk_f64 v[14:15], v[10:11], 0xc1f00000, v[8:9]
	v_cvt_i32_f64_e32 v9, v[10:11]
	v_cvt_u32_f64_e32 v8, v[14:15]
	s_branch .LBB198_1551
.LBB198_1547:
	s_mov_b32 s3, -1
                                        ; implicit-def: $vgpr8_vgpr9
	s_branch .LBB198_1569
.LBB198_1548:
	s_mov_b32 s3, -1
                                        ; implicit-def: $vgpr8_vgpr9
	s_branch .LBB198_1557
.LBB198_1549:
	s_mov_b32 s3, -1
                                        ; implicit-def: $vgpr8_vgpr9
	s_branch .LBB198_1554
.LBB198_1550:
	s_mov_b32 s3, -1
                                        ; implicit-def: $vgpr8_vgpr9
.LBB198_1551:
	s_delay_alu instid0(SALU_CYCLE_1)
	s_and_not1_b32 vcc_lo, exec_lo, s3
	s_cbranch_vccnz .LBB198_1553
; %bb.1552:
	s_wait_loadcnt 0x0
	global_load_b32 v8, v[4:5], off
	s_wait_loadcnt 0x0
	v_trunc_f32_e32 v8, v8
	s_delay_alu instid0(VALU_DEP_1) | instskip(NEXT) | instid1(VALU_DEP_1)
	v_mul_f32_e64 v9, 0x2f800000, |v8|
	v_floor_f32_e32 v9, v9
	s_delay_alu instid0(VALU_DEP_1) | instskip(SKIP_2) | instid1(VALU_DEP_3)
	v_fma_f32 v10, 0xcf800000, v9, |v8|
	v_ashrrev_i32_e32 v8, 31, v8
	v_cvt_u32_f32_e32 v11, v9
	v_cvt_u32_f32_e32 v10, v10
	s_delay_alu instid0(VALU_DEP_2) | instskip(NEXT) | instid1(VALU_DEP_2)
	v_dual_mov_b32 v9, v8 :: v_dual_bitop2_b32 v11, v11, v8 bitop3:0x14
	v_xor_b32_e32 v10, v10, v8
	s_delay_alu instid0(VALU_DEP_1)
	v_sub_nc_u64_e32 v[8:9], v[10:11], v[8:9]
.LBB198_1553:
	s_mov_b32 s3, 0
.LBB198_1554:
	s_delay_alu instid0(SALU_CYCLE_1)
	s_and_not1_b32 vcc_lo, exec_lo, s3
	s_cbranch_vccnz .LBB198_1556
; %bb.1555:
	s_wait_loadcnt 0x0
	global_load_b32 v8, v[4:5], off
	s_wait_loadcnt 0x0
	v_cvt_f32_f16_e32 v8, v8
	s_delay_alu instid0(VALU_DEP_1) | instskip(NEXT) | instid1(VALU_DEP_1)
	v_cvt_i32_f32_e32 v8, v8
	v_ashrrev_i32_e32 v9, 31, v8
.LBB198_1556:
	s_mov_b32 s3, 0
.LBB198_1557:
	s_delay_alu instid0(SALU_CYCLE_1)
	s_and_not1_b32 vcc_lo, exec_lo, s3
	s_cbranch_vccnz .LBB198_1568
; %bb.1558:
	s_cmp_lt_i32 s0, 6
	s_cbranch_scc1 .LBB198_1561
; %bb.1559:
	s_cmp_gt_i32 s0, 6
	s_cbranch_scc0 .LBB198_1562
; %bb.1560:
	s_wait_loadcnt 0x0
	global_load_b64 v[8:9], v[4:5], off
	s_mov_b32 s3, 0
	s_wait_loadcnt 0x0
	v_trunc_f64_e32 v[8:9], v[8:9]
	s_delay_alu instid0(VALU_DEP_1) | instskip(NEXT) | instid1(VALU_DEP_1)
	v_ldexp_f64 v[10:11], v[8:9], 0xffffffe0
	v_floor_f64_e32 v[10:11], v[10:11]
	s_delay_alu instid0(VALU_DEP_1) | instskip(SKIP_1) | instid1(VALU_DEP_2)
	v_fmamk_f64 v[14:15], v[10:11], 0xc1f00000, v[8:9]
	v_cvt_i32_f64_e32 v9, v[10:11]
	v_cvt_u32_f64_e32 v8, v[14:15]
	s_branch .LBB198_1563
.LBB198_1561:
	s_mov_b32 s3, -1
                                        ; implicit-def: $vgpr8_vgpr9
	s_branch .LBB198_1566
.LBB198_1562:
	s_mov_b32 s3, -1
                                        ; implicit-def: $vgpr8_vgpr9
.LBB198_1563:
	s_delay_alu instid0(SALU_CYCLE_1)
	s_and_not1_b32 vcc_lo, exec_lo, s3
	s_cbranch_vccnz .LBB198_1565
; %bb.1564:
	s_wait_loadcnt 0x0
	global_load_b32 v8, v[4:5], off
	s_wait_loadcnt 0x0
	v_trunc_f32_e32 v8, v8
	s_delay_alu instid0(VALU_DEP_1) | instskip(NEXT) | instid1(VALU_DEP_1)
	v_mul_f32_e64 v9, 0x2f800000, |v8|
	v_floor_f32_e32 v9, v9
	s_delay_alu instid0(VALU_DEP_1) | instskip(SKIP_2) | instid1(VALU_DEP_3)
	v_fma_f32 v10, 0xcf800000, v9, |v8|
	v_ashrrev_i32_e32 v8, 31, v8
	v_cvt_u32_f32_e32 v11, v9
	v_cvt_u32_f32_e32 v10, v10
	s_delay_alu instid0(VALU_DEP_2) | instskip(NEXT) | instid1(VALU_DEP_2)
	v_dual_mov_b32 v9, v8 :: v_dual_bitop2_b32 v11, v11, v8 bitop3:0x14
	v_xor_b32_e32 v10, v10, v8
	s_delay_alu instid0(VALU_DEP_1)
	v_sub_nc_u64_e32 v[8:9], v[10:11], v[8:9]
.LBB198_1565:
	s_mov_b32 s3, 0
.LBB198_1566:
	s_delay_alu instid0(SALU_CYCLE_1)
	s_and_not1_b32 vcc_lo, exec_lo, s3
	s_cbranch_vccnz .LBB198_1568
; %bb.1567:
	s_wait_loadcnt 0x0
	global_load_u16 v8, v[4:5], off
	s_wait_loadcnt 0x0
	v_cvt_f32_f16_e32 v8, v8
	s_delay_alu instid0(VALU_DEP_1) | instskip(NEXT) | instid1(VALU_DEP_1)
	v_cvt_i32_f32_e32 v8, v8
	v_ashrrev_i32_e32 v9, 31, v8
.LBB198_1568:
	s_mov_b32 s3, 0
.LBB198_1569:
	s_delay_alu instid0(SALU_CYCLE_1)
	s_and_not1_b32 vcc_lo, exec_lo, s3
	s_cbranch_vccnz .LBB198_1589
; %bb.1570:
	s_cmp_lt_i32 s0, 2
	s_cbranch_scc1 .LBB198_1574
; %bb.1571:
	s_cmp_lt_i32 s0, 3
	s_cbranch_scc1 .LBB198_1575
; %bb.1572:
	s_cmp_gt_i32 s0, 3
	s_cbranch_scc0 .LBB198_1576
; %bb.1573:
	s_wait_loadcnt 0x0
	global_load_b64 v[8:9], v[4:5], off
	s_mov_b32 s3, 0
	s_branch .LBB198_1577
.LBB198_1574:
	s_mov_b32 s3, -1
                                        ; implicit-def: $vgpr8_vgpr9
	s_branch .LBB198_1583
.LBB198_1575:
	s_mov_b32 s3, -1
                                        ; implicit-def: $vgpr8_vgpr9
	s_branch .LBB198_1580
.LBB198_1576:
	s_mov_b32 s3, -1
                                        ; implicit-def: $vgpr8_vgpr9
.LBB198_1577:
	s_delay_alu instid0(SALU_CYCLE_1)
	s_and_not1_b32 vcc_lo, exec_lo, s3
	s_cbranch_vccnz .LBB198_1579
; %bb.1578:
	s_wait_loadcnt 0x0
	global_load_b32 v8, v[4:5], off
	s_wait_loadcnt 0x0
	v_ashrrev_i32_e32 v9, 31, v8
.LBB198_1579:
	s_mov_b32 s3, 0
.LBB198_1580:
	s_delay_alu instid0(SALU_CYCLE_1)
	s_and_not1_b32 vcc_lo, exec_lo, s3
	s_cbranch_vccnz .LBB198_1582
; %bb.1581:
	s_wait_loadcnt 0x0
	global_load_u16 v8, v[4:5], off
	s_wait_loadcnt 0x0
	v_bfe_i32 v8, v8, 0, 16
	s_delay_alu instid0(VALU_DEP_1)
	v_ashrrev_i32_e32 v9, 31, v8
.LBB198_1582:
	s_mov_b32 s3, 0
.LBB198_1583:
	s_delay_alu instid0(SALU_CYCLE_1)
	s_and_not1_b32 vcc_lo, exec_lo, s3
	s_cbranch_vccnz .LBB198_1589
; %bb.1584:
	s_cmp_gt_i32 s0, 0
	s_mov_b32 s0, 0
	s_cbranch_scc0 .LBB198_1586
; %bb.1585:
	s_wait_loadcnt 0x0
	global_load_i8 v8, v[4:5], off
	s_wait_loadcnt 0x0
	v_bfe_i32 v8, v8, 0, 16
	s_delay_alu instid0(VALU_DEP_1)
	v_ashrrev_i32_e32 v9, 31, v8
	s_branch .LBB198_1587
.LBB198_1586:
	s_mov_b32 s0, -1
                                        ; implicit-def: $vgpr8_vgpr9
.LBB198_1587:
	s_delay_alu instid0(SALU_CYCLE_1)
	s_and_not1_b32 vcc_lo, exec_lo, s0
	s_cbranch_vccnz .LBB198_1589
; %bb.1588:
	global_load_u8 v4, v[4:5], off
	s_mov_b32 s0, 0
	s_wait_loadcnt 0x1
	v_mov_b32_e32 v9, s0
	s_wait_loadcnt 0x0
	v_and_b32_e32 v8, 0xffff, v4
.LBB198_1589:
	s_mov_b32 s7, -1
.LBB198_1590:
	s_delay_alu instid0(SALU_CYCLE_1)
	s_and_not1_b32 vcc_lo, exec_lo, s7
	s_cbranch_vccnz .LBB198_1594
; %bb.1591:
	s_cmp_lt_i32 s14, 1
	s_mov_b32 s0, 0
	s_cbranch_scc1 .LBB198_1639
; %bb.1592:
	s_cmp_eq_u32 s14, 1
	s_cbranch_scc0 .LBB198_1640
; %bb.1593:
	s_wait_loadcnt 0x0
	s_delay_alu instid0(VALU_DEP_1)
	v_min_i64 v[4:5], v[8:9], s[8:9]
	s_mov_b32 s3, 0
	s_branch .LBB198_1641
.LBB198_1594:
	s_mov_b32 s0, 0
	s_mov_b32 s3, 0
                                        ; implicit-def: $sgpr17
                                        ; implicit-def: $vgpr0_vgpr1
                                        ; implicit-def: $vgpr4_vgpr5
.LBB198_1595:
	s_and_not1_b32 s2, s16, exec_lo
	s_and_b32 s4, s1, exec_lo
	s_and_b32 s0, s0, exec_lo
	;; [unrolled: 1-line block ×3, first 2 shown]
	s_or_b32 s16, s2, s4
.LBB198_1596:
	s_wait_xcnt 0x0
	s_or_b32 exec_lo, exec_lo, s15
	s_and_saveexec_b32 s2, s16
	s_cbranch_execz .LBB198_1599
; %bb.1597:
	; divergent unreachable
	s_or_b32 exec_lo, exec_lo, s2
	s_and_saveexec_b32 s2, s1
	s_delay_alu instid0(SALU_CYCLE_1)
	s_xor_b32 s1, exec_lo, s2
	s_cbranch_execnz .LBB198_1600
.LBB198_1598:
	s_or_b32 exec_lo, exec_lo, s1
	s_and_saveexec_b32 s1, s0
	s_cbranch_execnz .LBB198_1601
	s_branch .LBB198_1638
.LBB198_1599:
	s_or_b32 exec_lo, exec_lo, s2
	s_and_saveexec_b32 s2, s1
	s_delay_alu instid0(SALU_CYCLE_1)
	s_xor_b32 s1, exec_lo, s2
	s_cbranch_execz .LBB198_1598
.LBB198_1600:
	s_wait_loadcnt 0x0
	v_cmp_ne_u64_e32 vcc_lo, 0, v[4:5]
	v_cndmask_b32_e64 v2, 0, 1, vcc_lo
	global_store_b8 v[0:1], v2, off
	s_wait_xcnt 0x0
	s_or_b32 exec_lo, exec_lo, s1
	s_and_saveexec_b32 s1, s0
	s_cbranch_execz .LBB198_1638
.LBB198_1601:
	s_sext_i32_i16 s1, s17
	s_mov_b32 s0, -1
	s_cmp_lt_i32 s1, 5
	s_cbranch_scc1 .LBB198_1622
; %bb.1602:
	s_cmp_lt_i32 s1, 8
	s_cbranch_scc1 .LBB198_1612
; %bb.1603:
	;; [unrolled: 3-line block ×3, first 2 shown]
	s_cmp_gt_i32 s1, 9
	s_cbranch_scc0 .LBB198_1606
; %bb.1605:
	s_wait_loadcnt 0x0
	v_cvt_f64_i32_e32 v[2:3], v5
	v_cvt_f64_u32_e32 v[6:7], v4
	s_mov_b32 s0, 0
	v_mov_b32_e32 v8, 0
	s_delay_alu instid0(VALU_DEP_1) | instskip(NEXT) | instid1(VALU_DEP_4)
	v_mov_b32_e32 v9, v8
	v_ldexp_f64 v[2:3], v[2:3], 32
	s_delay_alu instid0(VALU_DEP_1)
	v_add_f64_e32 v[6:7], v[2:3], v[6:7]
	global_store_b128 v[0:1], v[6:9], off
.LBB198_1606:
	s_and_not1_b32 vcc_lo, exec_lo, s0
	s_cbranch_vccnz .LBB198_1608
; %bb.1607:
	s_wait_loadcnt 0x0
	v_xor_b32_e32 v2, v4, v5
	v_cls_i32_e32 v3, v5
	s_delay_alu instid0(VALU_DEP_2) | instskip(NEXT) | instid1(VALU_DEP_1)
	v_ashrrev_i32_e32 v2, 31, v2
	v_add_nc_u32_e32 v2, 32, v2
	s_wait_xcnt 0x0
	s_delay_alu instid0(VALU_DEP_1) | instskip(NEXT) | instid1(VALU_DEP_1)
	v_add_min_u32_e64 v6, v3, -1, v2
	v_lshlrev_b64_e32 v[2:3], v6, v[4:5]
	s_delay_alu instid0(VALU_DEP_1) | instskip(NEXT) | instid1(VALU_DEP_1)
	v_min_u32_e32 v2, 1, v2
	v_or_b32_e32 v2, v3, v2
	v_sub_nc_u32_e32 v3, 32, v6
	s_delay_alu instid0(VALU_DEP_2) | instskip(NEXT) | instid1(VALU_DEP_1)
	v_cvt_f32_i32_e32 v2, v2
	v_ldexp_f32 v2, v2, v3
	v_mov_b32_e32 v3, 0
	global_store_b64 v[0:1], v[2:3], off
.LBB198_1608:
	s_mov_b32 s0, 0
.LBB198_1609:
	s_delay_alu instid0(SALU_CYCLE_1)
	s_and_not1_b32 vcc_lo, exec_lo, s0
	s_cbranch_vccnz .LBB198_1611
; %bb.1610:
	s_wait_loadcnt 0x0
	v_xor_b32_e32 v2, v4, v5
	v_cls_i32_e32 v3, v5
	s_delay_alu instid0(VALU_DEP_2) | instskip(NEXT) | instid1(VALU_DEP_1)
	v_ashrrev_i32_e32 v2, 31, v2
	v_add_nc_u32_e32 v2, 32, v2
	s_delay_alu instid0(VALU_DEP_1) | instskip(NEXT) | instid1(VALU_DEP_1)
	v_add_min_u32_e64 v6, v3, -1, v2
	v_lshlrev_b64_e32 v[2:3], v6, v[4:5]
	s_delay_alu instid0(VALU_DEP_1) | instskip(NEXT) | instid1(VALU_DEP_1)
	v_min_u32_e32 v2, 1, v2
	v_or_b32_e32 v2, v3, v2
	v_sub_nc_u32_e32 v3, 32, v6
	s_delay_alu instid0(VALU_DEP_2) | instskip(NEXT) | instid1(VALU_DEP_1)
	v_cvt_f32_i32_e32 v2, v2
	v_ldexp_f32 v2, v2, v3
	s_delay_alu instid0(VALU_DEP_1) | instskip(NEXT) | instid1(VALU_DEP_1)
	v_cvt_f16_f32_e32 v2, v2
	v_and_b32_e32 v2, 0xffff, v2
	global_store_b32 v[0:1], v2, off
.LBB198_1611:
	s_mov_b32 s0, 0
.LBB198_1612:
	s_delay_alu instid0(SALU_CYCLE_1)
	s_and_not1_b32 vcc_lo, exec_lo, s0
	s_cbranch_vccnz .LBB198_1621
; %bb.1613:
	s_sext_i32_i16 s1, s17
	s_mov_b32 s0, -1
	s_cmp_lt_i32 s1, 6
	s_cbranch_scc1 .LBB198_1619
; %bb.1614:
	s_cmp_gt_i32 s1, 6
	s_cbranch_scc0 .LBB198_1616
; %bb.1615:
	s_wait_loadcnt 0x0
	v_cvt_f64_i32_e32 v[2:3], v5
	v_cvt_f64_u32_e32 v[6:7], v4
	s_mov_b32 s0, 0
	s_delay_alu instid0(VALU_DEP_2) | instskip(NEXT) | instid1(VALU_DEP_1)
	v_ldexp_f64 v[2:3], v[2:3], 32
	v_add_f64_e32 v[2:3], v[2:3], v[6:7]
	global_store_b64 v[0:1], v[2:3], off
.LBB198_1616:
	s_and_not1_b32 vcc_lo, exec_lo, s0
	s_cbranch_vccnz .LBB198_1618
; %bb.1617:
	s_wait_loadcnt 0x0
	v_xor_b32_e32 v2, v4, v5
	v_cls_i32_e32 v3, v5
	s_delay_alu instid0(VALU_DEP_2) | instskip(NEXT) | instid1(VALU_DEP_1)
	v_ashrrev_i32_e32 v2, 31, v2
	v_add_nc_u32_e32 v2, 32, v2
	s_delay_alu instid0(VALU_DEP_1) | instskip(NEXT) | instid1(VALU_DEP_1)
	v_add_min_u32_e64 v6, v3, -1, v2
	v_lshlrev_b64_e32 v[2:3], v6, v[4:5]
	s_delay_alu instid0(VALU_DEP_1) | instskip(NEXT) | instid1(VALU_DEP_1)
	v_min_u32_e32 v2, 1, v2
	v_or_b32_e32 v2, v3, v2
	v_sub_nc_u32_e32 v3, 32, v6
	s_delay_alu instid0(VALU_DEP_2) | instskip(NEXT) | instid1(VALU_DEP_1)
	v_cvt_f32_i32_e32 v2, v2
	v_ldexp_f32 v2, v2, v3
	global_store_b32 v[0:1], v2, off
.LBB198_1618:
	s_mov_b32 s0, 0
.LBB198_1619:
	s_delay_alu instid0(SALU_CYCLE_1)
	s_and_not1_b32 vcc_lo, exec_lo, s0
	s_cbranch_vccnz .LBB198_1621
; %bb.1620:
	s_wait_loadcnt 0x0
	v_xor_b32_e32 v2, v4, v5
	v_cls_i32_e32 v3, v5
	s_delay_alu instid0(VALU_DEP_2) | instskip(NEXT) | instid1(VALU_DEP_1)
	v_ashrrev_i32_e32 v2, 31, v2
	v_add_nc_u32_e32 v2, 32, v2
	s_delay_alu instid0(VALU_DEP_1) | instskip(NEXT) | instid1(VALU_DEP_1)
	v_add_min_u32_e64 v6, v3, -1, v2
	v_lshlrev_b64_e32 v[2:3], v6, v[4:5]
	s_delay_alu instid0(VALU_DEP_1) | instskip(NEXT) | instid1(VALU_DEP_1)
	v_min_u32_e32 v2, 1, v2
	v_or_b32_e32 v2, v3, v2
	v_sub_nc_u32_e32 v3, 32, v6
	s_delay_alu instid0(VALU_DEP_2) | instskip(NEXT) | instid1(VALU_DEP_1)
	v_cvt_f32_i32_e32 v2, v2
	v_ldexp_f32 v2, v2, v3
	s_delay_alu instid0(VALU_DEP_1)
	v_cvt_f16_f32_e32 v2, v2
	global_store_b16 v[0:1], v2, off
.LBB198_1621:
	s_mov_b32 s0, 0
.LBB198_1622:
	s_delay_alu instid0(SALU_CYCLE_1)
	s_and_not1_b32 vcc_lo, exec_lo, s0
	s_cbranch_vccnz .LBB198_1638
; %bb.1623:
	s_sext_i32_i16 s1, s17
	s_mov_b32 s0, -1
	s_cmp_lt_i32 s1, 2
	s_cbranch_scc1 .LBB198_1633
; %bb.1624:
	s_cmp_lt_i32 s1, 3
	s_cbranch_scc1 .LBB198_1630
; %bb.1625:
	s_cmp_gt_i32 s1, 3
	s_cbranch_scc0 .LBB198_1627
; %bb.1626:
	s_mov_b32 s0, 0
	s_wait_loadcnt 0x0
	global_store_b64 v[0:1], v[4:5], off
.LBB198_1627:
	s_and_not1_b32 vcc_lo, exec_lo, s0
	s_cbranch_vccnz .LBB198_1629
; %bb.1628:
	s_wait_loadcnt 0x0
	global_store_b32 v[0:1], v4, off
.LBB198_1629:
	s_mov_b32 s0, 0
.LBB198_1630:
	s_delay_alu instid0(SALU_CYCLE_1)
	s_and_not1_b32 vcc_lo, exec_lo, s0
	s_cbranch_vccnz .LBB198_1632
; %bb.1631:
	s_wait_loadcnt 0x0
	global_store_b16 v[0:1], v4, off
.LBB198_1632:
	s_mov_b32 s0, 0
.LBB198_1633:
	s_delay_alu instid0(SALU_CYCLE_1)
	s_and_not1_b32 vcc_lo, exec_lo, s0
	s_cbranch_vccnz .LBB198_1638
; %bb.1634:
	s_sext_i32_i16 s0, s17
	s_delay_alu instid0(SALU_CYCLE_1)
	s_cmp_gt_i32 s0, 0
	s_mov_b32 s0, -1
	s_cbranch_scc0 .LBB198_1636
; %bb.1635:
	s_mov_b32 s0, 0
	s_wait_loadcnt 0x0
	global_store_b8 v[0:1], v4, off
.LBB198_1636:
	s_and_not1_b32 vcc_lo, exec_lo, s0
	s_cbranch_vccnz .LBB198_1638
; %bb.1637:
	s_wait_loadcnt 0x0
	global_store_b8 v[0:1], v4, off
	s_endpgm
.LBB198_1638:
	s_endpgm
.LBB198_1639:
	s_mov_b32 s6, -1
	s_mov_b32 s3, 0
                                        ; implicit-def: $vgpr4_vgpr5
	s_branch .LBB198_1642
.LBB198_1640:
	s_mov_b32 s3, -1
                                        ; implicit-def: $vgpr4_vgpr5
.LBB198_1641:
	s_mov_b32 s6, 0
.LBB198_1642:
	s_delay_alu instid0(SALU_CYCLE_1)
	s_and_b32 vcc_lo, exec_lo, s6
	s_cbranch_vccz .LBB198_1724
; %bb.1643:
	s_cmp_lg_u32 s14, 0
	s_mov_b32 s0, -1
	s_cselect_b32 s3, -1, 0
	s_wait_loadcnt 0x0
	s_delay_alu instid0(VALU_DEP_1)
	v_max_i64 v[10:11], v[8:9], s[8:9]
	s_and_not1_b32 vcc_lo, exec_lo, s3
	s_cbranch_vccz .LBB198_1725
.LBB198_1644:
	s_and_not1_b32 vcc_lo, exec_lo, s0
	s_cbranch_vccnz .LBB198_1646
.LBB198_1645:
	s_wait_xcnt 0x0
	s_delay_alu instid0(VALU_DEP_1)
	v_mov_b64_e32 v[4:5], v[10:11]
.LBB198_1646:
	v_mul_lo_u32 v8, s12, v12
	s_and_b32 s17, s2, 0xff
	s_delay_alu instid0(SALU_CYCLE_1) | instskip(NEXT) | instid1(VALU_DEP_1)
	s_cmp_lt_i32 s17, 11
	v_ashrrev_i32_e32 v9, 31, v8
	s_delay_alu instid0(VALU_DEP_1)
	v_add_nc_u64_e32 v[10:11], s[4:5], v[8:9]
	s_cbranch_scc1 .LBB198_1726
; %bb.1647:
	s_and_b32 s2, 0xffff, s17
	s_mov_b32 s7, -1
	s_mov_b32 s3, 0
	s_cmp_gt_i32 s2, 25
	s_mov_b32 s6, 0
	s_mov_b32 s0, 0
	s_cbranch_scc0 .LBB198_1680
; %bb.1648:
	s_cmp_gt_i32 s2, 28
	s_cbranch_scc0 .LBB198_1663
; %bb.1649:
	s_cmp_gt_i32 s2, 43
	;; [unrolled: 3-line block ×3, first 2 shown]
	s_cbranch_scc0 .LBB198_1653
; %bb.1651:
	s_mov_b32 s0, -1
	s_mov_b32 s7, 0
	s_cmp_eq_u32 s2, 46
	s_cbranch_scc0 .LBB198_1653
; %bb.1652:
	v_xor_b32_e32 v9, v0, v1
	v_cls_i32_e32 v12, v1
	s_mov_b32 s6, -1
	s_mov_b32 s0, 0
	s_delay_alu instid0(VALU_DEP_2) | instskip(NEXT) | instid1(VALU_DEP_1)
	v_ashrrev_i32_e32 v9, 31, v9
	v_add_nc_u32_e32 v9, 32, v9
	s_delay_alu instid0(VALU_DEP_1) | instskip(NEXT) | instid1(VALU_DEP_1)
	v_add_min_u32_e64 v9, v12, -1, v9
	v_lshlrev_b64_e32 v[12:13], v9, v[0:1]
	v_sub_nc_u32_e32 v9, 32, v9
	s_delay_alu instid0(VALU_DEP_2) | instskip(NEXT) | instid1(VALU_DEP_1)
	v_min_u32_e32 v12, 1, v12
	v_or_b32_e32 v12, v13, v12
	s_delay_alu instid0(VALU_DEP_1) | instskip(NEXT) | instid1(VALU_DEP_1)
	v_cvt_f32_i32_e32 v12, v12
	v_ldexp_f32 v9, v12, v9
	s_delay_alu instid0(VALU_DEP_1) | instskip(NEXT) | instid1(VALU_DEP_1)
	v_bfe_u32 v12, v9, 16, 1
	v_add3_u32 v9, v9, v12, 0x7fff
	s_delay_alu instid0(VALU_DEP_1)
	v_lshrrev_b32_e32 v9, 16, v9
	global_store_b32 v[10:11], v9, off
.LBB198_1653:
	s_and_b32 vcc_lo, exec_lo, s7
	s_cbranch_vccz .LBB198_1658
; %bb.1654:
	s_cmp_eq_u32 s2, 44
	s_mov_b32 s0, -1
	s_cbranch_scc0 .LBB198_1658
; %bb.1655:
	s_wait_xcnt 0x0
	v_xor_b32_e32 v9, v0, v1
	v_cls_i32_e32 v12, v1
	s_mov_b32 s6, -1
	s_mov_b32 s7, exec_lo
	s_delay_alu instid0(VALU_DEP_2) | instskip(NEXT) | instid1(VALU_DEP_1)
	v_ashrrev_i32_e32 v9, 31, v9
	v_add_nc_u32_e32 v9, 32, v9
	s_delay_alu instid0(VALU_DEP_1) | instskip(NEXT) | instid1(VALU_DEP_1)
	v_add_min_u32_e64 v9, v12, -1, v9
	v_lshlrev_b64_e32 v[12:13], v9, v[0:1]
	v_sub_nc_u32_e32 v9, 32, v9
	s_delay_alu instid0(VALU_DEP_2) | instskip(NEXT) | instid1(VALU_DEP_1)
	v_min_u32_e32 v12, 1, v12
	v_or_b32_e32 v12, v13, v12
	s_delay_alu instid0(VALU_DEP_1) | instskip(NEXT) | instid1(VALU_DEP_1)
	v_cvt_f32_i32_e32 v12, v12
	v_ldexp_f32 v9, v12, v9
	v_mov_b32_e32 v12, 0xff
	s_delay_alu instid0(VALU_DEP_2) | instskip(NEXT) | instid1(VALU_DEP_1)
	v_bfe_u32 v13, v9, 23, 8
	v_cmpx_ne_u32_e32 0xff, v13
	s_cbranch_execz .LBB198_1657
; %bb.1656:
	v_and_b32_e32 v12, 0x400000, v9
	v_and_or_b32 v13, 0x3fffff, v9, v13
	v_lshrrev_b32_e32 v9, 23, v9
	s_delay_alu instid0(VALU_DEP_3) | instskip(NEXT) | instid1(VALU_DEP_3)
	v_cmp_ne_u32_e32 vcc_lo, 0, v12
	v_cmp_ne_u32_e64 s0, 0, v13
	s_and_b32 s0, vcc_lo, s0
	s_delay_alu instid0(SALU_CYCLE_1) | instskip(NEXT) | instid1(VALU_DEP_1)
	v_cndmask_b32_e64 v12, 0, 1, s0
	v_add_nc_u32_e32 v12, v9, v12
.LBB198_1657:
	s_or_b32 exec_lo, exec_lo, s7
	s_mov_b32 s0, 0
	global_store_b8 v[10:11], v12, off
.LBB198_1658:
	s_mov_b32 s7, 0
.LBB198_1659:
	s_delay_alu instid0(SALU_CYCLE_1)
	s_and_b32 vcc_lo, exec_lo, s7
	s_cbranch_vccz .LBB198_1662
; %bb.1660:
	s_cmp_eq_u32 s2, 29
	s_mov_b32 s0, -1
	s_cbranch_scc0 .LBB198_1662
; %bb.1661:
	s_mov_b32 s0, 0
	s_mov_b32 s6, -1
	global_store_b64 v[10:11], v[0:1], off
.LBB198_1662:
	s_mov_b32 s7, 0
.LBB198_1663:
	s_delay_alu instid0(SALU_CYCLE_1)
	s_and_b32 vcc_lo, exec_lo, s7
	s_cbranch_vccz .LBB198_1679
; %bb.1664:
	s_cmp_lt_i32 s2, 27
	s_mov_b32 s6, -1
	s_cbranch_scc1 .LBB198_1670
; %bb.1665:
	s_cmp_gt_i32 s2, 27
	s_cbranch_scc0 .LBB198_1667
; %bb.1666:
	s_mov_b32 s6, 0
	global_store_b32 v[10:11], v0, off
.LBB198_1667:
	s_and_not1_b32 vcc_lo, exec_lo, s6
	s_cbranch_vccnz .LBB198_1669
; %bb.1668:
	global_store_b16 v[10:11], v0, off
.LBB198_1669:
	s_mov_b32 s6, 0
.LBB198_1670:
	s_delay_alu instid0(SALU_CYCLE_1)
	s_and_not1_b32 vcc_lo, exec_lo, s6
	s_cbranch_vccnz .LBB198_1678
; %bb.1671:
	s_wait_xcnt 0x0
	v_xor_b32_e32 v9, v0, v1
	v_cls_i32_e32 v12, v1
	s_mov_b32 s6, exec_lo
	s_delay_alu instid0(VALU_DEP_2) | instskip(NEXT) | instid1(VALU_DEP_1)
	v_ashrrev_i32_e32 v9, 31, v9
	v_add_nc_u32_e32 v9, 32, v9
	s_delay_alu instid0(VALU_DEP_1) | instskip(NEXT) | instid1(VALU_DEP_1)
	v_add_min_u32_e64 v9, v12, -1, v9
	v_lshlrev_b64_e32 v[12:13], v9, v[0:1]
	v_sub_nc_u32_e32 v9, 32, v9
	s_delay_alu instid0(VALU_DEP_2) | instskip(NEXT) | instid1(VALU_DEP_1)
	v_min_u32_e32 v12, 1, v12
	v_or_b32_e32 v12, v13, v12
	v_mov_b32_e32 v13, 0x80
	s_delay_alu instid0(VALU_DEP_2) | instskip(NEXT) | instid1(VALU_DEP_1)
	v_cvt_f32_i32_e32 v12, v12
	v_ldexp_f32 v9, v12, v9
	s_delay_alu instid0(VALU_DEP_1) | instskip(NEXT) | instid1(VALU_DEP_1)
	v_and_b32_e32 v12, 0x7fffffff, v9
	v_cmpx_gt_u32_e32 0x43800000, v12
	s_cbranch_execz .LBB198_1677
; %bb.1672:
	v_cmp_lt_u32_e32 vcc_lo, 0x3bffffff, v12
	s_mov_b32 s7, 0
                                        ; implicit-def: $vgpr12
	s_and_saveexec_b32 s8, vcc_lo
	s_delay_alu instid0(SALU_CYCLE_1)
	s_xor_b32 s8, exec_lo, s8
	s_cbranch_execz .LBB198_2084
; %bb.1673:
	v_bfe_u32 v12, v9, 20, 1
	s_mov_b32 s7, exec_lo
	s_delay_alu instid0(VALU_DEP_1) | instskip(NEXT) | instid1(VALU_DEP_1)
	v_add3_u32 v12, v9, v12, 0x487ffff
	v_lshrrev_b32_e32 v12, 20, v12
	s_and_not1_saveexec_b32 s8, s8
	s_cbranch_execnz .LBB198_2085
.LBB198_1674:
	s_or_b32 exec_lo, exec_lo, s8
	v_mov_b32_e32 v13, 0
	s_and_saveexec_b32 s8, s7
.LBB198_1675:
	v_lshrrev_b32_e32 v9, 24, v9
	s_delay_alu instid0(VALU_DEP_1)
	v_and_or_b32 v13, 0x80, v9, v12
.LBB198_1676:
	s_or_b32 exec_lo, exec_lo, s8
.LBB198_1677:
	s_delay_alu instid0(SALU_CYCLE_1)
	s_or_b32 exec_lo, exec_lo, s6
	global_store_b8 v[10:11], v13, off
.LBB198_1678:
	s_mov_b32 s6, -1
.LBB198_1679:
	s_mov_b32 s7, 0
.LBB198_1680:
	s_delay_alu instid0(SALU_CYCLE_1)
	s_and_b32 vcc_lo, exec_lo, s7
	s_cbranch_vccz .LBB198_1720
; %bb.1681:
	s_cmp_gt_i32 s2, 22
	s_mov_b32 s3, -1
	s_cbranch_scc0 .LBB198_1713
; %bb.1682:
	s_cmp_lt_i32 s2, 24
	s_cbranch_scc1 .LBB198_1702
; %bb.1683:
	s_cmp_gt_i32 s2, 24
	s_cbranch_scc0 .LBB198_1691
; %bb.1684:
	s_wait_xcnt 0x0
	v_xor_b32_e32 v9, v0, v1
	v_cls_i32_e32 v12, v1
	s_mov_b32 s3, exec_lo
	s_delay_alu instid0(VALU_DEP_2) | instskip(NEXT) | instid1(VALU_DEP_1)
	v_ashrrev_i32_e32 v9, 31, v9
	v_add_nc_u32_e32 v9, 32, v9
	s_delay_alu instid0(VALU_DEP_1) | instskip(NEXT) | instid1(VALU_DEP_1)
	v_add_min_u32_e64 v9, v12, -1, v9
	v_lshlrev_b64_e32 v[12:13], v9, v[0:1]
	v_sub_nc_u32_e32 v9, 32, v9
	s_delay_alu instid0(VALU_DEP_2) | instskip(NEXT) | instid1(VALU_DEP_1)
	v_min_u32_e32 v12, 1, v12
	v_or_b32_e32 v12, v13, v12
	v_mov_b32_e32 v13, 0x80
	s_delay_alu instid0(VALU_DEP_2) | instskip(NEXT) | instid1(VALU_DEP_1)
	v_cvt_f32_i32_e32 v12, v12
	v_ldexp_f32 v9, v12, v9
	s_delay_alu instid0(VALU_DEP_1) | instskip(NEXT) | instid1(VALU_DEP_1)
	v_and_b32_e32 v12, 0x7fffffff, v9
	v_cmpx_gt_u32_e32 0x47800000, v12
	s_cbranch_execz .LBB198_1690
; %bb.1685:
	v_cmp_lt_u32_e32 vcc_lo, 0x37ffffff, v12
	s_mov_b32 s6, 0
                                        ; implicit-def: $vgpr12
	s_and_saveexec_b32 s7, vcc_lo
	s_delay_alu instid0(SALU_CYCLE_1)
	s_xor_b32 s7, exec_lo, s7
	s_cbranch_execz .LBB198_2087
; %bb.1686:
	v_bfe_u32 v12, v9, 21, 1
	s_mov_b32 s6, exec_lo
	s_delay_alu instid0(VALU_DEP_1) | instskip(NEXT) | instid1(VALU_DEP_1)
	v_add3_u32 v12, v9, v12, 0x88fffff
	v_lshrrev_b32_e32 v12, 21, v12
	s_and_not1_saveexec_b32 s7, s7
	s_cbranch_execnz .LBB198_2088
.LBB198_1687:
	s_or_b32 exec_lo, exec_lo, s7
	v_mov_b32_e32 v13, 0
	s_and_saveexec_b32 s7, s6
.LBB198_1688:
	v_lshrrev_b32_e32 v9, 24, v9
	s_delay_alu instid0(VALU_DEP_1)
	v_and_or_b32 v13, 0x80, v9, v12
.LBB198_1689:
	s_or_b32 exec_lo, exec_lo, s7
.LBB198_1690:
	s_delay_alu instid0(SALU_CYCLE_1)
	s_or_b32 exec_lo, exec_lo, s3
	s_mov_b32 s3, 0
	global_store_b8 v[10:11], v13, off
.LBB198_1691:
	s_and_b32 vcc_lo, exec_lo, s3
	s_cbranch_vccz .LBB198_1701
; %bb.1692:
	s_wait_xcnt 0x0
	v_xor_b32_e32 v9, v0, v1
	v_cls_i32_e32 v12, v1
	s_mov_b32 s3, exec_lo
	s_delay_alu instid0(VALU_DEP_2) | instskip(NEXT) | instid1(VALU_DEP_1)
	v_ashrrev_i32_e32 v9, 31, v9
	v_add_nc_u32_e32 v9, 32, v9
	s_delay_alu instid0(VALU_DEP_1) | instskip(NEXT) | instid1(VALU_DEP_1)
	v_add_min_u32_e64 v9, v12, -1, v9
	v_lshlrev_b64_e32 v[12:13], v9, v[0:1]
	v_sub_nc_u32_e32 v9, 32, v9
	s_delay_alu instid0(VALU_DEP_2) | instskip(NEXT) | instid1(VALU_DEP_1)
	v_min_u32_e32 v12, 1, v12
	v_or_b32_e32 v12, v13, v12
	s_delay_alu instid0(VALU_DEP_1) | instskip(NEXT) | instid1(VALU_DEP_1)
	v_cvt_f32_i32_e32 v12, v12
	v_ldexp_f32 v9, v12, v9
                                        ; implicit-def: $vgpr12
	s_delay_alu instid0(VALU_DEP_1) | instskip(NEXT) | instid1(VALU_DEP_1)
	v_and_b32_e32 v13, 0x7fffffff, v9
	v_cmpx_gt_u32_e32 0x43f00000, v13
	s_xor_b32 s3, exec_lo, s3
	s_cbranch_execz .LBB198_1698
; %bb.1693:
	s_mov_b32 s6, exec_lo
                                        ; implicit-def: $vgpr12
	v_cmpx_lt_u32_e32 0x3c7fffff, v13
	s_xor_b32 s6, exec_lo, s6
; %bb.1694:
	v_bfe_u32 v12, v9, 20, 1
	s_delay_alu instid0(VALU_DEP_1) | instskip(NEXT) | instid1(VALU_DEP_1)
	v_add3_u32 v12, v9, v12, 0x407ffff
	v_and_b32_e32 v13, 0xff00000, v12
	v_lshrrev_b32_e32 v12, 20, v12
	s_delay_alu instid0(VALU_DEP_2) | instskip(NEXT) | instid1(VALU_DEP_2)
	v_cmp_ne_u32_e32 vcc_lo, 0x7f00000, v13
	v_cndmask_b32_e32 v12, 0x7e, v12, vcc_lo
; %bb.1695:
	s_and_not1_saveexec_b32 s6, s6
; %bb.1696:
	v_add_f32_e64 v12, 0x46800000, |v9|
; %bb.1697:
	s_or_b32 exec_lo, exec_lo, s6
                                        ; implicit-def: $vgpr13
.LBB198_1698:
	s_and_not1_saveexec_b32 s3, s3
; %bb.1699:
	v_mov_b32_e32 v12, 0x7f
	v_cmp_lt_u32_e32 vcc_lo, 0x7f800000, v13
	s_delay_alu instid0(VALU_DEP_2)
	v_cndmask_b32_e32 v12, 0x7e, v12, vcc_lo
; %bb.1700:
	s_or_b32 exec_lo, exec_lo, s3
	v_lshrrev_b32_e32 v9, 24, v9
	s_delay_alu instid0(VALU_DEP_1)
	v_and_or_b32 v9, 0x80, v9, v12
	global_store_b8 v[10:11], v9, off
.LBB198_1701:
	s_mov_b32 s3, 0
.LBB198_1702:
	s_delay_alu instid0(SALU_CYCLE_1)
	s_and_not1_b32 vcc_lo, exec_lo, s3
	s_cbranch_vccnz .LBB198_1712
; %bb.1703:
	s_wait_xcnt 0x0
	v_xor_b32_e32 v9, v0, v1
	v_cls_i32_e32 v12, v1
	s_mov_b32 s3, exec_lo
	s_delay_alu instid0(VALU_DEP_2) | instskip(NEXT) | instid1(VALU_DEP_1)
	v_ashrrev_i32_e32 v9, 31, v9
	v_add_nc_u32_e32 v9, 32, v9
	s_delay_alu instid0(VALU_DEP_1) | instskip(NEXT) | instid1(VALU_DEP_1)
	v_add_min_u32_e64 v9, v12, -1, v9
	v_lshlrev_b64_e32 v[12:13], v9, v[0:1]
	v_sub_nc_u32_e32 v9, 32, v9
	s_delay_alu instid0(VALU_DEP_2) | instskip(NEXT) | instid1(VALU_DEP_1)
	v_min_u32_e32 v12, 1, v12
	v_or_b32_e32 v12, v13, v12
	s_delay_alu instid0(VALU_DEP_1) | instskip(NEXT) | instid1(VALU_DEP_1)
	v_cvt_f32_i32_e32 v12, v12
	v_ldexp_f32 v9, v12, v9
                                        ; implicit-def: $vgpr12
	s_delay_alu instid0(VALU_DEP_1) | instskip(NEXT) | instid1(VALU_DEP_1)
	v_and_b32_e32 v13, 0x7fffffff, v9
	v_cmpx_gt_u32_e32 0x47800000, v13
	s_xor_b32 s3, exec_lo, s3
	s_cbranch_execz .LBB198_1709
; %bb.1704:
	s_mov_b32 s6, exec_lo
                                        ; implicit-def: $vgpr12
	v_cmpx_lt_u32_e32 0x387fffff, v13
	s_xor_b32 s6, exec_lo, s6
; %bb.1705:
	v_bfe_u32 v12, v9, 21, 1
	s_delay_alu instid0(VALU_DEP_1) | instskip(NEXT) | instid1(VALU_DEP_1)
	v_add3_u32 v12, v9, v12, 0x80fffff
	v_lshrrev_b32_e32 v12, 21, v12
; %bb.1706:
	s_and_not1_saveexec_b32 s6, s6
; %bb.1707:
	v_add_f32_e64 v12, 0x43000000, |v9|
; %bb.1708:
	s_or_b32 exec_lo, exec_lo, s6
                                        ; implicit-def: $vgpr13
.LBB198_1709:
	s_and_not1_saveexec_b32 s3, s3
; %bb.1710:
	v_mov_b32_e32 v12, 0x7f
	v_cmp_lt_u32_e32 vcc_lo, 0x7f800000, v13
	s_delay_alu instid0(VALU_DEP_2)
	v_cndmask_b32_e32 v12, 0x7c, v12, vcc_lo
; %bb.1711:
	s_or_b32 exec_lo, exec_lo, s3
	v_lshrrev_b32_e32 v9, 24, v9
	s_delay_alu instid0(VALU_DEP_1)
	v_and_or_b32 v9, 0x80, v9, v12
	global_store_b8 v[10:11], v9, off
.LBB198_1712:
	s_mov_b32 s3, 0
	s_mov_b32 s6, -1
.LBB198_1713:
	s_and_not1_b32 vcc_lo, exec_lo, s3
	s_mov_b32 s3, 0
	s_cbranch_vccnz .LBB198_1720
; %bb.1714:
	s_cmp_gt_i32 s2, 14
	s_mov_b32 s3, -1
	s_cbranch_scc0 .LBB198_1718
; %bb.1715:
	s_cmp_eq_u32 s2, 15
	s_mov_b32 s0, -1
	s_cbranch_scc0 .LBB198_1717
; %bb.1716:
	s_wait_xcnt 0x0
	v_xor_b32_e32 v9, v0, v1
	v_cls_i32_e32 v12, v1
	s_mov_b32 s6, -1
	s_mov_b32 s0, 0
	s_delay_alu instid0(VALU_DEP_2) | instskip(NEXT) | instid1(VALU_DEP_1)
	v_ashrrev_i32_e32 v9, 31, v9
	v_add_nc_u32_e32 v9, 32, v9
	s_delay_alu instid0(VALU_DEP_1) | instskip(NEXT) | instid1(VALU_DEP_1)
	v_add_min_u32_e64 v9, v12, -1, v9
	v_lshlrev_b64_e32 v[12:13], v9, v[0:1]
	v_sub_nc_u32_e32 v9, 32, v9
	s_delay_alu instid0(VALU_DEP_2) | instskip(NEXT) | instid1(VALU_DEP_1)
	v_min_u32_e32 v12, 1, v12
	v_or_b32_e32 v12, v13, v12
	s_delay_alu instid0(VALU_DEP_1) | instskip(NEXT) | instid1(VALU_DEP_1)
	v_cvt_f32_i32_e32 v12, v12
	v_ldexp_f32 v9, v12, v9
	s_delay_alu instid0(VALU_DEP_1) | instskip(NEXT) | instid1(VALU_DEP_1)
	v_bfe_u32 v12, v9, 16, 1
	v_add3_u32 v9, v9, v12, 0x7fff
	global_store_d16_hi_b16 v[10:11], v9, off
.LBB198_1717:
	s_mov_b32 s3, 0
.LBB198_1718:
	s_delay_alu instid0(SALU_CYCLE_1)
	s_and_b32 vcc_lo, exec_lo, s3
	s_mov_b32 s3, 0
	s_cbranch_vccz .LBB198_1720
; %bb.1719:
	s_cmp_lg_u32 s2, 11
	s_mov_b32 s3, -1
	s_cselect_b32 s0, -1, 0
.LBB198_1720:
	s_delay_alu instid0(SALU_CYCLE_1)
	s_and_b32 vcc_lo, exec_lo, s0
	s_cbranch_vccnz .LBB198_2086
; %bb.1721:
	s_and_not1_b32 vcc_lo, exec_lo, s3
	s_cbranch_vccnz .LBB198_1723
.LBB198_1722:
	v_cmp_ne_u64_e32 vcc_lo, 0, v[0:1]
	s_mov_b32 s6, -1
	s_wait_xcnt 0x0
	v_cndmask_b32_e64 v9, 0, 1, vcc_lo
	global_store_b8 v[10:11], v9, off
.LBB198_1723:
	s_mov_b32 s0, 0
	s_branch .LBB198_1727
.LBB198_1724:
	s_wait_loadcnt 0x0
	s_delay_alu instid0(VALU_DEP_1)
	v_max_i64 v[10:11], v[8:9], s[8:9]
	s_and_not1_b32 vcc_lo, exec_lo, s3
	s_cbranch_vccnz .LBB198_1644
.LBB198_1725:
	s_wait_xcnt 0x0
	v_max_i64 v[4:5], v[8:9], s[8:9]
	s_delay_alu instid0(VALU_DEP_1)
	v_min_i64 v[4:5], v[4:5], s[10:11]
	s_cbranch_execz .LBB198_1645
	s_branch .LBB198_1646
.LBB198_1726:
	s_mov_b32 s0, -1
	s_mov_b32 s6, 0
.LBB198_1727:
	s_and_b32 vcc_lo, exec_lo, s0
	s_cbranch_vccz .LBB198_1766
; %bb.1728:
	s_and_b32 s0, 0xffff, s17
	s_mov_b32 s2, -1
	s_cmp_lt_i32 s0, 5
	s_cbranch_scc1 .LBB198_1749
; %bb.1729:
	s_cmp_lt_i32 s0, 8
	s_cbranch_scc1 .LBB198_1739
; %bb.1730:
	;; [unrolled: 3-line block ×3, first 2 shown]
	s_cmp_gt_i32 s0, 9
	s_cbranch_scc0 .LBB198_1733
; %bb.1732:
	s_wait_xcnt 0x0
	v_cvt_f64_i32_e32 v[12:13], v1
	v_cvt_f64_u32_e32 v[14:15], v0
	s_mov_b32 s2, 0
	s_delay_alu instid0(VALU_DEP_2) | instskip(NEXT) | instid1(VALU_DEP_1)
	v_ldexp_f64 v[12:13], v[12:13], 32
	v_dual_add_f64 v[12:13], v[12:13], v[14:15] :: v_dual_mov_b32 v14, 0
	s_delay_alu instid0(VALU_DEP_1)
	v_mov_b32_e32 v15, v14
	global_store_b128 v[10:11], v[12:15], off
.LBB198_1733:
	s_and_not1_b32 vcc_lo, exec_lo, s2
	s_cbranch_vccnz .LBB198_1735
; %bb.1734:
	s_wait_xcnt 0x0
	v_xor_b32_e32 v9, v0, v1
	v_cls_i32_e32 v12, v1
	s_delay_alu instid0(VALU_DEP_2) | instskip(NEXT) | instid1(VALU_DEP_1)
	v_ashrrev_i32_e32 v9, 31, v9
	v_add_nc_u32_e32 v9, 32, v9
	s_delay_alu instid0(VALU_DEP_1) | instskip(NEXT) | instid1(VALU_DEP_1)
	v_add_min_u32_e64 v9, v12, -1, v9
	v_lshlrev_b64_e32 v[12:13], v9, v[0:1]
	v_sub_nc_u32_e32 v9, 32, v9
	s_delay_alu instid0(VALU_DEP_2) | instskip(NEXT) | instid1(VALU_DEP_1)
	v_min_u32_e32 v12, 1, v12
	v_dual_mov_b32 v13, 0 :: v_dual_bitop2_b32 v12, v13, v12 bitop3:0x54
	s_delay_alu instid0(VALU_DEP_1) | instskip(NEXT) | instid1(VALU_DEP_1)
	v_cvt_f32_i32_e32 v12, v12
	v_ldexp_f32 v12, v12, v9
	global_store_b64 v[10:11], v[12:13], off
.LBB198_1735:
	s_mov_b32 s2, 0
.LBB198_1736:
	s_delay_alu instid0(SALU_CYCLE_1)
	s_and_not1_b32 vcc_lo, exec_lo, s2
	s_cbranch_vccnz .LBB198_1738
; %bb.1737:
	s_wait_xcnt 0x0
	v_xor_b32_e32 v9, v0, v1
	v_cls_i32_e32 v12, v1
	s_delay_alu instid0(VALU_DEP_2) | instskip(NEXT) | instid1(VALU_DEP_1)
	v_ashrrev_i32_e32 v9, 31, v9
	v_add_nc_u32_e32 v9, 32, v9
	s_delay_alu instid0(VALU_DEP_1) | instskip(NEXT) | instid1(VALU_DEP_1)
	v_add_min_u32_e64 v9, v12, -1, v9
	v_lshlrev_b64_e32 v[12:13], v9, v[0:1]
	v_sub_nc_u32_e32 v9, 32, v9
	s_delay_alu instid0(VALU_DEP_2) | instskip(NEXT) | instid1(VALU_DEP_1)
	v_min_u32_e32 v12, 1, v12
	v_or_b32_e32 v12, v13, v12
	s_delay_alu instid0(VALU_DEP_1) | instskip(NEXT) | instid1(VALU_DEP_1)
	v_cvt_f32_i32_e32 v12, v12
	v_ldexp_f32 v9, v12, v9
	s_delay_alu instid0(VALU_DEP_1) | instskip(NEXT) | instid1(VALU_DEP_1)
	v_cvt_f16_f32_e32 v9, v9
	v_and_b32_e32 v9, 0xffff, v9
	global_store_b32 v[10:11], v9, off
.LBB198_1738:
	s_mov_b32 s2, 0
.LBB198_1739:
	s_delay_alu instid0(SALU_CYCLE_1)
	s_and_not1_b32 vcc_lo, exec_lo, s2
	s_cbranch_vccnz .LBB198_1748
; %bb.1740:
	s_cmp_lt_i32 s0, 6
	s_mov_b32 s2, -1
	s_cbranch_scc1 .LBB198_1746
; %bb.1741:
	s_cmp_gt_i32 s0, 6
	s_cbranch_scc0 .LBB198_1743
; %bb.1742:
	s_wait_xcnt 0x0
	v_cvt_f64_i32_e32 v[12:13], v1
	v_cvt_f64_u32_e32 v[14:15], v0
	s_mov_b32 s2, 0
	s_delay_alu instid0(VALU_DEP_2) | instskip(NEXT) | instid1(VALU_DEP_1)
	v_ldexp_f64 v[12:13], v[12:13], 32
	v_add_f64_e32 v[12:13], v[12:13], v[14:15]
	global_store_b64 v[10:11], v[12:13], off
.LBB198_1743:
	s_and_not1_b32 vcc_lo, exec_lo, s2
	s_cbranch_vccnz .LBB198_1745
; %bb.1744:
	s_wait_xcnt 0x0
	v_xor_b32_e32 v9, v0, v1
	v_cls_i32_e32 v12, v1
	s_delay_alu instid0(VALU_DEP_2) | instskip(NEXT) | instid1(VALU_DEP_1)
	v_ashrrev_i32_e32 v9, 31, v9
	v_add_nc_u32_e32 v9, 32, v9
	s_delay_alu instid0(VALU_DEP_1) | instskip(NEXT) | instid1(VALU_DEP_1)
	v_add_min_u32_e64 v9, v12, -1, v9
	v_lshlrev_b64_e32 v[12:13], v9, v[0:1]
	v_sub_nc_u32_e32 v9, 32, v9
	s_delay_alu instid0(VALU_DEP_2) | instskip(NEXT) | instid1(VALU_DEP_1)
	v_min_u32_e32 v12, 1, v12
	v_or_b32_e32 v12, v13, v12
	s_delay_alu instid0(VALU_DEP_1) | instskip(NEXT) | instid1(VALU_DEP_1)
	v_cvt_f32_i32_e32 v12, v12
	v_ldexp_f32 v9, v12, v9
	global_store_b32 v[10:11], v9, off
.LBB198_1745:
	s_mov_b32 s2, 0
.LBB198_1746:
	s_delay_alu instid0(SALU_CYCLE_1)
	s_and_not1_b32 vcc_lo, exec_lo, s2
	s_cbranch_vccnz .LBB198_1748
; %bb.1747:
	s_wait_xcnt 0x0
	v_xor_b32_e32 v9, v0, v1
	v_cls_i32_e32 v12, v1
	s_delay_alu instid0(VALU_DEP_2) | instskip(NEXT) | instid1(VALU_DEP_1)
	v_ashrrev_i32_e32 v9, 31, v9
	v_add_nc_u32_e32 v9, 32, v9
	s_delay_alu instid0(VALU_DEP_1) | instskip(NEXT) | instid1(VALU_DEP_1)
	v_add_min_u32_e64 v9, v12, -1, v9
	v_lshlrev_b64_e32 v[12:13], v9, v[0:1]
	v_sub_nc_u32_e32 v9, 32, v9
	s_delay_alu instid0(VALU_DEP_2) | instskip(NEXT) | instid1(VALU_DEP_1)
	v_min_u32_e32 v12, 1, v12
	v_or_b32_e32 v12, v13, v12
	s_delay_alu instid0(VALU_DEP_1) | instskip(NEXT) | instid1(VALU_DEP_1)
	v_cvt_f32_i32_e32 v12, v12
	v_ldexp_f32 v9, v12, v9
	s_delay_alu instid0(VALU_DEP_1)
	v_cvt_f16_f32_e32 v9, v9
	global_store_b16 v[10:11], v9, off
.LBB198_1748:
	s_mov_b32 s2, 0
.LBB198_1749:
	s_delay_alu instid0(SALU_CYCLE_1)
	s_and_not1_b32 vcc_lo, exec_lo, s2
	s_cbranch_vccnz .LBB198_1765
; %bb.1750:
	s_cmp_lt_i32 s0, 2
	s_mov_b32 s2, -1
	s_cbranch_scc1 .LBB198_1760
; %bb.1751:
	s_cmp_lt_i32 s0, 3
	s_cbranch_scc1 .LBB198_1757
; %bb.1752:
	s_cmp_gt_i32 s0, 3
	s_cbranch_scc0 .LBB198_1754
; %bb.1753:
	s_mov_b32 s2, 0
	global_store_b64 v[10:11], v[0:1], off
.LBB198_1754:
	s_and_not1_b32 vcc_lo, exec_lo, s2
	s_cbranch_vccnz .LBB198_1756
; %bb.1755:
	global_store_b32 v[10:11], v0, off
.LBB198_1756:
	s_mov_b32 s2, 0
.LBB198_1757:
	s_delay_alu instid0(SALU_CYCLE_1)
	s_and_not1_b32 vcc_lo, exec_lo, s2
	s_cbranch_vccnz .LBB198_1759
; %bb.1758:
	global_store_b16 v[10:11], v0, off
.LBB198_1759:
	s_mov_b32 s2, 0
.LBB198_1760:
	s_delay_alu instid0(SALU_CYCLE_1)
	s_and_not1_b32 vcc_lo, exec_lo, s2
	s_cbranch_vccnz .LBB198_1765
; %bb.1761:
	s_cmp_gt_i32 s0, 0
	s_mov_b32 s0, -1
	s_cbranch_scc0 .LBB198_1763
; %bb.1762:
	s_mov_b32 s0, 0
	global_store_b8 v[10:11], v0, off
.LBB198_1763:
	s_and_not1_b32 vcc_lo, exec_lo, s0
	s_cbranch_vccnz .LBB198_1765
; %bb.1764:
	global_store_b8 v[10:11], v0, off
.LBB198_1765:
	s_mov_b32 s6, -1
.LBB198_1766:
	s_delay_alu instid0(SALU_CYCLE_1)
	s_and_not1_b32 vcc_lo, exec_lo, s6
	s_cbranch_vccnz .LBB198_2081
; %bb.1767:
	s_lshl_b32 s2, s12, 7
	s_cmp_lt_i32 s17, 11
	s_wait_xcnt 0x0
	v_add_nc_u32_e32 v0, s2, v8
	s_delay_alu instid0(VALU_DEP_1) | instskip(NEXT) | instid1(VALU_DEP_1)
	v_ashrrev_i32_e32 v1, 31, v0
	v_add_nc_u64_e32 v[8:9], s[4:5], v[0:1]
	s_cbranch_scc1 .LBB198_1845
; %bb.1768:
	s_and_b32 s3, 0xffff, s17
	s_mov_b32 s8, -1
	s_mov_b32 s6, 0
	s_cmp_gt_i32 s3, 25
	s_mov_b32 s7, 0
	s_mov_b32 s0, 0
	s_cbranch_scc0 .LBB198_1801
; %bb.1769:
	s_cmp_gt_i32 s3, 28
	s_cbranch_scc0 .LBB198_1784
; %bb.1770:
	s_cmp_gt_i32 s3, 43
	;; [unrolled: 3-line block ×3, first 2 shown]
	s_cbranch_scc0 .LBB198_1774
; %bb.1772:
	s_mov_b32 s0, -1
	s_mov_b32 s8, 0
	s_cmp_eq_u32 s3, 46
	s_cbranch_scc0 .LBB198_1774
; %bb.1773:
	v_xor_b32_e32 v1, v2, v3
	v_cls_i32_e32 v10, v3
	s_mov_b32 s7, -1
	s_mov_b32 s0, 0
	s_delay_alu instid0(VALU_DEP_2) | instskip(NEXT) | instid1(VALU_DEP_1)
	v_ashrrev_i32_e32 v1, 31, v1
	v_add_nc_u32_e32 v1, 32, v1
	s_delay_alu instid0(VALU_DEP_1) | instskip(NEXT) | instid1(VALU_DEP_1)
	v_add_min_u32_e64 v1, v10, -1, v1
	v_lshlrev_b64_e32 v[10:11], v1, v[2:3]
	v_sub_nc_u32_e32 v1, 32, v1
	s_delay_alu instid0(VALU_DEP_2) | instskip(NEXT) | instid1(VALU_DEP_1)
	v_min_u32_e32 v10, 1, v10
	v_or_b32_e32 v10, v11, v10
	s_delay_alu instid0(VALU_DEP_1) | instskip(NEXT) | instid1(VALU_DEP_1)
	v_cvt_f32_i32_e32 v10, v10
	v_ldexp_f32 v1, v10, v1
	s_delay_alu instid0(VALU_DEP_1) | instskip(NEXT) | instid1(VALU_DEP_1)
	v_bfe_u32 v10, v1, 16, 1
	v_add3_u32 v1, v1, v10, 0x7fff
	s_delay_alu instid0(VALU_DEP_1)
	v_lshrrev_b32_e32 v1, 16, v1
	global_store_b32 v[8:9], v1, off
.LBB198_1774:
	s_and_b32 vcc_lo, exec_lo, s8
	s_cbranch_vccz .LBB198_1779
; %bb.1775:
	s_cmp_eq_u32 s3, 44
	s_mov_b32 s0, -1
	s_cbranch_scc0 .LBB198_1779
; %bb.1776:
	s_wait_xcnt 0x0
	v_xor_b32_e32 v1, v2, v3
	v_cls_i32_e32 v10, v3
	s_mov_b32 s7, -1
	s_mov_b32 s8, exec_lo
	s_delay_alu instid0(VALU_DEP_2) | instskip(NEXT) | instid1(VALU_DEP_1)
	v_ashrrev_i32_e32 v1, 31, v1
	v_add_nc_u32_e32 v1, 32, v1
	s_delay_alu instid0(VALU_DEP_1) | instskip(NEXT) | instid1(VALU_DEP_1)
	v_add_min_u32_e64 v1, v10, -1, v1
	v_lshlrev_b64_e32 v[10:11], v1, v[2:3]
	v_sub_nc_u32_e32 v1, 32, v1
	s_delay_alu instid0(VALU_DEP_2) | instskip(NEXT) | instid1(VALU_DEP_1)
	v_min_u32_e32 v10, 1, v10
	v_or_b32_e32 v10, v11, v10
	s_delay_alu instid0(VALU_DEP_1) | instskip(NEXT) | instid1(VALU_DEP_1)
	v_cvt_f32_i32_e32 v10, v10
	v_ldexp_f32 v1, v10, v1
	v_mov_b32_e32 v10, 0xff
	s_delay_alu instid0(VALU_DEP_2) | instskip(NEXT) | instid1(VALU_DEP_1)
	v_bfe_u32 v11, v1, 23, 8
	v_cmpx_ne_u32_e32 0xff, v11
	s_cbranch_execz .LBB198_1778
; %bb.1777:
	v_and_b32_e32 v10, 0x400000, v1
	v_and_or_b32 v11, 0x3fffff, v1, v11
	v_lshrrev_b32_e32 v1, 23, v1
	s_delay_alu instid0(VALU_DEP_3) | instskip(NEXT) | instid1(VALU_DEP_3)
	v_cmp_ne_u32_e32 vcc_lo, 0, v10
	v_cmp_ne_u32_e64 s0, 0, v11
	s_and_b32 s0, vcc_lo, s0
	s_delay_alu instid0(SALU_CYCLE_1) | instskip(NEXT) | instid1(VALU_DEP_1)
	v_cndmask_b32_e64 v10, 0, 1, s0
	v_add_nc_u32_e32 v10, v1, v10
.LBB198_1778:
	s_or_b32 exec_lo, exec_lo, s8
	s_mov_b32 s0, 0
	global_store_b8 v[8:9], v10, off
.LBB198_1779:
	s_mov_b32 s8, 0
.LBB198_1780:
	s_delay_alu instid0(SALU_CYCLE_1)
	s_and_b32 vcc_lo, exec_lo, s8
	s_cbranch_vccz .LBB198_1783
; %bb.1781:
	s_cmp_eq_u32 s3, 29
	s_mov_b32 s0, -1
	s_cbranch_scc0 .LBB198_1783
; %bb.1782:
	s_mov_b32 s0, 0
	s_mov_b32 s7, -1
	global_store_b64 v[8:9], v[2:3], off
.LBB198_1783:
	s_mov_b32 s8, 0
.LBB198_1784:
	s_delay_alu instid0(SALU_CYCLE_1)
	s_and_b32 vcc_lo, exec_lo, s8
	s_cbranch_vccz .LBB198_1800
; %bb.1785:
	s_cmp_lt_i32 s3, 27
	s_mov_b32 s7, -1
	s_cbranch_scc1 .LBB198_1791
; %bb.1786:
	s_cmp_gt_i32 s3, 27
	s_cbranch_scc0 .LBB198_1788
; %bb.1787:
	s_mov_b32 s7, 0
	global_store_b32 v[8:9], v2, off
.LBB198_1788:
	s_and_not1_b32 vcc_lo, exec_lo, s7
	s_cbranch_vccnz .LBB198_1790
; %bb.1789:
	global_store_b16 v[8:9], v2, off
.LBB198_1790:
	s_mov_b32 s7, 0
.LBB198_1791:
	s_delay_alu instid0(SALU_CYCLE_1)
	s_and_not1_b32 vcc_lo, exec_lo, s7
	s_cbranch_vccnz .LBB198_1799
; %bb.1792:
	s_wait_xcnt 0x0
	v_xor_b32_e32 v1, v2, v3
	v_cls_i32_e32 v10, v3
	s_mov_b32 s7, exec_lo
	s_delay_alu instid0(VALU_DEP_2) | instskip(NEXT) | instid1(VALU_DEP_1)
	v_ashrrev_i32_e32 v1, 31, v1
	v_add_nc_u32_e32 v1, 32, v1
	s_delay_alu instid0(VALU_DEP_1) | instskip(NEXT) | instid1(VALU_DEP_1)
	v_add_min_u32_e64 v1, v10, -1, v1
	v_lshlrev_b64_e32 v[10:11], v1, v[2:3]
	v_sub_nc_u32_e32 v1, 32, v1
	s_delay_alu instid0(VALU_DEP_2) | instskip(NEXT) | instid1(VALU_DEP_1)
	v_min_u32_e32 v10, 1, v10
	v_or_b32_e32 v10, v11, v10
	v_mov_b32_e32 v11, 0x80
	s_delay_alu instid0(VALU_DEP_2) | instskip(NEXT) | instid1(VALU_DEP_1)
	v_cvt_f32_i32_e32 v10, v10
	v_ldexp_f32 v1, v10, v1
	s_delay_alu instid0(VALU_DEP_1) | instskip(NEXT) | instid1(VALU_DEP_1)
	v_and_b32_e32 v10, 0x7fffffff, v1
	v_cmpx_gt_u32_e32 0x43800000, v10
	s_cbranch_execz .LBB198_1798
; %bb.1793:
	v_cmp_lt_u32_e32 vcc_lo, 0x3bffffff, v10
	s_mov_b32 s8, 0
                                        ; implicit-def: $vgpr10
	s_and_saveexec_b32 s9, vcc_lo
	s_delay_alu instid0(SALU_CYCLE_1)
	s_xor_b32 s9, exec_lo, s9
	s_cbranch_execz .LBB198_2089
; %bb.1794:
	v_bfe_u32 v10, v1, 20, 1
	s_mov_b32 s8, exec_lo
	s_delay_alu instid0(VALU_DEP_1) | instskip(NEXT) | instid1(VALU_DEP_1)
	v_add3_u32 v10, v1, v10, 0x487ffff
	v_lshrrev_b32_e32 v10, 20, v10
	s_and_not1_saveexec_b32 s9, s9
	s_cbranch_execnz .LBB198_2090
.LBB198_1795:
	s_or_b32 exec_lo, exec_lo, s9
	v_mov_b32_e32 v11, 0
	s_and_saveexec_b32 s9, s8
.LBB198_1796:
	v_lshrrev_b32_e32 v1, 24, v1
	s_delay_alu instid0(VALU_DEP_1)
	v_and_or_b32 v11, 0x80, v1, v10
.LBB198_1797:
	s_or_b32 exec_lo, exec_lo, s9
.LBB198_1798:
	s_delay_alu instid0(SALU_CYCLE_1)
	s_or_b32 exec_lo, exec_lo, s7
	global_store_b8 v[8:9], v11, off
.LBB198_1799:
	s_mov_b32 s7, -1
.LBB198_1800:
	s_mov_b32 s8, 0
.LBB198_1801:
	s_delay_alu instid0(SALU_CYCLE_1)
	s_and_b32 vcc_lo, exec_lo, s8
	s_cbranch_vccz .LBB198_1841
; %bb.1802:
	s_cmp_gt_i32 s3, 22
	s_mov_b32 s6, -1
	s_cbranch_scc0 .LBB198_1834
; %bb.1803:
	s_cmp_lt_i32 s3, 24
	s_cbranch_scc1 .LBB198_1823
; %bb.1804:
	s_cmp_gt_i32 s3, 24
	s_cbranch_scc0 .LBB198_1812
; %bb.1805:
	s_wait_xcnt 0x0
	v_xor_b32_e32 v1, v2, v3
	v_cls_i32_e32 v10, v3
	s_mov_b32 s6, exec_lo
	s_delay_alu instid0(VALU_DEP_2) | instskip(NEXT) | instid1(VALU_DEP_1)
	v_ashrrev_i32_e32 v1, 31, v1
	v_add_nc_u32_e32 v1, 32, v1
	s_delay_alu instid0(VALU_DEP_1) | instskip(NEXT) | instid1(VALU_DEP_1)
	v_add_min_u32_e64 v1, v10, -1, v1
	v_lshlrev_b64_e32 v[10:11], v1, v[2:3]
	v_sub_nc_u32_e32 v1, 32, v1
	s_delay_alu instid0(VALU_DEP_2) | instskip(NEXT) | instid1(VALU_DEP_1)
	v_min_u32_e32 v10, 1, v10
	v_or_b32_e32 v10, v11, v10
	v_mov_b32_e32 v11, 0x80
	s_delay_alu instid0(VALU_DEP_2) | instskip(NEXT) | instid1(VALU_DEP_1)
	v_cvt_f32_i32_e32 v10, v10
	v_ldexp_f32 v1, v10, v1
	s_delay_alu instid0(VALU_DEP_1) | instskip(NEXT) | instid1(VALU_DEP_1)
	v_and_b32_e32 v10, 0x7fffffff, v1
	v_cmpx_gt_u32_e32 0x47800000, v10
	s_cbranch_execz .LBB198_1811
; %bb.1806:
	v_cmp_lt_u32_e32 vcc_lo, 0x37ffffff, v10
	s_mov_b32 s7, 0
                                        ; implicit-def: $vgpr10
	s_and_saveexec_b32 s8, vcc_lo
	s_delay_alu instid0(SALU_CYCLE_1)
	s_xor_b32 s8, exec_lo, s8
	s_cbranch_execz .LBB198_2092
; %bb.1807:
	v_bfe_u32 v10, v1, 21, 1
	s_mov_b32 s7, exec_lo
	s_delay_alu instid0(VALU_DEP_1) | instskip(NEXT) | instid1(VALU_DEP_1)
	v_add3_u32 v10, v1, v10, 0x88fffff
	v_lshrrev_b32_e32 v10, 21, v10
	s_and_not1_saveexec_b32 s8, s8
	s_cbranch_execnz .LBB198_2093
.LBB198_1808:
	s_or_b32 exec_lo, exec_lo, s8
	v_mov_b32_e32 v11, 0
	s_and_saveexec_b32 s8, s7
.LBB198_1809:
	v_lshrrev_b32_e32 v1, 24, v1
	s_delay_alu instid0(VALU_DEP_1)
	v_and_or_b32 v11, 0x80, v1, v10
.LBB198_1810:
	s_or_b32 exec_lo, exec_lo, s8
.LBB198_1811:
	s_delay_alu instid0(SALU_CYCLE_1)
	s_or_b32 exec_lo, exec_lo, s6
	s_mov_b32 s6, 0
	global_store_b8 v[8:9], v11, off
.LBB198_1812:
	s_and_b32 vcc_lo, exec_lo, s6
	s_cbranch_vccz .LBB198_1822
; %bb.1813:
	s_wait_xcnt 0x0
	v_xor_b32_e32 v1, v2, v3
	v_cls_i32_e32 v10, v3
	s_mov_b32 s6, exec_lo
	s_delay_alu instid0(VALU_DEP_2) | instskip(NEXT) | instid1(VALU_DEP_1)
	v_ashrrev_i32_e32 v1, 31, v1
	v_add_nc_u32_e32 v1, 32, v1
	s_delay_alu instid0(VALU_DEP_1) | instskip(NEXT) | instid1(VALU_DEP_1)
	v_add_min_u32_e64 v1, v10, -1, v1
	v_lshlrev_b64_e32 v[10:11], v1, v[2:3]
	v_sub_nc_u32_e32 v1, 32, v1
	s_delay_alu instid0(VALU_DEP_2) | instskip(NEXT) | instid1(VALU_DEP_1)
	v_min_u32_e32 v10, 1, v10
	v_or_b32_e32 v10, v11, v10
	s_delay_alu instid0(VALU_DEP_1) | instskip(NEXT) | instid1(VALU_DEP_1)
	v_cvt_f32_i32_e32 v10, v10
	v_ldexp_f32 v1, v10, v1
                                        ; implicit-def: $vgpr10
	s_delay_alu instid0(VALU_DEP_1) | instskip(NEXT) | instid1(VALU_DEP_1)
	v_and_b32_e32 v11, 0x7fffffff, v1
	v_cmpx_gt_u32_e32 0x43f00000, v11
	s_xor_b32 s6, exec_lo, s6
	s_cbranch_execz .LBB198_1819
; %bb.1814:
	s_mov_b32 s7, exec_lo
                                        ; implicit-def: $vgpr10
	v_cmpx_lt_u32_e32 0x3c7fffff, v11
	s_xor_b32 s7, exec_lo, s7
; %bb.1815:
	v_bfe_u32 v10, v1, 20, 1
	s_delay_alu instid0(VALU_DEP_1) | instskip(NEXT) | instid1(VALU_DEP_1)
	v_add3_u32 v10, v1, v10, 0x407ffff
	v_and_b32_e32 v11, 0xff00000, v10
	v_lshrrev_b32_e32 v10, 20, v10
	s_delay_alu instid0(VALU_DEP_2) | instskip(NEXT) | instid1(VALU_DEP_2)
	v_cmp_ne_u32_e32 vcc_lo, 0x7f00000, v11
	v_cndmask_b32_e32 v10, 0x7e, v10, vcc_lo
; %bb.1816:
	s_and_not1_saveexec_b32 s7, s7
; %bb.1817:
	v_add_f32_e64 v10, 0x46800000, |v1|
; %bb.1818:
	s_or_b32 exec_lo, exec_lo, s7
                                        ; implicit-def: $vgpr11
.LBB198_1819:
	s_and_not1_saveexec_b32 s6, s6
; %bb.1820:
	v_mov_b32_e32 v10, 0x7f
	v_cmp_lt_u32_e32 vcc_lo, 0x7f800000, v11
	s_delay_alu instid0(VALU_DEP_2)
	v_cndmask_b32_e32 v10, 0x7e, v10, vcc_lo
; %bb.1821:
	s_or_b32 exec_lo, exec_lo, s6
	v_lshrrev_b32_e32 v1, 24, v1
	s_delay_alu instid0(VALU_DEP_1)
	v_and_or_b32 v1, 0x80, v1, v10
	global_store_b8 v[8:9], v1, off
.LBB198_1822:
	s_mov_b32 s6, 0
.LBB198_1823:
	s_delay_alu instid0(SALU_CYCLE_1)
	s_and_not1_b32 vcc_lo, exec_lo, s6
	s_cbranch_vccnz .LBB198_1833
; %bb.1824:
	s_wait_xcnt 0x0
	v_xor_b32_e32 v1, v2, v3
	v_cls_i32_e32 v10, v3
	s_mov_b32 s6, exec_lo
	s_delay_alu instid0(VALU_DEP_2) | instskip(NEXT) | instid1(VALU_DEP_1)
	v_ashrrev_i32_e32 v1, 31, v1
	v_add_nc_u32_e32 v1, 32, v1
	s_delay_alu instid0(VALU_DEP_1) | instskip(NEXT) | instid1(VALU_DEP_1)
	v_add_min_u32_e64 v1, v10, -1, v1
	v_lshlrev_b64_e32 v[10:11], v1, v[2:3]
	v_sub_nc_u32_e32 v1, 32, v1
	s_delay_alu instid0(VALU_DEP_2) | instskip(NEXT) | instid1(VALU_DEP_1)
	v_min_u32_e32 v10, 1, v10
	v_or_b32_e32 v10, v11, v10
	s_delay_alu instid0(VALU_DEP_1) | instskip(NEXT) | instid1(VALU_DEP_1)
	v_cvt_f32_i32_e32 v10, v10
	v_ldexp_f32 v1, v10, v1
                                        ; implicit-def: $vgpr10
	s_delay_alu instid0(VALU_DEP_1) | instskip(NEXT) | instid1(VALU_DEP_1)
	v_and_b32_e32 v11, 0x7fffffff, v1
	v_cmpx_gt_u32_e32 0x47800000, v11
	s_xor_b32 s6, exec_lo, s6
	s_cbranch_execz .LBB198_1830
; %bb.1825:
	s_mov_b32 s7, exec_lo
                                        ; implicit-def: $vgpr10
	v_cmpx_lt_u32_e32 0x387fffff, v11
	s_xor_b32 s7, exec_lo, s7
; %bb.1826:
	v_bfe_u32 v10, v1, 21, 1
	s_delay_alu instid0(VALU_DEP_1) | instskip(NEXT) | instid1(VALU_DEP_1)
	v_add3_u32 v10, v1, v10, 0x80fffff
	v_lshrrev_b32_e32 v10, 21, v10
; %bb.1827:
	s_and_not1_saveexec_b32 s7, s7
; %bb.1828:
	v_add_f32_e64 v10, 0x43000000, |v1|
; %bb.1829:
	s_or_b32 exec_lo, exec_lo, s7
                                        ; implicit-def: $vgpr11
.LBB198_1830:
	s_and_not1_saveexec_b32 s6, s6
; %bb.1831:
	v_mov_b32_e32 v10, 0x7f
	v_cmp_lt_u32_e32 vcc_lo, 0x7f800000, v11
	s_delay_alu instid0(VALU_DEP_2)
	v_cndmask_b32_e32 v10, 0x7c, v10, vcc_lo
; %bb.1832:
	s_or_b32 exec_lo, exec_lo, s6
	v_lshrrev_b32_e32 v1, 24, v1
	s_delay_alu instid0(VALU_DEP_1)
	v_and_or_b32 v1, 0x80, v1, v10
	global_store_b8 v[8:9], v1, off
.LBB198_1833:
	s_mov_b32 s6, 0
	s_mov_b32 s7, -1
.LBB198_1834:
	s_and_not1_b32 vcc_lo, exec_lo, s6
	s_mov_b32 s6, 0
	s_cbranch_vccnz .LBB198_1841
; %bb.1835:
	s_cmp_gt_i32 s3, 14
	s_mov_b32 s6, -1
	s_cbranch_scc0 .LBB198_1839
; %bb.1836:
	s_cmp_eq_u32 s3, 15
	s_mov_b32 s0, -1
	s_cbranch_scc0 .LBB198_1838
; %bb.1837:
	s_wait_xcnt 0x0
	v_xor_b32_e32 v1, v2, v3
	v_cls_i32_e32 v10, v3
	s_mov_b32 s7, -1
	s_mov_b32 s0, 0
	s_delay_alu instid0(VALU_DEP_2) | instskip(NEXT) | instid1(VALU_DEP_1)
	v_ashrrev_i32_e32 v1, 31, v1
	v_add_nc_u32_e32 v1, 32, v1
	s_delay_alu instid0(VALU_DEP_1) | instskip(NEXT) | instid1(VALU_DEP_1)
	v_add_min_u32_e64 v1, v10, -1, v1
	v_lshlrev_b64_e32 v[10:11], v1, v[2:3]
	v_sub_nc_u32_e32 v1, 32, v1
	s_delay_alu instid0(VALU_DEP_2) | instskip(NEXT) | instid1(VALU_DEP_1)
	v_min_u32_e32 v10, 1, v10
	v_or_b32_e32 v10, v11, v10
	s_delay_alu instid0(VALU_DEP_1) | instskip(NEXT) | instid1(VALU_DEP_1)
	v_cvt_f32_i32_e32 v10, v10
	v_ldexp_f32 v1, v10, v1
	s_delay_alu instid0(VALU_DEP_1) | instskip(NEXT) | instid1(VALU_DEP_1)
	v_bfe_u32 v10, v1, 16, 1
	v_add3_u32 v1, v1, v10, 0x7fff
	global_store_d16_hi_b16 v[8:9], v1, off
.LBB198_1838:
	s_mov_b32 s6, 0
.LBB198_1839:
	s_delay_alu instid0(SALU_CYCLE_1)
	s_and_b32 vcc_lo, exec_lo, s6
	s_mov_b32 s6, 0
	s_cbranch_vccz .LBB198_1841
; %bb.1840:
	s_cmp_lg_u32 s3, 11
	s_mov_b32 s6, -1
	s_cselect_b32 s0, -1, 0
.LBB198_1841:
	s_delay_alu instid0(SALU_CYCLE_1)
	s_and_b32 vcc_lo, exec_lo, s0
	s_cbranch_vccnz .LBB198_2091
; %bb.1842:
	s_and_not1_b32 vcc_lo, exec_lo, s6
	s_cbranch_vccnz .LBB198_1844
.LBB198_1843:
	v_cmp_ne_u64_e32 vcc_lo, 0, v[2:3]
	s_mov_b32 s7, -1
	s_wait_xcnt 0x0
	v_cndmask_b32_e64 v1, 0, 1, vcc_lo
	global_store_b8 v[8:9], v1, off
.LBB198_1844:
	s_mov_b32 s0, 0
	s_branch .LBB198_1846
.LBB198_1845:
	s_mov_b32 s0, -1
	s_mov_b32 s7, 0
.LBB198_1846:
	s_and_b32 vcc_lo, exec_lo, s0
	s_cbranch_vccz .LBB198_1885
; %bb.1847:
	s_and_b32 s0, 0xffff, s17
	s_mov_b32 s3, -1
	s_cmp_lt_i32 s0, 5
	s_cbranch_scc1 .LBB198_1868
; %bb.1848:
	s_cmp_lt_i32 s0, 8
	s_cbranch_scc1 .LBB198_1858
; %bb.1849:
	;; [unrolled: 3-line block ×3, first 2 shown]
	s_cmp_gt_i32 s0, 9
	s_cbranch_scc0 .LBB198_1852
; %bb.1851:
	s_wait_xcnt 0x0
	v_cvt_f64_i32_e32 v[10:11], v3
	v_cvt_f64_u32_e32 v[12:13], v2
	s_mov_b32 s3, 0
	s_delay_alu instid0(VALU_DEP_2) | instskip(NEXT) | instid1(VALU_DEP_1)
	v_ldexp_f64 v[10:11], v[10:11], 32
	v_dual_add_f64 v[10:11], v[10:11], v[12:13] :: v_dual_mov_b32 v12, 0
	s_delay_alu instid0(VALU_DEP_1)
	v_mov_b32_e32 v13, v12
	global_store_b128 v[8:9], v[10:13], off
.LBB198_1852:
	s_and_not1_b32 vcc_lo, exec_lo, s3
	s_cbranch_vccnz .LBB198_1854
; %bb.1853:
	s_wait_xcnt 0x0
	v_xor_b32_e32 v1, v2, v3
	v_cls_i32_e32 v10, v3
	s_delay_alu instid0(VALU_DEP_2) | instskip(NEXT) | instid1(VALU_DEP_1)
	v_ashrrev_i32_e32 v1, 31, v1
	v_add_nc_u32_e32 v1, 32, v1
	s_delay_alu instid0(VALU_DEP_1) | instskip(NEXT) | instid1(VALU_DEP_1)
	v_add_min_u32_e64 v1, v10, -1, v1
	v_lshlrev_b64_e32 v[10:11], v1, v[2:3]
	v_sub_nc_u32_e32 v1, 32, v1
	s_delay_alu instid0(VALU_DEP_2) | instskip(NEXT) | instid1(VALU_DEP_1)
	v_min_u32_e32 v10, 1, v10
	v_dual_mov_b32 v11, 0 :: v_dual_bitop2_b32 v10, v11, v10 bitop3:0x54
	s_delay_alu instid0(VALU_DEP_1) | instskip(NEXT) | instid1(VALU_DEP_1)
	v_cvt_f32_i32_e32 v10, v10
	v_ldexp_f32 v10, v10, v1
	global_store_b64 v[8:9], v[10:11], off
.LBB198_1854:
	s_mov_b32 s3, 0
.LBB198_1855:
	s_delay_alu instid0(SALU_CYCLE_1)
	s_and_not1_b32 vcc_lo, exec_lo, s3
	s_cbranch_vccnz .LBB198_1857
; %bb.1856:
	s_wait_xcnt 0x0
	v_xor_b32_e32 v1, v2, v3
	v_cls_i32_e32 v10, v3
	s_delay_alu instid0(VALU_DEP_2) | instskip(NEXT) | instid1(VALU_DEP_1)
	v_ashrrev_i32_e32 v1, 31, v1
	v_add_nc_u32_e32 v1, 32, v1
	s_delay_alu instid0(VALU_DEP_1) | instskip(NEXT) | instid1(VALU_DEP_1)
	v_add_min_u32_e64 v1, v10, -1, v1
	v_lshlrev_b64_e32 v[10:11], v1, v[2:3]
	v_sub_nc_u32_e32 v1, 32, v1
	s_delay_alu instid0(VALU_DEP_2) | instskip(NEXT) | instid1(VALU_DEP_1)
	v_min_u32_e32 v10, 1, v10
	v_or_b32_e32 v10, v11, v10
	s_delay_alu instid0(VALU_DEP_1) | instskip(NEXT) | instid1(VALU_DEP_1)
	v_cvt_f32_i32_e32 v10, v10
	v_ldexp_f32 v1, v10, v1
	s_delay_alu instid0(VALU_DEP_1) | instskip(NEXT) | instid1(VALU_DEP_1)
	v_cvt_f16_f32_e32 v1, v1
	v_and_b32_e32 v1, 0xffff, v1
	global_store_b32 v[8:9], v1, off
.LBB198_1857:
	s_mov_b32 s3, 0
.LBB198_1858:
	s_delay_alu instid0(SALU_CYCLE_1)
	s_and_not1_b32 vcc_lo, exec_lo, s3
	s_cbranch_vccnz .LBB198_1867
; %bb.1859:
	s_cmp_lt_i32 s0, 6
	s_mov_b32 s3, -1
	s_cbranch_scc1 .LBB198_1865
; %bb.1860:
	s_cmp_gt_i32 s0, 6
	s_cbranch_scc0 .LBB198_1862
; %bb.1861:
	s_wait_xcnt 0x0
	v_cvt_f64_i32_e32 v[10:11], v3
	v_cvt_f64_u32_e32 v[12:13], v2
	s_mov_b32 s3, 0
	s_delay_alu instid0(VALU_DEP_2) | instskip(NEXT) | instid1(VALU_DEP_1)
	v_ldexp_f64 v[10:11], v[10:11], 32
	v_add_f64_e32 v[10:11], v[10:11], v[12:13]
	global_store_b64 v[8:9], v[10:11], off
.LBB198_1862:
	s_and_not1_b32 vcc_lo, exec_lo, s3
	s_cbranch_vccnz .LBB198_1864
; %bb.1863:
	s_wait_xcnt 0x0
	v_xor_b32_e32 v1, v2, v3
	v_cls_i32_e32 v10, v3
	s_delay_alu instid0(VALU_DEP_2) | instskip(NEXT) | instid1(VALU_DEP_1)
	v_ashrrev_i32_e32 v1, 31, v1
	v_add_nc_u32_e32 v1, 32, v1
	s_delay_alu instid0(VALU_DEP_1) | instskip(NEXT) | instid1(VALU_DEP_1)
	v_add_min_u32_e64 v1, v10, -1, v1
	v_lshlrev_b64_e32 v[10:11], v1, v[2:3]
	v_sub_nc_u32_e32 v1, 32, v1
	s_delay_alu instid0(VALU_DEP_2) | instskip(NEXT) | instid1(VALU_DEP_1)
	v_min_u32_e32 v10, 1, v10
	v_or_b32_e32 v10, v11, v10
	s_delay_alu instid0(VALU_DEP_1) | instskip(NEXT) | instid1(VALU_DEP_1)
	v_cvt_f32_i32_e32 v10, v10
	v_ldexp_f32 v1, v10, v1
	global_store_b32 v[8:9], v1, off
.LBB198_1864:
	s_mov_b32 s3, 0
.LBB198_1865:
	s_delay_alu instid0(SALU_CYCLE_1)
	s_and_not1_b32 vcc_lo, exec_lo, s3
	s_cbranch_vccnz .LBB198_1867
; %bb.1866:
	s_wait_xcnt 0x0
	v_xor_b32_e32 v1, v2, v3
	v_cls_i32_e32 v10, v3
	s_delay_alu instid0(VALU_DEP_2) | instskip(NEXT) | instid1(VALU_DEP_1)
	v_ashrrev_i32_e32 v1, 31, v1
	v_add_nc_u32_e32 v1, 32, v1
	s_delay_alu instid0(VALU_DEP_1) | instskip(NEXT) | instid1(VALU_DEP_1)
	v_add_min_u32_e64 v1, v10, -1, v1
	v_lshlrev_b64_e32 v[10:11], v1, v[2:3]
	v_sub_nc_u32_e32 v1, 32, v1
	s_delay_alu instid0(VALU_DEP_2) | instskip(NEXT) | instid1(VALU_DEP_1)
	v_min_u32_e32 v10, 1, v10
	v_or_b32_e32 v10, v11, v10
	s_delay_alu instid0(VALU_DEP_1) | instskip(NEXT) | instid1(VALU_DEP_1)
	v_cvt_f32_i32_e32 v10, v10
	v_ldexp_f32 v1, v10, v1
	s_delay_alu instid0(VALU_DEP_1)
	v_cvt_f16_f32_e32 v1, v1
	global_store_b16 v[8:9], v1, off
.LBB198_1867:
	s_mov_b32 s3, 0
.LBB198_1868:
	s_delay_alu instid0(SALU_CYCLE_1)
	s_and_not1_b32 vcc_lo, exec_lo, s3
	s_cbranch_vccnz .LBB198_1884
; %bb.1869:
	s_cmp_lt_i32 s0, 2
	s_mov_b32 s3, -1
	s_cbranch_scc1 .LBB198_1879
; %bb.1870:
	s_cmp_lt_i32 s0, 3
	s_cbranch_scc1 .LBB198_1876
; %bb.1871:
	s_cmp_gt_i32 s0, 3
	s_cbranch_scc0 .LBB198_1873
; %bb.1872:
	s_mov_b32 s3, 0
	global_store_b64 v[8:9], v[2:3], off
.LBB198_1873:
	s_and_not1_b32 vcc_lo, exec_lo, s3
	s_cbranch_vccnz .LBB198_1875
; %bb.1874:
	global_store_b32 v[8:9], v2, off
.LBB198_1875:
	s_mov_b32 s3, 0
.LBB198_1876:
	s_delay_alu instid0(SALU_CYCLE_1)
	s_and_not1_b32 vcc_lo, exec_lo, s3
	s_cbranch_vccnz .LBB198_1878
; %bb.1877:
	global_store_b16 v[8:9], v2, off
.LBB198_1878:
	s_mov_b32 s3, 0
.LBB198_1879:
	s_delay_alu instid0(SALU_CYCLE_1)
	s_and_not1_b32 vcc_lo, exec_lo, s3
	s_cbranch_vccnz .LBB198_1884
; %bb.1880:
	s_cmp_gt_i32 s0, 0
	s_mov_b32 s0, -1
	s_cbranch_scc0 .LBB198_1882
; %bb.1881:
	s_mov_b32 s0, 0
	global_store_b8 v[8:9], v2, off
.LBB198_1882:
	s_and_not1_b32 vcc_lo, exec_lo, s0
	s_cbranch_vccnz .LBB198_1884
; %bb.1883:
	global_store_b8 v[8:9], v2, off
.LBB198_1884:
	s_mov_b32 s7, -1
.LBB198_1885:
	s_delay_alu instid0(SALU_CYCLE_1)
	s_and_not1_b32 vcc_lo, exec_lo, s7
	s_cbranch_vccnz .LBB198_2081
; %bb.1886:
	v_add_nc_u32_e32 v0, s2, v0
	s_cmp_lt_i32 s17, 11
	s_wait_xcnt 0x0
	s_delay_alu instid0(VALU_DEP_1) | instskip(NEXT) | instid1(VALU_DEP_1)
	v_ashrrev_i32_e32 v1, 31, v0
	v_add_nc_u64_e32 v[2:3], s[4:5], v[0:1]
	s_cbranch_scc1 .LBB198_1964
; %bb.1887:
	s_and_b32 s3, 0xffff, s17
	s_mov_b32 s8, -1
	s_mov_b32 s6, 0
	s_cmp_gt_i32 s3, 25
	s_mov_b32 s7, 0
	s_mov_b32 s0, 0
	s_cbranch_scc0 .LBB198_1920
; %bb.1888:
	s_cmp_gt_i32 s3, 28
	s_cbranch_scc0 .LBB198_1903
; %bb.1889:
	s_cmp_gt_i32 s3, 43
	;; [unrolled: 3-line block ×3, first 2 shown]
	s_cbranch_scc0 .LBB198_1893
; %bb.1891:
	s_mov_b32 s0, -1
	s_mov_b32 s8, 0
	s_cmp_eq_u32 s3, 46
	s_cbranch_scc0 .LBB198_1893
; %bb.1892:
	v_xor_b32_e32 v1, v6, v7
	v_cls_i32_e32 v8, v7
	s_mov_b32 s7, -1
	s_mov_b32 s0, 0
	s_delay_alu instid0(VALU_DEP_2) | instskip(NEXT) | instid1(VALU_DEP_1)
	v_ashrrev_i32_e32 v1, 31, v1
	v_add_nc_u32_e32 v1, 32, v1
	s_delay_alu instid0(VALU_DEP_1) | instskip(NEXT) | instid1(VALU_DEP_1)
	v_add_min_u32_e64 v1, v8, -1, v1
	v_lshlrev_b64_e32 v[8:9], v1, v[6:7]
	v_sub_nc_u32_e32 v1, 32, v1
	s_delay_alu instid0(VALU_DEP_2) | instskip(NEXT) | instid1(VALU_DEP_1)
	v_min_u32_e32 v8, 1, v8
	v_or_b32_e32 v8, v9, v8
	s_delay_alu instid0(VALU_DEP_1) | instskip(NEXT) | instid1(VALU_DEP_1)
	v_cvt_f32_i32_e32 v8, v8
	v_ldexp_f32 v1, v8, v1
	s_delay_alu instid0(VALU_DEP_1) | instskip(NEXT) | instid1(VALU_DEP_1)
	v_bfe_u32 v8, v1, 16, 1
	v_add3_u32 v1, v1, v8, 0x7fff
	s_delay_alu instid0(VALU_DEP_1)
	v_lshrrev_b32_e32 v1, 16, v1
	global_store_b32 v[2:3], v1, off
.LBB198_1893:
	s_and_b32 vcc_lo, exec_lo, s8
	s_cbranch_vccz .LBB198_1898
; %bb.1894:
	s_cmp_eq_u32 s3, 44
	s_mov_b32 s0, -1
	s_cbranch_scc0 .LBB198_1898
; %bb.1895:
	s_wait_xcnt 0x0
	v_xor_b32_e32 v1, v6, v7
	v_cls_i32_e32 v8, v7
	s_mov_b32 s7, -1
	s_mov_b32 s8, exec_lo
	s_delay_alu instid0(VALU_DEP_2) | instskip(NEXT) | instid1(VALU_DEP_1)
	v_ashrrev_i32_e32 v1, 31, v1
	v_add_nc_u32_e32 v1, 32, v1
	s_delay_alu instid0(VALU_DEP_1) | instskip(NEXT) | instid1(VALU_DEP_1)
	v_add_min_u32_e64 v1, v8, -1, v1
	v_lshlrev_b64_e32 v[8:9], v1, v[6:7]
	v_sub_nc_u32_e32 v1, 32, v1
	s_delay_alu instid0(VALU_DEP_2) | instskip(NEXT) | instid1(VALU_DEP_1)
	v_min_u32_e32 v8, 1, v8
	v_or_b32_e32 v8, v9, v8
	s_delay_alu instid0(VALU_DEP_1) | instskip(NEXT) | instid1(VALU_DEP_1)
	v_cvt_f32_i32_e32 v8, v8
	v_ldexp_f32 v1, v8, v1
	v_mov_b32_e32 v8, 0xff
	s_delay_alu instid0(VALU_DEP_2) | instskip(NEXT) | instid1(VALU_DEP_1)
	v_bfe_u32 v9, v1, 23, 8
	v_cmpx_ne_u32_e32 0xff, v9
	s_cbranch_execz .LBB198_1897
; %bb.1896:
	v_and_b32_e32 v8, 0x400000, v1
	v_and_or_b32 v9, 0x3fffff, v1, v9
	v_lshrrev_b32_e32 v1, 23, v1
	s_delay_alu instid0(VALU_DEP_3) | instskip(NEXT) | instid1(VALU_DEP_3)
	v_cmp_ne_u32_e32 vcc_lo, 0, v8
	v_cmp_ne_u32_e64 s0, 0, v9
	s_and_b32 s0, vcc_lo, s0
	s_delay_alu instid0(SALU_CYCLE_1) | instskip(NEXT) | instid1(VALU_DEP_1)
	v_cndmask_b32_e64 v8, 0, 1, s0
	v_add_nc_u32_e32 v8, v1, v8
.LBB198_1897:
	s_or_b32 exec_lo, exec_lo, s8
	s_mov_b32 s0, 0
	global_store_b8 v[2:3], v8, off
.LBB198_1898:
	s_mov_b32 s8, 0
.LBB198_1899:
	s_delay_alu instid0(SALU_CYCLE_1)
	s_and_b32 vcc_lo, exec_lo, s8
	s_cbranch_vccz .LBB198_1902
; %bb.1900:
	s_cmp_eq_u32 s3, 29
	s_mov_b32 s0, -1
	s_cbranch_scc0 .LBB198_1902
; %bb.1901:
	s_mov_b32 s0, 0
	s_mov_b32 s7, -1
	global_store_b64 v[2:3], v[6:7], off
.LBB198_1902:
	s_mov_b32 s8, 0
.LBB198_1903:
	s_delay_alu instid0(SALU_CYCLE_1)
	s_and_b32 vcc_lo, exec_lo, s8
	s_cbranch_vccz .LBB198_1919
; %bb.1904:
	s_cmp_lt_i32 s3, 27
	s_mov_b32 s7, -1
	s_cbranch_scc1 .LBB198_1910
; %bb.1905:
	s_cmp_gt_i32 s3, 27
	s_cbranch_scc0 .LBB198_1907
; %bb.1906:
	s_mov_b32 s7, 0
	global_store_b32 v[2:3], v6, off
.LBB198_1907:
	s_and_not1_b32 vcc_lo, exec_lo, s7
	s_cbranch_vccnz .LBB198_1909
; %bb.1908:
	global_store_b16 v[2:3], v6, off
.LBB198_1909:
	s_mov_b32 s7, 0
.LBB198_1910:
	s_delay_alu instid0(SALU_CYCLE_1)
	s_and_not1_b32 vcc_lo, exec_lo, s7
	s_cbranch_vccnz .LBB198_1918
; %bb.1911:
	s_wait_xcnt 0x0
	v_xor_b32_e32 v1, v6, v7
	v_cls_i32_e32 v8, v7
	s_mov_b32 s7, exec_lo
	s_delay_alu instid0(VALU_DEP_2) | instskip(NEXT) | instid1(VALU_DEP_1)
	v_ashrrev_i32_e32 v1, 31, v1
	v_add_nc_u32_e32 v1, 32, v1
	s_delay_alu instid0(VALU_DEP_1) | instskip(NEXT) | instid1(VALU_DEP_1)
	v_add_min_u32_e64 v1, v8, -1, v1
	v_lshlrev_b64_e32 v[8:9], v1, v[6:7]
	v_sub_nc_u32_e32 v1, 32, v1
	s_delay_alu instid0(VALU_DEP_2) | instskip(NEXT) | instid1(VALU_DEP_1)
	v_min_u32_e32 v8, 1, v8
	v_or_b32_e32 v8, v9, v8
	v_mov_b32_e32 v9, 0x80
	s_delay_alu instid0(VALU_DEP_2) | instskip(NEXT) | instid1(VALU_DEP_1)
	v_cvt_f32_i32_e32 v8, v8
	v_ldexp_f32 v1, v8, v1
	s_delay_alu instid0(VALU_DEP_1) | instskip(NEXT) | instid1(VALU_DEP_1)
	v_and_b32_e32 v8, 0x7fffffff, v1
	v_cmpx_gt_u32_e32 0x43800000, v8
	s_cbranch_execz .LBB198_1917
; %bb.1912:
	v_cmp_lt_u32_e32 vcc_lo, 0x3bffffff, v8
	s_mov_b32 s8, 0
                                        ; implicit-def: $vgpr8
	s_and_saveexec_b32 s9, vcc_lo
	s_delay_alu instid0(SALU_CYCLE_1)
	s_xor_b32 s9, exec_lo, s9
	s_cbranch_execz .LBB198_2094
; %bb.1913:
	v_bfe_u32 v8, v1, 20, 1
	s_mov_b32 s8, exec_lo
	s_delay_alu instid0(VALU_DEP_1) | instskip(NEXT) | instid1(VALU_DEP_1)
	v_add3_u32 v8, v1, v8, 0x487ffff
	v_lshrrev_b32_e32 v8, 20, v8
	s_and_not1_saveexec_b32 s9, s9
	s_cbranch_execnz .LBB198_2095
.LBB198_1914:
	s_or_b32 exec_lo, exec_lo, s9
	v_mov_b32_e32 v9, 0
	s_and_saveexec_b32 s9, s8
.LBB198_1915:
	v_lshrrev_b32_e32 v1, 24, v1
	s_delay_alu instid0(VALU_DEP_1)
	v_and_or_b32 v9, 0x80, v1, v8
.LBB198_1916:
	s_or_b32 exec_lo, exec_lo, s9
.LBB198_1917:
	s_delay_alu instid0(SALU_CYCLE_1)
	s_or_b32 exec_lo, exec_lo, s7
	global_store_b8 v[2:3], v9, off
.LBB198_1918:
	s_mov_b32 s7, -1
.LBB198_1919:
	s_mov_b32 s8, 0
.LBB198_1920:
	s_delay_alu instid0(SALU_CYCLE_1)
	s_and_b32 vcc_lo, exec_lo, s8
	s_cbranch_vccz .LBB198_1960
; %bb.1921:
	s_cmp_gt_i32 s3, 22
	s_mov_b32 s6, -1
	s_cbranch_scc0 .LBB198_1953
; %bb.1922:
	s_cmp_lt_i32 s3, 24
	s_cbranch_scc1 .LBB198_1942
; %bb.1923:
	s_cmp_gt_i32 s3, 24
	s_cbranch_scc0 .LBB198_1931
; %bb.1924:
	s_wait_xcnt 0x0
	v_xor_b32_e32 v1, v6, v7
	v_cls_i32_e32 v8, v7
	s_mov_b32 s6, exec_lo
	s_delay_alu instid0(VALU_DEP_2) | instskip(NEXT) | instid1(VALU_DEP_1)
	v_ashrrev_i32_e32 v1, 31, v1
	v_add_nc_u32_e32 v1, 32, v1
	s_delay_alu instid0(VALU_DEP_1) | instskip(NEXT) | instid1(VALU_DEP_1)
	v_add_min_u32_e64 v1, v8, -1, v1
	v_lshlrev_b64_e32 v[8:9], v1, v[6:7]
	v_sub_nc_u32_e32 v1, 32, v1
	s_delay_alu instid0(VALU_DEP_2) | instskip(NEXT) | instid1(VALU_DEP_1)
	v_min_u32_e32 v8, 1, v8
	v_or_b32_e32 v8, v9, v8
	v_mov_b32_e32 v9, 0x80
	s_delay_alu instid0(VALU_DEP_2) | instskip(NEXT) | instid1(VALU_DEP_1)
	v_cvt_f32_i32_e32 v8, v8
	v_ldexp_f32 v1, v8, v1
	s_delay_alu instid0(VALU_DEP_1) | instskip(NEXT) | instid1(VALU_DEP_1)
	v_and_b32_e32 v8, 0x7fffffff, v1
	v_cmpx_gt_u32_e32 0x47800000, v8
	s_cbranch_execz .LBB198_1930
; %bb.1925:
	v_cmp_lt_u32_e32 vcc_lo, 0x37ffffff, v8
	s_mov_b32 s7, 0
                                        ; implicit-def: $vgpr8
	s_and_saveexec_b32 s8, vcc_lo
	s_delay_alu instid0(SALU_CYCLE_1)
	s_xor_b32 s8, exec_lo, s8
	s_cbranch_execz .LBB198_2097
; %bb.1926:
	v_bfe_u32 v8, v1, 21, 1
	s_mov_b32 s7, exec_lo
	s_delay_alu instid0(VALU_DEP_1) | instskip(NEXT) | instid1(VALU_DEP_1)
	v_add3_u32 v8, v1, v8, 0x88fffff
	v_lshrrev_b32_e32 v8, 21, v8
	s_and_not1_saveexec_b32 s8, s8
	s_cbranch_execnz .LBB198_2098
.LBB198_1927:
	s_or_b32 exec_lo, exec_lo, s8
	v_mov_b32_e32 v9, 0
	s_and_saveexec_b32 s8, s7
.LBB198_1928:
	v_lshrrev_b32_e32 v1, 24, v1
	s_delay_alu instid0(VALU_DEP_1)
	v_and_or_b32 v9, 0x80, v1, v8
.LBB198_1929:
	s_or_b32 exec_lo, exec_lo, s8
.LBB198_1930:
	s_delay_alu instid0(SALU_CYCLE_1)
	s_or_b32 exec_lo, exec_lo, s6
	s_mov_b32 s6, 0
	global_store_b8 v[2:3], v9, off
.LBB198_1931:
	s_and_b32 vcc_lo, exec_lo, s6
	s_cbranch_vccz .LBB198_1941
; %bb.1932:
	s_wait_xcnt 0x0
	v_xor_b32_e32 v1, v6, v7
	v_cls_i32_e32 v8, v7
	s_mov_b32 s6, exec_lo
	s_delay_alu instid0(VALU_DEP_2) | instskip(NEXT) | instid1(VALU_DEP_1)
	v_ashrrev_i32_e32 v1, 31, v1
	v_add_nc_u32_e32 v1, 32, v1
	s_delay_alu instid0(VALU_DEP_1) | instskip(NEXT) | instid1(VALU_DEP_1)
	v_add_min_u32_e64 v1, v8, -1, v1
	v_lshlrev_b64_e32 v[8:9], v1, v[6:7]
	v_sub_nc_u32_e32 v1, 32, v1
	s_delay_alu instid0(VALU_DEP_2) | instskip(NEXT) | instid1(VALU_DEP_1)
	v_min_u32_e32 v8, 1, v8
	v_or_b32_e32 v8, v9, v8
	s_delay_alu instid0(VALU_DEP_1) | instskip(NEXT) | instid1(VALU_DEP_1)
	v_cvt_f32_i32_e32 v8, v8
	v_ldexp_f32 v1, v8, v1
                                        ; implicit-def: $vgpr8
	s_delay_alu instid0(VALU_DEP_1) | instskip(NEXT) | instid1(VALU_DEP_1)
	v_and_b32_e32 v9, 0x7fffffff, v1
	v_cmpx_gt_u32_e32 0x43f00000, v9
	s_xor_b32 s6, exec_lo, s6
	s_cbranch_execz .LBB198_1938
; %bb.1933:
	s_mov_b32 s7, exec_lo
                                        ; implicit-def: $vgpr8
	v_cmpx_lt_u32_e32 0x3c7fffff, v9
	s_xor_b32 s7, exec_lo, s7
; %bb.1934:
	v_bfe_u32 v8, v1, 20, 1
	s_delay_alu instid0(VALU_DEP_1) | instskip(NEXT) | instid1(VALU_DEP_1)
	v_add3_u32 v8, v1, v8, 0x407ffff
	v_and_b32_e32 v9, 0xff00000, v8
	v_lshrrev_b32_e32 v8, 20, v8
	s_delay_alu instid0(VALU_DEP_2) | instskip(NEXT) | instid1(VALU_DEP_2)
	v_cmp_ne_u32_e32 vcc_lo, 0x7f00000, v9
	v_cndmask_b32_e32 v8, 0x7e, v8, vcc_lo
; %bb.1935:
	s_and_not1_saveexec_b32 s7, s7
; %bb.1936:
	v_add_f32_e64 v8, 0x46800000, |v1|
; %bb.1937:
	s_or_b32 exec_lo, exec_lo, s7
                                        ; implicit-def: $vgpr9
.LBB198_1938:
	s_and_not1_saveexec_b32 s6, s6
; %bb.1939:
	v_mov_b32_e32 v8, 0x7f
	v_cmp_lt_u32_e32 vcc_lo, 0x7f800000, v9
	s_delay_alu instid0(VALU_DEP_2)
	v_cndmask_b32_e32 v8, 0x7e, v8, vcc_lo
; %bb.1940:
	s_or_b32 exec_lo, exec_lo, s6
	v_lshrrev_b32_e32 v1, 24, v1
	s_delay_alu instid0(VALU_DEP_1)
	v_and_or_b32 v1, 0x80, v1, v8
	global_store_b8 v[2:3], v1, off
.LBB198_1941:
	s_mov_b32 s6, 0
.LBB198_1942:
	s_delay_alu instid0(SALU_CYCLE_1)
	s_and_not1_b32 vcc_lo, exec_lo, s6
	s_cbranch_vccnz .LBB198_1952
; %bb.1943:
	s_wait_xcnt 0x0
	v_xor_b32_e32 v1, v6, v7
	v_cls_i32_e32 v8, v7
	s_mov_b32 s6, exec_lo
	s_delay_alu instid0(VALU_DEP_2) | instskip(NEXT) | instid1(VALU_DEP_1)
	v_ashrrev_i32_e32 v1, 31, v1
	v_add_nc_u32_e32 v1, 32, v1
	s_delay_alu instid0(VALU_DEP_1) | instskip(NEXT) | instid1(VALU_DEP_1)
	v_add_min_u32_e64 v1, v8, -1, v1
	v_lshlrev_b64_e32 v[8:9], v1, v[6:7]
	v_sub_nc_u32_e32 v1, 32, v1
	s_delay_alu instid0(VALU_DEP_2) | instskip(NEXT) | instid1(VALU_DEP_1)
	v_min_u32_e32 v8, 1, v8
	v_or_b32_e32 v8, v9, v8
	s_delay_alu instid0(VALU_DEP_1) | instskip(NEXT) | instid1(VALU_DEP_1)
	v_cvt_f32_i32_e32 v8, v8
	v_ldexp_f32 v1, v8, v1
                                        ; implicit-def: $vgpr8
	s_delay_alu instid0(VALU_DEP_1) | instskip(NEXT) | instid1(VALU_DEP_1)
	v_and_b32_e32 v9, 0x7fffffff, v1
	v_cmpx_gt_u32_e32 0x47800000, v9
	s_xor_b32 s6, exec_lo, s6
	s_cbranch_execz .LBB198_1949
; %bb.1944:
	s_mov_b32 s7, exec_lo
                                        ; implicit-def: $vgpr8
	v_cmpx_lt_u32_e32 0x387fffff, v9
	s_xor_b32 s7, exec_lo, s7
; %bb.1945:
	v_bfe_u32 v8, v1, 21, 1
	s_delay_alu instid0(VALU_DEP_1) | instskip(NEXT) | instid1(VALU_DEP_1)
	v_add3_u32 v8, v1, v8, 0x80fffff
	v_lshrrev_b32_e32 v8, 21, v8
; %bb.1946:
	s_and_not1_saveexec_b32 s7, s7
; %bb.1947:
	v_add_f32_e64 v8, 0x43000000, |v1|
; %bb.1948:
	s_or_b32 exec_lo, exec_lo, s7
                                        ; implicit-def: $vgpr9
.LBB198_1949:
	s_and_not1_saveexec_b32 s6, s6
; %bb.1950:
	v_mov_b32_e32 v8, 0x7f
	v_cmp_lt_u32_e32 vcc_lo, 0x7f800000, v9
	s_delay_alu instid0(VALU_DEP_2)
	v_cndmask_b32_e32 v8, 0x7c, v8, vcc_lo
; %bb.1951:
	s_or_b32 exec_lo, exec_lo, s6
	v_lshrrev_b32_e32 v1, 24, v1
	s_delay_alu instid0(VALU_DEP_1)
	v_and_or_b32 v1, 0x80, v1, v8
	global_store_b8 v[2:3], v1, off
.LBB198_1952:
	s_mov_b32 s6, 0
	s_mov_b32 s7, -1
.LBB198_1953:
	s_and_not1_b32 vcc_lo, exec_lo, s6
	s_mov_b32 s6, 0
	s_cbranch_vccnz .LBB198_1960
; %bb.1954:
	s_cmp_gt_i32 s3, 14
	s_mov_b32 s6, -1
	s_cbranch_scc0 .LBB198_1958
; %bb.1955:
	s_cmp_eq_u32 s3, 15
	s_mov_b32 s0, -1
	s_cbranch_scc0 .LBB198_1957
; %bb.1956:
	s_wait_xcnt 0x0
	v_xor_b32_e32 v1, v6, v7
	v_cls_i32_e32 v8, v7
	s_mov_b32 s7, -1
	s_mov_b32 s0, 0
	s_delay_alu instid0(VALU_DEP_2) | instskip(NEXT) | instid1(VALU_DEP_1)
	v_ashrrev_i32_e32 v1, 31, v1
	v_add_nc_u32_e32 v1, 32, v1
	s_delay_alu instid0(VALU_DEP_1) | instskip(NEXT) | instid1(VALU_DEP_1)
	v_add_min_u32_e64 v1, v8, -1, v1
	v_lshlrev_b64_e32 v[8:9], v1, v[6:7]
	v_sub_nc_u32_e32 v1, 32, v1
	s_delay_alu instid0(VALU_DEP_2) | instskip(NEXT) | instid1(VALU_DEP_1)
	v_min_u32_e32 v8, 1, v8
	v_or_b32_e32 v8, v9, v8
	s_delay_alu instid0(VALU_DEP_1) | instskip(NEXT) | instid1(VALU_DEP_1)
	v_cvt_f32_i32_e32 v8, v8
	v_ldexp_f32 v1, v8, v1
	s_delay_alu instid0(VALU_DEP_1) | instskip(NEXT) | instid1(VALU_DEP_1)
	v_bfe_u32 v8, v1, 16, 1
	v_add3_u32 v1, v1, v8, 0x7fff
	global_store_d16_hi_b16 v[2:3], v1, off
.LBB198_1957:
	s_mov_b32 s6, 0
.LBB198_1958:
	s_delay_alu instid0(SALU_CYCLE_1)
	s_and_b32 vcc_lo, exec_lo, s6
	s_mov_b32 s6, 0
	s_cbranch_vccz .LBB198_1960
; %bb.1959:
	s_cmp_lg_u32 s3, 11
	s_mov_b32 s6, -1
	s_cselect_b32 s0, -1, 0
.LBB198_1960:
	s_delay_alu instid0(SALU_CYCLE_1)
	s_and_b32 vcc_lo, exec_lo, s0
	s_cbranch_vccnz .LBB198_2096
; %bb.1961:
	s_and_not1_b32 vcc_lo, exec_lo, s6
	s_cbranch_vccnz .LBB198_1963
.LBB198_1962:
	v_cmp_ne_u64_e32 vcc_lo, 0, v[6:7]
	s_mov_b32 s7, -1
	s_wait_xcnt 0x0
	v_cndmask_b32_e64 v1, 0, 1, vcc_lo
	global_store_b8 v[2:3], v1, off
.LBB198_1963:
	s_mov_b32 s0, 0
	s_branch .LBB198_1965
.LBB198_1964:
	s_mov_b32 s0, -1
	s_mov_b32 s7, 0
.LBB198_1965:
	s_and_b32 vcc_lo, exec_lo, s0
	s_cbranch_vccz .LBB198_2004
; %bb.1966:
	s_and_b32 s0, 0xffff, s17
	s_mov_b32 s3, -1
	s_cmp_lt_i32 s0, 5
	s_cbranch_scc1 .LBB198_1987
; %bb.1967:
	s_cmp_lt_i32 s0, 8
	s_cbranch_scc1 .LBB198_1977
; %bb.1968:
	;; [unrolled: 3-line block ×3, first 2 shown]
	s_cmp_gt_i32 s0, 9
	s_cbranch_scc0 .LBB198_1971
; %bb.1970:
	s_wait_xcnt 0x0
	v_cvt_f64_i32_e32 v[8:9], v7
	v_cvt_f64_u32_e32 v[10:11], v6
	s_mov_b32 s3, 0
	s_delay_alu instid0(VALU_DEP_2) | instskip(NEXT) | instid1(VALU_DEP_1)
	v_ldexp_f64 v[8:9], v[8:9], 32
	v_dual_add_f64 v[8:9], v[8:9], v[10:11] :: v_dual_mov_b32 v10, 0
	s_delay_alu instid0(VALU_DEP_1)
	v_mov_b32_e32 v11, v10
	global_store_b128 v[2:3], v[8:11], off
.LBB198_1971:
	s_and_not1_b32 vcc_lo, exec_lo, s3
	s_cbranch_vccnz .LBB198_1973
; %bb.1972:
	s_wait_xcnt 0x0
	v_xor_b32_e32 v1, v6, v7
	v_cls_i32_e32 v8, v7
	s_delay_alu instid0(VALU_DEP_2) | instskip(NEXT) | instid1(VALU_DEP_1)
	v_ashrrev_i32_e32 v1, 31, v1
	v_add_nc_u32_e32 v1, 32, v1
	s_delay_alu instid0(VALU_DEP_1) | instskip(NEXT) | instid1(VALU_DEP_1)
	v_add_min_u32_e64 v1, v8, -1, v1
	v_lshlrev_b64_e32 v[8:9], v1, v[6:7]
	v_sub_nc_u32_e32 v1, 32, v1
	s_delay_alu instid0(VALU_DEP_2) | instskip(NEXT) | instid1(VALU_DEP_1)
	v_min_u32_e32 v8, 1, v8
	v_dual_mov_b32 v9, 0 :: v_dual_bitop2_b32 v8, v9, v8 bitop3:0x54
	s_delay_alu instid0(VALU_DEP_1) | instskip(NEXT) | instid1(VALU_DEP_1)
	v_cvt_f32_i32_e32 v8, v8
	v_ldexp_f32 v8, v8, v1
	global_store_b64 v[2:3], v[8:9], off
.LBB198_1973:
	s_mov_b32 s3, 0
.LBB198_1974:
	s_delay_alu instid0(SALU_CYCLE_1)
	s_and_not1_b32 vcc_lo, exec_lo, s3
	s_cbranch_vccnz .LBB198_1976
; %bb.1975:
	s_wait_xcnt 0x0
	v_xor_b32_e32 v1, v6, v7
	v_cls_i32_e32 v8, v7
	s_delay_alu instid0(VALU_DEP_2) | instskip(NEXT) | instid1(VALU_DEP_1)
	v_ashrrev_i32_e32 v1, 31, v1
	v_add_nc_u32_e32 v1, 32, v1
	s_delay_alu instid0(VALU_DEP_1) | instskip(NEXT) | instid1(VALU_DEP_1)
	v_add_min_u32_e64 v1, v8, -1, v1
	v_lshlrev_b64_e32 v[8:9], v1, v[6:7]
	v_sub_nc_u32_e32 v1, 32, v1
	s_delay_alu instid0(VALU_DEP_2) | instskip(NEXT) | instid1(VALU_DEP_1)
	v_min_u32_e32 v8, 1, v8
	v_or_b32_e32 v8, v9, v8
	s_delay_alu instid0(VALU_DEP_1) | instskip(NEXT) | instid1(VALU_DEP_1)
	v_cvt_f32_i32_e32 v8, v8
	v_ldexp_f32 v1, v8, v1
	s_delay_alu instid0(VALU_DEP_1) | instskip(NEXT) | instid1(VALU_DEP_1)
	v_cvt_f16_f32_e32 v1, v1
	v_and_b32_e32 v1, 0xffff, v1
	global_store_b32 v[2:3], v1, off
.LBB198_1976:
	s_mov_b32 s3, 0
.LBB198_1977:
	s_delay_alu instid0(SALU_CYCLE_1)
	s_and_not1_b32 vcc_lo, exec_lo, s3
	s_cbranch_vccnz .LBB198_1986
; %bb.1978:
	s_cmp_lt_i32 s0, 6
	s_mov_b32 s3, -1
	s_cbranch_scc1 .LBB198_1984
; %bb.1979:
	s_cmp_gt_i32 s0, 6
	s_cbranch_scc0 .LBB198_1981
; %bb.1980:
	s_wait_xcnt 0x0
	v_cvt_f64_i32_e32 v[8:9], v7
	v_cvt_f64_u32_e32 v[10:11], v6
	s_mov_b32 s3, 0
	s_delay_alu instid0(VALU_DEP_2) | instskip(NEXT) | instid1(VALU_DEP_1)
	v_ldexp_f64 v[8:9], v[8:9], 32
	v_add_f64_e32 v[8:9], v[8:9], v[10:11]
	global_store_b64 v[2:3], v[8:9], off
.LBB198_1981:
	s_and_not1_b32 vcc_lo, exec_lo, s3
	s_cbranch_vccnz .LBB198_1983
; %bb.1982:
	s_wait_xcnt 0x0
	v_xor_b32_e32 v1, v6, v7
	v_cls_i32_e32 v8, v7
	s_delay_alu instid0(VALU_DEP_2) | instskip(NEXT) | instid1(VALU_DEP_1)
	v_ashrrev_i32_e32 v1, 31, v1
	v_add_nc_u32_e32 v1, 32, v1
	s_delay_alu instid0(VALU_DEP_1) | instskip(NEXT) | instid1(VALU_DEP_1)
	v_add_min_u32_e64 v1, v8, -1, v1
	v_lshlrev_b64_e32 v[8:9], v1, v[6:7]
	v_sub_nc_u32_e32 v1, 32, v1
	s_delay_alu instid0(VALU_DEP_2) | instskip(NEXT) | instid1(VALU_DEP_1)
	v_min_u32_e32 v8, 1, v8
	v_or_b32_e32 v8, v9, v8
	s_delay_alu instid0(VALU_DEP_1) | instskip(NEXT) | instid1(VALU_DEP_1)
	v_cvt_f32_i32_e32 v8, v8
	v_ldexp_f32 v1, v8, v1
	global_store_b32 v[2:3], v1, off
.LBB198_1983:
	s_mov_b32 s3, 0
.LBB198_1984:
	s_delay_alu instid0(SALU_CYCLE_1)
	s_and_not1_b32 vcc_lo, exec_lo, s3
	s_cbranch_vccnz .LBB198_1986
; %bb.1985:
	s_wait_xcnt 0x0
	v_xor_b32_e32 v1, v6, v7
	v_cls_i32_e32 v8, v7
	s_delay_alu instid0(VALU_DEP_2) | instskip(NEXT) | instid1(VALU_DEP_1)
	v_ashrrev_i32_e32 v1, 31, v1
	v_add_nc_u32_e32 v1, 32, v1
	s_delay_alu instid0(VALU_DEP_1) | instskip(NEXT) | instid1(VALU_DEP_1)
	v_add_min_u32_e64 v1, v8, -1, v1
	v_lshlrev_b64_e32 v[8:9], v1, v[6:7]
	v_sub_nc_u32_e32 v1, 32, v1
	s_delay_alu instid0(VALU_DEP_2) | instskip(NEXT) | instid1(VALU_DEP_1)
	v_min_u32_e32 v8, 1, v8
	v_or_b32_e32 v8, v9, v8
	s_delay_alu instid0(VALU_DEP_1) | instskip(NEXT) | instid1(VALU_DEP_1)
	v_cvt_f32_i32_e32 v8, v8
	v_ldexp_f32 v1, v8, v1
	s_delay_alu instid0(VALU_DEP_1)
	v_cvt_f16_f32_e32 v1, v1
	global_store_b16 v[2:3], v1, off
.LBB198_1986:
	s_mov_b32 s3, 0
.LBB198_1987:
	s_delay_alu instid0(SALU_CYCLE_1)
	s_and_not1_b32 vcc_lo, exec_lo, s3
	s_cbranch_vccnz .LBB198_2003
; %bb.1988:
	s_cmp_lt_i32 s0, 2
	s_mov_b32 s3, -1
	s_cbranch_scc1 .LBB198_1998
; %bb.1989:
	s_cmp_lt_i32 s0, 3
	s_cbranch_scc1 .LBB198_1995
; %bb.1990:
	s_cmp_gt_i32 s0, 3
	s_cbranch_scc0 .LBB198_1992
; %bb.1991:
	s_mov_b32 s3, 0
	global_store_b64 v[2:3], v[6:7], off
.LBB198_1992:
	s_and_not1_b32 vcc_lo, exec_lo, s3
	s_cbranch_vccnz .LBB198_1994
; %bb.1993:
	global_store_b32 v[2:3], v6, off
.LBB198_1994:
	s_mov_b32 s3, 0
.LBB198_1995:
	s_delay_alu instid0(SALU_CYCLE_1)
	s_and_not1_b32 vcc_lo, exec_lo, s3
	s_cbranch_vccnz .LBB198_1997
; %bb.1996:
	global_store_b16 v[2:3], v6, off
.LBB198_1997:
	s_mov_b32 s3, 0
.LBB198_1998:
	s_delay_alu instid0(SALU_CYCLE_1)
	s_and_not1_b32 vcc_lo, exec_lo, s3
	s_cbranch_vccnz .LBB198_2003
; %bb.1999:
	s_cmp_gt_i32 s0, 0
	s_mov_b32 s0, -1
	s_cbranch_scc0 .LBB198_2001
; %bb.2000:
	s_mov_b32 s0, 0
	global_store_b8 v[2:3], v6, off
.LBB198_2001:
	s_and_not1_b32 vcc_lo, exec_lo, s0
	s_cbranch_vccnz .LBB198_2003
; %bb.2002:
	global_store_b8 v[2:3], v6, off
.LBB198_2003:
	s_mov_b32 s7, -1
.LBB198_2004:
	s_delay_alu instid0(SALU_CYCLE_1)
	s_and_not1_b32 vcc_lo, exec_lo, s7
	s_cbranch_vccnz .LBB198_2081
; %bb.2005:
	v_add_nc_u32_e32 v0, s2, v0
	s_cmp_lt_i32 s17, 11
	s_wait_xcnt 0x0
	s_delay_alu instid0(VALU_DEP_1) | instskip(NEXT) | instid1(VALU_DEP_1)
	v_ashrrev_i32_e32 v1, 31, v0
	v_add_nc_u64_e32 v[0:1], s[4:5], v[0:1]
	s_cbranch_scc1 .LBB198_2082
; %bb.2006:
	s_and_b32 s2, 0xffff, s17
	s_mov_b32 s4, -1
	s_mov_b32 s3, 0
	s_cmp_gt_i32 s2, 25
	s_mov_b32 s0, 0
	s_cbranch_scc0 .LBB198_2039
; %bb.2007:
	s_cmp_gt_i32 s2, 28
	s_cbranch_scc0 .LBB198_2023
; %bb.2008:
	s_cmp_gt_i32 s2, 43
	;; [unrolled: 3-line block ×3, first 2 shown]
	s_cbranch_scc0 .LBB198_2013
; %bb.2010:
	s_cmp_eq_u32 s2, 46
	s_mov_b32 s0, -1
	s_cbranch_scc0 .LBB198_2012
; %bb.2011:
	v_xor_b32_e32 v2, v4, v5
	v_cls_i32_e32 v3, v5
	s_mov_b32 s0, 0
	s_delay_alu instid0(VALU_DEP_2) | instskip(NEXT) | instid1(VALU_DEP_1)
	v_ashrrev_i32_e32 v2, 31, v2
	v_add_nc_u32_e32 v2, 32, v2
	s_delay_alu instid0(VALU_DEP_1) | instskip(NEXT) | instid1(VALU_DEP_1)
	v_add_min_u32_e64 v6, v3, -1, v2
	v_lshlrev_b64_e32 v[2:3], v6, v[4:5]
	s_delay_alu instid0(VALU_DEP_1) | instskip(NEXT) | instid1(VALU_DEP_1)
	v_min_u32_e32 v2, 1, v2
	v_or_b32_e32 v2, v3, v2
	v_sub_nc_u32_e32 v3, 32, v6
	s_delay_alu instid0(VALU_DEP_2) | instskip(NEXT) | instid1(VALU_DEP_1)
	v_cvt_f32_i32_e32 v2, v2
	v_ldexp_f32 v2, v2, v3
	s_delay_alu instid0(VALU_DEP_1) | instskip(NEXT) | instid1(VALU_DEP_1)
	v_bfe_u32 v3, v2, 16, 1
	v_add3_u32 v2, v2, v3, 0x7fff
	s_delay_alu instid0(VALU_DEP_1)
	v_lshrrev_b32_e32 v2, 16, v2
	global_store_b32 v[0:1], v2, off
.LBB198_2012:
	s_mov_b32 s4, 0
.LBB198_2013:
	s_delay_alu instid0(SALU_CYCLE_1)
	s_and_b32 vcc_lo, exec_lo, s4
	s_cbranch_vccz .LBB198_2018
; %bb.2014:
	s_cmp_eq_u32 s2, 44
	s_mov_b32 s0, -1
	s_cbranch_scc0 .LBB198_2018
; %bb.2015:
	s_wait_xcnt 0x0
	v_xor_b32_e32 v2, v4, v5
	v_cls_i32_e32 v3, v5
	s_mov_b32 s4, exec_lo
	s_delay_alu instid0(VALU_DEP_2) | instskip(NEXT) | instid1(VALU_DEP_1)
	v_ashrrev_i32_e32 v2, 31, v2
	v_add_nc_u32_e32 v2, 32, v2
	s_delay_alu instid0(VALU_DEP_1) | instskip(NEXT) | instid1(VALU_DEP_1)
	v_add_min_u32_e64 v6, v3, -1, v2
	v_lshlrev_b64_e32 v[2:3], v6, v[4:5]
	s_delay_alu instid0(VALU_DEP_1) | instskip(NEXT) | instid1(VALU_DEP_1)
	v_min_u32_e32 v2, 1, v2
	v_or_b32_e32 v2, v3, v2
	v_sub_nc_u32_e32 v3, 32, v6
	s_delay_alu instid0(VALU_DEP_2) | instskip(NEXT) | instid1(VALU_DEP_1)
	v_cvt_f32_i32_e32 v2, v2
	v_ldexp_f32 v2, v2, v3
	v_mov_b32_e32 v3, 0xff
	s_delay_alu instid0(VALU_DEP_2) | instskip(NEXT) | instid1(VALU_DEP_1)
	v_bfe_u32 v6, v2, 23, 8
	v_cmpx_ne_u32_e32 0xff, v6
	s_cbranch_execz .LBB198_2017
; %bb.2016:
	v_and_b32_e32 v3, 0x400000, v2
	v_and_or_b32 v6, 0x3fffff, v2, v6
	v_lshrrev_b32_e32 v2, 23, v2
	s_delay_alu instid0(VALU_DEP_3) | instskip(NEXT) | instid1(VALU_DEP_3)
	v_cmp_ne_u32_e32 vcc_lo, 0, v3
	v_cmp_ne_u32_e64 s0, 0, v6
	s_and_b32 s0, vcc_lo, s0
	s_delay_alu instid0(SALU_CYCLE_1) | instskip(NEXT) | instid1(VALU_DEP_1)
	v_cndmask_b32_e64 v3, 0, 1, s0
	v_add_nc_u32_e32 v3, v2, v3
.LBB198_2017:
	s_or_b32 exec_lo, exec_lo, s4
	s_mov_b32 s0, 0
	global_store_b8 v[0:1], v3, off
.LBB198_2018:
	s_mov_b32 s4, 0
.LBB198_2019:
	s_delay_alu instid0(SALU_CYCLE_1)
	s_and_b32 vcc_lo, exec_lo, s4
	s_cbranch_vccz .LBB198_2022
; %bb.2020:
	s_cmp_eq_u32 s2, 29
	s_mov_b32 s0, -1
	s_cbranch_scc0 .LBB198_2022
; %bb.2021:
	s_mov_b32 s0, 0
	global_store_b64 v[0:1], v[4:5], off
.LBB198_2022:
	s_mov_b32 s4, 0
.LBB198_2023:
	s_delay_alu instid0(SALU_CYCLE_1)
	s_and_b32 vcc_lo, exec_lo, s4
	s_cbranch_vccz .LBB198_2038
; %bb.2024:
	s_cmp_lt_i32 s2, 27
	s_mov_b32 s4, -1
	s_cbranch_scc1 .LBB198_2030
; %bb.2025:
	s_cmp_gt_i32 s2, 27
	s_cbranch_scc0 .LBB198_2027
; %bb.2026:
	s_mov_b32 s4, 0
	global_store_b32 v[0:1], v4, off
.LBB198_2027:
	s_and_not1_b32 vcc_lo, exec_lo, s4
	s_cbranch_vccnz .LBB198_2029
; %bb.2028:
	global_store_b16 v[0:1], v4, off
.LBB198_2029:
	s_mov_b32 s4, 0
.LBB198_2030:
	s_delay_alu instid0(SALU_CYCLE_1)
	s_and_not1_b32 vcc_lo, exec_lo, s4
	s_cbranch_vccnz .LBB198_2038
; %bb.2031:
	s_wait_xcnt 0x0
	v_xor_b32_e32 v2, v4, v5
	v_cls_i32_e32 v3, v5
	s_mov_b32 s4, exec_lo
	s_delay_alu instid0(VALU_DEP_2) | instskip(NEXT) | instid1(VALU_DEP_1)
	v_ashrrev_i32_e32 v2, 31, v2
	v_add_nc_u32_e32 v2, 32, v2
	s_delay_alu instid0(VALU_DEP_1) | instskip(NEXT) | instid1(VALU_DEP_1)
	v_add_min_u32_e64 v6, v3, -1, v2
	v_lshlrev_b64_e32 v[2:3], v6, v[4:5]
	s_delay_alu instid0(VALU_DEP_1) | instskip(NEXT) | instid1(VALU_DEP_1)
	v_min_u32_e32 v2, 1, v2
	v_or_b32_e32 v2, v3, v2
	v_dual_mov_b32 v6, 0x80 :: v_dual_sub_nc_u32 v3, 32, v6
	s_delay_alu instid0(VALU_DEP_2) | instskip(NEXT) | instid1(VALU_DEP_1)
	v_cvt_f32_i32_e32 v2, v2
	v_ldexp_f32 v2, v2, v3
	s_delay_alu instid0(VALU_DEP_1) | instskip(NEXT) | instid1(VALU_DEP_1)
	v_and_b32_e32 v3, 0x7fffffff, v2
	v_cmpx_gt_u32_e32 0x43800000, v3
	s_cbranch_execz .LBB198_2037
; %bb.2032:
	v_cmp_lt_u32_e32 vcc_lo, 0x3bffffff, v3
	s_mov_b32 s5, 0
                                        ; implicit-def: $vgpr3
	s_and_saveexec_b32 s6, vcc_lo
	s_delay_alu instid0(SALU_CYCLE_1)
	s_xor_b32 s6, exec_lo, s6
	s_cbranch_execz .LBB198_2099
; %bb.2033:
	v_bfe_u32 v3, v2, 20, 1
	s_mov_b32 s5, exec_lo
	s_delay_alu instid0(VALU_DEP_1) | instskip(NEXT) | instid1(VALU_DEP_1)
	v_add3_u32 v3, v2, v3, 0x487ffff
	v_lshrrev_b32_e32 v3, 20, v3
	s_and_not1_saveexec_b32 s6, s6
	s_cbranch_execnz .LBB198_2100
.LBB198_2034:
	s_or_b32 exec_lo, exec_lo, s6
	v_mov_b32_e32 v6, 0
	s_and_saveexec_b32 s6, s5
.LBB198_2035:
	v_lshrrev_b32_e32 v2, 24, v2
	s_delay_alu instid0(VALU_DEP_1)
	v_and_or_b32 v6, 0x80, v2, v3
.LBB198_2036:
	s_or_b32 exec_lo, exec_lo, s6
.LBB198_2037:
	s_delay_alu instid0(SALU_CYCLE_1)
	s_or_b32 exec_lo, exec_lo, s4
	global_store_b8 v[0:1], v6, off
.LBB198_2038:
	s_mov_b32 s4, 0
.LBB198_2039:
	s_delay_alu instid0(SALU_CYCLE_1)
	s_and_b32 vcc_lo, exec_lo, s4
	s_cbranch_vccz .LBB198_2079
; %bb.2040:
	s_cmp_gt_i32 s2, 22
	s_mov_b32 s3, -1
	s_cbranch_scc0 .LBB198_2072
; %bb.2041:
	s_cmp_lt_i32 s2, 24
	s_cbranch_scc1 .LBB198_2061
; %bb.2042:
	s_cmp_gt_i32 s2, 24
	s_cbranch_scc0 .LBB198_2050
; %bb.2043:
	s_wait_xcnt 0x0
	v_xor_b32_e32 v2, v4, v5
	v_cls_i32_e32 v3, v5
	s_mov_b32 s3, exec_lo
	s_delay_alu instid0(VALU_DEP_2) | instskip(NEXT) | instid1(VALU_DEP_1)
	v_ashrrev_i32_e32 v2, 31, v2
	v_add_nc_u32_e32 v2, 32, v2
	s_delay_alu instid0(VALU_DEP_1) | instskip(NEXT) | instid1(VALU_DEP_1)
	v_add_min_u32_e64 v6, v3, -1, v2
	v_lshlrev_b64_e32 v[2:3], v6, v[4:5]
	s_delay_alu instid0(VALU_DEP_1) | instskip(NEXT) | instid1(VALU_DEP_1)
	v_min_u32_e32 v2, 1, v2
	v_or_b32_e32 v2, v3, v2
	v_dual_mov_b32 v6, 0x80 :: v_dual_sub_nc_u32 v3, 32, v6
	s_delay_alu instid0(VALU_DEP_2) | instskip(NEXT) | instid1(VALU_DEP_1)
	v_cvt_f32_i32_e32 v2, v2
	v_ldexp_f32 v2, v2, v3
	s_delay_alu instid0(VALU_DEP_1) | instskip(NEXT) | instid1(VALU_DEP_1)
	v_and_b32_e32 v3, 0x7fffffff, v2
	v_cmpx_gt_u32_e32 0x47800000, v3
	s_cbranch_execz .LBB198_2049
; %bb.2044:
	v_cmp_lt_u32_e32 vcc_lo, 0x37ffffff, v3
	s_mov_b32 s4, 0
                                        ; implicit-def: $vgpr3
	s_and_saveexec_b32 s5, vcc_lo
	s_delay_alu instid0(SALU_CYCLE_1)
	s_xor_b32 s5, exec_lo, s5
	s_cbranch_execz .LBB198_2102
; %bb.2045:
	v_bfe_u32 v3, v2, 21, 1
	s_mov_b32 s4, exec_lo
	s_delay_alu instid0(VALU_DEP_1) | instskip(NEXT) | instid1(VALU_DEP_1)
	v_add3_u32 v3, v2, v3, 0x88fffff
	v_lshrrev_b32_e32 v3, 21, v3
	s_and_not1_saveexec_b32 s5, s5
	s_cbranch_execnz .LBB198_2103
.LBB198_2046:
	s_or_b32 exec_lo, exec_lo, s5
	v_mov_b32_e32 v6, 0
	s_and_saveexec_b32 s5, s4
.LBB198_2047:
	v_lshrrev_b32_e32 v2, 24, v2
	s_delay_alu instid0(VALU_DEP_1)
	v_and_or_b32 v6, 0x80, v2, v3
.LBB198_2048:
	s_or_b32 exec_lo, exec_lo, s5
.LBB198_2049:
	s_delay_alu instid0(SALU_CYCLE_1)
	s_or_b32 exec_lo, exec_lo, s3
	s_mov_b32 s3, 0
	global_store_b8 v[0:1], v6, off
.LBB198_2050:
	s_and_b32 vcc_lo, exec_lo, s3
	s_cbranch_vccz .LBB198_2060
; %bb.2051:
	s_wait_xcnt 0x0
	v_xor_b32_e32 v2, v4, v5
	v_cls_i32_e32 v3, v5
	s_mov_b32 s3, exec_lo
	s_delay_alu instid0(VALU_DEP_2) | instskip(NEXT) | instid1(VALU_DEP_1)
	v_ashrrev_i32_e32 v2, 31, v2
	v_add_nc_u32_e32 v2, 32, v2
	s_delay_alu instid0(VALU_DEP_1) | instskip(NEXT) | instid1(VALU_DEP_1)
	v_add_min_u32_e64 v6, v3, -1, v2
	v_lshlrev_b64_e32 v[2:3], v6, v[4:5]
	s_delay_alu instid0(VALU_DEP_1) | instskip(NEXT) | instid1(VALU_DEP_1)
	v_min_u32_e32 v2, 1, v2
	v_or_b32_e32 v2, v3, v2
	v_sub_nc_u32_e32 v3, 32, v6
	s_delay_alu instid0(VALU_DEP_2) | instskip(NEXT) | instid1(VALU_DEP_1)
	v_cvt_f32_i32_e32 v2, v2
	v_ldexp_f32 v2, v2, v3
                                        ; implicit-def: $vgpr3
	s_delay_alu instid0(VALU_DEP_1) | instskip(NEXT) | instid1(VALU_DEP_1)
	v_and_b32_e32 v6, 0x7fffffff, v2
	v_cmpx_gt_u32_e32 0x43f00000, v6
	s_xor_b32 s3, exec_lo, s3
	s_cbranch_execz .LBB198_2057
; %bb.2052:
	s_mov_b32 s4, exec_lo
                                        ; implicit-def: $vgpr3
	v_cmpx_lt_u32_e32 0x3c7fffff, v6
	s_xor_b32 s4, exec_lo, s4
; %bb.2053:
	v_bfe_u32 v3, v2, 20, 1
	s_delay_alu instid0(VALU_DEP_1) | instskip(NEXT) | instid1(VALU_DEP_1)
	v_add3_u32 v3, v2, v3, 0x407ffff
	v_and_b32_e32 v6, 0xff00000, v3
	v_lshrrev_b32_e32 v3, 20, v3
	s_delay_alu instid0(VALU_DEP_2) | instskip(NEXT) | instid1(VALU_DEP_2)
	v_cmp_ne_u32_e32 vcc_lo, 0x7f00000, v6
	v_cndmask_b32_e32 v3, 0x7e, v3, vcc_lo
; %bb.2054:
	s_and_not1_saveexec_b32 s4, s4
; %bb.2055:
	v_add_f32_e64 v3, 0x46800000, |v2|
; %bb.2056:
	s_or_b32 exec_lo, exec_lo, s4
                                        ; implicit-def: $vgpr6
.LBB198_2057:
	s_and_not1_saveexec_b32 s3, s3
; %bb.2058:
	v_mov_b32_e32 v3, 0x7f
	v_cmp_lt_u32_e32 vcc_lo, 0x7f800000, v6
	s_delay_alu instid0(VALU_DEP_2)
	v_cndmask_b32_e32 v3, 0x7e, v3, vcc_lo
; %bb.2059:
	s_or_b32 exec_lo, exec_lo, s3
	v_lshrrev_b32_e32 v2, 24, v2
	s_delay_alu instid0(VALU_DEP_1)
	v_and_or_b32 v2, 0x80, v2, v3
	global_store_b8 v[0:1], v2, off
.LBB198_2060:
	s_mov_b32 s3, 0
.LBB198_2061:
	s_delay_alu instid0(SALU_CYCLE_1)
	s_and_not1_b32 vcc_lo, exec_lo, s3
	s_cbranch_vccnz .LBB198_2071
; %bb.2062:
	s_wait_xcnt 0x0
	v_xor_b32_e32 v2, v4, v5
	v_cls_i32_e32 v3, v5
	s_mov_b32 s3, exec_lo
	s_delay_alu instid0(VALU_DEP_2) | instskip(NEXT) | instid1(VALU_DEP_1)
	v_ashrrev_i32_e32 v2, 31, v2
	v_add_nc_u32_e32 v2, 32, v2
	s_delay_alu instid0(VALU_DEP_1) | instskip(NEXT) | instid1(VALU_DEP_1)
	v_add_min_u32_e64 v6, v3, -1, v2
	v_lshlrev_b64_e32 v[2:3], v6, v[4:5]
	s_delay_alu instid0(VALU_DEP_1) | instskip(NEXT) | instid1(VALU_DEP_1)
	v_min_u32_e32 v2, 1, v2
	v_or_b32_e32 v2, v3, v2
	v_sub_nc_u32_e32 v3, 32, v6
	s_delay_alu instid0(VALU_DEP_2) | instskip(NEXT) | instid1(VALU_DEP_1)
	v_cvt_f32_i32_e32 v2, v2
	v_ldexp_f32 v2, v2, v3
                                        ; implicit-def: $vgpr3
	s_delay_alu instid0(VALU_DEP_1) | instskip(NEXT) | instid1(VALU_DEP_1)
	v_and_b32_e32 v6, 0x7fffffff, v2
	v_cmpx_gt_u32_e32 0x47800000, v6
	s_xor_b32 s3, exec_lo, s3
	s_cbranch_execz .LBB198_2068
; %bb.2063:
	s_mov_b32 s4, exec_lo
                                        ; implicit-def: $vgpr3
	v_cmpx_lt_u32_e32 0x387fffff, v6
	s_xor_b32 s4, exec_lo, s4
; %bb.2064:
	v_bfe_u32 v3, v2, 21, 1
	s_delay_alu instid0(VALU_DEP_1) | instskip(NEXT) | instid1(VALU_DEP_1)
	v_add3_u32 v3, v2, v3, 0x80fffff
	v_lshrrev_b32_e32 v3, 21, v3
; %bb.2065:
	s_and_not1_saveexec_b32 s4, s4
; %bb.2066:
	v_add_f32_e64 v3, 0x43000000, |v2|
; %bb.2067:
	s_or_b32 exec_lo, exec_lo, s4
                                        ; implicit-def: $vgpr6
.LBB198_2068:
	s_and_not1_saveexec_b32 s3, s3
; %bb.2069:
	v_mov_b32_e32 v3, 0x7f
	v_cmp_lt_u32_e32 vcc_lo, 0x7f800000, v6
	s_delay_alu instid0(VALU_DEP_2)
	v_cndmask_b32_e32 v3, 0x7c, v3, vcc_lo
; %bb.2070:
	s_or_b32 exec_lo, exec_lo, s3
	v_lshrrev_b32_e32 v2, 24, v2
	s_delay_alu instid0(VALU_DEP_1)
	v_and_or_b32 v2, 0x80, v2, v3
	global_store_b8 v[0:1], v2, off
.LBB198_2071:
	s_mov_b32 s3, 0
.LBB198_2072:
	s_delay_alu instid0(SALU_CYCLE_1)
	s_and_not1_b32 vcc_lo, exec_lo, s3
	s_mov_b32 s3, 0
	s_cbranch_vccnz .LBB198_2079
; %bb.2073:
	s_cmp_gt_i32 s2, 14
	s_mov_b32 s3, -1
	s_cbranch_scc0 .LBB198_2077
; %bb.2074:
	s_cmp_eq_u32 s2, 15
	s_mov_b32 s0, -1
	s_cbranch_scc0 .LBB198_2076
; %bb.2075:
	s_wait_xcnt 0x0
	v_xor_b32_e32 v2, v4, v5
	v_cls_i32_e32 v3, v5
	s_mov_b32 s0, 0
	s_delay_alu instid0(VALU_DEP_2) | instskip(NEXT) | instid1(VALU_DEP_1)
	v_ashrrev_i32_e32 v2, 31, v2
	v_add_nc_u32_e32 v2, 32, v2
	s_delay_alu instid0(VALU_DEP_1) | instskip(NEXT) | instid1(VALU_DEP_1)
	v_add_min_u32_e64 v6, v3, -1, v2
	v_lshlrev_b64_e32 v[2:3], v6, v[4:5]
	s_delay_alu instid0(VALU_DEP_1) | instskip(NEXT) | instid1(VALU_DEP_1)
	v_min_u32_e32 v2, 1, v2
	v_or_b32_e32 v2, v3, v2
	v_sub_nc_u32_e32 v3, 32, v6
	s_delay_alu instid0(VALU_DEP_2) | instskip(NEXT) | instid1(VALU_DEP_1)
	v_cvt_f32_i32_e32 v2, v2
	v_ldexp_f32 v2, v2, v3
	s_delay_alu instid0(VALU_DEP_1) | instskip(NEXT) | instid1(VALU_DEP_1)
	v_bfe_u32 v3, v2, 16, 1
	v_add3_u32 v2, v2, v3, 0x7fff
	global_store_d16_hi_b16 v[0:1], v2, off
.LBB198_2076:
	s_mov_b32 s3, 0
.LBB198_2077:
	s_delay_alu instid0(SALU_CYCLE_1)
	s_and_b32 vcc_lo, exec_lo, s3
	s_mov_b32 s3, 0
	s_cbranch_vccz .LBB198_2079
; %bb.2078:
	s_cmp_lg_u32 s2, 11
	s_mov_b32 s3, -1
	s_cselect_b32 s0, -1, 0
.LBB198_2079:
	s_delay_alu instid0(SALU_CYCLE_1)
	s_and_b32 vcc_lo, exec_lo, s0
	s_cbranch_vccnz .LBB198_2101
.LBB198_2080:
	s_mov_b32 s0, 0
	s_branch .LBB198_1595
.LBB198_2081:
	s_mov_b32 s0, 0
	s_mov_b32 s3, 0
                                        ; implicit-def: $sgpr17
                                        ; implicit-def: $vgpr0_vgpr1
	s_branch .LBB198_1595
.LBB198_2082:
	s_mov_b32 s3, 0
	s_mov_b32 s0, -1
	s_branch .LBB198_1595
.LBB198_2083:
	s_or_b32 s1, s1, exec_lo
	s_trap 2
	s_cbranch_execz .LBB198_1539
	s_branch .LBB198_1540
.LBB198_2084:
	s_and_not1_saveexec_b32 s8, s8
	s_cbranch_execz .LBB198_1674
.LBB198_2085:
	v_add_f32_e64 v12, 0x46000000, |v9|
	s_and_not1_b32 s7, s7, exec_lo
	s_delay_alu instid0(VALU_DEP_1) | instskip(NEXT) | instid1(VALU_DEP_1)
	v_and_b32_e32 v12, 0xff, v12
	v_cmp_ne_u32_e32 vcc_lo, 0, v12
	s_and_b32 s9, vcc_lo, exec_lo
	s_delay_alu instid0(SALU_CYCLE_1)
	s_or_b32 s7, s7, s9
	s_or_b32 exec_lo, exec_lo, s8
	v_mov_b32_e32 v13, 0
	s_and_saveexec_b32 s8, s7
	s_cbranch_execnz .LBB198_1675
	s_branch .LBB198_1676
.LBB198_2086:
	s_or_b32 s1, s1, exec_lo
	s_trap 2
	s_cbranch_execz .LBB198_1722
	s_branch .LBB198_1723
.LBB198_2087:
	s_and_not1_saveexec_b32 s7, s7
	s_cbranch_execz .LBB198_1687
.LBB198_2088:
	v_add_f32_e64 v12, 0x42800000, |v9|
	s_and_not1_b32 s6, s6, exec_lo
	s_delay_alu instid0(VALU_DEP_1) | instskip(NEXT) | instid1(VALU_DEP_1)
	v_and_b32_e32 v12, 0xff, v12
	v_cmp_ne_u32_e32 vcc_lo, 0, v12
	s_and_b32 s8, vcc_lo, exec_lo
	s_delay_alu instid0(SALU_CYCLE_1)
	s_or_b32 s6, s6, s8
	s_or_b32 exec_lo, exec_lo, s7
	v_mov_b32_e32 v13, 0
	s_and_saveexec_b32 s7, s6
	s_cbranch_execnz .LBB198_1688
	s_branch .LBB198_1689
.LBB198_2089:
	s_and_not1_saveexec_b32 s9, s9
	s_cbranch_execz .LBB198_1795
.LBB198_2090:
	v_add_f32_e64 v10, 0x46000000, |v1|
	s_and_not1_b32 s8, s8, exec_lo
	s_delay_alu instid0(VALU_DEP_1) | instskip(NEXT) | instid1(VALU_DEP_1)
	v_and_b32_e32 v10, 0xff, v10
	v_cmp_ne_u32_e32 vcc_lo, 0, v10
	s_and_b32 s10, vcc_lo, exec_lo
	s_delay_alu instid0(SALU_CYCLE_1)
	s_or_b32 s8, s8, s10
	s_or_b32 exec_lo, exec_lo, s9
	v_mov_b32_e32 v11, 0
	s_and_saveexec_b32 s9, s8
	s_cbranch_execnz .LBB198_1796
	s_branch .LBB198_1797
.LBB198_2091:
	s_or_b32 s1, s1, exec_lo
	s_trap 2
	s_cbranch_execz .LBB198_1843
	s_branch .LBB198_1844
.LBB198_2092:
	s_and_not1_saveexec_b32 s8, s8
	s_cbranch_execz .LBB198_1808
.LBB198_2093:
	v_add_f32_e64 v10, 0x42800000, |v1|
	s_and_not1_b32 s7, s7, exec_lo
	s_delay_alu instid0(VALU_DEP_1) | instskip(NEXT) | instid1(VALU_DEP_1)
	v_and_b32_e32 v10, 0xff, v10
	v_cmp_ne_u32_e32 vcc_lo, 0, v10
	s_and_b32 s9, vcc_lo, exec_lo
	s_delay_alu instid0(SALU_CYCLE_1)
	s_or_b32 s7, s7, s9
	s_or_b32 exec_lo, exec_lo, s8
	v_mov_b32_e32 v11, 0
	s_and_saveexec_b32 s8, s7
	s_cbranch_execnz .LBB198_1809
	s_branch .LBB198_1810
.LBB198_2094:
	s_and_not1_saveexec_b32 s9, s9
	s_cbranch_execz .LBB198_1914
.LBB198_2095:
	v_add_f32_e64 v8, 0x46000000, |v1|
	s_and_not1_b32 s8, s8, exec_lo
	s_delay_alu instid0(VALU_DEP_1) | instskip(NEXT) | instid1(VALU_DEP_1)
	v_and_b32_e32 v8, 0xff, v8
	v_cmp_ne_u32_e32 vcc_lo, 0, v8
	s_and_b32 s10, vcc_lo, exec_lo
	s_delay_alu instid0(SALU_CYCLE_1)
	s_or_b32 s8, s8, s10
	s_or_b32 exec_lo, exec_lo, s9
	v_mov_b32_e32 v9, 0
	s_and_saveexec_b32 s9, s8
	s_cbranch_execnz .LBB198_1915
	s_branch .LBB198_1916
.LBB198_2096:
	s_or_b32 s1, s1, exec_lo
	s_trap 2
	s_cbranch_execz .LBB198_1962
	s_branch .LBB198_1963
.LBB198_2097:
	s_and_not1_saveexec_b32 s8, s8
	s_cbranch_execz .LBB198_1927
.LBB198_2098:
	v_add_f32_e64 v8, 0x42800000, |v1|
	s_and_not1_b32 s7, s7, exec_lo
	s_delay_alu instid0(VALU_DEP_1) | instskip(NEXT) | instid1(VALU_DEP_1)
	v_and_b32_e32 v8, 0xff, v8
	v_cmp_ne_u32_e32 vcc_lo, 0, v8
	s_and_b32 s9, vcc_lo, exec_lo
	s_delay_alu instid0(SALU_CYCLE_1)
	s_or_b32 s7, s7, s9
	s_or_b32 exec_lo, exec_lo, s8
	v_mov_b32_e32 v9, 0
	s_and_saveexec_b32 s8, s7
	s_cbranch_execnz .LBB198_1928
	s_branch .LBB198_1929
.LBB198_2099:
	s_and_not1_saveexec_b32 s6, s6
	s_cbranch_execz .LBB198_2034
.LBB198_2100:
	v_add_f32_e64 v3, 0x46000000, |v2|
	s_and_not1_b32 s5, s5, exec_lo
	s_delay_alu instid0(VALU_DEP_1) | instskip(NEXT) | instid1(VALU_DEP_1)
	v_and_b32_e32 v3, 0xff, v3
	v_cmp_ne_u32_e32 vcc_lo, 0, v3
	s_and_b32 s7, vcc_lo, exec_lo
	s_delay_alu instid0(SALU_CYCLE_1)
	s_or_b32 s5, s5, s7
	s_or_b32 exec_lo, exec_lo, s6
	v_mov_b32_e32 v6, 0
	s_and_saveexec_b32 s6, s5
	s_cbranch_execnz .LBB198_2035
	s_branch .LBB198_2036
.LBB198_2101:
	s_mov_b32 s3, 0
	s_or_b32 s1, s1, exec_lo
	s_trap 2
	s_branch .LBB198_2080
.LBB198_2102:
	s_and_not1_saveexec_b32 s5, s5
	s_cbranch_execz .LBB198_2046
.LBB198_2103:
	v_add_f32_e64 v3, 0x42800000, |v2|
	s_and_not1_b32 s4, s4, exec_lo
	s_delay_alu instid0(VALU_DEP_1) | instskip(NEXT) | instid1(VALU_DEP_1)
	v_and_b32_e32 v3, 0xff, v3
	v_cmp_ne_u32_e32 vcc_lo, 0, v3
	s_and_b32 s6, vcc_lo, exec_lo
	s_delay_alu instid0(SALU_CYCLE_1)
	s_or_b32 s4, s4, s6
	s_or_b32 exec_lo, exec_lo, s5
	v_mov_b32_e32 v6, 0
	s_and_saveexec_b32 s5, s4
	s_cbranch_execnz .LBB198_2047
	s_branch .LBB198_2048
	.section	.rodata,"a",@progbits
	.p2align	6, 0x0
	.amdhsa_kernel _ZN2at6native32elementwise_kernel_manual_unrollILi128ELi4EZNS0_15gpu_kernel_implIZZZNS0_12_GLOBAL__N_119launch_clamp_scalarERNS_18TensorIteratorBaseEN3c106ScalarES7_NS0_6detail11ClampLimitsEENKUlvE_clEvENKUlvE2_clEvEUllE_EEvS5_RKT_EUlibE_EEviT1_
		.amdhsa_group_segment_fixed_size 0
		.amdhsa_private_segment_fixed_size 0
		.amdhsa_kernarg_size 64
		.amdhsa_user_sgpr_count 2
		.amdhsa_user_sgpr_dispatch_ptr 0
		.amdhsa_user_sgpr_queue_ptr 0
		.amdhsa_user_sgpr_kernarg_segment_ptr 1
		.amdhsa_user_sgpr_dispatch_id 0
		.amdhsa_user_sgpr_kernarg_preload_length 0
		.amdhsa_user_sgpr_kernarg_preload_offset 0
		.amdhsa_user_sgpr_private_segment_size 0
		.amdhsa_wavefront_size32 1
		.amdhsa_uses_dynamic_stack 0
		.amdhsa_enable_private_segment 0
		.amdhsa_system_sgpr_workgroup_id_x 1
		.amdhsa_system_sgpr_workgroup_id_y 0
		.amdhsa_system_sgpr_workgroup_id_z 0
		.amdhsa_system_sgpr_workgroup_info 0
		.amdhsa_system_vgpr_workitem_id 0
		.amdhsa_next_free_vgpr 16
		.amdhsa_next_free_sgpr 31
		.amdhsa_named_barrier_count 0
		.amdhsa_reserve_vcc 1
		.amdhsa_float_round_mode_32 0
		.amdhsa_float_round_mode_16_64 0
		.amdhsa_float_denorm_mode_32 3
		.amdhsa_float_denorm_mode_16_64 3
		.amdhsa_fp16_overflow 0
		.amdhsa_memory_ordered 1
		.amdhsa_forward_progress 1
		.amdhsa_inst_pref_size 255
		.amdhsa_round_robin_scheduling 0
		.amdhsa_exception_fp_ieee_invalid_op 0
		.amdhsa_exception_fp_denorm_src 0
		.amdhsa_exception_fp_ieee_div_zero 0
		.amdhsa_exception_fp_ieee_overflow 0
		.amdhsa_exception_fp_ieee_underflow 0
		.amdhsa_exception_fp_ieee_inexact 0
		.amdhsa_exception_int_div_zero 0
	.end_amdhsa_kernel
	.section	.text._ZN2at6native32elementwise_kernel_manual_unrollILi128ELi4EZNS0_15gpu_kernel_implIZZZNS0_12_GLOBAL__N_119launch_clamp_scalarERNS_18TensorIteratorBaseEN3c106ScalarES7_NS0_6detail11ClampLimitsEENKUlvE_clEvENKUlvE2_clEvEUllE_EEvS5_RKT_EUlibE_EEviT1_,"axG",@progbits,_ZN2at6native32elementwise_kernel_manual_unrollILi128ELi4EZNS0_15gpu_kernel_implIZZZNS0_12_GLOBAL__N_119launch_clamp_scalarERNS_18TensorIteratorBaseEN3c106ScalarES7_NS0_6detail11ClampLimitsEENKUlvE_clEvENKUlvE2_clEvEUllE_EEvS5_RKT_EUlibE_EEviT1_,comdat
.Lfunc_end198:
	.size	_ZN2at6native32elementwise_kernel_manual_unrollILi128ELi4EZNS0_15gpu_kernel_implIZZZNS0_12_GLOBAL__N_119launch_clamp_scalarERNS_18TensorIteratorBaseEN3c106ScalarES7_NS0_6detail11ClampLimitsEENKUlvE_clEvENKUlvE2_clEvEUllE_EEvS5_RKT_EUlibE_EEviT1_, .Lfunc_end198-_ZN2at6native32elementwise_kernel_manual_unrollILi128ELi4EZNS0_15gpu_kernel_implIZZZNS0_12_GLOBAL__N_119launch_clamp_scalarERNS_18TensorIteratorBaseEN3c106ScalarES7_NS0_6detail11ClampLimitsEENKUlvE_clEvENKUlvE2_clEvEUllE_EEvS5_RKT_EUlibE_EEviT1_
                                        ; -- End function
	.set _ZN2at6native32elementwise_kernel_manual_unrollILi128ELi4EZNS0_15gpu_kernel_implIZZZNS0_12_GLOBAL__N_119launch_clamp_scalarERNS_18TensorIteratorBaseEN3c106ScalarES7_NS0_6detail11ClampLimitsEENKUlvE_clEvENKUlvE2_clEvEUllE_EEvS5_RKT_EUlibE_EEviT1_.num_vgpr, 16
	.set _ZN2at6native32elementwise_kernel_manual_unrollILi128ELi4EZNS0_15gpu_kernel_implIZZZNS0_12_GLOBAL__N_119launch_clamp_scalarERNS_18TensorIteratorBaseEN3c106ScalarES7_NS0_6detail11ClampLimitsEENKUlvE_clEvENKUlvE2_clEvEUllE_EEvS5_RKT_EUlibE_EEviT1_.num_agpr, 0
	.set _ZN2at6native32elementwise_kernel_manual_unrollILi128ELi4EZNS0_15gpu_kernel_implIZZZNS0_12_GLOBAL__N_119launch_clamp_scalarERNS_18TensorIteratorBaseEN3c106ScalarES7_NS0_6detail11ClampLimitsEENKUlvE_clEvENKUlvE2_clEvEUllE_EEvS5_RKT_EUlibE_EEviT1_.numbered_sgpr, 31
	.set _ZN2at6native32elementwise_kernel_manual_unrollILi128ELi4EZNS0_15gpu_kernel_implIZZZNS0_12_GLOBAL__N_119launch_clamp_scalarERNS_18TensorIteratorBaseEN3c106ScalarES7_NS0_6detail11ClampLimitsEENKUlvE_clEvENKUlvE2_clEvEUllE_EEvS5_RKT_EUlibE_EEviT1_.num_named_barrier, 0
	.set _ZN2at6native32elementwise_kernel_manual_unrollILi128ELi4EZNS0_15gpu_kernel_implIZZZNS0_12_GLOBAL__N_119launch_clamp_scalarERNS_18TensorIteratorBaseEN3c106ScalarES7_NS0_6detail11ClampLimitsEENKUlvE_clEvENKUlvE2_clEvEUllE_EEvS5_RKT_EUlibE_EEviT1_.private_seg_size, 0
	.set _ZN2at6native32elementwise_kernel_manual_unrollILi128ELi4EZNS0_15gpu_kernel_implIZZZNS0_12_GLOBAL__N_119launch_clamp_scalarERNS_18TensorIteratorBaseEN3c106ScalarES7_NS0_6detail11ClampLimitsEENKUlvE_clEvENKUlvE2_clEvEUllE_EEvS5_RKT_EUlibE_EEviT1_.uses_vcc, 1
	.set _ZN2at6native32elementwise_kernel_manual_unrollILi128ELi4EZNS0_15gpu_kernel_implIZZZNS0_12_GLOBAL__N_119launch_clamp_scalarERNS_18TensorIteratorBaseEN3c106ScalarES7_NS0_6detail11ClampLimitsEENKUlvE_clEvENKUlvE2_clEvEUllE_EEvS5_RKT_EUlibE_EEviT1_.uses_flat_scratch, 0
	.set _ZN2at6native32elementwise_kernel_manual_unrollILi128ELi4EZNS0_15gpu_kernel_implIZZZNS0_12_GLOBAL__N_119launch_clamp_scalarERNS_18TensorIteratorBaseEN3c106ScalarES7_NS0_6detail11ClampLimitsEENKUlvE_clEvENKUlvE2_clEvEUllE_EEvS5_RKT_EUlibE_EEviT1_.has_dyn_sized_stack, 0
	.set _ZN2at6native32elementwise_kernel_manual_unrollILi128ELi4EZNS0_15gpu_kernel_implIZZZNS0_12_GLOBAL__N_119launch_clamp_scalarERNS_18TensorIteratorBaseEN3c106ScalarES7_NS0_6detail11ClampLimitsEENKUlvE_clEvENKUlvE2_clEvEUllE_EEvS5_RKT_EUlibE_EEviT1_.has_recursion, 0
	.set _ZN2at6native32elementwise_kernel_manual_unrollILi128ELi4EZNS0_15gpu_kernel_implIZZZNS0_12_GLOBAL__N_119launch_clamp_scalarERNS_18TensorIteratorBaseEN3c106ScalarES7_NS0_6detail11ClampLimitsEENKUlvE_clEvENKUlvE2_clEvEUllE_EEvS5_RKT_EUlibE_EEviT1_.has_indirect_call, 0
	.section	.AMDGPU.csdata,"",@progbits
; Kernel info:
; codeLenInByte = 48676
; TotalNumSgprs: 33
; NumVgprs: 16
; ScratchSize: 0
; MemoryBound: 1
; FloatMode: 240
; IeeeMode: 1
; LDSByteSize: 0 bytes/workgroup (compile time only)
; SGPRBlocks: 0
; VGPRBlocks: 0
; NumSGPRsForWavesPerEU: 33
; NumVGPRsForWavesPerEU: 16
; NamedBarCnt: 0
; Occupancy: 16
; WaveLimiterHint : 0
; COMPUTE_PGM_RSRC2:SCRATCH_EN: 0
; COMPUTE_PGM_RSRC2:USER_SGPR: 2
; COMPUTE_PGM_RSRC2:TRAP_HANDLER: 0
; COMPUTE_PGM_RSRC2:TGID_X_EN: 1
; COMPUTE_PGM_RSRC2:TGID_Y_EN: 0
; COMPUTE_PGM_RSRC2:TGID_Z_EN: 0
; COMPUTE_PGM_RSRC2:TIDIG_COMP_CNT: 0
	.section	.text._ZN2at6native32elementwise_kernel_manual_unrollILi128ELi4EZNS0_15gpu_kernel_implIZZZNS0_12_GLOBAL__N_119launch_clamp_scalarERNS_18TensorIteratorBaseEN3c106ScalarES7_NS0_6detail11ClampLimitsEENKUlvE_clEvENKUlvE2_clEvEUllE_EEvS5_RKT_EUlibE0_EEviT1_,"axG",@progbits,_ZN2at6native32elementwise_kernel_manual_unrollILi128ELi4EZNS0_15gpu_kernel_implIZZZNS0_12_GLOBAL__N_119launch_clamp_scalarERNS_18TensorIteratorBaseEN3c106ScalarES7_NS0_6detail11ClampLimitsEENKUlvE_clEvENKUlvE2_clEvEUllE_EEvS5_RKT_EUlibE0_EEviT1_,comdat
	.globl	_ZN2at6native32elementwise_kernel_manual_unrollILi128ELi4EZNS0_15gpu_kernel_implIZZZNS0_12_GLOBAL__N_119launch_clamp_scalarERNS_18TensorIteratorBaseEN3c106ScalarES7_NS0_6detail11ClampLimitsEENKUlvE_clEvENKUlvE2_clEvEUllE_EEvS5_RKT_EUlibE0_EEviT1_ ; -- Begin function _ZN2at6native32elementwise_kernel_manual_unrollILi128ELi4EZNS0_15gpu_kernel_implIZZZNS0_12_GLOBAL__N_119launch_clamp_scalarERNS_18TensorIteratorBaseEN3c106ScalarES7_NS0_6detail11ClampLimitsEENKUlvE_clEvENKUlvE2_clEvEUllE_EEvS5_RKT_EUlibE0_EEviT1_
	.p2align	8
	.type	_ZN2at6native32elementwise_kernel_manual_unrollILi128ELi4EZNS0_15gpu_kernel_implIZZZNS0_12_GLOBAL__N_119launch_clamp_scalarERNS_18TensorIteratorBaseEN3c106ScalarES7_NS0_6detail11ClampLimitsEENKUlvE_clEvENKUlvE2_clEvEUllE_EEvS5_RKT_EUlibE0_EEviT1_,@function
_ZN2at6native32elementwise_kernel_manual_unrollILi128ELi4EZNS0_15gpu_kernel_implIZZZNS0_12_GLOBAL__N_119launch_clamp_scalarERNS_18TensorIteratorBaseEN3c106ScalarES7_NS0_6detail11ClampLimitsEENKUlvE_clEvENKUlvE2_clEvEUllE_EEvS5_RKT_EUlibE0_EEviT1_: ; @_ZN2at6native32elementwise_kernel_manual_unrollILi128ELi4EZNS0_15gpu_kernel_implIZZZNS0_12_GLOBAL__N_119launch_clamp_scalarERNS_18TensorIteratorBaseEN3c106ScalarES7_NS0_6detail11ClampLimitsEENKUlvE_clEvENKUlvE2_clEvEUllE_EEvS5_RKT_EUlibE0_EEviT1_
; %bb.0:
	s_clause 0x1
	s_load_b32 s33, s[0:1], 0x8
	s_load_b32 s41, s[0:1], 0x0
	s_bfe_u32 s2, ttmp6, 0x4000c
	s_and_b32 s3, ttmp6, 15
	s_add_co_i32 s2, s2, 1
	s_getreg_b32 s4, hwreg(HW_REG_IB_STS2, 6, 4)
	s_mul_i32 s2, ttmp9, s2
	s_mov_b32 s35, 0
	s_add_co_i32 s3, s3, s2
	s_cmp_eq_u32 s4, 0
	s_mov_b32 s27, -1
	s_cselect_b32 s2, ttmp9, s3
	s_mov_b32 s8, 0
	v_lshl_or_b32 v0, s2, 9, v0
	s_add_nc_u64 s[2:3], s[0:1], 8
	s_wait_xcnt 0x0
	s_mov_b32 s0, exec_lo
	s_delay_alu instid0(VALU_DEP_1) | instskip(SKIP_2) | instid1(SALU_CYCLE_1)
	v_or_b32_e32 v9, 0x180, v0
	s_wait_kmcnt 0x0
	s_add_co_i32 s34, s33, -1
	s_cmp_gt_u32 s34, 1
	s_cselect_b32 s36, -1, 0
	v_cmpx_le_i32_e64 s41, v9
	s_xor_b32 s37, exec_lo, s0
	s_cbranch_execz .LBB199_1124
; %bb.1:
	s_clause 0x6
	s_load_b128 s[12:15], s[2:3], 0x4
	s_load_b64 s[0:1], s[2:3], 0x14
	s_load_b32 s38, s[2:3], 0x170
	s_load_b128 s[16:19], s[2:3], 0xc4
	s_load_b128 s[4:7], s[2:3], 0x148
	s_load_b32 s39, s[2:3], 0x158
	s_load_b128 s[8:11], s[2:3], 0x160
	s_cmp_lg_u32 s33, 0
	s_mov_b32 s21, 0
	s_cselect_b32 s43, -1, 0
	s_min_u32 s42, s34, 15
	s_cmp_gt_u32 s33, 1
	s_add_nc_u64 s[24:25], s[2:3], 0xc4
	s_mov_b32 s23, s21
	s_mov_b32 s45, s21
	s_cselect_b32 s40, -1, 0
	s_mov_b32 s44, s21
	s_mov_b32 s46, exec_lo
	s_wait_kmcnt 0x0
	s_mov_b32 s20, s13
	s_mov_b32 s22, s0
	s_bfe_u32 s13, s38, 0x80008
	v_cmpx_gt_i32_e64 s41, v0
	s_cbranch_execz .LBB199_274
; %bb.2:
	s_and_not1_b32 vcc_lo, exec_lo, s36
	s_cbranch_vccnz .LBB199_8
; %bb.3:
	s_and_not1_b32 vcc_lo, exec_lo, s43
	s_cbranch_vccnz .LBB199_9
; %bb.4:
	s_add_co_i32 s0, s42, 1
	s_cmp_eq_u32 s34, 2
	s_cbranch_scc1 .LBB199_10
; %bb.5:
	v_dual_mov_b32 v2, 0 :: v_dual_mov_b32 v4, 0
	v_mov_b32_e32 v1, v0
	s_and_b32 s26, s0, 28
	s_mov_b32 s27, 0
	s_mov_b64 s[28:29], s[2:3]
	s_mov_b64 s[30:31], s[24:25]
.LBB199_6:                              ; =>This Inner Loop Header: Depth=1
	s_clause 0x1
	s_load_b256 s[48:55], s[28:29], 0x4
	s_load_b128 s[64:67], s[28:29], 0x24
	s_load_b256 s[56:63], s[30:31], 0x0
	s_add_co_i32 s27, s27, 4
	s_wait_xcnt 0x0
	s_add_nc_u64 s[28:29], s[28:29], 48
	s_cmp_lg_u32 s26, s27
	s_add_nc_u64 s[30:31], s[30:31], 32
	s_wait_kmcnt 0x0
	v_mul_hi_u32 v3, s49, v1
	s_delay_alu instid0(VALU_DEP_1) | instskip(NEXT) | instid1(VALU_DEP_1)
	v_add_nc_u32_e32 v3, v1, v3
	v_lshrrev_b32_e32 v3, s50, v3
	s_delay_alu instid0(VALU_DEP_1) | instskip(NEXT) | instid1(VALU_DEP_1)
	v_mul_hi_u32 v5, s52, v3
	v_add_nc_u32_e32 v5, v3, v5
	s_delay_alu instid0(VALU_DEP_1) | instskip(NEXT) | instid1(VALU_DEP_1)
	v_lshrrev_b32_e32 v5, s53, v5
	v_mul_hi_u32 v6, s55, v5
	s_delay_alu instid0(VALU_DEP_1) | instskip(SKIP_1) | instid1(VALU_DEP_1)
	v_add_nc_u32_e32 v6, v5, v6
	v_mul_lo_u32 v7, v3, s48
	v_sub_nc_u32_e32 v1, v1, v7
	v_mul_lo_u32 v7, v5, s51
	s_delay_alu instid0(VALU_DEP_4) | instskip(NEXT) | instid1(VALU_DEP_3)
	v_lshrrev_b32_e32 v6, s64, v6
	v_mad_u32 v4, v1, s57, v4
	v_mad_u32 v1, v1, s56, v2
	s_delay_alu instid0(VALU_DEP_4) | instskip(NEXT) | instid1(VALU_DEP_4)
	v_sub_nc_u32_e32 v2, v3, v7
	v_mul_hi_u32 v8, s66, v6
	v_mul_lo_u32 v3, v6, s54
	s_delay_alu instid0(VALU_DEP_3) | instskip(SKIP_1) | instid1(VALU_DEP_3)
	v_mad_u32 v4, v2, s59, v4
	v_mad_u32 v2, v2, s58, v1
	v_dual_add_nc_u32 v7, v6, v8 :: v_dual_sub_nc_u32 v3, v5, v3
	s_delay_alu instid0(VALU_DEP_1) | instskip(NEXT) | instid1(VALU_DEP_2)
	v_lshrrev_b32_e32 v1, s67, v7
	v_mad_u32 v4, v3, s61, v4
	s_delay_alu instid0(VALU_DEP_4) | instskip(NEXT) | instid1(VALU_DEP_3)
	v_mad_u32 v2, v3, s60, v2
	v_mul_lo_u32 v5, v1, s65
	s_delay_alu instid0(VALU_DEP_1) | instskip(NEXT) | instid1(VALU_DEP_1)
	v_sub_nc_u32_e32 v3, v6, v5
	v_mad_u32 v4, v3, s63, v4
	s_delay_alu instid0(VALU_DEP_4)
	v_mad_u32 v2, v3, s62, v2
	s_cbranch_scc1 .LBB199_6
; %bb.7:
	s_delay_alu instid0(VALU_DEP_2)
	v_mov_b32_e32 v3, v4
	s_and_b32 s0, s0, 3
	s_mov_b32 s27, 0
	s_cmp_eq_u32 s0, 0
	s_cbranch_scc0 .LBB199_11
	s_branch .LBB199_14
.LBB199_8:
                                        ; implicit-def: $vgpr4
                                        ; implicit-def: $vgpr2
	s_branch .LBB199_15
.LBB199_9:
	v_dual_mov_b32 v4, 0 :: v_dual_mov_b32 v2, 0
	s_branch .LBB199_14
.LBB199_10:
	v_mov_b64_e32 v[2:3], 0
	v_mov_b32_e32 v1, v0
	s_mov_b32 s26, 0
                                        ; implicit-def: $vgpr4
	s_and_b32 s0, s0, 3
	s_mov_b32 s27, 0
	s_cmp_eq_u32 s0, 0
	s_cbranch_scc1 .LBB199_14
.LBB199_11:
	s_lshl_b32 s28, s26, 3
	s_mov_b32 s29, s27
	s_mul_u64 s[30:31], s[26:27], 12
	s_add_nc_u64 s[28:29], s[2:3], s[28:29]
	s_delay_alu instid0(SALU_CYCLE_1)
	s_add_nc_u64 s[26:27], s[28:29], 0xc4
	s_add_nc_u64 s[28:29], s[2:3], s[30:31]
.LBB199_12:                             ; =>This Inner Loop Header: Depth=1
	s_load_b96 s[48:50], s[28:29], 0x4
	s_load_b64 s[30:31], s[26:27], 0x0
	s_add_co_i32 s0, s0, -1
	s_wait_xcnt 0x0
	s_add_nc_u64 s[28:29], s[28:29], 12
	s_cmp_lg_u32 s0, 0
	s_add_nc_u64 s[26:27], s[26:27], 8
	s_wait_kmcnt 0x0
	v_mul_hi_u32 v4, s49, v1
	s_delay_alu instid0(VALU_DEP_1) | instskip(NEXT) | instid1(VALU_DEP_1)
	v_add_nc_u32_e32 v4, v1, v4
	v_lshrrev_b32_e32 v4, s50, v4
	s_delay_alu instid0(VALU_DEP_1) | instskip(NEXT) | instid1(VALU_DEP_1)
	v_mul_lo_u32 v5, v4, s48
	v_sub_nc_u32_e32 v1, v1, v5
	s_delay_alu instid0(VALU_DEP_1)
	v_mad_u32 v3, v1, s31, v3
	v_mad_u32 v2, v1, s30, v2
	v_mov_b32_e32 v1, v4
	s_cbranch_scc1 .LBB199_12
; %bb.13:
	s_delay_alu instid0(VALU_DEP_3)
	v_mov_b32_e32 v4, v3
.LBB199_14:
	s_cbranch_execnz .LBB199_17
.LBB199_15:
	v_mov_b32_e32 v1, 0
	s_and_not1_b32 vcc_lo, exec_lo, s40
	s_delay_alu instid0(VALU_DEP_1) | instskip(NEXT) | instid1(VALU_DEP_1)
	v_mul_u64_e32 v[2:3], s[20:21], v[0:1]
	v_add_nc_u32_e32 v2, v0, v3
	s_delay_alu instid0(VALU_DEP_1) | instskip(NEXT) | instid1(VALU_DEP_1)
	v_lshrrev_b32_e32 v6, s14, v2
	v_mul_lo_u32 v2, v6, s12
	s_delay_alu instid0(VALU_DEP_1) | instskip(NEXT) | instid1(VALU_DEP_1)
	v_sub_nc_u32_e32 v2, v0, v2
	v_mul_lo_u32 v4, v2, s17
	v_mul_lo_u32 v2, v2, s16
	s_cbranch_vccnz .LBB199_17
; %bb.16:
	v_mov_b32_e32 v7, v1
	s_delay_alu instid0(VALU_DEP_1) | instskip(NEXT) | instid1(VALU_DEP_1)
	v_mul_u64_e32 v[8:9], s[22:23], v[6:7]
	v_add_nc_u32_e32 v1, v6, v9
	s_delay_alu instid0(VALU_DEP_1) | instskip(NEXT) | instid1(VALU_DEP_1)
	v_lshrrev_b32_e32 v1, s1, v1
	v_mul_lo_u32 v1, v1, s15
	s_delay_alu instid0(VALU_DEP_1) | instskip(NEXT) | instid1(VALU_DEP_1)
	v_sub_nc_u32_e32 v1, v6, v1
	v_mad_u32 v2, v1, s18, v2
	v_mad_u32 v4, v1, s19, v4
.LBB199_17:
	v_mov_b32_e32 v5, 0
	s_and_b32 s0, 0xffff, s13
	s_delay_alu instid0(SALU_CYCLE_1) | instskip(NEXT) | instid1(VALU_DEP_1)
	s_cmp_lt_i32 s0, 11
	v_add_nc_u64_e32 v[4:5], s[6:7], v[4:5]
	s_cbranch_scc1 .LBB199_24
; %bb.18:
	s_cmp_gt_i32 s0, 25
	s_cbranch_scc0 .LBB199_29
; %bb.19:
	s_cmp_gt_i32 s0, 28
	s_cbranch_scc0 .LBB199_31
	;; [unrolled: 3-line block ×4, first 2 shown]
; %bb.22:
	s_cmp_eq_u32 s0, 46
	s_mov_b32 s28, 0
	s_cbranch_scc0 .LBB199_53
; %bb.23:
	global_load_b32 v1, v[4:5], off
	s_mov_b32 s27, -1
	s_mov_b32 s26, 0
	s_wait_loadcnt 0x0
	v_lshlrev_b32_e32 v1, 16, v1
	s_delay_alu instid0(VALU_DEP_1) | instskip(NEXT) | instid1(VALU_DEP_1)
	v_trunc_f32_e32 v1, v1
	v_mul_f32_e64 v3, 0x2f800000, |v1|
	v_ashrrev_i32_e32 v6, 31, v1
	s_delay_alu instid0(VALU_DEP_2) | instskip(NEXT) | instid1(VALU_DEP_1)
	v_floor_f32_e32 v3, v3
	v_fma_f32 v7, 0xcf800000, v3, |v1|
	v_cvt_u32_f32_e32 v1, v3
	s_delay_alu instid0(VALU_DEP_2) | instskip(NEXT) | instid1(VALU_DEP_2)
	v_cvt_u32_f32_e32 v3, v7
	v_dual_mov_b32 v7, v6 :: v_dual_bitop2_b32 v9, v1, v6 bitop3:0x14
	s_delay_alu instid0(VALU_DEP_2) | instskip(NEXT) | instid1(VALU_DEP_1)
	v_xor_b32_e32 v8, v3, v6
	v_sub_nc_u64_e32 v[6:7], v[8:9], v[6:7]
	s_branch .LBB199_55
.LBB199_24:
	s_mov_b32 s26, 0
	s_mov_b32 s27, 0
                                        ; implicit-def: $vgpr6_vgpr7
	s_cbranch_execnz .LBB199_224
.LBB199_25:
	s_and_not1_b32 vcc_lo, exec_lo, s27
	s_cbranch_vccnz .LBB199_271
.LBB199_26:
	s_cmp_lt_i32 s39, 1
	s_mov_b32 s0, 0
	s_cbranch_scc1 .LBB199_30
; %bb.27:
	s_cmp_eq_u32 s39, 1
	s_cbranch_scc0 .LBB199_32
; %bb.28:
	s_wait_loadcnt 0x0
	s_delay_alu instid0(VALU_DEP_1)
	v_min_i64 v[4:5], v[6:7], s[8:9]
	s_mov_b32 s27, 0
	s_branch .LBB199_33
.LBB199_29:
	s_mov_b32 s26, 0
	s_mov_b32 s27, 0
                                        ; implicit-def: $vgpr6_vgpr7
	s_cbranch_execnz .LBB199_191
	s_branch .LBB199_223
.LBB199_30:
	s_mov_b32 s27, 0
                                        ; implicit-def: $vgpr4_vgpr5
	s_cbranch_execnz .LBB199_34
	s_branch .LBB199_35
.LBB199_31:
	s_mov_b32 s28, -1
	s_mov_b32 s26, 0
	s_mov_b32 s27, 0
                                        ; implicit-def: $vgpr6_vgpr7
	s_branch .LBB199_174
.LBB199_32:
	s_mov_b32 s27, -1
                                        ; implicit-def: $vgpr4_vgpr5
.LBB199_33:
	s_branch .LBB199_35
.LBB199_34:
	s_cmp_lg_u32 s39, 0
	s_mov_b32 s0, -1
	s_cselect_b32 s27, -1, 0
.LBB199_35:
	s_delay_alu instid0(SALU_CYCLE_1)
	s_and_not1_b32 vcc_lo, exec_lo, s27
	s_cbranch_vccnz .LBB199_37
; %bb.36:
	s_wait_loadcnt 0x0
	s_delay_alu instid0(VALU_DEP_1) | instskip(NEXT) | instid1(VALU_DEP_1)
	v_max_i64 v[4:5], v[6:7], s[8:9]
	v_min_i64 v[4:5], v[4:5], s[10:11]
	s_cbranch_execz .LBB199_38
	s_branch .LBB199_39
.LBB199_37:
	s_and_not1_b32 vcc_lo, exec_lo, s0
	s_cbranch_vccnz .LBB199_39
.LBB199_38:
	s_wait_loadcnt 0x0
	s_delay_alu instid0(VALU_DEP_1)
	v_max_i64 v[4:5], v[6:7], s[8:9]
.LBB199_39:
	v_mov_b32_e32 v3, 0
	s_and_b32 s27, s38, 0xff
	s_delay_alu instid0(SALU_CYCLE_1) | instskip(NEXT) | instid1(VALU_DEP_1)
	s_cmp_lt_i32 s27, 11
	v_add_nc_u64_e32 v[2:3], s[4:5], v[2:3]
	s_cbranch_scc1 .LBB199_46
; %bb.40:
	s_and_b32 s28, 0xffff, s27
	s_delay_alu instid0(SALU_CYCLE_1)
	s_cmp_gt_i32 s28, 25
	s_cbranch_scc0 .LBB199_48
; %bb.41:
	s_cmp_gt_i32 s28, 28
	s_cbranch_scc0 .LBB199_50
; %bb.42:
	;; [unrolled: 3-line block ×4, first 2 shown]
	s_mov_b32 s30, 0
	s_mov_b32 s0, -1
	s_cmp_eq_u32 s28, 46
	s_mov_b32 s29, 0
	s_cbranch_scc0 .LBB199_59
; %bb.45:
	s_delay_alu instid0(VALU_DEP_3)
	v_xor_b32_e32 v1, v4, v5
	s_wait_loadcnt 0x0
	v_cls_i32_e32 v6, v5
	s_mov_b32 s29, -1
	s_mov_b32 s0, 0
	v_ashrrev_i32_e32 v1, 31, v1
	s_delay_alu instid0(VALU_DEP_1) | instskip(NEXT) | instid1(VALU_DEP_1)
	v_add_nc_u32_e32 v1, 32, v1
	v_add_min_u32_e64 v1, v6, -1, v1
	s_delay_alu instid0(VALU_DEP_1) | instskip(SKIP_1) | instid1(VALU_DEP_2)
	v_lshlrev_b64_e32 v[6:7], v1, v[4:5]
	v_sub_nc_u32_e32 v1, 32, v1
	v_min_u32_e32 v6, 1, v6
	s_delay_alu instid0(VALU_DEP_1) | instskip(NEXT) | instid1(VALU_DEP_1)
	v_or_b32_e32 v6, v7, v6
	v_cvt_f32_i32_e32 v6, v6
	s_delay_alu instid0(VALU_DEP_1) | instskip(NEXT) | instid1(VALU_DEP_1)
	v_ldexp_f32 v1, v6, v1
	v_bfe_u32 v6, v1, 16, 1
	s_delay_alu instid0(VALU_DEP_1) | instskip(NEXT) | instid1(VALU_DEP_1)
	v_add3_u32 v1, v1, v6, 0x7fff
	v_lshrrev_b32_e32 v1, 16, v1
	global_store_b32 v[2:3], v1, off
	s_branch .LBB199_59
.LBB199_46:
	s_mov_b32 s0, 0
	s_mov_b32 s29, 0
	s_cbranch_execnz .LBB199_128
.LBB199_47:
	s_and_not1_b32 vcc_lo, exec_lo, s29
	s_cbranch_vccz .LBB199_166
	s_branch .LBB199_272
.LBB199_48:
	s_mov_b32 s30, -1
	s_mov_b32 s0, 0
	s_mov_b32 s29, 0
	s_branch .LBB199_86
.LBB199_49:
	s_mov_b32 s28, -1
	s_mov_b32 s26, 0
	s_mov_b32 s27, 0
                                        ; implicit-def: $vgpr6_vgpr7
	s_branch .LBB199_169
.LBB199_50:
	s_mov_b32 s30, -1
	s_mov_b32 s0, 0
	s_mov_b32 s29, 0
	s_branch .LBB199_69
.LBB199_51:
	s_mov_b32 s28, -1
	s_mov_b32 s26, 0
	s_branch .LBB199_54
.LBB199_52:
	s_mov_b32 s30, -1
	s_mov_b32 s0, 0
	s_mov_b32 s29, 0
	s_branch .LBB199_65
.LBB199_53:
	s_mov_b32 s26, -1
.LBB199_54:
	s_mov_b32 s27, 0
                                        ; implicit-def: $vgpr6_vgpr7
.LBB199_55:
	s_and_b32 vcc_lo, exec_lo, s28
	s_cbranch_vccz .LBB199_168
; %bb.56:
	s_cmp_eq_u32 s0, 44
	s_cbranch_scc0 .LBB199_167
; %bb.57:
	global_load_u8 v1, v[4:5], off
	s_mov_b32 s26, 0
	s_mov_b32 s27, -1
	s_wait_loadcnt 0x0
	v_lshlrev_b32_e32 v3, 23, v1
	v_cmp_ne_u32_e32 vcc_lo, 0, v1
	s_delay_alu instid0(VALU_DEP_2) | instskip(NEXT) | instid1(VALU_DEP_1)
	v_trunc_f32_e32 v3, v3
	v_mul_f32_e64 v6, 0x2f800000, |v3|
	s_delay_alu instid0(VALU_DEP_1) | instskip(SKIP_1) | instid1(VALU_DEP_2)
	v_floor_f32_e32 v7, v6
	v_ashrrev_i32_e32 v6, 31, v3
	v_fma_f32 v8, 0xcf800000, v7, |v3|
	v_cvt_u32_f32_e32 v3, v7
	s_delay_alu instid0(VALU_DEP_3) | instskip(NEXT) | instid1(VALU_DEP_3)
	v_mov_b32_e32 v7, v6
	v_cvt_u32_f32_e32 v8, v8
	s_delay_alu instid0(VALU_DEP_3) | instskip(NEXT) | instid1(VALU_DEP_2)
	v_xor_b32_e32 v9, v3, v6
	v_xor_b32_e32 v8, v8, v6
	s_delay_alu instid0(VALU_DEP_1) | instskip(NEXT) | instid1(VALU_DEP_1)
	v_sub_nc_u64_e32 v[6:7], v[8:9], v[6:7]
	v_dual_cndmask_b32 v7, 0, v7 :: v_dual_cndmask_b32 v6, 0, v6
	s_branch .LBB199_168
.LBB199_58:
	s_mov_b32 s30, -1
	s_mov_b32 s0, 0
	s_mov_b32 s29, 0
.LBB199_59:
	s_and_b32 vcc_lo, exec_lo, s30
	s_cbranch_vccz .LBB199_64
; %bb.60:
	s_cmp_eq_u32 s28, 44
	s_mov_b32 s0, -1
	s_cbranch_scc0 .LBB199_64
; %bb.61:
	s_wait_xcnt 0x0
	s_delay_alu instid0(VALU_DEP_3)
	v_xor_b32_e32 v1, v4, v5
	s_wait_loadcnt 0x0
	v_cls_i32_e32 v6, v5
	s_mov_b32 s29, -1
	s_mov_b32 s30, exec_lo
	v_ashrrev_i32_e32 v1, 31, v1
	s_delay_alu instid0(VALU_DEP_1) | instskip(NEXT) | instid1(VALU_DEP_1)
	v_add_nc_u32_e32 v1, 32, v1
	v_add_min_u32_e64 v1, v6, -1, v1
	s_delay_alu instid0(VALU_DEP_1) | instskip(SKIP_1) | instid1(VALU_DEP_2)
	v_lshlrev_b64_e32 v[6:7], v1, v[4:5]
	v_sub_nc_u32_e32 v1, 32, v1
	v_min_u32_e32 v6, 1, v6
	s_delay_alu instid0(VALU_DEP_1) | instskip(NEXT) | instid1(VALU_DEP_1)
	v_or_b32_e32 v6, v7, v6
	v_cvt_f32_i32_e32 v6, v6
	s_delay_alu instid0(VALU_DEP_1) | instskip(SKIP_1) | instid1(VALU_DEP_2)
	v_ldexp_f32 v1, v6, v1
	v_mov_b32_e32 v6, 0xff
	v_bfe_u32 v7, v1, 23, 8
	s_delay_alu instid0(VALU_DEP_1)
	v_cmpx_ne_u32_e32 0xff, v7
	s_cbranch_execz .LBB199_63
; %bb.62:
	v_and_b32_e32 v6, 0x400000, v1
	v_and_or_b32 v7, 0x3fffff, v1, v7
	v_lshrrev_b32_e32 v1, 23, v1
	s_delay_alu instid0(VALU_DEP_3) | instskip(NEXT) | instid1(VALU_DEP_3)
	v_cmp_ne_u32_e32 vcc_lo, 0, v6
	v_cmp_ne_u32_e64 s0, 0, v7
	s_and_b32 s0, vcc_lo, s0
	s_delay_alu instid0(SALU_CYCLE_1) | instskip(NEXT) | instid1(VALU_DEP_1)
	v_cndmask_b32_e64 v6, 0, 1, s0
	v_add_nc_u32_e32 v6, v1, v6
.LBB199_63:
	s_or_b32 exec_lo, exec_lo, s30
	s_mov_b32 s0, 0
	global_store_b8 v[2:3], v6, off
.LBB199_64:
	s_mov_b32 s30, 0
.LBB199_65:
	s_delay_alu instid0(SALU_CYCLE_1)
	s_and_b32 vcc_lo, exec_lo, s30
	s_cbranch_vccz .LBB199_68
; %bb.66:
	s_cmp_eq_u32 s28, 29
	s_mov_b32 s0, -1
	s_cbranch_scc0 .LBB199_68
; %bb.67:
	s_mov_b32 s29, -1
	s_mov_b32 s0, 0
	global_store_b64 v[2:3], v[4:5], off
.LBB199_68:
	s_mov_b32 s30, 0
.LBB199_69:
	s_delay_alu instid0(SALU_CYCLE_1)
	s_and_b32 vcc_lo, exec_lo, s30
	s_cbranch_vccz .LBB199_85
; %bb.70:
	s_cmp_lt_i32 s28, 27
	s_mov_b32 s29, -1
	s_cbranch_scc1 .LBB199_76
; %bb.71:
	s_cmp_gt_i32 s28, 27
	s_cbranch_scc0 .LBB199_73
; %bb.72:
	s_mov_b32 s29, 0
	global_store_b32 v[2:3], v4, off
.LBB199_73:
	s_and_not1_b32 vcc_lo, exec_lo, s29
	s_cbranch_vccnz .LBB199_75
; %bb.74:
	global_store_b16 v[2:3], v4, off
.LBB199_75:
	s_mov_b32 s29, 0
.LBB199_76:
	s_delay_alu instid0(SALU_CYCLE_1)
	s_and_not1_b32 vcc_lo, exec_lo, s29
	s_cbranch_vccnz .LBB199_84
; %bb.77:
	s_wait_xcnt 0x0
	s_delay_alu instid0(VALU_DEP_3) | instskip(SKIP_3) | instid1(VALU_DEP_2)
	v_xor_b32_e32 v1, v4, v5
	s_wait_loadcnt 0x0
	v_cls_i32_e32 v6, v5
	s_mov_b32 s29, exec_lo
	v_ashrrev_i32_e32 v1, 31, v1
	s_delay_alu instid0(VALU_DEP_1) | instskip(NEXT) | instid1(VALU_DEP_1)
	v_add_nc_u32_e32 v1, 32, v1
	v_add_min_u32_e64 v1, v6, -1, v1
	s_delay_alu instid0(VALU_DEP_1) | instskip(SKIP_1) | instid1(VALU_DEP_2)
	v_lshlrev_b64_e32 v[6:7], v1, v[4:5]
	v_sub_nc_u32_e32 v1, 32, v1
	v_min_u32_e32 v6, 1, v6
	s_delay_alu instid0(VALU_DEP_1) | instskip(SKIP_1) | instid1(VALU_DEP_2)
	v_or_b32_e32 v6, v7, v6
	v_mov_b32_e32 v7, 0x80
	v_cvt_f32_i32_e32 v6, v6
	s_delay_alu instid0(VALU_DEP_1) | instskip(NEXT) | instid1(VALU_DEP_1)
	v_ldexp_f32 v1, v6, v1
	v_and_b32_e32 v6, 0x7fffffff, v1
	s_delay_alu instid0(VALU_DEP_1)
	v_cmpx_gt_u32_e32 0x43800000, v6
	s_cbranch_execz .LBB199_83
; %bb.78:
	v_cmp_lt_u32_e32 vcc_lo, 0x3bffffff, v6
	s_mov_b32 s30, 0
                                        ; implicit-def: $vgpr6
	s_and_saveexec_b32 s31, vcc_lo
	s_delay_alu instid0(SALU_CYCLE_1)
	s_xor_b32 s31, exec_lo, s31
	s_cbranch_execz .LBB199_328
; %bb.79:
	v_bfe_u32 v6, v1, 20, 1
	s_mov_b32 s30, exec_lo
	s_delay_alu instid0(VALU_DEP_1) | instskip(NEXT) | instid1(VALU_DEP_1)
	v_add3_u32 v6, v1, v6, 0x487ffff
	v_lshrrev_b32_e32 v6, 20, v6
	s_and_not1_saveexec_b32 s31, s31
	s_cbranch_execnz .LBB199_329
.LBB199_80:
	s_or_b32 exec_lo, exec_lo, s31
	v_mov_b32_e32 v7, 0
	s_and_saveexec_b32 s31, s30
.LBB199_81:
	v_lshrrev_b32_e32 v1, 24, v1
	s_delay_alu instid0(VALU_DEP_1)
	v_and_or_b32 v7, 0x80, v1, v6
.LBB199_82:
	s_or_b32 exec_lo, exec_lo, s31
.LBB199_83:
	s_delay_alu instid0(SALU_CYCLE_1)
	s_or_b32 exec_lo, exec_lo, s29
	global_store_b8 v[2:3], v7, off
.LBB199_84:
	s_mov_b32 s29, -1
.LBB199_85:
	s_mov_b32 s30, 0
.LBB199_86:
	s_delay_alu instid0(SALU_CYCLE_1)
	s_and_b32 vcc_lo, exec_lo, s30
	s_cbranch_vccz .LBB199_127
; %bb.87:
	s_cmp_gt_i32 s28, 22
	s_mov_b32 s30, -1
	s_cbranch_scc0 .LBB199_119
; %bb.88:
	s_cmp_lt_i32 s28, 24
	s_mov_b32 s29, -1
	s_cbranch_scc1 .LBB199_108
; %bb.89:
	s_cmp_gt_i32 s28, 24
	s_cbranch_scc0 .LBB199_97
; %bb.90:
	s_wait_xcnt 0x0
	s_delay_alu instid0(VALU_DEP_3) | instskip(SKIP_3) | instid1(VALU_DEP_2)
	v_xor_b32_e32 v1, v4, v5
	s_wait_loadcnt 0x0
	v_cls_i32_e32 v6, v5
	s_mov_b32 s29, exec_lo
	v_ashrrev_i32_e32 v1, 31, v1
	s_delay_alu instid0(VALU_DEP_1) | instskip(NEXT) | instid1(VALU_DEP_1)
	v_add_nc_u32_e32 v1, 32, v1
	v_add_min_u32_e64 v1, v6, -1, v1
	s_delay_alu instid0(VALU_DEP_1) | instskip(SKIP_1) | instid1(VALU_DEP_2)
	v_lshlrev_b64_e32 v[6:7], v1, v[4:5]
	v_sub_nc_u32_e32 v1, 32, v1
	v_min_u32_e32 v6, 1, v6
	s_delay_alu instid0(VALU_DEP_1) | instskip(SKIP_1) | instid1(VALU_DEP_2)
	v_or_b32_e32 v6, v7, v6
	v_mov_b32_e32 v7, 0x80
	v_cvt_f32_i32_e32 v6, v6
	s_delay_alu instid0(VALU_DEP_1) | instskip(NEXT) | instid1(VALU_DEP_1)
	v_ldexp_f32 v1, v6, v1
	v_and_b32_e32 v6, 0x7fffffff, v1
	s_delay_alu instid0(VALU_DEP_1)
	v_cmpx_gt_u32_e32 0x47800000, v6
	s_cbranch_execz .LBB199_96
; %bb.91:
	v_cmp_lt_u32_e32 vcc_lo, 0x37ffffff, v6
	s_mov_b32 s30, 0
                                        ; implicit-def: $vgpr6
	s_and_saveexec_b32 s31, vcc_lo
	s_delay_alu instid0(SALU_CYCLE_1)
	s_xor_b32 s31, exec_lo, s31
	s_cbranch_execz .LBB199_332
; %bb.92:
	v_bfe_u32 v6, v1, 21, 1
	s_mov_b32 s30, exec_lo
	s_delay_alu instid0(VALU_DEP_1) | instskip(NEXT) | instid1(VALU_DEP_1)
	v_add3_u32 v6, v1, v6, 0x88fffff
	v_lshrrev_b32_e32 v6, 21, v6
	s_and_not1_saveexec_b32 s31, s31
	s_cbranch_execnz .LBB199_333
.LBB199_93:
	s_or_b32 exec_lo, exec_lo, s31
	v_mov_b32_e32 v7, 0
	s_and_saveexec_b32 s31, s30
.LBB199_94:
	v_lshrrev_b32_e32 v1, 24, v1
	s_delay_alu instid0(VALU_DEP_1)
	v_and_or_b32 v7, 0x80, v1, v6
.LBB199_95:
	s_or_b32 exec_lo, exec_lo, s31
.LBB199_96:
	s_delay_alu instid0(SALU_CYCLE_1)
	s_or_b32 exec_lo, exec_lo, s29
	s_mov_b32 s29, 0
	global_store_b8 v[2:3], v7, off
.LBB199_97:
	s_and_b32 vcc_lo, exec_lo, s29
	s_cbranch_vccz .LBB199_107
; %bb.98:
	s_wait_xcnt 0x0
	s_delay_alu instid0(VALU_DEP_3) | instskip(SKIP_3) | instid1(VALU_DEP_2)
	v_xor_b32_e32 v1, v4, v5
	s_wait_loadcnt 0x0
	v_cls_i32_e32 v6, v5
	s_mov_b32 s29, exec_lo
	v_ashrrev_i32_e32 v1, 31, v1
	s_delay_alu instid0(VALU_DEP_1) | instskip(NEXT) | instid1(VALU_DEP_1)
	v_add_nc_u32_e32 v1, 32, v1
	v_add_min_u32_e64 v1, v6, -1, v1
	s_delay_alu instid0(VALU_DEP_1) | instskip(SKIP_1) | instid1(VALU_DEP_2)
	v_lshlrev_b64_e32 v[6:7], v1, v[4:5]
	v_sub_nc_u32_e32 v1, 32, v1
	v_min_u32_e32 v6, 1, v6
	s_delay_alu instid0(VALU_DEP_1) | instskip(NEXT) | instid1(VALU_DEP_1)
	v_or_b32_e32 v6, v7, v6
	v_cvt_f32_i32_e32 v6, v6
	s_delay_alu instid0(VALU_DEP_1) | instskip(NEXT) | instid1(VALU_DEP_1)
	v_ldexp_f32 v1, v6, v1
                                        ; implicit-def: $vgpr6
	v_and_b32_e32 v7, 0x7fffffff, v1
	s_delay_alu instid0(VALU_DEP_1)
	v_cmpx_gt_u32_e32 0x43f00000, v7
	s_xor_b32 s29, exec_lo, s29
	s_cbranch_execz .LBB199_104
; %bb.99:
	s_mov_b32 s30, exec_lo
                                        ; implicit-def: $vgpr6
	v_cmpx_lt_u32_e32 0x3c7fffff, v7
	s_xor_b32 s30, exec_lo, s30
; %bb.100:
	v_bfe_u32 v6, v1, 20, 1
	s_delay_alu instid0(VALU_DEP_1) | instskip(NEXT) | instid1(VALU_DEP_1)
	v_add3_u32 v6, v1, v6, 0x407ffff
	v_and_b32_e32 v7, 0xff00000, v6
	v_lshrrev_b32_e32 v6, 20, v6
	s_delay_alu instid0(VALU_DEP_2) | instskip(NEXT) | instid1(VALU_DEP_2)
	v_cmp_ne_u32_e32 vcc_lo, 0x7f00000, v7
	v_cndmask_b32_e32 v6, 0x7e, v6, vcc_lo
; %bb.101:
	s_and_not1_saveexec_b32 s30, s30
; %bb.102:
	v_add_f32_e64 v6, 0x46800000, |v1|
; %bb.103:
	s_or_b32 exec_lo, exec_lo, s30
                                        ; implicit-def: $vgpr7
.LBB199_104:
	s_and_not1_saveexec_b32 s29, s29
; %bb.105:
	v_mov_b32_e32 v6, 0x7f
	v_cmp_lt_u32_e32 vcc_lo, 0x7f800000, v7
	s_delay_alu instid0(VALU_DEP_2)
	v_cndmask_b32_e32 v6, 0x7e, v6, vcc_lo
; %bb.106:
	s_or_b32 exec_lo, exec_lo, s29
	v_lshrrev_b32_e32 v1, 24, v1
	s_delay_alu instid0(VALU_DEP_1)
	v_and_or_b32 v1, 0x80, v1, v6
	global_store_b8 v[2:3], v1, off
.LBB199_107:
	s_mov_b32 s29, 0
.LBB199_108:
	s_delay_alu instid0(SALU_CYCLE_1)
	s_and_not1_b32 vcc_lo, exec_lo, s29
	s_cbranch_vccnz .LBB199_118
; %bb.109:
	s_wait_xcnt 0x0
	s_delay_alu instid0(VALU_DEP_3) | instskip(SKIP_3) | instid1(VALU_DEP_2)
	v_xor_b32_e32 v1, v4, v5
	s_wait_loadcnt 0x0
	v_cls_i32_e32 v6, v5
	s_mov_b32 s29, exec_lo
	v_ashrrev_i32_e32 v1, 31, v1
	s_delay_alu instid0(VALU_DEP_1) | instskip(NEXT) | instid1(VALU_DEP_1)
	v_add_nc_u32_e32 v1, 32, v1
	v_add_min_u32_e64 v1, v6, -1, v1
	s_delay_alu instid0(VALU_DEP_1) | instskip(SKIP_1) | instid1(VALU_DEP_2)
	v_lshlrev_b64_e32 v[6:7], v1, v[4:5]
	v_sub_nc_u32_e32 v1, 32, v1
	v_min_u32_e32 v6, 1, v6
	s_delay_alu instid0(VALU_DEP_1) | instskip(NEXT) | instid1(VALU_DEP_1)
	v_or_b32_e32 v6, v7, v6
	v_cvt_f32_i32_e32 v6, v6
	s_delay_alu instid0(VALU_DEP_1) | instskip(NEXT) | instid1(VALU_DEP_1)
	v_ldexp_f32 v1, v6, v1
                                        ; implicit-def: $vgpr6
	v_and_b32_e32 v7, 0x7fffffff, v1
	s_delay_alu instid0(VALU_DEP_1)
	v_cmpx_gt_u32_e32 0x47800000, v7
	s_xor_b32 s29, exec_lo, s29
	s_cbranch_execz .LBB199_115
; %bb.110:
	s_mov_b32 s30, exec_lo
                                        ; implicit-def: $vgpr6
	v_cmpx_lt_u32_e32 0x387fffff, v7
	s_xor_b32 s30, exec_lo, s30
; %bb.111:
	v_bfe_u32 v6, v1, 21, 1
	s_delay_alu instid0(VALU_DEP_1) | instskip(NEXT) | instid1(VALU_DEP_1)
	v_add3_u32 v6, v1, v6, 0x80fffff
	v_lshrrev_b32_e32 v6, 21, v6
; %bb.112:
	s_and_not1_saveexec_b32 s30, s30
; %bb.113:
	v_add_f32_e64 v6, 0x43000000, |v1|
; %bb.114:
	s_or_b32 exec_lo, exec_lo, s30
                                        ; implicit-def: $vgpr7
.LBB199_115:
	s_and_not1_saveexec_b32 s29, s29
; %bb.116:
	v_mov_b32_e32 v6, 0x7f
	v_cmp_lt_u32_e32 vcc_lo, 0x7f800000, v7
	s_delay_alu instid0(VALU_DEP_2)
	v_cndmask_b32_e32 v6, 0x7c, v6, vcc_lo
; %bb.117:
	s_or_b32 exec_lo, exec_lo, s29
	v_lshrrev_b32_e32 v1, 24, v1
	s_delay_alu instid0(VALU_DEP_1)
	v_and_or_b32 v1, 0x80, v1, v6
	global_store_b8 v[2:3], v1, off
.LBB199_118:
	s_mov_b32 s30, 0
	s_mov_b32 s29, -1
.LBB199_119:
	s_and_not1_b32 vcc_lo, exec_lo, s30
	s_cbranch_vccnz .LBB199_127
; %bb.120:
	s_cmp_gt_i32 s28, 14
	s_mov_b32 s30, -1
	s_cbranch_scc0 .LBB199_124
; %bb.121:
	s_cmp_eq_u32 s28, 15
	s_mov_b32 s0, -1
	s_cbranch_scc0 .LBB199_123
; %bb.122:
	s_wait_xcnt 0x0
	s_delay_alu instid0(VALU_DEP_3)
	v_xor_b32_e32 v1, v4, v5
	s_wait_loadcnt 0x0
	v_cls_i32_e32 v6, v5
	s_mov_b32 s29, -1
	s_mov_b32 s0, 0
	v_ashrrev_i32_e32 v1, 31, v1
	s_delay_alu instid0(VALU_DEP_1) | instskip(NEXT) | instid1(VALU_DEP_1)
	v_add_nc_u32_e32 v1, 32, v1
	v_add_min_u32_e64 v1, v6, -1, v1
	s_delay_alu instid0(VALU_DEP_1) | instskip(SKIP_1) | instid1(VALU_DEP_2)
	v_lshlrev_b64_e32 v[6:7], v1, v[4:5]
	v_sub_nc_u32_e32 v1, 32, v1
	v_min_u32_e32 v6, 1, v6
	s_delay_alu instid0(VALU_DEP_1) | instskip(NEXT) | instid1(VALU_DEP_1)
	v_or_b32_e32 v6, v7, v6
	v_cvt_f32_i32_e32 v6, v6
	s_delay_alu instid0(VALU_DEP_1) | instskip(NEXT) | instid1(VALU_DEP_1)
	v_ldexp_f32 v1, v6, v1
	v_bfe_u32 v6, v1, 16, 1
	s_delay_alu instid0(VALU_DEP_1)
	v_add3_u32 v1, v1, v6, 0x7fff
	global_store_d16_hi_b16 v[2:3], v1, off
.LBB199_123:
	s_mov_b32 s30, 0
.LBB199_124:
	s_delay_alu instid0(SALU_CYCLE_1)
	s_and_b32 vcc_lo, exec_lo, s30
	s_cbranch_vccz .LBB199_127
; %bb.125:
	s_cmp_eq_u32 s28, 11
	s_mov_b32 s0, -1
	s_cbranch_scc0 .LBB199_127
; %bb.126:
	s_delay_alu instid0(VALU_DEP_3)
	v_cmp_ne_u64_e32 vcc_lo, 0, v[4:5]
	s_mov_b32 s29, -1
	s_mov_b32 s0, 0
	s_wait_xcnt 0x0
	v_cndmask_b32_e64 v1, 0, 1, vcc_lo
	global_store_b8 v[2:3], v1, off
.LBB199_127:
	s_branch .LBB199_47
.LBB199_128:
	s_and_b32 s27, 0xffff, s27
	s_mov_b32 s28, -1
	s_cmp_lt_i32 s27, 5
	s_cbranch_scc1 .LBB199_149
; %bb.129:
	s_cmp_lt_i32 s27, 8
	s_cbranch_scc1 .LBB199_139
; %bb.130:
	;; [unrolled: 3-line block ×3, first 2 shown]
	s_cmp_gt_i32 s27, 9
	s_cbranch_scc0 .LBB199_133
; %bb.132:
	s_wait_loadcnt 0x0
	s_delay_alu instid0(VALU_DEP_3) | instskip(NEXT) | instid1(VALU_DEP_4)
	v_cvt_f64_i32_e32 v[6:7], v5
	v_cvt_f64_u32_e32 v[8:9], v4
	s_mov_b32 s28, 0
	s_delay_alu instid0(VALU_DEP_2) | instskip(NEXT) | instid1(VALU_DEP_1)
	v_ldexp_f64 v[6:7], v[6:7], 32
	v_dual_add_f64 v[6:7], v[6:7], v[8:9] :: v_dual_mov_b32 v8, 0
	s_delay_alu instid0(VALU_DEP_1)
	v_mov_b32_e32 v9, v8
	global_store_b128 v[2:3], v[6:9], off
.LBB199_133:
	s_and_not1_b32 vcc_lo, exec_lo, s28
	s_cbranch_vccnz .LBB199_135
; %bb.134:
	s_wait_xcnt 0x0
	s_delay_alu instid0(VALU_DEP_3) | instskip(SKIP_2) | instid1(VALU_DEP_2)
	v_xor_b32_e32 v1, v4, v5
	s_wait_loadcnt 0x0
	v_cls_i32_e32 v6, v5
	v_ashrrev_i32_e32 v1, 31, v1
	s_delay_alu instid0(VALU_DEP_1) | instskip(NEXT) | instid1(VALU_DEP_1)
	v_add_nc_u32_e32 v1, 32, v1
	v_add_min_u32_e64 v1, v6, -1, v1
	s_delay_alu instid0(VALU_DEP_1) | instskip(SKIP_1) | instid1(VALU_DEP_2)
	v_lshlrev_b64_e32 v[6:7], v1, v[4:5]
	v_sub_nc_u32_e32 v1, 32, v1
	v_min_u32_e32 v6, 1, v6
	s_delay_alu instid0(VALU_DEP_1) | instskip(NEXT) | instid1(VALU_DEP_1)
	v_dual_mov_b32 v7, 0 :: v_dual_bitop2_b32 v6, v7, v6 bitop3:0x54
	v_cvt_f32_i32_e32 v6, v6
	s_delay_alu instid0(VALU_DEP_1)
	v_ldexp_f32 v6, v6, v1
	global_store_b64 v[2:3], v[6:7], off
.LBB199_135:
	s_mov_b32 s28, 0
.LBB199_136:
	s_delay_alu instid0(SALU_CYCLE_1)
	s_and_not1_b32 vcc_lo, exec_lo, s28
	s_cbranch_vccnz .LBB199_138
; %bb.137:
	s_wait_xcnt 0x0
	s_delay_alu instid0(VALU_DEP_3) | instskip(SKIP_2) | instid1(VALU_DEP_2)
	v_xor_b32_e32 v1, v4, v5
	s_wait_loadcnt 0x0
	v_cls_i32_e32 v6, v5
	v_ashrrev_i32_e32 v1, 31, v1
	s_delay_alu instid0(VALU_DEP_1) | instskip(NEXT) | instid1(VALU_DEP_1)
	v_add_nc_u32_e32 v1, 32, v1
	v_add_min_u32_e64 v1, v6, -1, v1
	s_delay_alu instid0(VALU_DEP_1) | instskip(SKIP_1) | instid1(VALU_DEP_2)
	v_lshlrev_b64_e32 v[6:7], v1, v[4:5]
	v_sub_nc_u32_e32 v1, 32, v1
	v_min_u32_e32 v6, 1, v6
	s_delay_alu instid0(VALU_DEP_1) | instskip(NEXT) | instid1(VALU_DEP_1)
	v_or_b32_e32 v6, v7, v6
	v_cvt_f32_i32_e32 v6, v6
	s_delay_alu instid0(VALU_DEP_1) | instskip(NEXT) | instid1(VALU_DEP_1)
	v_ldexp_f32 v1, v6, v1
	v_cvt_f16_f32_e32 v1, v1
	s_delay_alu instid0(VALU_DEP_1)
	v_and_b32_e32 v1, 0xffff, v1
	global_store_b32 v[2:3], v1, off
.LBB199_138:
	s_mov_b32 s28, 0
.LBB199_139:
	s_delay_alu instid0(SALU_CYCLE_1)
	s_and_not1_b32 vcc_lo, exec_lo, s28
	s_cbranch_vccnz .LBB199_148
; %bb.140:
	s_cmp_lt_i32 s27, 6
	s_mov_b32 s28, -1
	s_cbranch_scc1 .LBB199_146
; %bb.141:
	s_cmp_gt_i32 s27, 6
	s_cbranch_scc0 .LBB199_143
; %bb.142:
	s_wait_loadcnt 0x0
	s_delay_alu instid0(VALU_DEP_3) | instskip(NEXT) | instid1(VALU_DEP_4)
	v_cvt_f64_i32_e32 v[6:7], v5
	v_cvt_f64_u32_e32 v[8:9], v4
	s_mov_b32 s28, 0
	s_delay_alu instid0(VALU_DEP_2) | instskip(NEXT) | instid1(VALU_DEP_1)
	v_ldexp_f64 v[6:7], v[6:7], 32
	v_add_f64_e32 v[6:7], v[6:7], v[8:9]
	global_store_b64 v[2:3], v[6:7], off
.LBB199_143:
	s_and_not1_b32 vcc_lo, exec_lo, s28
	s_cbranch_vccnz .LBB199_145
; %bb.144:
	s_wait_xcnt 0x0
	s_delay_alu instid0(VALU_DEP_3) | instskip(SKIP_2) | instid1(VALU_DEP_2)
	v_xor_b32_e32 v1, v4, v5
	s_wait_loadcnt 0x0
	v_cls_i32_e32 v6, v5
	v_ashrrev_i32_e32 v1, 31, v1
	s_delay_alu instid0(VALU_DEP_1) | instskip(NEXT) | instid1(VALU_DEP_1)
	v_add_nc_u32_e32 v1, 32, v1
	v_add_min_u32_e64 v1, v6, -1, v1
	s_delay_alu instid0(VALU_DEP_1) | instskip(SKIP_1) | instid1(VALU_DEP_2)
	v_lshlrev_b64_e32 v[6:7], v1, v[4:5]
	v_sub_nc_u32_e32 v1, 32, v1
	v_min_u32_e32 v6, 1, v6
	s_delay_alu instid0(VALU_DEP_1) | instskip(NEXT) | instid1(VALU_DEP_1)
	v_or_b32_e32 v6, v7, v6
	v_cvt_f32_i32_e32 v6, v6
	s_delay_alu instid0(VALU_DEP_1)
	v_ldexp_f32 v1, v6, v1
	global_store_b32 v[2:3], v1, off
.LBB199_145:
	s_mov_b32 s28, 0
.LBB199_146:
	s_delay_alu instid0(SALU_CYCLE_1)
	s_and_not1_b32 vcc_lo, exec_lo, s28
	s_cbranch_vccnz .LBB199_148
; %bb.147:
	s_wait_xcnt 0x0
	s_delay_alu instid0(VALU_DEP_3) | instskip(SKIP_2) | instid1(VALU_DEP_2)
	v_xor_b32_e32 v1, v4, v5
	s_wait_loadcnt 0x0
	v_cls_i32_e32 v6, v5
	v_ashrrev_i32_e32 v1, 31, v1
	s_delay_alu instid0(VALU_DEP_1) | instskip(NEXT) | instid1(VALU_DEP_1)
	v_add_nc_u32_e32 v1, 32, v1
	v_add_min_u32_e64 v1, v6, -1, v1
	s_delay_alu instid0(VALU_DEP_1) | instskip(SKIP_1) | instid1(VALU_DEP_2)
	v_lshlrev_b64_e32 v[6:7], v1, v[4:5]
	v_sub_nc_u32_e32 v1, 32, v1
	v_min_u32_e32 v6, 1, v6
	s_delay_alu instid0(VALU_DEP_1) | instskip(NEXT) | instid1(VALU_DEP_1)
	v_or_b32_e32 v6, v7, v6
	v_cvt_f32_i32_e32 v6, v6
	s_delay_alu instid0(VALU_DEP_1) | instskip(NEXT) | instid1(VALU_DEP_1)
	v_ldexp_f32 v1, v6, v1
	v_cvt_f16_f32_e32 v1, v1
	global_store_b16 v[2:3], v1, off
.LBB199_148:
	s_mov_b32 s28, 0
.LBB199_149:
	s_delay_alu instid0(SALU_CYCLE_1)
	s_and_not1_b32 vcc_lo, exec_lo, s28
	s_cbranch_vccnz .LBB199_165
; %bb.150:
	s_cmp_lt_i32 s27, 2
	s_mov_b32 s28, -1
	s_cbranch_scc1 .LBB199_160
; %bb.151:
	s_cmp_lt_i32 s27, 3
	s_cbranch_scc1 .LBB199_157
; %bb.152:
	s_cmp_gt_i32 s27, 3
	s_cbranch_scc0 .LBB199_154
; %bb.153:
	s_mov_b32 s28, 0
	global_store_b64 v[2:3], v[4:5], off
.LBB199_154:
	s_and_not1_b32 vcc_lo, exec_lo, s28
	s_cbranch_vccnz .LBB199_156
; %bb.155:
	global_store_b32 v[2:3], v4, off
.LBB199_156:
	s_mov_b32 s28, 0
.LBB199_157:
	s_delay_alu instid0(SALU_CYCLE_1)
	s_and_not1_b32 vcc_lo, exec_lo, s28
	s_cbranch_vccnz .LBB199_159
; %bb.158:
	global_store_b16 v[2:3], v4, off
.LBB199_159:
	s_mov_b32 s28, 0
.LBB199_160:
	s_delay_alu instid0(SALU_CYCLE_1)
	s_and_not1_b32 vcc_lo, exec_lo, s28
	s_cbranch_vccnz .LBB199_165
; %bb.161:
	s_cmp_gt_i32 s27, 0
	s_mov_b32 s27, -1
	s_cbranch_scc0 .LBB199_163
; %bb.162:
	s_mov_b32 s27, 0
	global_store_b8 v[2:3], v4, off
.LBB199_163:
	s_and_not1_b32 vcc_lo, exec_lo, s27
	s_cbranch_vccnz .LBB199_165
; %bb.164:
	global_store_b8 v[2:3], v4, off
.LBB199_165:
.LBB199_166:
	v_add_nc_u32_e32 v0, 0x80, v0
	s_mov_b32 s27, -1
	s_branch .LBB199_273
.LBB199_167:
	s_mov_b32 s26, -1
                                        ; implicit-def: $vgpr6_vgpr7
.LBB199_168:
	s_mov_b32 s28, 0
.LBB199_169:
	s_delay_alu instid0(SALU_CYCLE_1)
	s_and_b32 vcc_lo, exec_lo, s28
	s_cbranch_vccz .LBB199_173
; %bb.170:
	s_cmp_eq_u32 s0, 29
	s_cbranch_scc0 .LBB199_172
; %bb.171:
	global_load_b64 v[6:7], v[4:5], off
	s_mov_b32 s27, -1
	s_mov_b32 s26, 0
	s_branch .LBB199_173
.LBB199_172:
	s_mov_b32 s26, -1
                                        ; implicit-def: $vgpr6_vgpr7
.LBB199_173:
	s_mov_b32 s28, 0
.LBB199_174:
	s_delay_alu instid0(SALU_CYCLE_1)
	s_and_b32 vcc_lo, exec_lo, s28
	s_cbranch_vccz .LBB199_190
; %bb.175:
	s_cmp_lt_i32 s0, 27
	s_cbranch_scc1 .LBB199_178
; %bb.176:
	s_cmp_gt_i32 s0, 27
	s_cbranch_scc0 .LBB199_179
; %bb.177:
	s_wait_loadcnt 0x0
	global_load_b32 v6, v[4:5], off
	v_mov_b32_e32 v7, 0
	s_mov_b32 s27, 0
	s_branch .LBB199_180
.LBB199_178:
	s_mov_b32 s27, -1
                                        ; implicit-def: $vgpr6_vgpr7
	s_branch .LBB199_183
.LBB199_179:
	s_mov_b32 s27, -1
                                        ; implicit-def: $vgpr6_vgpr7
.LBB199_180:
	s_delay_alu instid0(SALU_CYCLE_1)
	s_and_not1_b32 vcc_lo, exec_lo, s27
	s_cbranch_vccnz .LBB199_182
; %bb.181:
	global_load_u16 v1, v[4:5], off
	s_mov_b32 s27, 0
	s_wait_loadcnt 0x1
	v_mov_b32_e32 v7, s27
	s_wait_loadcnt 0x0
	v_and_b32_e32 v6, 0xffff, v1
.LBB199_182:
	s_mov_b32 s27, 0
.LBB199_183:
	s_delay_alu instid0(SALU_CYCLE_1)
	s_and_not1_b32 vcc_lo, exec_lo, s27
	s_cbranch_vccnz .LBB199_189
; %bb.184:
	global_load_u8 v1, v[4:5], off
	s_mov_b32 s28, 0
	s_mov_b32 s27, exec_lo
	s_wait_loadcnt 0x0
	v_cmpx_lt_i16_e32 0x7f, v1
	s_xor_b32 s27, exec_lo, s27
	s_cbranch_execz .LBB199_200
; %bb.185:
	v_cmp_ne_u16_e32 vcc_lo, 0x80, v1
	s_and_b32 s28, vcc_lo, exec_lo
	s_and_not1_saveexec_b32 s27, s27
	s_cbranch_execnz .LBB199_201
.LBB199_186:
	s_or_b32 exec_lo, exec_lo, s27
	v_mov_b64_e32 v[6:7], 0
	s_and_saveexec_b32 s27, s28
	s_cbranch_execz .LBB199_188
.LBB199_187:
	v_and_b32_e32 v3, 0xffff, v1
	s_delay_alu instid0(VALU_DEP_1) | instskip(SKIP_1) | instid1(VALU_DEP_2)
	v_dual_lshlrev_b32 v1, 24, v1 :: v_dual_bitop2_b32 v6, 7, v3 bitop3:0x40
	v_bfe_u32 v9, v3, 3, 4
	v_and_b32_e32 v1, 0x80000000, v1
	s_delay_alu instid0(VALU_DEP_3) | instskip(NEXT) | instid1(VALU_DEP_3)
	v_clz_i32_u32_e32 v7, v6
	v_cmp_eq_u32_e32 vcc_lo, 0, v9
	s_delay_alu instid0(VALU_DEP_2) | instskip(NEXT) | instid1(VALU_DEP_1)
	v_min_u32_e32 v7, 32, v7
	v_subrev_nc_u32_e32 v8, 28, v7
	v_sub_nc_u32_e32 v7, 29, v7
	s_delay_alu instid0(VALU_DEP_2) | instskip(NEXT) | instid1(VALU_DEP_2)
	v_lshlrev_b32_e32 v3, v8, v3
	v_cndmask_b32_e32 v7, v9, v7, vcc_lo
	s_delay_alu instid0(VALU_DEP_2) | instskip(NEXT) | instid1(VALU_DEP_1)
	v_and_b32_e32 v3, 7, v3
	v_cndmask_b32_e32 v3, v6, v3, vcc_lo
	s_delay_alu instid0(VALU_DEP_3) | instskip(NEXT) | instid1(VALU_DEP_2)
	v_lshl_add_u32 v6, v7, 23, 0x3b800000
	v_lshlrev_b32_e32 v3, 20, v3
	s_delay_alu instid0(VALU_DEP_1) | instskip(NEXT) | instid1(VALU_DEP_1)
	v_or3_b32 v1, v1, v6, v3
	v_trunc_f32_e32 v1, v1
	s_delay_alu instid0(VALU_DEP_1) | instskip(SKIP_1) | instid1(VALU_DEP_2)
	v_mul_f32_e64 v3, 0x2f800000, |v1|
	v_ashrrev_i32_e32 v6, 31, v1
	v_floor_f32_e32 v3, v3
	s_delay_alu instid0(VALU_DEP_1) | instskip(SKIP_1) | instid1(VALU_DEP_2)
	v_fma_f32 v7, 0xcf800000, v3, |v1|
	v_cvt_u32_f32_e32 v1, v3
	v_cvt_u32_f32_e32 v3, v7
	s_delay_alu instid0(VALU_DEP_2) | instskip(NEXT) | instid1(VALU_DEP_2)
	v_dual_mov_b32 v7, v6 :: v_dual_bitop2_b32 v9, v1, v6 bitop3:0x14
	v_xor_b32_e32 v8, v3, v6
	s_delay_alu instid0(VALU_DEP_1)
	v_sub_nc_u64_e32 v[6:7], v[8:9], v[6:7]
.LBB199_188:
	s_or_b32 exec_lo, exec_lo, s27
.LBB199_189:
	s_mov_b32 s27, -1
.LBB199_190:
	s_branch .LBB199_223
.LBB199_191:
	s_cmp_gt_i32 s0, 22
	s_cbranch_scc0 .LBB199_199
; %bb.192:
	s_cmp_lt_i32 s0, 24
	s_cbranch_scc1 .LBB199_202
; %bb.193:
	s_cmp_gt_i32 s0, 24
	s_cbranch_scc0 .LBB199_203
; %bb.194:
	global_load_u8 v1, v[4:5], off
	s_mov_b32 s28, 0
	s_mov_b32 s27, exec_lo
	s_wait_loadcnt 0x0
	v_cmpx_lt_i16_e32 0x7f, v1
	s_xor_b32 s27, exec_lo, s27
	s_cbranch_execz .LBB199_215
; %bb.195:
	v_cmp_ne_u16_e32 vcc_lo, 0x80, v1
	s_and_b32 s28, vcc_lo, exec_lo
	s_and_not1_saveexec_b32 s27, s27
	s_cbranch_execnz .LBB199_216
.LBB199_196:
	s_or_b32 exec_lo, exec_lo, s27
	v_mov_b64_e32 v[6:7], 0
	s_and_saveexec_b32 s27, s28
	s_cbranch_execz .LBB199_198
.LBB199_197:
	v_and_b32_e32 v3, 0xffff, v1
	s_delay_alu instid0(VALU_DEP_1) | instskip(SKIP_1) | instid1(VALU_DEP_2)
	v_dual_lshlrev_b32 v1, 24, v1 :: v_dual_bitop2_b32 v6, 3, v3 bitop3:0x40
	v_bfe_u32 v9, v3, 2, 5
	v_and_b32_e32 v1, 0x80000000, v1
	s_delay_alu instid0(VALU_DEP_3) | instskip(NEXT) | instid1(VALU_DEP_3)
	v_clz_i32_u32_e32 v7, v6
	v_cmp_eq_u32_e32 vcc_lo, 0, v9
	s_delay_alu instid0(VALU_DEP_2) | instskip(NEXT) | instid1(VALU_DEP_1)
	v_min_u32_e32 v7, 32, v7
	v_subrev_nc_u32_e32 v8, 29, v7
	v_sub_nc_u32_e32 v7, 30, v7
	s_delay_alu instid0(VALU_DEP_2) | instskip(NEXT) | instid1(VALU_DEP_2)
	v_lshlrev_b32_e32 v3, v8, v3
	v_cndmask_b32_e32 v7, v9, v7, vcc_lo
	s_delay_alu instid0(VALU_DEP_2) | instskip(NEXT) | instid1(VALU_DEP_1)
	v_and_b32_e32 v3, 3, v3
	v_cndmask_b32_e32 v3, v6, v3, vcc_lo
	s_delay_alu instid0(VALU_DEP_3) | instskip(NEXT) | instid1(VALU_DEP_2)
	v_lshl_add_u32 v6, v7, 23, 0x37800000
	v_lshlrev_b32_e32 v3, 21, v3
	s_delay_alu instid0(VALU_DEP_1) | instskip(NEXT) | instid1(VALU_DEP_1)
	v_or3_b32 v1, v1, v6, v3
	v_trunc_f32_e32 v1, v1
	s_delay_alu instid0(VALU_DEP_1) | instskip(SKIP_1) | instid1(VALU_DEP_2)
	v_mul_f32_e64 v3, 0x2f800000, |v1|
	v_ashrrev_i32_e32 v6, 31, v1
	v_floor_f32_e32 v3, v3
	s_delay_alu instid0(VALU_DEP_1) | instskip(SKIP_1) | instid1(VALU_DEP_2)
	v_fma_f32 v7, 0xcf800000, v3, |v1|
	v_cvt_u32_f32_e32 v1, v3
	v_cvt_u32_f32_e32 v3, v7
	s_delay_alu instid0(VALU_DEP_2) | instskip(NEXT) | instid1(VALU_DEP_2)
	v_dual_mov_b32 v7, v6 :: v_dual_bitop2_b32 v9, v1, v6 bitop3:0x14
	v_xor_b32_e32 v8, v3, v6
	s_delay_alu instid0(VALU_DEP_1)
	v_sub_nc_u64_e32 v[6:7], v[8:9], v[6:7]
.LBB199_198:
	s_or_b32 exec_lo, exec_lo, s27
	s_mov_b32 s27, 0
	s_branch .LBB199_204
.LBB199_199:
	s_mov_b32 s28, -1
                                        ; implicit-def: $vgpr6_vgpr7
	s_branch .LBB199_210
.LBB199_200:
	s_and_not1_saveexec_b32 s27, s27
	s_cbranch_execz .LBB199_186
.LBB199_201:
	v_cmp_ne_u16_e32 vcc_lo, 0, v1
	s_and_not1_b32 s28, s28, exec_lo
	s_and_b32 s29, vcc_lo, exec_lo
	s_delay_alu instid0(SALU_CYCLE_1)
	s_or_b32 s28, s28, s29
	s_or_b32 exec_lo, exec_lo, s27
	v_mov_b64_e32 v[6:7], 0
	s_and_saveexec_b32 s27, s28
	s_cbranch_execnz .LBB199_187
	s_branch .LBB199_188
.LBB199_202:
	s_mov_b32 s27, -1
                                        ; implicit-def: $vgpr6_vgpr7
	s_branch .LBB199_207
.LBB199_203:
	s_mov_b32 s27, -1
                                        ; implicit-def: $vgpr6_vgpr7
.LBB199_204:
	s_delay_alu instid0(SALU_CYCLE_1)
	s_and_b32 vcc_lo, exec_lo, s27
	s_cbranch_vccz .LBB199_206
; %bb.205:
	global_load_u8 v1, v[4:5], off
	s_wait_loadcnt 0x0
	v_lshlrev_b32_e32 v1, 24, v1
	s_delay_alu instid0(VALU_DEP_1) | instskip(NEXT) | instid1(VALU_DEP_1)
	v_and_b32_e32 v3, 0x7f000000, v1
	v_clz_i32_u32_e32 v6, v3
	v_cmp_ne_u32_e32 vcc_lo, 0, v3
	v_add_nc_u32_e32 v8, 0x1000000, v3
	s_delay_alu instid0(VALU_DEP_3) | instskip(NEXT) | instid1(VALU_DEP_1)
	v_min_u32_e32 v6, 32, v6
	v_sub_nc_u32_e64 v6, v6, 4 clamp
	s_delay_alu instid0(VALU_DEP_1) | instskip(NEXT) | instid1(VALU_DEP_1)
	v_dual_lshlrev_b32 v7, v6, v3 :: v_dual_lshlrev_b32 v6, 23, v6
	v_lshrrev_b32_e32 v7, 4, v7
	s_delay_alu instid0(VALU_DEP_1) | instskip(NEXT) | instid1(VALU_DEP_1)
	v_dual_sub_nc_u32 v6, v7, v6 :: v_dual_ashrrev_i32 v7, 8, v8
	v_add_nc_u32_e32 v6, 0x3c000000, v6
	s_delay_alu instid0(VALU_DEP_1) | instskip(NEXT) | instid1(VALU_DEP_1)
	v_and_or_b32 v6, 0x7f800000, v7, v6
	v_cndmask_b32_e32 v3, 0, v6, vcc_lo
	s_delay_alu instid0(VALU_DEP_1) | instskip(NEXT) | instid1(VALU_DEP_1)
	v_and_or_b32 v1, 0x80000000, v1, v3
	v_trunc_f32_e32 v1, v1
	s_delay_alu instid0(VALU_DEP_1) | instskip(SKIP_1) | instid1(VALU_DEP_2)
	v_mul_f32_e64 v3, 0x2f800000, |v1|
	v_ashrrev_i32_e32 v6, 31, v1
	v_floor_f32_e32 v3, v3
	s_delay_alu instid0(VALU_DEP_1) | instskip(SKIP_1) | instid1(VALU_DEP_2)
	v_fma_f32 v7, 0xcf800000, v3, |v1|
	v_cvt_u32_f32_e32 v1, v3
	v_cvt_u32_f32_e32 v3, v7
	s_delay_alu instid0(VALU_DEP_2) | instskip(NEXT) | instid1(VALU_DEP_2)
	v_dual_mov_b32 v7, v6 :: v_dual_bitop2_b32 v9, v1, v6 bitop3:0x14
	v_xor_b32_e32 v8, v3, v6
	s_delay_alu instid0(VALU_DEP_1)
	v_sub_nc_u64_e32 v[6:7], v[8:9], v[6:7]
.LBB199_206:
	s_mov_b32 s27, 0
.LBB199_207:
	s_delay_alu instid0(SALU_CYCLE_1)
	s_and_not1_b32 vcc_lo, exec_lo, s27
	s_cbranch_vccnz .LBB199_209
; %bb.208:
	global_load_u8 v1, v[4:5], off
	s_wait_loadcnt 0x0
	v_lshlrev_b32_e32 v3, 25, v1
	v_lshlrev_b16 v1, 8, v1
	s_delay_alu instid0(VALU_DEP_1) | instskip(SKIP_1) | instid1(VALU_DEP_2)
	v_and_or_b32 v7, 0x7f00, v1, 0.5
	v_bfe_i32 v1, v1, 0, 16
	v_add_f32_e32 v7, -0.5, v7
	v_lshrrev_b32_e32 v6, 4, v3
	v_cmp_gt_u32_e32 vcc_lo, 0x8000000, v3
	s_delay_alu instid0(VALU_DEP_2) | instskip(NEXT) | instid1(VALU_DEP_1)
	v_or_b32_e32 v6, 0x70000000, v6
	v_mul_f32_e32 v6, 0x7800000, v6
	s_delay_alu instid0(VALU_DEP_1) | instskip(NEXT) | instid1(VALU_DEP_1)
	v_cndmask_b32_e32 v3, v6, v7, vcc_lo
	v_and_or_b32 v1, 0x80000000, v1, v3
	s_delay_alu instid0(VALU_DEP_1) | instskip(NEXT) | instid1(VALU_DEP_1)
	v_trunc_f32_e32 v1, v1
	v_mul_f32_e64 v3, 0x2f800000, |v1|
	v_ashrrev_i32_e32 v6, 31, v1
	s_delay_alu instid0(VALU_DEP_2) | instskip(NEXT) | instid1(VALU_DEP_1)
	v_floor_f32_e32 v3, v3
	v_fma_f32 v7, 0xcf800000, v3, |v1|
	v_cvt_u32_f32_e32 v1, v3
	s_delay_alu instid0(VALU_DEP_2) | instskip(NEXT) | instid1(VALU_DEP_2)
	v_cvt_u32_f32_e32 v3, v7
	v_dual_mov_b32 v7, v6 :: v_dual_bitop2_b32 v9, v1, v6 bitop3:0x14
	s_delay_alu instid0(VALU_DEP_2) | instskip(NEXT) | instid1(VALU_DEP_1)
	v_xor_b32_e32 v8, v3, v6
	v_sub_nc_u64_e32 v[6:7], v[8:9], v[6:7]
.LBB199_209:
	s_mov_b32 s28, 0
	s_mov_b32 s27, -1
.LBB199_210:
	s_and_not1_b32 vcc_lo, exec_lo, s28
	s_cbranch_vccnz .LBB199_223
; %bb.211:
	s_cmp_gt_i32 s0, 14
	s_cbranch_scc0 .LBB199_214
; %bb.212:
	s_cmp_eq_u32 s0, 15
	s_cbranch_scc0 .LBB199_217
; %bb.213:
	global_load_u16 v1, v[4:5], off
	s_mov_b32 s27, -1
	s_mov_b32 s26, 0
	s_wait_loadcnt 0x0
	v_lshlrev_b32_e32 v1, 16, v1
	s_delay_alu instid0(VALU_DEP_1) | instskip(NEXT) | instid1(VALU_DEP_1)
	v_trunc_f32_e32 v1, v1
	v_mul_f32_e64 v3, 0x2f800000, |v1|
	v_ashrrev_i32_e32 v6, 31, v1
	s_delay_alu instid0(VALU_DEP_2) | instskip(NEXT) | instid1(VALU_DEP_1)
	v_floor_f32_e32 v3, v3
	v_fma_f32 v7, 0xcf800000, v3, |v1|
	v_cvt_u32_f32_e32 v1, v3
	s_delay_alu instid0(VALU_DEP_2) | instskip(NEXT) | instid1(VALU_DEP_2)
	v_cvt_u32_f32_e32 v3, v7
	v_dual_mov_b32 v7, v6 :: v_dual_bitop2_b32 v9, v1, v6 bitop3:0x14
	s_delay_alu instid0(VALU_DEP_2) | instskip(NEXT) | instid1(VALU_DEP_1)
	v_xor_b32_e32 v8, v3, v6
	v_sub_nc_u64_e32 v[6:7], v[8:9], v[6:7]
	s_branch .LBB199_218
.LBB199_214:
	s_mov_b32 s28, -1
                                        ; implicit-def: $vgpr6_vgpr7
	s_branch .LBB199_219
.LBB199_215:
	s_and_not1_saveexec_b32 s27, s27
	s_cbranch_execz .LBB199_196
.LBB199_216:
	v_cmp_ne_u16_e32 vcc_lo, 0, v1
	s_and_not1_b32 s28, s28, exec_lo
	s_and_b32 s29, vcc_lo, exec_lo
	s_delay_alu instid0(SALU_CYCLE_1)
	s_or_b32 s28, s28, s29
	s_or_b32 exec_lo, exec_lo, s27
	v_mov_b64_e32 v[6:7], 0
	s_and_saveexec_b32 s27, s28
	s_cbranch_execnz .LBB199_197
	s_branch .LBB199_198
.LBB199_217:
	s_mov_b32 s26, -1
                                        ; implicit-def: $vgpr6_vgpr7
.LBB199_218:
	s_mov_b32 s28, 0
.LBB199_219:
	s_delay_alu instid0(SALU_CYCLE_1)
	s_and_b32 vcc_lo, exec_lo, s28
	s_cbranch_vccz .LBB199_223
; %bb.220:
	s_cmp_eq_u32 s0, 11
	s_cbranch_scc0 .LBB199_222
; %bb.221:
	global_load_u8 v1, v[4:5], off
	s_mov_b32 s26, 0
	s_mov_b32 s27, -1
	s_wait_loadcnt 0x1
	v_mov_b32_e32 v7, s26
	s_wait_loadcnt 0x0
	v_cmp_ne_u16_e32 vcc_lo, 0, v1
	v_cndmask_b32_e64 v6, 0, 1, vcc_lo
	s_branch .LBB199_223
.LBB199_222:
	s_mov_b32 s26, -1
                                        ; implicit-def: $vgpr6_vgpr7
.LBB199_223:
	s_branch .LBB199_25
.LBB199_224:
	s_cmp_lt_i32 s0, 5
	s_cbranch_scc1 .LBB199_229
; %bb.225:
	s_cmp_lt_i32 s0, 8
	s_cbranch_scc1 .LBB199_230
; %bb.226:
	;; [unrolled: 3-line block ×3, first 2 shown]
	s_cmp_gt_i32 s0, 9
	s_cbranch_scc0 .LBB199_232
; %bb.228:
	s_wait_loadcnt 0x0
	global_load_b64 v[6:7], v[4:5], off
	s_mov_b32 s27, 0
	s_wait_loadcnt 0x0
	v_trunc_f64_e32 v[6:7], v[6:7]
	s_delay_alu instid0(VALU_DEP_1) | instskip(NEXT) | instid1(VALU_DEP_1)
	v_ldexp_f64 v[8:9], v[6:7], 0xffffffe0
	v_floor_f64_e32 v[8:9], v[8:9]
	s_delay_alu instid0(VALU_DEP_1) | instskip(SKIP_1) | instid1(VALU_DEP_2)
	v_fmamk_f64 v[10:11], v[8:9], 0xc1f00000, v[6:7]
	v_cvt_i32_f64_e32 v7, v[8:9]
	v_cvt_u32_f64_e32 v6, v[10:11]
	s_branch .LBB199_233
.LBB199_229:
                                        ; implicit-def: $vgpr6_vgpr7
	s_branch .LBB199_251
.LBB199_230:
	s_mov_b32 s27, -1
                                        ; implicit-def: $vgpr6_vgpr7
	s_branch .LBB199_239
.LBB199_231:
	s_mov_b32 s27, -1
                                        ; implicit-def: $vgpr6_vgpr7
	s_branch .LBB199_236
.LBB199_232:
	s_mov_b32 s27, -1
                                        ; implicit-def: $vgpr6_vgpr7
.LBB199_233:
	s_delay_alu instid0(SALU_CYCLE_1)
	s_and_not1_b32 vcc_lo, exec_lo, s27
	s_cbranch_vccnz .LBB199_235
; %bb.234:
	global_load_b32 v1, v[4:5], off
	s_wait_loadcnt 0x0
	v_trunc_f32_e32 v1, v1
	s_delay_alu instid0(VALU_DEP_1) | instskip(SKIP_1) | instid1(VALU_DEP_2)
	v_mul_f32_e64 v3, 0x2f800000, |v1|
	v_ashrrev_i32_e32 v6, 31, v1
	v_floor_f32_e32 v3, v3
	s_delay_alu instid0(VALU_DEP_1) | instskip(SKIP_1) | instid1(VALU_DEP_2)
	v_fma_f32 v7, 0xcf800000, v3, |v1|
	v_cvt_u32_f32_e32 v1, v3
	v_cvt_u32_f32_e32 v3, v7
	s_delay_alu instid0(VALU_DEP_2) | instskip(NEXT) | instid1(VALU_DEP_2)
	v_dual_mov_b32 v7, v6 :: v_dual_bitop2_b32 v9, v1, v6 bitop3:0x14
	v_xor_b32_e32 v8, v3, v6
	s_delay_alu instid0(VALU_DEP_1)
	v_sub_nc_u64_e32 v[6:7], v[8:9], v[6:7]
.LBB199_235:
	s_mov_b32 s27, 0
.LBB199_236:
	s_delay_alu instid0(SALU_CYCLE_1)
	s_and_not1_b32 vcc_lo, exec_lo, s27
	s_cbranch_vccnz .LBB199_238
; %bb.237:
	global_load_b32 v1, v[4:5], off
	s_wait_loadcnt 0x0
	v_cvt_f32_f16_e32 v1, v1
	s_delay_alu instid0(VALU_DEP_1) | instskip(NEXT) | instid1(VALU_DEP_1)
	v_cvt_i32_f32_e32 v6, v1
	v_ashrrev_i32_e32 v7, 31, v6
.LBB199_238:
	s_mov_b32 s27, 0
.LBB199_239:
	s_delay_alu instid0(SALU_CYCLE_1)
	s_and_not1_b32 vcc_lo, exec_lo, s27
	s_cbranch_vccnz .LBB199_250
; %bb.240:
	s_cmp_lt_i32 s0, 6
	s_cbranch_scc1 .LBB199_243
; %bb.241:
	s_cmp_gt_i32 s0, 6
	s_cbranch_scc0 .LBB199_244
; %bb.242:
	s_wait_loadcnt 0x0
	global_load_b64 v[6:7], v[4:5], off
	s_mov_b32 s27, 0
	s_wait_loadcnt 0x0
	v_trunc_f64_e32 v[6:7], v[6:7]
	s_delay_alu instid0(VALU_DEP_1) | instskip(NEXT) | instid1(VALU_DEP_1)
	v_ldexp_f64 v[8:9], v[6:7], 0xffffffe0
	v_floor_f64_e32 v[8:9], v[8:9]
	s_delay_alu instid0(VALU_DEP_1) | instskip(SKIP_1) | instid1(VALU_DEP_2)
	v_fmamk_f64 v[10:11], v[8:9], 0xc1f00000, v[6:7]
	v_cvt_i32_f64_e32 v7, v[8:9]
	v_cvt_u32_f64_e32 v6, v[10:11]
	s_branch .LBB199_245
.LBB199_243:
	s_mov_b32 s27, -1
                                        ; implicit-def: $vgpr6_vgpr7
	s_branch .LBB199_248
.LBB199_244:
	s_mov_b32 s27, -1
                                        ; implicit-def: $vgpr6_vgpr7
.LBB199_245:
	s_delay_alu instid0(SALU_CYCLE_1)
	s_and_not1_b32 vcc_lo, exec_lo, s27
	s_cbranch_vccnz .LBB199_247
; %bb.246:
	global_load_b32 v1, v[4:5], off
	s_wait_loadcnt 0x0
	v_trunc_f32_e32 v1, v1
	s_delay_alu instid0(VALU_DEP_1) | instskip(SKIP_1) | instid1(VALU_DEP_2)
	v_mul_f32_e64 v3, 0x2f800000, |v1|
	v_ashrrev_i32_e32 v6, 31, v1
	v_floor_f32_e32 v3, v3
	s_delay_alu instid0(VALU_DEP_1) | instskip(SKIP_1) | instid1(VALU_DEP_2)
	v_fma_f32 v7, 0xcf800000, v3, |v1|
	v_cvt_u32_f32_e32 v1, v3
	v_cvt_u32_f32_e32 v3, v7
	s_delay_alu instid0(VALU_DEP_2) | instskip(NEXT) | instid1(VALU_DEP_2)
	v_dual_mov_b32 v7, v6 :: v_dual_bitop2_b32 v9, v1, v6 bitop3:0x14
	v_xor_b32_e32 v8, v3, v6
	s_delay_alu instid0(VALU_DEP_1)
	v_sub_nc_u64_e32 v[6:7], v[8:9], v[6:7]
.LBB199_247:
	s_mov_b32 s27, 0
.LBB199_248:
	s_delay_alu instid0(SALU_CYCLE_1)
	s_and_not1_b32 vcc_lo, exec_lo, s27
	s_cbranch_vccnz .LBB199_250
; %bb.249:
	global_load_u16 v1, v[4:5], off
	s_wait_loadcnt 0x0
	v_cvt_f32_f16_e32 v1, v1
	s_delay_alu instid0(VALU_DEP_1) | instskip(NEXT) | instid1(VALU_DEP_1)
	v_cvt_i32_f32_e32 v6, v1
	v_ashrrev_i32_e32 v7, 31, v6
.LBB199_250:
	s_cbranch_execnz .LBB199_270
.LBB199_251:
	s_cmp_lt_i32 s0, 2
	s_cbranch_scc1 .LBB199_255
; %bb.252:
	s_cmp_lt_i32 s0, 3
	s_cbranch_scc1 .LBB199_256
; %bb.253:
	s_cmp_gt_i32 s0, 3
	s_cbranch_scc0 .LBB199_257
; %bb.254:
	s_wait_loadcnt 0x0
	global_load_b64 v[6:7], v[4:5], off
	s_mov_b32 s27, 0
	s_branch .LBB199_258
.LBB199_255:
	s_mov_b32 s27, -1
                                        ; implicit-def: $vgpr6_vgpr7
	s_branch .LBB199_264
.LBB199_256:
	s_mov_b32 s27, -1
                                        ; implicit-def: $vgpr6_vgpr7
	s_branch .LBB199_261
.LBB199_257:
	s_mov_b32 s27, -1
                                        ; implicit-def: $vgpr6_vgpr7
.LBB199_258:
	s_delay_alu instid0(SALU_CYCLE_1)
	s_and_not1_b32 vcc_lo, exec_lo, s27
	s_cbranch_vccnz .LBB199_260
; %bb.259:
	s_wait_loadcnt 0x0
	global_load_b32 v6, v[4:5], off
	s_wait_loadcnt 0x0
	v_ashrrev_i32_e32 v7, 31, v6
.LBB199_260:
	s_mov_b32 s27, 0
.LBB199_261:
	s_delay_alu instid0(SALU_CYCLE_1)
	s_and_not1_b32 vcc_lo, exec_lo, s27
	s_cbranch_vccnz .LBB199_263
; %bb.262:
	global_load_u16 v1, v[4:5], off
	s_wait_loadcnt 0x0
	v_bfe_i32 v6, v1, 0, 16
	s_delay_alu instid0(VALU_DEP_1)
	v_ashrrev_i32_e32 v7, 31, v6
.LBB199_263:
	s_mov_b32 s27, 0
.LBB199_264:
	s_delay_alu instid0(SALU_CYCLE_1)
	s_and_not1_b32 vcc_lo, exec_lo, s27
	s_cbranch_vccnz .LBB199_270
; %bb.265:
	s_cmp_gt_i32 s0, 0
	s_mov_b32 s0, 0
	s_cbranch_scc0 .LBB199_267
; %bb.266:
	global_load_i8 v1, v[4:5], off
	s_wait_loadcnt 0x0
	v_bfe_i32 v6, v1, 0, 16
	s_delay_alu instid0(VALU_DEP_1)
	v_ashrrev_i32_e32 v7, 31, v6
	s_branch .LBB199_268
.LBB199_267:
	s_mov_b32 s0, -1
                                        ; implicit-def: $vgpr6_vgpr7
.LBB199_268:
	s_delay_alu instid0(SALU_CYCLE_1)
	s_and_not1_b32 vcc_lo, exec_lo, s0
	s_cbranch_vccnz .LBB199_270
; %bb.269:
	global_load_u8 v1, v[4:5], off
	s_mov_b32 s0, 0
	s_wait_loadcnt 0x1
	v_mov_b32_e32 v7, s0
	s_wait_loadcnt 0x0
	v_and_b32_e32 v6, 0xffff, v1
.LBB199_270:
	s_branch .LBB199_26
.LBB199_271:
	s_mov_b32 s0, 0
.LBB199_272:
	s_mov_b32 s27, 0
                                        ; implicit-def: $vgpr0
.LBB199_273:
	s_and_b32 s44, s0, exec_lo
	s_and_b32 s45, s26, exec_lo
	s_or_not1_b32 s27, s27, exec_lo
.LBB199_274:
	s_wait_xcnt 0x0
	s_or_b32 exec_lo, exec_lo, s46
	s_mov_b32 s26, 0
	s_mov_b32 s0, 0
                                        ; implicit-def: $vgpr4_vgpr5
                                        ; implicit-def: $vgpr2
                                        ; implicit-def: $vgpr6_vgpr7
	s_and_saveexec_b32 s46, s27
	s_cbranch_execz .LBB199_282
; %bb.275:
	s_mov_b32 s0, -1
	s_mov_b32 s47, s45
	s_mov_b32 s48, s44
	s_mov_b32 s49, exec_lo
	v_cmpx_gt_i32_e64 s41, v0
	s_cbranch_execz .LBB199_560
; %bb.276:
	s_and_not1_b32 vcc_lo, exec_lo, s36
	s_cbranch_vccnz .LBB199_285
; %bb.277:
	s_and_not1_b32 vcc_lo, exec_lo, s43
	s_cbranch_vccnz .LBB199_286
; %bb.278:
	s_add_co_i32 s0, s42, 1
	s_cmp_eq_u32 s34, 2
	s_cbranch_scc1 .LBB199_287
; %bb.279:
	v_dual_mov_b32 v2, 0 :: v_dual_mov_b32 v4, 0
	v_mov_b32_e32 v1, v0
	s_and_b32 s26, s0, 28
	s_mov_b32 s27, 0
	s_mov_b64 s[28:29], s[2:3]
	s_mov_b64 s[30:31], s[24:25]
.LBB199_280:                            ; =>This Inner Loop Header: Depth=1
	s_clause 0x1
	s_load_b256 s[52:59], s[28:29], 0x4
	s_load_b128 s[68:71], s[28:29], 0x24
	s_load_b256 s[60:67], s[30:31], 0x0
	s_add_co_i32 s27, s27, 4
	s_wait_xcnt 0x0
	s_add_nc_u64 s[28:29], s[28:29], 48
	s_cmp_eq_u32 s26, s27
	s_add_nc_u64 s[30:31], s[30:31], 32
	s_wait_kmcnt 0x0
	v_mul_hi_u32 v3, s53, v1
	s_delay_alu instid0(VALU_DEP_1) | instskip(NEXT) | instid1(VALU_DEP_1)
	v_add_nc_u32_e32 v3, v1, v3
	v_lshrrev_b32_e32 v3, s54, v3
	s_delay_alu instid0(VALU_DEP_1) | instskip(NEXT) | instid1(VALU_DEP_1)
	v_mul_hi_u32 v5, s56, v3
	v_add_nc_u32_e32 v5, v3, v5
	s_delay_alu instid0(VALU_DEP_1) | instskip(SKIP_1) | instid1(VALU_DEP_1)
	v_lshrrev_b32_e32 v5, s57, v5
	s_wait_loadcnt 0x0
	v_mul_hi_u32 v6, s59, v5
	s_delay_alu instid0(VALU_DEP_1) | instskip(SKIP_1) | instid1(VALU_DEP_1)
	v_add_nc_u32_e32 v6, v5, v6
	v_mul_lo_u32 v7, v3, s52
	v_sub_nc_u32_e32 v1, v1, v7
	v_mul_lo_u32 v7, v5, s55
	s_delay_alu instid0(VALU_DEP_4) | instskip(NEXT) | instid1(VALU_DEP_3)
	v_lshrrev_b32_e32 v6, s68, v6
	v_mad_u32 v4, v1, s61, v4
	v_mad_u32 v1, v1, s60, v2
	s_delay_alu instid0(VALU_DEP_4) | instskip(NEXT) | instid1(VALU_DEP_4)
	v_sub_nc_u32_e32 v2, v3, v7
	v_mul_hi_u32 v8, s70, v6
	v_mul_lo_u32 v3, v6, s58
	s_delay_alu instid0(VALU_DEP_3) | instskip(SKIP_1) | instid1(VALU_DEP_3)
	v_mad_u32 v4, v2, s63, v4
	v_mad_u32 v2, v2, s62, v1
	v_dual_add_nc_u32 v7, v6, v8 :: v_dual_sub_nc_u32 v3, v5, v3
	s_delay_alu instid0(VALU_DEP_1) | instskip(NEXT) | instid1(VALU_DEP_2)
	v_lshrrev_b32_e32 v1, s71, v7
	v_mad_u32 v4, v3, s65, v4
	s_delay_alu instid0(VALU_DEP_4) | instskip(NEXT) | instid1(VALU_DEP_3)
	v_mad_u32 v2, v3, s64, v2
	v_mul_lo_u32 v5, v1, s69
	s_delay_alu instid0(VALU_DEP_1) | instskip(NEXT) | instid1(VALU_DEP_1)
	v_sub_nc_u32_e32 v3, v6, v5
	v_mad_u32 v4, v3, s67, v4
	s_delay_alu instid0(VALU_DEP_4)
	v_mad_u32 v2, v3, s66, v2
	s_cbranch_scc0 .LBB199_280
; %bb.281:
	s_delay_alu instid0(VALU_DEP_2)
	v_mov_b32_e32 v3, v4
	s_branch .LBB199_288
.LBB199_282:
	s_or_b32 exec_lo, exec_lo, s46
	s_mov_b32 s1, 0
	s_and_saveexec_b32 s6, s45
	s_cbranch_execnz .LBB199_946
.LBB199_283:
	s_or_b32 exec_lo, exec_lo, s6
	s_and_saveexec_b32 s6, s21
	s_delay_alu instid0(SALU_CYCLE_1)
	s_xor_b32 s6, exec_lo, s6
	s_cbranch_execz .LBB199_947
.LBB199_284:
	global_load_u8 v0, v[4:5], off
	s_mov_b32 s7, 0
	s_or_b32 s0, s0, exec_lo
	s_wait_loadcnt 0x1
	v_mov_b32_e32 v7, s7
	s_wait_loadcnt 0x0
	v_cmp_ne_u16_e32 vcc_lo, 0, v0
	v_cndmask_b32_e64 v6, 0, 1, vcc_lo
	s_wait_xcnt 0x0
	s_or_b32 exec_lo, exec_lo, s6
	s_and_saveexec_b32 s6, s26
	s_cbranch_execz .LBB199_993
	s_branch .LBB199_948
.LBB199_285:
                                        ; implicit-def: $vgpr4
                                        ; implicit-def: $vgpr2
	s_and_not1_b32 vcc_lo, exec_lo, s0
	s_cbranch_vccnz .LBB199_295
	s_branch .LBB199_293
.LBB199_286:
	v_dual_mov_b32 v4, 0 :: v_dual_mov_b32 v2, 0
	s_branch .LBB199_292
.LBB199_287:
	v_mov_b64_e32 v[2:3], 0
	v_mov_b32_e32 v1, v0
                                        ; implicit-def: $vgpr4
.LBB199_288:
	s_and_b32 s0, s0, 3
	s_mov_b32 s27, 0
	s_cmp_eq_u32 s0, 0
	s_cbranch_scc1 .LBB199_292
; %bb.289:
	s_lshl_b32 s28, s26, 3
	s_mov_b32 s29, s27
	s_mul_u64 s[30:31], s[26:27], 12
	s_add_nc_u64 s[28:29], s[2:3], s[28:29]
	s_delay_alu instid0(SALU_CYCLE_1)
	s_add_nc_u64 s[26:27], s[28:29], 0xc4
	s_add_nc_u64 s[28:29], s[2:3], s[30:31]
.LBB199_290:                            ; =>This Inner Loop Header: Depth=1
	s_load_b96 s[52:54], s[28:29], 0x4
	s_load_b64 s[30:31], s[26:27], 0x0
	s_add_co_i32 s0, s0, -1
	s_wait_xcnt 0x0
	s_add_nc_u64 s[28:29], s[28:29], 12
	s_cmp_lg_u32 s0, 0
	s_add_nc_u64 s[26:27], s[26:27], 8
	s_wait_kmcnt 0x0
	v_mul_hi_u32 v4, s53, v1
	s_delay_alu instid0(VALU_DEP_1) | instskip(NEXT) | instid1(VALU_DEP_1)
	v_add_nc_u32_e32 v4, v1, v4
	v_lshrrev_b32_e32 v4, s54, v4
	s_delay_alu instid0(VALU_DEP_1) | instskip(NEXT) | instid1(VALU_DEP_1)
	v_mul_lo_u32 v5, v4, s52
	v_sub_nc_u32_e32 v1, v1, v5
	s_delay_alu instid0(VALU_DEP_1)
	v_mad_u32 v3, v1, s31, v3
	v_mad_u32 v2, v1, s30, v2
	v_mov_b32_e32 v1, v4
	s_cbranch_scc1 .LBB199_290
; %bb.291:
	s_delay_alu instid0(VALU_DEP_3)
	v_mov_b32_e32 v4, v3
.LBB199_292:
	s_cbranch_execnz .LBB199_295
.LBB199_293:
	v_mov_b32_e32 v1, 0
	s_and_not1_b32 vcc_lo, exec_lo, s40
	s_delay_alu instid0(VALU_DEP_1) | instskip(NEXT) | instid1(VALU_DEP_1)
	v_mul_u64_e32 v[2:3], s[20:21], v[0:1]
	v_add_nc_u32_e32 v2, v0, v3
	s_wait_loadcnt 0x0
	s_delay_alu instid0(VALU_DEP_1) | instskip(NEXT) | instid1(VALU_DEP_1)
	v_lshrrev_b32_e32 v6, s14, v2
	v_mul_lo_u32 v2, v6, s12
	s_delay_alu instid0(VALU_DEP_1) | instskip(NEXT) | instid1(VALU_DEP_1)
	v_sub_nc_u32_e32 v2, v0, v2
	v_mul_lo_u32 v4, v2, s17
	v_mul_lo_u32 v2, v2, s16
	s_cbranch_vccnz .LBB199_295
; %bb.294:
	v_mov_b32_e32 v7, v1
	s_delay_alu instid0(VALU_DEP_1) | instskip(NEXT) | instid1(VALU_DEP_1)
	v_mul_u64_e32 v[8:9], s[22:23], v[6:7]
	v_add_nc_u32_e32 v1, v6, v9
	s_delay_alu instid0(VALU_DEP_1) | instskip(NEXT) | instid1(VALU_DEP_1)
	v_lshrrev_b32_e32 v1, s1, v1
	v_mul_lo_u32 v1, v1, s15
	s_delay_alu instid0(VALU_DEP_1) | instskip(NEXT) | instid1(VALU_DEP_1)
	v_sub_nc_u32_e32 v1, v6, v1
	v_mad_u32 v2, v1, s18, v2
	v_mad_u32 v4, v1, s19, v4
.LBB199_295:
	v_mov_b32_e32 v5, 0
	s_and_b32 s0, 0xffff, s13
	s_delay_alu instid0(SALU_CYCLE_1) | instskip(NEXT) | instid1(VALU_DEP_1)
	s_cmp_lt_i32 s0, 11
	v_add_nc_u64_e32 v[4:5], s[6:7], v[4:5]
	s_cbranch_scc1 .LBB199_302
; %bb.296:
	s_cmp_gt_i32 s0, 25
	s_cbranch_scc0 .LBB199_307
; %bb.297:
	s_cmp_gt_i32 s0, 28
	s_cbranch_scc0 .LBB199_311
	;; [unrolled: 3-line block ×4, first 2 shown]
; %bb.300:
	s_cmp_eq_u32 s0, 46
	s_mov_b32 s28, 0
	s_cbranch_scc0 .LBB199_334
; %bb.301:
	global_load_b32 v1, v[4:5], off
	s_mov_b32 s27, -1
	s_mov_b32 s26, 0
	s_wait_loadcnt 0x0
	v_lshlrev_b32_e32 v1, 16, v1
	s_delay_alu instid0(VALU_DEP_1) | instskip(NEXT) | instid1(VALU_DEP_1)
	v_trunc_f32_e32 v1, v1
	v_mul_f32_e64 v3, 0x2f800000, |v1|
	v_ashrrev_i32_e32 v6, 31, v1
	s_delay_alu instid0(VALU_DEP_2) | instskip(NEXT) | instid1(VALU_DEP_1)
	v_floor_f32_e32 v3, v3
	v_fma_f32 v7, 0xcf800000, v3, |v1|
	v_cvt_u32_f32_e32 v1, v3
	s_delay_alu instid0(VALU_DEP_2) | instskip(NEXT) | instid1(VALU_DEP_2)
	v_cvt_u32_f32_e32 v3, v7
	v_dual_mov_b32 v7, v6 :: v_dual_bitop2_b32 v9, v1, v6 bitop3:0x14
	s_delay_alu instid0(VALU_DEP_2) | instskip(NEXT) | instid1(VALU_DEP_1)
	v_xor_b32_e32 v8, v3, v6
	v_sub_nc_u64_e32 v[6:7], v[8:9], v[6:7]
	s_branch .LBB199_336
.LBB199_302:
	s_mov_b32 s27, 0
	s_mov_b32 s26, s45
                                        ; implicit-def: $vgpr6_vgpr7
	s_cbranch_execnz .LBB199_509
.LBB199_303:
	s_and_not1_b32 vcc_lo, exec_lo, s27
	s_cbranch_vccnz .LBB199_557
.LBB199_304:
	s_cmp_lt_i32 s39, 1
	s_mov_b32 s0, 0
	s_cbranch_scc1 .LBB199_308
; %bb.305:
	s_cmp_eq_u32 s39, 1
	s_cbranch_scc0 .LBB199_312
; %bb.306:
	s_wait_loadcnt 0x0
	s_delay_alu instid0(VALU_DEP_1)
	v_min_i64 v[4:5], v[6:7], s[8:9]
	s_mov_b32 s27, 0
	s_branch .LBB199_313
.LBB199_307:
	s_mov_b32 s28, -1
	s_mov_b32 s27, 0
	s_mov_b32 s26, s45
                                        ; implicit-def: $vgpr6_vgpr7
	s_branch .LBB199_475
.LBB199_308:
	s_mov_b32 s27, 0
                                        ; implicit-def: $vgpr4_vgpr5
	s_cbranch_execnz .LBB199_314
.LBB199_309:
	s_and_not1_b32 vcc_lo, exec_lo, s27
	s_cbranch_vccnz .LBB199_315
.LBB199_310:
	s_wait_loadcnt 0x0
	s_delay_alu instid0(VALU_DEP_1) | instskip(NEXT) | instid1(VALU_DEP_1)
	v_max_i64 v[4:5], v[6:7], s[8:9]
	v_min_i64 v[4:5], v[4:5], s[10:11]
	s_cbranch_execz .LBB199_316
	s_branch .LBB199_317
.LBB199_311:
	s_mov_b32 s28, -1
	s_mov_b32 s27, 0
	s_mov_b32 s26, s45
                                        ; implicit-def: $vgpr6_vgpr7
	s_branch .LBB199_458
.LBB199_312:
	s_mov_b32 s27, -1
                                        ; implicit-def: $vgpr4_vgpr5
.LBB199_313:
	s_branch .LBB199_309
.LBB199_314:
	s_cmp_lg_u32 s39, 0
	s_mov_b32 s0, -1
	s_cselect_b32 s27, -1, 0
	s_delay_alu instid0(SALU_CYCLE_1)
	s_and_not1_b32 vcc_lo, exec_lo, s27
	s_cbranch_vccz .LBB199_310
.LBB199_315:
	s_and_not1_b32 vcc_lo, exec_lo, s0
	s_cbranch_vccnz .LBB199_317
.LBB199_316:
	s_wait_loadcnt 0x0
	s_delay_alu instid0(VALU_DEP_1)
	v_max_i64 v[4:5], v[6:7], s[8:9]
.LBB199_317:
	v_mov_b32_e32 v3, 0
	s_and_b32 s27, s38, 0xff
	s_delay_alu instid0(SALU_CYCLE_1) | instskip(NEXT) | instid1(VALU_DEP_1)
	s_cmp_lt_i32 s27, 11
	v_add_nc_u64_e32 v[2:3], s[4:5], v[2:3]
	s_cbranch_scc1 .LBB199_324
; %bb.318:
	s_and_b32 s28, 0xffff, s27
	s_delay_alu instid0(SALU_CYCLE_1)
	s_cmp_gt_i32 s28, 25
	s_cbranch_scc0 .LBB199_325
; %bb.319:
	s_cmp_gt_i32 s28, 28
	s_cbranch_scc0 .LBB199_327
; %bb.320:
	;; [unrolled: 3-line block ×4, first 2 shown]
	s_mov_b32 s30, 0
	s_mov_b32 s0, -1
	s_cmp_eq_u32 s28, 46
	s_mov_b32 s29, 0
	s_cbranch_scc0 .LBB199_340
; %bb.323:
	s_delay_alu instid0(VALU_DEP_3)
	v_xor_b32_e32 v1, v4, v5
	s_wait_loadcnt 0x0
	v_cls_i32_e32 v6, v5
	s_mov_b32 s29, -1
	s_mov_b32 s0, 0
	v_ashrrev_i32_e32 v1, 31, v1
	s_delay_alu instid0(VALU_DEP_1) | instskip(NEXT) | instid1(VALU_DEP_1)
	v_add_nc_u32_e32 v1, 32, v1
	v_add_min_u32_e64 v1, v6, -1, v1
	s_delay_alu instid0(VALU_DEP_1) | instskip(SKIP_1) | instid1(VALU_DEP_2)
	v_lshlrev_b64_e32 v[6:7], v1, v[4:5]
	v_sub_nc_u32_e32 v1, 32, v1
	v_min_u32_e32 v6, 1, v6
	s_delay_alu instid0(VALU_DEP_1) | instskip(NEXT) | instid1(VALU_DEP_1)
	v_or_b32_e32 v6, v7, v6
	v_cvt_f32_i32_e32 v6, v6
	s_delay_alu instid0(VALU_DEP_1) | instskip(NEXT) | instid1(VALU_DEP_1)
	v_ldexp_f32 v1, v6, v1
	v_bfe_u32 v6, v1, 16, 1
	s_delay_alu instid0(VALU_DEP_1) | instskip(NEXT) | instid1(VALU_DEP_1)
	v_add3_u32 v1, v1, v6, 0x7fff
	v_lshrrev_b32_e32 v1, 16, v1
	global_store_b32 v[2:3], v1, off
	s_branch .LBB199_340
.LBB199_324:
	s_mov_b32 s28, -1
	s_mov_b32 s29, 0
	s_mov_b32 s0, s44
	s_branch .LBB199_409
.LBB199_325:
	s_mov_b32 s30, -1
	s_mov_b32 s29, 0
	s_mov_b32 s0, s44
	s_branch .LBB199_367
.LBB199_326:
	s_mov_b32 s28, -1
	s_mov_b32 s27, 0
	s_mov_b32 s26, s45
                                        ; implicit-def: $vgpr6_vgpr7
	s_branch .LBB199_453
.LBB199_327:
	s_mov_b32 s30, -1
	s_mov_b32 s29, 0
	s_mov_b32 s0, s44
	s_branch .LBB199_350
.LBB199_328:
	s_and_not1_saveexec_b32 s31, s31
	s_cbranch_execz .LBB199_80
.LBB199_329:
	v_add_f32_e64 v6, 0x46000000, |v1|
	s_and_not1_b32 s30, s30, exec_lo
	s_delay_alu instid0(VALU_DEP_1) | instskip(NEXT) | instid1(VALU_DEP_1)
	v_and_b32_e32 v6, 0xff, v6
	v_cmp_ne_u32_e32 vcc_lo, 0, v6
	s_and_b32 s44, vcc_lo, exec_lo
	s_delay_alu instid0(SALU_CYCLE_1)
	s_or_b32 s30, s30, s44
	s_or_b32 exec_lo, exec_lo, s31
	v_mov_b32_e32 v7, 0
	s_and_saveexec_b32 s31, s30
	s_cbranch_execnz .LBB199_81
	s_branch .LBB199_82
.LBB199_330:
	s_mov_b32 s28, -1
	s_mov_b32 s27, 0
	s_mov_b32 s26, s45
	s_branch .LBB199_335
.LBB199_331:
	s_mov_b32 s30, -1
	s_mov_b32 s29, 0
	s_mov_b32 s0, s44
	s_branch .LBB199_346
.LBB199_332:
	s_and_not1_saveexec_b32 s31, s31
	s_cbranch_execz .LBB199_93
.LBB199_333:
	v_add_f32_e64 v6, 0x42800000, |v1|
	s_and_not1_b32 s30, s30, exec_lo
	s_delay_alu instid0(VALU_DEP_1) | instskip(NEXT) | instid1(VALU_DEP_1)
	v_and_b32_e32 v6, 0xff, v6
	v_cmp_ne_u32_e32 vcc_lo, 0, v6
	s_and_b32 s44, vcc_lo, exec_lo
	s_delay_alu instid0(SALU_CYCLE_1)
	s_or_b32 s30, s30, s44
	s_or_b32 exec_lo, exec_lo, s31
	v_mov_b32_e32 v7, 0
	s_and_saveexec_b32 s31, s30
	s_cbranch_execnz .LBB199_94
	s_branch .LBB199_95
.LBB199_334:
	s_mov_b32 s26, -1
	s_mov_b32 s27, 0
.LBB199_335:
                                        ; implicit-def: $vgpr6_vgpr7
.LBB199_336:
	s_and_b32 vcc_lo, exec_lo, s28
	s_cbranch_vccz .LBB199_452
; %bb.337:
	s_cmp_eq_u32 s0, 44
	s_cbranch_scc0 .LBB199_451
; %bb.338:
	global_load_u8 v1, v[4:5], off
	s_mov_b32 s26, 0
	s_mov_b32 s27, -1
	s_wait_loadcnt 0x0
	v_lshlrev_b32_e32 v3, 23, v1
	v_cmp_ne_u32_e32 vcc_lo, 0, v1
	s_delay_alu instid0(VALU_DEP_2) | instskip(NEXT) | instid1(VALU_DEP_1)
	v_trunc_f32_e32 v3, v3
	v_mul_f32_e64 v6, 0x2f800000, |v3|
	s_delay_alu instid0(VALU_DEP_1) | instskip(SKIP_1) | instid1(VALU_DEP_2)
	v_floor_f32_e32 v7, v6
	v_ashrrev_i32_e32 v6, 31, v3
	v_fma_f32 v8, 0xcf800000, v7, |v3|
	v_cvt_u32_f32_e32 v3, v7
	s_delay_alu instid0(VALU_DEP_3) | instskip(NEXT) | instid1(VALU_DEP_3)
	v_mov_b32_e32 v7, v6
	v_cvt_u32_f32_e32 v8, v8
	s_delay_alu instid0(VALU_DEP_3) | instskip(NEXT) | instid1(VALU_DEP_2)
	v_xor_b32_e32 v9, v3, v6
	v_xor_b32_e32 v8, v8, v6
	s_delay_alu instid0(VALU_DEP_1) | instskip(NEXT) | instid1(VALU_DEP_1)
	v_sub_nc_u64_e32 v[6:7], v[8:9], v[6:7]
	v_dual_cndmask_b32 v7, 0, v7 :: v_dual_cndmask_b32 v6, 0, v6
	s_branch .LBB199_452
.LBB199_339:
	s_mov_b32 s30, -1
	s_mov_b32 s29, 0
	s_mov_b32 s0, s44
.LBB199_340:
	s_and_b32 vcc_lo, exec_lo, s30
	s_cbranch_vccz .LBB199_345
; %bb.341:
	s_cmp_eq_u32 s28, 44
	s_mov_b32 s0, -1
	s_cbranch_scc0 .LBB199_345
; %bb.342:
	s_wait_xcnt 0x0
	s_delay_alu instid0(VALU_DEP_3)
	v_xor_b32_e32 v1, v4, v5
	s_wait_loadcnt 0x0
	v_cls_i32_e32 v6, v5
	s_mov_b32 s29, -1
	s_mov_b32 s30, exec_lo
	v_ashrrev_i32_e32 v1, 31, v1
	s_delay_alu instid0(VALU_DEP_1) | instskip(NEXT) | instid1(VALU_DEP_1)
	v_add_nc_u32_e32 v1, 32, v1
	v_add_min_u32_e64 v1, v6, -1, v1
	s_delay_alu instid0(VALU_DEP_1) | instskip(SKIP_1) | instid1(VALU_DEP_2)
	v_lshlrev_b64_e32 v[6:7], v1, v[4:5]
	v_sub_nc_u32_e32 v1, 32, v1
	v_min_u32_e32 v6, 1, v6
	s_delay_alu instid0(VALU_DEP_1) | instskip(NEXT) | instid1(VALU_DEP_1)
	v_or_b32_e32 v6, v7, v6
	v_cvt_f32_i32_e32 v6, v6
	s_delay_alu instid0(VALU_DEP_1) | instskip(SKIP_1) | instid1(VALU_DEP_2)
	v_ldexp_f32 v1, v6, v1
	v_mov_b32_e32 v6, 0xff
	v_bfe_u32 v7, v1, 23, 8
	s_delay_alu instid0(VALU_DEP_1)
	v_cmpx_ne_u32_e32 0xff, v7
	s_cbranch_execz .LBB199_344
; %bb.343:
	v_and_b32_e32 v6, 0x400000, v1
	v_and_or_b32 v7, 0x3fffff, v1, v7
	v_lshrrev_b32_e32 v1, 23, v1
	s_delay_alu instid0(VALU_DEP_3) | instskip(NEXT) | instid1(VALU_DEP_3)
	v_cmp_ne_u32_e32 vcc_lo, 0, v6
	v_cmp_ne_u32_e64 s0, 0, v7
	s_and_b32 s0, vcc_lo, s0
	s_delay_alu instid0(SALU_CYCLE_1) | instskip(NEXT) | instid1(VALU_DEP_1)
	v_cndmask_b32_e64 v6, 0, 1, s0
	v_add_nc_u32_e32 v6, v1, v6
.LBB199_344:
	s_or_b32 exec_lo, exec_lo, s30
	s_mov_b32 s0, 0
	global_store_b8 v[2:3], v6, off
.LBB199_345:
	s_mov_b32 s30, 0
.LBB199_346:
	s_delay_alu instid0(SALU_CYCLE_1)
	s_and_b32 vcc_lo, exec_lo, s30
	s_cbranch_vccz .LBB199_349
; %bb.347:
	s_cmp_eq_u32 s28, 29
	s_mov_b32 s0, -1
	s_cbranch_scc0 .LBB199_349
; %bb.348:
	s_mov_b32 s29, -1
	s_mov_b32 s0, 0
	global_store_b64 v[2:3], v[4:5], off
.LBB199_349:
	s_mov_b32 s30, 0
.LBB199_350:
	s_delay_alu instid0(SALU_CYCLE_1)
	s_and_b32 vcc_lo, exec_lo, s30
	s_cbranch_vccz .LBB199_366
; %bb.351:
	s_cmp_lt_i32 s28, 27
	s_mov_b32 s29, -1
	s_cbranch_scc1 .LBB199_357
; %bb.352:
	s_cmp_gt_i32 s28, 27
	s_cbranch_scc0 .LBB199_354
; %bb.353:
	s_mov_b32 s29, 0
	global_store_b32 v[2:3], v4, off
.LBB199_354:
	s_and_not1_b32 vcc_lo, exec_lo, s29
	s_cbranch_vccnz .LBB199_356
; %bb.355:
	global_store_b16 v[2:3], v4, off
.LBB199_356:
	s_mov_b32 s29, 0
.LBB199_357:
	s_delay_alu instid0(SALU_CYCLE_1)
	s_and_not1_b32 vcc_lo, exec_lo, s29
	s_cbranch_vccnz .LBB199_365
; %bb.358:
	s_wait_xcnt 0x0
	s_delay_alu instid0(VALU_DEP_3) | instskip(SKIP_3) | instid1(VALU_DEP_2)
	v_xor_b32_e32 v1, v4, v5
	s_wait_loadcnt 0x0
	v_cls_i32_e32 v6, v5
	s_mov_b32 s29, exec_lo
	v_ashrrev_i32_e32 v1, 31, v1
	s_delay_alu instid0(VALU_DEP_1) | instskip(NEXT) | instid1(VALU_DEP_1)
	v_add_nc_u32_e32 v1, 32, v1
	v_add_min_u32_e64 v1, v6, -1, v1
	s_delay_alu instid0(VALU_DEP_1) | instskip(SKIP_1) | instid1(VALU_DEP_2)
	v_lshlrev_b64_e32 v[6:7], v1, v[4:5]
	v_sub_nc_u32_e32 v1, 32, v1
	v_min_u32_e32 v6, 1, v6
	s_delay_alu instid0(VALU_DEP_1) | instskip(SKIP_1) | instid1(VALU_DEP_2)
	v_or_b32_e32 v6, v7, v6
	v_mov_b32_e32 v7, 0x80
	v_cvt_f32_i32_e32 v6, v6
	s_delay_alu instid0(VALU_DEP_1) | instskip(NEXT) | instid1(VALU_DEP_1)
	v_ldexp_f32 v1, v6, v1
	v_and_b32_e32 v6, 0x7fffffff, v1
	s_delay_alu instid0(VALU_DEP_1)
	v_cmpx_gt_u32_e32 0x43800000, v6
	s_cbranch_execz .LBB199_364
; %bb.359:
	v_cmp_lt_u32_e32 vcc_lo, 0x3bffffff, v6
	s_mov_b32 s30, 0
                                        ; implicit-def: $vgpr6
	s_and_saveexec_b32 s31, vcc_lo
	s_delay_alu instid0(SALU_CYCLE_1)
	s_xor_b32 s31, exec_lo, s31
	s_cbranch_execz .LBB199_590
; %bb.360:
	v_bfe_u32 v6, v1, 20, 1
	s_mov_b32 s30, exec_lo
	s_delay_alu instid0(VALU_DEP_1) | instskip(NEXT) | instid1(VALU_DEP_1)
	v_add3_u32 v6, v1, v6, 0x487ffff
	v_lshrrev_b32_e32 v6, 20, v6
	s_and_not1_saveexec_b32 s31, s31
	s_cbranch_execnz .LBB199_591
.LBB199_361:
	s_or_b32 exec_lo, exec_lo, s31
	v_mov_b32_e32 v7, 0
	s_and_saveexec_b32 s31, s30
.LBB199_362:
	v_lshrrev_b32_e32 v1, 24, v1
	s_delay_alu instid0(VALU_DEP_1)
	v_and_or_b32 v7, 0x80, v1, v6
.LBB199_363:
	s_or_b32 exec_lo, exec_lo, s31
.LBB199_364:
	s_delay_alu instid0(SALU_CYCLE_1)
	s_or_b32 exec_lo, exec_lo, s29
	global_store_b8 v[2:3], v7, off
.LBB199_365:
	s_mov_b32 s29, -1
.LBB199_366:
	s_mov_b32 s30, 0
.LBB199_367:
	s_delay_alu instid0(SALU_CYCLE_1)
	s_and_b32 vcc_lo, exec_lo, s30
	s_cbranch_vccz .LBB199_408
; %bb.368:
	s_cmp_gt_i32 s28, 22
	s_mov_b32 s30, -1
	s_cbranch_scc0 .LBB199_400
; %bb.369:
	s_cmp_lt_i32 s28, 24
	s_mov_b32 s29, -1
	s_cbranch_scc1 .LBB199_389
; %bb.370:
	s_cmp_gt_i32 s28, 24
	s_cbranch_scc0 .LBB199_378
; %bb.371:
	s_wait_xcnt 0x0
	s_delay_alu instid0(VALU_DEP_3) | instskip(SKIP_3) | instid1(VALU_DEP_2)
	v_xor_b32_e32 v1, v4, v5
	s_wait_loadcnt 0x0
	v_cls_i32_e32 v6, v5
	s_mov_b32 s29, exec_lo
	v_ashrrev_i32_e32 v1, 31, v1
	s_delay_alu instid0(VALU_DEP_1) | instskip(NEXT) | instid1(VALU_DEP_1)
	v_add_nc_u32_e32 v1, 32, v1
	v_add_min_u32_e64 v1, v6, -1, v1
	s_delay_alu instid0(VALU_DEP_1) | instskip(SKIP_1) | instid1(VALU_DEP_2)
	v_lshlrev_b64_e32 v[6:7], v1, v[4:5]
	v_sub_nc_u32_e32 v1, 32, v1
	v_min_u32_e32 v6, 1, v6
	s_delay_alu instid0(VALU_DEP_1) | instskip(SKIP_1) | instid1(VALU_DEP_2)
	v_or_b32_e32 v6, v7, v6
	v_mov_b32_e32 v7, 0x80
	v_cvt_f32_i32_e32 v6, v6
	s_delay_alu instid0(VALU_DEP_1) | instskip(NEXT) | instid1(VALU_DEP_1)
	v_ldexp_f32 v1, v6, v1
	v_and_b32_e32 v6, 0x7fffffff, v1
	s_delay_alu instid0(VALU_DEP_1)
	v_cmpx_gt_u32_e32 0x47800000, v6
	s_cbranch_execz .LBB199_377
; %bb.372:
	v_cmp_lt_u32_e32 vcc_lo, 0x37ffffff, v6
	s_mov_b32 s30, 0
                                        ; implicit-def: $vgpr6
	s_and_saveexec_b32 s31, vcc_lo
	s_delay_alu instid0(SALU_CYCLE_1)
	s_xor_b32 s31, exec_lo, s31
	s_cbranch_execz .LBB199_593
; %bb.373:
	v_bfe_u32 v6, v1, 21, 1
	s_mov_b32 s30, exec_lo
	s_delay_alu instid0(VALU_DEP_1) | instskip(NEXT) | instid1(VALU_DEP_1)
	v_add3_u32 v6, v1, v6, 0x88fffff
	v_lshrrev_b32_e32 v6, 21, v6
	s_and_not1_saveexec_b32 s31, s31
	s_cbranch_execnz .LBB199_594
.LBB199_374:
	s_or_b32 exec_lo, exec_lo, s31
	v_mov_b32_e32 v7, 0
	s_and_saveexec_b32 s31, s30
.LBB199_375:
	v_lshrrev_b32_e32 v1, 24, v1
	s_delay_alu instid0(VALU_DEP_1)
	v_and_or_b32 v7, 0x80, v1, v6
.LBB199_376:
	s_or_b32 exec_lo, exec_lo, s31
.LBB199_377:
	s_delay_alu instid0(SALU_CYCLE_1)
	s_or_b32 exec_lo, exec_lo, s29
	s_mov_b32 s29, 0
	global_store_b8 v[2:3], v7, off
.LBB199_378:
	s_and_b32 vcc_lo, exec_lo, s29
	s_cbranch_vccz .LBB199_388
; %bb.379:
	s_wait_xcnt 0x0
	s_delay_alu instid0(VALU_DEP_3) | instskip(SKIP_3) | instid1(VALU_DEP_2)
	v_xor_b32_e32 v1, v4, v5
	s_wait_loadcnt 0x0
	v_cls_i32_e32 v6, v5
	s_mov_b32 s29, exec_lo
	v_ashrrev_i32_e32 v1, 31, v1
	s_delay_alu instid0(VALU_DEP_1) | instskip(NEXT) | instid1(VALU_DEP_1)
	v_add_nc_u32_e32 v1, 32, v1
	v_add_min_u32_e64 v1, v6, -1, v1
	s_delay_alu instid0(VALU_DEP_1) | instskip(SKIP_1) | instid1(VALU_DEP_2)
	v_lshlrev_b64_e32 v[6:7], v1, v[4:5]
	v_sub_nc_u32_e32 v1, 32, v1
	v_min_u32_e32 v6, 1, v6
	s_delay_alu instid0(VALU_DEP_1) | instskip(NEXT) | instid1(VALU_DEP_1)
	v_or_b32_e32 v6, v7, v6
	v_cvt_f32_i32_e32 v6, v6
	s_delay_alu instid0(VALU_DEP_1) | instskip(NEXT) | instid1(VALU_DEP_1)
	v_ldexp_f32 v1, v6, v1
                                        ; implicit-def: $vgpr6
	v_and_b32_e32 v7, 0x7fffffff, v1
	s_delay_alu instid0(VALU_DEP_1)
	v_cmpx_gt_u32_e32 0x43f00000, v7
	s_xor_b32 s29, exec_lo, s29
	s_cbranch_execz .LBB199_385
; %bb.380:
	s_mov_b32 s30, exec_lo
                                        ; implicit-def: $vgpr6
	v_cmpx_lt_u32_e32 0x3c7fffff, v7
	s_xor_b32 s30, exec_lo, s30
; %bb.381:
	v_bfe_u32 v6, v1, 20, 1
	s_delay_alu instid0(VALU_DEP_1) | instskip(NEXT) | instid1(VALU_DEP_1)
	v_add3_u32 v6, v1, v6, 0x407ffff
	v_and_b32_e32 v7, 0xff00000, v6
	v_lshrrev_b32_e32 v6, 20, v6
	s_delay_alu instid0(VALU_DEP_2) | instskip(NEXT) | instid1(VALU_DEP_2)
	v_cmp_ne_u32_e32 vcc_lo, 0x7f00000, v7
	v_cndmask_b32_e32 v6, 0x7e, v6, vcc_lo
; %bb.382:
	s_and_not1_saveexec_b32 s30, s30
; %bb.383:
	v_add_f32_e64 v6, 0x46800000, |v1|
; %bb.384:
	s_or_b32 exec_lo, exec_lo, s30
                                        ; implicit-def: $vgpr7
.LBB199_385:
	s_and_not1_saveexec_b32 s29, s29
; %bb.386:
	v_mov_b32_e32 v6, 0x7f
	v_cmp_lt_u32_e32 vcc_lo, 0x7f800000, v7
	s_delay_alu instid0(VALU_DEP_2)
	v_cndmask_b32_e32 v6, 0x7e, v6, vcc_lo
; %bb.387:
	s_or_b32 exec_lo, exec_lo, s29
	v_lshrrev_b32_e32 v1, 24, v1
	s_delay_alu instid0(VALU_DEP_1)
	v_and_or_b32 v1, 0x80, v1, v6
	global_store_b8 v[2:3], v1, off
.LBB199_388:
	s_mov_b32 s29, 0
.LBB199_389:
	s_delay_alu instid0(SALU_CYCLE_1)
	s_and_not1_b32 vcc_lo, exec_lo, s29
	s_cbranch_vccnz .LBB199_399
; %bb.390:
	s_wait_xcnt 0x0
	s_delay_alu instid0(VALU_DEP_3) | instskip(SKIP_3) | instid1(VALU_DEP_2)
	v_xor_b32_e32 v1, v4, v5
	s_wait_loadcnt 0x0
	v_cls_i32_e32 v6, v5
	s_mov_b32 s29, exec_lo
	v_ashrrev_i32_e32 v1, 31, v1
	s_delay_alu instid0(VALU_DEP_1) | instskip(NEXT) | instid1(VALU_DEP_1)
	v_add_nc_u32_e32 v1, 32, v1
	v_add_min_u32_e64 v1, v6, -1, v1
	s_delay_alu instid0(VALU_DEP_1) | instskip(SKIP_1) | instid1(VALU_DEP_2)
	v_lshlrev_b64_e32 v[6:7], v1, v[4:5]
	v_sub_nc_u32_e32 v1, 32, v1
	v_min_u32_e32 v6, 1, v6
	s_delay_alu instid0(VALU_DEP_1) | instskip(NEXT) | instid1(VALU_DEP_1)
	v_or_b32_e32 v6, v7, v6
	v_cvt_f32_i32_e32 v6, v6
	s_delay_alu instid0(VALU_DEP_1) | instskip(NEXT) | instid1(VALU_DEP_1)
	v_ldexp_f32 v1, v6, v1
                                        ; implicit-def: $vgpr6
	v_and_b32_e32 v7, 0x7fffffff, v1
	s_delay_alu instid0(VALU_DEP_1)
	v_cmpx_gt_u32_e32 0x47800000, v7
	s_xor_b32 s29, exec_lo, s29
	s_cbranch_execz .LBB199_396
; %bb.391:
	s_mov_b32 s30, exec_lo
                                        ; implicit-def: $vgpr6
	v_cmpx_lt_u32_e32 0x387fffff, v7
	s_xor_b32 s30, exec_lo, s30
; %bb.392:
	v_bfe_u32 v6, v1, 21, 1
	s_delay_alu instid0(VALU_DEP_1) | instskip(NEXT) | instid1(VALU_DEP_1)
	v_add3_u32 v6, v1, v6, 0x80fffff
	v_lshrrev_b32_e32 v6, 21, v6
; %bb.393:
	s_and_not1_saveexec_b32 s30, s30
; %bb.394:
	v_add_f32_e64 v6, 0x43000000, |v1|
; %bb.395:
	s_or_b32 exec_lo, exec_lo, s30
                                        ; implicit-def: $vgpr7
.LBB199_396:
	s_and_not1_saveexec_b32 s29, s29
; %bb.397:
	v_mov_b32_e32 v6, 0x7f
	v_cmp_lt_u32_e32 vcc_lo, 0x7f800000, v7
	s_delay_alu instid0(VALU_DEP_2)
	v_cndmask_b32_e32 v6, 0x7c, v6, vcc_lo
; %bb.398:
	s_or_b32 exec_lo, exec_lo, s29
	v_lshrrev_b32_e32 v1, 24, v1
	s_delay_alu instid0(VALU_DEP_1)
	v_and_or_b32 v1, 0x80, v1, v6
	global_store_b8 v[2:3], v1, off
.LBB199_399:
	s_mov_b32 s30, 0
	s_mov_b32 s29, -1
.LBB199_400:
	s_and_not1_b32 vcc_lo, exec_lo, s30
	s_cbranch_vccnz .LBB199_408
; %bb.401:
	s_cmp_gt_i32 s28, 14
	s_mov_b32 s30, -1
	s_cbranch_scc0 .LBB199_405
; %bb.402:
	s_cmp_eq_u32 s28, 15
	s_mov_b32 s0, -1
	s_cbranch_scc0 .LBB199_404
; %bb.403:
	s_wait_xcnt 0x0
	s_delay_alu instid0(VALU_DEP_3)
	v_xor_b32_e32 v1, v4, v5
	s_wait_loadcnt 0x0
	v_cls_i32_e32 v6, v5
	s_mov_b32 s29, -1
	s_mov_b32 s0, 0
	v_ashrrev_i32_e32 v1, 31, v1
	s_delay_alu instid0(VALU_DEP_1) | instskip(NEXT) | instid1(VALU_DEP_1)
	v_add_nc_u32_e32 v1, 32, v1
	v_add_min_u32_e64 v1, v6, -1, v1
	s_delay_alu instid0(VALU_DEP_1) | instskip(SKIP_1) | instid1(VALU_DEP_2)
	v_lshlrev_b64_e32 v[6:7], v1, v[4:5]
	v_sub_nc_u32_e32 v1, 32, v1
	v_min_u32_e32 v6, 1, v6
	s_delay_alu instid0(VALU_DEP_1) | instskip(NEXT) | instid1(VALU_DEP_1)
	v_or_b32_e32 v6, v7, v6
	v_cvt_f32_i32_e32 v6, v6
	s_delay_alu instid0(VALU_DEP_1) | instskip(NEXT) | instid1(VALU_DEP_1)
	v_ldexp_f32 v1, v6, v1
	v_bfe_u32 v6, v1, 16, 1
	s_delay_alu instid0(VALU_DEP_1)
	v_add3_u32 v1, v1, v6, 0x7fff
	global_store_d16_hi_b16 v[2:3], v1, off
.LBB199_404:
	s_mov_b32 s30, 0
.LBB199_405:
	s_delay_alu instid0(SALU_CYCLE_1)
	s_and_b32 vcc_lo, exec_lo, s30
	s_cbranch_vccz .LBB199_408
; %bb.406:
	s_cmp_eq_u32 s28, 11
	s_mov_b32 s0, -1
	s_cbranch_scc0 .LBB199_408
; %bb.407:
	s_delay_alu instid0(VALU_DEP_3)
	v_cmp_ne_u64_e32 vcc_lo, 0, v[4:5]
	s_mov_b32 s29, -1
	s_mov_b32 s0, 0
	s_wait_xcnt 0x0
	v_cndmask_b32_e64 v1, 0, 1, vcc_lo
	global_store_b8 v[2:3], v1, off
.LBB199_408:
	s_mov_b32 s28, 0
.LBB199_409:
	s_delay_alu instid0(SALU_CYCLE_1)
	s_and_b32 vcc_lo, exec_lo, s28
	s_cbranch_vccz .LBB199_448
; %bb.410:
	s_and_b32 s27, 0xffff, s27
	s_mov_b32 s28, -1
	s_cmp_lt_i32 s27, 5
	s_cbranch_scc1 .LBB199_431
; %bb.411:
	s_cmp_lt_i32 s27, 8
	s_cbranch_scc1 .LBB199_421
; %bb.412:
	;; [unrolled: 3-line block ×3, first 2 shown]
	s_cmp_gt_i32 s27, 9
	s_cbranch_scc0 .LBB199_415
; %bb.414:
	s_wait_loadcnt 0x0
	s_delay_alu instid0(VALU_DEP_3) | instskip(NEXT) | instid1(VALU_DEP_4)
	v_cvt_f64_i32_e32 v[6:7], v5
	v_cvt_f64_u32_e32 v[8:9], v4
	s_mov_b32 s28, 0
	s_delay_alu instid0(VALU_DEP_2) | instskip(NEXT) | instid1(VALU_DEP_1)
	v_ldexp_f64 v[6:7], v[6:7], 32
	v_dual_add_f64 v[6:7], v[6:7], v[8:9] :: v_dual_mov_b32 v8, 0
	s_delay_alu instid0(VALU_DEP_1)
	v_mov_b32_e32 v9, v8
	global_store_b128 v[2:3], v[6:9], off
.LBB199_415:
	s_and_not1_b32 vcc_lo, exec_lo, s28
	s_cbranch_vccnz .LBB199_417
; %bb.416:
	s_wait_xcnt 0x0
	s_delay_alu instid0(VALU_DEP_3) | instskip(SKIP_2) | instid1(VALU_DEP_2)
	v_xor_b32_e32 v1, v4, v5
	s_wait_loadcnt 0x0
	v_cls_i32_e32 v6, v5
	v_ashrrev_i32_e32 v1, 31, v1
	s_delay_alu instid0(VALU_DEP_1) | instskip(NEXT) | instid1(VALU_DEP_1)
	v_add_nc_u32_e32 v1, 32, v1
	v_add_min_u32_e64 v1, v6, -1, v1
	s_delay_alu instid0(VALU_DEP_1) | instskip(SKIP_1) | instid1(VALU_DEP_2)
	v_lshlrev_b64_e32 v[6:7], v1, v[4:5]
	v_sub_nc_u32_e32 v1, 32, v1
	v_min_u32_e32 v6, 1, v6
	s_delay_alu instid0(VALU_DEP_1) | instskip(NEXT) | instid1(VALU_DEP_1)
	v_dual_mov_b32 v7, 0 :: v_dual_bitop2_b32 v6, v7, v6 bitop3:0x54
	v_cvt_f32_i32_e32 v6, v6
	s_delay_alu instid0(VALU_DEP_1)
	v_ldexp_f32 v6, v6, v1
	global_store_b64 v[2:3], v[6:7], off
.LBB199_417:
	s_mov_b32 s28, 0
.LBB199_418:
	s_delay_alu instid0(SALU_CYCLE_1)
	s_and_not1_b32 vcc_lo, exec_lo, s28
	s_cbranch_vccnz .LBB199_420
; %bb.419:
	s_wait_xcnt 0x0
	s_delay_alu instid0(VALU_DEP_3) | instskip(SKIP_2) | instid1(VALU_DEP_2)
	v_xor_b32_e32 v1, v4, v5
	s_wait_loadcnt 0x0
	v_cls_i32_e32 v6, v5
	v_ashrrev_i32_e32 v1, 31, v1
	s_delay_alu instid0(VALU_DEP_1) | instskip(NEXT) | instid1(VALU_DEP_1)
	v_add_nc_u32_e32 v1, 32, v1
	v_add_min_u32_e64 v1, v6, -1, v1
	s_delay_alu instid0(VALU_DEP_1) | instskip(SKIP_1) | instid1(VALU_DEP_2)
	v_lshlrev_b64_e32 v[6:7], v1, v[4:5]
	v_sub_nc_u32_e32 v1, 32, v1
	v_min_u32_e32 v6, 1, v6
	s_delay_alu instid0(VALU_DEP_1) | instskip(NEXT) | instid1(VALU_DEP_1)
	v_or_b32_e32 v6, v7, v6
	v_cvt_f32_i32_e32 v6, v6
	s_delay_alu instid0(VALU_DEP_1) | instskip(NEXT) | instid1(VALU_DEP_1)
	v_ldexp_f32 v1, v6, v1
	v_cvt_f16_f32_e32 v1, v1
	s_delay_alu instid0(VALU_DEP_1)
	v_and_b32_e32 v1, 0xffff, v1
	global_store_b32 v[2:3], v1, off
.LBB199_420:
	s_mov_b32 s28, 0
.LBB199_421:
	s_delay_alu instid0(SALU_CYCLE_1)
	s_and_not1_b32 vcc_lo, exec_lo, s28
	s_cbranch_vccnz .LBB199_430
; %bb.422:
	s_cmp_lt_i32 s27, 6
	s_mov_b32 s28, -1
	s_cbranch_scc1 .LBB199_428
; %bb.423:
	s_cmp_gt_i32 s27, 6
	s_cbranch_scc0 .LBB199_425
; %bb.424:
	s_wait_loadcnt 0x0
	s_delay_alu instid0(VALU_DEP_3) | instskip(NEXT) | instid1(VALU_DEP_4)
	v_cvt_f64_i32_e32 v[6:7], v5
	v_cvt_f64_u32_e32 v[8:9], v4
	s_mov_b32 s28, 0
	s_delay_alu instid0(VALU_DEP_2) | instskip(NEXT) | instid1(VALU_DEP_1)
	v_ldexp_f64 v[6:7], v[6:7], 32
	v_add_f64_e32 v[6:7], v[6:7], v[8:9]
	global_store_b64 v[2:3], v[6:7], off
.LBB199_425:
	s_and_not1_b32 vcc_lo, exec_lo, s28
	s_cbranch_vccnz .LBB199_427
; %bb.426:
	s_wait_xcnt 0x0
	s_delay_alu instid0(VALU_DEP_3) | instskip(SKIP_2) | instid1(VALU_DEP_2)
	v_xor_b32_e32 v1, v4, v5
	s_wait_loadcnt 0x0
	v_cls_i32_e32 v6, v5
	v_ashrrev_i32_e32 v1, 31, v1
	s_delay_alu instid0(VALU_DEP_1) | instskip(NEXT) | instid1(VALU_DEP_1)
	v_add_nc_u32_e32 v1, 32, v1
	v_add_min_u32_e64 v1, v6, -1, v1
	s_delay_alu instid0(VALU_DEP_1) | instskip(SKIP_1) | instid1(VALU_DEP_2)
	v_lshlrev_b64_e32 v[6:7], v1, v[4:5]
	v_sub_nc_u32_e32 v1, 32, v1
	v_min_u32_e32 v6, 1, v6
	s_delay_alu instid0(VALU_DEP_1) | instskip(NEXT) | instid1(VALU_DEP_1)
	v_or_b32_e32 v6, v7, v6
	v_cvt_f32_i32_e32 v6, v6
	s_delay_alu instid0(VALU_DEP_1)
	v_ldexp_f32 v1, v6, v1
	global_store_b32 v[2:3], v1, off
.LBB199_427:
	s_mov_b32 s28, 0
.LBB199_428:
	s_delay_alu instid0(SALU_CYCLE_1)
	s_and_not1_b32 vcc_lo, exec_lo, s28
	s_cbranch_vccnz .LBB199_430
; %bb.429:
	s_wait_xcnt 0x0
	s_delay_alu instid0(VALU_DEP_3) | instskip(SKIP_2) | instid1(VALU_DEP_2)
	v_xor_b32_e32 v1, v4, v5
	s_wait_loadcnt 0x0
	v_cls_i32_e32 v6, v5
	v_ashrrev_i32_e32 v1, 31, v1
	s_delay_alu instid0(VALU_DEP_1) | instskip(NEXT) | instid1(VALU_DEP_1)
	v_add_nc_u32_e32 v1, 32, v1
	v_add_min_u32_e64 v1, v6, -1, v1
	s_delay_alu instid0(VALU_DEP_1) | instskip(SKIP_1) | instid1(VALU_DEP_2)
	v_lshlrev_b64_e32 v[6:7], v1, v[4:5]
	v_sub_nc_u32_e32 v1, 32, v1
	v_min_u32_e32 v6, 1, v6
	s_delay_alu instid0(VALU_DEP_1) | instskip(NEXT) | instid1(VALU_DEP_1)
	v_or_b32_e32 v6, v7, v6
	v_cvt_f32_i32_e32 v6, v6
	s_delay_alu instid0(VALU_DEP_1) | instskip(NEXT) | instid1(VALU_DEP_1)
	v_ldexp_f32 v1, v6, v1
	v_cvt_f16_f32_e32 v1, v1
	global_store_b16 v[2:3], v1, off
.LBB199_430:
	s_mov_b32 s28, 0
.LBB199_431:
	s_delay_alu instid0(SALU_CYCLE_1)
	s_and_not1_b32 vcc_lo, exec_lo, s28
	s_cbranch_vccnz .LBB199_447
; %bb.432:
	s_cmp_lt_i32 s27, 2
	s_mov_b32 s28, -1
	s_cbranch_scc1 .LBB199_442
; %bb.433:
	s_cmp_lt_i32 s27, 3
	s_cbranch_scc1 .LBB199_439
; %bb.434:
	s_cmp_gt_i32 s27, 3
	s_cbranch_scc0 .LBB199_436
; %bb.435:
	s_mov_b32 s28, 0
	global_store_b64 v[2:3], v[4:5], off
.LBB199_436:
	s_and_not1_b32 vcc_lo, exec_lo, s28
	s_cbranch_vccnz .LBB199_438
; %bb.437:
	global_store_b32 v[2:3], v4, off
.LBB199_438:
	s_mov_b32 s28, 0
.LBB199_439:
	s_delay_alu instid0(SALU_CYCLE_1)
	s_and_not1_b32 vcc_lo, exec_lo, s28
	s_cbranch_vccnz .LBB199_441
; %bb.440:
	global_store_b16 v[2:3], v4, off
.LBB199_441:
	s_mov_b32 s28, 0
.LBB199_442:
	s_delay_alu instid0(SALU_CYCLE_1)
	s_and_not1_b32 vcc_lo, exec_lo, s28
	s_cbranch_vccnz .LBB199_447
; %bb.443:
	s_cmp_gt_i32 s27, 0
	s_mov_b32 s27, -1
	s_cbranch_scc0 .LBB199_445
; %bb.444:
	s_mov_b32 s27, 0
	global_store_b8 v[2:3], v4, off
.LBB199_445:
	s_and_not1_b32 vcc_lo, exec_lo, s27
	s_cbranch_vccnz .LBB199_447
; %bb.446:
	global_store_b8 v[2:3], v4, off
.LBB199_447:
	s_mov_b32 s29, -1
.LBB199_448:
	s_delay_alu instid0(SALU_CYCLE_1)
	s_and_not1_b32 vcc_lo, exec_lo, s29
	s_cbranch_vccnz .LBB199_450
; %bb.449:
	v_add_nc_u32_e32 v0, 0x80, v0
	s_mov_b32 s27, -1
	s_branch .LBB199_559
.LBB199_450:
	s_mov_b32 s27, 0
	s_branch .LBB199_558
.LBB199_451:
	s_mov_b32 s26, -1
                                        ; implicit-def: $vgpr6_vgpr7
.LBB199_452:
	s_mov_b32 s28, 0
.LBB199_453:
	s_delay_alu instid0(SALU_CYCLE_1)
	s_and_b32 vcc_lo, exec_lo, s28
	s_cbranch_vccz .LBB199_457
; %bb.454:
	s_cmp_eq_u32 s0, 29
	s_cbranch_scc0 .LBB199_456
; %bb.455:
	s_wait_loadcnt 0x0
	global_load_b64 v[6:7], v[4:5], off
	s_mov_b32 s27, -1
	s_mov_b32 s26, 0
	s_branch .LBB199_457
.LBB199_456:
	s_mov_b32 s26, -1
                                        ; implicit-def: $vgpr6_vgpr7
.LBB199_457:
	s_mov_b32 s28, 0
.LBB199_458:
	s_delay_alu instid0(SALU_CYCLE_1)
	s_and_b32 vcc_lo, exec_lo, s28
	s_cbranch_vccz .LBB199_474
; %bb.459:
	s_cmp_lt_i32 s0, 27
	s_cbranch_scc1 .LBB199_462
; %bb.460:
	s_cmp_gt_i32 s0, 27
	s_cbranch_scc0 .LBB199_463
; %bb.461:
	s_wait_loadcnt 0x0
	global_load_b32 v6, v[4:5], off
	v_mov_b32_e32 v7, 0
	s_mov_b32 s27, 0
	s_branch .LBB199_464
.LBB199_462:
	s_mov_b32 s27, -1
                                        ; implicit-def: $vgpr6_vgpr7
	s_branch .LBB199_467
.LBB199_463:
	s_mov_b32 s27, -1
                                        ; implicit-def: $vgpr6_vgpr7
.LBB199_464:
	s_delay_alu instid0(SALU_CYCLE_1)
	s_and_not1_b32 vcc_lo, exec_lo, s27
	s_cbranch_vccnz .LBB199_466
; %bb.465:
	global_load_u16 v1, v[4:5], off
	s_mov_b32 s27, 0
	s_wait_loadcnt 0x1
	v_mov_b32_e32 v7, s27
	s_wait_loadcnt 0x0
	v_and_b32_e32 v6, 0xffff, v1
.LBB199_466:
	s_mov_b32 s27, 0
.LBB199_467:
	s_delay_alu instid0(SALU_CYCLE_1)
	s_and_not1_b32 vcc_lo, exec_lo, s27
	s_cbranch_vccnz .LBB199_473
; %bb.468:
	global_load_u8 v1, v[4:5], off
	s_mov_b32 s28, 0
	s_mov_b32 s27, exec_lo
	s_wait_loadcnt 0x0
	v_cmpx_lt_i16_e32 0x7f, v1
	s_xor_b32 s27, exec_lo, s27
	s_cbranch_execz .LBB199_485
; %bb.469:
	v_cmp_ne_u16_e32 vcc_lo, 0x80, v1
	s_and_b32 s28, vcc_lo, exec_lo
	s_and_not1_saveexec_b32 s27, s27
	s_cbranch_execnz .LBB199_486
.LBB199_470:
	s_or_b32 exec_lo, exec_lo, s27
	v_mov_b64_e32 v[6:7], 0
	s_and_saveexec_b32 s27, s28
	s_cbranch_execz .LBB199_472
.LBB199_471:
	v_and_b32_e32 v3, 0xffff, v1
	s_delay_alu instid0(VALU_DEP_1) | instskip(SKIP_1) | instid1(VALU_DEP_2)
	v_dual_lshlrev_b32 v1, 24, v1 :: v_dual_bitop2_b32 v6, 7, v3 bitop3:0x40
	v_bfe_u32 v9, v3, 3, 4
	v_and_b32_e32 v1, 0x80000000, v1
	s_delay_alu instid0(VALU_DEP_3) | instskip(NEXT) | instid1(VALU_DEP_3)
	v_clz_i32_u32_e32 v7, v6
	v_cmp_eq_u32_e32 vcc_lo, 0, v9
	s_delay_alu instid0(VALU_DEP_2) | instskip(NEXT) | instid1(VALU_DEP_1)
	v_min_u32_e32 v7, 32, v7
	v_subrev_nc_u32_e32 v8, 28, v7
	v_sub_nc_u32_e32 v7, 29, v7
	s_delay_alu instid0(VALU_DEP_2) | instskip(NEXT) | instid1(VALU_DEP_2)
	v_lshlrev_b32_e32 v3, v8, v3
	v_cndmask_b32_e32 v7, v9, v7, vcc_lo
	s_delay_alu instid0(VALU_DEP_2) | instskip(NEXT) | instid1(VALU_DEP_1)
	v_and_b32_e32 v3, 7, v3
	v_cndmask_b32_e32 v3, v6, v3, vcc_lo
	s_delay_alu instid0(VALU_DEP_3) | instskip(NEXT) | instid1(VALU_DEP_2)
	v_lshl_add_u32 v6, v7, 23, 0x3b800000
	v_lshlrev_b32_e32 v3, 20, v3
	s_delay_alu instid0(VALU_DEP_1) | instskip(NEXT) | instid1(VALU_DEP_1)
	v_or3_b32 v1, v1, v6, v3
	v_trunc_f32_e32 v1, v1
	s_delay_alu instid0(VALU_DEP_1) | instskip(SKIP_1) | instid1(VALU_DEP_2)
	v_mul_f32_e64 v3, 0x2f800000, |v1|
	v_ashrrev_i32_e32 v6, 31, v1
	v_floor_f32_e32 v3, v3
	s_delay_alu instid0(VALU_DEP_1) | instskip(SKIP_1) | instid1(VALU_DEP_2)
	v_fma_f32 v7, 0xcf800000, v3, |v1|
	v_cvt_u32_f32_e32 v1, v3
	v_cvt_u32_f32_e32 v3, v7
	s_delay_alu instid0(VALU_DEP_2) | instskip(NEXT) | instid1(VALU_DEP_2)
	v_dual_mov_b32 v7, v6 :: v_dual_bitop2_b32 v9, v1, v6 bitop3:0x14
	v_xor_b32_e32 v8, v3, v6
	s_delay_alu instid0(VALU_DEP_1)
	v_sub_nc_u64_e32 v[6:7], v[8:9], v[6:7]
.LBB199_472:
	s_or_b32 exec_lo, exec_lo, s27
.LBB199_473:
	s_mov_b32 s27, -1
.LBB199_474:
	s_mov_b32 s28, 0
.LBB199_475:
	s_delay_alu instid0(SALU_CYCLE_1)
	s_and_b32 vcc_lo, exec_lo, s28
	s_cbranch_vccz .LBB199_508
; %bb.476:
	s_cmp_gt_i32 s0, 22
	s_cbranch_scc0 .LBB199_484
; %bb.477:
	s_cmp_lt_i32 s0, 24
	s_cbranch_scc1 .LBB199_487
; %bb.478:
	s_cmp_gt_i32 s0, 24
	s_cbranch_scc0 .LBB199_488
; %bb.479:
	global_load_u8 v1, v[4:5], off
	s_mov_b32 s28, 0
	s_mov_b32 s27, exec_lo
	s_wait_loadcnt 0x0
	v_cmpx_lt_i16_e32 0x7f, v1
	s_xor_b32 s27, exec_lo, s27
	s_cbranch_execz .LBB199_500
; %bb.480:
	v_cmp_ne_u16_e32 vcc_lo, 0x80, v1
	s_and_b32 s28, vcc_lo, exec_lo
	s_and_not1_saveexec_b32 s27, s27
	s_cbranch_execnz .LBB199_501
.LBB199_481:
	s_or_b32 exec_lo, exec_lo, s27
	v_mov_b64_e32 v[6:7], 0
	s_and_saveexec_b32 s27, s28
	s_cbranch_execz .LBB199_483
.LBB199_482:
	v_and_b32_e32 v3, 0xffff, v1
	s_delay_alu instid0(VALU_DEP_1) | instskip(SKIP_1) | instid1(VALU_DEP_2)
	v_dual_lshlrev_b32 v1, 24, v1 :: v_dual_bitop2_b32 v6, 3, v3 bitop3:0x40
	v_bfe_u32 v9, v3, 2, 5
	v_and_b32_e32 v1, 0x80000000, v1
	s_delay_alu instid0(VALU_DEP_3) | instskip(NEXT) | instid1(VALU_DEP_3)
	v_clz_i32_u32_e32 v7, v6
	v_cmp_eq_u32_e32 vcc_lo, 0, v9
	s_delay_alu instid0(VALU_DEP_2) | instskip(NEXT) | instid1(VALU_DEP_1)
	v_min_u32_e32 v7, 32, v7
	v_subrev_nc_u32_e32 v8, 29, v7
	v_sub_nc_u32_e32 v7, 30, v7
	s_delay_alu instid0(VALU_DEP_2) | instskip(NEXT) | instid1(VALU_DEP_2)
	v_lshlrev_b32_e32 v3, v8, v3
	v_cndmask_b32_e32 v7, v9, v7, vcc_lo
	s_delay_alu instid0(VALU_DEP_2) | instskip(NEXT) | instid1(VALU_DEP_1)
	v_and_b32_e32 v3, 3, v3
	v_cndmask_b32_e32 v3, v6, v3, vcc_lo
	s_delay_alu instid0(VALU_DEP_3) | instskip(NEXT) | instid1(VALU_DEP_2)
	v_lshl_add_u32 v6, v7, 23, 0x37800000
	v_lshlrev_b32_e32 v3, 21, v3
	s_delay_alu instid0(VALU_DEP_1) | instskip(NEXT) | instid1(VALU_DEP_1)
	v_or3_b32 v1, v1, v6, v3
	v_trunc_f32_e32 v1, v1
	s_delay_alu instid0(VALU_DEP_1) | instskip(SKIP_1) | instid1(VALU_DEP_2)
	v_mul_f32_e64 v3, 0x2f800000, |v1|
	v_ashrrev_i32_e32 v6, 31, v1
	v_floor_f32_e32 v3, v3
	s_delay_alu instid0(VALU_DEP_1) | instskip(SKIP_1) | instid1(VALU_DEP_2)
	v_fma_f32 v7, 0xcf800000, v3, |v1|
	v_cvt_u32_f32_e32 v1, v3
	v_cvt_u32_f32_e32 v3, v7
	s_delay_alu instid0(VALU_DEP_2) | instskip(NEXT) | instid1(VALU_DEP_2)
	v_dual_mov_b32 v7, v6 :: v_dual_bitop2_b32 v9, v1, v6 bitop3:0x14
	v_xor_b32_e32 v8, v3, v6
	s_delay_alu instid0(VALU_DEP_1)
	v_sub_nc_u64_e32 v[6:7], v[8:9], v[6:7]
.LBB199_483:
	s_or_b32 exec_lo, exec_lo, s27
	s_mov_b32 s27, 0
	s_branch .LBB199_489
.LBB199_484:
	s_mov_b32 s28, -1
                                        ; implicit-def: $vgpr6_vgpr7
	s_branch .LBB199_495
.LBB199_485:
	s_and_not1_saveexec_b32 s27, s27
	s_cbranch_execz .LBB199_470
.LBB199_486:
	v_cmp_ne_u16_e32 vcc_lo, 0, v1
	s_and_not1_b32 s28, s28, exec_lo
	s_and_b32 s29, vcc_lo, exec_lo
	s_delay_alu instid0(SALU_CYCLE_1)
	s_or_b32 s28, s28, s29
	s_or_b32 exec_lo, exec_lo, s27
	v_mov_b64_e32 v[6:7], 0
	s_and_saveexec_b32 s27, s28
	s_cbranch_execnz .LBB199_471
	s_branch .LBB199_472
.LBB199_487:
	s_mov_b32 s27, -1
                                        ; implicit-def: $vgpr6_vgpr7
	s_branch .LBB199_492
.LBB199_488:
	s_mov_b32 s27, -1
                                        ; implicit-def: $vgpr6_vgpr7
.LBB199_489:
	s_delay_alu instid0(SALU_CYCLE_1)
	s_and_b32 vcc_lo, exec_lo, s27
	s_cbranch_vccz .LBB199_491
; %bb.490:
	global_load_u8 v1, v[4:5], off
	s_wait_loadcnt 0x0
	v_lshlrev_b32_e32 v1, 24, v1
	s_delay_alu instid0(VALU_DEP_1) | instskip(NEXT) | instid1(VALU_DEP_1)
	v_and_b32_e32 v3, 0x7f000000, v1
	v_clz_i32_u32_e32 v6, v3
	v_cmp_ne_u32_e32 vcc_lo, 0, v3
	v_add_nc_u32_e32 v8, 0x1000000, v3
	s_delay_alu instid0(VALU_DEP_3) | instskip(NEXT) | instid1(VALU_DEP_1)
	v_min_u32_e32 v6, 32, v6
	v_sub_nc_u32_e64 v6, v6, 4 clamp
	s_delay_alu instid0(VALU_DEP_1) | instskip(NEXT) | instid1(VALU_DEP_1)
	v_dual_lshlrev_b32 v7, v6, v3 :: v_dual_lshlrev_b32 v6, 23, v6
	v_lshrrev_b32_e32 v7, 4, v7
	s_delay_alu instid0(VALU_DEP_1) | instskip(NEXT) | instid1(VALU_DEP_1)
	v_dual_sub_nc_u32 v6, v7, v6 :: v_dual_ashrrev_i32 v7, 8, v8
	v_add_nc_u32_e32 v6, 0x3c000000, v6
	s_delay_alu instid0(VALU_DEP_1) | instskip(NEXT) | instid1(VALU_DEP_1)
	v_and_or_b32 v6, 0x7f800000, v7, v6
	v_cndmask_b32_e32 v3, 0, v6, vcc_lo
	s_delay_alu instid0(VALU_DEP_1) | instskip(NEXT) | instid1(VALU_DEP_1)
	v_and_or_b32 v1, 0x80000000, v1, v3
	v_trunc_f32_e32 v1, v1
	s_delay_alu instid0(VALU_DEP_1) | instskip(SKIP_1) | instid1(VALU_DEP_2)
	v_mul_f32_e64 v3, 0x2f800000, |v1|
	v_ashrrev_i32_e32 v6, 31, v1
	v_floor_f32_e32 v3, v3
	s_delay_alu instid0(VALU_DEP_1) | instskip(SKIP_1) | instid1(VALU_DEP_2)
	v_fma_f32 v7, 0xcf800000, v3, |v1|
	v_cvt_u32_f32_e32 v1, v3
	v_cvt_u32_f32_e32 v3, v7
	s_delay_alu instid0(VALU_DEP_2) | instskip(NEXT) | instid1(VALU_DEP_2)
	v_dual_mov_b32 v7, v6 :: v_dual_bitop2_b32 v9, v1, v6 bitop3:0x14
	v_xor_b32_e32 v8, v3, v6
	s_delay_alu instid0(VALU_DEP_1)
	v_sub_nc_u64_e32 v[6:7], v[8:9], v[6:7]
.LBB199_491:
	s_mov_b32 s27, 0
.LBB199_492:
	s_delay_alu instid0(SALU_CYCLE_1)
	s_and_not1_b32 vcc_lo, exec_lo, s27
	s_cbranch_vccnz .LBB199_494
; %bb.493:
	global_load_u8 v1, v[4:5], off
	s_wait_loadcnt 0x0
	v_lshlrev_b32_e32 v3, 25, v1
	v_lshlrev_b16 v1, 8, v1
	s_delay_alu instid0(VALU_DEP_1) | instskip(SKIP_1) | instid1(VALU_DEP_2)
	v_and_or_b32 v7, 0x7f00, v1, 0.5
	v_bfe_i32 v1, v1, 0, 16
	v_add_f32_e32 v7, -0.5, v7
	v_lshrrev_b32_e32 v6, 4, v3
	v_cmp_gt_u32_e32 vcc_lo, 0x8000000, v3
	s_delay_alu instid0(VALU_DEP_2) | instskip(NEXT) | instid1(VALU_DEP_1)
	v_or_b32_e32 v6, 0x70000000, v6
	v_mul_f32_e32 v6, 0x7800000, v6
	s_delay_alu instid0(VALU_DEP_1) | instskip(NEXT) | instid1(VALU_DEP_1)
	v_cndmask_b32_e32 v3, v6, v7, vcc_lo
	v_and_or_b32 v1, 0x80000000, v1, v3
	s_delay_alu instid0(VALU_DEP_1) | instskip(NEXT) | instid1(VALU_DEP_1)
	v_trunc_f32_e32 v1, v1
	v_mul_f32_e64 v3, 0x2f800000, |v1|
	v_ashrrev_i32_e32 v6, 31, v1
	s_delay_alu instid0(VALU_DEP_2) | instskip(NEXT) | instid1(VALU_DEP_1)
	v_floor_f32_e32 v3, v3
	v_fma_f32 v7, 0xcf800000, v3, |v1|
	v_cvt_u32_f32_e32 v1, v3
	s_delay_alu instid0(VALU_DEP_2) | instskip(NEXT) | instid1(VALU_DEP_2)
	v_cvt_u32_f32_e32 v3, v7
	v_dual_mov_b32 v7, v6 :: v_dual_bitop2_b32 v9, v1, v6 bitop3:0x14
	s_delay_alu instid0(VALU_DEP_2) | instskip(NEXT) | instid1(VALU_DEP_1)
	v_xor_b32_e32 v8, v3, v6
	v_sub_nc_u64_e32 v[6:7], v[8:9], v[6:7]
.LBB199_494:
	s_mov_b32 s28, 0
	s_mov_b32 s27, -1
.LBB199_495:
	s_and_not1_b32 vcc_lo, exec_lo, s28
	s_cbranch_vccnz .LBB199_508
; %bb.496:
	s_cmp_gt_i32 s0, 14
	s_cbranch_scc0 .LBB199_499
; %bb.497:
	s_cmp_eq_u32 s0, 15
	s_cbranch_scc0 .LBB199_502
; %bb.498:
	global_load_u16 v1, v[4:5], off
	s_mov_b32 s27, -1
	s_mov_b32 s26, 0
	s_wait_loadcnt 0x0
	v_lshlrev_b32_e32 v1, 16, v1
	s_delay_alu instid0(VALU_DEP_1) | instskip(NEXT) | instid1(VALU_DEP_1)
	v_trunc_f32_e32 v1, v1
	v_mul_f32_e64 v3, 0x2f800000, |v1|
	v_ashrrev_i32_e32 v6, 31, v1
	s_delay_alu instid0(VALU_DEP_2) | instskip(NEXT) | instid1(VALU_DEP_1)
	v_floor_f32_e32 v3, v3
	v_fma_f32 v7, 0xcf800000, v3, |v1|
	v_cvt_u32_f32_e32 v1, v3
	s_delay_alu instid0(VALU_DEP_2) | instskip(NEXT) | instid1(VALU_DEP_2)
	v_cvt_u32_f32_e32 v3, v7
	v_dual_mov_b32 v7, v6 :: v_dual_bitop2_b32 v9, v1, v6 bitop3:0x14
	s_delay_alu instid0(VALU_DEP_2) | instskip(NEXT) | instid1(VALU_DEP_1)
	v_xor_b32_e32 v8, v3, v6
	v_sub_nc_u64_e32 v[6:7], v[8:9], v[6:7]
	s_branch .LBB199_503
.LBB199_499:
	s_mov_b32 s28, -1
                                        ; implicit-def: $vgpr6_vgpr7
	s_branch .LBB199_504
.LBB199_500:
	s_and_not1_saveexec_b32 s27, s27
	s_cbranch_execz .LBB199_481
.LBB199_501:
	v_cmp_ne_u16_e32 vcc_lo, 0, v1
	s_and_not1_b32 s28, s28, exec_lo
	s_and_b32 s29, vcc_lo, exec_lo
	s_delay_alu instid0(SALU_CYCLE_1)
	s_or_b32 s28, s28, s29
	s_or_b32 exec_lo, exec_lo, s27
	v_mov_b64_e32 v[6:7], 0
	s_and_saveexec_b32 s27, s28
	s_cbranch_execnz .LBB199_482
	s_branch .LBB199_483
.LBB199_502:
	s_mov_b32 s26, -1
                                        ; implicit-def: $vgpr6_vgpr7
.LBB199_503:
	s_mov_b32 s28, 0
.LBB199_504:
	s_delay_alu instid0(SALU_CYCLE_1)
	s_and_b32 vcc_lo, exec_lo, s28
	s_cbranch_vccz .LBB199_508
; %bb.505:
	s_cmp_eq_u32 s0, 11
	s_cbranch_scc0 .LBB199_507
; %bb.506:
	global_load_u8 v1, v[4:5], off
	s_mov_b32 s26, 0
	s_mov_b32 s27, -1
	s_wait_loadcnt 0x1
	v_mov_b32_e32 v7, s26
	s_wait_loadcnt 0x0
	v_cmp_ne_u16_e32 vcc_lo, 0, v1
	v_cndmask_b32_e64 v6, 0, 1, vcc_lo
	s_branch .LBB199_508
.LBB199_507:
	s_mov_b32 s26, -1
                                        ; implicit-def: $vgpr6_vgpr7
.LBB199_508:
	s_branch .LBB199_303
.LBB199_509:
	s_cmp_lt_i32 s0, 5
	s_cbranch_scc1 .LBB199_514
; %bb.510:
	s_cmp_lt_i32 s0, 8
	s_cbranch_scc1 .LBB199_515
; %bb.511:
	;; [unrolled: 3-line block ×3, first 2 shown]
	s_cmp_gt_i32 s0, 9
	s_cbranch_scc0 .LBB199_517
; %bb.513:
	s_wait_loadcnt 0x0
	global_load_b64 v[6:7], v[4:5], off
	s_mov_b32 s27, 0
	s_wait_loadcnt 0x0
	v_trunc_f64_e32 v[6:7], v[6:7]
	s_delay_alu instid0(VALU_DEP_1) | instskip(NEXT) | instid1(VALU_DEP_1)
	v_ldexp_f64 v[8:9], v[6:7], 0xffffffe0
	v_floor_f64_e32 v[8:9], v[8:9]
	s_delay_alu instid0(VALU_DEP_1) | instskip(SKIP_1) | instid1(VALU_DEP_2)
	v_fmamk_f64 v[10:11], v[8:9], 0xc1f00000, v[6:7]
	v_cvt_i32_f64_e32 v7, v[8:9]
	v_cvt_u32_f64_e32 v6, v[10:11]
	s_branch .LBB199_518
.LBB199_514:
	s_mov_b32 s27, -1
                                        ; implicit-def: $vgpr6_vgpr7
	s_branch .LBB199_536
.LBB199_515:
	s_mov_b32 s27, -1
                                        ; implicit-def: $vgpr6_vgpr7
	s_branch .LBB199_524
.LBB199_516:
	s_mov_b32 s27, -1
                                        ; implicit-def: $vgpr6_vgpr7
	s_branch .LBB199_521
.LBB199_517:
	s_mov_b32 s27, -1
                                        ; implicit-def: $vgpr6_vgpr7
.LBB199_518:
	s_delay_alu instid0(SALU_CYCLE_1)
	s_and_not1_b32 vcc_lo, exec_lo, s27
	s_cbranch_vccnz .LBB199_520
; %bb.519:
	global_load_b32 v1, v[4:5], off
	s_wait_loadcnt 0x0
	v_trunc_f32_e32 v1, v1
	s_delay_alu instid0(VALU_DEP_1) | instskip(SKIP_1) | instid1(VALU_DEP_2)
	v_mul_f32_e64 v3, 0x2f800000, |v1|
	v_ashrrev_i32_e32 v6, 31, v1
	v_floor_f32_e32 v3, v3
	s_delay_alu instid0(VALU_DEP_1) | instskip(SKIP_1) | instid1(VALU_DEP_2)
	v_fma_f32 v7, 0xcf800000, v3, |v1|
	v_cvt_u32_f32_e32 v1, v3
	v_cvt_u32_f32_e32 v3, v7
	s_delay_alu instid0(VALU_DEP_2) | instskip(NEXT) | instid1(VALU_DEP_2)
	v_dual_mov_b32 v7, v6 :: v_dual_bitop2_b32 v9, v1, v6 bitop3:0x14
	v_xor_b32_e32 v8, v3, v6
	s_delay_alu instid0(VALU_DEP_1)
	v_sub_nc_u64_e32 v[6:7], v[8:9], v[6:7]
.LBB199_520:
	s_mov_b32 s27, 0
.LBB199_521:
	s_delay_alu instid0(SALU_CYCLE_1)
	s_and_not1_b32 vcc_lo, exec_lo, s27
	s_cbranch_vccnz .LBB199_523
; %bb.522:
	global_load_b32 v1, v[4:5], off
	s_wait_loadcnt 0x0
	v_cvt_f32_f16_e32 v1, v1
	s_delay_alu instid0(VALU_DEP_1) | instskip(NEXT) | instid1(VALU_DEP_1)
	v_cvt_i32_f32_e32 v6, v1
	v_ashrrev_i32_e32 v7, 31, v6
.LBB199_523:
	s_mov_b32 s27, 0
.LBB199_524:
	s_delay_alu instid0(SALU_CYCLE_1)
	s_and_not1_b32 vcc_lo, exec_lo, s27
	s_cbranch_vccnz .LBB199_535
; %bb.525:
	s_cmp_lt_i32 s0, 6
	s_cbranch_scc1 .LBB199_528
; %bb.526:
	s_cmp_gt_i32 s0, 6
	s_cbranch_scc0 .LBB199_529
; %bb.527:
	s_wait_loadcnt 0x0
	global_load_b64 v[6:7], v[4:5], off
	s_mov_b32 s27, 0
	s_wait_loadcnt 0x0
	v_trunc_f64_e32 v[6:7], v[6:7]
	s_delay_alu instid0(VALU_DEP_1) | instskip(NEXT) | instid1(VALU_DEP_1)
	v_ldexp_f64 v[8:9], v[6:7], 0xffffffe0
	v_floor_f64_e32 v[8:9], v[8:9]
	s_delay_alu instid0(VALU_DEP_1) | instskip(SKIP_1) | instid1(VALU_DEP_2)
	v_fmamk_f64 v[10:11], v[8:9], 0xc1f00000, v[6:7]
	v_cvt_i32_f64_e32 v7, v[8:9]
	v_cvt_u32_f64_e32 v6, v[10:11]
	s_branch .LBB199_530
.LBB199_528:
	s_mov_b32 s27, -1
                                        ; implicit-def: $vgpr6_vgpr7
	s_branch .LBB199_533
.LBB199_529:
	s_mov_b32 s27, -1
                                        ; implicit-def: $vgpr6_vgpr7
.LBB199_530:
	s_delay_alu instid0(SALU_CYCLE_1)
	s_and_not1_b32 vcc_lo, exec_lo, s27
	s_cbranch_vccnz .LBB199_532
; %bb.531:
	global_load_b32 v1, v[4:5], off
	s_wait_loadcnt 0x0
	v_trunc_f32_e32 v1, v1
	s_delay_alu instid0(VALU_DEP_1) | instskip(SKIP_1) | instid1(VALU_DEP_2)
	v_mul_f32_e64 v3, 0x2f800000, |v1|
	v_ashrrev_i32_e32 v6, 31, v1
	v_floor_f32_e32 v3, v3
	s_delay_alu instid0(VALU_DEP_1) | instskip(SKIP_1) | instid1(VALU_DEP_2)
	v_fma_f32 v7, 0xcf800000, v3, |v1|
	v_cvt_u32_f32_e32 v1, v3
	v_cvt_u32_f32_e32 v3, v7
	s_delay_alu instid0(VALU_DEP_2) | instskip(NEXT) | instid1(VALU_DEP_2)
	v_dual_mov_b32 v7, v6 :: v_dual_bitop2_b32 v9, v1, v6 bitop3:0x14
	v_xor_b32_e32 v8, v3, v6
	s_delay_alu instid0(VALU_DEP_1)
	v_sub_nc_u64_e32 v[6:7], v[8:9], v[6:7]
.LBB199_532:
	s_mov_b32 s27, 0
.LBB199_533:
	s_delay_alu instid0(SALU_CYCLE_1)
	s_and_not1_b32 vcc_lo, exec_lo, s27
	s_cbranch_vccnz .LBB199_535
; %bb.534:
	global_load_u16 v1, v[4:5], off
	s_wait_loadcnt 0x0
	v_cvt_f32_f16_e32 v1, v1
	s_delay_alu instid0(VALU_DEP_1) | instskip(NEXT) | instid1(VALU_DEP_1)
	v_cvt_i32_f32_e32 v6, v1
	v_ashrrev_i32_e32 v7, 31, v6
.LBB199_535:
	s_mov_b32 s27, 0
.LBB199_536:
	s_delay_alu instid0(SALU_CYCLE_1)
	s_and_not1_b32 vcc_lo, exec_lo, s27
	s_cbranch_vccnz .LBB199_556
; %bb.537:
	s_cmp_lt_i32 s0, 2
	s_cbranch_scc1 .LBB199_541
; %bb.538:
	s_cmp_lt_i32 s0, 3
	s_cbranch_scc1 .LBB199_542
; %bb.539:
	s_cmp_gt_i32 s0, 3
	s_cbranch_scc0 .LBB199_543
; %bb.540:
	s_wait_loadcnt 0x0
	global_load_b64 v[6:7], v[4:5], off
	s_mov_b32 s27, 0
	s_branch .LBB199_544
.LBB199_541:
	s_mov_b32 s27, -1
                                        ; implicit-def: $vgpr6_vgpr7
	s_branch .LBB199_550
.LBB199_542:
	s_mov_b32 s27, -1
                                        ; implicit-def: $vgpr6_vgpr7
	s_branch .LBB199_547
.LBB199_543:
	s_mov_b32 s27, -1
                                        ; implicit-def: $vgpr6_vgpr7
.LBB199_544:
	s_delay_alu instid0(SALU_CYCLE_1)
	s_and_not1_b32 vcc_lo, exec_lo, s27
	s_cbranch_vccnz .LBB199_546
; %bb.545:
	s_wait_loadcnt 0x0
	global_load_b32 v6, v[4:5], off
	s_wait_loadcnt 0x0
	v_ashrrev_i32_e32 v7, 31, v6
.LBB199_546:
	s_mov_b32 s27, 0
.LBB199_547:
	s_delay_alu instid0(SALU_CYCLE_1)
	s_and_not1_b32 vcc_lo, exec_lo, s27
	s_cbranch_vccnz .LBB199_549
; %bb.548:
	global_load_u16 v1, v[4:5], off
	s_wait_loadcnt 0x0
	v_bfe_i32 v6, v1, 0, 16
	s_delay_alu instid0(VALU_DEP_1)
	v_ashrrev_i32_e32 v7, 31, v6
.LBB199_549:
	s_mov_b32 s27, 0
.LBB199_550:
	s_delay_alu instid0(SALU_CYCLE_1)
	s_and_not1_b32 vcc_lo, exec_lo, s27
	s_cbranch_vccnz .LBB199_556
; %bb.551:
	s_cmp_gt_i32 s0, 0
	s_mov_b32 s0, 0
	s_cbranch_scc0 .LBB199_553
; %bb.552:
	global_load_i8 v1, v[4:5], off
	s_wait_loadcnt 0x0
	v_bfe_i32 v6, v1, 0, 16
	s_delay_alu instid0(VALU_DEP_1)
	v_ashrrev_i32_e32 v7, 31, v6
	s_branch .LBB199_554
.LBB199_553:
	s_mov_b32 s0, -1
                                        ; implicit-def: $vgpr6_vgpr7
.LBB199_554:
	s_delay_alu instid0(SALU_CYCLE_1)
	s_and_not1_b32 vcc_lo, exec_lo, s0
	s_cbranch_vccnz .LBB199_556
; %bb.555:
	global_load_u8 v1, v[4:5], off
	s_mov_b32 s0, 0
	s_wait_loadcnt 0x1
	v_mov_b32_e32 v7, s0
	s_wait_loadcnt 0x0
	v_and_b32_e32 v6, 0xffff, v1
.LBB199_556:
	s_branch .LBB199_304
.LBB199_557:
	s_mov_b32 s27, 0
	s_mov_b32 s0, s44
.LBB199_558:
                                        ; implicit-def: $vgpr0
.LBB199_559:
	s_and_not1_b32 s28, s44, exec_lo
	s_and_b32 s0, s0, exec_lo
	s_and_not1_b32 s29, s45, exec_lo
	s_and_b32 s26, s26, exec_lo
	s_or_b32 s48, s28, s0
	s_or_b32 s47, s29, s26
	s_or_not1_b32 s0, s27, exec_lo
.LBB199_560:
	s_wait_xcnt 0x0
	s_or_b32 exec_lo, exec_lo, s49
	s_mov_b32 s27, 0
	s_mov_b32 s26, 0
	;; [unrolled: 1-line block ×3, first 2 shown]
                                        ; implicit-def: $vgpr4_vgpr5
                                        ; implicit-def: $vgpr2
                                        ; implicit-def: $vgpr6_vgpr7
	s_and_saveexec_b32 s49, s0
	s_cbranch_execz .LBB199_945
; %bb.561:
	s_mov_b32 s29, -1
	s_mov_b32 s0, s47
	s_mov_b32 s30, s48
	s_mov_b32 s50, exec_lo
	v_cmpx_gt_i32_e64 s41, v0
	s_cbranch_execz .LBB199_846
; %bb.562:
	s_and_not1_b32 vcc_lo, exec_lo, s36
	s_cbranch_vccnz .LBB199_568
; %bb.563:
	s_and_not1_b32 vcc_lo, exec_lo, s43
	s_cbranch_vccnz .LBB199_569
; %bb.564:
	s_add_co_i32 s0, s42, 1
	s_cmp_eq_u32 s34, 2
	s_cbranch_scc1 .LBB199_570
; %bb.565:
	v_dual_mov_b32 v2, 0 :: v_dual_mov_b32 v4, 0
	v_mov_b32_e32 v1, v0
	s_and_b32 s26, s0, 28
	s_mov_b64 s[28:29], s[2:3]
	s_mov_b64 s[30:31], s[24:25]
.LBB199_566:                            ; =>This Inner Loop Header: Depth=1
	s_clause 0x1
	s_load_b256 s[52:59], s[28:29], 0x4
	s_load_b128 s[68:71], s[28:29], 0x24
	s_load_b256 s[60:67], s[30:31], 0x0
	s_add_co_i32 s27, s27, 4
	s_wait_xcnt 0x0
	s_add_nc_u64 s[28:29], s[28:29], 48
	s_cmp_eq_u32 s26, s27
	s_add_nc_u64 s[30:31], s[30:31], 32
	s_wait_kmcnt 0x0
	v_mul_hi_u32 v3, s53, v1
	s_delay_alu instid0(VALU_DEP_1) | instskip(NEXT) | instid1(VALU_DEP_1)
	v_add_nc_u32_e32 v3, v1, v3
	v_lshrrev_b32_e32 v3, s54, v3
	s_delay_alu instid0(VALU_DEP_1) | instskip(NEXT) | instid1(VALU_DEP_1)
	v_mul_hi_u32 v5, s56, v3
	v_add_nc_u32_e32 v5, v3, v5
	s_delay_alu instid0(VALU_DEP_1) | instskip(SKIP_1) | instid1(VALU_DEP_1)
	v_lshrrev_b32_e32 v5, s57, v5
	s_wait_loadcnt 0x0
	v_mul_hi_u32 v6, s59, v5
	s_delay_alu instid0(VALU_DEP_1) | instskip(SKIP_1) | instid1(VALU_DEP_1)
	v_add_nc_u32_e32 v6, v5, v6
	v_mul_lo_u32 v7, v3, s52
	v_sub_nc_u32_e32 v1, v1, v7
	v_mul_lo_u32 v7, v5, s55
	s_delay_alu instid0(VALU_DEP_4) | instskip(NEXT) | instid1(VALU_DEP_3)
	v_lshrrev_b32_e32 v6, s68, v6
	v_mad_u32 v4, v1, s61, v4
	v_mad_u32 v1, v1, s60, v2
	s_delay_alu instid0(VALU_DEP_4) | instskip(NEXT) | instid1(VALU_DEP_4)
	v_sub_nc_u32_e32 v2, v3, v7
	v_mul_hi_u32 v8, s70, v6
	v_mul_lo_u32 v3, v6, s58
	s_delay_alu instid0(VALU_DEP_3) | instskip(SKIP_1) | instid1(VALU_DEP_3)
	v_mad_u32 v4, v2, s63, v4
	v_mad_u32 v2, v2, s62, v1
	v_dual_add_nc_u32 v7, v6, v8 :: v_dual_sub_nc_u32 v3, v5, v3
	s_delay_alu instid0(VALU_DEP_1) | instskip(NEXT) | instid1(VALU_DEP_2)
	v_lshrrev_b32_e32 v1, s71, v7
	v_mad_u32 v4, v3, s65, v4
	s_delay_alu instid0(VALU_DEP_4) | instskip(NEXT) | instid1(VALU_DEP_3)
	v_mad_u32 v2, v3, s64, v2
	v_mul_lo_u32 v5, v1, s69
	s_delay_alu instid0(VALU_DEP_1) | instskip(NEXT) | instid1(VALU_DEP_1)
	v_sub_nc_u32_e32 v3, v6, v5
	v_mad_u32 v4, v3, s67, v4
	s_delay_alu instid0(VALU_DEP_4)
	v_mad_u32 v2, v3, s66, v2
	s_cbranch_scc0 .LBB199_566
; %bb.567:
	s_delay_alu instid0(VALU_DEP_2)
	v_mov_b32_e32 v3, v4
	s_branch .LBB199_571
.LBB199_568:
	s_mov_b32 s0, -1
                                        ; implicit-def: $vgpr4
                                        ; implicit-def: $vgpr2
	s_branch .LBB199_576
.LBB199_569:
	v_dual_mov_b32 v4, 0 :: v_dual_mov_b32 v2, 0
	s_branch .LBB199_575
.LBB199_570:
	v_mov_b64_e32 v[2:3], 0
	v_mov_b32_e32 v1, v0
                                        ; implicit-def: $vgpr4
.LBB199_571:
	s_and_b32 s0, s0, 3
	s_mov_b32 s27, 0
	s_cmp_eq_u32 s0, 0
	s_cbranch_scc1 .LBB199_575
; %bb.572:
	s_lshl_b32 s28, s26, 3
	s_mov_b32 s29, s27
	s_mul_u64 s[30:31], s[26:27], 12
	s_add_nc_u64 s[28:29], s[2:3], s[28:29]
	s_delay_alu instid0(SALU_CYCLE_1)
	s_add_nc_u64 s[26:27], s[28:29], 0xc4
	s_add_nc_u64 s[28:29], s[2:3], s[30:31]
.LBB199_573:                            ; =>This Inner Loop Header: Depth=1
	s_load_b96 s[52:54], s[28:29], 0x4
	s_load_b64 s[30:31], s[26:27], 0x0
	s_add_co_i32 s0, s0, -1
	s_wait_xcnt 0x0
	s_add_nc_u64 s[28:29], s[28:29], 12
	s_cmp_lg_u32 s0, 0
	s_add_nc_u64 s[26:27], s[26:27], 8
	s_wait_kmcnt 0x0
	v_mul_hi_u32 v4, s53, v1
	s_delay_alu instid0(VALU_DEP_1) | instskip(NEXT) | instid1(VALU_DEP_1)
	v_add_nc_u32_e32 v4, v1, v4
	v_lshrrev_b32_e32 v4, s54, v4
	s_delay_alu instid0(VALU_DEP_1) | instskip(NEXT) | instid1(VALU_DEP_1)
	v_mul_lo_u32 v5, v4, s52
	v_sub_nc_u32_e32 v1, v1, v5
	s_delay_alu instid0(VALU_DEP_1)
	v_mad_u32 v3, v1, s31, v3
	v_mad_u32 v2, v1, s30, v2
	v_mov_b32_e32 v1, v4
	s_cbranch_scc1 .LBB199_573
; %bb.574:
	s_delay_alu instid0(VALU_DEP_3)
	v_mov_b32_e32 v4, v3
.LBB199_575:
	s_mov_b32 s0, 0
.LBB199_576:
	s_delay_alu instid0(SALU_CYCLE_1)
	s_and_not1_b32 vcc_lo, exec_lo, s0
	s_cbranch_vccnz .LBB199_579
; %bb.577:
	v_mov_b32_e32 v1, 0
	s_and_not1_b32 vcc_lo, exec_lo, s40
	s_delay_alu instid0(VALU_DEP_1) | instskip(NEXT) | instid1(VALU_DEP_1)
	v_mul_u64_e32 v[2:3], s[20:21], v[0:1]
	v_add_nc_u32_e32 v2, v0, v3
	s_wait_loadcnt 0x0
	s_delay_alu instid0(VALU_DEP_1) | instskip(NEXT) | instid1(VALU_DEP_1)
	v_lshrrev_b32_e32 v6, s14, v2
	v_mul_lo_u32 v2, v6, s12
	s_delay_alu instid0(VALU_DEP_1) | instskip(NEXT) | instid1(VALU_DEP_1)
	v_sub_nc_u32_e32 v2, v0, v2
	v_mul_lo_u32 v4, v2, s17
	v_mul_lo_u32 v2, v2, s16
	s_cbranch_vccnz .LBB199_579
; %bb.578:
	v_mov_b32_e32 v7, v1
	s_delay_alu instid0(VALU_DEP_1) | instskip(NEXT) | instid1(VALU_DEP_1)
	v_mul_u64_e32 v[8:9], s[22:23], v[6:7]
	v_add_nc_u32_e32 v1, v6, v9
	s_delay_alu instid0(VALU_DEP_1) | instskip(NEXT) | instid1(VALU_DEP_1)
	v_lshrrev_b32_e32 v1, s1, v1
	v_mul_lo_u32 v1, v1, s15
	s_delay_alu instid0(VALU_DEP_1) | instskip(NEXT) | instid1(VALU_DEP_1)
	v_sub_nc_u32_e32 v1, v6, v1
	v_mad_u32 v2, v1, s18, v2
	v_mad_u32 v4, v1, s19, v4
.LBB199_579:
	v_mov_b32_e32 v5, 0
	s_and_b32 s0, 0xffff, s13
	s_delay_alu instid0(SALU_CYCLE_1) | instskip(NEXT) | instid1(VALU_DEP_1)
	s_cmp_lt_i32 s0, 11
	v_add_nc_u64_e32 v[4:5], s[6:7], v[4:5]
	s_cbranch_scc1 .LBB199_586
; %bb.580:
	s_cmp_gt_i32 s0, 25
	s_cbranch_scc0 .LBB199_587
; %bb.581:
	s_cmp_gt_i32 s0, 28
	s_cbranch_scc0 .LBB199_588
	;; [unrolled: 3-line block ×4, first 2 shown]
; %bb.584:
	s_cmp_eq_u32 s0, 46
	s_mov_b32 s28, 0
	s_cbranch_scc0 .LBB199_595
; %bb.585:
	global_load_b32 v1, v[4:5], off
	s_mov_b32 s27, -1
	s_mov_b32 s26, 0
	s_wait_loadcnt 0x0
	v_lshlrev_b32_e32 v1, 16, v1
	s_delay_alu instid0(VALU_DEP_1) | instskip(NEXT) | instid1(VALU_DEP_1)
	v_trunc_f32_e32 v1, v1
	v_mul_f32_e64 v3, 0x2f800000, |v1|
	v_ashrrev_i32_e32 v6, 31, v1
	s_delay_alu instid0(VALU_DEP_2) | instskip(NEXT) | instid1(VALU_DEP_1)
	v_floor_f32_e32 v3, v3
	v_fma_f32 v7, 0xcf800000, v3, |v1|
	v_cvt_u32_f32_e32 v1, v3
	s_delay_alu instid0(VALU_DEP_2) | instskip(NEXT) | instid1(VALU_DEP_2)
	v_cvt_u32_f32_e32 v3, v7
	v_dual_mov_b32 v7, v6 :: v_dual_bitop2_b32 v9, v1, v6 bitop3:0x14
	s_delay_alu instid0(VALU_DEP_2) | instskip(NEXT) | instid1(VALU_DEP_1)
	v_xor_b32_e32 v8, v3, v6
	v_sub_nc_u64_e32 v[6:7], v[8:9], v[6:7]
	s_branch .LBB199_597
.LBB199_586:
	s_mov_b32 s28, -1
	s_mov_b32 s27, 0
	s_mov_b32 s26, s47
                                        ; implicit-def: $vgpr6_vgpr7
	s_branch .LBB199_658
.LBB199_587:
	s_mov_b32 s28, -1
	s_mov_b32 s27, 0
	s_mov_b32 s26, s47
                                        ; implicit-def: $vgpr6_vgpr7
	s_branch .LBB199_624
.LBB199_588:
	s_mov_b32 s28, -1
	s_mov_b32 s27, 0
	s_mov_b32 s26, s47
                                        ; implicit-def: $vgpr6_vgpr7
	s_branch .LBB199_607
.LBB199_589:
	s_mov_b32 s28, -1
	s_mov_b32 s27, 0
	s_mov_b32 s26, s47
                                        ; implicit-def: $vgpr6_vgpr7
	s_branch .LBB199_602
.LBB199_590:
	s_and_not1_saveexec_b32 s31, s31
	s_cbranch_execz .LBB199_361
.LBB199_591:
	v_add_f32_e64 v6, 0x46000000, |v1|
	s_and_not1_b32 s30, s30, exec_lo
	s_delay_alu instid0(VALU_DEP_1) | instskip(NEXT) | instid1(VALU_DEP_1)
	v_and_b32_e32 v6, 0xff, v6
	v_cmp_ne_u32_e32 vcc_lo, 0, v6
	s_and_b32 s47, vcc_lo, exec_lo
	s_delay_alu instid0(SALU_CYCLE_1)
	s_or_b32 s30, s30, s47
	s_or_b32 exec_lo, exec_lo, s31
	v_mov_b32_e32 v7, 0
	s_and_saveexec_b32 s31, s30
	s_cbranch_execnz .LBB199_362
	s_branch .LBB199_363
.LBB199_592:
	s_mov_b32 s28, -1
	s_mov_b32 s27, 0
	s_mov_b32 s26, s47
	s_branch .LBB199_596
.LBB199_593:
	s_and_not1_saveexec_b32 s31, s31
	s_cbranch_execz .LBB199_374
.LBB199_594:
	v_add_f32_e64 v6, 0x42800000, |v1|
	s_and_not1_b32 s30, s30, exec_lo
	s_delay_alu instid0(VALU_DEP_1) | instskip(NEXT) | instid1(VALU_DEP_1)
	v_and_b32_e32 v6, 0xff, v6
	v_cmp_ne_u32_e32 vcc_lo, 0, v6
	s_and_b32 s47, vcc_lo, exec_lo
	s_delay_alu instid0(SALU_CYCLE_1)
	s_or_b32 s30, s30, s47
	s_or_b32 exec_lo, exec_lo, s31
	v_mov_b32_e32 v7, 0
	s_and_saveexec_b32 s31, s30
	s_cbranch_execnz .LBB199_375
	s_branch .LBB199_376
.LBB199_595:
	s_mov_b32 s26, -1
	s_mov_b32 s27, 0
.LBB199_596:
                                        ; implicit-def: $vgpr6_vgpr7
.LBB199_597:
	s_and_b32 vcc_lo, exec_lo, s28
	s_cbranch_vccz .LBB199_601
; %bb.598:
	s_cmp_eq_u32 s0, 44
	s_cbranch_scc0 .LBB199_600
; %bb.599:
	global_load_u8 v1, v[4:5], off
	s_mov_b32 s26, 0
	s_mov_b32 s27, -1
	s_wait_loadcnt 0x0
	v_lshlrev_b32_e32 v3, 23, v1
	v_cmp_ne_u32_e32 vcc_lo, 0, v1
	s_delay_alu instid0(VALU_DEP_2) | instskip(NEXT) | instid1(VALU_DEP_1)
	v_trunc_f32_e32 v3, v3
	v_mul_f32_e64 v6, 0x2f800000, |v3|
	s_delay_alu instid0(VALU_DEP_1) | instskip(SKIP_1) | instid1(VALU_DEP_2)
	v_floor_f32_e32 v7, v6
	v_ashrrev_i32_e32 v6, 31, v3
	v_fma_f32 v8, 0xcf800000, v7, |v3|
	v_cvt_u32_f32_e32 v3, v7
	s_delay_alu instid0(VALU_DEP_3) | instskip(NEXT) | instid1(VALU_DEP_3)
	v_mov_b32_e32 v7, v6
	v_cvt_u32_f32_e32 v8, v8
	s_delay_alu instid0(VALU_DEP_3) | instskip(NEXT) | instid1(VALU_DEP_2)
	v_xor_b32_e32 v9, v3, v6
	v_xor_b32_e32 v8, v8, v6
	s_delay_alu instid0(VALU_DEP_1) | instskip(NEXT) | instid1(VALU_DEP_1)
	v_sub_nc_u64_e32 v[6:7], v[8:9], v[6:7]
	v_dual_cndmask_b32 v7, 0, v7 :: v_dual_cndmask_b32 v6, 0, v6
	s_branch .LBB199_601
.LBB199_600:
	s_mov_b32 s26, -1
                                        ; implicit-def: $vgpr6_vgpr7
.LBB199_601:
	s_mov_b32 s28, 0
.LBB199_602:
	s_delay_alu instid0(SALU_CYCLE_1)
	s_and_b32 vcc_lo, exec_lo, s28
	s_cbranch_vccz .LBB199_606
; %bb.603:
	s_cmp_eq_u32 s0, 29
	s_cbranch_scc0 .LBB199_605
; %bb.604:
	s_wait_loadcnt 0x0
	global_load_b64 v[6:7], v[4:5], off
	s_mov_b32 s27, -1
	s_mov_b32 s26, 0
	s_branch .LBB199_606
.LBB199_605:
	s_mov_b32 s26, -1
                                        ; implicit-def: $vgpr6_vgpr7
.LBB199_606:
	s_mov_b32 s28, 0
.LBB199_607:
	s_delay_alu instid0(SALU_CYCLE_1)
	s_and_b32 vcc_lo, exec_lo, s28
	s_cbranch_vccz .LBB199_623
; %bb.608:
	s_cmp_lt_i32 s0, 27
	s_cbranch_scc1 .LBB199_611
; %bb.609:
	s_cmp_gt_i32 s0, 27
	s_cbranch_scc0 .LBB199_612
; %bb.610:
	s_wait_loadcnt 0x0
	global_load_b32 v6, v[4:5], off
	v_mov_b32_e32 v7, 0
	s_mov_b32 s27, 0
	s_branch .LBB199_613
.LBB199_611:
	s_mov_b32 s27, -1
                                        ; implicit-def: $vgpr6_vgpr7
	s_branch .LBB199_616
.LBB199_612:
	s_mov_b32 s27, -1
                                        ; implicit-def: $vgpr6_vgpr7
.LBB199_613:
	s_delay_alu instid0(SALU_CYCLE_1)
	s_and_not1_b32 vcc_lo, exec_lo, s27
	s_cbranch_vccnz .LBB199_615
; %bb.614:
	global_load_u16 v1, v[4:5], off
	s_mov_b32 s27, 0
	s_wait_loadcnt 0x1
	v_mov_b32_e32 v7, s27
	s_wait_loadcnt 0x0
	v_and_b32_e32 v6, 0xffff, v1
.LBB199_615:
	s_mov_b32 s27, 0
.LBB199_616:
	s_delay_alu instid0(SALU_CYCLE_1)
	s_and_not1_b32 vcc_lo, exec_lo, s27
	s_cbranch_vccnz .LBB199_622
; %bb.617:
	global_load_u8 v1, v[4:5], off
	s_mov_b32 s28, 0
	s_mov_b32 s27, exec_lo
	s_wait_loadcnt 0x0
	v_cmpx_lt_i16_e32 0x7f, v1
	s_xor_b32 s27, exec_lo, s27
	s_cbranch_execz .LBB199_634
; %bb.618:
	v_cmp_ne_u16_e32 vcc_lo, 0x80, v1
	s_and_b32 s28, vcc_lo, exec_lo
	s_and_not1_saveexec_b32 s27, s27
	s_cbranch_execnz .LBB199_635
.LBB199_619:
	s_or_b32 exec_lo, exec_lo, s27
	v_mov_b64_e32 v[6:7], 0
	s_and_saveexec_b32 s27, s28
	s_cbranch_execz .LBB199_621
.LBB199_620:
	v_and_b32_e32 v3, 0xffff, v1
	s_delay_alu instid0(VALU_DEP_1) | instskip(SKIP_1) | instid1(VALU_DEP_2)
	v_dual_lshlrev_b32 v1, 24, v1 :: v_dual_bitop2_b32 v6, 7, v3 bitop3:0x40
	v_bfe_u32 v9, v3, 3, 4
	v_and_b32_e32 v1, 0x80000000, v1
	s_delay_alu instid0(VALU_DEP_3) | instskip(NEXT) | instid1(VALU_DEP_3)
	v_clz_i32_u32_e32 v7, v6
	v_cmp_eq_u32_e32 vcc_lo, 0, v9
	s_delay_alu instid0(VALU_DEP_2) | instskip(NEXT) | instid1(VALU_DEP_1)
	v_min_u32_e32 v7, 32, v7
	v_subrev_nc_u32_e32 v8, 28, v7
	v_sub_nc_u32_e32 v7, 29, v7
	s_delay_alu instid0(VALU_DEP_2) | instskip(NEXT) | instid1(VALU_DEP_2)
	v_lshlrev_b32_e32 v3, v8, v3
	v_cndmask_b32_e32 v7, v9, v7, vcc_lo
	s_delay_alu instid0(VALU_DEP_2) | instskip(NEXT) | instid1(VALU_DEP_1)
	v_and_b32_e32 v3, 7, v3
	v_cndmask_b32_e32 v3, v6, v3, vcc_lo
	s_delay_alu instid0(VALU_DEP_3) | instskip(NEXT) | instid1(VALU_DEP_2)
	v_lshl_add_u32 v6, v7, 23, 0x3b800000
	v_lshlrev_b32_e32 v3, 20, v3
	s_delay_alu instid0(VALU_DEP_1) | instskip(NEXT) | instid1(VALU_DEP_1)
	v_or3_b32 v1, v1, v6, v3
	v_trunc_f32_e32 v1, v1
	s_delay_alu instid0(VALU_DEP_1) | instskip(SKIP_1) | instid1(VALU_DEP_2)
	v_mul_f32_e64 v3, 0x2f800000, |v1|
	v_ashrrev_i32_e32 v6, 31, v1
	v_floor_f32_e32 v3, v3
	s_delay_alu instid0(VALU_DEP_1) | instskip(SKIP_1) | instid1(VALU_DEP_2)
	v_fma_f32 v7, 0xcf800000, v3, |v1|
	v_cvt_u32_f32_e32 v1, v3
	v_cvt_u32_f32_e32 v3, v7
	s_delay_alu instid0(VALU_DEP_2) | instskip(NEXT) | instid1(VALU_DEP_2)
	v_dual_mov_b32 v7, v6 :: v_dual_bitop2_b32 v9, v1, v6 bitop3:0x14
	v_xor_b32_e32 v8, v3, v6
	s_delay_alu instid0(VALU_DEP_1)
	v_sub_nc_u64_e32 v[6:7], v[8:9], v[6:7]
.LBB199_621:
	s_or_b32 exec_lo, exec_lo, s27
.LBB199_622:
	s_mov_b32 s27, -1
.LBB199_623:
	s_mov_b32 s28, 0
.LBB199_624:
	s_delay_alu instid0(SALU_CYCLE_1)
	s_and_b32 vcc_lo, exec_lo, s28
	s_cbranch_vccz .LBB199_657
; %bb.625:
	s_cmp_gt_i32 s0, 22
	s_cbranch_scc0 .LBB199_633
; %bb.626:
	s_cmp_lt_i32 s0, 24
	s_cbranch_scc1 .LBB199_636
; %bb.627:
	s_cmp_gt_i32 s0, 24
	s_cbranch_scc0 .LBB199_637
; %bb.628:
	global_load_u8 v1, v[4:5], off
	s_mov_b32 s28, 0
	s_mov_b32 s27, exec_lo
	s_wait_loadcnt 0x0
	v_cmpx_lt_i16_e32 0x7f, v1
	s_xor_b32 s27, exec_lo, s27
	s_cbranch_execz .LBB199_649
; %bb.629:
	v_cmp_ne_u16_e32 vcc_lo, 0x80, v1
	s_and_b32 s28, vcc_lo, exec_lo
	s_and_not1_saveexec_b32 s27, s27
	s_cbranch_execnz .LBB199_650
.LBB199_630:
	s_or_b32 exec_lo, exec_lo, s27
	v_mov_b64_e32 v[6:7], 0
	s_and_saveexec_b32 s27, s28
	s_cbranch_execz .LBB199_632
.LBB199_631:
	v_and_b32_e32 v3, 0xffff, v1
	s_delay_alu instid0(VALU_DEP_1) | instskip(SKIP_1) | instid1(VALU_DEP_2)
	v_dual_lshlrev_b32 v1, 24, v1 :: v_dual_bitop2_b32 v6, 3, v3 bitop3:0x40
	v_bfe_u32 v9, v3, 2, 5
	v_and_b32_e32 v1, 0x80000000, v1
	s_delay_alu instid0(VALU_DEP_3) | instskip(NEXT) | instid1(VALU_DEP_3)
	v_clz_i32_u32_e32 v7, v6
	v_cmp_eq_u32_e32 vcc_lo, 0, v9
	s_delay_alu instid0(VALU_DEP_2) | instskip(NEXT) | instid1(VALU_DEP_1)
	v_min_u32_e32 v7, 32, v7
	v_subrev_nc_u32_e32 v8, 29, v7
	v_sub_nc_u32_e32 v7, 30, v7
	s_delay_alu instid0(VALU_DEP_2) | instskip(NEXT) | instid1(VALU_DEP_2)
	v_lshlrev_b32_e32 v3, v8, v3
	v_cndmask_b32_e32 v7, v9, v7, vcc_lo
	s_delay_alu instid0(VALU_DEP_2) | instskip(NEXT) | instid1(VALU_DEP_1)
	v_and_b32_e32 v3, 3, v3
	v_cndmask_b32_e32 v3, v6, v3, vcc_lo
	s_delay_alu instid0(VALU_DEP_3) | instskip(NEXT) | instid1(VALU_DEP_2)
	v_lshl_add_u32 v6, v7, 23, 0x37800000
	v_lshlrev_b32_e32 v3, 21, v3
	s_delay_alu instid0(VALU_DEP_1) | instskip(NEXT) | instid1(VALU_DEP_1)
	v_or3_b32 v1, v1, v6, v3
	v_trunc_f32_e32 v1, v1
	s_delay_alu instid0(VALU_DEP_1) | instskip(SKIP_1) | instid1(VALU_DEP_2)
	v_mul_f32_e64 v3, 0x2f800000, |v1|
	v_ashrrev_i32_e32 v6, 31, v1
	v_floor_f32_e32 v3, v3
	s_delay_alu instid0(VALU_DEP_1) | instskip(SKIP_1) | instid1(VALU_DEP_2)
	v_fma_f32 v7, 0xcf800000, v3, |v1|
	v_cvt_u32_f32_e32 v1, v3
	v_cvt_u32_f32_e32 v3, v7
	s_delay_alu instid0(VALU_DEP_2) | instskip(NEXT) | instid1(VALU_DEP_2)
	v_dual_mov_b32 v7, v6 :: v_dual_bitop2_b32 v9, v1, v6 bitop3:0x14
	v_xor_b32_e32 v8, v3, v6
	s_delay_alu instid0(VALU_DEP_1)
	v_sub_nc_u64_e32 v[6:7], v[8:9], v[6:7]
.LBB199_632:
	s_or_b32 exec_lo, exec_lo, s27
	s_mov_b32 s27, 0
	s_branch .LBB199_638
.LBB199_633:
	s_mov_b32 s28, -1
                                        ; implicit-def: $vgpr6_vgpr7
	s_branch .LBB199_644
.LBB199_634:
	s_and_not1_saveexec_b32 s27, s27
	s_cbranch_execz .LBB199_619
.LBB199_635:
	v_cmp_ne_u16_e32 vcc_lo, 0, v1
	s_and_not1_b32 s28, s28, exec_lo
	s_and_b32 s29, vcc_lo, exec_lo
	s_delay_alu instid0(SALU_CYCLE_1)
	s_or_b32 s28, s28, s29
	s_or_b32 exec_lo, exec_lo, s27
	v_mov_b64_e32 v[6:7], 0
	s_and_saveexec_b32 s27, s28
	s_cbranch_execnz .LBB199_620
	s_branch .LBB199_621
.LBB199_636:
	s_mov_b32 s27, -1
                                        ; implicit-def: $vgpr6_vgpr7
	s_branch .LBB199_641
.LBB199_637:
	s_mov_b32 s27, -1
                                        ; implicit-def: $vgpr6_vgpr7
.LBB199_638:
	s_delay_alu instid0(SALU_CYCLE_1)
	s_and_b32 vcc_lo, exec_lo, s27
	s_cbranch_vccz .LBB199_640
; %bb.639:
	global_load_u8 v1, v[4:5], off
	s_wait_loadcnt 0x0
	v_lshlrev_b32_e32 v1, 24, v1
	s_delay_alu instid0(VALU_DEP_1) | instskip(NEXT) | instid1(VALU_DEP_1)
	v_and_b32_e32 v3, 0x7f000000, v1
	v_clz_i32_u32_e32 v6, v3
	v_cmp_ne_u32_e32 vcc_lo, 0, v3
	v_add_nc_u32_e32 v8, 0x1000000, v3
	s_delay_alu instid0(VALU_DEP_3) | instskip(NEXT) | instid1(VALU_DEP_1)
	v_min_u32_e32 v6, 32, v6
	v_sub_nc_u32_e64 v6, v6, 4 clamp
	s_delay_alu instid0(VALU_DEP_1) | instskip(NEXT) | instid1(VALU_DEP_1)
	v_dual_lshlrev_b32 v7, v6, v3 :: v_dual_lshlrev_b32 v6, 23, v6
	v_lshrrev_b32_e32 v7, 4, v7
	s_delay_alu instid0(VALU_DEP_1) | instskip(NEXT) | instid1(VALU_DEP_1)
	v_dual_sub_nc_u32 v6, v7, v6 :: v_dual_ashrrev_i32 v7, 8, v8
	v_add_nc_u32_e32 v6, 0x3c000000, v6
	s_delay_alu instid0(VALU_DEP_1) | instskip(NEXT) | instid1(VALU_DEP_1)
	v_and_or_b32 v6, 0x7f800000, v7, v6
	v_cndmask_b32_e32 v3, 0, v6, vcc_lo
	s_delay_alu instid0(VALU_DEP_1) | instskip(NEXT) | instid1(VALU_DEP_1)
	v_and_or_b32 v1, 0x80000000, v1, v3
	v_trunc_f32_e32 v1, v1
	s_delay_alu instid0(VALU_DEP_1) | instskip(SKIP_1) | instid1(VALU_DEP_2)
	v_mul_f32_e64 v3, 0x2f800000, |v1|
	v_ashrrev_i32_e32 v6, 31, v1
	v_floor_f32_e32 v3, v3
	s_delay_alu instid0(VALU_DEP_1) | instskip(SKIP_1) | instid1(VALU_DEP_2)
	v_fma_f32 v7, 0xcf800000, v3, |v1|
	v_cvt_u32_f32_e32 v1, v3
	v_cvt_u32_f32_e32 v3, v7
	s_delay_alu instid0(VALU_DEP_2) | instskip(NEXT) | instid1(VALU_DEP_2)
	v_dual_mov_b32 v7, v6 :: v_dual_bitop2_b32 v9, v1, v6 bitop3:0x14
	v_xor_b32_e32 v8, v3, v6
	s_delay_alu instid0(VALU_DEP_1)
	v_sub_nc_u64_e32 v[6:7], v[8:9], v[6:7]
.LBB199_640:
	s_mov_b32 s27, 0
.LBB199_641:
	s_delay_alu instid0(SALU_CYCLE_1)
	s_and_not1_b32 vcc_lo, exec_lo, s27
	s_cbranch_vccnz .LBB199_643
; %bb.642:
	global_load_u8 v1, v[4:5], off
	s_wait_loadcnt 0x0
	v_lshlrev_b32_e32 v3, 25, v1
	v_lshlrev_b16 v1, 8, v1
	s_delay_alu instid0(VALU_DEP_1) | instskip(SKIP_1) | instid1(VALU_DEP_2)
	v_and_or_b32 v7, 0x7f00, v1, 0.5
	v_bfe_i32 v1, v1, 0, 16
	v_add_f32_e32 v7, -0.5, v7
	v_lshrrev_b32_e32 v6, 4, v3
	v_cmp_gt_u32_e32 vcc_lo, 0x8000000, v3
	s_delay_alu instid0(VALU_DEP_2) | instskip(NEXT) | instid1(VALU_DEP_1)
	v_or_b32_e32 v6, 0x70000000, v6
	v_mul_f32_e32 v6, 0x7800000, v6
	s_delay_alu instid0(VALU_DEP_1) | instskip(NEXT) | instid1(VALU_DEP_1)
	v_cndmask_b32_e32 v3, v6, v7, vcc_lo
	v_and_or_b32 v1, 0x80000000, v1, v3
	s_delay_alu instid0(VALU_DEP_1) | instskip(NEXT) | instid1(VALU_DEP_1)
	v_trunc_f32_e32 v1, v1
	v_mul_f32_e64 v3, 0x2f800000, |v1|
	v_ashrrev_i32_e32 v6, 31, v1
	s_delay_alu instid0(VALU_DEP_2) | instskip(NEXT) | instid1(VALU_DEP_1)
	v_floor_f32_e32 v3, v3
	v_fma_f32 v7, 0xcf800000, v3, |v1|
	v_cvt_u32_f32_e32 v1, v3
	s_delay_alu instid0(VALU_DEP_2) | instskip(NEXT) | instid1(VALU_DEP_2)
	v_cvt_u32_f32_e32 v3, v7
	v_dual_mov_b32 v7, v6 :: v_dual_bitop2_b32 v9, v1, v6 bitop3:0x14
	s_delay_alu instid0(VALU_DEP_2) | instskip(NEXT) | instid1(VALU_DEP_1)
	v_xor_b32_e32 v8, v3, v6
	v_sub_nc_u64_e32 v[6:7], v[8:9], v[6:7]
.LBB199_643:
	s_mov_b32 s28, 0
	s_mov_b32 s27, -1
.LBB199_644:
	s_and_not1_b32 vcc_lo, exec_lo, s28
	s_cbranch_vccnz .LBB199_657
; %bb.645:
	s_cmp_gt_i32 s0, 14
	s_cbranch_scc0 .LBB199_648
; %bb.646:
	s_cmp_eq_u32 s0, 15
	s_cbranch_scc0 .LBB199_651
; %bb.647:
	global_load_u16 v1, v[4:5], off
	s_mov_b32 s27, -1
	s_mov_b32 s26, 0
	s_wait_loadcnt 0x0
	v_lshlrev_b32_e32 v1, 16, v1
	s_delay_alu instid0(VALU_DEP_1) | instskip(NEXT) | instid1(VALU_DEP_1)
	v_trunc_f32_e32 v1, v1
	v_mul_f32_e64 v3, 0x2f800000, |v1|
	v_ashrrev_i32_e32 v6, 31, v1
	s_delay_alu instid0(VALU_DEP_2) | instskip(NEXT) | instid1(VALU_DEP_1)
	v_floor_f32_e32 v3, v3
	v_fma_f32 v7, 0xcf800000, v3, |v1|
	v_cvt_u32_f32_e32 v1, v3
	s_delay_alu instid0(VALU_DEP_2) | instskip(NEXT) | instid1(VALU_DEP_2)
	v_cvt_u32_f32_e32 v3, v7
	v_dual_mov_b32 v7, v6 :: v_dual_bitop2_b32 v9, v1, v6 bitop3:0x14
	s_delay_alu instid0(VALU_DEP_2) | instskip(NEXT) | instid1(VALU_DEP_1)
	v_xor_b32_e32 v8, v3, v6
	v_sub_nc_u64_e32 v[6:7], v[8:9], v[6:7]
	s_branch .LBB199_652
.LBB199_648:
	s_mov_b32 s28, -1
                                        ; implicit-def: $vgpr6_vgpr7
	s_branch .LBB199_653
.LBB199_649:
	s_and_not1_saveexec_b32 s27, s27
	s_cbranch_execz .LBB199_630
.LBB199_650:
	v_cmp_ne_u16_e32 vcc_lo, 0, v1
	s_and_not1_b32 s28, s28, exec_lo
	s_and_b32 s29, vcc_lo, exec_lo
	s_delay_alu instid0(SALU_CYCLE_1)
	s_or_b32 s28, s28, s29
	s_or_b32 exec_lo, exec_lo, s27
	v_mov_b64_e32 v[6:7], 0
	s_and_saveexec_b32 s27, s28
	s_cbranch_execnz .LBB199_631
	s_branch .LBB199_632
.LBB199_651:
	s_mov_b32 s26, -1
                                        ; implicit-def: $vgpr6_vgpr7
.LBB199_652:
	s_mov_b32 s28, 0
.LBB199_653:
	s_delay_alu instid0(SALU_CYCLE_1)
	s_and_b32 vcc_lo, exec_lo, s28
	s_cbranch_vccz .LBB199_657
; %bb.654:
	s_cmp_eq_u32 s0, 11
	s_cbranch_scc0 .LBB199_656
; %bb.655:
	global_load_u8 v1, v[4:5], off
	s_mov_b32 s26, 0
	s_mov_b32 s27, -1
	s_wait_loadcnt 0x1
	v_mov_b32_e32 v7, s26
	s_wait_loadcnt 0x0
	v_cmp_ne_u16_e32 vcc_lo, 0, v1
	v_cndmask_b32_e64 v6, 0, 1, vcc_lo
	s_branch .LBB199_657
.LBB199_656:
	s_mov_b32 s26, -1
                                        ; implicit-def: $vgpr6_vgpr7
.LBB199_657:
	s_mov_b32 s28, 0
.LBB199_658:
	s_delay_alu instid0(SALU_CYCLE_1)
	s_and_b32 vcc_lo, exec_lo, s28
	s_cbranch_vccz .LBB199_707
; %bb.659:
	s_cmp_lt_i32 s0, 5
	s_cbranch_scc1 .LBB199_664
; %bb.660:
	s_cmp_lt_i32 s0, 8
	s_cbranch_scc1 .LBB199_665
	;; [unrolled: 3-line block ×3, first 2 shown]
; %bb.662:
	s_cmp_gt_i32 s0, 9
	s_cbranch_scc0 .LBB199_667
; %bb.663:
	s_wait_loadcnt 0x0
	global_load_b64 v[6:7], v[4:5], off
	s_mov_b32 s27, 0
	s_wait_loadcnt 0x0
	v_trunc_f64_e32 v[6:7], v[6:7]
	s_delay_alu instid0(VALU_DEP_1) | instskip(NEXT) | instid1(VALU_DEP_1)
	v_ldexp_f64 v[8:9], v[6:7], 0xffffffe0
	v_floor_f64_e32 v[8:9], v[8:9]
	s_delay_alu instid0(VALU_DEP_1) | instskip(SKIP_1) | instid1(VALU_DEP_2)
	v_fmamk_f64 v[10:11], v[8:9], 0xc1f00000, v[6:7]
	v_cvt_i32_f64_e32 v7, v[8:9]
	v_cvt_u32_f64_e32 v6, v[10:11]
	s_branch .LBB199_668
.LBB199_664:
	s_mov_b32 s27, -1
                                        ; implicit-def: $vgpr6_vgpr7
	s_branch .LBB199_686
.LBB199_665:
	s_mov_b32 s27, -1
                                        ; implicit-def: $vgpr6_vgpr7
	s_branch .LBB199_674
.LBB199_666:
	s_mov_b32 s27, -1
                                        ; implicit-def: $vgpr6_vgpr7
	s_branch .LBB199_671
.LBB199_667:
	s_mov_b32 s27, -1
                                        ; implicit-def: $vgpr6_vgpr7
.LBB199_668:
	s_delay_alu instid0(SALU_CYCLE_1)
	s_and_not1_b32 vcc_lo, exec_lo, s27
	s_cbranch_vccnz .LBB199_670
; %bb.669:
	global_load_b32 v1, v[4:5], off
	s_wait_loadcnt 0x0
	v_trunc_f32_e32 v1, v1
	s_delay_alu instid0(VALU_DEP_1) | instskip(SKIP_1) | instid1(VALU_DEP_2)
	v_mul_f32_e64 v3, 0x2f800000, |v1|
	v_ashrrev_i32_e32 v6, 31, v1
	v_floor_f32_e32 v3, v3
	s_delay_alu instid0(VALU_DEP_1) | instskip(SKIP_1) | instid1(VALU_DEP_2)
	v_fma_f32 v7, 0xcf800000, v3, |v1|
	v_cvt_u32_f32_e32 v1, v3
	v_cvt_u32_f32_e32 v3, v7
	s_delay_alu instid0(VALU_DEP_2) | instskip(NEXT) | instid1(VALU_DEP_2)
	v_dual_mov_b32 v7, v6 :: v_dual_bitop2_b32 v9, v1, v6 bitop3:0x14
	v_xor_b32_e32 v8, v3, v6
	s_delay_alu instid0(VALU_DEP_1)
	v_sub_nc_u64_e32 v[6:7], v[8:9], v[6:7]
.LBB199_670:
	s_mov_b32 s27, 0
.LBB199_671:
	s_delay_alu instid0(SALU_CYCLE_1)
	s_and_not1_b32 vcc_lo, exec_lo, s27
	s_cbranch_vccnz .LBB199_673
; %bb.672:
	global_load_b32 v1, v[4:5], off
	s_wait_loadcnt 0x0
	v_cvt_f32_f16_e32 v1, v1
	s_delay_alu instid0(VALU_DEP_1) | instskip(NEXT) | instid1(VALU_DEP_1)
	v_cvt_i32_f32_e32 v6, v1
	v_ashrrev_i32_e32 v7, 31, v6
.LBB199_673:
	s_mov_b32 s27, 0
.LBB199_674:
	s_delay_alu instid0(SALU_CYCLE_1)
	s_and_not1_b32 vcc_lo, exec_lo, s27
	s_cbranch_vccnz .LBB199_685
; %bb.675:
	s_cmp_lt_i32 s0, 6
	s_cbranch_scc1 .LBB199_678
; %bb.676:
	s_cmp_gt_i32 s0, 6
	s_cbranch_scc0 .LBB199_679
; %bb.677:
	s_wait_loadcnt 0x0
	global_load_b64 v[6:7], v[4:5], off
	s_mov_b32 s27, 0
	s_wait_loadcnt 0x0
	v_trunc_f64_e32 v[6:7], v[6:7]
	s_delay_alu instid0(VALU_DEP_1) | instskip(NEXT) | instid1(VALU_DEP_1)
	v_ldexp_f64 v[8:9], v[6:7], 0xffffffe0
	v_floor_f64_e32 v[8:9], v[8:9]
	s_delay_alu instid0(VALU_DEP_1) | instskip(SKIP_1) | instid1(VALU_DEP_2)
	v_fmamk_f64 v[10:11], v[8:9], 0xc1f00000, v[6:7]
	v_cvt_i32_f64_e32 v7, v[8:9]
	v_cvt_u32_f64_e32 v6, v[10:11]
	s_branch .LBB199_680
.LBB199_678:
	s_mov_b32 s27, -1
                                        ; implicit-def: $vgpr6_vgpr7
	s_branch .LBB199_683
.LBB199_679:
	s_mov_b32 s27, -1
                                        ; implicit-def: $vgpr6_vgpr7
.LBB199_680:
	s_delay_alu instid0(SALU_CYCLE_1)
	s_and_not1_b32 vcc_lo, exec_lo, s27
	s_cbranch_vccnz .LBB199_682
; %bb.681:
	global_load_b32 v1, v[4:5], off
	s_wait_loadcnt 0x0
	v_trunc_f32_e32 v1, v1
	s_delay_alu instid0(VALU_DEP_1) | instskip(SKIP_1) | instid1(VALU_DEP_2)
	v_mul_f32_e64 v3, 0x2f800000, |v1|
	v_ashrrev_i32_e32 v6, 31, v1
	v_floor_f32_e32 v3, v3
	s_delay_alu instid0(VALU_DEP_1) | instskip(SKIP_1) | instid1(VALU_DEP_2)
	v_fma_f32 v7, 0xcf800000, v3, |v1|
	v_cvt_u32_f32_e32 v1, v3
	v_cvt_u32_f32_e32 v3, v7
	s_delay_alu instid0(VALU_DEP_2) | instskip(NEXT) | instid1(VALU_DEP_2)
	v_dual_mov_b32 v7, v6 :: v_dual_bitop2_b32 v9, v1, v6 bitop3:0x14
	v_xor_b32_e32 v8, v3, v6
	s_delay_alu instid0(VALU_DEP_1)
	v_sub_nc_u64_e32 v[6:7], v[8:9], v[6:7]
.LBB199_682:
	s_mov_b32 s27, 0
.LBB199_683:
	s_delay_alu instid0(SALU_CYCLE_1)
	s_and_not1_b32 vcc_lo, exec_lo, s27
	s_cbranch_vccnz .LBB199_685
; %bb.684:
	global_load_u16 v1, v[4:5], off
	s_wait_loadcnt 0x0
	v_cvt_f32_f16_e32 v1, v1
	s_delay_alu instid0(VALU_DEP_1) | instskip(NEXT) | instid1(VALU_DEP_1)
	v_cvt_i32_f32_e32 v6, v1
	v_ashrrev_i32_e32 v7, 31, v6
.LBB199_685:
	s_mov_b32 s27, 0
.LBB199_686:
	s_delay_alu instid0(SALU_CYCLE_1)
	s_and_not1_b32 vcc_lo, exec_lo, s27
	s_cbranch_vccnz .LBB199_706
; %bb.687:
	s_cmp_lt_i32 s0, 2
	s_cbranch_scc1 .LBB199_691
; %bb.688:
	s_cmp_lt_i32 s0, 3
	s_cbranch_scc1 .LBB199_692
; %bb.689:
	s_cmp_gt_i32 s0, 3
	s_cbranch_scc0 .LBB199_693
; %bb.690:
	s_wait_loadcnt 0x0
	global_load_b64 v[6:7], v[4:5], off
	s_mov_b32 s27, 0
	s_branch .LBB199_694
.LBB199_691:
	s_mov_b32 s27, -1
                                        ; implicit-def: $vgpr6_vgpr7
	s_branch .LBB199_700
.LBB199_692:
	s_mov_b32 s27, -1
                                        ; implicit-def: $vgpr6_vgpr7
	s_branch .LBB199_697
.LBB199_693:
	s_mov_b32 s27, -1
                                        ; implicit-def: $vgpr6_vgpr7
.LBB199_694:
	s_delay_alu instid0(SALU_CYCLE_1)
	s_and_not1_b32 vcc_lo, exec_lo, s27
	s_cbranch_vccnz .LBB199_696
; %bb.695:
	s_wait_loadcnt 0x0
	global_load_b32 v6, v[4:5], off
	s_wait_loadcnt 0x0
	v_ashrrev_i32_e32 v7, 31, v6
.LBB199_696:
	s_mov_b32 s27, 0
.LBB199_697:
	s_delay_alu instid0(SALU_CYCLE_1)
	s_and_not1_b32 vcc_lo, exec_lo, s27
	s_cbranch_vccnz .LBB199_699
; %bb.698:
	global_load_u16 v1, v[4:5], off
	s_wait_loadcnt 0x0
	v_bfe_i32 v6, v1, 0, 16
	s_delay_alu instid0(VALU_DEP_1)
	v_ashrrev_i32_e32 v7, 31, v6
.LBB199_699:
	s_mov_b32 s27, 0
.LBB199_700:
	s_delay_alu instid0(SALU_CYCLE_1)
	s_and_not1_b32 vcc_lo, exec_lo, s27
	s_cbranch_vccnz .LBB199_706
; %bb.701:
	s_cmp_gt_i32 s0, 0
	s_mov_b32 s0, 0
	s_cbranch_scc0 .LBB199_703
; %bb.702:
	global_load_i8 v1, v[4:5], off
	s_wait_loadcnt 0x0
	v_bfe_i32 v6, v1, 0, 16
	s_delay_alu instid0(VALU_DEP_1)
	v_ashrrev_i32_e32 v7, 31, v6
	s_branch .LBB199_704
.LBB199_703:
	s_mov_b32 s0, -1
                                        ; implicit-def: $vgpr6_vgpr7
.LBB199_704:
	s_delay_alu instid0(SALU_CYCLE_1)
	s_and_not1_b32 vcc_lo, exec_lo, s0
	s_cbranch_vccnz .LBB199_706
; %bb.705:
	global_load_u8 v1, v[4:5], off
	s_mov_b32 s0, 0
	s_wait_loadcnt 0x1
	v_mov_b32_e32 v7, s0
	s_wait_loadcnt 0x0
	v_and_b32_e32 v6, 0xffff, v1
.LBB199_706:
	s_mov_b32 s27, -1
.LBB199_707:
	s_delay_alu instid0(SALU_CYCLE_1)
	s_and_not1_b32 vcc_lo, exec_lo, s27
	s_cbranch_vccnz .LBB199_711
; %bb.708:
	s_cmp_lt_i32 s39, 1
	s_mov_b32 s0, 0
	s_cbranch_scc1 .LBB199_712
; %bb.709:
	s_cmp_eq_u32 s39, 1
	s_cbranch_scc0 .LBB199_713
; %bb.710:
	s_wait_loadcnt 0x0
	s_delay_alu instid0(VALU_DEP_1)
	v_min_i64 v[4:5], v[6:7], s[8:9]
	s_mov_b32 s27, 0
	s_branch .LBB199_714
.LBB199_711:
	s_mov_b32 s27, 0
	s_mov_b32 s0, s48
	s_branch .LBB199_844
.LBB199_712:
	s_mov_b32 s28, -1
	s_mov_b32 s27, 0
                                        ; implicit-def: $vgpr4_vgpr5
	s_branch .LBB199_715
.LBB199_713:
	s_mov_b32 s27, -1
                                        ; implicit-def: $vgpr4_vgpr5
.LBB199_714:
	s_mov_b32 s28, 0
.LBB199_715:
	s_delay_alu instid0(SALU_CYCLE_1)
	s_and_b32 vcc_lo, exec_lo, s28
	s_cbranch_vccz .LBB199_726
; %bb.716:
	s_cmp_lg_u32 s39, 0
	s_mov_b32 s0, -1
	s_cselect_b32 s27, -1, 0
	s_delay_alu instid0(SALU_CYCLE_1)
	s_and_not1_b32 vcc_lo, exec_lo, s27
	s_cbranch_vccz .LBB199_727
.LBB199_717:
	s_and_not1_b32 vcc_lo, exec_lo, s0
	s_cbranch_vccnz .LBB199_719
.LBB199_718:
	s_wait_loadcnt 0x0
	s_delay_alu instid0(VALU_DEP_1)
	v_max_i64 v[4:5], v[6:7], s[8:9]
.LBB199_719:
	v_mov_b32_e32 v3, 0
	s_and_b32 s27, s38, 0xff
	s_delay_alu instid0(SALU_CYCLE_1) | instskip(NEXT) | instid1(VALU_DEP_1)
	s_cmp_lt_i32 s27, 11
	v_add_nc_u64_e32 v[2:3], s[4:5], v[2:3]
	s_cbranch_scc1 .LBB199_728
; %bb.720:
	s_and_b32 s28, 0xffff, s27
	s_delay_alu instid0(SALU_CYCLE_1)
	s_cmp_gt_i32 s28, 25
	s_cbranch_scc0 .LBB199_729
; %bb.721:
	s_cmp_gt_i32 s28, 28
	s_cbranch_scc0 .LBB199_730
; %bb.722:
	;; [unrolled: 3-line block ×4, first 2 shown]
	s_mov_b32 s30, 0
	s_mov_b32 s0, -1
	s_cmp_eq_u32 s28, 46
	s_mov_b32 s29, 0
	s_cbranch_scc0 .LBB199_733
; %bb.725:
	s_delay_alu instid0(VALU_DEP_3)
	v_xor_b32_e32 v1, v4, v5
	s_wait_loadcnt 0x0
	v_cls_i32_e32 v6, v5
	s_mov_b32 s29, -1
	s_mov_b32 s0, 0
	v_ashrrev_i32_e32 v1, 31, v1
	s_delay_alu instid0(VALU_DEP_1) | instskip(NEXT) | instid1(VALU_DEP_1)
	v_add_nc_u32_e32 v1, 32, v1
	v_add_min_u32_e64 v1, v6, -1, v1
	s_delay_alu instid0(VALU_DEP_1) | instskip(SKIP_1) | instid1(VALU_DEP_2)
	v_lshlrev_b64_e32 v[6:7], v1, v[4:5]
	v_sub_nc_u32_e32 v1, 32, v1
	v_min_u32_e32 v6, 1, v6
	s_delay_alu instid0(VALU_DEP_1) | instskip(NEXT) | instid1(VALU_DEP_1)
	v_or_b32_e32 v6, v7, v6
	v_cvt_f32_i32_e32 v6, v6
	s_delay_alu instid0(VALU_DEP_1) | instskip(NEXT) | instid1(VALU_DEP_1)
	v_ldexp_f32 v1, v6, v1
	v_bfe_u32 v6, v1, 16, 1
	s_delay_alu instid0(VALU_DEP_1) | instskip(NEXT) | instid1(VALU_DEP_1)
	v_add3_u32 v1, v1, v6, 0x7fff
	v_lshrrev_b32_e32 v1, 16, v1
	global_store_b32 v[2:3], v1, off
	s_branch .LBB199_733
.LBB199_726:
	s_and_not1_b32 vcc_lo, exec_lo, s27
	s_cbranch_vccnz .LBB199_717
.LBB199_727:
	s_wait_loadcnt 0x0
	s_delay_alu instid0(VALU_DEP_1) | instskip(NEXT) | instid1(VALU_DEP_1)
	v_max_i64 v[4:5], v[6:7], s[8:9]
	v_min_i64 v[4:5], v[4:5], s[10:11]
	s_cbranch_execz .LBB199_718
	s_branch .LBB199_719
.LBB199_728:
	s_mov_b32 s28, -1
	s_mov_b32 s29, 0
	s_mov_b32 s0, s48
	s_branch .LBB199_802
.LBB199_729:
	s_mov_b32 s30, -1
	s_mov_b32 s29, 0
	s_mov_b32 s0, s48
	s_branch .LBB199_760
.LBB199_730:
	s_mov_b32 s30, -1
	s_mov_b32 s29, 0
	s_mov_b32 s0, s48
	s_branch .LBB199_743
.LBB199_731:
	s_mov_b32 s30, -1
	s_mov_b32 s29, 0
	s_mov_b32 s0, s48
	s_branch .LBB199_739
.LBB199_732:
	s_mov_b32 s30, -1
	s_mov_b32 s29, 0
	s_mov_b32 s0, s48
.LBB199_733:
	s_and_b32 vcc_lo, exec_lo, s30
	s_cbranch_vccz .LBB199_738
; %bb.734:
	s_cmp_eq_u32 s28, 44
	s_mov_b32 s0, -1
	s_cbranch_scc0 .LBB199_738
; %bb.735:
	s_wait_xcnt 0x0
	s_delay_alu instid0(VALU_DEP_3)
	v_xor_b32_e32 v1, v4, v5
	s_wait_loadcnt 0x0
	v_cls_i32_e32 v6, v5
	s_mov_b32 s29, -1
	s_mov_b32 s30, exec_lo
	v_ashrrev_i32_e32 v1, 31, v1
	s_delay_alu instid0(VALU_DEP_1) | instskip(NEXT) | instid1(VALU_DEP_1)
	v_add_nc_u32_e32 v1, 32, v1
	v_add_min_u32_e64 v1, v6, -1, v1
	s_delay_alu instid0(VALU_DEP_1) | instskip(SKIP_1) | instid1(VALU_DEP_2)
	v_lshlrev_b64_e32 v[6:7], v1, v[4:5]
	v_sub_nc_u32_e32 v1, 32, v1
	v_min_u32_e32 v6, 1, v6
	s_delay_alu instid0(VALU_DEP_1) | instskip(NEXT) | instid1(VALU_DEP_1)
	v_or_b32_e32 v6, v7, v6
	v_cvt_f32_i32_e32 v6, v6
	s_delay_alu instid0(VALU_DEP_1) | instskip(SKIP_1) | instid1(VALU_DEP_2)
	v_ldexp_f32 v1, v6, v1
	v_mov_b32_e32 v6, 0xff
	v_bfe_u32 v7, v1, 23, 8
	s_delay_alu instid0(VALU_DEP_1)
	v_cmpx_ne_u32_e32 0xff, v7
	s_cbranch_execz .LBB199_737
; %bb.736:
	v_and_b32_e32 v6, 0x400000, v1
	v_and_or_b32 v7, 0x3fffff, v1, v7
	v_lshrrev_b32_e32 v1, 23, v1
	s_delay_alu instid0(VALU_DEP_3) | instskip(NEXT) | instid1(VALU_DEP_3)
	v_cmp_ne_u32_e32 vcc_lo, 0, v6
	v_cmp_ne_u32_e64 s0, 0, v7
	s_and_b32 s0, vcc_lo, s0
	s_delay_alu instid0(SALU_CYCLE_1) | instskip(NEXT) | instid1(VALU_DEP_1)
	v_cndmask_b32_e64 v6, 0, 1, s0
	v_add_nc_u32_e32 v6, v1, v6
.LBB199_737:
	s_or_b32 exec_lo, exec_lo, s30
	s_mov_b32 s0, 0
	global_store_b8 v[2:3], v6, off
.LBB199_738:
	s_mov_b32 s30, 0
.LBB199_739:
	s_delay_alu instid0(SALU_CYCLE_1)
	s_and_b32 vcc_lo, exec_lo, s30
	s_cbranch_vccz .LBB199_742
; %bb.740:
	s_cmp_eq_u32 s28, 29
	s_mov_b32 s0, -1
	s_cbranch_scc0 .LBB199_742
; %bb.741:
	s_mov_b32 s29, -1
	s_mov_b32 s0, 0
	global_store_b64 v[2:3], v[4:5], off
.LBB199_742:
	s_mov_b32 s30, 0
.LBB199_743:
	s_delay_alu instid0(SALU_CYCLE_1)
	s_and_b32 vcc_lo, exec_lo, s30
	s_cbranch_vccz .LBB199_759
; %bb.744:
	s_cmp_lt_i32 s28, 27
	s_mov_b32 s29, -1
	s_cbranch_scc1 .LBB199_750
; %bb.745:
	s_cmp_gt_i32 s28, 27
	s_cbranch_scc0 .LBB199_747
; %bb.746:
	s_mov_b32 s29, 0
	global_store_b32 v[2:3], v4, off
.LBB199_747:
	s_and_not1_b32 vcc_lo, exec_lo, s29
	s_cbranch_vccnz .LBB199_749
; %bb.748:
	global_store_b16 v[2:3], v4, off
.LBB199_749:
	s_mov_b32 s29, 0
.LBB199_750:
	s_delay_alu instid0(SALU_CYCLE_1)
	s_and_not1_b32 vcc_lo, exec_lo, s29
	s_cbranch_vccnz .LBB199_758
; %bb.751:
	s_wait_xcnt 0x0
	s_delay_alu instid0(VALU_DEP_3) | instskip(SKIP_3) | instid1(VALU_DEP_2)
	v_xor_b32_e32 v1, v4, v5
	s_wait_loadcnt 0x0
	v_cls_i32_e32 v6, v5
	s_mov_b32 s29, exec_lo
	v_ashrrev_i32_e32 v1, 31, v1
	s_delay_alu instid0(VALU_DEP_1) | instskip(NEXT) | instid1(VALU_DEP_1)
	v_add_nc_u32_e32 v1, 32, v1
	v_add_min_u32_e64 v1, v6, -1, v1
	s_delay_alu instid0(VALU_DEP_1) | instskip(SKIP_1) | instid1(VALU_DEP_2)
	v_lshlrev_b64_e32 v[6:7], v1, v[4:5]
	v_sub_nc_u32_e32 v1, 32, v1
	v_min_u32_e32 v6, 1, v6
	s_delay_alu instid0(VALU_DEP_1) | instskip(SKIP_1) | instid1(VALU_DEP_2)
	v_or_b32_e32 v6, v7, v6
	v_mov_b32_e32 v7, 0x80
	v_cvt_f32_i32_e32 v6, v6
	s_delay_alu instid0(VALU_DEP_1) | instskip(NEXT) | instid1(VALU_DEP_1)
	v_ldexp_f32 v1, v6, v1
	v_and_b32_e32 v6, 0x7fffffff, v1
	s_delay_alu instid0(VALU_DEP_1)
	v_cmpx_gt_u32_e32 0x43800000, v6
	s_cbranch_execz .LBB199_757
; %bb.752:
	v_cmp_lt_u32_e32 vcc_lo, 0x3bffffff, v6
	s_mov_b32 s30, 0
                                        ; implicit-def: $vgpr6
	s_and_saveexec_b32 s31, vcc_lo
	s_delay_alu instid0(SALU_CYCLE_1)
	s_xor_b32 s31, exec_lo, s31
	s_cbranch_execz .LBB199_876
; %bb.753:
	v_bfe_u32 v6, v1, 20, 1
	s_mov_b32 s30, exec_lo
	s_delay_alu instid0(VALU_DEP_1) | instskip(NEXT) | instid1(VALU_DEP_1)
	v_add3_u32 v6, v1, v6, 0x487ffff
	v_lshrrev_b32_e32 v6, 20, v6
	s_and_not1_saveexec_b32 s31, s31
	s_cbranch_execnz .LBB199_877
.LBB199_754:
	s_or_b32 exec_lo, exec_lo, s31
	v_mov_b32_e32 v7, 0
	s_and_saveexec_b32 s31, s30
.LBB199_755:
	v_lshrrev_b32_e32 v1, 24, v1
	s_delay_alu instid0(VALU_DEP_1)
	v_and_or_b32 v7, 0x80, v1, v6
.LBB199_756:
	s_or_b32 exec_lo, exec_lo, s31
.LBB199_757:
	s_delay_alu instid0(SALU_CYCLE_1)
	s_or_b32 exec_lo, exec_lo, s29
	global_store_b8 v[2:3], v7, off
.LBB199_758:
	s_mov_b32 s29, -1
.LBB199_759:
	s_mov_b32 s30, 0
.LBB199_760:
	s_delay_alu instid0(SALU_CYCLE_1)
	s_and_b32 vcc_lo, exec_lo, s30
	s_cbranch_vccz .LBB199_801
; %bb.761:
	s_cmp_gt_i32 s28, 22
	s_mov_b32 s30, -1
	s_cbranch_scc0 .LBB199_793
; %bb.762:
	s_cmp_lt_i32 s28, 24
	s_mov_b32 s29, -1
	s_cbranch_scc1 .LBB199_782
; %bb.763:
	s_cmp_gt_i32 s28, 24
	s_cbranch_scc0 .LBB199_771
; %bb.764:
	s_wait_xcnt 0x0
	s_delay_alu instid0(VALU_DEP_3) | instskip(SKIP_3) | instid1(VALU_DEP_2)
	v_xor_b32_e32 v1, v4, v5
	s_wait_loadcnt 0x0
	v_cls_i32_e32 v6, v5
	s_mov_b32 s29, exec_lo
	v_ashrrev_i32_e32 v1, 31, v1
	s_delay_alu instid0(VALU_DEP_1) | instskip(NEXT) | instid1(VALU_DEP_1)
	v_add_nc_u32_e32 v1, 32, v1
	v_add_min_u32_e64 v1, v6, -1, v1
	s_delay_alu instid0(VALU_DEP_1) | instskip(SKIP_1) | instid1(VALU_DEP_2)
	v_lshlrev_b64_e32 v[6:7], v1, v[4:5]
	v_sub_nc_u32_e32 v1, 32, v1
	v_min_u32_e32 v6, 1, v6
	s_delay_alu instid0(VALU_DEP_1) | instskip(SKIP_1) | instid1(VALU_DEP_2)
	v_or_b32_e32 v6, v7, v6
	v_mov_b32_e32 v7, 0x80
	v_cvt_f32_i32_e32 v6, v6
	s_delay_alu instid0(VALU_DEP_1) | instskip(NEXT) | instid1(VALU_DEP_1)
	v_ldexp_f32 v1, v6, v1
	v_and_b32_e32 v6, 0x7fffffff, v1
	s_delay_alu instid0(VALU_DEP_1)
	v_cmpx_gt_u32_e32 0x47800000, v6
	s_cbranch_execz .LBB199_770
; %bb.765:
	v_cmp_lt_u32_e32 vcc_lo, 0x37ffffff, v6
	s_mov_b32 s30, 0
                                        ; implicit-def: $vgpr6
	s_and_saveexec_b32 s31, vcc_lo
	s_delay_alu instid0(SALU_CYCLE_1)
	s_xor_b32 s31, exec_lo, s31
	s_cbranch_execz .LBB199_879
; %bb.766:
	v_bfe_u32 v6, v1, 21, 1
	s_mov_b32 s30, exec_lo
	s_delay_alu instid0(VALU_DEP_1) | instskip(NEXT) | instid1(VALU_DEP_1)
	v_add3_u32 v6, v1, v6, 0x88fffff
	v_lshrrev_b32_e32 v6, 21, v6
	s_and_not1_saveexec_b32 s31, s31
	s_cbranch_execnz .LBB199_880
.LBB199_767:
	s_or_b32 exec_lo, exec_lo, s31
	v_mov_b32_e32 v7, 0
	s_and_saveexec_b32 s31, s30
.LBB199_768:
	v_lshrrev_b32_e32 v1, 24, v1
	s_delay_alu instid0(VALU_DEP_1)
	v_and_or_b32 v7, 0x80, v1, v6
.LBB199_769:
	s_or_b32 exec_lo, exec_lo, s31
.LBB199_770:
	s_delay_alu instid0(SALU_CYCLE_1)
	s_or_b32 exec_lo, exec_lo, s29
	s_mov_b32 s29, 0
	global_store_b8 v[2:3], v7, off
.LBB199_771:
	s_and_b32 vcc_lo, exec_lo, s29
	s_cbranch_vccz .LBB199_781
; %bb.772:
	s_wait_xcnt 0x0
	s_delay_alu instid0(VALU_DEP_3) | instskip(SKIP_3) | instid1(VALU_DEP_2)
	v_xor_b32_e32 v1, v4, v5
	s_wait_loadcnt 0x0
	v_cls_i32_e32 v6, v5
	s_mov_b32 s29, exec_lo
	v_ashrrev_i32_e32 v1, 31, v1
	s_delay_alu instid0(VALU_DEP_1) | instskip(NEXT) | instid1(VALU_DEP_1)
	v_add_nc_u32_e32 v1, 32, v1
	v_add_min_u32_e64 v1, v6, -1, v1
	s_delay_alu instid0(VALU_DEP_1) | instskip(SKIP_1) | instid1(VALU_DEP_2)
	v_lshlrev_b64_e32 v[6:7], v1, v[4:5]
	v_sub_nc_u32_e32 v1, 32, v1
	v_min_u32_e32 v6, 1, v6
	s_delay_alu instid0(VALU_DEP_1) | instskip(NEXT) | instid1(VALU_DEP_1)
	v_or_b32_e32 v6, v7, v6
	v_cvt_f32_i32_e32 v6, v6
	s_delay_alu instid0(VALU_DEP_1) | instskip(NEXT) | instid1(VALU_DEP_1)
	v_ldexp_f32 v1, v6, v1
                                        ; implicit-def: $vgpr6
	v_and_b32_e32 v7, 0x7fffffff, v1
	s_delay_alu instid0(VALU_DEP_1)
	v_cmpx_gt_u32_e32 0x43f00000, v7
	s_xor_b32 s29, exec_lo, s29
	s_cbranch_execz .LBB199_778
; %bb.773:
	s_mov_b32 s30, exec_lo
                                        ; implicit-def: $vgpr6
	v_cmpx_lt_u32_e32 0x3c7fffff, v7
	s_xor_b32 s30, exec_lo, s30
; %bb.774:
	v_bfe_u32 v6, v1, 20, 1
	s_delay_alu instid0(VALU_DEP_1) | instskip(NEXT) | instid1(VALU_DEP_1)
	v_add3_u32 v6, v1, v6, 0x407ffff
	v_and_b32_e32 v7, 0xff00000, v6
	v_lshrrev_b32_e32 v6, 20, v6
	s_delay_alu instid0(VALU_DEP_2) | instskip(NEXT) | instid1(VALU_DEP_2)
	v_cmp_ne_u32_e32 vcc_lo, 0x7f00000, v7
	v_cndmask_b32_e32 v6, 0x7e, v6, vcc_lo
; %bb.775:
	s_and_not1_saveexec_b32 s30, s30
; %bb.776:
	v_add_f32_e64 v6, 0x46800000, |v1|
; %bb.777:
	s_or_b32 exec_lo, exec_lo, s30
                                        ; implicit-def: $vgpr7
.LBB199_778:
	s_and_not1_saveexec_b32 s29, s29
; %bb.779:
	v_mov_b32_e32 v6, 0x7f
	v_cmp_lt_u32_e32 vcc_lo, 0x7f800000, v7
	s_delay_alu instid0(VALU_DEP_2)
	v_cndmask_b32_e32 v6, 0x7e, v6, vcc_lo
; %bb.780:
	s_or_b32 exec_lo, exec_lo, s29
	v_lshrrev_b32_e32 v1, 24, v1
	s_delay_alu instid0(VALU_DEP_1)
	v_and_or_b32 v1, 0x80, v1, v6
	global_store_b8 v[2:3], v1, off
.LBB199_781:
	s_mov_b32 s29, 0
.LBB199_782:
	s_delay_alu instid0(SALU_CYCLE_1)
	s_and_not1_b32 vcc_lo, exec_lo, s29
	s_cbranch_vccnz .LBB199_792
; %bb.783:
	s_wait_xcnt 0x0
	s_delay_alu instid0(VALU_DEP_3) | instskip(SKIP_3) | instid1(VALU_DEP_2)
	v_xor_b32_e32 v1, v4, v5
	s_wait_loadcnt 0x0
	v_cls_i32_e32 v6, v5
	s_mov_b32 s29, exec_lo
	v_ashrrev_i32_e32 v1, 31, v1
	s_delay_alu instid0(VALU_DEP_1) | instskip(NEXT) | instid1(VALU_DEP_1)
	v_add_nc_u32_e32 v1, 32, v1
	v_add_min_u32_e64 v1, v6, -1, v1
	s_delay_alu instid0(VALU_DEP_1) | instskip(SKIP_1) | instid1(VALU_DEP_2)
	v_lshlrev_b64_e32 v[6:7], v1, v[4:5]
	v_sub_nc_u32_e32 v1, 32, v1
	v_min_u32_e32 v6, 1, v6
	s_delay_alu instid0(VALU_DEP_1) | instskip(NEXT) | instid1(VALU_DEP_1)
	v_or_b32_e32 v6, v7, v6
	v_cvt_f32_i32_e32 v6, v6
	s_delay_alu instid0(VALU_DEP_1) | instskip(NEXT) | instid1(VALU_DEP_1)
	v_ldexp_f32 v1, v6, v1
                                        ; implicit-def: $vgpr6
	v_and_b32_e32 v7, 0x7fffffff, v1
	s_delay_alu instid0(VALU_DEP_1)
	v_cmpx_gt_u32_e32 0x47800000, v7
	s_xor_b32 s29, exec_lo, s29
	s_cbranch_execz .LBB199_789
; %bb.784:
	s_mov_b32 s30, exec_lo
                                        ; implicit-def: $vgpr6
	v_cmpx_lt_u32_e32 0x387fffff, v7
	s_xor_b32 s30, exec_lo, s30
; %bb.785:
	v_bfe_u32 v6, v1, 21, 1
	s_delay_alu instid0(VALU_DEP_1) | instskip(NEXT) | instid1(VALU_DEP_1)
	v_add3_u32 v6, v1, v6, 0x80fffff
	v_lshrrev_b32_e32 v6, 21, v6
; %bb.786:
	s_and_not1_saveexec_b32 s30, s30
; %bb.787:
	v_add_f32_e64 v6, 0x43000000, |v1|
; %bb.788:
	s_or_b32 exec_lo, exec_lo, s30
                                        ; implicit-def: $vgpr7
.LBB199_789:
	s_and_not1_saveexec_b32 s29, s29
; %bb.790:
	v_mov_b32_e32 v6, 0x7f
	v_cmp_lt_u32_e32 vcc_lo, 0x7f800000, v7
	s_delay_alu instid0(VALU_DEP_2)
	v_cndmask_b32_e32 v6, 0x7c, v6, vcc_lo
; %bb.791:
	s_or_b32 exec_lo, exec_lo, s29
	v_lshrrev_b32_e32 v1, 24, v1
	s_delay_alu instid0(VALU_DEP_1)
	v_and_or_b32 v1, 0x80, v1, v6
	global_store_b8 v[2:3], v1, off
.LBB199_792:
	s_mov_b32 s30, 0
	s_mov_b32 s29, -1
.LBB199_793:
	s_and_not1_b32 vcc_lo, exec_lo, s30
	s_cbranch_vccnz .LBB199_801
; %bb.794:
	s_cmp_gt_i32 s28, 14
	s_mov_b32 s30, -1
	s_cbranch_scc0 .LBB199_798
; %bb.795:
	s_cmp_eq_u32 s28, 15
	s_mov_b32 s0, -1
	s_cbranch_scc0 .LBB199_797
; %bb.796:
	s_wait_xcnt 0x0
	s_delay_alu instid0(VALU_DEP_3)
	v_xor_b32_e32 v1, v4, v5
	s_wait_loadcnt 0x0
	v_cls_i32_e32 v6, v5
	s_mov_b32 s29, -1
	s_mov_b32 s0, 0
	v_ashrrev_i32_e32 v1, 31, v1
	s_delay_alu instid0(VALU_DEP_1) | instskip(NEXT) | instid1(VALU_DEP_1)
	v_add_nc_u32_e32 v1, 32, v1
	v_add_min_u32_e64 v1, v6, -1, v1
	s_delay_alu instid0(VALU_DEP_1) | instskip(SKIP_1) | instid1(VALU_DEP_2)
	v_lshlrev_b64_e32 v[6:7], v1, v[4:5]
	v_sub_nc_u32_e32 v1, 32, v1
	v_min_u32_e32 v6, 1, v6
	s_delay_alu instid0(VALU_DEP_1) | instskip(NEXT) | instid1(VALU_DEP_1)
	v_or_b32_e32 v6, v7, v6
	v_cvt_f32_i32_e32 v6, v6
	s_delay_alu instid0(VALU_DEP_1) | instskip(NEXT) | instid1(VALU_DEP_1)
	v_ldexp_f32 v1, v6, v1
	v_bfe_u32 v6, v1, 16, 1
	s_delay_alu instid0(VALU_DEP_1)
	v_add3_u32 v1, v1, v6, 0x7fff
	global_store_d16_hi_b16 v[2:3], v1, off
.LBB199_797:
	s_mov_b32 s30, 0
.LBB199_798:
	s_delay_alu instid0(SALU_CYCLE_1)
	s_and_b32 vcc_lo, exec_lo, s30
	s_cbranch_vccz .LBB199_801
; %bb.799:
	s_cmp_eq_u32 s28, 11
	s_mov_b32 s0, -1
	s_cbranch_scc0 .LBB199_801
; %bb.800:
	s_delay_alu instid0(VALU_DEP_3)
	v_cmp_ne_u64_e32 vcc_lo, 0, v[4:5]
	s_mov_b32 s29, -1
	s_mov_b32 s0, 0
	s_wait_xcnt 0x0
	v_cndmask_b32_e64 v1, 0, 1, vcc_lo
	global_store_b8 v[2:3], v1, off
.LBB199_801:
	s_mov_b32 s28, 0
.LBB199_802:
	s_delay_alu instid0(SALU_CYCLE_1)
	s_and_b32 vcc_lo, exec_lo, s28
	s_cbranch_vccz .LBB199_841
; %bb.803:
	s_and_b32 s27, 0xffff, s27
	s_mov_b32 s28, -1
	s_cmp_lt_i32 s27, 5
	s_cbranch_scc1 .LBB199_824
; %bb.804:
	s_cmp_lt_i32 s27, 8
	s_cbranch_scc1 .LBB199_814
; %bb.805:
	;; [unrolled: 3-line block ×3, first 2 shown]
	s_cmp_gt_i32 s27, 9
	s_cbranch_scc0 .LBB199_808
; %bb.807:
	s_wait_loadcnt 0x0
	s_delay_alu instid0(VALU_DEP_3) | instskip(NEXT) | instid1(VALU_DEP_4)
	v_cvt_f64_i32_e32 v[6:7], v5
	v_cvt_f64_u32_e32 v[8:9], v4
	s_mov_b32 s28, 0
	s_delay_alu instid0(VALU_DEP_2) | instskip(NEXT) | instid1(VALU_DEP_1)
	v_ldexp_f64 v[6:7], v[6:7], 32
	v_dual_add_f64 v[6:7], v[6:7], v[8:9] :: v_dual_mov_b32 v8, 0
	s_delay_alu instid0(VALU_DEP_1)
	v_mov_b32_e32 v9, v8
	global_store_b128 v[2:3], v[6:9], off
.LBB199_808:
	s_and_not1_b32 vcc_lo, exec_lo, s28
	s_cbranch_vccnz .LBB199_810
; %bb.809:
	s_wait_xcnt 0x0
	s_delay_alu instid0(VALU_DEP_3) | instskip(SKIP_2) | instid1(VALU_DEP_2)
	v_xor_b32_e32 v1, v4, v5
	s_wait_loadcnt 0x0
	v_cls_i32_e32 v6, v5
	v_ashrrev_i32_e32 v1, 31, v1
	s_delay_alu instid0(VALU_DEP_1) | instskip(NEXT) | instid1(VALU_DEP_1)
	v_add_nc_u32_e32 v1, 32, v1
	v_add_min_u32_e64 v1, v6, -1, v1
	s_delay_alu instid0(VALU_DEP_1) | instskip(SKIP_1) | instid1(VALU_DEP_2)
	v_lshlrev_b64_e32 v[6:7], v1, v[4:5]
	v_sub_nc_u32_e32 v1, 32, v1
	v_min_u32_e32 v6, 1, v6
	s_delay_alu instid0(VALU_DEP_1) | instskip(NEXT) | instid1(VALU_DEP_1)
	v_dual_mov_b32 v7, 0 :: v_dual_bitop2_b32 v6, v7, v6 bitop3:0x54
	v_cvt_f32_i32_e32 v6, v6
	s_delay_alu instid0(VALU_DEP_1)
	v_ldexp_f32 v6, v6, v1
	global_store_b64 v[2:3], v[6:7], off
.LBB199_810:
	s_mov_b32 s28, 0
.LBB199_811:
	s_delay_alu instid0(SALU_CYCLE_1)
	s_and_not1_b32 vcc_lo, exec_lo, s28
	s_cbranch_vccnz .LBB199_813
; %bb.812:
	s_wait_xcnt 0x0
	s_delay_alu instid0(VALU_DEP_3) | instskip(SKIP_2) | instid1(VALU_DEP_2)
	v_xor_b32_e32 v1, v4, v5
	s_wait_loadcnt 0x0
	v_cls_i32_e32 v6, v5
	v_ashrrev_i32_e32 v1, 31, v1
	s_delay_alu instid0(VALU_DEP_1) | instskip(NEXT) | instid1(VALU_DEP_1)
	v_add_nc_u32_e32 v1, 32, v1
	v_add_min_u32_e64 v1, v6, -1, v1
	s_delay_alu instid0(VALU_DEP_1) | instskip(SKIP_1) | instid1(VALU_DEP_2)
	v_lshlrev_b64_e32 v[6:7], v1, v[4:5]
	v_sub_nc_u32_e32 v1, 32, v1
	v_min_u32_e32 v6, 1, v6
	s_delay_alu instid0(VALU_DEP_1) | instskip(NEXT) | instid1(VALU_DEP_1)
	v_or_b32_e32 v6, v7, v6
	v_cvt_f32_i32_e32 v6, v6
	s_delay_alu instid0(VALU_DEP_1) | instskip(NEXT) | instid1(VALU_DEP_1)
	v_ldexp_f32 v1, v6, v1
	v_cvt_f16_f32_e32 v1, v1
	s_delay_alu instid0(VALU_DEP_1)
	v_and_b32_e32 v1, 0xffff, v1
	global_store_b32 v[2:3], v1, off
.LBB199_813:
	s_mov_b32 s28, 0
.LBB199_814:
	s_delay_alu instid0(SALU_CYCLE_1)
	s_and_not1_b32 vcc_lo, exec_lo, s28
	s_cbranch_vccnz .LBB199_823
; %bb.815:
	s_cmp_lt_i32 s27, 6
	s_mov_b32 s28, -1
	s_cbranch_scc1 .LBB199_821
; %bb.816:
	s_cmp_gt_i32 s27, 6
	s_cbranch_scc0 .LBB199_818
; %bb.817:
	s_wait_loadcnt 0x0
	s_delay_alu instid0(VALU_DEP_3) | instskip(NEXT) | instid1(VALU_DEP_4)
	v_cvt_f64_i32_e32 v[6:7], v5
	v_cvt_f64_u32_e32 v[8:9], v4
	s_mov_b32 s28, 0
	s_delay_alu instid0(VALU_DEP_2) | instskip(NEXT) | instid1(VALU_DEP_1)
	v_ldexp_f64 v[6:7], v[6:7], 32
	v_add_f64_e32 v[6:7], v[6:7], v[8:9]
	global_store_b64 v[2:3], v[6:7], off
.LBB199_818:
	s_and_not1_b32 vcc_lo, exec_lo, s28
	s_cbranch_vccnz .LBB199_820
; %bb.819:
	s_wait_xcnt 0x0
	s_delay_alu instid0(VALU_DEP_3) | instskip(SKIP_2) | instid1(VALU_DEP_2)
	v_xor_b32_e32 v1, v4, v5
	s_wait_loadcnt 0x0
	v_cls_i32_e32 v6, v5
	v_ashrrev_i32_e32 v1, 31, v1
	s_delay_alu instid0(VALU_DEP_1) | instskip(NEXT) | instid1(VALU_DEP_1)
	v_add_nc_u32_e32 v1, 32, v1
	v_add_min_u32_e64 v1, v6, -1, v1
	s_delay_alu instid0(VALU_DEP_1) | instskip(SKIP_1) | instid1(VALU_DEP_2)
	v_lshlrev_b64_e32 v[6:7], v1, v[4:5]
	v_sub_nc_u32_e32 v1, 32, v1
	v_min_u32_e32 v6, 1, v6
	s_delay_alu instid0(VALU_DEP_1) | instskip(NEXT) | instid1(VALU_DEP_1)
	v_or_b32_e32 v6, v7, v6
	v_cvt_f32_i32_e32 v6, v6
	s_delay_alu instid0(VALU_DEP_1)
	v_ldexp_f32 v1, v6, v1
	global_store_b32 v[2:3], v1, off
.LBB199_820:
	s_mov_b32 s28, 0
.LBB199_821:
	s_delay_alu instid0(SALU_CYCLE_1)
	s_and_not1_b32 vcc_lo, exec_lo, s28
	s_cbranch_vccnz .LBB199_823
; %bb.822:
	s_wait_xcnt 0x0
	s_delay_alu instid0(VALU_DEP_3) | instskip(SKIP_2) | instid1(VALU_DEP_2)
	v_xor_b32_e32 v1, v4, v5
	s_wait_loadcnt 0x0
	v_cls_i32_e32 v6, v5
	v_ashrrev_i32_e32 v1, 31, v1
	s_delay_alu instid0(VALU_DEP_1) | instskip(NEXT) | instid1(VALU_DEP_1)
	v_add_nc_u32_e32 v1, 32, v1
	v_add_min_u32_e64 v1, v6, -1, v1
	s_delay_alu instid0(VALU_DEP_1) | instskip(SKIP_1) | instid1(VALU_DEP_2)
	v_lshlrev_b64_e32 v[6:7], v1, v[4:5]
	v_sub_nc_u32_e32 v1, 32, v1
	v_min_u32_e32 v6, 1, v6
	s_delay_alu instid0(VALU_DEP_1) | instskip(NEXT) | instid1(VALU_DEP_1)
	v_or_b32_e32 v6, v7, v6
	v_cvt_f32_i32_e32 v6, v6
	s_delay_alu instid0(VALU_DEP_1) | instskip(NEXT) | instid1(VALU_DEP_1)
	v_ldexp_f32 v1, v6, v1
	v_cvt_f16_f32_e32 v1, v1
	global_store_b16 v[2:3], v1, off
.LBB199_823:
	s_mov_b32 s28, 0
.LBB199_824:
	s_delay_alu instid0(SALU_CYCLE_1)
	s_and_not1_b32 vcc_lo, exec_lo, s28
	s_cbranch_vccnz .LBB199_840
; %bb.825:
	s_cmp_lt_i32 s27, 2
	s_mov_b32 s28, -1
	s_cbranch_scc1 .LBB199_835
; %bb.826:
	s_cmp_lt_i32 s27, 3
	s_cbranch_scc1 .LBB199_832
; %bb.827:
	s_cmp_gt_i32 s27, 3
	s_cbranch_scc0 .LBB199_829
; %bb.828:
	s_mov_b32 s28, 0
	global_store_b64 v[2:3], v[4:5], off
.LBB199_829:
	s_and_not1_b32 vcc_lo, exec_lo, s28
	s_cbranch_vccnz .LBB199_831
; %bb.830:
	global_store_b32 v[2:3], v4, off
.LBB199_831:
	s_mov_b32 s28, 0
.LBB199_832:
	s_delay_alu instid0(SALU_CYCLE_1)
	s_and_not1_b32 vcc_lo, exec_lo, s28
	s_cbranch_vccnz .LBB199_834
; %bb.833:
	global_store_b16 v[2:3], v4, off
.LBB199_834:
	s_mov_b32 s28, 0
.LBB199_835:
	s_delay_alu instid0(SALU_CYCLE_1)
	s_and_not1_b32 vcc_lo, exec_lo, s28
	s_cbranch_vccnz .LBB199_840
; %bb.836:
	s_cmp_gt_i32 s27, 0
	s_mov_b32 s27, -1
	s_cbranch_scc0 .LBB199_838
; %bb.837:
	s_mov_b32 s27, 0
	global_store_b8 v[2:3], v4, off
.LBB199_838:
	s_and_not1_b32 vcc_lo, exec_lo, s27
	s_cbranch_vccnz .LBB199_840
; %bb.839:
	global_store_b8 v[2:3], v4, off
.LBB199_840:
	s_mov_b32 s29, -1
.LBB199_841:
	s_delay_alu instid0(SALU_CYCLE_1)
	s_and_not1_b32 vcc_lo, exec_lo, s29
	s_cbranch_vccnz .LBB199_843
; %bb.842:
	v_add_nc_u32_e32 v0, 0x80, v0
	s_mov_b32 s27, -1
	s_branch .LBB199_845
.LBB199_843:
	s_mov_b32 s27, 0
.LBB199_844:
                                        ; implicit-def: $vgpr0
.LBB199_845:
	s_and_not1_b32 s28, s48, exec_lo
	s_and_b32 s0, s0, exec_lo
	s_and_not1_b32 s29, s47, exec_lo
	s_and_b32 s26, s26, exec_lo
	s_or_b32 s30, s28, s0
	s_or_b32 s0, s29, s26
	s_or_not1_b32 s29, s27, exec_lo
.LBB199_846:
	s_wait_xcnt 0x0
	s_or_b32 exec_lo, exec_lo, s50
	s_mov_b32 s27, 0
	s_mov_b32 s26, 0
	;; [unrolled: 1-line block ×3, first 2 shown]
                                        ; implicit-def: $vgpr4_vgpr5
                                        ; implicit-def: $vgpr2
                                        ; implicit-def: $vgpr6_vgpr7
	s_and_saveexec_b32 s31, s29
	s_cbranch_execz .LBB199_944
; %bb.847:
	v_cmp_gt_i32_e32 vcc_lo, s41, v0
	s_mov_b32 s29, s0
                                        ; implicit-def: $vgpr4_vgpr5
                                        ; implicit-def: $vgpr2
                                        ; implicit-def: $vgpr6_vgpr7
	s_and_saveexec_b32 s41, vcc_lo
	s_cbranch_execz .LBB199_943
; %bb.848:
	s_and_not1_b32 vcc_lo, exec_lo, s36
	s_cbranch_vccnz .LBB199_854
; %bb.849:
	s_and_not1_b32 vcc_lo, exec_lo, s43
	s_cbranch_vccnz .LBB199_855
; %bb.850:
	s_add_co_i32 s42, s42, 1
	s_cmp_eq_u32 s34, 2
	s_cbranch_scc1 .LBB199_856
; %bb.851:
	v_dual_mov_b32 v2, 0 :: v_dual_mov_b32 v4, 0
	v_mov_b32_e32 v1, v0
	s_and_b32 s26, s42, 28
	s_mov_b64 s[28:29], s[2:3]
.LBB199_852:                            ; =>This Inner Loop Header: Depth=1
	s_clause 0x1
	s_load_b256 s[52:59], s[28:29], 0x4
	s_load_b128 s[68:71], s[28:29], 0x24
	s_load_b256 s[60:67], s[24:25], 0x0
	s_add_co_i32 s27, s27, 4
	s_wait_xcnt 0x0
	s_add_nc_u64 s[28:29], s[28:29], 48
	s_cmp_eq_u32 s26, s27
	s_add_nc_u64 s[24:25], s[24:25], 32
	s_wait_kmcnt 0x0
	v_mul_hi_u32 v3, s53, v1
	s_delay_alu instid0(VALU_DEP_1) | instskip(NEXT) | instid1(VALU_DEP_1)
	v_add_nc_u32_e32 v3, v1, v3
	v_lshrrev_b32_e32 v3, s54, v3
	s_delay_alu instid0(VALU_DEP_1) | instskip(NEXT) | instid1(VALU_DEP_1)
	v_mul_hi_u32 v5, s56, v3
	v_add_nc_u32_e32 v5, v3, v5
	s_delay_alu instid0(VALU_DEP_1) | instskip(SKIP_1) | instid1(VALU_DEP_1)
	v_lshrrev_b32_e32 v5, s57, v5
	s_wait_loadcnt 0x0
	v_mul_hi_u32 v6, s59, v5
	s_delay_alu instid0(VALU_DEP_1) | instskip(SKIP_1) | instid1(VALU_DEP_1)
	v_add_nc_u32_e32 v6, v5, v6
	v_mul_lo_u32 v7, v3, s52
	v_sub_nc_u32_e32 v1, v1, v7
	v_mul_lo_u32 v7, v5, s55
	s_delay_alu instid0(VALU_DEP_4) | instskip(NEXT) | instid1(VALU_DEP_3)
	v_lshrrev_b32_e32 v6, s68, v6
	v_mad_u32 v4, v1, s61, v4
	v_mad_u32 v1, v1, s60, v2
	s_delay_alu instid0(VALU_DEP_4) | instskip(NEXT) | instid1(VALU_DEP_4)
	v_sub_nc_u32_e32 v2, v3, v7
	v_mul_hi_u32 v8, s70, v6
	v_mul_lo_u32 v3, v6, s58
	s_delay_alu instid0(VALU_DEP_3) | instskip(SKIP_1) | instid1(VALU_DEP_3)
	v_mad_u32 v4, v2, s63, v4
	v_mad_u32 v2, v2, s62, v1
	v_dual_add_nc_u32 v7, v6, v8 :: v_dual_sub_nc_u32 v3, v5, v3
	s_delay_alu instid0(VALU_DEP_1) | instskip(NEXT) | instid1(VALU_DEP_2)
	v_lshrrev_b32_e32 v1, s71, v7
	v_mad_u32 v4, v3, s65, v4
	s_delay_alu instid0(VALU_DEP_4) | instskip(NEXT) | instid1(VALU_DEP_3)
	v_mad_u32 v2, v3, s64, v2
	v_mul_lo_u32 v5, v1, s69
	s_delay_alu instid0(VALU_DEP_1) | instskip(NEXT) | instid1(VALU_DEP_1)
	v_sub_nc_u32_e32 v3, v6, v5
	v_mad_u32 v4, v3, s67, v4
	s_delay_alu instid0(VALU_DEP_4)
	v_mad_u32 v2, v3, s66, v2
	s_cbranch_scc0 .LBB199_852
; %bb.853:
	s_delay_alu instid0(VALU_DEP_2)
	v_mov_b32_e32 v3, v4
	s_branch .LBB199_857
.LBB199_854:
	s_mov_b32 s24, -1
                                        ; implicit-def: $vgpr4
                                        ; implicit-def: $vgpr2
	s_branch .LBB199_862
.LBB199_855:
	v_dual_mov_b32 v4, 0 :: v_dual_mov_b32 v2, 0
	s_branch .LBB199_861
.LBB199_856:
	v_mov_b64_e32 v[2:3], 0
	v_mov_b32_e32 v1, v0
                                        ; implicit-def: $vgpr4
.LBB199_857:
	s_and_b32 s28, s42, 3
	s_mov_b32 s27, 0
	s_cmp_eq_u32 s28, 0
	s_cbranch_scc1 .LBB199_861
; %bb.858:
	s_lshl_b32 s24, s26, 3
	s_mov_b32 s25, s27
	s_mul_u64 s[26:27], s[26:27], 12
	s_add_nc_u64 s[24:25], s[2:3], s[24:25]
	s_add_nc_u64 s[26:27], s[2:3], s[26:27]
	;; [unrolled: 1-line block ×3, first 2 shown]
.LBB199_859:                            ; =>This Inner Loop Header: Depth=1
	s_load_b96 s[52:54], s[26:27], 0x4
	s_load_b64 s[42:43], s[24:25], 0x0
	s_add_co_i32 s28, s28, -1
	s_wait_xcnt 0x0
	s_add_nc_u64 s[26:27], s[26:27], 12
	s_cmp_lg_u32 s28, 0
	s_add_nc_u64 s[24:25], s[24:25], 8
	s_wait_kmcnt 0x0
	v_mul_hi_u32 v4, s53, v1
	s_delay_alu instid0(VALU_DEP_1) | instskip(NEXT) | instid1(VALU_DEP_1)
	v_add_nc_u32_e32 v4, v1, v4
	v_lshrrev_b32_e32 v4, s54, v4
	s_delay_alu instid0(VALU_DEP_1) | instskip(NEXT) | instid1(VALU_DEP_1)
	v_mul_lo_u32 v5, v4, s52
	v_sub_nc_u32_e32 v1, v1, v5
	s_delay_alu instid0(VALU_DEP_1)
	v_mad_u32 v3, v1, s43, v3
	v_mad_u32 v2, v1, s42, v2
	v_mov_b32_e32 v1, v4
	s_cbranch_scc1 .LBB199_859
; %bb.860:
	s_delay_alu instid0(VALU_DEP_3)
	v_mov_b32_e32 v4, v3
.LBB199_861:
	s_mov_b32 s24, 0
.LBB199_862:
	s_delay_alu instid0(SALU_CYCLE_1)
	s_and_not1_b32 vcc_lo, exec_lo, s24
	s_cbranch_vccnz .LBB199_865
; %bb.863:
	v_mov_b32_e32 v1, 0
	s_and_not1_b32 vcc_lo, exec_lo, s40
	s_delay_alu instid0(VALU_DEP_1) | instskip(NEXT) | instid1(VALU_DEP_1)
	v_mul_u64_e32 v[2:3], s[20:21], v[0:1]
	v_add_nc_u32_e32 v2, v0, v3
	s_wait_loadcnt 0x0
	s_delay_alu instid0(VALU_DEP_1) | instskip(NEXT) | instid1(VALU_DEP_1)
	v_lshrrev_b32_e32 v6, s14, v2
	v_mul_lo_u32 v2, v6, s12
	s_delay_alu instid0(VALU_DEP_1) | instskip(NEXT) | instid1(VALU_DEP_1)
	v_sub_nc_u32_e32 v0, v0, v2
	v_mul_lo_u32 v4, v0, s17
	v_mul_lo_u32 v2, v0, s16
	s_cbranch_vccnz .LBB199_865
; %bb.864:
	v_mov_b32_e32 v7, v1
	s_delay_alu instid0(VALU_DEP_1) | instskip(NEXT) | instid1(VALU_DEP_1)
	v_mul_u64_e32 v[0:1], s[22:23], v[6:7]
	v_add_nc_u32_e32 v0, v6, v1
	s_delay_alu instid0(VALU_DEP_1) | instskip(NEXT) | instid1(VALU_DEP_1)
	v_lshrrev_b32_e32 v0, s1, v0
	v_mul_lo_u32 v0, v0, s15
	s_delay_alu instid0(VALU_DEP_1) | instskip(NEXT) | instid1(VALU_DEP_1)
	v_sub_nc_u32_e32 v0, v6, v0
	v_mad_u32 v2, v0, s18, v2
	v_mad_u32 v4, v0, s19, v4
.LBB199_865:
	v_mov_b32_e32 v5, 0
	s_and_b32 s1, 0xffff, s13
	s_delay_alu instid0(SALU_CYCLE_1) | instskip(NEXT) | instid1(VALU_DEP_1)
	s_cmp_lt_i32 s1, 11
	v_add_nc_u64_e32 v[4:5], s[6:7], v[4:5]
	s_cbranch_scc1 .LBB199_872
; %bb.866:
	s_cmp_gt_i32 s1, 25
	s_mov_b32 s7, 0
	s_cbranch_scc0 .LBB199_873
; %bb.867:
	s_cmp_gt_i32 s1, 28
	s_cbranch_scc0 .LBB199_874
; %bb.868:
	s_cmp_gt_i32 s1, 43
	s_cbranch_scc0 .LBB199_875
; %bb.869:
	s_cmp_gt_i32 s1, 45
	s_cbranch_scc0 .LBB199_878
; %bb.870:
	s_cmp_eq_u32 s1, 46
	s_mov_b32 s14, 0
	s_cbranch_scc0 .LBB199_881
; %bb.871:
	global_load_b32 v0, v[4:5], off
	s_mov_b32 s6, 0
	s_mov_b32 s12, -1
	s_wait_loadcnt 0x0
	v_lshlrev_b32_e32 v0, 16, v0
	s_delay_alu instid0(VALU_DEP_1) | instskip(NEXT) | instid1(VALU_DEP_1)
	v_trunc_f32_e32 v0, v0
	v_mul_f32_e64 v1, 0x2f800000, |v0|
	s_delay_alu instid0(VALU_DEP_1) | instskip(NEXT) | instid1(VALU_DEP_1)
	v_floor_f32_e32 v1, v1
	v_fma_f32 v3, 0xcf800000, v1, |v0|
	v_ashrrev_i32_e32 v0, 31, v0
	v_cvt_u32_f32_e32 v6, v1
	s_delay_alu instid0(VALU_DEP_3) | instskip(NEXT) | instid1(VALU_DEP_2)
	v_cvt_u32_f32_e32 v3, v3
	v_dual_mov_b32 v1, v0 :: v_dual_bitop2_b32 v7, v6, v0 bitop3:0x14
	s_delay_alu instid0(VALU_DEP_2) | instskip(NEXT) | instid1(VALU_DEP_1)
	v_xor_b32_e32 v6, v3, v0
	v_sub_nc_u64_e32 v[6:7], v[6:7], v[0:1]
	s_branch .LBB199_883
.LBB199_872:
	s_mov_b32 s1, -1
	s_mov_b32 s12, 0
	s_mov_b32 s7, 0
	;; [unrolled: 1-line block ×3, first 2 shown]
                                        ; implicit-def: $vgpr6_vgpr7
	s_branch .LBB199_942
.LBB199_873:
	s_mov_b32 s14, -1
	s_mov_b32 s12, 0
	s_mov_b32 s6, s0
                                        ; implicit-def: $vgpr6_vgpr7
	s_branch .LBB199_910
.LBB199_874:
	s_mov_b32 s14, -1
	s_mov_b32 s12, 0
	s_mov_b32 s6, s0
                                        ; implicit-def: $vgpr6_vgpr7
	s_branch .LBB199_893
.LBB199_875:
	s_mov_b32 s14, -1
	s_mov_b32 s12, 0
	s_mov_b32 s6, s0
                                        ; implicit-def: $vgpr6_vgpr7
	s_branch .LBB199_888
.LBB199_876:
	s_and_not1_saveexec_b32 s31, s31
	s_cbranch_execz .LBB199_754
.LBB199_877:
	v_add_f32_e64 v6, 0x46000000, |v1|
	s_and_not1_b32 s30, s30, exec_lo
	s_delay_alu instid0(VALU_DEP_1) | instskip(NEXT) | instid1(VALU_DEP_1)
	v_and_b32_e32 v6, 0xff, v6
	v_cmp_ne_u32_e32 vcc_lo, 0, v6
	s_and_b32 s51, vcc_lo, exec_lo
	s_delay_alu instid0(SALU_CYCLE_1)
	s_or_b32 s30, s30, s51
	s_or_b32 exec_lo, exec_lo, s31
	v_mov_b32_e32 v7, 0
	s_and_saveexec_b32 s31, s30
	s_cbranch_execnz .LBB199_755
	s_branch .LBB199_756
.LBB199_878:
	s_mov_b32 s14, -1
	s_mov_b32 s12, 0
	s_mov_b32 s6, s0
	s_branch .LBB199_882
.LBB199_879:
	s_and_not1_saveexec_b32 s31, s31
	s_cbranch_execz .LBB199_767
.LBB199_880:
	v_add_f32_e64 v6, 0x42800000, |v1|
	s_and_not1_b32 s30, s30, exec_lo
	s_delay_alu instid0(VALU_DEP_1) | instskip(NEXT) | instid1(VALU_DEP_1)
	v_and_b32_e32 v6, 0xff, v6
	v_cmp_ne_u32_e32 vcc_lo, 0, v6
	s_and_b32 s51, vcc_lo, exec_lo
	s_delay_alu instid0(SALU_CYCLE_1)
	s_or_b32 s30, s30, s51
	s_or_b32 exec_lo, exec_lo, s31
	v_mov_b32_e32 v7, 0
	s_and_saveexec_b32 s31, s30
	s_cbranch_execnz .LBB199_768
	s_branch .LBB199_769
.LBB199_881:
	s_mov_b32 s6, -1
	s_mov_b32 s12, 0
.LBB199_882:
                                        ; implicit-def: $vgpr6_vgpr7
.LBB199_883:
	s_and_b32 vcc_lo, exec_lo, s14
	s_cbranch_vccz .LBB199_887
; %bb.884:
	s_cmp_eq_u32 s1, 44
	s_cbranch_scc0 .LBB199_886
; %bb.885:
	global_load_u8 v3, v[4:5], off
	s_mov_b32 s6, 0
	s_mov_b32 s12, -1
	s_wait_loadcnt 0x0
	v_cmp_ne_u32_e32 vcc_lo, 0, v3
	v_lshlrev_b32_e32 v0, 23, v3
	s_delay_alu instid0(VALU_DEP_1) | instskip(NEXT) | instid1(VALU_DEP_1)
	v_trunc_f32_e32 v0, v0
	v_mul_f32_e64 v1, 0x2f800000, |v0|
	s_delay_alu instid0(VALU_DEP_1) | instskip(NEXT) | instid1(VALU_DEP_1)
	v_floor_f32_e32 v1, v1
	v_fma_f32 v6, 0xcf800000, v1, |v0|
	v_ashrrev_i32_e32 v0, 31, v0
	v_cvt_u32_f32_e32 v7, v1
	s_delay_alu instid0(VALU_DEP_3) | instskip(NEXT) | instid1(VALU_DEP_2)
	v_cvt_u32_f32_e32 v6, v6
	v_dual_mov_b32 v1, v0 :: v_dual_bitop2_b32 v7, v7, v0 bitop3:0x14
	s_delay_alu instid0(VALU_DEP_2) | instskip(NEXT) | instid1(VALU_DEP_1)
	v_xor_b32_e32 v6, v6, v0
	v_sub_nc_u64_e32 v[0:1], v[6:7], v[0:1]
	s_delay_alu instid0(VALU_DEP_1)
	v_dual_cndmask_b32 v7, 0, v1 :: v_dual_cndmask_b32 v6, 0, v0
	s_branch .LBB199_887
.LBB199_886:
	s_mov_b32 s6, -1
                                        ; implicit-def: $vgpr6_vgpr7
.LBB199_887:
	s_mov_b32 s14, 0
.LBB199_888:
	s_delay_alu instid0(SALU_CYCLE_1)
	s_and_b32 vcc_lo, exec_lo, s14
	s_cbranch_vccz .LBB199_892
; %bb.889:
	s_cmp_eq_u32 s1, 29
	s_cbranch_scc0 .LBB199_891
; %bb.890:
	s_wait_loadcnt 0x0
	global_load_b64 v[6:7], v[4:5], off
	s_mov_b32 s6, 0
	s_mov_b32 s12, -1
	s_branch .LBB199_892
.LBB199_891:
	s_mov_b32 s6, -1
                                        ; implicit-def: $vgpr6_vgpr7
.LBB199_892:
	s_mov_b32 s14, 0
.LBB199_893:
	s_delay_alu instid0(SALU_CYCLE_1)
	s_and_b32 vcc_lo, exec_lo, s14
	s_cbranch_vccz .LBB199_909
; %bb.894:
	s_cmp_lt_i32 s1, 27
	s_cbranch_scc1 .LBB199_897
; %bb.895:
	s_cmp_gt_i32 s1, 27
	s_cbranch_scc0 .LBB199_898
; %bb.896:
	s_wait_loadcnt 0x0
	global_load_b32 v6, v[4:5], off
	v_mov_b32_e32 v7, 0
	s_mov_b32 s12, 0
	s_branch .LBB199_899
.LBB199_897:
	s_mov_b32 s12, -1
                                        ; implicit-def: $vgpr6_vgpr7
	s_branch .LBB199_902
.LBB199_898:
	s_mov_b32 s12, -1
                                        ; implicit-def: $vgpr6_vgpr7
.LBB199_899:
	s_delay_alu instid0(SALU_CYCLE_1)
	s_and_not1_b32 vcc_lo, exec_lo, s12
	s_cbranch_vccnz .LBB199_901
; %bb.900:
	global_load_u16 v0, v[4:5], off
	s_mov_b32 s12, 0
	s_wait_loadcnt 0x1
	v_mov_b32_e32 v7, s12
	s_wait_loadcnt 0x0
	v_and_b32_e32 v6, 0xffff, v0
.LBB199_901:
	s_mov_b32 s12, 0
.LBB199_902:
	s_delay_alu instid0(SALU_CYCLE_1)
	s_and_not1_b32 vcc_lo, exec_lo, s12
	s_cbranch_vccnz .LBB199_908
; %bb.903:
	global_load_u8 v0, v[4:5], off
	s_mov_b32 s14, 0
	s_mov_b32 s12, exec_lo
	s_wait_loadcnt 0x0
	v_cmpx_lt_i16_e32 0x7f, v0
	s_xor_b32 s12, exec_lo, s12
	s_cbranch_execz .LBB199_920
; %bb.904:
	v_cmp_ne_u16_e32 vcc_lo, 0x80, v0
	s_and_b32 s14, vcc_lo, exec_lo
	s_and_not1_saveexec_b32 s12, s12
	s_cbranch_execnz .LBB199_921
.LBB199_905:
	s_or_b32 exec_lo, exec_lo, s12
	v_mov_b64_e32 v[6:7], 0
	s_and_saveexec_b32 s12, s14
	s_cbranch_execz .LBB199_907
.LBB199_906:
	v_and_b32_e32 v1, 0xffff, v0
	s_delay_alu instid0(VALU_DEP_1) | instskip(SKIP_1) | instid1(VALU_DEP_2)
	v_and_b32_e32 v3, 7, v1
	v_bfe_u32 v8, v1, 3, 4
	v_clz_i32_u32_e32 v6, v3
	s_delay_alu instid0(VALU_DEP_2) | instskip(NEXT) | instid1(VALU_DEP_2)
	v_cmp_eq_u32_e32 vcc_lo, 0, v8
	v_min_u32_e32 v6, 32, v6
	s_delay_alu instid0(VALU_DEP_1) | instskip(NEXT) | instid1(VALU_DEP_1)
	v_subrev_nc_u32_e32 v7, 28, v6
	v_dual_lshlrev_b32 v1, v7, v1 :: v_dual_sub_nc_u32 v6, 29, v6
	s_delay_alu instid0(VALU_DEP_1) | instskip(NEXT) | instid1(VALU_DEP_1)
	v_dual_lshlrev_b32 v0, 24, v0 :: v_dual_bitop2_b32 v1, 7, v1 bitop3:0x40
	v_dual_cndmask_b32 v6, v8, v6 :: v_dual_cndmask_b32 v1, v3, v1
	s_delay_alu instid0(VALU_DEP_2) | instskip(NEXT) | instid1(VALU_DEP_2)
	v_and_b32_e32 v0, 0x80000000, v0
	v_lshl_add_u32 v3, v6, 23, 0x3b800000
	s_delay_alu instid0(VALU_DEP_3) | instskip(NEXT) | instid1(VALU_DEP_1)
	v_lshlrev_b32_e32 v1, 20, v1
	v_or3_b32 v0, v0, v3, v1
	s_delay_alu instid0(VALU_DEP_1) | instskip(NEXT) | instid1(VALU_DEP_1)
	v_trunc_f32_e32 v0, v0
	v_mul_f32_e64 v1, 0x2f800000, |v0|
	s_delay_alu instid0(VALU_DEP_1) | instskip(NEXT) | instid1(VALU_DEP_1)
	v_floor_f32_e32 v1, v1
	v_fma_f32 v3, 0xcf800000, v1, |v0|
	v_ashrrev_i32_e32 v0, 31, v0
	v_cvt_u32_f32_e32 v6, v1
	s_delay_alu instid0(VALU_DEP_3) | instskip(NEXT) | instid1(VALU_DEP_2)
	v_cvt_u32_f32_e32 v3, v3
	v_dual_mov_b32 v1, v0 :: v_dual_bitop2_b32 v7, v6, v0 bitop3:0x14
	s_delay_alu instid0(VALU_DEP_2) | instskip(NEXT) | instid1(VALU_DEP_1)
	v_xor_b32_e32 v6, v3, v0
	v_sub_nc_u64_e32 v[6:7], v[6:7], v[0:1]
.LBB199_907:
	s_or_b32 exec_lo, exec_lo, s12
.LBB199_908:
	s_mov_b32 s12, -1
.LBB199_909:
	s_mov_b32 s14, 0
.LBB199_910:
	s_delay_alu instid0(SALU_CYCLE_1)
	s_and_b32 vcc_lo, exec_lo, s14
	s_cbranch_vccz .LBB199_941
; %bb.911:
	s_cmp_gt_i32 s1, 22
	s_cbranch_scc0 .LBB199_919
; %bb.912:
	s_cmp_lt_i32 s1, 24
	s_cbranch_scc1 .LBB199_922
; %bb.913:
	s_cmp_gt_i32 s1, 24
	s_cbranch_scc0 .LBB199_923
; %bb.914:
	global_load_u8 v0, v[4:5], off
	s_mov_b32 s12, 0
	s_mov_b32 s7, exec_lo
	s_wait_loadcnt 0x0
	v_cmpx_lt_i16_e32 0x7f, v0
	s_xor_b32 s7, exec_lo, s7
	s_cbranch_execz .LBB199_935
; %bb.915:
	v_cmp_ne_u16_e32 vcc_lo, 0x80, v0
	s_and_b32 s12, vcc_lo, exec_lo
	s_and_not1_saveexec_b32 s7, s7
	s_cbranch_execnz .LBB199_936
.LBB199_916:
	s_or_b32 exec_lo, exec_lo, s7
	v_mov_b64_e32 v[6:7], 0
	s_and_saveexec_b32 s7, s12
	s_cbranch_execz .LBB199_918
.LBB199_917:
	v_and_b32_e32 v1, 0xffff, v0
	s_delay_alu instid0(VALU_DEP_1) | instskip(SKIP_1) | instid1(VALU_DEP_2)
	v_and_b32_e32 v3, 3, v1
	v_bfe_u32 v8, v1, 2, 5
	v_clz_i32_u32_e32 v6, v3
	s_delay_alu instid0(VALU_DEP_2) | instskip(NEXT) | instid1(VALU_DEP_2)
	v_cmp_eq_u32_e32 vcc_lo, 0, v8
	v_min_u32_e32 v6, 32, v6
	s_delay_alu instid0(VALU_DEP_1) | instskip(NEXT) | instid1(VALU_DEP_1)
	v_subrev_nc_u32_e32 v7, 29, v6
	v_dual_lshlrev_b32 v1, v7, v1 :: v_dual_sub_nc_u32 v6, 30, v6
	s_delay_alu instid0(VALU_DEP_1) | instskip(NEXT) | instid1(VALU_DEP_1)
	v_dual_lshlrev_b32 v0, 24, v0 :: v_dual_bitop2_b32 v1, 3, v1 bitop3:0x40
	v_dual_cndmask_b32 v6, v8, v6 :: v_dual_cndmask_b32 v1, v3, v1
	s_delay_alu instid0(VALU_DEP_2) | instskip(NEXT) | instid1(VALU_DEP_2)
	v_and_b32_e32 v0, 0x80000000, v0
	v_lshl_add_u32 v3, v6, 23, 0x37800000
	s_delay_alu instid0(VALU_DEP_3) | instskip(NEXT) | instid1(VALU_DEP_1)
	v_lshlrev_b32_e32 v1, 21, v1
	v_or3_b32 v0, v0, v3, v1
	s_delay_alu instid0(VALU_DEP_1) | instskip(NEXT) | instid1(VALU_DEP_1)
	v_trunc_f32_e32 v0, v0
	v_mul_f32_e64 v1, 0x2f800000, |v0|
	s_delay_alu instid0(VALU_DEP_1) | instskip(NEXT) | instid1(VALU_DEP_1)
	v_floor_f32_e32 v1, v1
	v_fma_f32 v3, 0xcf800000, v1, |v0|
	v_ashrrev_i32_e32 v0, 31, v0
	v_cvt_u32_f32_e32 v6, v1
	s_delay_alu instid0(VALU_DEP_3) | instskip(NEXT) | instid1(VALU_DEP_2)
	v_cvt_u32_f32_e32 v3, v3
	v_dual_mov_b32 v1, v0 :: v_dual_bitop2_b32 v7, v6, v0 bitop3:0x14
	s_delay_alu instid0(VALU_DEP_2) | instskip(NEXT) | instid1(VALU_DEP_1)
	v_xor_b32_e32 v6, v3, v0
	v_sub_nc_u64_e32 v[6:7], v[6:7], v[0:1]
.LBB199_918:
	s_or_b32 exec_lo, exec_lo, s7
	s_mov_b32 s7, 0
	s_branch .LBB199_924
.LBB199_919:
	s_mov_b32 s7, -1
                                        ; implicit-def: $vgpr6_vgpr7
	s_branch .LBB199_930
.LBB199_920:
	s_and_not1_saveexec_b32 s12, s12
	s_cbranch_execz .LBB199_905
.LBB199_921:
	v_cmp_ne_u16_e32 vcc_lo, 0, v0
	s_and_not1_b32 s14, s14, exec_lo
	s_and_b32 s15, vcc_lo, exec_lo
	s_delay_alu instid0(SALU_CYCLE_1)
	s_or_b32 s14, s14, s15
	s_or_b32 exec_lo, exec_lo, s12
	v_mov_b64_e32 v[6:7], 0
	s_and_saveexec_b32 s12, s14
	s_cbranch_execnz .LBB199_906
	s_branch .LBB199_907
.LBB199_922:
	s_mov_b32 s7, -1
                                        ; implicit-def: $vgpr6_vgpr7
	s_branch .LBB199_927
.LBB199_923:
	s_mov_b32 s7, -1
                                        ; implicit-def: $vgpr6_vgpr7
.LBB199_924:
	s_delay_alu instid0(SALU_CYCLE_1)
	s_and_b32 vcc_lo, exec_lo, s7
	s_cbranch_vccz .LBB199_926
; %bb.925:
	global_load_u8 v0, v[4:5], off
	s_wait_loadcnt 0x0
	v_lshlrev_b32_e32 v0, 24, v0
	s_delay_alu instid0(VALU_DEP_1) | instskip(NEXT) | instid1(VALU_DEP_1)
	v_and_b32_e32 v1, 0x7f000000, v0
	v_clz_i32_u32_e32 v3, v1
	v_add_nc_u32_e32 v7, 0x1000000, v1
	v_cmp_ne_u32_e32 vcc_lo, 0, v1
	s_delay_alu instid0(VALU_DEP_3) | instskip(NEXT) | instid1(VALU_DEP_1)
	v_min_u32_e32 v3, 32, v3
	v_sub_nc_u32_e64 v3, v3, 4 clamp
	s_delay_alu instid0(VALU_DEP_1) | instskip(NEXT) | instid1(VALU_DEP_1)
	v_dual_lshlrev_b32 v6, v3, v1 :: v_dual_lshlrev_b32 v3, 23, v3
	v_lshrrev_b32_e32 v6, 4, v6
	s_delay_alu instid0(VALU_DEP_1) | instskip(SKIP_1) | instid1(VALU_DEP_2)
	v_sub_nc_u32_e32 v3, v6, v3
	v_ashrrev_i32_e32 v6, 8, v7
	v_add_nc_u32_e32 v3, 0x3c000000, v3
	s_delay_alu instid0(VALU_DEP_1) | instskip(NEXT) | instid1(VALU_DEP_1)
	v_and_or_b32 v3, 0x7f800000, v6, v3
	v_cndmask_b32_e32 v1, 0, v3, vcc_lo
	s_delay_alu instid0(VALU_DEP_1) | instskip(NEXT) | instid1(VALU_DEP_1)
	v_and_or_b32 v0, 0x80000000, v0, v1
	v_trunc_f32_e32 v0, v0
	s_delay_alu instid0(VALU_DEP_1) | instskip(NEXT) | instid1(VALU_DEP_1)
	v_mul_f32_e64 v1, 0x2f800000, |v0|
	v_floor_f32_e32 v1, v1
	s_delay_alu instid0(VALU_DEP_1) | instskip(SKIP_2) | instid1(VALU_DEP_3)
	v_fma_f32 v3, 0xcf800000, v1, |v0|
	v_ashrrev_i32_e32 v0, 31, v0
	v_cvt_u32_f32_e32 v6, v1
	v_cvt_u32_f32_e32 v3, v3
	s_delay_alu instid0(VALU_DEP_2) | instskip(NEXT) | instid1(VALU_DEP_2)
	v_dual_mov_b32 v1, v0 :: v_dual_bitop2_b32 v7, v6, v0 bitop3:0x14
	v_xor_b32_e32 v6, v3, v0
	s_delay_alu instid0(VALU_DEP_1)
	v_sub_nc_u64_e32 v[6:7], v[6:7], v[0:1]
.LBB199_926:
	s_mov_b32 s7, 0
.LBB199_927:
	s_delay_alu instid0(SALU_CYCLE_1)
	s_and_not1_b32 vcc_lo, exec_lo, s7
	s_cbranch_vccnz .LBB199_929
; %bb.928:
	global_load_u8 v0, v[4:5], off
	s_wait_loadcnt 0x0
	v_lshlrev_b32_e32 v1, 25, v0
	v_lshlrev_b16 v0, 8, v0
	s_delay_alu instid0(VALU_DEP_1) | instskip(SKIP_1) | instid1(VALU_DEP_2)
	v_and_or_b32 v6, 0x7f00, v0, 0.5
	v_bfe_i32 v0, v0, 0, 16
	v_dual_add_f32 v6, -0.5, v6 :: v_dual_lshrrev_b32 v3, 4, v1
	v_cmp_gt_u32_e32 vcc_lo, 0x8000000, v1
	s_delay_alu instid0(VALU_DEP_2) | instskip(NEXT) | instid1(VALU_DEP_1)
	v_or_b32_e32 v3, 0x70000000, v3
	v_mul_f32_e32 v3, 0x7800000, v3
	s_delay_alu instid0(VALU_DEP_1) | instskip(NEXT) | instid1(VALU_DEP_1)
	v_cndmask_b32_e32 v1, v3, v6, vcc_lo
	v_and_or_b32 v0, 0x80000000, v0, v1
	s_delay_alu instid0(VALU_DEP_1) | instskip(NEXT) | instid1(VALU_DEP_1)
	v_trunc_f32_e32 v0, v0
	v_mul_f32_e64 v1, 0x2f800000, |v0|
	s_delay_alu instid0(VALU_DEP_1) | instskip(NEXT) | instid1(VALU_DEP_1)
	v_floor_f32_e32 v1, v1
	v_fma_f32 v3, 0xcf800000, v1, |v0|
	v_ashrrev_i32_e32 v0, 31, v0
	v_cvt_u32_f32_e32 v6, v1
	s_delay_alu instid0(VALU_DEP_3) | instskip(NEXT) | instid1(VALU_DEP_2)
	v_cvt_u32_f32_e32 v3, v3
	v_dual_mov_b32 v1, v0 :: v_dual_bitop2_b32 v7, v6, v0 bitop3:0x14
	s_delay_alu instid0(VALU_DEP_2) | instskip(NEXT) | instid1(VALU_DEP_1)
	v_xor_b32_e32 v6, v3, v0
	v_sub_nc_u64_e32 v[6:7], v[6:7], v[0:1]
.LBB199_929:
	s_mov_b32 s7, 0
	s_mov_b32 s12, -1
.LBB199_930:
	s_and_not1_b32 vcc_lo, exec_lo, s7
	s_mov_b32 s7, 0
	s_cbranch_vccnz .LBB199_941
; %bb.931:
	s_cmp_gt_i32 s1, 14
	s_cbranch_scc0 .LBB199_934
; %bb.932:
	s_cmp_eq_u32 s1, 15
	s_cbranch_scc0 .LBB199_937
; %bb.933:
	global_load_u16 v0, v[4:5], off
	s_mov_b32 s6, 0
	s_mov_b32 s12, -1
	s_wait_loadcnt 0x0
	v_lshlrev_b32_e32 v0, 16, v0
	s_delay_alu instid0(VALU_DEP_1) | instskip(NEXT) | instid1(VALU_DEP_1)
	v_trunc_f32_e32 v0, v0
	v_mul_f32_e64 v1, 0x2f800000, |v0|
	s_delay_alu instid0(VALU_DEP_1) | instskip(NEXT) | instid1(VALU_DEP_1)
	v_floor_f32_e32 v1, v1
	v_fma_f32 v3, 0xcf800000, v1, |v0|
	v_ashrrev_i32_e32 v0, 31, v0
	v_cvt_u32_f32_e32 v6, v1
	s_delay_alu instid0(VALU_DEP_3) | instskip(NEXT) | instid1(VALU_DEP_2)
	v_cvt_u32_f32_e32 v3, v3
	v_dual_mov_b32 v1, v0 :: v_dual_bitop2_b32 v7, v6, v0 bitop3:0x14
	s_delay_alu instid0(VALU_DEP_2) | instskip(NEXT) | instid1(VALU_DEP_1)
	v_xor_b32_e32 v6, v3, v0
	v_sub_nc_u64_e32 v[6:7], v[6:7], v[0:1]
	s_branch .LBB199_939
.LBB199_934:
	s_mov_b32 s7, -1
	s_branch .LBB199_938
.LBB199_935:
	s_and_not1_saveexec_b32 s7, s7
	s_cbranch_execz .LBB199_916
.LBB199_936:
	v_cmp_ne_u16_e32 vcc_lo, 0, v0
	s_and_not1_b32 s12, s12, exec_lo
	s_and_b32 s14, vcc_lo, exec_lo
	s_delay_alu instid0(SALU_CYCLE_1)
	s_or_b32 s12, s12, s14
	s_or_b32 exec_lo, exec_lo, s7
	v_mov_b64_e32 v[6:7], 0
	s_and_saveexec_b32 s7, s12
	s_cbranch_execnz .LBB199_917
	s_branch .LBB199_918
.LBB199_937:
	s_mov_b32 s6, -1
.LBB199_938:
                                        ; implicit-def: $vgpr6_vgpr7
.LBB199_939:
	s_and_b32 vcc_lo, exec_lo, s7
	s_mov_b32 s7, 0
	s_cbranch_vccz .LBB199_941
; %bb.940:
	s_cmp_lg_u32 s1, 11
	s_mov_b32 s7, -1
	s_cselect_b32 s1, -1, 0
	s_and_not1_b32 s6, s6, exec_lo
	s_and_b32 s1, s1, exec_lo
	s_delay_alu instid0(SALU_CYCLE_1)
	s_or_b32 s6, s6, s1
.LBB199_941:
	s_mov_b32 s1, 0
.LBB199_942:
	s_delay_alu instid0(SALU_CYCLE_1)
	s_and_b32 s26, s1, exec_lo
	s_and_not1_b32 s1, s0, exec_lo
	s_and_b32 s6, s6, exec_lo
	s_and_b32 s28, s12, exec_lo
	;; [unrolled: 1-line block ×3, first 2 shown]
	s_or_b32 s29, s1, s6
.LBB199_943:
	s_wait_xcnt 0x0
	s_or_b32 exec_lo, exec_lo, s41
	s_delay_alu instid0(SALU_CYCLE_1)
	s_and_not1_b32 s0, s0, exec_lo
	s_and_b32 s1, s29, exec_lo
	s_and_b32 s28, s28, exec_lo
	;; [unrolled: 1-line block ×4, first 2 shown]
	s_or_b32 s0, s0, s1
.LBB199_944:
	s_or_b32 exec_lo, exec_lo, s31
	s_delay_alu instid0(SALU_CYCLE_1)
	s_and_not1_b32 s1, s48, exec_lo
	s_and_b32 s6, s30, exec_lo
	s_and_b32 s0, s0, exec_lo
	s_or_b32 s48, s1, s6
	s_and_not1_b32 s1, s47, exec_lo
	s_and_b32 s28, s28, exec_lo
	s_and_b32 s26, s26, exec_lo
	;; [unrolled: 1-line block ×3, first 2 shown]
	s_or_b32 s47, s1, s0
.LBB199_945:
	s_or_b32 exec_lo, exec_lo, s49
	s_delay_alu instid0(SALU_CYCLE_1)
	s_and_not1_b32 s0, s44, exec_lo
	s_and_b32 s1, s48, exec_lo
	s_and_b32 s6, s47, exec_lo
	s_or_b32 s44, s0, s1
	s_and_not1_b32 s1, s45, exec_lo
	s_and_b32 s0, s28, exec_lo
	s_and_b32 s26, s26, exec_lo
	;; [unrolled: 1-line block ×3, first 2 shown]
	s_or_b32 s45, s1, s6
	s_or_b32 exec_lo, exec_lo, s46
	s_mov_b32 s1, 0
	s_and_saveexec_b32 s6, s45
	s_cbranch_execz .LBB199_283
.LBB199_946:
	s_mov_b32 s1, exec_lo
	s_and_not1_b32 s21, s21, exec_lo
	s_trap 2
	s_or_b32 exec_lo, exec_lo, s6
	s_and_saveexec_b32 s6, s21
	s_delay_alu instid0(SALU_CYCLE_1)
	s_xor_b32 s6, exec_lo, s6
	s_cbranch_execnz .LBB199_284
.LBB199_947:
	s_or_b32 exec_lo, exec_lo, s6
	s_and_saveexec_b32 s6, s26
	s_cbranch_execz .LBB199_993
.LBB199_948:
	s_sext_i32_i16 s7, s13
	s_delay_alu instid0(SALU_CYCLE_1)
	s_cmp_lt_i32 s7, 5
	s_cbranch_scc1 .LBB199_953
; %bb.949:
	s_cmp_lt_i32 s7, 8
	s_cbranch_scc1 .LBB199_954
; %bb.950:
	;; [unrolled: 3-line block ×3, first 2 shown]
	s_cmp_gt_i32 s7, 9
	s_cbranch_scc0 .LBB199_956
; %bb.952:
	global_load_b64 v[0:1], v[4:5], off
	s_mov_b32 s7, 0
	s_wait_loadcnt 0x0
	v_trunc_f64_e32 v[0:1], v[0:1]
	s_delay_alu instid0(VALU_DEP_1) | instskip(NEXT) | instid1(VALU_DEP_1)
	v_ldexp_f64 v[6:7], v[0:1], 0xffffffe0
	v_floor_f64_e32 v[6:7], v[6:7]
	s_delay_alu instid0(VALU_DEP_1) | instskip(SKIP_1) | instid1(VALU_DEP_2)
	v_fmamk_f64 v[0:1], v[6:7], 0xc1f00000, v[0:1]
	v_cvt_i32_f64_e32 v7, v[6:7]
	v_cvt_u32_f64_e32 v6, v[0:1]
	s_branch .LBB199_957
.LBB199_953:
                                        ; implicit-def: $vgpr6_vgpr7
	s_branch .LBB199_974
.LBB199_954:
                                        ; implicit-def: $vgpr6_vgpr7
	s_branch .LBB199_963
.LBB199_955:
	s_mov_b32 s7, -1
                                        ; implicit-def: $vgpr6_vgpr7
	s_branch .LBB199_960
.LBB199_956:
	s_mov_b32 s7, -1
                                        ; implicit-def: $vgpr6_vgpr7
.LBB199_957:
	s_delay_alu instid0(SALU_CYCLE_1)
	s_and_not1_b32 vcc_lo, exec_lo, s7
	s_cbranch_vccnz .LBB199_959
; %bb.958:
	global_load_b32 v0, v[4:5], off
	s_wait_loadcnt 0x0
	v_trunc_f32_e32 v0, v0
	s_delay_alu instid0(VALU_DEP_1) | instskip(NEXT) | instid1(VALU_DEP_1)
	v_mul_f32_e64 v1, 0x2f800000, |v0|
	v_floor_f32_e32 v1, v1
	s_delay_alu instid0(VALU_DEP_1) | instskip(SKIP_2) | instid1(VALU_DEP_3)
	v_fma_f32 v3, 0xcf800000, v1, |v0|
	v_ashrrev_i32_e32 v0, 31, v0
	v_cvt_u32_f32_e32 v6, v1
	v_cvt_u32_f32_e32 v3, v3
	s_delay_alu instid0(VALU_DEP_2) | instskip(NEXT) | instid1(VALU_DEP_2)
	v_dual_mov_b32 v1, v0 :: v_dual_bitop2_b32 v7, v6, v0 bitop3:0x14
	v_xor_b32_e32 v6, v3, v0
	s_delay_alu instid0(VALU_DEP_1)
	v_sub_nc_u64_e32 v[6:7], v[6:7], v[0:1]
.LBB199_959:
	s_mov_b32 s7, 0
.LBB199_960:
	s_delay_alu instid0(SALU_CYCLE_1)
	s_and_not1_b32 vcc_lo, exec_lo, s7
	s_cbranch_vccnz .LBB199_962
; %bb.961:
	global_load_b32 v0, v[4:5], off
	s_wait_loadcnt 0x0
	v_cvt_f32_f16_e32 v0, v0
	s_delay_alu instid0(VALU_DEP_1) | instskip(NEXT) | instid1(VALU_DEP_1)
	v_cvt_i32_f32_e32 v6, v0
	v_ashrrev_i32_e32 v7, 31, v6
.LBB199_962:
	s_cbranch_execnz .LBB199_973
.LBB199_963:
	s_sext_i32_i16 s7, s13
	s_delay_alu instid0(SALU_CYCLE_1)
	s_cmp_lt_i32 s7, 6
	s_cbranch_scc1 .LBB199_966
; %bb.964:
	s_cmp_gt_i32 s7, 6
	s_cbranch_scc0 .LBB199_967
; %bb.965:
	global_load_b64 v[0:1], v[4:5], off
	s_mov_b32 s7, 0
	s_wait_loadcnt 0x0
	v_trunc_f64_e32 v[0:1], v[0:1]
	s_delay_alu instid0(VALU_DEP_1) | instskip(NEXT) | instid1(VALU_DEP_1)
	v_ldexp_f64 v[6:7], v[0:1], 0xffffffe0
	v_floor_f64_e32 v[6:7], v[6:7]
	s_delay_alu instid0(VALU_DEP_1) | instskip(SKIP_1) | instid1(VALU_DEP_2)
	v_fmamk_f64 v[0:1], v[6:7], 0xc1f00000, v[0:1]
	v_cvt_i32_f64_e32 v7, v[6:7]
	v_cvt_u32_f64_e32 v6, v[0:1]
	s_branch .LBB199_968
.LBB199_966:
	s_mov_b32 s7, -1
                                        ; implicit-def: $vgpr6_vgpr7
	s_branch .LBB199_971
.LBB199_967:
	s_mov_b32 s7, -1
                                        ; implicit-def: $vgpr6_vgpr7
.LBB199_968:
	s_delay_alu instid0(SALU_CYCLE_1)
	s_and_not1_b32 vcc_lo, exec_lo, s7
	s_cbranch_vccnz .LBB199_970
; %bb.969:
	global_load_b32 v0, v[4:5], off
	s_wait_loadcnt 0x0
	v_trunc_f32_e32 v0, v0
	s_delay_alu instid0(VALU_DEP_1) | instskip(NEXT) | instid1(VALU_DEP_1)
	v_mul_f32_e64 v1, 0x2f800000, |v0|
	v_floor_f32_e32 v1, v1
	s_delay_alu instid0(VALU_DEP_1) | instskip(SKIP_2) | instid1(VALU_DEP_3)
	v_fma_f32 v3, 0xcf800000, v1, |v0|
	v_ashrrev_i32_e32 v0, 31, v0
	v_cvt_u32_f32_e32 v6, v1
	v_cvt_u32_f32_e32 v3, v3
	s_delay_alu instid0(VALU_DEP_2) | instskip(NEXT) | instid1(VALU_DEP_2)
	v_dual_mov_b32 v1, v0 :: v_dual_bitop2_b32 v7, v6, v0 bitop3:0x14
	v_xor_b32_e32 v6, v3, v0
	s_delay_alu instid0(VALU_DEP_1)
	v_sub_nc_u64_e32 v[6:7], v[6:7], v[0:1]
.LBB199_970:
	s_mov_b32 s7, 0
.LBB199_971:
	s_delay_alu instid0(SALU_CYCLE_1)
	s_and_not1_b32 vcc_lo, exec_lo, s7
	s_cbranch_vccnz .LBB199_973
; %bb.972:
	global_load_u16 v0, v[4:5], off
	s_wait_loadcnt 0x0
	v_cvt_f32_f16_e32 v0, v0
	s_delay_alu instid0(VALU_DEP_1) | instskip(NEXT) | instid1(VALU_DEP_1)
	v_cvt_i32_f32_e32 v6, v0
	v_ashrrev_i32_e32 v7, 31, v6
.LBB199_973:
	s_cbranch_execnz .LBB199_992
.LBB199_974:
	s_sext_i32_i16 s7, s13
	s_delay_alu instid0(SALU_CYCLE_1)
	s_cmp_lt_i32 s7, 2
	s_cbranch_scc1 .LBB199_978
; %bb.975:
	s_cmp_lt_i32 s7, 3
	s_cbranch_scc1 .LBB199_979
; %bb.976:
	s_cmp_gt_i32 s7, 3
	s_cbranch_scc0 .LBB199_980
; %bb.977:
	s_wait_loadcnt 0x0
	global_load_b64 v[6:7], v[4:5], off
	s_mov_b32 s7, 0
	s_branch .LBB199_981
.LBB199_978:
                                        ; implicit-def: $vgpr6_vgpr7
	s_branch .LBB199_987
.LBB199_979:
	s_mov_b32 s7, -1
                                        ; implicit-def: $vgpr6_vgpr7
	s_branch .LBB199_984
.LBB199_980:
	s_mov_b32 s7, -1
                                        ; implicit-def: $vgpr6_vgpr7
.LBB199_981:
	s_delay_alu instid0(SALU_CYCLE_1)
	s_and_not1_b32 vcc_lo, exec_lo, s7
	s_cbranch_vccnz .LBB199_983
; %bb.982:
	s_wait_loadcnt 0x0
	global_load_b32 v6, v[4:5], off
	s_wait_loadcnt 0x0
	v_ashrrev_i32_e32 v7, 31, v6
.LBB199_983:
	s_mov_b32 s7, 0
.LBB199_984:
	s_delay_alu instid0(SALU_CYCLE_1)
	s_and_not1_b32 vcc_lo, exec_lo, s7
	s_cbranch_vccnz .LBB199_986
; %bb.985:
	global_load_u16 v0, v[4:5], off
	s_wait_loadcnt 0x0
	v_bfe_i32 v6, v0, 0, 16
	s_delay_alu instid0(VALU_DEP_1)
	v_ashrrev_i32_e32 v7, 31, v6
.LBB199_986:
	s_cbranch_execnz .LBB199_992
.LBB199_987:
	s_sext_i32_i16 s7, s13
	s_delay_alu instid0(SALU_CYCLE_1)
	s_cmp_gt_i32 s7, 0
	s_mov_b32 s7, 0
	s_cbranch_scc0 .LBB199_989
; %bb.988:
	global_load_i8 v0, v[4:5], off
	s_wait_loadcnt 0x0
	v_bfe_i32 v6, v0, 0, 16
	s_delay_alu instid0(VALU_DEP_1)
	v_ashrrev_i32_e32 v7, 31, v6
	s_branch .LBB199_990
.LBB199_989:
	s_mov_b32 s7, -1
                                        ; implicit-def: $vgpr6_vgpr7
.LBB199_990:
	s_delay_alu instid0(SALU_CYCLE_1)
	s_and_not1_b32 vcc_lo, exec_lo, s7
	s_cbranch_vccnz .LBB199_992
; %bb.991:
	global_load_u8 v0, v[4:5], off
	s_mov_b32 s7, 0
	s_wait_loadcnt 0x1
	v_mov_b32_e32 v7, s7
	s_wait_loadcnt 0x0
	v_and_b32_e32 v6, 0xffff, v0
.LBB199_992:
	s_or_b32 s0, s0, exec_lo
.LBB199_993:
	s_wait_xcnt 0x0
	s_or_b32 exec_lo, exec_lo, s6
	s_mov_b32 s13, 0
	s_mov_b32 s12, 0
                                        ; implicit-def: $sgpr6
                                        ; implicit-def: $vgpr4_vgpr5
                                        ; implicit-def: $vgpr0_vgpr1
	s_and_saveexec_b32 s7, s0
	s_cbranch_execz .LBB199_997
; %bb.994:
	s_cmp_lt_i32 s39, 1
	s_mov_b32 s0, 0
	s_cbranch_scc1 .LBB199_1000
; %bb.995:
	s_cmp_eq_u32 s39, 1
	s_cbranch_scc0 .LBB199_1014
; %bb.996:
	s_wait_loadcnt 0x0
	s_delay_alu instid0(VALU_DEP_1)
	v_min_i64 v[0:1], v[6:7], s[8:9]
	s_mov_b32 s6, 0
	s_and_b32 vcc_lo, exec_lo, s12
	s_cbranch_vccnz .LBB199_1001
	s_branch .LBB199_1002
.LBB199_997:
	s_or_b32 exec_lo, exec_lo, s7
	s_and_saveexec_b32 s0, s44
	s_cbranch_execnz .LBB199_1084
.LBB199_998:
	s_or_b32 exec_lo, exec_lo, s0
	s_and_saveexec_b32 s0, s13
	s_delay_alu instid0(SALU_CYCLE_1)
	s_xor_b32 s0, exec_lo, s0
	s_cbranch_execz .LBB199_1085
.LBB199_999:
	s_delay_alu instid0(VALU_DEP_3)
	v_cmp_ne_u64_e32 vcc_lo, 0, v[0:1]
	v_cndmask_b32_e64 v2, 0, 1, vcc_lo
	global_store_b8 v[4:5], v2, off
	s_wait_xcnt 0x0
	s_or_b32 exec_lo, exec_lo, s0
	s_and_saveexec_b32 s0, s12
	s_delay_alu instid0(SALU_CYCLE_1)
	s_xor_b32 s0, exec_lo, s0
	s_cbranch_execz .LBB199_1123
	s_branch .LBB199_1086
.LBB199_1000:
	s_mov_b32 s6, 0
                                        ; implicit-def: $vgpr0_vgpr1
	s_cbranch_execz .LBB199_1002
.LBB199_1001:
	s_cmp_lg_u32 s39, 0
	s_mov_b32 s0, -1
	s_cselect_b32 s6, -1, 0
.LBB199_1002:
	s_wait_loadcnt 0x0
	s_delay_alu instid0(VALU_DEP_1)
	v_max_i64 v[4:5], v[6:7], s[8:9]
	s_and_not1_b32 vcc_lo, exec_lo, s6
	s_cbranch_vccnz .LBB199_1004
; %bb.1003:
	v_max_i64 v[0:1], v[6:7], s[8:9]
	s_delay_alu instid0(VALU_DEP_1)
	v_min_i64 v[0:1], v[0:1], s[10:11]
	s_cbranch_execz .LBB199_1005
	s_branch .LBB199_1006
.LBB199_1004:
	s_and_not1_b32 vcc_lo, exec_lo, s0
	s_cbranch_vccnz .LBB199_1006
.LBB199_1005:
	s_delay_alu instid0(VALU_DEP_1)
	v_mov_b64_e32 v[0:1], v[4:5]
.LBB199_1006:
	v_mov_b32_e32 v3, 0
	s_and_b32 s6, s38, 0xff
	s_delay_alu instid0(SALU_CYCLE_1) | instskip(NEXT) | instid1(VALU_DEP_1)
	s_cmp_lt_i32 s6, 11
	v_add_nc_u64_e32 v[4:5], s[4:5], v[2:3]
	s_cbranch_scc1 .LBB199_1013
; %bb.1007:
	s_and_b32 s4, 0xffff, s6
	s_mov_b32 s5, -1
	s_cmp_gt_i32 s4, 25
	s_mov_b32 s0, s44
	s_cbranch_scc0 .LBB199_1042
; %bb.1008:
	s_cmp_gt_i32 s4, 28
	s_mov_b32 s0, s44
	s_cbranch_scc0 .LBB199_1026
; %bb.1009:
	;; [unrolled: 4-line block ×4, first 2 shown]
	s_cmp_eq_u32 s4, 46
	s_mov_b32 s0, -1
	s_cbranch_scc0 .LBB199_1015
; %bb.1012:
	s_delay_alu instid0(VALU_DEP_3) | instskip(SKIP_3) | instid1(VALU_DEP_2)
	v_xor_b32_e32 v2, v0, v1
	v_cls_i32_e32 v3, v1
	s_mov_b32 s0, 0
	s_mov_b32 s5, 0
	v_ashrrev_i32_e32 v2, 31, v2
	s_delay_alu instid0(VALU_DEP_1) | instskip(NEXT) | instid1(VALU_DEP_1)
	v_add_nc_u32_e32 v2, 32, v2
	v_add_min_u32_e64 v6, v3, -1, v2
	s_delay_alu instid0(VALU_DEP_1) | instskip(NEXT) | instid1(VALU_DEP_1)
	v_lshlrev_b64_e32 v[2:3], v6, v[0:1]
	v_min_u32_e32 v2, 1, v2
	s_delay_alu instid0(VALU_DEP_1) | instskip(SKIP_1) | instid1(VALU_DEP_2)
	v_or_b32_e32 v2, v3, v2
	v_sub_nc_u32_e32 v3, 32, v6
	v_cvt_f32_i32_e32 v2, v2
	s_delay_alu instid0(VALU_DEP_1) | instskip(NEXT) | instid1(VALU_DEP_1)
	v_ldexp_f32 v2, v2, v3
	v_bfe_u32 v3, v2, 16, 1
	s_delay_alu instid0(VALU_DEP_1) | instskip(NEXT) | instid1(VALU_DEP_1)
	v_add3_u32 v2, v2, v3, 0x7fff
	v_lshrrev_b32_e32 v2, 16, v2
	global_store_b32 v[4:5], v2, off
	s_branch .LBB199_1016
.LBB199_1013:
	s_mov_b32 s8, 0
	s_mov_b32 s5, -1
	s_mov_b32 s0, s44
	s_branch .LBB199_1083
.LBB199_1014:
	s_mov_b32 s6, -1
                                        ; implicit-def: $vgpr0_vgpr1
	s_and_b32 vcc_lo, exec_lo, s12
	s_cbranch_vccnz .LBB199_1001
	s_branch .LBB199_1002
.LBB199_1015:
	s_mov_b32 s5, 0
.LBB199_1016:
	s_delay_alu instid0(SALU_CYCLE_1)
	s_and_b32 vcc_lo, exec_lo, s5
	s_cbranch_vccz .LBB199_1021
; %bb.1017:
	s_cmp_eq_u32 s4, 44
	s_mov_b32 s0, -1
	s_cbranch_scc0 .LBB199_1021
; %bb.1018:
	s_wait_xcnt 0x0
	s_delay_alu instid0(VALU_DEP_3) | instskip(SKIP_2) | instid1(VALU_DEP_2)
	v_xor_b32_e32 v2, v0, v1
	v_cls_i32_e32 v3, v1
	s_mov_b32 s5, exec_lo
	v_ashrrev_i32_e32 v2, 31, v2
	s_delay_alu instid0(VALU_DEP_1) | instskip(NEXT) | instid1(VALU_DEP_1)
	v_add_nc_u32_e32 v2, 32, v2
	v_add_min_u32_e64 v6, v3, -1, v2
	s_delay_alu instid0(VALU_DEP_1) | instskip(NEXT) | instid1(VALU_DEP_1)
	v_lshlrev_b64_e32 v[2:3], v6, v[0:1]
	v_min_u32_e32 v2, 1, v2
	s_delay_alu instid0(VALU_DEP_1) | instskip(SKIP_1) | instid1(VALU_DEP_2)
	v_or_b32_e32 v2, v3, v2
	v_sub_nc_u32_e32 v3, 32, v6
	v_cvt_f32_i32_e32 v2, v2
	s_delay_alu instid0(VALU_DEP_1) | instskip(SKIP_1) | instid1(VALU_DEP_2)
	v_ldexp_f32 v2, v2, v3
	v_mov_b32_e32 v3, 0xff
	v_bfe_u32 v6, v2, 23, 8
	s_delay_alu instid0(VALU_DEP_1)
	v_cmpx_ne_u32_e32 0xff, v6
	s_cbranch_execz .LBB199_1020
; %bb.1019:
	v_and_b32_e32 v3, 0x400000, v2
	v_and_or_b32 v6, 0x3fffff, v2, v6
	v_lshrrev_b32_e32 v2, 23, v2
	s_delay_alu instid0(VALU_DEP_3) | instskip(NEXT) | instid1(VALU_DEP_3)
	v_cmp_ne_u32_e32 vcc_lo, 0, v3
	v_cmp_ne_u32_e64 s0, 0, v6
	s_and_b32 s0, vcc_lo, s0
	s_delay_alu instid0(SALU_CYCLE_1) | instskip(NEXT) | instid1(VALU_DEP_1)
	v_cndmask_b32_e64 v3, 0, 1, s0
	v_add_nc_u32_e32 v3, v2, v3
.LBB199_1020:
	s_or_b32 exec_lo, exec_lo, s5
	s_mov_b32 s0, 0
	global_store_b8 v[4:5], v3, off
.LBB199_1021:
	s_mov_b32 s5, 0
.LBB199_1022:
	s_delay_alu instid0(SALU_CYCLE_1)
	s_and_b32 vcc_lo, exec_lo, s5
	s_cbranch_vccz .LBB199_1025
; %bb.1023:
	s_cmp_eq_u32 s4, 29
	s_mov_b32 s0, -1
	s_cbranch_scc0 .LBB199_1025
; %bb.1024:
	s_mov_b32 s0, 0
	global_store_b64 v[4:5], v[0:1], off
.LBB199_1025:
	s_mov_b32 s5, 0
.LBB199_1026:
	s_delay_alu instid0(SALU_CYCLE_1)
	s_and_b32 vcc_lo, exec_lo, s5
	s_cbranch_vccz .LBB199_1041
; %bb.1027:
	s_cmp_lt_i32 s4, 27
	s_mov_b32 s5, -1
	s_cbranch_scc1 .LBB199_1033
; %bb.1028:
	s_cmp_gt_i32 s4, 27
	s_cbranch_scc0 .LBB199_1030
; %bb.1029:
	s_mov_b32 s5, 0
	global_store_b32 v[4:5], v0, off
.LBB199_1030:
	s_and_not1_b32 vcc_lo, exec_lo, s5
	s_cbranch_vccnz .LBB199_1032
; %bb.1031:
	global_store_b16 v[4:5], v0, off
.LBB199_1032:
	s_mov_b32 s5, 0
.LBB199_1033:
	s_delay_alu instid0(SALU_CYCLE_1)
	s_and_not1_b32 vcc_lo, exec_lo, s5
	s_cbranch_vccnz .LBB199_1041
; %bb.1034:
	s_wait_xcnt 0x0
	s_delay_alu instid0(VALU_DEP_3) | instskip(SKIP_2) | instid1(VALU_DEP_2)
	v_xor_b32_e32 v2, v0, v1
	v_cls_i32_e32 v3, v1
	s_mov_b32 s5, exec_lo
	v_ashrrev_i32_e32 v2, 31, v2
	s_delay_alu instid0(VALU_DEP_1) | instskip(NEXT) | instid1(VALU_DEP_1)
	v_add_nc_u32_e32 v2, 32, v2
	v_add_min_u32_e64 v6, v3, -1, v2
	s_delay_alu instid0(VALU_DEP_1) | instskip(NEXT) | instid1(VALU_DEP_1)
	v_lshlrev_b64_e32 v[2:3], v6, v[0:1]
	v_min_u32_e32 v2, 1, v2
	s_delay_alu instid0(VALU_DEP_1) | instskip(SKIP_1) | instid1(VALU_DEP_2)
	v_or_b32_e32 v2, v3, v2
	v_dual_mov_b32 v6, 0x80 :: v_dual_sub_nc_u32 v3, 32, v6
	v_cvt_f32_i32_e32 v2, v2
	s_delay_alu instid0(VALU_DEP_1) | instskip(NEXT) | instid1(VALU_DEP_1)
	v_ldexp_f32 v2, v2, v3
	v_and_b32_e32 v3, 0x7fffffff, v2
	s_delay_alu instid0(VALU_DEP_1)
	v_cmpx_gt_u32_e32 0x43800000, v3
	s_cbranch_execz .LBB199_1040
; %bb.1035:
	v_cmp_lt_u32_e32 vcc_lo, 0x3bffffff, v3
	s_mov_b32 s8, 0
                                        ; implicit-def: $vgpr3
	s_and_saveexec_b32 s9, vcc_lo
	s_delay_alu instid0(SALU_CYCLE_1)
	s_xor_b32 s9, exec_lo, s9
	s_cbranch_execz .LBB199_1198
; %bb.1036:
	v_bfe_u32 v3, v2, 20, 1
	s_mov_b32 s8, exec_lo
	s_delay_alu instid0(VALU_DEP_1) | instskip(NEXT) | instid1(VALU_DEP_1)
	v_add3_u32 v3, v2, v3, 0x487ffff
	v_lshrrev_b32_e32 v3, 20, v3
	s_and_not1_saveexec_b32 s9, s9
	s_cbranch_execnz .LBB199_1199
.LBB199_1037:
	s_or_b32 exec_lo, exec_lo, s9
	v_mov_b32_e32 v6, 0
	s_and_saveexec_b32 s9, s8
.LBB199_1038:
	v_lshrrev_b32_e32 v2, 24, v2
	s_delay_alu instid0(VALU_DEP_1)
	v_and_or_b32 v6, 0x80, v2, v3
.LBB199_1039:
	s_or_b32 exec_lo, exec_lo, s9
.LBB199_1040:
	s_delay_alu instid0(SALU_CYCLE_1)
	s_or_b32 exec_lo, exec_lo, s5
	global_store_b8 v[4:5], v6, off
.LBB199_1041:
	s_mov_b32 s5, 0
.LBB199_1042:
	s_delay_alu instid0(SALU_CYCLE_1)
	s_and_b32 vcc_lo, exec_lo, s5
	s_mov_b32 s5, 0
	s_cbranch_vccz .LBB199_1082
; %bb.1043:
	s_cmp_gt_i32 s4, 22
	s_mov_b32 s8, -1
	s_cbranch_scc0 .LBB199_1075
; %bb.1044:
	s_cmp_lt_i32 s4, 24
	s_cbranch_scc1 .LBB199_1064
; %bb.1045:
	s_cmp_gt_i32 s4, 24
	s_cbranch_scc0 .LBB199_1053
; %bb.1046:
	s_wait_xcnt 0x0
	s_delay_alu instid0(VALU_DEP_3) | instskip(SKIP_2) | instid1(VALU_DEP_2)
	v_xor_b32_e32 v2, v0, v1
	v_cls_i32_e32 v3, v1
	s_mov_b32 s8, exec_lo
	v_ashrrev_i32_e32 v2, 31, v2
	s_delay_alu instid0(VALU_DEP_1) | instskip(NEXT) | instid1(VALU_DEP_1)
	v_add_nc_u32_e32 v2, 32, v2
	v_add_min_u32_e64 v6, v3, -1, v2
	s_delay_alu instid0(VALU_DEP_1) | instskip(NEXT) | instid1(VALU_DEP_1)
	v_lshlrev_b64_e32 v[2:3], v6, v[0:1]
	v_min_u32_e32 v2, 1, v2
	s_delay_alu instid0(VALU_DEP_1) | instskip(SKIP_1) | instid1(VALU_DEP_2)
	v_or_b32_e32 v2, v3, v2
	v_dual_mov_b32 v6, 0x80 :: v_dual_sub_nc_u32 v3, 32, v6
	v_cvt_f32_i32_e32 v2, v2
	s_delay_alu instid0(VALU_DEP_1) | instskip(NEXT) | instid1(VALU_DEP_1)
	v_ldexp_f32 v2, v2, v3
	v_and_b32_e32 v3, 0x7fffffff, v2
	s_delay_alu instid0(VALU_DEP_1)
	v_cmpx_gt_u32_e32 0x47800000, v3
	s_cbranch_execz .LBB199_1052
; %bb.1047:
	v_cmp_lt_u32_e32 vcc_lo, 0x37ffffff, v3
	s_mov_b32 s9, 0
                                        ; implicit-def: $vgpr3
	s_and_saveexec_b32 s10, vcc_lo
	s_delay_alu instid0(SALU_CYCLE_1)
	s_xor_b32 s10, exec_lo, s10
	s_cbranch_execz .LBB199_1329
; %bb.1048:
	v_bfe_u32 v3, v2, 21, 1
	s_mov_b32 s9, exec_lo
	s_delay_alu instid0(VALU_DEP_1) | instskip(NEXT) | instid1(VALU_DEP_1)
	v_add3_u32 v3, v2, v3, 0x88fffff
	v_lshrrev_b32_e32 v3, 21, v3
	s_and_not1_saveexec_b32 s10, s10
	s_cbranch_execnz .LBB199_1330
.LBB199_1049:
	s_or_b32 exec_lo, exec_lo, s10
	v_mov_b32_e32 v6, 0
	s_and_saveexec_b32 s10, s9
.LBB199_1050:
	v_lshrrev_b32_e32 v2, 24, v2
	s_delay_alu instid0(VALU_DEP_1)
	v_and_or_b32 v6, 0x80, v2, v3
.LBB199_1051:
	s_or_b32 exec_lo, exec_lo, s10
.LBB199_1052:
	s_delay_alu instid0(SALU_CYCLE_1)
	s_or_b32 exec_lo, exec_lo, s8
	s_mov_b32 s8, 0
	global_store_b8 v[4:5], v6, off
.LBB199_1053:
	s_and_b32 vcc_lo, exec_lo, s8
	s_cbranch_vccz .LBB199_1063
; %bb.1054:
	s_wait_xcnt 0x0
	s_delay_alu instid0(VALU_DEP_3) | instskip(SKIP_2) | instid1(VALU_DEP_2)
	v_xor_b32_e32 v2, v0, v1
	v_cls_i32_e32 v3, v1
	s_mov_b32 s8, exec_lo
	v_ashrrev_i32_e32 v2, 31, v2
	s_delay_alu instid0(VALU_DEP_1) | instskip(NEXT) | instid1(VALU_DEP_1)
	v_add_nc_u32_e32 v2, 32, v2
	v_add_min_u32_e64 v6, v3, -1, v2
	s_delay_alu instid0(VALU_DEP_1) | instskip(NEXT) | instid1(VALU_DEP_1)
	v_lshlrev_b64_e32 v[2:3], v6, v[0:1]
	v_min_u32_e32 v2, 1, v2
	s_delay_alu instid0(VALU_DEP_1) | instskip(SKIP_1) | instid1(VALU_DEP_2)
	v_or_b32_e32 v2, v3, v2
	v_sub_nc_u32_e32 v3, 32, v6
	v_cvt_f32_i32_e32 v2, v2
	s_delay_alu instid0(VALU_DEP_1) | instskip(NEXT) | instid1(VALU_DEP_1)
	v_ldexp_f32 v2, v2, v3
                                        ; implicit-def: $vgpr3
	v_and_b32_e32 v6, 0x7fffffff, v2
	s_delay_alu instid0(VALU_DEP_1)
	v_cmpx_gt_u32_e32 0x43f00000, v6
	s_xor_b32 s8, exec_lo, s8
	s_cbranch_execz .LBB199_1060
; %bb.1055:
	s_mov_b32 s9, exec_lo
                                        ; implicit-def: $vgpr3
	v_cmpx_lt_u32_e32 0x3c7fffff, v6
	s_xor_b32 s9, exec_lo, s9
; %bb.1056:
	v_bfe_u32 v3, v2, 20, 1
	s_delay_alu instid0(VALU_DEP_1) | instskip(NEXT) | instid1(VALU_DEP_1)
	v_add3_u32 v3, v2, v3, 0x407ffff
	v_and_b32_e32 v6, 0xff00000, v3
	v_lshrrev_b32_e32 v3, 20, v3
	s_delay_alu instid0(VALU_DEP_2) | instskip(NEXT) | instid1(VALU_DEP_2)
	v_cmp_ne_u32_e32 vcc_lo, 0x7f00000, v6
	v_cndmask_b32_e32 v3, 0x7e, v3, vcc_lo
; %bb.1057:
	s_and_not1_saveexec_b32 s9, s9
; %bb.1058:
	v_add_f32_e64 v3, 0x46800000, |v2|
; %bb.1059:
	s_or_b32 exec_lo, exec_lo, s9
                                        ; implicit-def: $vgpr6
.LBB199_1060:
	s_and_not1_saveexec_b32 s8, s8
; %bb.1061:
	v_mov_b32_e32 v3, 0x7f
	v_cmp_lt_u32_e32 vcc_lo, 0x7f800000, v6
	s_delay_alu instid0(VALU_DEP_2)
	v_cndmask_b32_e32 v3, 0x7e, v3, vcc_lo
; %bb.1062:
	s_or_b32 exec_lo, exec_lo, s8
	v_lshrrev_b32_e32 v2, 24, v2
	s_delay_alu instid0(VALU_DEP_1)
	v_and_or_b32 v2, 0x80, v2, v3
	global_store_b8 v[4:5], v2, off
.LBB199_1063:
	s_mov_b32 s8, 0
.LBB199_1064:
	s_delay_alu instid0(SALU_CYCLE_1)
	s_and_not1_b32 vcc_lo, exec_lo, s8
	s_cbranch_vccnz .LBB199_1074
; %bb.1065:
	s_wait_xcnt 0x0
	s_delay_alu instid0(VALU_DEP_3) | instskip(SKIP_2) | instid1(VALU_DEP_2)
	v_xor_b32_e32 v2, v0, v1
	v_cls_i32_e32 v3, v1
	s_mov_b32 s8, exec_lo
	v_ashrrev_i32_e32 v2, 31, v2
	s_delay_alu instid0(VALU_DEP_1) | instskip(NEXT) | instid1(VALU_DEP_1)
	v_add_nc_u32_e32 v2, 32, v2
	v_add_min_u32_e64 v6, v3, -1, v2
	s_delay_alu instid0(VALU_DEP_1) | instskip(NEXT) | instid1(VALU_DEP_1)
	v_lshlrev_b64_e32 v[2:3], v6, v[0:1]
	v_min_u32_e32 v2, 1, v2
	s_delay_alu instid0(VALU_DEP_1) | instskip(SKIP_1) | instid1(VALU_DEP_2)
	v_or_b32_e32 v2, v3, v2
	v_sub_nc_u32_e32 v3, 32, v6
	v_cvt_f32_i32_e32 v2, v2
	s_delay_alu instid0(VALU_DEP_1) | instskip(NEXT) | instid1(VALU_DEP_1)
	v_ldexp_f32 v2, v2, v3
                                        ; implicit-def: $vgpr3
	v_and_b32_e32 v6, 0x7fffffff, v2
	s_delay_alu instid0(VALU_DEP_1)
	v_cmpx_gt_u32_e32 0x47800000, v6
	s_xor_b32 s8, exec_lo, s8
	s_cbranch_execz .LBB199_1071
; %bb.1066:
	s_mov_b32 s9, exec_lo
                                        ; implicit-def: $vgpr3
	v_cmpx_lt_u32_e32 0x387fffff, v6
	s_xor_b32 s9, exec_lo, s9
; %bb.1067:
	v_bfe_u32 v3, v2, 21, 1
	s_delay_alu instid0(VALU_DEP_1) | instskip(NEXT) | instid1(VALU_DEP_1)
	v_add3_u32 v3, v2, v3, 0x80fffff
	v_lshrrev_b32_e32 v3, 21, v3
; %bb.1068:
	s_and_not1_saveexec_b32 s9, s9
; %bb.1069:
	v_add_f32_e64 v3, 0x43000000, |v2|
; %bb.1070:
	s_or_b32 exec_lo, exec_lo, s9
                                        ; implicit-def: $vgpr6
.LBB199_1071:
	s_and_not1_saveexec_b32 s8, s8
; %bb.1072:
	v_mov_b32_e32 v3, 0x7f
	v_cmp_lt_u32_e32 vcc_lo, 0x7f800000, v6
	s_delay_alu instid0(VALU_DEP_2)
	v_cndmask_b32_e32 v3, 0x7c, v3, vcc_lo
; %bb.1073:
	s_or_b32 exec_lo, exec_lo, s8
	v_lshrrev_b32_e32 v2, 24, v2
	s_delay_alu instid0(VALU_DEP_1)
	v_and_or_b32 v2, 0x80, v2, v3
	global_store_b8 v[4:5], v2, off
.LBB199_1074:
	s_mov_b32 s8, 0
.LBB199_1075:
	s_delay_alu instid0(SALU_CYCLE_1)
	s_and_not1_b32 vcc_lo, exec_lo, s8
	s_mov_b32 s8, 0
	s_cbranch_vccnz .LBB199_1083
; %bb.1076:
	s_cmp_gt_i32 s4, 14
	s_mov_b32 s8, -1
	s_cbranch_scc0 .LBB199_1080
; %bb.1077:
	s_cmp_eq_u32 s4, 15
	s_mov_b32 s0, -1
	s_cbranch_scc0 .LBB199_1079
; %bb.1078:
	s_wait_xcnt 0x0
	s_delay_alu instid0(VALU_DEP_3) | instskip(SKIP_2) | instid1(VALU_DEP_2)
	v_xor_b32_e32 v2, v0, v1
	v_cls_i32_e32 v3, v1
	s_mov_b32 s0, 0
	v_ashrrev_i32_e32 v2, 31, v2
	s_delay_alu instid0(VALU_DEP_1) | instskip(NEXT) | instid1(VALU_DEP_1)
	v_add_nc_u32_e32 v2, 32, v2
	v_add_min_u32_e64 v6, v3, -1, v2
	s_delay_alu instid0(VALU_DEP_1) | instskip(NEXT) | instid1(VALU_DEP_1)
	v_lshlrev_b64_e32 v[2:3], v6, v[0:1]
	v_min_u32_e32 v2, 1, v2
	s_delay_alu instid0(VALU_DEP_1) | instskip(SKIP_1) | instid1(VALU_DEP_2)
	v_or_b32_e32 v2, v3, v2
	v_sub_nc_u32_e32 v3, 32, v6
	v_cvt_f32_i32_e32 v2, v2
	s_delay_alu instid0(VALU_DEP_1) | instskip(NEXT) | instid1(VALU_DEP_1)
	v_ldexp_f32 v2, v2, v3
	v_bfe_u32 v3, v2, 16, 1
	s_delay_alu instid0(VALU_DEP_1)
	v_add3_u32 v2, v2, v3, 0x7fff
	global_store_d16_hi_b16 v[4:5], v2, off
.LBB199_1079:
	s_mov_b32 s8, 0
.LBB199_1080:
	s_delay_alu instid0(SALU_CYCLE_1)
	s_and_b32 vcc_lo, exec_lo, s8
	s_mov_b32 s8, 0
	s_cbranch_vccz .LBB199_1083
; %bb.1081:
	s_cmp_lg_u32 s4, 11
	s_mov_b32 s8, -1
	s_cselect_b32 s4, -1, 0
	s_and_not1_b32 s0, s0, exec_lo
	s_and_b32 s4, s4, exec_lo
	s_delay_alu instid0(SALU_CYCLE_1)
	s_or_b32 s0, s0, s4
	s_branch .LBB199_1083
.LBB199_1082:
	s_mov_b32 s8, 0
.LBB199_1083:
	s_and_not1_b32 s4, s44, exec_lo
	s_and_b32 s0, s0, exec_lo
	s_and_b32 s12, s5, exec_lo
	;; [unrolled: 1-line block ×3, first 2 shown]
	s_or_b32 s44, s4, s0
	s_wait_xcnt 0x0
	s_or_b32 exec_lo, exec_lo, s7
	s_and_saveexec_b32 s0, s44
	s_cbranch_execz .LBB199_998
.LBB199_1084:
	s_or_b32 s1, s1, exec_lo
	s_and_not1_b32 s13, s13, exec_lo
	s_trap 2
	s_or_b32 exec_lo, exec_lo, s0
	s_and_saveexec_b32 s0, s13
	s_delay_alu instid0(SALU_CYCLE_1)
	s_xor_b32 s0, exec_lo, s0
	s_cbranch_execnz .LBB199_999
.LBB199_1085:
	s_or_b32 exec_lo, exec_lo, s0
	s_and_saveexec_b32 s0, s12
	s_delay_alu instid0(SALU_CYCLE_1)
	s_xor_b32 s0, exec_lo, s0
	s_cbranch_execz .LBB199_1123
.LBB199_1086:
	s_sext_i32_i16 s5, s6
	s_mov_b32 s4, -1
	s_cmp_lt_i32 s5, 5
	s_cbranch_scc1 .LBB199_1107
; %bb.1087:
	s_cmp_lt_i32 s5, 8
	s_cbranch_scc1 .LBB199_1097
; %bb.1088:
	;; [unrolled: 3-line block ×3, first 2 shown]
	s_cmp_gt_i32 s5, 9
	s_cbranch_scc0 .LBB199_1091
; %bb.1090:
	v_cvt_f64_i32_e32 v[2:3], v1
	s_wait_loadcnt 0x0
	v_cvt_f64_u32_e32 v[6:7], v0
	s_mov_b32 s4, 0
	v_mov_b32_e32 v8, 0
	s_delay_alu instid0(VALU_DEP_1) | instskip(NEXT) | instid1(VALU_DEP_4)
	v_mov_b32_e32 v9, v8
	v_ldexp_f64 v[2:3], v[2:3], 32
	s_delay_alu instid0(VALU_DEP_1)
	v_add_f64_e32 v[6:7], v[2:3], v[6:7]
	global_store_b128 v[4:5], v[6:9], off
.LBB199_1091:
	s_and_not1_b32 vcc_lo, exec_lo, s4
	s_cbranch_vccnz .LBB199_1093
; %bb.1092:
	v_xor_b32_e32 v2, v0, v1
	v_cls_i32_e32 v3, v1
	s_delay_alu instid0(VALU_DEP_2) | instskip(NEXT) | instid1(VALU_DEP_1)
	v_ashrrev_i32_e32 v2, 31, v2
	v_add_nc_u32_e32 v2, 32, v2
	s_wait_loadcnt 0x0
	s_delay_alu instid0(VALU_DEP_1) | instskip(NEXT) | instid1(VALU_DEP_1)
	v_add_min_u32_e64 v6, v3, -1, v2
	v_lshlrev_b64_e32 v[2:3], v6, v[0:1]
	s_delay_alu instid0(VALU_DEP_1) | instskip(NEXT) | instid1(VALU_DEP_1)
	v_min_u32_e32 v2, 1, v2
	v_or_b32_e32 v2, v3, v2
	v_sub_nc_u32_e32 v3, 32, v6
	s_delay_alu instid0(VALU_DEP_2) | instskip(NEXT) | instid1(VALU_DEP_1)
	v_cvt_f32_i32_e32 v2, v2
	v_ldexp_f32 v2, v2, v3
	v_mov_b32_e32 v3, 0
	global_store_b64 v[4:5], v[2:3], off
.LBB199_1093:
	s_mov_b32 s4, 0
.LBB199_1094:
	s_delay_alu instid0(SALU_CYCLE_1)
	s_and_not1_b32 vcc_lo, exec_lo, s4
	s_cbranch_vccnz .LBB199_1096
; %bb.1095:
	s_wait_xcnt 0x0
	v_xor_b32_e32 v2, v0, v1
	v_cls_i32_e32 v3, v1
	s_delay_alu instid0(VALU_DEP_2) | instskip(NEXT) | instid1(VALU_DEP_1)
	v_ashrrev_i32_e32 v2, 31, v2
	v_add_nc_u32_e32 v2, 32, v2
	s_wait_loadcnt 0x0
	s_delay_alu instid0(VALU_DEP_1) | instskip(NEXT) | instid1(VALU_DEP_1)
	v_add_min_u32_e64 v6, v3, -1, v2
	v_lshlrev_b64_e32 v[2:3], v6, v[0:1]
	s_delay_alu instid0(VALU_DEP_1) | instskip(NEXT) | instid1(VALU_DEP_1)
	v_min_u32_e32 v2, 1, v2
	v_or_b32_e32 v2, v3, v2
	v_sub_nc_u32_e32 v3, 32, v6
	s_delay_alu instid0(VALU_DEP_2) | instskip(NEXT) | instid1(VALU_DEP_1)
	v_cvt_f32_i32_e32 v2, v2
	v_ldexp_f32 v2, v2, v3
	s_delay_alu instid0(VALU_DEP_1) | instskip(NEXT) | instid1(VALU_DEP_1)
	v_cvt_f16_f32_e32 v2, v2
	v_and_b32_e32 v2, 0xffff, v2
	global_store_b32 v[4:5], v2, off
.LBB199_1096:
	s_mov_b32 s4, 0
.LBB199_1097:
	s_delay_alu instid0(SALU_CYCLE_1)
	s_and_not1_b32 vcc_lo, exec_lo, s4
	s_cbranch_vccnz .LBB199_1106
; %bb.1098:
	s_sext_i32_i16 s5, s6
	s_mov_b32 s4, -1
	s_cmp_lt_i32 s5, 6
	s_cbranch_scc1 .LBB199_1104
; %bb.1099:
	s_cmp_gt_i32 s5, 6
	s_cbranch_scc0 .LBB199_1101
; %bb.1100:
	s_wait_xcnt 0x0
	v_cvt_f64_i32_e32 v[2:3], v1
	s_wait_loadcnt 0x0
	v_cvt_f64_u32_e32 v[6:7], v0
	s_mov_b32 s4, 0
	s_delay_alu instid0(VALU_DEP_2) | instskip(NEXT) | instid1(VALU_DEP_1)
	v_ldexp_f64 v[2:3], v[2:3], 32
	v_add_f64_e32 v[2:3], v[2:3], v[6:7]
	global_store_b64 v[4:5], v[2:3], off
.LBB199_1101:
	s_and_not1_b32 vcc_lo, exec_lo, s4
	s_cbranch_vccnz .LBB199_1103
; %bb.1102:
	s_wait_xcnt 0x0
	v_xor_b32_e32 v2, v0, v1
	v_cls_i32_e32 v3, v1
	s_delay_alu instid0(VALU_DEP_2) | instskip(NEXT) | instid1(VALU_DEP_1)
	v_ashrrev_i32_e32 v2, 31, v2
	v_add_nc_u32_e32 v2, 32, v2
	s_wait_loadcnt 0x0
	s_delay_alu instid0(VALU_DEP_1) | instskip(NEXT) | instid1(VALU_DEP_1)
	v_add_min_u32_e64 v6, v3, -1, v2
	v_lshlrev_b64_e32 v[2:3], v6, v[0:1]
	s_delay_alu instid0(VALU_DEP_1) | instskip(NEXT) | instid1(VALU_DEP_1)
	v_min_u32_e32 v2, 1, v2
	v_or_b32_e32 v2, v3, v2
	v_sub_nc_u32_e32 v3, 32, v6
	s_delay_alu instid0(VALU_DEP_2) | instskip(NEXT) | instid1(VALU_DEP_1)
	v_cvt_f32_i32_e32 v2, v2
	v_ldexp_f32 v2, v2, v3
	global_store_b32 v[4:5], v2, off
.LBB199_1103:
	s_mov_b32 s4, 0
.LBB199_1104:
	s_delay_alu instid0(SALU_CYCLE_1)
	s_and_not1_b32 vcc_lo, exec_lo, s4
	s_cbranch_vccnz .LBB199_1106
; %bb.1105:
	s_wait_xcnt 0x0
	v_xor_b32_e32 v2, v0, v1
	v_cls_i32_e32 v3, v1
	s_delay_alu instid0(VALU_DEP_2) | instskip(NEXT) | instid1(VALU_DEP_1)
	v_ashrrev_i32_e32 v2, 31, v2
	v_add_nc_u32_e32 v2, 32, v2
	s_wait_loadcnt 0x0
	s_delay_alu instid0(VALU_DEP_1) | instskip(NEXT) | instid1(VALU_DEP_1)
	v_add_min_u32_e64 v6, v3, -1, v2
	v_lshlrev_b64_e32 v[2:3], v6, v[0:1]
	s_delay_alu instid0(VALU_DEP_1) | instskip(NEXT) | instid1(VALU_DEP_1)
	v_min_u32_e32 v2, 1, v2
	v_or_b32_e32 v2, v3, v2
	v_sub_nc_u32_e32 v3, 32, v6
	s_delay_alu instid0(VALU_DEP_2) | instskip(NEXT) | instid1(VALU_DEP_1)
	v_cvt_f32_i32_e32 v2, v2
	v_ldexp_f32 v2, v2, v3
	s_delay_alu instid0(VALU_DEP_1)
	v_cvt_f16_f32_e32 v2, v2
	global_store_b16 v[4:5], v2, off
.LBB199_1106:
	s_mov_b32 s4, 0
.LBB199_1107:
	s_delay_alu instid0(SALU_CYCLE_1)
	s_and_not1_b32 vcc_lo, exec_lo, s4
	s_cbranch_vccnz .LBB199_1123
; %bb.1108:
	s_sext_i32_i16 s5, s6
	s_mov_b32 s4, -1
	s_cmp_lt_i32 s5, 2
	s_cbranch_scc1 .LBB199_1118
; %bb.1109:
	s_cmp_lt_i32 s5, 3
	s_cbranch_scc1 .LBB199_1115
; %bb.1110:
	s_cmp_gt_i32 s5, 3
	s_cbranch_scc0 .LBB199_1112
; %bb.1111:
	s_mov_b32 s4, 0
	global_store_b64 v[4:5], v[0:1], off
.LBB199_1112:
	s_and_not1_b32 vcc_lo, exec_lo, s4
	s_cbranch_vccnz .LBB199_1114
; %bb.1113:
	global_store_b32 v[4:5], v0, off
.LBB199_1114:
	s_mov_b32 s4, 0
.LBB199_1115:
	s_delay_alu instid0(SALU_CYCLE_1)
	s_and_not1_b32 vcc_lo, exec_lo, s4
	s_cbranch_vccnz .LBB199_1117
; %bb.1116:
	global_store_b16 v[4:5], v0, off
.LBB199_1117:
	s_mov_b32 s4, 0
.LBB199_1118:
	s_delay_alu instid0(SALU_CYCLE_1)
	s_and_not1_b32 vcc_lo, exec_lo, s4
	s_cbranch_vccnz .LBB199_1123
; %bb.1119:
	s_sext_i32_i16 s4, s6
	s_delay_alu instid0(SALU_CYCLE_1)
	s_cmp_gt_i32 s4, 0
	s_mov_b32 s4, -1
	s_cbranch_scc0 .LBB199_1121
; %bb.1120:
	s_mov_b32 s4, 0
	global_store_b8 v[4:5], v0, off
.LBB199_1121:
	s_and_not1_b32 vcc_lo, exec_lo, s4
	s_cbranch_vccnz .LBB199_1123
; %bb.1122:
	global_store_b8 v[4:5], v0, off
.LBB199_1123:
	s_wait_xcnt 0x0
	s_or_b32 exec_lo, exec_lo, s0
	s_delay_alu instid0(SALU_CYCLE_1)
	s_and_b32 s8, s1, exec_lo
                                        ; implicit-def: $vgpr9
                                        ; implicit-def: $vgpr0
.LBB199_1124:
	s_or_saveexec_b32 s9, s37
	s_mov_b32 s0, 0
                                        ; implicit-def: $vgpr2_vgpr3
                                        ; implicit-def: $sgpr1
                                        ; implicit-def: $vgpr12_vgpr13
	s_xor_b32 exec_lo, exec_lo, s9
	s_cbranch_execz .LBB199_1721
; %bb.1125:
	v_cndmask_b32_e64 v1, 0, 1, s36
	s_and_not1_b32 vcc_lo, exec_lo, s36
	s_cbranch_vccnz .LBB199_1131
; %bb.1126:
	s_cmp_lg_u32 s33, 0
	s_mov_b32 s10, 0
	s_cbranch_scc0 .LBB199_1132
; %bb.1127:
	s_min_u32 s1, s34, 15
	s_delay_alu instid0(SALU_CYCLE_1)
	s_add_co_i32 s1, s1, 1
	s_cmp_eq_u32 s34, 2
	s_cbranch_scc1 .LBB199_1133
; %bb.1128:
	s_wait_loadcnt 0x0
	v_dual_mov_b32 v6, 0 :: v_dual_mov_b32 v8, 0
	v_mov_b32_e32 v2, v0
	s_and_b32 s0, s1, 28
	s_add_nc_u64 s[4:5], s[2:3], 0xc4
	s_mov_b32 s11, 0
	s_mov_b64 s[6:7], s[2:3]
.LBB199_1129:                           ; =>This Inner Loop Header: Depth=1
	s_clause 0x1
	s_load_b256 s[12:19], s[6:7], 0x4
	s_load_b128 s[28:31], s[6:7], 0x24
	s_load_b256 s[20:27], s[4:5], 0x0
	s_add_co_i32 s11, s11, 4
	s_wait_xcnt 0x0
	s_add_nc_u64 s[6:7], s[6:7], 48
	s_cmp_lg_u32 s0, s11
	s_add_nc_u64 s[4:5], s[4:5], 32
	s_wait_kmcnt 0x0
	v_mul_hi_u32 v3, s13, v2
	s_delay_alu instid0(VALU_DEP_1) | instskip(NEXT) | instid1(VALU_DEP_1)
	v_add_nc_u32_e32 v3, v2, v3
	v_lshrrev_b32_e32 v3, s14, v3
	s_delay_alu instid0(VALU_DEP_1) | instskip(NEXT) | instid1(VALU_DEP_1)
	v_mul_hi_u32 v4, s16, v3
	v_add_nc_u32_e32 v4, v3, v4
	s_delay_alu instid0(VALU_DEP_1) | instskip(NEXT) | instid1(VALU_DEP_1)
	v_lshrrev_b32_e32 v4, s17, v4
	v_mul_hi_u32 v5, s19, v4
	s_delay_alu instid0(VALU_DEP_1) | instskip(SKIP_1) | instid1(VALU_DEP_1)
	v_add_nc_u32_e32 v5, v4, v5
	v_mul_lo_u32 v7, v3, s12
	v_sub_nc_u32_e32 v2, v2, v7
	v_mul_lo_u32 v7, v4, s15
	s_delay_alu instid0(VALU_DEP_4) | instskip(NEXT) | instid1(VALU_DEP_3)
	v_lshrrev_b32_e32 v5, s28, v5
	v_mad_u32 v8, v2, s21, v8
	v_mad_u32 v2, v2, s20, v6
	s_delay_alu instid0(VALU_DEP_4) | instskip(NEXT) | instid1(VALU_DEP_4)
	v_sub_nc_u32_e32 v3, v3, v7
	v_mul_hi_u32 v10, s30, v5
	v_mul_lo_u32 v6, v5, s18
	s_delay_alu instid0(VALU_DEP_3) | instskip(SKIP_1) | instid1(VALU_DEP_4)
	v_mad_u32 v8, v3, s23, v8
	v_mad_u32 v3, v3, s22, v2
	v_add_nc_u32_e32 v7, v5, v10
	s_delay_alu instid0(VALU_DEP_1) | instskip(NEXT) | instid1(VALU_DEP_1)
	v_dual_sub_nc_u32 v4, v4, v6 :: v_dual_lshrrev_b32 v2, s31, v7
	v_mad_u32 v7, v4, s25, v8
	s_delay_alu instid0(VALU_DEP_4) | instskip(NEXT) | instid1(VALU_DEP_3)
	v_mad_u32 v3, v4, s24, v3
	v_mul_lo_u32 v6, v2, s29
	s_delay_alu instid0(VALU_DEP_1) | instskip(NEXT) | instid1(VALU_DEP_1)
	v_sub_nc_u32_e32 v4, v5, v6
	v_mad_u32 v8, v4, s27, v7
	s_delay_alu instid0(VALU_DEP_4)
	v_mad_u32 v6, v4, s26, v3
	s_cbranch_scc1 .LBB199_1129
; %bb.1130:
	s_delay_alu instid0(VALU_DEP_2)
	v_mov_b32_e32 v7, v8
	s_and_b32 s6, s1, 3
	s_mov_b32 s1, 0
	s_cmp_eq_u32 s6, 0
	s_cbranch_scc0 .LBB199_1134
	s_branch .LBB199_1137
.LBB199_1131:
	s_mov_b32 s10, -1
                                        ; implicit-def: $vgpr8
                                        ; implicit-def: $vgpr6
	s_branch .LBB199_1137
.LBB199_1132:
	s_wait_loadcnt 0x0
	v_dual_mov_b32 v8, 0 :: v_dual_mov_b32 v6, 0
	s_branch .LBB199_1137
.LBB199_1133:
	s_wait_loadcnt 0x0
	v_mov_b64_e32 v[6:7], 0
	v_mov_b32_e32 v2, v0
                                        ; implicit-def: $vgpr8
	s_and_b32 s6, s1, 3
	s_mov_b32 s1, 0
	s_cmp_eq_u32 s6, 0
	s_cbranch_scc1 .LBB199_1137
.LBB199_1134:
	s_lshl_b32 s4, s0, 3
	s_mov_b32 s5, s1
	s_mul_u64 s[12:13], s[0:1], 12
	s_add_nc_u64 s[4:5], s[2:3], s[4:5]
	s_delay_alu instid0(SALU_CYCLE_1)
	s_add_nc_u64 s[0:1], s[4:5], 0xc4
	s_add_nc_u64 s[4:5], s[2:3], s[12:13]
.LBB199_1135:                           ; =>This Inner Loop Header: Depth=1
	s_load_b96 s[12:14], s[4:5], 0x4
	s_add_co_i32 s6, s6, -1
	s_wait_xcnt 0x0
	s_add_nc_u64 s[4:5], s[4:5], 12
	s_cmp_lg_u32 s6, 0
	s_wait_kmcnt 0x0
	v_mul_hi_u32 v3, s13, v2
	s_delay_alu instid0(VALU_DEP_1) | instskip(NEXT) | instid1(VALU_DEP_1)
	v_add_nc_u32_e32 v3, v2, v3
	v_lshrrev_b32_e32 v3, s14, v3
	s_load_b64 s[14:15], s[0:1], 0x0
	s_wait_xcnt 0x0
	s_add_nc_u64 s[0:1], s[0:1], 8
	s_delay_alu instid0(VALU_DEP_1) | instskip(NEXT) | instid1(VALU_DEP_1)
	v_mul_lo_u32 v4, v3, s12
	v_sub_nc_u32_e32 v2, v2, v4
	s_wait_kmcnt 0x0
	s_delay_alu instid0(VALU_DEP_1)
	v_mad_u32 v7, v2, s15, v7
	v_mad_u32 v6, v2, s14, v6
	v_mov_b32_e32 v2, v3
	s_cbranch_scc1 .LBB199_1135
; %bb.1136:
	s_delay_alu instid0(VALU_DEP_3)
	v_mov_b32_e32 v8, v7
.LBB199_1137:
	s_and_not1_b32 vcc_lo, exec_lo, s10
	s_cbranch_vccnz .LBB199_1140
; %bb.1138:
	s_clause 0x1
	s_load_b96 s[4:6], s[2:3], 0x4
	s_load_b64 s[0:1], s[2:3], 0xc4
	s_cmp_lt_u32 s33, 2
	s_wait_kmcnt 0x0
	v_mul_hi_u32 v2, s5, v0
	s_delay_alu instid0(VALU_DEP_1) | instskip(NEXT) | instid1(VALU_DEP_1)
	v_add_nc_u32_e32 v2, v0, v2
	v_lshrrev_b32_e32 v2, s6, v2
	s_delay_alu instid0(VALU_DEP_1) | instskip(NEXT) | instid1(VALU_DEP_1)
	v_mul_lo_u32 v3, v2, s4
	v_sub_nc_u32_e32 v3, v0, v3
	s_delay_alu instid0(VALU_DEP_1)
	v_mul_lo_u32 v8, v3, s1
	s_wait_loadcnt 0x0
	v_mul_lo_u32 v6, v3, s0
	s_cbranch_scc1 .LBB199_1140
; %bb.1139:
	s_clause 0x1
	s_load_b96 s[4:6], s[2:3], 0x10
	s_load_b64 s[0:1], s[2:3], 0xcc
	s_wait_kmcnt 0x0
	v_mul_hi_u32 v3, s5, v2
	s_delay_alu instid0(VALU_DEP_1) | instskip(NEXT) | instid1(VALU_DEP_1)
	v_add_nc_u32_e32 v3, v2, v3
	v_lshrrev_b32_e32 v3, s6, v3
	s_delay_alu instid0(VALU_DEP_1) | instskip(NEXT) | instid1(VALU_DEP_1)
	v_mul_lo_u32 v3, v3, s4
	v_sub_nc_u32_e32 v2, v2, v3
	s_delay_alu instid0(VALU_DEP_1)
	v_mad_u32 v6, v2, s0, v6
	v_mad_u32 v8, v2, s1, v8
.LBB199_1140:
	v_cmp_ne_u32_e32 vcc_lo, 1, v1
	v_add_nc_u32_e32 v2, 0x80, v0
	s_cbranch_vccnz .LBB199_1146
; %bb.1141:
	s_cmp_lg_u32 s33, 0
	s_mov_b32 s10, 0
	s_cbranch_scc0 .LBB199_1147
; %bb.1142:
	s_min_u32 s1, s34, 15
	s_delay_alu instid0(SALU_CYCLE_1)
	s_add_co_i32 s1, s1, 1
	s_cmp_eq_u32 s34, 2
	s_cbranch_scc1 .LBB199_1148
; %bb.1143:
	v_dual_mov_b32 v4, 0 :: v_dual_mov_b32 v10, 0
	v_mov_b32_e32 v3, v2
	s_and_b32 s0, s1, 28
	s_add_nc_u64 s[4:5], s[2:3], 0xc4
	s_mov_b32 s11, 0
	s_mov_b64 s[6:7], s[2:3]
.LBB199_1144:                           ; =>This Inner Loop Header: Depth=1
	s_clause 0x1
	s_load_b256 s[12:19], s[6:7], 0x4
	s_load_b128 s[28:31], s[6:7], 0x24
	s_load_b256 s[20:27], s[4:5], 0x0
	s_add_co_i32 s11, s11, 4
	s_wait_xcnt 0x0
	s_add_nc_u64 s[6:7], s[6:7], 48
	s_cmp_lg_u32 s0, s11
	s_add_nc_u64 s[4:5], s[4:5], 32
	s_wait_kmcnt 0x0
	v_mul_hi_u32 v5, s13, v3
	s_delay_alu instid0(VALU_DEP_1) | instskip(NEXT) | instid1(VALU_DEP_1)
	v_add_nc_u32_e32 v5, v3, v5
	v_lshrrev_b32_e32 v5, s14, v5
	s_wait_loadcnt 0x0
	s_delay_alu instid0(VALU_DEP_1) | instskip(NEXT) | instid1(VALU_DEP_1)
	v_mul_hi_u32 v7, s16, v5
	v_add_nc_u32_e32 v7, v5, v7
	s_delay_alu instid0(VALU_DEP_1) | instskip(NEXT) | instid1(VALU_DEP_1)
	v_lshrrev_b32_e32 v7, s17, v7
	v_mul_hi_u32 v11, s19, v7
	s_delay_alu instid0(VALU_DEP_1) | instskip(SKIP_1) | instid1(VALU_DEP_1)
	v_add_nc_u32_e32 v11, v7, v11
	v_mul_lo_u32 v12, v5, s12
	v_sub_nc_u32_e32 v3, v3, v12
	v_mul_lo_u32 v12, v7, s15
	s_delay_alu instid0(VALU_DEP_4) | instskip(NEXT) | instid1(VALU_DEP_3)
	v_lshrrev_b32_e32 v11, s28, v11
	v_mad_u32 v10, v3, s21, v10
	v_mad_u32 v3, v3, s20, v4
	s_delay_alu instid0(VALU_DEP_4) | instskip(NEXT) | instid1(VALU_DEP_4)
	v_sub_nc_u32_e32 v4, v5, v12
	v_mul_hi_u32 v13, s30, v11
	v_mul_lo_u32 v5, v11, s18
	s_delay_alu instid0(VALU_DEP_3) | instskip(SKIP_1) | instid1(VALU_DEP_4)
	v_mad_u32 v10, v4, s23, v10
	v_mad_u32 v4, v4, s22, v3
	v_add_nc_u32_e32 v12, v11, v13
	s_delay_alu instid0(VALU_DEP_1) | instskip(NEXT) | instid1(VALU_DEP_1)
	v_dual_sub_nc_u32 v5, v7, v5 :: v_dual_lshrrev_b32 v3, s31, v12
	v_mad_u32 v10, v5, s25, v10
	s_delay_alu instid0(VALU_DEP_4) | instskip(NEXT) | instid1(VALU_DEP_3)
	v_mad_u32 v4, v5, s24, v4
	v_mul_lo_u32 v7, v3, s29
	s_delay_alu instid0(VALU_DEP_1) | instskip(NEXT) | instid1(VALU_DEP_1)
	v_sub_nc_u32_e32 v5, v11, v7
	v_mad_u32 v10, v5, s27, v10
	s_delay_alu instid0(VALU_DEP_4)
	v_mad_u32 v4, v5, s26, v4
	s_cbranch_scc1 .LBB199_1144
; %bb.1145:
	s_delay_alu instid0(VALU_DEP_2)
	v_mov_b32_e32 v5, v10
	s_and_b32 s6, s1, 3
	s_mov_b32 s1, 0
	s_cmp_eq_u32 s6, 0
	s_cbranch_scc0 .LBB199_1149
	s_branch .LBB199_1152
.LBB199_1146:
	s_mov_b32 s10, -1
                                        ; implicit-def: $vgpr10
                                        ; implicit-def: $vgpr4
	s_branch .LBB199_1152
.LBB199_1147:
	v_dual_mov_b32 v10, 0 :: v_dual_mov_b32 v4, 0
	s_branch .LBB199_1152
.LBB199_1148:
	v_mov_b64_e32 v[4:5], 0
	v_mov_b32_e32 v3, v2
	s_mov_b32 s0, 0
                                        ; implicit-def: $vgpr10
	s_and_b32 s6, s1, 3
	s_mov_b32 s1, 0
	s_cmp_eq_u32 s6, 0
	s_cbranch_scc1 .LBB199_1152
.LBB199_1149:
	s_lshl_b32 s4, s0, 3
	s_mov_b32 s5, s1
	s_mul_u64 s[12:13], s[0:1], 12
	s_add_nc_u64 s[4:5], s[2:3], s[4:5]
	s_delay_alu instid0(SALU_CYCLE_1)
	s_add_nc_u64 s[0:1], s[4:5], 0xc4
	s_add_nc_u64 s[4:5], s[2:3], s[12:13]
.LBB199_1150:                           ; =>This Inner Loop Header: Depth=1
	s_load_b96 s[12:14], s[4:5], 0x4
	s_add_co_i32 s6, s6, -1
	s_wait_xcnt 0x0
	s_add_nc_u64 s[4:5], s[4:5], 12
	s_cmp_lg_u32 s6, 0
	s_wait_loadcnt 0x0
	s_wait_kmcnt 0x0
	v_mul_hi_u32 v7, s13, v3
	s_delay_alu instid0(VALU_DEP_1) | instskip(NEXT) | instid1(VALU_DEP_1)
	v_add_nc_u32_e32 v7, v3, v7
	v_lshrrev_b32_e32 v7, s14, v7
	s_load_b64 s[14:15], s[0:1], 0x0
	s_wait_xcnt 0x0
	s_add_nc_u64 s[0:1], s[0:1], 8
	s_delay_alu instid0(VALU_DEP_1) | instskip(NEXT) | instid1(VALU_DEP_1)
	v_mul_lo_u32 v10, v7, s12
	v_sub_nc_u32_e32 v3, v3, v10
	s_wait_kmcnt 0x0
	s_delay_alu instid0(VALU_DEP_1)
	v_mad_u32 v5, v3, s15, v5
	v_mad_u32 v4, v3, s14, v4
	v_mov_b32_e32 v3, v7
	s_cbranch_scc1 .LBB199_1150
; %bb.1151:
	s_delay_alu instid0(VALU_DEP_3)
	v_mov_b32_e32 v10, v5
.LBB199_1152:
	s_and_not1_b32 vcc_lo, exec_lo, s10
	s_cbranch_vccnz .LBB199_1155
; %bb.1153:
	s_clause 0x1
	s_load_b96 s[4:6], s[2:3], 0x4
	s_load_b64 s[0:1], s[2:3], 0xc4
	s_cmp_lt_u32 s33, 2
	s_wait_kmcnt 0x0
	v_mul_hi_u32 v3, s5, v2
	s_delay_alu instid0(VALU_DEP_1) | instskip(NEXT) | instid1(VALU_DEP_1)
	v_add_nc_u32_e32 v3, v2, v3
	v_lshrrev_b32_e32 v3, s6, v3
	s_delay_alu instid0(VALU_DEP_1) | instskip(NEXT) | instid1(VALU_DEP_1)
	v_mul_lo_u32 v4, v3, s4
	v_sub_nc_u32_e32 v2, v2, v4
	s_delay_alu instid0(VALU_DEP_1)
	v_mul_lo_u32 v10, v2, s1
	v_mul_lo_u32 v4, v2, s0
	s_cbranch_scc1 .LBB199_1155
; %bb.1154:
	s_clause 0x1
	s_load_b96 s[4:6], s[2:3], 0x10
	s_load_b64 s[0:1], s[2:3], 0xcc
	s_wait_kmcnt 0x0
	v_mul_hi_u32 v2, s5, v3
	s_delay_alu instid0(VALU_DEP_1) | instskip(NEXT) | instid1(VALU_DEP_1)
	v_add_nc_u32_e32 v2, v3, v2
	v_lshrrev_b32_e32 v2, s6, v2
	s_delay_alu instid0(VALU_DEP_1) | instskip(NEXT) | instid1(VALU_DEP_1)
	v_mul_lo_u32 v2, v2, s4
	v_sub_nc_u32_e32 v2, v3, v2
	s_delay_alu instid0(VALU_DEP_1)
	v_mad_u32 v4, v2, s0, v4
	v_mad_u32 v10, v2, s1, v10
.LBB199_1155:
	v_cmp_ne_u32_e32 vcc_lo, 1, v1
	v_add_nc_u32_e32 v0, 0x100, v0
	s_cbranch_vccnz .LBB199_1161
; %bb.1156:
	s_cmp_lg_u32 s33, 0
	s_mov_b32 s10, 0
	s_cbranch_scc0 .LBB199_1162
; %bb.1157:
	s_min_u32 s1, s34, 15
	s_delay_alu instid0(SALU_CYCLE_1)
	s_add_co_i32 s1, s1, 1
	s_cmp_eq_u32 s34, 2
	s_cbranch_scc1 .LBB199_1163
; %bb.1158:
	v_dual_mov_b32 v2, 0 :: v_dual_mov_b32 v14, 0
	v_mov_b32_e32 v5, v0
	s_and_b32 s0, s1, 28
	s_add_nc_u64 s[4:5], s[2:3], 0xc4
	s_mov_b32 s11, 0
	s_mov_b64 s[6:7], s[2:3]
.LBB199_1159:                           ; =>This Inner Loop Header: Depth=1
	s_clause 0x1
	s_load_b256 s[12:19], s[6:7], 0x4
	s_load_b128 s[28:31], s[6:7], 0x24
	s_load_b256 s[20:27], s[4:5], 0x0
	s_add_co_i32 s11, s11, 4
	s_wait_xcnt 0x0
	s_add_nc_u64 s[6:7], s[6:7], 48
	s_cmp_lg_u32 s0, s11
	s_add_nc_u64 s[4:5], s[4:5], 32
	s_wait_kmcnt 0x0
	v_mul_hi_u32 v3, s13, v5
	s_delay_alu instid0(VALU_DEP_1) | instskip(NEXT) | instid1(VALU_DEP_1)
	v_add_nc_u32_e32 v3, v5, v3
	v_lshrrev_b32_e32 v3, s14, v3
	s_wait_loadcnt 0x0
	s_delay_alu instid0(VALU_DEP_1) | instskip(SKIP_1) | instid1(VALU_DEP_1)
	v_mul_hi_u32 v7, s16, v3
	v_mul_lo_u32 v12, v3, s12
	v_dual_add_nc_u32 v7, v3, v7 :: v_dual_sub_nc_u32 v5, v5, v12
	s_delay_alu instid0(VALU_DEP_1) | instskip(NEXT) | instid1(VALU_DEP_2)
	v_lshrrev_b32_e32 v7, s17, v7
	v_mad_u32 v14, v5, s21, v14
	v_mad_u32 v2, v5, s20, v2
	s_delay_alu instid0(VALU_DEP_3) | instskip(NEXT) | instid1(VALU_DEP_1)
	v_mul_hi_u32 v11, s19, v7
	v_add_nc_u32_e32 v11, v7, v11
	s_delay_alu instid0(VALU_DEP_1) | instskip(NEXT) | instid1(VALU_DEP_1)
	v_lshrrev_b32_e32 v11, s28, v11
	v_mul_hi_u32 v13, s30, v11
	s_delay_alu instid0(VALU_DEP_1) | instskip(NEXT) | instid1(VALU_DEP_1)
	v_add_nc_u32_e32 v5, v11, v13
	v_lshrrev_b32_e32 v5, s31, v5
	v_mul_lo_u32 v12, v7, s15
	s_delay_alu instid0(VALU_DEP_1) | instskip(SKIP_1) | instid1(VALU_DEP_2)
	v_sub_nc_u32_e32 v3, v3, v12
	v_mul_lo_u32 v12, v11, s18
	v_mad_u32 v13, v3, s23, v14
	v_mad_u32 v2, v3, s22, v2
	s_delay_alu instid0(VALU_DEP_3) | instskip(SKIP_1) | instid1(VALU_DEP_2)
	v_sub_nc_u32_e32 v3, v7, v12
	v_mul_lo_u32 v7, v5, s29
	v_mad_u32 v12, v3, s25, v13
	s_delay_alu instid0(VALU_DEP_4) | instskip(NEXT) | instid1(VALU_DEP_3)
	v_mad_u32 v2, v3, s24, v2
	v_sub_nc_u32_e32 v3, v11, v7
	s_delay_alu instid0(VALU_DEP_1) | instskip(NEXT) | instid1(VALU_DEP_3)
	v_mad_u32 v14, v3, s27, v12
	v_mad_u32 v2, v3, s26, v2
	s_cbranch_scc1 .LBB199_1159
; %bb.1160:
	s_delay_alu instid0(VALU_DEP_2)
	v_mov_b32_e32 v3, v14
	s_and_b32 s6, s1, 3
	s_mov_b32 s1, 0
	s_cmp_eq_u32 s6, 0
	s_cbranch_scc0 .LBB199_1164
	s_branch .LBB199_1167
.LBB199_1161:
	s_mov_b32 s10, -1
                                        ; implicit-def: $vgpr14
                                        ; implicit-def: $vgpr2
	s_branch .LBB199_1167
.LBB199_1162:
	v_dual_mov_b32 v14, 0 :: v_dual_mov_b32 v2, 0
	s_branch .LBB199_1167
.LBB199_1163:
	v_mov_b64_e32 v[2:3], 0
	v_mov_b32_e32 v5, v0
	s_mov_b32 s0, 0
                                        ; implicit-def: $vgpr14
	s_and_b32 s6, s1, 3
	s_mov_b32 s1, 0
	s_cmp_eq_u32 s6, 0
	s_cbranch_scc1 .LBB199_1167
.LBB199_1164:
	s_lshl_b32 s4, s0, 3
	s_mov_b32 s5, s1
	s_mul_u64 s[12:13], s[0:1], 12
	s_add_nc_u64 s[4:5], s[2:3], s[4:5]
	s_delay_alu instid0(SALU_CYCLE_1)
	s_add_nc_u64 s[0:1], s[4:5], 0xc4
	s_add_nc_u64 s[4:5], s[2:3], s[12:13]
.LBB199_1165:                           ; =>This Inner Loop Header: Depth=1
	s_load_b96 s[12:14], s[4:5], 0x4
	s_add_co_i32 s6, s6, -1
	s_wait_xcnt 0x0
	s_add_nc_u64 s[4:5], s[4:5], 12
	s_cmp_lg_u32 s6, 0
	s_wait_loadcnt 0x0
	s_wait_kmcnt 0x0
	v_mul_hi_u32 v7, s13, v5
	s_delay_alu instid0(VALU_DEP_1) | instskip(NEXT) | instid1(VALU_DEP_1)
	v_add_nc_u32_e32 v7, v5, v7
	v_lshrrev_b32_e32 v7, s14, v7
	s_load_b64 s[14:15], s[0:1], 0x0
	s_wait_xcnt 0x0
	s_add_nc_u64 s[0:1], s[0:1], 8
	s_delay_alu instid0(VALU_DEP_1) | instskip(NEXT) | instid1(VALU_DEP_1)
	v_mul_lo_u32 v11, v7, s12
	v_sub_nc_u32_e32 v5, v5, v11
	s_wait_kmcnt 0x0
	s_delay_alu instid0(VALU_DEP_1)
	v_mad_u32 v3, v5, s15, v3
	v_mad_u32 v2, v5, s14, v2
	v_mov_b32_e32 v5, v7
	s_cbranch_scc1 .LBB199_1165
; %bb.1166:
	s_delay_alu instid0(VALU_DEP_3)
	v_mov_b32_e32 v14, v3
.LBB199_1167:
	s_and_not1_b32 vcc_lo, exec_lo, s10
	s_cbranch_vccnz .LBB199_1170
; %bb.1168:
	s_clause 0x1
	s_load_b96 s[4:6], s[2:3], 0x4
	s_load_b64 s[0:1], s[2:3], 0xc4
	s_cmp_lt_u32 s33, 2
	s_wait_kmcnt 0x0
	v_mul_hi_u32 v2, s5, v0
	s_delay_alu instid0(VALU_DEP_1) | instskip(NEXT) | instid1(VALU_DEP_1)
	v_add_nc_u32_e32 v2, v0, v2
	v_lshrrev_b32_e32 v3, s6, v2
	s_delay_alu instid0(VALU_DEP_1) | instskip(NEXT) | instid1(VALU_DEP_1)
	v_mul_lo_u32 v2, v3, s4
	v_sub_nc_u32_e32 v0, v0, v2
	s_delay_alu instid0(VALU_DEP_1)
	v_mul_lo_u32 v14, v0, s1
	v_mul_lo_u32 v2, v0, s0
	s_cbranch_scc1 .LBB199_1170
; %bb.1169:
	s_clause 0x1
	s_load_b96 s[4:6], s[2:3], 0x10
	s_load_b64 s[0:1], s[2:3], 0xcc
	s_wait_kmcnt 0x0
	v_mul_hi_u32 v0, s5, v3
	s_delay_alu instid0(VALU_DEP_1) | instskip(NEXT) | instid1(VALU_DEP_1)
	v_add_nc_u32_e32 v0, v3, v0
	v_lshrrev_b32_e32 v0, s6, v0
	s_delay_alu instid0(VALU_DEP_1) | instskip(NEXT) | instid1(VALU_DEP_1)
	v_mul_lo_u32 v0, v0, s4
	v_sub_nc_u32_e32 v0, v3, v0
	s_delay_alu instid0(VALU_DEP_1)
	v_mad_u32 v2, v0, s0, v2
	v_mad_u32 v14, v0, s1, v14
.LBB199_1170:
	v_cmp_ne_u32_e32 vcc_lo, 1, v1
	s_cbranch_vccnz .LBB199_1176
; %bb.1171:
	s_cmp_lg_u32 s33, 0
	s_mov_b32 s10, 0
	s_cbranch_scc0 .LBB199_1177
; %bb.1172:
	s_min_u32 s1, s34, 15
	s_delay_alu instid0(SALU_CYCLE_1)
	s_add_co_i32 s1, s1, 1
	s_cmp_eq_u32 s34, 2
	s_cbranch_scc1 .LBB199_1178
; %bb.1173:
	v_dual_mov_b32 v0, 0 :: v_dual_mov_b32 v12, 0
	v_mov_b32_e32 v3, v9
	s_and_b32 s0, s1, 28
	s_add_nc_u64 s[4:5], s[2:3], 0xc4
	s_mov_b32 s11, 0
	s_mov_b64 s[6:7], s[2:3]
.LBB199_1174:                           ; =>This Inner Loop Header: Depth=1
	s_clause 0x1
	s_load_b256 s[12:19], s[6:7], 0x4
	s_load_b128 s[28:31], s[6:7], 0x24
	s_load_b256 s[20:27], s[4:5], 0x0
	s_add_co_i32 s11, s11, 4
	s_wait_xcnt 0x0
	s_add_nc_u64 s[6:7], s[6:7], 48
	s_cmp_lg_u32 s0, s11
	s_add_nc_u64 s[4:5], s[4:5], 32
	s_wait_kmcnt 0x0
	v_mul_hi_u32 v1, s13, v3
	s_delay_alu instid0(VALU_DEP_1) | instskip(NEXT) | instid1(VALU_DEP_1)
	v_add_nc_u32_e32 v1, v3, v1
	v_lshrrev_b32_e32 v1, s14, v1
	s_delay_alu instid0(VALU_DEP_1) | instskip(NEXT) | instid1(VALU_DEP_1)
	v_mul_lo_u32 v11, v1, s12
	v_sub_nc_u32_e32 v3, v3, v11
	v_mul_hi_u32 v5, s16, v1
	s_delay_alu instid0(VALU_DEP_2) | instskip(SKIP_1) | instid1(VALU_DEP_3)
	v_mad_u32 v12, v3, s21, v12
	v_mad_u32 v0, v3, s20, v0
	v_add_nc_u32_e32 v5, v1, v5
	s_delay_alu instid0(VALU_DEP_1) | instskip(NEXT) | instid1(VALU_DEP_1)
	v_lshrrev_b32_e32 v5, s17, v5
	v_mul_lo_u32 v11, v5, s15
	s_delay_alu instid0(VALU_DEP_1) | instskip(SKIP_2) | instid1(VALU_DEP_2)
	v_sub_nc_u32_e32 v1, v1, v11
	s_wait_loadcnt 0x0
	v_mul_hi_u32 v7, s19, v5
	v_mad_u32 v12, v1, s23, v12
	v_mad_u32 v0, v1, s22, v0
	s_delay_alu instid0(VALU_DEP_3) | instskip(NEXT) | instid1(VALU_DEP_1)
	v_add_nc_u32_e32 v7, v5, v7
	v_lshrrev_b32_e32 v7, s28, v7
	s_delay_alu instid0(VALU_DEP_1) | instskip(SKIP_1) | instid1(VALU_DEP_1)
	v_mul_hi_u32 v13, s30, v7
	v_mul_lo_u32 v11, v7, s18
	v_dual_add_nc_u32 v3, v7, v13 :: v_dual_sub_nc_u32 v1, v5, v11
	s_delay_alu instid0(VALU_DEP_1) | instskip(NEXT) | instid1(VALU_DEP_2)
	v_lshrrev_b32_e32 v3, s31, v3
	v_mad_u32 v11, v1, s25, v12
	v_mad_u32 v0, v1, s24, v0
	s_delay_alu instid0(VALU_DEP_3) | instskip(NEXT) | instid1(VALU_DEP_1)
	v_mul_lo_u32 v5, v3, s29
	v_sub_nc_u32_e32 v1, v7, v5
	s_delay_alu instid0(VALU_DEP_1) | instskip(NEXT) | instid1(VALU_DEP_4)
	v_mad_u32 v12, v1, s27, v11
	v_mad_u32 v0, v1, s26, v0
	s_cbranch_scc1 .LBB199_1174
; %bb.1175:
	s_delay_alu instid0(VALU_DEP_2)
	v_mov_b32_e32 v1, v12
	s_and_b32 s6, s1, 3
	s_mov_b32 s1, 0
	s_cmp_eq_u32 s6, 0
	s_cbranch_scc0 .LBB199_1179
	s_branch .LBB199_1182
.LBB199_1176:
	s_mov_b32 s10, -1
                                        ; implicit-def: $vgpr12
                                        ; implicit-def: $vgpr0
	s_branch .LBB199_1182
.LBB199_1177:
	v_dual_mov_b32 v12, 0 :: v_dual_mov_b32 v0, 0
	s_branch .LBB199_1182
.LBB199_1178:
	v_mov_b64_e32 v[0:1], 0
	v_mov_b32_e32 v3, v9
	s_mov_b32 s0, 0
                                        ; implicit-def: $vgpr12
	s_and_b32 s6, s1, 3
	s_mov_b32 s1, 0
	s_cmp_eq_u32 s6, 0
	s_cbranch_scc1 .LBB199_1182
.LBB199_1179:
	s_lshl_b32 s4, s0, 3
	s_mov_b32 s5, s1
	s_mul_u64 s[12:13], s[0:1], 12
	s_add_nc_u64 s[4:5], s[2:3], s[4:5]
	s_delay_alu instid0(SALU_CYCLE_1)
	s_add_nc_u64 s[0:1], s[4:5], 0xc4
	s_add_nc_u64 s[4:5], s[2:3], s[12:13]
.LBB199_1180:                           ; =>This Inner Loop Header: Depth=1
	s_load_b96 s[12:14], s[4:5], 0x4
	s_add_co_i32 s6, s6, -1
	s_wait_xcnt 0x0
	s_add_nc_u64 s[4:5], s[4:5], 12
	s_cmp_lg_u32 s6, 0
	s_wait_kmcnt 0x0
	v_mul_hi_u32 v5, s13, v3
	s_delay_alu instid0(VALU_DEP_1) | instskip(NEXT) | instid1(VALU_DEP_1)
	v_add_nc_u32_e32 v5, v3, v5
	v_lshrrev_b32_e32 v5, s14, v5
	s_load_b64 s[14:15], s[0:1], 0x0
	s_wait_xcnt 0x0
	s_add_nc_u64 s[0:1], s[0:1], 8
	s_wait_loadcnt 0x0
	v_mul_lo_u32 v7, v5, s12
	s_delay_alu instid0(VALU_DEP_1) | instskip(SKIP_1) | instid1(VALU_DEP_1)
	v_sub_nc_u32_e32 v3, v3, v7
	s_wait_kmcnt 0x0
	v_mad_u32 v1, v3, s15, v1
	v_mad_u32 v0, v3, s14, v0
	v_mov_b32_e32 v3, v5
	s_cbranch_scc1 .LBB199_1180
; %bb.1181:
	s_delay_alu instid0(VALU_DEP_3)
	v_mov_b32_e32 v12, v1
.LBB199_1182:
	s_and_not1_b32 vcc_lo, exec_lo, s10
	s_cbranch_vccnz .LBB199_1185
; %bb.1183:
	s_clause 0x1
	s_load_b96 s[4:6], s[2:3], 0x4
	s_load_b64 s[0:1], s[2:3], 0xc4
	s_cmp_lt_u32 s33, 2
	s_wait_kmcnt 0x0
	v_mul_hi_u32 v0, s5, v9
	s_delay_alu instid0(VALU_DEP_1) | instskip(NEXT) | instid1(VALU_DEP_1)
	v_add_nc_u32_e32 v0, v9, v0
	v_lshrrev_b32_e32 v1, s6, v0
	s_delay_alu instid0(VALU_DEP_1) | instskip(NEXT) | instid1(VALU_DEP_1)
	v_mul_lo_u32 v0, v1, s4
	v_sub_nc_u32_e32 v0, v9, v0
	s_delay_alu instid0(VALU_DEP_1)
	v_mul_lo_u32 v12, v0, s1
	v_mul_lo_u32 v0, v0, s0
	s_cbranch_scc1 .LBB199_1185
; %bb.1184:
	s_clause 0x1
	s_load_b96 s[4:6], s[2:3], 0x10
	s_load_b64 s[0:1], s[2:3], 0xcc
	s_wait_kmcnt 0x0
	v_mul_hi_u32 v3, s5, v1
	s_delay_alu instid0(VALU_DEP_1) | instskip(NEXT) | instid1(VALU_DEP_1)
	v_add_nc_u32_e32 v3, v1, v3
	v_lshrrev_b32_e32 v3, s6, v3
	s_delay_alu instid0(VALU_DEP_1) | instskip(NEXT) | instid1(VALU_DEP_1)
	v_mul_lo_u32 v3, v3, s4
	v_sub_nc_u32_e32 v1, v1, v3
	s_delay_alu instid0(VALU_DEP_1)
	v_mad_u32 v0, v1, s0, v0
	v_mad_u32 v12, v1, s1, v12
.LBB199_1185:
	v_mov_b32_e32 v9, 0
	s_load_b128 s[4:7], s[2:3], 0x148
	global_load_u8 v1, v9, s[2:3] offset:369
	s_wait_kmcnt 0x0
	v_add_nc_u64_e32 v[8:9], s[6:7], v[8:9]
	s_wait_loadcnt 0x0
	v_and_b32_e32 v3, 0xffff, v1
	v_readfirstlane_b32 s12, v1
	s_delay_alu instid0(VALU_DEP_2)
	v_cmp_gt_i32_e32 vcc_lo, 11, v3
	s_cbranch_vccnz .LBB199_1192
; %bb.1186:
	s_and_b32 s0, 0xffff, s12
	s_mov_b32 s11, 0
	s_cmp_gt_i32 s0, 25
	s_cbranch_scc0 .LBB199_1194
; %bb.1187:
	s_cmp_gt_i32 s0, 28
	s_cbranch_scc0 .LBB199_1195
; %bb.1188:
	;; [unrolled: 3-line block ×4, first 2 shown]
	s_cmp_eq_u32 s0, 46
	s_mov_b32 s10, 0
	s_cbranch_scc0 .LBB199_1200
; %bb.1191:
	global_load_b32 v1, v[8:9], off
	s_mov_b32 s1, 0
	s_mov_b32 s13, -1
	s_wait_loadcnt 0x0
	v_lshlrev_b32_e32 v1, 16, v1
	s_delay_alu instid0(VALU_DEP_1) | instskip(NEXT) | instid1(VALU_DEP_1)
	v_trunc_f32_e32 v1, v1
	v_mul_f32_e64 v3, 0x2f800000, |v1|
	v_ashrrev_i32_e32 v16, 31, v1
	s_delay_alu instid0(VALU_DEP_2) | instskip(NEXT) | instid1(VALU_DEP_2)
	v_floor_f32_e32 v3, v3
	v_mov_b32_e32 v17, v16
	s_delay_alu instid0(VALU_DEP_2) | instskip(SKIP_1) | instid1(VALU_DEP_2)
	v_fma_f32 v5, 0xcf800000, v3, |v1|
	v_cvt_u32_f32_e32 v1, v3
	v_cvt_u32_f32_e32 v3, v5
	s_delay_alu instid0(VALU_DEP_2) | instskip(NEXT) | instid1(VALU_DEP_2)
	v_xor_b32_e32 v19, v1, v16
	v_xor_b32_e32 v18, v3, v16
	s_delay_alu instid0(VALU_DEP_1)
	v_sub_nc_u64_e32 v[16:17], v[18:19], v[16:17]
	s_branch .LBB199_1202
.LBB199_1192:
	s_mov_b32 s13, 0
	s_mov_b32 s10, s8
                                        ; implicit-def: $vgpr16_vgpr17
	s_cbranch_execnz .LBB199_1260
.LBB199_1193:
	s_and_not1_b32 vcc_lo, exec_lo, s13
	s_cbranch_vccz .LBB199_1305
	s_branch .LBB199_1719
.LBB199_1194:
	s_mov_b32 s13, 0
	s_mov_b32 s1, 0
                                        ; implicit-def: $vgpr16_vgpr17
	s_cbranch_execnz .LBB199_1227
	s_branch .LBB199_1256
.LBB199_1195:
	s_mov_b32 s13, 0
	s_mov_b32 s1, 0
                                        ; implicit-def: $vgpr16_vgpr17
	s_cbranch_execz .LBB199_1226
	s_branch .LBB199_1211
.LBB199_1196:
	s_mov_b32 s13, 0
	s_mov_b32 s1, 0
                                        ; implicit-def: $vgpr16_vgpr17
	s_cbranch_execnz .LBB199_1207
	s_branch .LBB199_1210
.LBB199_1197:
	s_mov_b32 s10, -1
	s_mov_b32 s13, 0
	s_mov_b32 s1, 0
	s_branch .LBB199_1201
.LBB199_1198:
	s_and_not1_saveexec_b32 s9, s9
	s_cbranch_execz .LBB199_1037
.LBB199_1199:
	v_add_f32_e64 v3, 0x46000000, |v2|
	s_and_not1_b32 s8, s8, exec_lo
	s_delay_alu instid0(VALU_DEP_1) | instskip(NEXT) | instid1(VALU_DEP_1)
	v_and_b32_e32 v3, 0xff, v3
	v_cmp_ne_u32_e32 vcc_lo, 0, v3
	s_and_b32 s10, vcc_lo, exec_lo
	s_delay_alu instid0(SALU_CYCLE_1)
	s_or_b32 s8, s8, s10
	s_or_b32 exec_lo, exec_lo, s9
	v_mov_b32_e32 v6, 0
	s_and_saveexec_b32 s9, s8
	s_cbranch_execnz .LBB199_1038
	s_branch .LBB199_1039
.LBB199_1200:
	s_mov_b32 s1, -1
	s_mov_b32 s13, 0
.LBB199_1201:
                                        ; implicit-def: $vgpr16_vgpr17
.LBB199_1202:
	s_and_b32 vcc_lo, exec_lo, s10
	s_cbranch_vccz .LBB199_1205
; %bb.1203:
	s_cmp_eq_u32 s0, 44
	s_cbranch_scc0 .LBB199_1206
; %bb.1204:
	global_load_u8 v1, v[8:9], off
	s_mov_b32 s1, 0
	s_mov_b32 s13, -1
	s_wait_loadcnt 0x0
	v_lshlrev_b32_e32 v3, 23, v1
	v_cmp_ne_u32_e32 vcc_lo, 0, v1
	s_delay_alu instid0(VALU_DEP_2) | instskip(NEXT) | instid1(VALU_DEP_1)
	v_trunc_f32_e32 v3, v3
	v_mul_f32_e64 v5, 0x2f800000, |v3|
	v_ashrrev_i32_e32 v16, 31, v3
	s_delay_alu instid0(VALU_DEP_2) | instskip(NEXT) | instid1(VALU_DEP_2)
	v_floor_f32_e32 v5, v5
	v_mov_b32_e32 v17, v16
	s_delay_alu instid0(VALU_DEP_2) | instskip(SKIP_1) | instid1(VALU_DEP_2)
	v_fma_f32 v7, 0xcf800000, v5, |v3|
	v_cvt_u32_f32_e32 v3, v5
	v_cvt_u32_f32_e32 v5, v7
	s_delay_alu instid0(VALU_DEP_2) | instskip(NEXT) | instid1(VALU_DEP_2)
	v_xor_b32_e32 v19, v3, v16
	v_xor_b32_e32 v18, v5, v16
	s_delay_alu instid0(VALU_DEP_1) | instskip(NEXT) | instid1(VALU_DEP_1)
	v_sub_nc_u64_e32 v[16:17], v[18:19], v[16:17]
	v_dual_cndmask_b32 v17, 0, v17 :: v_dual_cndmask_b32 v16, 0, v16
.LBB199_1205:
	s_branch .LBB199_1210
.LBB199_1206:
	s_mov_b32 s1, -1
                                        ; implicit-def: $vgpr16_vgpr17
	s_branch .LBB199_1210
.LBB199_1207:
	s_cmp_eq_u32 s0, 29
	s_cbranch_scc0 .LBB199_1209
; %bb.1208:
	global_load_b64 v[16:17], v[8:9], off
	s_mov_b32 s1, 0
	s_mov_b32 s13, -1
	s_branch .LBB199_1210
.LBB199_1209:
	s_mov_b32 s1, -1
                                        ; implicit-def: $vgpr16_vgpr17
.LBB199_1210:
	s_branch .LBB199_1226
.LBB199_1211:
	s_cmp_lt_i32 s0, 27
	s_cbranch_scc1 .LBB199_1214
; %bb.1212:
	s_cmp_gt_i32 s0, 27
	s_cbranch_scc0 .LBB199_1215
; %bb.1213:
	s_wait_loadcnt 0x0
	global_load_b32 v16, v[8:9], off
	v_mov_b32_e32 v17, 0
	s_mov_b32 s10, 0
	s_branch .LBB199_1216
.LBB199_1214:
	s_mov_b32 s10, -1
                                        ; implicit-def: $vgpr16_vgpr17
	s_branch .LBB199_1219
.LBB199_1215:
	s_mov_b32 s10, -1
                                        ; implicit-def: $vgpr16_vgpr17
.LBB199_1216:
	s_delay_alu instid0(SALU_CYCLE_1)
	s_and_not1_b32 vcc_lo, exec_lo, s10
	s_cbranch_vccnz .LBB199_1218
; %bb.1217:
	global_load_u16 v1, v[8:9], off
	s_mov_b32 s10, 0
	s_wait_loadcnt 0x1
	v_mov_b32_e32 v17, s10
	s_wait_loadcnt 0x0
	v_and_b32_e32 v16, 0xffff, v1
.LBB199_1218:
	s_mov_b32 s10, 0
.LBB199_1219:
	s_delay_alu instid0(SALU_CYCLE_1)
	s_and_not1_b32 vcc_lo, exec_lo, s10
	s_cbranch_vccnz .LBB199_1225
; %bb.1220:
	global_load_u8 v1, v[8:9], off
	s_mov_b32 s13, 0
	s_mov_b32 s10, exec_lo
	s_wait_loadcnt 0x0
	v_cmpx_lt_i16_e32 0x7f, v1
	s_xor_b32 s10, exec_lo, s10
	s_cbranch_execz .LBB199_1236
; %bb.1221:
	v_cmp_ne_u16_e32 vcc_lo, 0x80, v1
	s_and_b32 s13, vcc_lo, exec_lo
	s_and_not1_saveexec_b32 s10, s10
	s_cbranch_execnz .LBB199_1237
.LBB199_1222:
	s_or_b32 exec_lo, exec_lo, s10
	v_mov_b64_e32 v[16:17], 0
	s_and_saveexec_b32 s10, s13
	s_cbranch_execz .LBB199_1224
.LBB199_1223:
	v_and_b32_e32 v3, 0xffff, v1
	s_delay_alu instid0(VALU_DEP_1) | instskip(SKIP_1) | instid1(VALU_DEP_2)
	v_dual_lshlrev_b32 v1, 24, v1 :: v_dual_bitop2_b32 v5, 7, v3 bitop3:0x40
	v_bfe_u32 v13, v3, 3, 4
	v_and_b32_e32 v1, 0x80000000, v1
	s_delay_alu instid0(VALU_DEP_3) | instskip(NEXT) | instid1(VALU_DEP_3)
	v_clz_i32_u32_e32 v7, v5
	v_cmp_eq_u32_e32 vcc_lo, 0, v13
	s_delay_alu instid0(VALU_DEP_2) | instskip(NEXT) | instid1(VALU_DEP_1)
	v_min_u32_e32 v7, 32, v7
	v_subrev_nc_u32_e32 v11, 28, v7
	v_sub_nc_u32_e32 v7, 29, v7
	s_delay_alu instid0(VALU_DEP_2) | instskip(NEXT) | instid1(VALU_DEP_2)
	v_lshlrev_b32_e32 v3, v11, v3
	v_cndmask_b32_e32 v7, v13, v7, vcc_lo
	s_delay_alu instid0(VALU_DEP_2) | instskip(NEXT) | instid1(VALU_DEP_1)
	v_and_b32_e32 v3, 7, v3
	v_cndmask_b32_e32 v3, v5, v3, vcc_lo
	s_delay_alu instid0(VALU_DEP_3) | instskip(NEXT) | instid1(VALU_DEP_2)
	v_lshl_add_u32 v5, v7, 23, 0x3b800000
	v_lshlrev_b32_e32 v3, 20, v3
	s_delay_alu instid0(VALU_DEP_1) | instskip(NEXT) | instid1(VALU_DEP_1)
	v_or3_b32 v1, v1, v5, v3
	v_trunc_f32_e32 v1, v1
	s_delay_alu instid0(VALU_DEP_1) | instskip(SKIP_1) | instid1(VALU_DEP_2)
	v_mul_f32_e64 v3, 0x2f800000, |v1|
	v_ashrrev_i32_e32 v16, 31, v1
	v_floor_f32_e32 v3, v3
	s_delay_alu instid0(VALU_DEP_2) | instskip(NEXT) | instid1(VALU_DEP_2)
	v_mov_b32_e32 v17, v16
	v_fma_f32 v5, 0xcf800000, v3, |v1|
	v_cvt_u32_f32_e32 v1, v3
	s_delay_alu instid0(VALU_DEP_2) | instskip(NEXT) | instid1(VALU_DEP_2)
	v_cvt_u32_f32_e32 v3, v5
	v_xor_b32_e32 v19, v1, v16
	s_delay_alu instid0(VALU_DEP_2) | instskip(NEXT) | instid1(VALU_DEP_1)
	v_xor_b32_e32 v18, v3, v16
	v_sub_nc_u64_e32 v[16:17], v[18:19], v[16:17]
.LBB199_1224:
	s_or_b32 exec_lo, exec_lo, s10
.LBB199_1225:
	s_mov_b32 s13, -1
.LBB199_1226:
	s_branch .LBB199_1256
.LBB199_1227:
	s_cmp_gt_i32 s0, 22
	s_cbranch_scc0 .LBB199_1235
; %bb.1228:
	s_cmp_lt_i32 s0, 24
	s_cbranch_scc1 .LBB199_1238
; %bb.1229:
	s_cmp_gt_i32 s0, 24
	s_cbranch_scc0 .LBB199_1239
; %bb.1230:
	global_load_u8 v1, v[8:9], off
	s_mov_b32 s10, exec_lo
	s_wait_loadcnt 0x0
	v_cmpx_lt_i16_e32 0x7f, v1
	s_xor_b32 s10, exec_lo, s10
	s_cbranch_execz .LBB199_1250
; %bb.1231:
	v_cmp_ne_u16_e32 vcc_lo, 0x80, v1
	s_and_b32 s11, vcc_lo, exec_lo
	s_and_not1_saveexec_b32 s10, s10
	s_cbranch_execnz .LBB199_1251
.LBB199_1232:
	s_or_b32 exec_lo, exec_lo, s10
	v_mov_b64_e32 v[16:17], 0
	s_and_saveexec_b32 s10, s11
	s_cbranch_execz .LBB199_1234
.LBB199_1233:
	v_and_b32_e32 v3, 0xffff, v1
	s_delay_alu instid0(VALU_DEP_1) | instskip(SKIP_1) | instid1(VALU_DEP_2)
	v_dual_lshlrev_b32 v1, 24, v1 :: v_dual_bitop2_b32 v5, 3, v3 bitop3:0x40
	v_bfe_u32 v13, v3, 2, 5
	v_and_b32_e32 v1, 0x80000000, v1
	s_delay_alu instid0(VALU_DEP_3) | instskip(NEXT) | instid1(VALU_DEP_3)
	v_clz_i32_u32_e32 v7, v5
	v_cmp_eq_u32_e32 vcc_lo, 0, v13
	s_delay_alu instid0(VALU_DEP_2) | instskip(NEXT) | instid1(VALU_DEP_1)
	v_min_u32_e32 v7, 32, v7
	v_subrev_nc_u32_e32 v11, 29, v7
	v_sub_nc_u32_e32 v7, 30, v7
	s_delay_alu instid0(VALU_DEP_2) | instskip(NEXT) | instid1(VALU_DEP_2)
	v_lshlrev_b32_e32 v3, v11, v3
	v_cndmask_b32_e32 v7, v13, v7, vcc_lo
	s_delay_alu instid0(VALU_DEP_2) | instskip(NEXT) | instid1(VALU_DEP_1)
	v_and_b32_e32 v3, 3, v3
	v_cndmask_b32_e32 v3, v5, v3, vcc_lo
	s_delay_alu instid0(VALU_DEP_3) | instskip(NEXT) | instid1(VALU_DEP_2)
	v_lshl_add_u32 v5, v7, 23, 0x37800000
	v_lshlrev_b32_e32 v3, 21, v3
	s_delay_alu instid0(VALU_DEP_1) | instskip(NEXT) | instid1(VALU_DEP_1)
	v_or3_b32 v1, v1, v5, v3
	v_trunc_f32_e32 v1, v1
	s_delay_alu instid0(VALU_DEP_1) | instskip(SKIP_1) | instid1(VALU_DEP_2)
	v_mul_f32_e64 v3, 0x2f800000, |v1|
	v_ashrrev_i32_e32 v16, 31, v1
	v_floor_f32_e32 v3, v3
	s_delay_alu instid0(VALU_DEP_2) | instskip(NEXT) | instid1(VALU_DEP_2)
	v_mov_b32_e32 v17, v16
	v_fma_f32 v5, 0xcf800000, v3, |v1|
	v_cvt_u32_f32_e32 v1, v3
	s_delay_alu instid0(VALU_DEP_2) | instskip(NEXT) | instid1(VALU_DEP_2)
	v_cvt_u32_f32_e32 v3, v5
	v_xor_b32_e32 v19, v1, v16
	s_delay_alu instid0(VALU_DEP_2) | instskip(NEXT) | instid1(VALU_DEP_1)
	v_xor_b32_e32 v18, v3, v16
	v_sub_nc_u64_e32 v[16:17], v[18:19], v[16:17]
.LBB199_1234:
	s_or_b32 exec_lo, exec_lo, s10
	s_mov_b32 s10, 0
	s_branch .LBB199_1240
.LBB199_1235:
                                        ; implicit-def: $vgpr16_vgpr17
	s_mov_b32 s11, 0
	s_branch .LBB199_1246
.LBB199_1236:
	s_and_not1_saveexec_b32 s10, s10
	s_cbranch_execz .LBB199_1222
.LBB199_1237:
	v_cmp_ne_u16_e32 vcc_lo, 0, v1
	s_and_not1_b32 s13, s13, exec_lo
	s_and_b32 s14, vcc_lo, exec_lo
	s_delay_alu instid0(SALU_CYCLE_1)
	s_or_b32 s13, s13, s14
	s_or_b32 exec_lo, exec_lo, s10
	v_mov_b64_e32 v[16:17], 0
	s_and_saveexec_b32 s10, s13
	s_cbranch_execnz .LBB199_1223
	s_branch .LBB199_1224
.LBB199_1238:
	s_mov_b32 s10, -1
                                        ; implicit-def: $vgpr16_vgpr17
	s_branch .LBB199_1243
.LBB199_1239:
	s_mov_b32 s10, -1
                                        ; implicit-def: $vgpr16_vgpr17
.LBB199_1240:
	s_delay_alu instid0(SALU_CYCLE_1)
	s_and_b32 vcc_lo, exec_lo, s10
	s_cbranch_vccz .LBB199_1242
; %bb.1241:
	global_load_u8 v1, v[8:9], off
	s_wait_loadcnt 0x0
	v_lshlrev_b32_e32 v1, 24, v1
	s_delay_alu instid0(VALU_DEP_1) | instskip(NEXT) | instid1(VALU_DEP_1)
	v_and_b32_e32 v3, 0x7f000000, v1
	v_clz_i32_u32_e32 v5, v3
	v_add_nc_u32_e32 v11, 0x1000000, v3
	v_cmp_ne_u32_e32 vcc_lo, 0, v3
	s_delay_alu instid0(VALU_DEP_3) | instskip(NEXT) | instid1(VALU_DEP_1)
	v_min_u32_e32 v5, 32, v5
	v_sub_nc_u32_e64 v5, v5, 4 clamp
	s_delay_alu instid0(VALU_DEP_1) | instskip(NEXT) | instid1(VALU_DEP_1)
	v_dual_lshlrev_b32 v7, v5, v3 :: v_dual_lshlrev_b32 v5, 23, v5
	v_lshrrev_b32_e32 v7, 4, v7
	s_delay_alu instid0(VALU_DEP_1) | instskip(NEXT) | instid1(VALU_DEP_1)
	v_dual_sub_nc_u32 v5, v7, v5 :: v_dual_ashrrev_i32 v7, 8, v11
	v_add_nc_u32_e32 v5, 0x3c000000, v5
	s_delay_alu instid0(VALU_DEP_1) | instskip(NEXT) | instid1(VALU_DEP_1)
	v_and_or_b32 v5, 0x7f800000, v7, v5
	v_cndmask_b32_e32 v3, 0, v5, vcc_lo
	s_delay_alu instid0(VALU_DEP_1) | instskip(NEXT) | instid1(VALU_DEP_1)
	v_and_or_b32 v1, 0x80000000, v1, v3
	v_trunc_f32_e32 v1, v1
	s_delay_alu instid0(VALU_DEP_1) | instskip(SKIP_1) | instid1(VALU_DEP_2)
	v_mul_f32_e64 v3, 0x2f800000, |v1|
	v_ashrrev_i32_e32 v16, 31, v1
	v_floor_f32_e32 v3, v3
	s_delay_alu instid0(VALU_DEP_2) | instskip(NEXT) | instid1(VALU_DEP_2)
	v_mov_b32_e32 v17, v16
	v_fma_f32 v5, 0xcf800000, v3, |v1|
	v_cvt_u32_f32_e32 v1, v3
	s_delay_alu instid0(VALU_DEP_2) | instskip(NEXT) | instid1(VALU_DEP_2)
	v_cvt_u32_f32_e32 v3, v5
	v_xor_b32_e32 v19, v1, v16
	s_delay_alu instid0(VALU_DEP_2) | instskip(NEXT) | instid1(VALU_DEP_1)
	v_xor_b32_e32 v18, v3, v16
	v_sub_nc_u64_e32 v[16:17], v[18:19], v[16:17]
.LBB199_1242:
	s_mov_b32 s10, 0
.LBB199_1243:
	s_delay_alu instid0(SALU_CYCLE_1)
	s_and_not1_b32 vcc_lo, exec_lo, s10
	s_cbranch_vccnz .LBB199_1245
; %bb.1244:
	global_load_u8 v1, v[8:9], off
	s_wait_loadcnt 0x0
	v_lshlrev_b32_e32 v3, 25, v1
	v_lshlrev_b16 v1, 8, v1
	s_delay_alu instid0(VALU_DEP_1) | instskip(SKIP_1) | instid1(VALU_DEP_2)
	v_and_or_b32 v7, 0x7f00, v1, 0.5
	v_bfe_i32 v1, v1, 0, 16
	v_add_f32_e32 v7, -0.5, v7
	v_lshrrev_b32_e32 v5, 4, v3
	v_cmp_gt_u32_e32 vcc_lo, 0x8000000, v3
	s_delay_alu instid0(VALU_DEP_2) | instskip(NEXT) | instid1(VALU_DEP_1)
	v_or_b32_e32 v5, 0x70000000, v5
	v_mul_f32_e32 v5, 0x7800000, v5
	s_delay_alu instid0(VALU_DEP_1) | instskip(NEXT) | instid1(VALU_DEP_1)
	v_cndmask_b32_e32 v3, v5, v7, vcc_lo
	v_and_or_b32 v1, 0x80000000, v1, v3
	s_delay_alu instid0(VALU_DEP_1) | instskip(NEXT) | instid1(VALU_DEP_1)
	v_trunc_f32_e32 v1, v1
	v_mul_f32_e64 v3, 0x2f800000, |v1|
	v_ashrrev_i32_e32 v16, 31, v1
	s_delay_alu instid0(VALU_DEP_2) | instskip(NEXT) | instid1(VALU_DEP_2)
	v_floor_f32_e32 v3, v3
	v_mov_b32_e32 v17, v16
	s_delay_alu instid0(VALU_DEP_2) | instskip(SKIP_1) | instid1(VALU_DEP_2)
	v_fma_f32 v5, 0xcf800000, v3, |v1|
	v_cvt_u32_f32_e32 v1, v3
	v_cvt_u32_f32_e32 v3, v5
	s_delay_alu instid0(VALU_DEP_2) | instskip(NEXT) | instid1(VALU_DEP_2)
	v_xor_b32_e32 v19, v1, v16
	v_xor_b32_e32 v18, v3, v16
	s_delay_alu instid0(VALU_DEP_1)
	v_sub_nc_u64_e32 v[16:17], v[18:19], v[16:17]
.LBB199_1245:
	s_mov_b32 s13, -1
	s_mov_b32 s11, 0
	s_cbranch_execnz .LBB199_1256
.LBB199_1246:
	s_cmp_gt_i32 s0, 14
	s_cbranch_scc0 .LBB199_1249
; %bb.1247:
	s_cmp_eq_u32 s0, 15
	s_cbranch_scc0 .LBB199_1252
; %bb.1248:
	global_load_u16 v1, v[8:9], off
	s_mov_b32 s1, 0
	s_mov_b32 s13, -1
	s_wait_loadcnt 0x0
	v_lshlrev_b32_e32 v1, 16, v1
	s_delay_alu instid0(VALU_DEP_1) | instskip(NEXT) | instid1(VALU_DEP_1)
	v_trunc_f32_e32 v1, v1
	v_mul_f32_e64 v3, 0x2f800000, |v1|
	v_ashrrev_i32_e32 v16, 31, v1
	s_delay_alu instid0(VALU_DEP_2) | instskip(NEXT) | instid1(VALU_DEP_2)
	v_floor_f32_e32 v3, v3
	v_mov_b32_e32 v17, v16
	s_delay_alu instid0(VALU_DEP_2) | instskip(SKIP_1) | instid1(VALU_DEP_2)
	v_fma_f32 v5, 0xcf800000, v3, |v1|
	v_cvt_u32_f32_e32 v1, v3
	v_cvt_u32_f32_e32 v3, v5
	s_delay_alu instid0(VALU_DEP_2) | instskip(NEXT) | instid1(VALU_DEP_2)
	v_xor_b32_e32 v19, v1, v16
	v_xor_b32_e32 v18, v3, v16
	s_delay_alu instid0(VALU_DEP_1)
	v_sub_nc_u64_e32 v[16:17], v[18:19], v[16:17]
	s_branch .LBB199_1253
.LBB199_1249:
	s_mov_b32 s10, -1
                                        ; implicit-def: $vgpr16_vgpr17
	s_branch .LBB199_1254
.LBB199_1250:
	s_and_not1_saveexec_b32 s10, s10
	s_cbranch_execz .LBB199_1232
.LBB199_1251:
	v_cmp_ne_u16_e32 vcc_lo, 0, v1
	s_and_not1_b32 s11, s11, exec_lo
	s_and_b32 s13, vcc_lo, exec_lo
	s_delay_alu instid0(SALU_CYCLE_1)
	s_or_b32 s11, s11, s13
	s_or_b32 exec_lo, exec_lo, s10
	v_mov_b64_e32 v[16:17], 0
	s_and_saveexec_b32 s10, s11
	s_cbranch_execnz .LBB199_1233
	s_branch .LBB199_1234
.LBB199_1252:
	s_mov_b32 s1, -1
                                        ; implicit-def: $vgpr16_vgpr17
.LBB199_1253:
	s_mov_b32 s10, 0
.LBB199_1254:
	s_delay_alu instid0(SALU_CYCLE_1)
	s_and_b32 vcc_lo, exec_lo, s10
	s_cbranch_vccz .LBB199_1256
; %bb.1255:
	s_cmp_lg_u32 s0, 11
	s_mov_b32 s11, -1
	s_cselect_b32 s1, -1, 0
.LBB199_1256:
	s_delay_alu instid0(SALU_CYCLE_1)
	s_and_b32 vcc_lo, exec_lo, s1
	s_mov_b32 s10, s8
	s_cbranch_vccnz .LBB199_1327
; %bb.1257:
	s_and_not1_b32 vcc_lo, exec_lo, s11
	s_cbranch_vccnz .LBB199_1259
.LBB199_1258:
	global_load_u8 v1, v[8:9], off
	s_mov_b32 s0, 0
	s_mov_b32 s13, -1
	s_wait_loadcnt 0x1
	v_mov_b32_e32 v17, s0
	s_wait_loadcnt 0x0
	v_cmp_ne_u16_e32 vcc_lo, 0, v1
	v_cndmask_b32_e64 v16, 0, 1, vcc_lo
.LBB199_1259:
	s_branch .LBB199_1193
.LBB199_1260:
	s_and_b32 s0, 0xffff, s12
	s_delay_alu instid0(SALU_CYCLE_1)
	s_cmp_lt_i32 s0, 5
	s_cbranch_scc1 .LBB199_1265
; %bb.1261:
	s_cmp_lt_i32 s0, 8
	s_cbranch_scc1 .LBB199_1266
; %bb.1262:
	;; [unrolled: 3-line block ×3, first 2 shown]
	s_cmp_gt_i32 s0, 9
	s_cbranch_scc0 .LBB199_1268
; %bb.1264:
	s_wait_loadcnt 0x0
	global_load_b64 v[16:17], v[8:9], off
	s_mov_b32 s1, 0
	s_wait_loadcnt 0x0
	v_trunc_f64_e32 v[16:17], v[16:17]
	s_delay_alu instid0(VALU_DEP_1) | instskip(NEXT) | instid1(VALU_DEP_1)
	v_ldexp_f64 v[18:19], v[16:17], 0xffffffe0
	v_floor_f64_e32 v[18:19], v[18:19]
	s_delay_alu instid0(VALU_DEP_1) | instskip(SKIP_1) | instid1(VALU_DEP_2)
	v_fmamk_f64 v[20:21], v[18:19], 0xc1f00000, v[16:17]
	v_cvt_i32_f64_e32 v17, v[18:19]
	v_cvt_u32_f64_e32 v16, v[20:21]
	s_branch .LBB199_1269
.LBB199_1265:
                                        ; implicit-def: $vgpr16_vgpr17
	s_branch .LBB199_1286
.LBB199_1266:
                                        ; implicit-def: $vgpr16_vgpr17
	s_branch .LBB199_1275
.LBB199_1267:
	s_mov_b32 s1, -1
                                        ; implicit-def: $vgpr16_vgpr17
	s_branch .LBB199_1272
.LBB199_1268:
	s_mov_b32 s1, -1
                                        ; implicit-def: $vgpr16_vgpr17
.LBB199_1269:
	s_delay_alu instid0(SALU_CYCLE_1)
	s_and_not1_b32 vcc_lo, exec_lo, s1
	s_cbranch_vccnz .LBB199_1271
; %bb.1270:
	global_load_b32 v1, v[8:9], off
	s_wait_loadcnt 0x0
	v_trunc_f32_e32 v1, v1
	s_delay_alu instid0(VALU_DEP_1) | instskip(SKIP_1) | instid1(VALU_DEP_2)
	v_mul_f32_e64 v3, 0x2f800000, |v1|
	v_ashrrev_i32_e32 v16, 31, v1
	v_floor_f32_e32 v3, v3
	s_delay_alu instid0(VALU_DEP_1) | instskip(SKIP_1) | instid1(VALU_DEP_4)
	v_fma_f32 v5, 0xcf800000, v3, |v1|
	v_cvt_u32_f32_e32 v1, v3
	v_mov_b32_e32 v17, v16
	s_delay_alu instid0(VALU_DEP_3) | instskip(NEXT) | instid1(VALU_DEP_3)
	v_cvt_u32_f32_e32 v3, v5
	v_xor_b32_e32 v19, v1, v16
	s_delay_alu instid0(VALU_DEP_2) | instskip(NEXT) | instid1(VALU_DEP_1)
	v_xor_b32_e32 v18, v3, v16
	v_sub_nc_u64_e32 v[16:17], v[18:19], v[16:17]
.LBB199_1271:
	s_mov_b32 s1, 0
.LBB199_1272:
	s_delay_alu instid0(SALU_CYCLE_1)
	s_and_not1_b32 vcc_lo, exec_lo, s1
	s_cbranch_vccnz .LBB199_1274
; %bb.1273:
	global_load_b32 v1, v[8:9], off
	s_wait_loadcnt 0x0
	v_cvt_f32_f16_e32 v1, v1
	s_delay_alu instid0(VALU_DEP_1) | instskip(NEXT) | instid1(VALU_DEP_1)
	v_cvt_i32_f32_e32 v16, v1
	v_ashrrev_i32_e32 v17, 31, v16
.LBB199_1274:
	s_cbranch_execnz .LBB199_1285
.LBB199_1275:
	s_cmp_lt_i32 s0, 6
	s_cbranch_scc1 .LBB199_1278
; %bb.1276:
	s_cmp_gt_i32 s0, 6
	s_cbranch_scc0 .LBB199_1279
; %bb.1277:
	s_wait_loadcnt 0x0
	global_load_b64 v[16:17], v[8:9], off
	s_mov_b32 s1, 0
	s_wait_loadcnt 0x0
	v_trunc_f64_e32 v[16:17], v[16:17]
	s_delay_alu instid0(VALU_DEP_1) | instskip(NEXT) | instid1(VALU_DEP_1)
	v_ldexp_f64 v[18:19], v[16:17], 0xffffffe0
	v_floor_f64_e32 v[18:19], v[18:19]
	s_delay_alu instid0(VALU_DEP_1) | instskip(SKIP_1) | instid1(VALU_DEP_2)
	v_fmamk_f64 v[20:21], v[18:19], 0xc1f00000, v[16:17]
	v_cvt_i32_f64_e32 v17, v[18:19]
	v_cvt_u32_f64_e32 v16, v[20:21]
	s_branch .LBB199_1280
.LBB199_1278:
	s_mov_b32 s1, -1
                                        ; implicit-def: $vgpr16_vgpr17
	s_branch .LBB199_1283
.LBB199_1279:
	s_mov_b32 s1, -1
                                        ; implicit-def: $vgpr16_vgpr17
.LBB199_1280:
	s_delay_alu instid0(SALU_CYCLE_1)
	s_and_not1_b32 vcc_lo, exec_lo, s1
	s_cbranch_vccnz .LBB199_1282
; %bb.1281:
	global_load_b32 v1, v[8:9], off
	s_wait_loadcnt 0x0
	v_trunc_f32_e32 v1, v1
	s_delay_alu instid0(VALU_DEP_1) | instskip(SKIP_1) | instid1(VALU_DEP_2)
	v_mul_f32_e64 v3, 0x2f800000, |v1|
	v_ashrrev_i32_e32 v16, 31, v1
	v_floor_f32_e32 v3, v3
	s_delay_alu instid0(VALU_DEP_1) | instskip(SKIP_1) | instid1(VALU_DEP_4)
	v_fma_f32 v5, 0xcf800000, v3, |v1|
	v_cvt_u32_f32_e32 v1, v3
	v_mov_b32_e32 v17, v16
	s_delay_alu instid0(VALU_DEP_3) | instskip(NEXT) | instid1(VALU_DEP_3)
	v_cvt_u32_f32_e32 v3, v5
	v_xor_b32_e32 v19, v1, v16
	s_delay_alu instid0(VALU_DEP_2) | instskip(NEXT) | instid1(VALU_DEP_1)
	v_xor_b32_e32 v18, v3, v16
	v_sub_nc_u64_e32 v[16:17], v[18:19], v[16:17]
.LBB199_1282:
	s_mov_b32 s1, 0
.LBB199_1283:
	s_delay_alu instid0(SALU_CYCLE_1)
	s_and_not1_b32 vcc_lo, exec_lo, s1
	s_cbranch_vccnz .LBB199_1285
; %bb.1284:
	global_load_u16 v1, v[8:9], off
	s_wait_loadcnt 0x0
	v_cvt_f32_f16_e32 v1, v1
	s_delay_alu instid0(VALU_DEP_1) | instskip(NEXT) | instid1(VALU_DEP_1)
	v_cvt_i32_f32_e32 v16, v1
	v_ashrrev_i32_e32 v17, 31, v16
.LBB199_1285:
	s_cbranch_execnz .LBB199_1304
.LBB199_1286:
	s_cmp_lt_i32 s0, 2
	s_cbranch_scc1 .LBB199_1290
; %bb.1287:
	s_cmp_lt_i32 s0, 3
	s_cbranch_scc1 .LBB199_1291
; %bb.1288:
	s_cmp_gt_i32 s0, 3
	s_cbranch_scc0 .LBB199_1292
; %bb.1289:
	s_wait_loadcnt 0x0
	global_load_b64 v[16:17], v[8:9], off
	s_mov_b32 s1, 0
	s_branch .LBB199_1293
.LBB199_1290:
                                        ; implicit-def: $vgpr16_vgpr17
	s_branch .LBB199_1299
.LBB199_1291:
	s_mov_b32 s1, -1
                                        ; implicit-def: $vgpr16_vgpr17
	s_branch .LBB199_1296
.LBB199_1292:
	s_mov_b32 s1, -1
                                        ; implicit-def: $vgpr16_vgpr17
.LBB199_1293:
	s_delay_alu instid0(SALU_CYCLE_1)
	s_and_not1_b32 vcc_lo, exec_lo, s1
	s_cbranch_vccnz .LBB199_1295
; %bb.1294:
	s_wait_loadcnt 0x0
	global_load_b32 v16, v[8:9], off
	s_wait_loadcnt 0x0
	v_ashrrev_i32_e32 v17, 31, v16
.LBB199_1295:
	s_mov_b32 s1, 0
.LBB199_1296:
	s_delay_alu instid0(SALU_CYCLE_1)
	s_and_not1_b32 vcc_lo, exec_lo, s1
	s_cbranch_vccnz .LBB199_1298
; %bb.1297:
	global_load_u16 v1, v[8:9], off
	s_wait_loadcnt 0x0
	v_bfe_i32 v16, v1, 0, 16
	s_delay_alu instid0(VALU_DEP_1)
	v_ashrrev_i32_e32 v17, 31, v16
.LBB199_1298:
	s_cbranch_execnz .LBB199_1304
.LBB199_1299:
	s_cmp_gt_i32 s0, 0
	s_mov_b32 s0, 0
	s_cbranch_scc0 .LBB199_1301
; %bb.1300:
	global_load_i8 v1, v[8:9], off
	s_wait_loadcnt 0x0
	v_bfe_i32 v16, v1, 0, 16
	s_delay_alu instid0(VALU_DEP_1)
	v_ashrrev_i32_e32 v17, 31, v16
	s_branch .LBB199_1302
.LBB199_1301:
	s_mov_b32 s0, -1
                                        ; implicit-def: $vgpr16_vgpr17
.LBB199_1302:
	s_delay_alu instid0(SALU_CYCLE_1)
	s_and_not1_b32 vcc_lo, exec_lo, s0
	s_cbranch_vccnz .LBB199_1304
; %bb.1303:
	global_load_u8 v1, v[8:9], off
	s_mov_b32 s0, 0
	s_wait_loadcnt 0x1
	v_mov_b32_e32 v17, s0
	s_wait_loadcnt 0x0
	v_and_b32_e32 v16, 0xffff, v1
.LBB199_1304:
.LBB199_1305:
	s_clause 0x1
	s_load_b32 s11, s[2:3], 0x158
	s_load_b64 s[0:1], s[2:3], 0x160
	s_mov_b32 s13, 0
	s_wait_kmcnt 0x0
	s_cmp_lt_i32 s11, 1
	s_cbranch_scc1 .LBB199_1308
; %bb.1306:
	s_cmp_eq_u32 s11, 1
	s_cbranch_scc0 .LBB199_1323
; %bb.1307:
	s_wait_loadcnt 0x0
	s_delay_alu instid0(VALU_DEP_1)
	v_min_i64 v[8:9], v[16:17], s[0:1]
	s_mov_b32 s14, 0
	s_branch .LBB199_1310
.LBB199_1308:
	s_mov_b32 s14, 0
                                        ; implicit-def: $vgpr8_vgpr9
	s_cbranch_execz .LBB199_1310
; %bb.1309:
	s_cmp_lg_u32 s11, 0
	s_mov_b32 s13, -1
	s_cselect_b32 s14, -1, 0
.LBB199_1310:
	s_wait_loadcnt 0x0
	s_delay_alu instid0(VALU_DEP_1)
	v_max_i64 v[18:19], v[16:17], s[0:1]
	s_and_not1_b32 vcc_lo, exec_lo, s14
	s_cbranch_vccnz .LBB199_1312
; %bb.1311:
	v_max_i64 v[8:9], v[16:17], s[0:1]
	s_load_b64 s[14:15], s[2:3], 0x168
	s_wait_kmcnt 0x0
	s_delay_alu instid0(VALU_DEP_1)
	v_min_i64 v[8:9], v[8:9], s[14:15]
	s_cbranch_execz .LBB199_1313
	s_branch .LBB199_1314
.LBB199_1312:
	s_and_not1_b32 vcc_lo, exec_lo, s13
	s_cbranch_vccnz .LBB199_1314
.LBB199_1313:
	s_delay_alu instid0(VALU_DEP_1)
	v_mov_b64_e32 v[8:9], v[18:19]
.LBB199_1314:
	v_mov_b32_e32 v11, 0
	s_and_b32 s12, 0xffff, s12
	s_delay_alu instid0(SALU_CYCLE_1) | instskip(NEXT) | instid1(VALU_DEP_1)
	s_cmp_lt_i32 s12, 11
	v_add_nc_u64_e32 v[10:11], s[6:7], v[10:11]
	s_cbranch_scc1 .LBB199_1321
; %bb.1315:
	s_cmp_gt_i32 s12, 25
	s_mov_b32 s14, 0
	s_cbranch_scc0 .LBB199_1324
; %bb.1316:
	s_cmp_gt_i32 s12, 28
	s_cbranch_scc0 .LBB199_1325
; %bb.1317:
	s_cmp_gt_i32 s12, 43
	s_cbranch_scc0 .LBB199_1326
; %bb.1318:
	s_cmp_gt_i32 s12, 45
	s_cbranch_scc0 .LBB199_1328
; %bb.1319:
	s_cmp_eq_u32 s12, 46
	s_mov_b32 s16, 0
	s_cbranch_scc0 .LBB199_1331
; %bb.1320:
	global_load_b32 v1, v[10:11], off
	s_mov_b32 s13, 0
	s_mov_b32 s15, -1
	s_wait_loadcnt 0x0
	v_lshlrev_b32_e32 v1, 16, v1
	s_delay_alu instid0(VALU_DEP_1) | instskip(NEXT) | instid1(VALU_DEP_1)
	v_trunc_f32_e32 v1, v1
	v_mul_f32_e64 v3, 0x2f800000, |v1|
	v_ashrrev_i32_e32 v16, 31, v1
	s_delay_alu instid0(VALU_DEP_2) | instskip(NEXT) | instid1(VALU_DEP_2)
	v_floor_f32_e32 v3, v3
	v_mov_b32_e32 v17, v16
	s_delay_alu instid0(VALU_DEP_2) | instskip(SKIP_1) | instid1(VALU_DEP_2)
	v_fma_f32 v5, 0xcf800000, v3, |v1|
	v_cvt_u32_f32_e32 v1, v3
	v_cvt_u32_f32_e32 v3, v5
	s_delay_alu instid0(VALU_DEP_2) | instskip(NEXT) | instid1(VALU_DEP_2)
	v_xor_b32_e32 v19, v1, v16
	v_xor_b32_e32 v18, v3, v16
	s_delay_alu instid0(VALU_DEP_1)
	v_sub_nc_u64_e32 v[16:17], v[18:19], v[16:17]
	s_branch .LBB199_1333
.LBB199_1321:
	s_mov_b32 s15, 0
                                        ; implicit-def: $vgpr16_vgpr17
	s_cbranch_execnz .LBB199_1394
.LBB199_1322:
	s_and_not1_b32 vcc_lo, exec_lo, s15
	s_cbranch_vccnz .LBB199_1719
	s_branch .LBB199_1441
.LBB199_1323:
	s_mov_b32 s14, -1
                                        ; implicit-def: $vgpr8_vgpr9
	s_branch .LBB199_1310
.LBB199_1324:
	s_mov_b32 s15, 0
	s_mov_b32 s13, 0
                                        ; implicit-def: $vgpr16_vgpr17
	s_cbranch_execnz .LBB199_1360
	s_branch .LBB199_1390
.LBB199_1325:
	s_mov_b32 s16, -1
	s_mov_b32 s15, 0
	s_mov_b32 s13, 0
                                        ; implicit-def: $vgpr16_vgpr17
	s_branch .LBB199_1343
.LBB199_1326:
	s_mov_b32 s16, -1
	s_mov_b32 s15, 0
	s_mov_b32 s13, 0
                                        ; implicit-def: $vgpr16_vgpr17
	s_branch .LBB199_1338
.LBB199_1327:
	s_or_b32 s10, s8, exec_lo
	s_trap 2
	s_cbranch_execz .LBB199_1258
	s_branch .LBB199_1259
.LBB199_1328:
	s_mov_b32 s16, -1
	s_mov_b32 s15, 0
	s_mov_b32 s13, 0
	s_branch .LBB199_1332
.LBB199_1329:
	s_and_not1_saveexec_b32 s10, s10
	s_cbranch_execz .LBB199_1049
.LBB199_1330:
	v_add_f32_e64 v3, 0x42800000, |v2|
	s_and_not1_b32 s9, s9, exec_lo
	s_delay_alu instid0(VALU_DEP_1) | instskip(NEXT) | instid1(VALU_DEP_1)
	v_and_b32_e32 v3, 0xff, v3
	v_cmp_ne_u32_e32 vcc_lo, 0, v3
	s_and_b32 s11, vcc_lo, exec_lo
	s_delay_alu instid0(SALU_CYCLE_1)
	s_or_b32 s9, s9, s11
	s_or_b32 exec_lo, exec_lo, s10
	v_mov_b32_e32 v6, 0
	s_and_saveexec_b32 s10, s9
	s_cbranch_execnz .LBB199_1050
	s_branch .LBB199_1051
.LBB199_1331:
	s_mov_b32 s13, -1
	s_mov_b32 s15, 0
.LBB199_1332:
                                        ; implicit-def: $vgpr16_vgpr17
.LBB199_1333:
	s_and_b32 vcc_lo, exec_lo, s16
	s_cbranch_vccz .LBB199_1337
; %bb.1334:
	s_cmp_eq_u32 s12, 44
	s_cbranch_scc0 .LBB199_1336
; %bb.1335:
	global_load_u8 v1, v[10:11], off
	s_mov_b32 s13, 0
	s_mov_b32 s15, -1
	s_wait_loadcnt 0x0
	v_lshlrev_b32_e32 v3, 23, v1
	v_cmp_ne_u32_e32 vcc_lo, 0, v1
	s_delay_alu instid0(VALU_DEP_2) | instskip(NEXT) | instid1(VALU_DEP_1)
	v_trunc_f32_e32 v3, v3
	v_mul_f32_e64 v5, 0x2f800000, |v3|
	v_ashrrev_i32_e32 v16, 31, v3
	s_delay_alu instid0(VALU_DEP_2) | instskip(NEXT) | instid1(VALU_DEP_2)
	v_floor_f32_e32 v5, v5
	v_mov_b32_e32 v17, v16
	s_delay_alu instid0(VALU_DEP_2) | instskip(SKIP_1) | instid1(VALU_DEP_2)
	v_fma_f32 v7, 0xcf800000, v5, |v3|
	v_cvt_u32_f32_e32 v3, v5
	v_cvt_u32_f32_e32 v5, v7
	s_delay_alu instid0(VALU_DEP_2) | instskip(NEXT) | instid1(VALU_DEP_2)
	v_xor_b32_e32 v19, v3, v16
	v_xor_b32_e32 v18, v5, v16
	s_delay_alu instid0(VALU_DEP_1) | instskip(NEXT) | instid1(VALU_DEP_1)
	v_sub_nc_u64_e32 v[16:17], v[18:19], v[16:17]
	v_dual_cndmask_b32 v17, 0, v17 :: v_dual_cndmask_b32 v16, 0, v16
	s_branch .LBB199_1337
.LBB199_1336:
	s_mov_b32 s13, -1
                                        ; implicit-def: $vgpr16_vgpr17
.LBB199_1337:
	s_mov_b32 s16, 0
.LBB199_1338:
	s_delay_alu instid0(SALU_CYCLE_1)
	s_and_b32 vcc_lo, exec_lo, s16
	s_cbranch_vccz .LBB199_1342
; %bb.1339:
	s_cmp_eq_u32 s12, 29
	s_cbranch_scc0 .LBB199_1341
; %bb.1340:
	global_load_b64 v[16:17], v[10:11], off
	s_mov_b32 s13, 0
	s_mov_b32 s15, -1
	s_branch .LBB199_1342
.LBB199_1341:
	s_mov_b32 s13, -1
                                        ; implicit-def: $vgpr16_vgpr17
.LBB199_1342:
	s_mov_b32 s16, 0
.LBB199_1343:
	s_delay_alu instid0(SALU_CYCLE_1)
	s_and_b32 vcc_lo, exec_lo, s16
	s_cbranch_vccz .LBB199_1359
; %bb.1344:
	s_cmp_lt_i32 s12, 27
	s_cbranch_scc1 .LBB199_1347
; %bb.1345:
	s_cmp_gt_i32 s12, 27
	s_cbranch_scc0 .LBB199_1348
; %bb.1346:
	s_wait_loadcnt 0x0
	global_load_b32 v16, v[10:11], off
	v_mov_b32_e32 v17, 0
	s_mov_b32 s15, 0
	s_branch .LBB199_1349
.LBB199_1347:
	s_mov_b32 s15, -1
                                        ; implicit-def: $vgpr16_vgpr17
	s_branch .LBB199_1352
.LBB199_1348:
	s_mov_b32 s15, -1
                                        ; implicit-def: $vgpr16_vgpr17
.LBB199_1349:
	s_delay_alu instid0(SALU_CYCLE_1)
	s_and_not1_b32 vcc_lo, exec_lo, s15
	s_cbranch_vccnz .LBB199_1351
; %bb.1350:
	global_load_u16 v1, v[10:11], off
	s_mov_b32 s15, 0
	s_wait_loadcnt 0x1
	v_mov_b32_e32 v17, s15
	s_wait_loadcnt 0x0
	v_and_b32_e32 v16, 0xffff, v1
.LBB199_1351:
	s_mov_b32 s15, 0
.LBB199_1352:
	s_delay_alu instid0(SALU_CYCLE_1)
	s_and_not1_b32 vcc_lo, exec_lo, s15
	s_cbranch_vccnz .LBB199_1358
; %bb.1353:
	global_load_u8 v1, v[10:11], off
	s_mov_b32 s16, 0
	s_mov_b32 s15, exec_lo
	s_wait_loadcnt 0x0
	v_cmpx_lt_i16_e32 0x7f, v1
	s_xor_b32 s15, exec_lo, s15
	s_cbranch_execz .LBB199_1369
; %bb.1354:
	v_cmp_ne_u16_e32 vcc_lo, 0x80, v1
	s_and_b32 s16, vcc_lo, exec_lo
	s_and_not1_saveexec_b32 s15, s15
	s_cbranch_execnz .LBB199_1370
.LBB199_1355:
	s_or_b32 exec_lo, exec_lo, s15
	v_mov_b64_e32 v[16:17], 0
	s_and_saveexec_b32 s15, s16
	s_cbranch_execz .LBB199_1357
.LBB199_1356:
	v_and_b32_e32 v3, 0xffff, v1
	s_delay_alu instid0(VALU_DEP_1) | instskip(SKIP_1) | instid1(VALU_DEP_2)
	v_dual_lshlrev_b32 v1, 24, v1 :: v_dual_bitop2_b32 v5, 7, v3 bitop3:0x40
	v_bfe_u32 v15, v3, 3, 4
	v_and_b32_e32 v1, 0x80000000, v1
	s_delay_alu instid0(VALU_DEP_3) | instskip(NEXT) | instid1(VALU_DEP_3)
	v_clz_i32_u32_e32 v7, v5
	v_cmp_eq_u32_e32 vcc_lo, 0, v15
	s_delay_alu instid0(VALU_DEP_2) | instskip(NEXT) | instid1(VALU_DEP_1)
	v_min_u32_e32 v7, 32, v7
	v_subrev_nc_u32_e32 v13, 28, v7
	v_sub_nc_u32_e32 v7, 29, v7
	s_delay_alu instid0(VALU_DEP_2) | instskip(NEXT) | instid1(VALU_DEP_2)
	v_lshlrev_b32_e32 v3, v13, v3
	v_cndmask_b32_e32 v7, v15, v7, vcc_lo
	s_delay_alu instid0(VALU_DEP_2) | instskip(NEXT) | instid1(VALU_DEP_1)
	v_and_b32_e32 v3, 7, v3
	v_cndmask_b32_e32 v3, v5, v3, vcc_lo
	s_delay_alu instid0(VALU_DEP_3) | instskip(NEXT) | instid1(VALU_DEP_2)
	v_lshl_add_u32 v5, v7, 23, 0x3b800000
	v_lshlrev_b32_e32 v3, 20, v3
	s_delay_alu instid0(VALU_DEP_1) | instskip(NEXT) | instid1(VALU_DEP_1)
	v_or3_b32 v1, v1, v5, v3
	v_trunc_f32_e32 v1, v1
	s_delay_alu instid0(VALU_DEP_1) | instskip(SKIP_1) | instid1(VALU_DEP_2)
	v_mul_f32_e64 v3, 0x2f800000, |v1|
	v_ashrrev_i32_e32 v16, 31, v1
	v_floor_f32_e32 v3, v3
	s_delay_alu instid0(VALU_DEP_2) | instskip(NEXT) | instid1(VALU_DEP_2)
	v_mov_b32_e32 v17, v16
	v_fma_f32 v5, 0xcf800000, v3, |v1|
	v_cvt_u32_f32_e32 v1, v3
	s_delay_alu instid0(VALU_DEP_2) | instskip(NEXT) | instid1(VALU_DEP_2)
	v_cvt_u32_f32_e32 v3, v5
	v_xor_b32_e32 v19, v1, v16
	s_delay_alu instid0(VALU_DEP_2) | instskip(NEXT) | instid1(VALU_DEP_1)
	v_xor_b32_e32 v18, v3, v16
	v_sub_nc_u64_e32 v[16:17], v[18:19], v[16:17]
.LBB199_1357:
	s_or_b32 exec_lo, exec_lo, s15
.LBB199_1358:
	s_mov_b32 s15, -1
.LBB199_1359:
	s_branch .LBB199_1390
.LBB199_1360:
	s_cmp_gt_i32 s12, 22
	s_cbranch_scc0 .LBB199_1368
; %bb.1361:
	s_cmp_lt_i32 s12, 24
	s_cbranch_scc1 .LBB199_1371
; %bb.1362:
	s_cmp_gt_i32 s12, 24
	s_cbranch_scc0 .LBB199_1372
; %bb.1363:
	global_load_u8 v1, v[10:11], off
	s_mov_b32 s15, 0
	s_mov_b32 s14, exec_lo
	s_wait_loadcnt 0x0
	v_cmpx_lt_i16_e32 0x7f, v1
	s_xor_b32 s14, exec_lo, s14
	s_cbranch_execz .LBB199_1384
; %bb.1364:
	v_cmp_ne_u16_e32 vcc_lo, 0x80, v1
	s_and_b32 s15, vcc_lo, exec_lo
	s_and_not1_saveexec_b32 s14, s14
	s_cbranch_execnz .LBB199_1385
.LBB199_1365:
	s_or_b32 exec_lo, exec_lo, s14
	v_mov_b64_e32 v[16:17], 0
	s_and_saveexec_b32 s14, s15
	s_cbranch_execz .LBB199_1367
.LBB199_1366:
	v_and_b32_e32 v3, 0xffff, v1
	s_delay_alu instid0(VALU_DEP_1) | instskip(SKIP_1) | instid1(VALU_DEP_2)
	v_dual_lshlrev_b32 v1, 24, v1 :: v_dual_bitop2_b32 v5, 3, v3 bitop3:0x40
	v_bfe_u32 v15, v3, 2, 5
	v_and_b32_e32 v1, 0x80000000, v1
	s_delay_alu instid0(VALU_DEP_3) | instskip(NEXT) | instid1(VALU_DEP_3)
	v_clz_i32_u32_e32 v7, v5
	v_cmp_eq_u32_e32 vcc_lo, 0, v15
	s_delay_alu instid0(VALU_DEP_2) | instskip(NEXT) | instid1(VALU_DEP_1)
	v_min_u32_e32 v7, 32, v7
	v_subrev_nc_u32_e32 v13, 29, v7
	v_sub_nc_u32_e32 v7, 30, v7
	s_delay_alu instid0(VALU_DEP_2) | instskip(NEXT) | instid1(VALU_DEP_2)
	v_lshlrev_b32_e32 v3, v13, v3
	v_cndmask_b32_e32 v7, v15, v7, vcc_lo
	s_delay_alu instid0(VALU_DEP_2) | instskip(NEXT) | instid1(VALU_DEP_1)
	v_and_b32_e32 v3, 3, v3
	v_cndmask_b32_e32 v3, v5, v3, vcc_lo
	s_delay_alu instid0(VALU_DEP_3) | instskip(NEXT) | instid1(VALU_DEP_2)
	v_lshl_add_u32 v5, v7, 23, 0x37800000
	v_lshlrev_b32_e32 v3, 21, v3
	s_delay_alu instid0(VALU_DEP_1) | instskip(NEXT) | instid1(VALU_DEP_1)
	v_or3_b32 v1, v1, v5, v3
	v_trunc_f32_e32 v1, v1
	s_delay_alu instid0(VALU_DEP_1) | instskip(SKIP_1) | instid1(VALU_DEP_2)
	v_mul_f32_e64 v3, 0x2f800000, |v1|
	v_ashrrev_i32_e32 v16, 31, v1
	v_floor_f32_e32 v3, v3
	s_delay_alu instid0(VALU_DEP_2) | instskip(NEXT) | instid1(VALU_DEP_2)
	v_mov_b32_e32 v17, v16
	v_fma_f32 v5, 0xcf800000, v3, |v1|
	v_cvt_u32_f32_e32 v1, v3
	s_delay_alu instid0(VALU_DEP_2) | instskip(NEXT) | instid1(VALU_DEP_2)
	v_cvt_u32_f32_e32 v3, v5
	v_xor_b32_e32 v19, v1, v16
	s_delay_alu instid0(VALU_DEP_2) | instskip(NEXT) | instid1(VALU_DEP_1)
	v_xor_b32_e32 v18, v3, v16
	v_sub_nc_u64_e32 v[16:17], v[18:19], v[16:17]
.LBB199_1367:
	s_or_b32 exec_lo, exec_lo, s14
	s_mov_b32 s14, 0
	s_branch .LBB199_1373
.LBB199_1368:
	s_mov_b32 s14, -1
                                        ; implicit-def: $vgpr16_vgpr17
	s_branch .LBB199_1379
.LBB199_1369:
	s_and_not1_saveexec_b32 s15, s15
	s_cbranch_execz .LBB199_1355
.LBB199_1370:
	v_cmp_ne_u16_e32 vcc_lo, 0, v1
	s_and_not1_b32 s16, s16, exec_lo
	s_and_b32 s17, vcc_lo, exec_lo
	s_delay_alu instid0(SALU_CYCLE_1)
	s_or_b32 s16, s16, s17
	s_or_b32 exec_lo, exec_lo, s15
	v_mov_b64_e32 v[16:17], 0
	s_and_saveexec_b32 s15, s16
	s_cbranch_execnz .LBB199_1356
	s_branch .LBB199_1357
.LBB199_1371:
	s_mov_b32 s14, -1
                                        ; implicit-def: $vgpr16_vgpr17
	s_branch .LBB199_1376
.LBB199_1372:
	s_mov_b32 s14, -1
                                        ; implicit-def: $vgpr16_vgpr17
.LBB199_1373:
	s_delay_alu instid0(SALU_CYCLE_1)
	s_and_b32 vcc_lo, exec_lo, s14
	s_cbranch_vccz .LBB199_1375
; %bb.1374:
	global_load_u8 v1, v[10:11], off
	s_wait_loadcnt 0x0
	v_lshlrev_b32_e32 v1, 24, v1
	s_delay_alu instid0(VALU_DEP_1) | instskip(NEXT) | instid1(VALU_DEP_1)
	v_and_b32_e32 v3, 0x7f000000, v1
	v_clz_i32_u32_e32 v5, v3
	v_add_nc_u32_e32 v13, 0x1000000, v3
	v_cmp_ne_u32_e32 vcc_lo, 0, v3
	s_delay_alu instid0(VALU_DEP_3) | instskip(NEXT) | instid1(VALU_DEP_1)
	v_min_u32_e32 v5, 32, v5
	v_sub_nc_u32_e64 v5, v5, 4 clamp
	s_delay_alu instid0(VALU_DEP_1) | instskip(NEXT) | instid1(VALU_DEP_1)
	v_dual_lshlrev_b32 v7, v5, v3 :: v_dual_lshlrev_b32 v5, 23, v5
	v_lshrrev_b32_e32 v7, 4, v7
	s_delay_alu instid0(VALU_DEP_1) | instskip(SKIP_1) | instid1(VALU_DEP_2)
	v_sub_nc_u32_e32 v5, v7, v5
	v_ashrrev_i32_e32 v7, 8, v13
	v_add_nc_u32_e32 v5, 0x3c000000, v5
	s_delay_alu instid0(VALU_DEP_1) | instskip(NEXT) | instid1(VALU_DEP_1)
	v_and_or_b32 v5, 0x7f800000, v7, v5
	v_cndmask_b32_e32 v3, 0, v5, vcc_lo
	s_delay_alu instid0(VALU_DEP_1) | instskip(NEXT) | instid1(VALU_DEP_1)
	v_and_or_b32 v1, 0x80000000, v1, v3
	v_trunc_f32_e32 v1, v1
	s_delay_alu instid0(VALU_DEP_1) | instskip(SKIP_1) | instid1(VALU_DEP_2)
	v_mul_f32_e64 v3, 0x2f800000, |v1|
	v_ashrrev_i32_e32 v16, 31, v1
	v_floor_f32_e32 v3, v3
	s_delay_alu instid0(VALU_DEP_2) | instskip(NEXT) | instid1(VALU_DEP_2)
	v_mov_b32_e32 v17, v16
	v_fma_f32 v5, 0xcf800000, v3, |v1|
	v_cvt_u32_f32_e32 v1, v3
	s_delay_alu instid0(VALU_DEP_2) | instskip(NEXT) | instid1(VALU_DEP_2)
	v_cvt_u32_f32_e32 v3, v5
	v_xor_b32_e32 v19, v1, v16
	s_delay_alu instid0(VALU_DEP_2) | instskip(NEXT) | instid1(VALU_DEP_1)
	v_xor_b32_e32 v18, v3, v16
	v_sub_nc_u64_e32 v[16:17], v[18:19], v[16:17]
.LBB199_1375:
	s_mov_b32 s14, 0
.LBB199_1376:
	s_delay_alu instid0(SALU_CYCLE_1)
	s_and_not1_b32 vcc_lo, exec_lo, s14
	s_cbranch_vccnz .LBB199_1378
; %bb.1377:
	global_load_u8 v1, v[10:11], off
	s_wait_loadcnt 0x0
	v_lshlrev_b32_e32 v3, 25, v1
	v_lshlrev_b16 v1, 8, v1
	s_delay_alu instid0(VALU_DEP_1) | instskip(SKIP_1) | instid1(VALU_DEP_2)
	v_and_or_b32 v7, 0x7f00, v1, 0.5
	v_bfe_i32 v1, v1, 0, 16
	v_add_f32_e32 v7, -0.5, v7
	v_lshrrev_b32_e32 v5, 4, v3
	v_cmp_gt_u32_e32 vcc_lo, 0x8000000, v3
	s_delay_alu instid0(VALU_DEP_2) | instskip(NEXT) | instid1(VALU_DEP_1)
	v_or_b32_e32 v5, 0x70000000, v5
	v_mul_f32_e32 v5, 0x7800000, v5
	s_delay_alu instid0(VALU_DEP_1) | instskip(NEXT) | instid1(VALU_DEP_1)
	v_cndmask_b32_e32 v3, v5, v7, vcc_lo
	v_and_or_b32 v1, 0x80000000, v1, v3
	s_delay_alu instid0(VALU_DEP_1) | instskip(NEXT) | instid1(VALU_DEP_1)
	v_trunc_f32_e32 v1, v1
	v_mul_f32_e64 v3, 0x2f800000, |v1|
	v_ashrrev_i32_e32 v16, 31, v1
	s_delay_alu instid0(VALU_DEP_2) | instskip(NEXT) | instid1(VALU_DEP_2)
	v_floor_f32_e32 v3, v3
	v_mov_b32_e32 v17, v16
	s_delay_alu instid0(VALU_DEP_2) | instskip(SKIP_1) | instid1(VALU_DEP_2)
	v_fma_f32 v5, 0xcf800000, v3, |v1|
	v_cvt_u32_f32_e32 v1, v3
	v_cvt_u32_f32_e32 v3, v5
	s_delay_alu instid0(VALU_DEP_2) | instskip(NEXT) | instid1(VALU_DEP_2)
	v_xor_b32_e32 v19, v1, v16
	v_xor_b32_e32 v18, v3, v16
	s_delay_alu instid0(VALU_DEP_1)
	v_sub_nc_u64_e32 v[16:17], v[18:19], v[16:17]
.LBB199_1378:
	s_mov_b32 s14, 0
	s_mov_b32 s15, -1
.LBB199_1379:
	s_and_not1_b32 vcc_lo, exec_lo, s14
	s_mov_b32 s14, 0
	s_cbranch_vccnz .LBB199_1390
; %bb.1380:
	s_cmp_gt_i32 s12, 14
	s_cbranch_scc0 .LBB199_1383
; %bb.1381:
	s_cmp_eq_u32 s12, 15
	s_cbranch_scc0 .LBB199_1386
; %bb.1382:
	global_load_u16 v1, v[10:11], off
	s_mov_b32 s13, 0
	s_mov_b32 s15, -1
	s_wait_loadcnt 0x0
	v_lshlrev_b32_e32 v1, 16, v1
	s_delay_alu instid0(VALU_DEP_1) | instskip(NEXT) | instid1(VALU_DEP_1)
	v_trunc_f32_e32 v1, v1
	v_mul_f32_e64 v3, 0x2f800000, |v1|
	v_ashrrev_i32_e32 v16, 31, v1
	s_delay_alu instid0(VALU_DEP_2) | instskip(NEXT) | instid1(VALU_DEP_2)
	v_floor_f32_e32 v3, v3
	v_mov_b32_e32 v17, v16
	s_delay_alu instid0(VALU_DEP_2) | instskip(SKIP_1) | instid1(VALU_DEP_2)
	v_fma_f32 v5, 0xcf800000, v3, |v1|
	v_cvt_u32_f32_e32 v1, v3
	v_cvt_u32_f32_e32 v3, v5
	s_delay_alu instid0(VALU_DEP_2) | instskip(NEXT) | instid1(VALU_DEP_2)
	v_xor_b32_e32 v19, v1, v16
	v_xor_b32_e32 v18, v3, v16
	s_delay_alu instid0(VALU_DEP_1)
	v_sub_nc_u64_e32 v[16:17], v[18:19], v[16:17]
	s_branch .LBB199_1388
.LBB199_1383:
	s_mov_b32 s14, -1
	s_branch .LBB199_1387
.LBB199_1384:
	s_and_not1_saveexec_b32 s14, s14
	s_cbranch_execz .LBB199_1365
.LBB199_1385:
	v_cmp_ne_u16_e32 vcc_lo, 0, v1
	s_and_not1_b32 s15, s15, exec_lo
	s_and_b32 s16, vcc_lo, exec_lo
	s_delay_alu instid0(SALU_CYCLE_1)
	s_or_b32 s15, s15, s16
	s_or_b32 exec_lo, exec_lo, s14
	v_mov_b64_e32 v[16:17], 0
	s_and_saveexec_b32 s14, s15
	s_cbranch_execnz .LBB199_1366
	s_branch .LBB199_1367
.LBB199_1386:
	s_mov_b32 s13, -1
.LBB199_1387:
                                        ; implicit-def: $vgpr16_vgpr17
.LBB199_1388:
	s_and_b32 vcc_lo, exec_lo, s14
	s_mov_b32 s14, 0
	s_cbranch_vccz .LBB199_1390
; %bb.1389:
	s_cmp_lg_u32 s12, 11
	s_mov_b32 s14, -1
	s_cselect_b32 s13, -1, 0
.LBB199_1390:
	s_delay_alu instid0(SALU_CYCLE_1)
	s_and_b32 vcc_lo, exec_lo, s13
	s_cbranch_vccnz .LBB199_1464
; %bb.1391:
	s_and_not1_b32 vcc_lo, exec_lo, s14
	s_cbranch_vccnz .LBB199_1393
.LBB199_1392:
	global_load_u8 v1, v[10:11], off
	s_mov_b32 s13, 0
	s_mov_b32 s15, -1
	s_wait_loadcnt 0x1
	v_mov_b32_e32 v17, s13
	s_wait_loadcnt 0x0
	v_cmp_ne_u16_e32 vcc_lo, 0, v1
	v_cndmask_b32_e64 v16, 0, 1, vcc_lo
.LBB199_1393:
	s_branch .LBB199_1322
.LBB199_1394:
	s_cmp_lt_i32 s12, 5
	s_cbranch_scc1 .LBB199_1399
; %bb.1395:
	s_cmp_lt_i32 s12, 8
	s_cbranch_scc1 .LBB199_1400
; %bb.1396:
	;; [unrolled: 3-line block ×3, first 2 shown]
	s_cmp_gt_i32 s12, 9
	s_cbranch_scc0 .LBB199_1402
; %bb.1398:
	s_wait_loadcnt 0x0
	global_load_b64 v[16:17], v[10:11], off
	s_mov_b32 s13, 0
	s_wait_loadcnt 0x0
	v_trunc_f64_e32 v[16:17], v[16:17]
	s_delay_alu instid0(VALU_DEP_1) | instskip(NEXT) | instid1(VALU_DEP_1)
	v_ldexp_f64 v[18:19], v[16:17], 0xffffffe0
	v_floor_f64_e32 v[18:19], v[18:19]
	s_delay_alu instid0(VALU_DEP_1) | instskip(SKIP_1) | instid1(VALU_DEP_2)
	v_fmamk_f64 v[20:21], v[18:19], 0xc1f00000, v[16:17]
	v_cvt_i32_f64_e32 v17, v[18:19]
	v_cvt_u32_f64_e32 v16, v[20:21]
	s_branch .LBB199_1403
.LBB199_1399:
                                        ; implicit-def: $vgpr16_vgpr17
	s_branch .LBB199_1421
.LBB199_1400:
	s_mov_b32 s13, -1
                                        ; implicit-def: $vgpr16_vgpr17
	s_branch .LBB199_1409
.LBB199_1401:
	s_mov_b32 s13, -1
                                        ; implicit-def: $vgpr16_vgpr17
	s_branch .LBB199_1406
.LBB199_1402:
	s_mov_b32 s13, -1
                                        ; implicit-def: $vgpr16_vgpr17
.LBB199_1403:
	s_delay_alu instid0(SALU_CYCLE_1)
	s_and_not1_b32 vcc_lo, exec_lo, s13
	s_cbranch_vccnz .LBB199_1405
; %bb.1404:
	global_load_b32 v1, v[10:11], off
	s_wait_loadcnt 0x0
	v_trunc_f32_e32 v1, v1
	s_delay_alu instid0(VALU_DEP_1) | instskip(SKIP_1) | instid1(VALU_DEP_2)
	v_mul_f32_e64 v3, 0x2f800000, |v1|
	v_ashrrev_i32_e32 v16, 31, v1
	v_floor_f32_e32 v3, v3
	s_delay_alu instid0(VALU_DEP_1) | instskip(SKIP_1) | instid1(VALU_DEP_4)
	v_fma_f32 v5, 0xcf800000, v3, |v1|
	v_cvt_u32_f32_e32 v1, v3
	v_mov_b32_e32 v17, v16
	s_delay_alu instid0(VALU_DEP_3) | instskip(NEXT) | instid1(VALU_DEP_3)
	v_cvt_u32_f32_e32 v3, v5
	v_xor_b32_e32 v19, v1, v16
	s_delay_alu instid0(VALU_DEP_2) | instskip(NEXT) | instid1(VALU_DEP_1)
	v_xor_b32_e32 v18, v3, v16
	v_sub_nc_u64_e32 v[16:17], v[18:19], v[16:17]
.LBB199_1405:
	s_mov_b32 s13, 0
.LBB199_1406:
	s_delay_alu instid0(SALU_CYCLE_1)
	s_and_not1_b32 vcc_lo, exec_lo, s13
	s_cbranch_vccnz .LBB199_1408
; %bb.1407:
	global_load_b32 v1, v[10:11], off
	s_wait_loadcnt 0x0
	v_cvt_f32_f16_e32 v1, v1
	s_delay_alu instid0(VALU_DEP_1) | instskip(NEXT) | instid1(VALU_DEP_1)
	v_cvt_i32_f32_e32 v16, v1
	v_ashrrev_i32_e32 v17, 31, v16
.LBB199_1408:
	s_mov_b32 s13, 0
.LBB199_1409:
	s_delay_alu instid0(SALU_CYCLE_1)
	s_and_not1_b32 vcc_lo, exec_lo, s13
	s_cbranch_vccnz .LBB199_1420
; %bb.1410:
	s_cmp_lt_i32 s12, 6
	s_cbranch_scc1 .LBB199_1413
; %bb.1411:
	s_cmp_gt_i32 s12, 6
	s_cbranch_scc0 .LBB199_1414
; %bb.1412:
	s_wait_loadcnt 0x0
	global_load_b64 v[16:17], v[10:11], off
	s_mov_b32 s13, 0
	s_wait_loadcnt 0x0
	v_trunc_f64_e32 v[16:17], v[16:17]
	s_delay_alu instid0(VALU_DEP_1) | instskip(NEXT) | instid1(VALU_DEP_1)
	v_ldexp_f64 v[18:19], v[16:17], 0xffffffe0
	v_floor_f64_e32 v[18:19], v[18:19]
	s_delay_alu instid0(VALU_DEP_1) | instskip(SKIP_1) | instid1(VALU_DEP_2)
	v_fmamk_f64 v[20:21], v[18:19], 0xc1f00000, v[16:17]
	v_cvt_i32_f64_e32 v17, v[18:19]
	v_cvt_u32_f64_e32 v16, v[20:21]
	s_branch .LBB199_1415
.LBB199_1413:
	s_mov_b32 s13, -1
                                        ; implicit-def: $vgpr16_vgpr17
	s_branch .LBB199_1418
.LBB199_1414:
	s_mov_b32 s13, -1
                                        ; implicit-def: $vgpr16_vgpr17
.LBB199_1415:
	s_delay_alu instid0(SALU_CYCLE_1)
	s_and_not1_b32 vcc_lo, exec_lo, s13
	s_cbranch_vccnz .LBB199_1417
; %bb.1416:
	global_load_b32 v1, v[10:11], off
	s_wait_loadcnt 0x0
	v_trunc_f32_e32 v1, v1
	s_delay_alu instid0(VALU_DEP_1) | instskip(SKIP_1) | instid1(VALU_DEP_2)
	v_mul_f32_e64 v3, 0x2f800000, |v1|
	v_ashrrev_i32_e32 v16, 31, v1
	v_floor_f32_e32 v3, v3
	s_delay_alu instid0(VALU_DEP_1) | instskip(SKIP_1) | instid1(VALU_DEP_4)
	v_fma_f32 v5, 0xcf800000, v3, |v1|
	v_cvt_u32_f32_e32 v1, v3
	v_mov_b32_e32 v17, v16
	s_delay_alu instid0(VALU_DEP_3) | instskip(NEXT) | instid1(VALU_DEP_3)
	v_cvt_u32_f32_e32 v3, v5
	v_xor_b32_e32 v19, v1, v16
	s_delay_alu instid0(VALU_DEP_2) | instskip(NEXT) | instid1(VALU_DEP_1)
	v_xor_b32_e32 v18, v3, v16
	v_sub_nc_u64_e32 v[16:17], v[18:19], v[16:17]
.LBB199_1417:
	s_mov_b32 s13, 0
.LBB199_1418:
	s_delay_alu instid0(SALU_CYCLE_1)
	s_and_not1_b32 vcc_lo, exec_lo, s13
	s_cbranch_vccnz .LBB199_1420
; %bb.1419:
	global_load_u16 v1, v[10:11], off
	s_wait_loadcnt 0x0
	v_cvt_f32_f16_e32 v1, v1
	s_delay_alu instid0(VALU_DEP_1) | instskip(NEXT) | instid1(VALU_DEP_1)
	v_cvt_i32_f32_e32 v16, v1
	v_ashrrev_i32_e32 v17, 31, v16
.LBB199_1420:
	s_cbranch_execnz .LBB199_1440
.LBB199_1421:
	s_cmp_lt_i32 s12, 2
	s_cbranch_scc1 .LBB199_1425
; %bb.1422:
	s_cmp_lt_i32 s12, 3
	s_cbranch_scc1 .LBB199_1426
; %bb.1423:
	s_cmp_gt_i32 s12, 3
	s_cbranch_scc0 .LBB199_1427
; %bb.1424:
	s_wait_loadcnt 0x0
	global_load_b64 v[16:17], v[10:11], off
	s_mov_b32 s13, 0
	s_branch .LBB199_1428
.LBB199_1425:
	s_mov_b32 s13, -1
                                        ; implicit-def: $vgpr16_vgpr17
	s_branch .LBB199_1434
.LBB199_1426:
	s_mov_b32 s13, -1
                                        ; implicit-def: $vgpr16_vgpr17
	s_branch .LBB199_1431
.LBB199_1427:
	s_mov_b32 s13, -1
                                        ; implicit-def: $vgpr16_vgpr17
.LBB199_1428:
	s_delay_alu instid0(SALU_CYCLE_1)
	s_and_not1_b32 vcc_lo, exec_lo, s13
	s_cbranch_vccnz .LBB199_1430
; %bb.1429:
	s_wait_loadcnt 0x0
	global_load_b32 v16, v[10:11], off
	s_wait_loadcnt 0x0
	v_ashrrev_i32_e32 v17, 31, v16
.LBB199_1430:
	s_mov_b32 s13, 0
.LBB199_1431:
	s_delay_alu instid0(SALU_CYCLE_1)
	s_and_not1_b32 vcc_lo, exec_lo, s13
	s_cbranch_vccnz .LBB199_1433
; %bb.1432:
	global_load_u16 v1, v[10:11], off
	s_wait_loadcnt 0x0
	v_bfe_i32 v16, v1, 0, 16
	s_delay_alu instid0(VALU_DEP_1)
	v_ashrrev_i32_e32 v17, 31, v16
.LBB199_1433:
	s_mov_b32 s13, 0
.LBB199_1434:
	s_delay_alu instid0(SALU_CYCLE_1)
	s_and_not1_b32 vcc_lo, exec_lo, s13
	s_cbranch_vccnz .LBB199_1440
; %bb.1435:
	s_cmp_gt_i32 s12, 0
	s_mov_b32 s13, 0
	s_cbranch_scc0 .LBB199_1437
; %bb.1436:
	global_load_i8 v1, v[10:11], off
	s_wait_loadcnt 0x0
	v_bfe_i32 v16, v1, 0, 16
	s_delay_alu instid0(VALU_DEP_1)
	v_ashrrev_i32_e32 v17, 31, v16
	s_branch .LBB199_1438
.LBB199_1437:
	s_mov_b32 s13, -1
                                        ; implicit-def: $vgpr16_vgpr17
.LBB199_1438:
	s_delay_alu instid0(SALU_CYCLE_1)
	s_and_not1_b32 vcc_lo, exec_lo, s13
	s_cbranch_vccnz .LBB199_1440
; %bb.1439:
	global_load_u8 v1, v[10:11], off
	s_mov_b32 s13, 0
	s_wait_loadcnt 0x1
	v_mov_b32_e32 v17, s13
	s_wait_loadcnt 0x0
	v_and_b32_e32 v16, 0xffff, v1
.LBB199_1440:
.LBB199_1441:
	s_cmp_lt_i32 s11, 1
	s_mov_b32 s13, 0
	s_cbranch_scc1 .LBB199_1444
; %bb.1442:
	s_cmp_eq_u32 s11, 1
	s_cbranch_scc0 .LBB199_1445
; %bb.1443:
	s_wait_loadcnt 0x0
	s_delay_alu instid0(VALU_DEP_1)
	v_min_i64 v[10:11], v[16:17], s[0:1]
	s_mov_b32 s14, 0
	s_branch .LBB199_1446
.LBB199_1444:
	s_mov_b32 s14, 0
                                        ; implicit-def: $vgpr10_vgpr11
	s_cbranch_execnz .LBB199_1447
	s_branch .LBB199_1448
.LBB199_1445:
	s_mov_b32 s14, -1
                                        ; implicit-def: $vgpr10_vgpr11
.LBB199_1446:
	s_branch .LBB199_1448
.LBB199_1447:
	s_cmp_lg_u32 s11, 0
	s_mov_b32 s13, -1
	s_cselect_b32 s14, -1, 0
.LBB199_1448:
	s_delay_alu instid0(SALU_CYCLE_1)
	s_and_not1_b32 vcc_lo, exec_lo, s14
	s_cbranch_vccnz .LBB199_1457
; %bb.1449:
	s_wait_loadcnt 0x0
	s_delay_alu instid0(VALU_DEP_1) | instskip(SKIP_2) | instid1(VALU_DEP_1)
	v_max_i64 v[10:11], v[16:17], s[0:1]
	s_load_b64 s[14:15], s[2:3], 0x168
	s_wait_kmcnt 0x0
	v_min_i64 v[10:11], v[10:11], s[14:15]
	s_cbranch_execz .LBB199_1458
.LBB199_1450:
	v_mov_b32_e32 v15, 0
	s_cmp_lt_i32 s12, 11
	s_delay_alu instid0(VALU_DEP_1)
	v_add_nc_u64_e32 v[14:15], s[6:7], v[14:15]
	s_cbranch_scc1 .LBB199_1459
.LBB199_1451:
	s_cmp_gt_i32 s12, 25
	s_mov_b32 s14, 0
	s_cbranch_scc0 .LBB199_1461
; %bb.1452:
	s_cmp_gt_i32 s12, 28
	s_cbranch_scc0 .LBB199_1462
; %bb.1453:
	s_cmp_gt_i32 s12, 43
	;; [unrolled: 3-line block ×3, first 2 shown]
	s_cbranch_scc0 .LBB199_1465
; %bb.1455:
	s_cmp_eq_u32 s12, 46
	s_mov_b32 s16, 0
	s_cbranch_scc0 .LBB199_1466
; %bb.1456:
	global_load_b32 v1, v[14:15], off
	s_mov_b32 s13, 0
	s_mov_b32 s15, -1
	s_wait_loadcnt 0x0
	v_lshlrev_b32_e32 v1, 16, v1
	s_delay_alu instid0(VALU_DEP_1) | instskip(NEXT) | instid1(VALU_DEP_1)
	v_trunc_f32_e32 v1, v1
	v_mul_f32_e64 v3, 0x2f800000, |v1|
	v_ashrrev_i32_e32 v16, 31, v1
	s_delay_alu instid0(VALU_DEP_2) | instskip(NEXT) | instid1(VALU_DEP_2)
	v_floor_f32_e32 v3, v3
	v_mov_b32_e32 v17, v16
	s_delay_alu instid0(VALU_DEP_2) | instskip(SKIP_1) | instid1(VALU_DEP_2)
	v_fma_f32 v5, 0xcf800000, v3, |v1|
	v_cvt_u32_f32_e32 v1, v3
	v_cvt_u32_f32_e32 v3, v5
	s_delay_alu instid0(VALU_DEP_2) | instskip(NEXT) | instid1(VALU_DEP_2)
	v_xor_b32_e32 v19, v1, v16
	v_xor_b32_e32 v18, v3, v16
	s_delay_alu instid0(VALU_DEP_1)
	v_sub_nc_u64_e32 v[16:17], v[18:19], v[16:17]
	s_branch .LBB199_1468
.LBB199_1457:
	s_and_not1_b32 vcc_lo, exec_lo, s13
	s_cbranch_vccnz .LBB199_1450
.LBB199_1458:
	s_wait_loadcnt 0x0
	s_delay_alu instid0(VALU_DEP_1) | instskip(SKIP_2) | instid1(VALU_DEP_1)
	v_max_i64 v[10:11], v[16:17], s[0:1]
	v_mov_b32_e32 v15, 0
	s_cmp_lt_i32 s12, 11
	v_add_nc_u64_e32 v[14:15], s[6:7], v[14:15]
	s_cbranch_scc0 .LBB199_1451
.LBB199_1459:
	s_mov_b32 s15, 0
                                        ; implicit-def: $vgpr16_vgpr17
	s_cbranch_execnz .LBB199_1530
.LBB199_1460:
	s_and_not1_b32 vcc_lo, exec_lo, s15
	s_cbranch_vccnz .LBB199_1719
	s_branch .LBB199_1578
.LBB199_1461:
	s_mov_b32 s16, -1
	s_mov_b32 s15, 0
	s_mov_b32 s13, 0
                                        ; implicit-def: $vgpr16_vgpr17
	s_branch .LBB199_1495
.LBB199_1462:
	s_mov_b32 s16, -1
	s_mov_b32 s15, 0
	s_mov_b32 s13, 0
                                        ; implicit-def: $vgpr16_vgpr17
	s_branch .LBB199_1478
.LBB199_1463:
	s_mov_b32 s16, -1
	s_mov_b32 s15, 0
	s_mov_b32 s13, 0
                                        ; implicit-def: $vgpr16_vgpr17
	s_branch .LBB199_1473
.LBB199_1464:
	s_or_b32 s10, s10, exec_lo
	s_trap 2
	s_cbranch_execz .LBB199_1392
	s_branch .LBB199_1393
.LBB199_1465:
	s_mov_b32 s16, -1
	s_mov_b32 s15, 0
	s_mov_b32 s13, 0
	s_branch .LBB199_1467
.LBB199_1466:
	s_mov_b32 s13, -1
	s_mov_b32 s15, 0
.LBB199_1467:
                                        ; implicit-def: $vgpr16_vgpr17
.LBB199_1468:
	s_and_b32 vcc_lo, exec_lo, s16
	s_cbranch_vccz .LBB199_1472
; %bb.1469:
	s_cmp_eq_u32 s12, 44
	s_cbranch_scc0 .LBB199_1471
; %bb.1470:
	global_load_u8 v1, v[14:15], off
	s_mov_b32 s13, 0
	s_mov_b32 s15, -1
	s_wait_loadcnt 0x0
	v_lshlrev_b32_e32 v3, 23, v1
	v_cmp_ne_u32_e32 vcc_lo, 0, v1
	s_delay_alu instid0(VALU_DEP_2) | instskip(NEXT) | instid1(VALU_DEP_1)
	v_trunc_f32_e32 v3, v3
	v_mul_f32_e64 v5, 0x2f800000, |v3|
	v_ashrrev_i32_e32 v16, 31, v3
	s_delay_alu instid0(VALU_DEP_2) | instskip(NEXT) | instid1(VALU_DEP_2)
	v_floor_f32_e32 v5, v5
	v_mov_b32_e32 v17, v16
	s_delay_alu instid0(VALU_DEP_2) | instskip(SKIP_1) | instid1(VALU_DEP_2)
	v_fma_f32 v7, 0xcf800000, v5, |v3|
	v_cvt_u32_f32_e32 v3, v5
	v_cvt_u32_f32_e32 v5, v7
	s_delay_alu instid0(VALU_DEP_2) | instskip(NEXT) | instid1(VALU_DEP_2)
	v_xor_b32_e32 v19, v3, v16
	v_xor_b32_e32 v18, v5, v16
	s_delay_alu instid0(VALU_DEP_1) | instskip(NEXT) | instid1(VALU_DEP_1)
	v_sub_nc_u64_e32 v[16:17], v[18:19], v[16:17]
	v_dual_cndmask_b32 v17, 0, v17 :: v_dual_cndmask_b32 v16, 0, v16
	s_branch .LBB199_1472
.LBB199_1471:
	s_mov_b32 s13, -1
                                        ; implicit-def: $vgpr16_vgpr17
.LBB199_1472:
	s_mov_b32 s16, 0
.LBB199_1473:
	s_delay_alu instid0(SALU_CYCLE_1)
	s_and_b32 vcc_lo, exec_lo, s16
	s_cbranch_vccz .LBB199_1477
; %bb.1474:
	s_cmp_eq_u32 s12, 29
	s_cbranch_scc0 .LBB199_1476
; %bb.1475:
	s_wait_loadcnt 0x0
	global_load_b64 v[16:17], v[14:15], off
	s_mov_b32 s13, 0
	s_mov_b32 s15, -1
	s_branch .LBB199_1477
.LBB199_1476:
	s_mov_b32 s13, -1
                                        ; implicit-def: $vgpr16_vgpr17
.LBB199_1477:
	s_mov_b32 s16, 0
.LBB199_1478:
	s_delay_alu instid0(SALU_CYCLE_1)
	s_and_b32 vcc_lo, exec_lo, s16
	s_cbranch_vccz .LBB199_1494
; %bb.1479:
	s_cmp_lt_i32 s12, 27
	s_cbranch_scc1 .LBB199_1482
; %bb.1480:
	s_cmp_gt_i32 s12, 27
	s_cbranch_scc0 .LBB199_1483
; %bb.1481:
	s_wait_loadcnt 0x0
	global_load_b32 v16, v[14:15], off
	v_mov_b32_e32 v17, 0
	s_mov_b32 s15, 0
	s_branch .LBB199_1484
.LBB199_1482:
	s_mov_b32 s15, -1
                                        ; implicit-def: $vgpr16_vgpr17
	s_branch .LBB199_1487
.LBB199_1483:
	s_mov_b32 s15, -1
                                        ; implicit-def: $vgpr16_vgpr17
.LBB199_1484:
	s_delay_alu instid0(SALU_CYCLE_1)
	s_and_not1_b32 vcc_lo, exec_lo, s15
	s_cbranch_vccnz .LBB199_1486
; %bb.1485:
	global_load_u16 v1, v[14:15], off
	s_mov_b32 s15, 0
	s_wait_loadcnt 0x1
	v_mov_b32_e32 v17, s15
	s_wait_loadcnt 0x0
	v_and_b32_e32 v16, 0xffff, v1
.LBB199_1486:
	s_mov_b32 s15, 0
.LBB199_1487:
	s_delay_alu instid0(SALU_CYCLE_1)
	s_and_not1_b32 vcc_lo, exec_lo, s15
	s_cbranch_vccnz .LBB199_1493
; %bb.1488:
	global_load_u8 v1, v[14:15], off
	s_mov_b32 s16, 0
	s_mov_b32 s15, exec_lo
	s_wait_loadcnt 0x0
	v_cmpx_lt_i16_e32 0x7f, v1
	s_xor_b32 s15, exec_lo, s15
	s_cbranch_execz .LBB199_1505
; %bb.1489:
	v_cmp_ne_u16_e32 vcc_lo, 0x80, v1
	s_and_b32 s16, vcc_lo, exec_lo
	s_and_not1_saveexec_b32 s15, s15
	s_cbranch_execnz .LBB199_1506
.LBB199_1490:
	s_or_b32 exec_lo, exec_lo, s15
	v_mov_b64_e32 v[16:17], 0
	s_and_saveexec_b32 s15, s16
	s_cbranch_execz .LBB199_1492
.LBB199_1491:
	v_and_b32_e32 v3, 0xffff, v1
	s_delay_alu instid0(VALU_DEP_1) | instskip(SKIP_1) | instid1(VALU_DEP_2)
	v_dual_lshlrev_b32 v1, 24, v1 :: v_dual_bitop2_b32 v5, 7, v3 bitop3:0x40
	v_bfe_u32 v16, v3, 3, 4
	v_and_b32_e32 v1, 0x80000000, v1
	s_delay_alu instid0(VALU_DEP_3) | instskip(NEXT) | instid1(VALU_DEP_3)
	v_clz_i32_u32_e32 v7, v5
	v_cmp_eq_u32_e32 vcc_lo, 0, v16
	s_delay_alu instid0(VALU_DEP_2) | instskip(NEXT) | instid1(VALU_DEP_1)
	v_min_u32_e32 v7, 32, v7
	v_subrev_nc_u32_e32 v13, 28, v7
	v_sub_nc_u32_e32 v7, 29, v7
	s_delay_alu instid0(VALU_DEP_2) | instskip(NEXT) | instid1(VALU_DEP_2)
	v_lshlrev_b32_e32 v3, v13, v3
	v_cndmask_b32_e32 v7, v16, v7, vcc_lo
	s_delay_alu instid0(VALU_DEP_2) | instskip(NEXT) | instid1(VALU_DEP_1)
	v_and_b32_e32 v3, 7, v3
	v_cndmask_b32_e32 v3, v5, v3, vcc_lo
	s_delay_alu instid0(VALU_DEP_3) | instskip(NEXT) | instid1(VALU_DEP_2)
	v_lshl_add_u32 v5, v7, 23, 0x3b800000
	v_lshlrev_b32_e32 v3, 20, v3
	s_delay_alu instid0(VALU_DEP_1) | instskip(NEXT) | instid1(VALU_DEP_1)
	v_or3_b32 v1, v1, v5, v3
	v_trunc_f32_e32 v1, v1
	s_delay_alu instid0(VALU_DEP_1) | instskip(SKIP_1) | instid1(VALU_DEP_2)
	v_mul_f32_e64 v3, 0x2f800000, |v1|
	v_ashrrev_i32_e32 v16, 31, v1
	v_floor_f32_e32 v3, v3
	s_delay_alu instid0(VALU_DEP_2) | instskip(NEXT) | instid1(VALU_DEP_2)
	v_mov_b32_e32 v17, v16
	v_fma_f32 v5, 0xcf800000, v3, |v1|
	v_cvt_u32_f32_e32 v1, v3
	s_delay_alu instid0(VALU_DEP_2) | instskip(NEXT) | instid1(VALU_DEP_2)
	v_cvt_u32_f32_e32 v3, v5
	v_xor_b32_e32 v19, v1, v16
	s_delay_alu instid0(VALU_DEP_2) | instskip(NEXT) | instid1(VALU_DEP_1)
	v_xor_b32_e32 v18, v3, v16
	v_sub_nc_u64_e32 v[16:17], v[18:19], v[16:17]
.LBB199_1492:
	s_or_b32 exec_lo, exec_lo, s15
.LBB199_1493:
	s_mov_b32 s15, -1
.LBB199_1494:
	s_mov_b32 s16, 0
.LBB199_1495:
	s_delay_alu instid0(SALU_CYCLE_1)
	s_and_b32 vcc_lo, exec_lo, s16
	s_cbranch_vccz .LBB199_1526
; %bb.1496:
	s_cmp_gt_i32 s12, 22
	s_cbranch_scc0 .LBB199_1504
; %bb.1497:
	s_cmp_lt_i32 s12, 24
	s_cbranch_scc1 .LBB199_1507
; %bb.1498:
	s_cmp_gt_i32 s12, 24
	s_cbranch_scc0 .LBB199_1508
; %bb.1499:
	global_load_u8 v1, v[14:15], off
	s_mov_b32 s15, 0
	s_mov_b32 s14, exec_lo
	s_wait_loadcnt 0x0
	v_cmpx_lt_i16_e32 0x7f, v1
	s_xor_b32 s14, exec_lo, s14
	s_cbranch_execz .LBB199_1520
; %bb.1500:
	v_cmp_ne_u16_e32 vcc_lo, 0x80, v1
	s_and_b32 s15, vcc_lo, exec_lo
	s_and_not1_saveexec_b32 s14, s14
	s_cbranch_execnz .LBB199_1521
.LBB199_1501:
	s_or_b32 exec_lo, exec_lo, s14
	v_mov_b64_e32 v[16:17], 0
	s_and_saveexec_b32 s14, s15
	s_cbranch_execz .LBB199_1503
.LBB199_1502:
	v_and_b32_e32 v3, 0xffff, v1
	s_delay_alu instid0(VALU_DEP_1) | instskip(SKIP_1) | instid1(VALU_DEP_2)
	v_dual_lshlrev_b32 v1, 24, v1 :: v_dual_bitop2_b32 v5, 3, v3 bitop3:0x40
	v_bfe_u32 v16, v3, 2, 5
	v_and_b32_e32 v1, 0x80000000, v1
	s_delay_alu instid0(VALU_DEP_3) | instskip(NEXT) | instid1(VALU_DEP_3)
	v_clz_i32_u32_e32 v7, v5
	v_cmp_eq_u32_e32 vcc_lo, 0, v16
	s_delay_alu instid0(VALU_DEP_2) | instskip(NEXT) | instid1(VALU_DEP_1)
	v_min_u32_e32 v7, 32, v7
	v_subrev_nc_u32_e32 v13, 29, v7
	v_sub_nc_u32_e32 v7, 30, v7
	s_delay_alu instid0(VALU_DEP_2) | instskip(NEXT) | instid1(VALU_DEP_2)
	v_lshlrev_b32_e32 v3, v13, v3
	v_cndmask_b32_e32 v7, v16, v7, vcc_lo
	s_delay_alu instid0(VALU_DEP_2) | instskip(NEXT) | instid1(VALU_DEP_1)
	v_and_b32_e32 v3, 3, v3
	v_cndmask_b32_e32 v3, v5, v3, vcc_lo
	s_delay_alu instid0(VALU_DEP_3) | instskip(NEXT) | instid1(VALU_DEP_2)
	v_lshl_add_u32 v5, v7, 23, 0x37800000
	v_lshlrev_b32_e32 v3, 21, v3
	s_delay_alu instid0(VALU_DEP_1) | instskip(NEXT) | instid1(VALU_DEP_1)
	v_or3_b32 v1, v1, v5, v3
	v_trunc_f32_e32 v1, v1
	s_delay_alu instid0(VALU_DEP_1) | instskip(SKIP_1) | instid1(VALU_DEP_2)
	v_mul_f32_e64 v3, 0x2f800000, |v1|
	v_ashrrev_i32_e32 v16, 31, v1
	v_floor_f32_e32 v3, v3
	s_delay_alu instid0(VALU_DEP_2) | instskip(NEXT) | instid1(VALU_DEP_2)
	v_mov_b32_e32 v17, v16
	v_fma_f32 v5, 0xcf800000, v3, |v1|
	v_cvt_u32_f32_e32 v1, v3
	s_delay_alu instid0(VALU_DEP_2) | instskip(NEXT) | instid1(VALU_DEP_2)
	v_cvt_u32_f32_e32 v3, v5
	v_xor_b32_e32 v19, v1, v16
	s_delay_alu instid0(VALU_DEP_2) | instskip(NEXT) | instid1(VALU_DEP_1)
	v_xor_b32_e32 v18, v3, v16
	v_sub_nc_u64_e32 v[16:17], v[18:19], v[16:17]
.LBB199_1503:
	s_or_b32 exec_lo, exec_lo, s14
	s_mov_b32 s14, 0
	s_branch .LBB199_1509
.LBB199_1504:
	s_mov_b32 s14, -1
                                        ; implicit-def: $vgpr16_vgpr17
	s_branch .LBB199_1515
.LBB199_1505:
	s_and_not1_saveexec_b32 s15, s15
	s_cbranch_execz .LBB199_1490
.LBB199_1506:
	v_cmp_ne_u16_e32 vcc_lo, 0, v1
	s_and_not1_b32 s16, s16, exec_lo
	s_and_b32 s17, vcc_lo, exec_lo
	s_delay_alu instid0(SALU_CYCLE_1)
	s_or_b32 s16, s16, s17
	s_or_b32 exec_lo, exec_lo, s15
	v_mov_b64_e32 v[16:17], 0
	s_and_saveexec_b32 s15, s16
	s_cbranch_execnz .LBB199_1491
	s_branch .LBB199_1492
.LBB199_1507:
	s_mov_b32 s14, -1
                                        ; implicit-def: $vgpr16_vgpr17
	s_branch .LBB199_1512
.LBB199_1508:
	s_mov_b32 s14, -1
                                        ; implicit-def: $vgpr16_vgpr17
.LBB199_1509:
	s_delay_alu instid0(SALU_CYCLE_1)
	s_and_b32 vcc_lo, exec_lo, s14
	s_cbranch_vccz .LBB199_1511
; %bb.1510:
	global_load_u8 v1, v[14:15], off
	s_wait_loadcnt 0x0
	v_lshlrev_b32_e32 v1, 24, v1
	s_delay_alu instid0(VALU_DEP_1) | instskip(NEXT) | instid1(VALU_DEP_1)
	v_and_b32_e32 v3, 0x7f000000, v1
	v_clz_i32_u32_e32 v5, v3
	v_add_nc_u32_e32 v13, 0x1000000, v3
	v_cmp_ne_u32_e32 vcc_lo, 0, v3
	s_delay_alu instid0(VALU_DEP_3) | instskip(NEXT) | instid1(VALU_DEP_1)
	v_min_u32_e32 v5, 32, v5
	v_sub_nc_u32_e64 v5, v5, 4 clamp
	s_delay_alu instid0(VALU_DEP_1) | instskip(NEXT) | instid1(VALU_DEP_1)
	v_dual_lshlrev_b32 v7, v5, v3 :: v_dual_lshlrev_b32 v5, 23, v5
	v_lshrrev_b32_e32 v7, 4, v7
	s_delay_alu instid0(VALU_DEP_1) | instskip(SKIP_1) | instid1(VALU_DEP_2)
	v_sub_nc_u32_e32 v5, v7, v5
	v_ashrrev_i32_e32 v7, 8, v13
	v_add_nc_u32_e32 v5, 0x3c000000, v5
	s_delay_alu instid0(VALU_DEP_1) | instskip(NEXT) | instid1(VALU_DEP_1)
	v_and_or_b32 v5, 0x7f800000, v7, v5
	v_cndmask_b32_e32 v3, 0, v5, vcc_lo
	s_delay_alu instid0(VALU_DEP_1) | instskip(NEXT) | instid1(VALU_DEP_1)
	v_and_or_b32 v1, 0x80000000, v1, v3
	v_trunc_f32_e32 v1, v1
	s_delay_alu instid0(VALU_DEP_1) | instskip(SKIP_1) | instid1(VALU_DEP_2)
	v_mul_f32_e64 v3, 0x2f800000, |v1|
	v_ashrrev_i32_e32 v16, 31, v1
	v_floor_f32_e32 v3, v3
	s_delay_alu instid0(VALU_DEP_2) | instskip(NEXT) | instid1(VALU_DEP_2)
	v_mov_b32_e32 v17, v16
	v_fma_f32 v5, 0xcf800000, v3, |v1|
	v_cvt_u32_f32_e32 v1, v3
	s_delay_alu instid0(VALU_DEP_2) | instskip(NEXT) | instid1(VALU_DEP_2)
	v_cvt_u32_f32_e32 v3, v5
	v_xor_b32_e32 v19, v1, v16
	s_delay_alu instid0(VALU_DEP_2) | instskip(NEXT) | instid1(VALU_DEP_1)
	v_xor_b32_e32 v18, v3, v16
	v_sub_nc_u64_e32 v[16:17], v[18:19], v[16:17]
.LBB199_1511:
	s_mov_b32 s14, 0
.LBB199_1512:
	s_delay_alu instid0(SALU_CYCLE_1)
	s_and_not1_b32 vcc_lo, exec_lo, s14
	s_cbranch_vccnz .LBB199_1514
; %bb.1513:
	global_load_u8 v1, v[14:15], off
	s_wait_loadcnt 0x0
	v_lshlrev_b32_e32 v3, 25, v1
	v_lshlrev_b16 v1, 8, v1
	s_delay_alu instid0(VALU_DEP_1) | instskip(SKIP_1) | instid1(VALU_DEP_2)
	v_and_or_b32 v7, 0x7f00, v1, 0.5
	v_bfe_i32 v1, v1, 0, 16
	v_add_f32_e32 v7, -0.5, v7
	v_lshrrev_b32_e32 v5, 4, v3
	v_cmp_gt_u32_e32 vcc_lo, 0x8000000, v3
	s_delay_alu instid0(VALU_DEP_2) | instskip(NEXT) | instid1(VALU_DEP_1)
	v_or_b32_e32 v5, 0x70000000, v5
	v_mul_f32_e32 v5, 0x7800000, v5
	s_delay_alu instid0(VALU_DEP_1) | instskip(NEXT) | instid1(VALU_DEP_1)
	v_cndmask_b32_e32 v3, v5, v7, vcc_lo
	v_and_or_b32 v1, 0x80000000, v1, v3
	s_delay_alu instid0(VALU_DEP_1) | instskip(NEXT) | instid1(VALU_DEP_1)
	v_trunc_f32_e32 v1, v1
	v_mul_f32_e64 v3, 0x2f800000, |v1|
	v_ashrrev_i32_e32 v16, 31, v1
	s_delay_alu instid0(VALU_DEP_2) | instskip(NEXT) | instid1(VALU_DEP_2)
	v_floor_f32_e32 v3, v3
	v_mov_b32_e32 v17, v16
	s_delay_alu instid0(VALU_DEP_2) | instskip(SKIP_1) | instid1(VALU_DEP_2)
	v_fma_f32 v5, 0xcf800000, v3, |v1|
	v_cvt_u32_f32_e32 v1, v3
	v_cvt_u32_f32_e32 v3, v5
	s_delay_alu instid0(VALU_DEP_2) | instskip(NEXT) | instid1(VALU_DEP_2)
	v_xor_b32_e32 v19, v1, v16
	v_xor_b32_e32 v18, v3, v16
	s_delay_alu instid0(VALU_DEP_1)
	v_sub_nc_u64_e32 v[16:17], v[18:19], v[16:17]
.LBB199_1514:
	s_mov_b32 s14, 0
	s_mov_b32 s15, -1
.LBB199_1515:
	s_and_not1_b32 vcc_lo, exec_lo, s14
	s_mov_b32 s14, 0
	s_cbranch_vccnz .LBB199_1526
; %bb.1516:
	s_cmp_gt_i32 s12, 14
	s_cbranch_scc0 .LBB199_1519
; %bb.1517:
	s_cmp_eq_u32 s12, 15
	s_cbranch_scc0 .LBB199_1522
; %bb.1518:
	global_load_u16 v1, v[14:15], off
	s_mov_b32 s13, 0
	s_mov_b32 s15, -1
	s_wait_loadcnt 0x0
	v_lshlrev_b32_e32 v1, 16, v1
	s_delay_alu instid0(VALU_DEP_1) | instskip(NEXT) | instid1(VALU_DEP_1)
	v_trunc_f32_e32 v1, v1
	v_mul_f32_e64 v3, 0x2f800000, |v1|
	v_ashrrev_i32_e32 v16, 31, v1
	s_delay_alu instid0(VALU_DEP_2) | instskip(NEXT) | instid1(VALU_DEP_2)
	v_floor_f32_e32 v3, v3
	v_mov_b32_e32 v17, v16
	s_delay_alu instid0(VALU_DEP_2) | instskip(SKIP_1) | instid1(VALU_DEP_2)
	v_fma_f32 v5, 0xcf800000, v3, |v1|
	v_cvt_u32_f32_e32 v1, v3
	v_cvt_u32_f32_e32 v3, v5
	s_delay_alu instid0(VALU_DEP_2) | instskip(NEXT) | instid1(VALU_DEP_2)
	v_xor_b32_e32 v19, v1, v16
	v_xor_b32_e32 v18, v3, v16
	s_delay_alu instid0(VALU_DEP_1)
	v_sub_nc_u64_e32 v[16:17], v[18:19], v[16:17]
	s_branch .LBB199_1524
.LBB199_1519:
	s_mov_b32 s14, -1
	s_branch .LBB199_1523
.LBB199_1520:
	s_and_not1_saveexec_b32 s14, s14
	s_cbranch_execz .LBB199_1501
.LBB199_1521:
	v_cmp_ne_u16_e32 vcc_lo, 0, v1
	s_and_not1_b32 s15, s15, exec_lo
	s_and_b32 s16, vcc_lo, exec_lo
	s_delay_alu instid0(SALU_CYCLE_1)
	s_or_b32 s15, s15, s16
	s_or_b32 exec_lo, exec_lo, s14
	v_mov_b64_e32 v[16:17], 0
	s_and_saveexec_b32 s14, s15
	s_cbranch_execnz .LBB199_1502
	s_branch .LBB199_1503
.LBB199_1522:
	s_mov_b32 s13, -1
.LBB199_1523:
                                        ; implicit-def: $vgpr16_vgpr17
.LBB199_1524:
	s_and_b32 vcc_lo, exec_lo, s14
	s_mov_b32 s14, 0
	s_cbranch_vccz .LBB199_1526
; %bb.1525:
	s_cmp_lg_u32 s12, 11
	s_mov_b32 s14, -1
	s_cselect_b32 s13, -1, 0
.LBB199_1526:
	s_delay_alu instid0(SALU_CYCLE_1)
	s_and_b32 vcc_lo, exec_lo, s13
	s_cbranch_vccnz .LBB199_1600
; %bb.1527:
	s_and_not1_b32 vcc_lo, exec_lo, s14
	s_cbranch_vccnz .LBB199_1529
.LBB199_1528:
	global_load_u8 v1, v[14:15], off
	s_mov_b32 s13, 0
	s_mov_b32 s15, -1
	s_wait_loadcnt 0x1
	v_mov_b32_e32 v17, s13
	s_wait_loadcnt 0x0
	v_cmp_ne_u16_e32 vcc_lo, 0, v1
	v_cndmask_b32_e64 v16, 0, 1, vcc_lo
.LBB199_1529:
	s_branch .LBB199_1460
.LBB199_1530:
	s_cmp_lt_i32 s12, 5
	s_cbranch_scc1 .LBB199_1535
; %bb.1531:
	s_cmp_lt_i32 s12, 8
	s_cbranch_scc1 .LBB199_1536
; %bb.1532:
	;; [unrolled: 3-line block ×3, first 2 shown]
	s_cmp_gt_i32 s12, 9
	s_cbranch_scc0 .LBB199_1538
; %bb.1534:
	s_wait_loadcnt 0x0
	global_load_b64 v[16:17], v[14:15], off
	s_mov_b32 s13, 0
	s_wait_loadcnt 0x0
	v_trunc_f64_e32 v[16:17], v[16:17]
	s_delay_alu instid0(VALU_DEP_1) | instskip(NEXT) | instid1(VALU_DEP_1)
	v_ldexp_f64 v[18:19], v[16:17], 0xffffffe0
	v_floor_f64_e32 v[18:19], v[18:19]
	s_delay_alu instid0(VALU_DEP_1) | instskip(SKIP_1) | instid1(VALU_DEP_2)
	v_fmamk_f64 v[20:21], v[18:19], 0xc1f00000, v[16:17]
	v_cvt_i32_f64_e32 v17, v[18:19]
	v_cvt_u32_f64_e32 v16, v[20:21]
	s_branch .LBB199_1539
.LBB199_1535:
	s_mov_b32 s13, -1
                                        ; implicit-def: $vgpr16_vgpr17
	s_branch .LBB199_1557
.LBB199_1536:
	s_mov_b32 s13, -1
                                        ; implicit-def: $vgpr16_vgpr17
	s_branch .LBB199_1545
.LBB199_1537:
	s_mov_b32 s13, -1
                                        ; implicit-def: $vgpr16_vgpr17
	s_branch .LBB199_1542
.LBB199_1538:
	s_mov_b32 s13, -1
                                        ; implicit-def: $vgpr16_vgpr17
.LBB199_1539:
	s_delay_alu instid0(SALU_CYCLE_1)
	s_and_not1_b32 vcc_lo, exec_lo, s13
	s_cbranch_vccnz .LBB199_1541
; %bb.1540:
	global_load_b32 v1, v[14:15], off
	s_wait_loadcnt 0x0
	v_trunc_f32_e32 v1, v1
	s_delay_alu instid0(VALU_DEP_1) | instskip(SKIP_1) | instid1(VALU_DEP_2)
	v_mul_f32_e64 v3, 0x2f800000, |v1|
	v_ashrrev_i32_e32 v16, 31, v1
	v_floor_f32_e32 v3, v3
	s_delay_alu instid0(VALU_DEP_1) | instskip(SKIP_1) | instid1(VALU_DEP_4)
	v_fma_f32 v5, 0xcf800000, v3, |v1|
	v_cvt_u32_f32_e32 v1, v3
	v_mov_b32_e32 v17, v16
	s_delay_alu instid0(VALU_DEP_3) | instskip(NEXT) | instid1(VALU_DEP_3)
	v_cvt_u32_f32_e32 v3, v5
	v_xor_b32_e32 v19, v1, v16
	s_delay_alu instid0(VALU_DEP_2) | instskip(NEXT) | instid1(VALU_DEP_1)
	v_xor_b32_e32 v18, v3, v16
	v_sub_nc_u64_e32 v[16:17], v[18:19], v[16:17]
.LBB199_1541:
	s_mov_b32 s13, 0
.LBB199_1542:
	s_delay_alu instid0(SALU_CYCLE_1)
	s_and_not1_b32 vcc_lo, exec_lo, s13
	s_cbranch_vccnz .LBB199_1544
; %bb.1543:
	global_load_b32 v1, v[14:15], off
	s_wait_loadcnt 0x0
	v_cvt_f32_f16_e32 v1, v1
	s_delay_alu instid0(VALU_DEP_1) | instskip(NEXT) | instid1(VALU_DEP_1)
	v_cvt_i32_f32_e32 v16, v1
	v_ashrrev_i32_e32 v17, 31, v16
.LBB199_1544:
	s_mov_b32 s13, 0
.LBB199_1545:
	s_delay_alu instid0(SALU_CYCLE_1)
	s_and_not1_b32 vcc_lo, exec_lo, s13
	s_cbranch_vccnz .LBB199_1556
; %bb.1546:
	s_cmp_lt_i32 s12, 6
	s_cbranch_scc1 .LBB199_1549
; %bb.1547:
	s_cmp_gt_i32 s12, 6
	s_cbranch_scc0 .LBB199_1550
; %bb.1548:
	s_wait_loadcnt 0x0
	global_load_b64 v[16:17], v[14:15], off
	s_mov_b32 s13, 0
	s_wait_loadcnt 0x0
	v_trunc_f64_e32 v[16:17], v[16:17]
	s_delay_alu instid0(VALU_DEP_1) | instskip(NEXT) | instid1(VALU_DEP_1)
	v_ldexp_f64 v[18:19], v[16:17], 0xffffffe0
	v_floor_f64_e32 v[18:19], v[18:19]
	s_delay_alu instid0(VALU_DEP_1) | instskip(SKIP_1) | instid1(VALU_DEP_2)
	v_fmamk_f64 v[20:21], v[18:19], 0xc1f00000, v[16:17]
	v_cvt_i32_f64_e32 v17, v[18:19]
	v_cvt_u32_f64_e32 v16, v[20:21]
	s_branch .LBB199_1551
.LBB199_1549:
	s_mov_b32 s13, -1
                                        ; implicit-def: $vgpr16_vgpr17
	s_branch .LBB199_1554
.LBB199_1550:
	s_mov_b32 s13, -1
                                        ; implicit-def: $vgpr16_vgpr17
.LBB199_1551:
	s_delay_alu instid0(SALU_CYCLE_1)
	s_and_not1_b32 vcc_lo, exec_lo, s13
	s_cbranch_vccnz .LBB199_1553
; %bb.1552:
	global_load_b32 v1, v[14:15], off
	s_wait_loadcnt 0x0
	v_trunc_f32_e32 v1, v1
	s_delay_alu instid0(VALU_DEP_1) | instskip(SKIP_1) | instid1(VALU_DEP_2)
	v_mul_f32_e64 v3, 0x2f800000, |v1|
	v_ashrrev_i32_e32 v16, 31, v1
	v_floor_f32_e32 v3, v3
	s_delay_alu instid0(VALU_DEP_1) | instskip(SKIP_1) | instid1(VALU_DEP_4)
	v_fma_f32 v5, 0xcf800000, v3, |v1|
	v_cvt_u32_f32_e32 v1, v3
	v_mov_b32_e32 v17, v16
	s_delay_alu instid0(VALU_DEP_3) | instskip(NEXT) | instid1(VALU_DEP_3)
	v_cvt_u32_f32_e32 v3, v5
	v_xor_b32_e32 v19, v1, v16
	s_delay_alu instid0(VALU_DEP_2) | instskip(NEXT) | instid1(VALU_DEP_1)
	v_xor_b32_e32 v18, v3, v16
	v_sub_nc_u64_e32 v[16:17], v[18:19], v[16:17]
.LBB199_1553:
	s_mov_b32 s13, 0
.LBB199_1554:
	s_delay_alu instid0(SALU_CYCLE_1)
	s_and_not1_b32 vcc_lo, exec_lo, s13
	s_cbranch_vccnz .LBB199_1556
; %bb.1555:
	global_load_u16 v1, v[14:15], off
	s_wait_loadcnt 0x0
	v_cvt_f32_f16_e32 v1, v1
	s_delay_alu instid0(VALU_DEP_1) | instskip(NEXT) | instid1(VALU_DEP_1)
	v_cvt_i32_f32_e32 v16, v1
	v_ashrrev_i32_e32 v17, 31, v16
.LBB199_1556:
	s_mov_b32 s13, 0
.LBB199_1557:
	s_delay_alu instid0(SALU_CYCLE_1)
	s_and_not1_b32 vcc_lo, exec_lo, s13
	s_cbranch_vccnz .LBB199_1577
; %bb.1558:
	s_cmp_lt_i32 s12, 2
	s_cbranch_scc1 .LBB199_1562
; %bb.1559:
	s_cmp_lt_i32 s12, 3
	s_cbranch_scc1 .LBB199_1563
; %bb.1560:
	s_cmp_gt_i32 s12, 3
	s_cbranch_scc0 .LBB199_1564
; %bb.1561:
	s_wait_loadcnt 0x0
	global_load_b64 v[16:17], v[14:15], off
	s_mov_b32 s13, 0
	s_branch .LBB199_1565
.LBB199_1562:
	s_mov_b32 s13, -1
                                        ; implicit-def: $vgpr16_vgpr17
	s_branch .LBB199_1571
.LBB199_1563:
	s_mov_b32 s13, -1
                                        ; implicit-def: $vgpr16_vgpr17
	s_branch .LBB199_1568
.LBB199_1564:
	s_mov_b32 s13, -1
                                        ; implicit-def: $vgpr16_vgpr17
.LBB199_1565:
	s_delay_alu instid0(SALU_CYCLE_1)
	s_and_not1_b32 vcc_lo, exec_lo, s13
	s_cbranch_vccnz .LBB199_1567
; %bb.1566:
	s_wait_loadcnt 0x0
	global_load_b32 v16, v[14:15], off
	s_wait_loadcnt 0x0
	v_ashrrev_i32_e32 v17, 31, v16
.LBB199_1567:
	s_mov_b32 s13, 0
.LBB199_1568:
	s_delay_alu instid0(SALU_CYCLE_1)
	s_and_not1_b32 vcc_lo, exec_lo, s13
	s_cbranch_vccnz .LBB199_1570
; %bb.1569:
	global_load_u16 v1, v[14:15], off
	s_wait_loadcnt 0x0
	v_bfe_i32 v16, v1, 0, 16
	s_delay_alu instid0(VALU_DEP_1)
	v_ashrrev_i32_e32 v17, 31, v16
.LBB199_1570:
	s_mov_b32 s13, 0
.LBB199_1571:
	s_delay_alu instid0(SALU_CYCLE_1)
	s_and_not1_b32 vcc_lo, exec_lo, s13
	s_cbranch_vccnz .LBB199_1577
; %bb.1572:
	s_cmp_gt_i32 s12, 0
	s_mov_b32 s13, 0
	s_cbranch_scc0 .LBB199_1574
; %bb.1573:
	global_load_i8 v1, v[14:15], off
	s_wait_loadcnt 0x0
	v_bfe_i32 v16, v1, 0, 16
	s_delay_alu instid0(VALU_DEP_1)
	v_ashrrev_i32_e32 v17, 31, v16
	s_branch .LBB199_1575
.LBB199_1574:
	s_mov_b32 s13, -1
                                        ; implicit-def: $vgpr16_vgpr17
.LBB199_1575:
	s_delay_alu instid0(SALU_CYCLE_1)
	s_and_not1_b32 vcc_lo, exec_lo, s13
	s_cbranch_vccnz .LBB199_1577
; %bb.1576:
	global_load_u8 v1, v[14:15], off
	s_mov_b32 s13, 0
	s_wait_loadcnt 0x1
	v_mov_b32_e32 v17, s13
	s_wait_loadcnt 0x0
	v_and_b32_e32 v16, 0xffff, v1
.LBB199_1577:
.LBB199_1578:
	s_cmp_lt_i32 s11, 1
	s_mov_b32 s13, 0
	s_cbranch_scc1 .LBB199_1581
; %bb.1579:
	s_cmp_eq_u32 s11, 1
	s_cbranch_scc0 .LBB199_1591
; %bb.1580:
	s_wait_loadcnt 0x0
	s_delay_alu instid0(VALU_DEP_1)
	v_min_i64 v[14:15], v[16:17], s[0:1]
	s_mov_b32 s14, 0
	s_branch .LBB199_1592
.LBB199_1581:
	s_mov_b32 s14, 0
                                        ; implicit-def: $vgpr14_vgpr15
	s_cbranch_execnz .LBB199_1593
.LBB199_1582:
	s_and_not1_b32 vcc_lo, exec_lo, s14
	s_cbranch_vccnz .LBB199_1594
.LBB199_1583:
	s_wait_loadcnt 0x0
	s_delay_alu instid0(VALU_DEP_1) | instskip(SKIP_2) | instid1(VALU_DEP_1)
	v_max_i64 v[14:15], v[16:17], s[0:1]
	s_load_b64 s[14:15], s[2:3], 0x168
	s_wait_kmcnt 0x0
	v_min_i64 v[14:15], v[14:15], s[14:15]
	s_cbranch_execz .LBB199_1595
.LBB199_1584:
	v_mov_b32_e32 v13, 0
	s_cmp_lt_i32 s12, 11
	s_delay_alu instid0(VALU_DEP_1)
	v_add_nc_u64_e32 v[12:13], s[6:7], v[12:13]
	s_cbranch_scc1 .LBB199_1596
.LBB199_1585:
	s_cmp_gt_i32 s12, 25
	s_mov_b32 s7, 0
	s_cbranch_scc0 .LBB199_1597
; %bb.1586:
	s_cmp_gt_i32 s12, 28
	s_cbranch_scc0 .LBB199_1598
; %bb.1587:
	s_cmp_gt_i32 s12, 43
	;; [unrolled: 3-line block ×3, first 2 shown]
	s_cbranch_scc0 .LBB199_1601
; %bb.1589:
	s_cmp_eq_u32 s12, 46
	s_mov_b32 s14, 0
	s_cbranch_scc0 .LBB199_1602
; %bb.1590:
	global_load_b32 v1, v[12:13], off
	s_mov_b32 s6, 0
	s_mov_b32 s13, -1
	s_wait_loadcnt 0x0
	v_lshlrev_b32_e32 v1, 16, v1
	s_delay_alu instid0(VALU_DEP_1) | instskip(NEXT) | instid1(VALU_DEP_1)
	v_trunc_f32_e32 v1, v1
	v_mul_f32_e64 v3, 0x2f800000, |v1|
	v_ashrrev_i32_e32 v16, 31, v1
	s_delay_alu instid0(VALU_DEP_2) | instskip(NEXT) | instid1(VALU_DEP_2)
	v_floor_f32_e32 v3, v3
	v_mov_b32_e32 v17, v16
	s_delay_alu instid0(VALU_DEP_2) | instskip(SKIP_1) | instid1(VALU_DEP_2)
	v_fma_f32 v5, 0xcf800000, v3, |v1|
	v_cvt_u32_f32_e32 v1, v3
	v_cvt_u32_f32_e32 v3, v5
	s_delay_alu instid0(VALU_DEP_2) | instskip(NEXT) | instid1(VALU_DEP_2)
	v_xor_b32_e32 v19, v1, v16
	v_xor_b32_e32 v18, v3, v16
	s_delay_alu instid0(VALU_DEP_1)
	v_sub_nc_u64_e32 v[16:17], v[18:19], v[16:17]
	s_branch .LBB199_1604
.LBB199_1591:
	s_mov_b32 s14, -1
                                        ; implicit-def: $vgpr14_vgpr15
.LBB199_1592:
	s_branch .LBB199_1582
.LBB199_1593:
	s_cmp_lg_u32 s11, 0
	s_mov_b32 s13, -1
	s_cselect_b32 s14, -1, 0
	s_delay_alu instid0(SALU_CYCLE_1)
	s_and_not1_b32 vcc_lo, exec_lo, s14
	s_cbranch_vccz .LBB199_1583
.LBB199_1594:
	s_and_not1_b32 vcc_lo, exec_lo, s13
	s_cbranch_vccnz .LBB199_1584
.LBB199_1595:
	s_wait_loadcnt 0x0
	s_delay_alu instid0(VALU_DEP_1) | instskip(SKIP_2) | instid1(VALU_DEP_1)
	v_max_i64 v[14:15], v[16:17], s[0:1]
	v_mov_b32_e32 v13, 0
	s_cmp_lt_i32 s12, 11
	v_add_nc_u64_e32 v[12:13], s[6:7], v[12:13]
	s_cbranch_scc0 .LBB199_1585
.LBB199_1596:
	s_mov_b32 s6, -1
	s_mov_b32 s13, 0
                                        ; implicit-def: $vgpr16_vgpr17
	s_branch .LBB199_1666
.LBB199_1597:
	s_mov_b32 s14, -1
	s_mov_b32 s13, 0
	s_mov_b32 s6, 0
                                        ; implicit-def: $vgpr16_vgpr17
	s_branch .LBB199_1631
.LBB199_1598:
	s_mov_b32 s14, -1
	s_mov_b32 s13, 0
	s_mov_b32 s6, 0
                                        ; implicit-def: $vgpr16_vgpr17
	s_branch .LBB199_1614
.LBB199_1599:
	s_mov_b32 s14, -1
	s_mov_b32 s13, 0
	s_mov_b32 s6, 0
                                        ; implicit-def: $vgpr16_vgpr17
	s_branch .LBB199_1609
.LBB199_1600:
	s_or_b32 s10, s10, exec_lo
	s_trap 2
	s_cbranch_execz .LBB199_1528
	s_branch .LBB199_1529
.LBB199_1601:
	s_mov_b32 s14, -1
	s_mov_b32 s13, 0
	s_mov_b32 s6, 0
	s_branch .LBB199_1603
.LBB199_1602:
	s_mov_b32 s6, -1
	s_mov_b32 s13, 0
.LBB199_1603:
                                        ; implicit-def: $vgpr16_vgpr17
.LBB199_1604:
	s_and_b32 vcc_lo, exec_lo, s14
	s_cbranch_vccz .LBB199_1608
; %bb.1605:
	s_cmp_eq_u32 s12, 44
	s_cbranch_scc0 .LBB199_1607
; %bb.1606:
	global_load_u8 v1, v[12:13], off
	s_mov_b32 s6, 0
	s_mov_b32 s13, -1
	s_wait_loadcnt 0x0
	v_lshlrev_b32_e32 v3, 23, v1
	v_cmp_ne_u32_e32 vcc_lo, 0, v1
	s_delay_alu instid0(VALU_DEP_2) | instskip(NEXT) | instid1(VALU_DEP_1)
	v_trunc_f32_e32 v3, v3
	v_mul_f32_e64 v5, 0x2f800000, |v3|
	v_ashrrev_i32_e32 v16, 31, v3
	s_delay_alu instid0(VALU_DEP_2) | instskip(NEXT) | instid1(VALU_DEP_2)
	v_floor_f32_e32 v5, v5
	v_mov_b32_e32 v17, v16
	s_delay_alu instid0(VALU_DEP_2) | instskip(SKIP_1) | instid1(VALU_DEP_2)
	v_fma_f32 v7, 0xcf800000, v5, |v3|
	v_cvt_u32_f32_e32 v3, v5
	v_cvt_u32_f32_e32 v5, v7
	s_delay_alu instid0(VALU_DEP_2) | instskip(NEXT) | instid1(VALU_DEP_2)
	v_xor_b32_e32 v19, v3, v16
	v_xor_b32_e32 v18, v5, v16
	s_delay_alu instid0(VALU_DEP_1) | instskip(NEXT) | instid1(VALU_DEP_1)
	v_sub_nc_u64_e32 v[16:17], v[18:19], v[16:17]
	v_dual_cndmask_b32 v17, 0, v17 :: v_dual_cndmask_b32 v16, 0, v16
	s_branch .LBB199_1608
.LBB199_1607:
	s_mov_b32 s6, -1
                                        ; implicit-def: $vgpr16_vgpr17
.LBB199_1608:
	s_mov_b32 s14, 0
.LBB199_1609:
	s_delay_alu instid0(SALU_CYCLE_1)
	s_and_b32 vcc_lo, exec_lo, s14
	s_cbranch_vccz .LBB199_1613
; %bb.1610:
	s_cmp_eq_u32 s12, 29
	s_cbranch_scc0 .LBB199_1612
; %bb.1611:
	s_wait_loadcnt 0x0
	global_load_b64 v[16:17], v[12:13], off
	s_mov_b32 s6, 0
	s_mov_b32 s13, -1
	s_branch .LBB199_1613
.LBB199_1612:
	s_mov_b32 s6, -1
                                        ; implicit-def: $vgpr16_vgpr17
.LBB199_1613:
	s_mov_b32 s14, 0
.LBB199_1614:
	s_delay_alu instid0(SALU_CYCLE_1)
	s_and_b32 vcc_lo, exec_lo, s14
	s_cbranch_vccz .LBB199_1630
; %bb.1615:
	s_cmp_lt_i32 s12, 27
	s_cbranch_scc1 .LBB199_1618
; %bb.1616:
	s_cmp_gt_i32 s12, 27
	s_cbranch_scc0 .LBB199_1619
; %bb.1617:
	s_wait_loadcnt 0x0
	global_load_b32 v16, v[12:13], off
	v_mov_b32_e32 v17, 0
	s_mov_b32 s13, 0
	s_branch .LBB199_1620
.LBB199_1618:
	s_mov_b32 s13, -1
                                        ; implicit-def: $vgpr16_vgpr17
	s_branch .LBB199_1623
.LBB199_1619:
	s_mov_b32 s13, -1
                                        ; implicit-def: $vgpr16_vgpr17
.LBB199_1620:
	s_delay_alu instid0(SALU_CYCLE_1)
	s_and_not1_b32 vcc_lo, exec_lo, s13
	s_cbranch_vccnz .LBB199_1622
; %bb.1621:
	global_load_u16 v1, v[12:13], off
	s_mov_b32 s13, 0
	s_wait_loadcnt 0x1
	v_mov_b32_e32 v17, s13
	s_wait_loadcnt 0x0
	v_and_b32_e32 v16, 0xffff, v1
.LBB199_1622:
	s_mov_b32 s13, 0
.LBB199_1623:
	s_delay_alu instid0(SALU_CYCLE_1)
	s_and_not1_b32 vcc_lo, exec_lo, s13
	s_cbranch_vccnz .LBB199_1629
; %bb.1624:
	global_load_u8 v1, v[12:13], off
	s_mov_b32 s14, 0
	s_mov_b32 s13, exec_lo
	s_wait_loadcnt 0x0
	v_cmpx_lt_i16_e32 0x7f, v1
	s_xor_b32 s13, exec_lo, s13
	s_cbranch_execz .LBB199_1641
; %bb.1625:
	v_cmp_ne_u16_e32 vcc_lo, 0x80, v1
	s_and_b32 s14, vcc_lo, exec_lo
	s_and_not1_saveexec_b32 s13, s13
	s_cbranch_execnz .LBB199_1642
.LBB199_1626:
	s_or_b32 exec_lo, exec_lo, s13
	v_mov_b64_e32 v[16:17], 0
	s_and_saveexec_b32 s13, s14
	s_cbranch_execz .LBB199_1628
.LBB199_1627:
	v_and_b32_e32 v3, 0xffff, v1
	s_delay_alu instid0(VALU_DEP_1) | instskip(SKIP_1) | instid1(VALU_DEP_2)
	v_dual_lshlrev_b32 v1, 24, v1 :: v_dual_bitop2_b32 v5, 7, v3 bitop3:0x40
	v_bfe_u32 v17, v3, 3, 4
	v_and_b32_e32 v1, 0x80000000, v1
	s_delay_alu instid0(VALU_DEP_3) | instskip(NEXT) | instid1(VALU_DEP_3)
	v_clz_i32_u32_e32 v7, v5
	v_cmp_eq_u32_e32 vcc_lo, 0, v17
	s_delay_alu instid0(VALU_DEP_2) | instskip(NEXT) | instid1(VALU_DEP_1)
	v_min_u32_e32 v7, 32, v7
	v_subrev_nc_u32_e32 v16, 28, v7
	v_sub_nc_u32_e32 v7, 29, v7
	s_delay_alu instid0(VALU_DEP_2) | instskip(NEXT) | instid1(VALU_DEP_2)
	v_lshlrev_b32_e32 v3, v16, v3
	v_cndmask_b32_e32 v7, v17, v7, vcc_lo
	s_delay_alu instid0(VALU_DEP_2) | instskip(NEXT) | instid1(VALU_DEP_1)
	v_and_b32_e32 v3, 7, v3
	v_cndmask_b32_e32 v3, v5, v3, vcc_lo
	s_delay_alu instid0(VALU_DEP_3) | instskip(NEXT) | instid1(VALU_DEP_2)
	v_lshl_add_u32 v5, v7, 23, 0x3b800000
	v_lshlrev_b32_e32 v3, 20, v3
	s_delay_alu instid0(VALU_DEP_1) | instskip(NEXT) | instid1(VALU_DEP_1)
	v_or3_b32 v1, v1, v5, v3
	v_trunc_f32_e32 v1, v1
	s_delay_alu instid0(VALU_DEP_1) | instskip(SKIP_1) | instid1(VALU_DEP_2)
	v_mul_f32_e64 v3, 0x2f800000, |v1|
	v_ashrrev_i32_e32 v16, 31, v1
	v_floor_f32_e32 v3, v3
	s_delay_alu instid0(VALU_DEP_2) | instskip(NEXT) | instid1(VALU_DEP_2)
	v_mov_b32_e32 v17, v16
	v_fma_f32 v5, 0xcf800000, v3, |v1|
	v_cvt_u32_f32_e32 v1, v3
	s_delay_alu instid0(VALU_DEP_2) | instskip(NEXT) | instid1(VALU_DEP_2)
	v_cvt_u32_f32_e32 v3, v5
	v_xor_b32_e32 v19, v1, v16
	s_delay_alu instid0(VALU_DEP_2) | instskip(NEXT) | instid1(VALU_DEP_1)
	v_xor_b32_e32 v18, v3, v16
	v_sub_nc_u64_e32 v[16:17], v[18:19], v[16:17]
.LBB199_1628:
	s_or_b32 exec_lo, exec_lo, s13
.LBB199_1629:
	s_mov_b32 s13, -1
.LBB199_1630:
	s_mov_b32 s14, 0
.LBB199_1631:
	s_delay_alu instid0(SALU_CYCLE_1)
	s_and_b32 vcc_lo, exec_lo, s14
	s_cbranch_vccz .LBB199_1662
; %bb.1632:
	s_cmp_gt_i32 s12, 22
	s_cbranch_scc0 .LBB199_1640
; %bb.1633:
	s_cmp_lt_i32 s12, 24
	s_cbranch_scc1 .LBB199_1643
; %bb.1634:
	s_cmp_gt_i32 s12, 24
	s_cbranch_scc0 .LBB199_1644
; %bb.1635:
	global_load_u8 v1, v[12:13], off
	s_mov_b32 s13, 0
	s_mov_b32 s7, exec_lo
	s_wait_loadcnt 0x0
	v_cmpx_lt_i16_e32 0x7f, v1
	s_xor_b32 s7, exec_lo, s7
	s_cbranch_execz .LBB199_1656
; %bb.1636:
	v_cmp_ne_u16_e32 vcc_lo, 0x80, v1
	s_and_b32 s13, vcc_lo, exec_lo
	s_and_not1_saveexec_b32 s7, s7
	s_cbranch_execnz .LBB199_1657
.LBB199_1637:
	s_or_b32 exec_lo, exec_lo, s7
	v_mov_b64_e32 v[16:17], 0
	s_and_saveexec_b32 s7, s13
	s_cbranch_execz .LBB199_1639
.LBB199_1638:
	v_and_b32_e32 v3, 0xffff, v1
	s_delay_alu instid0(VALU_DEP_1) | instskip(SKIP_1) | instid1(VALU_DEP_2)
	v_dual_lshlrev_b32 v1, 24, v1 :: v_dual_bitop2_b32 v5, 3, v3 bitop3:0x40
	v_bfe_u32 v17, v3, 2, 5
	v_and_b32_e32 v1, 0x80000000, v1
	s_delay_alu instid0(VALU_DEP_3) | instskip(NEXT) | instid1(VALU_DEP_3)
	v_clz_i32_u32_e32 v7, v5
	v_cmp_eq_u32_e32 vcc_lo, 0, v17
	s_delay_alu instid0(VALU_DEP_2) | instskip(NEXT) | instid1(VALU_DEP_1)
	v_min_u32_e32 v7, 32, v7
	v_subrev_nc_u32_e32 v16, 29, v7
	v_sub_nc_u32_e32 v7, 30, v7
	s_delay_alu instid0(VALU_DEP_2) | instskip(NEXT) | instid1(VALU_DEP_2)
	v_lshlrev_b32_e32 v3, v16, v3
	v_cndmask_b32_e32 v7, v17, v7, vcc_lo
	s_delay_alu instid0(VALU_DEP_2) | instskip(NEXT) | instid1(VALU_DEP_1)
	v_and_b32_e32 v3, 3, v3
	v_cndmask_b32_e32 v3, v5, v3, vcc_lo
	s_delay_alu instid0(VALU_DEP_3) | instskip(NEXT) | instid1(VALU_DEP_2)
	v_lshl_add_u32 v5, v7, 23, 0x37800000
	v_lshlrev_b32_e32 v3, 21, v3
	s_delay_alu instid0(VALU_DEP_1) | instskip(NEXT) | instid1(VALU_DEP_1)
	v_or3_b32 v1, v1, v5, v3
	v_trunc_f32_e32 v1, v1
	s_delay_alu instid0(VALU_DEP_1) | instskip(SKIP_1) | instid1(VALU_DEP_2)
	v_mul_f32_e64 v3, 0x2f800000, |v1|
	v_ashrrev_i32_e32 v16, 31, v1
	v_floor_f32_e32 v3, v3
	s_delay_alu instid0(VALU_DEP_2) | instskip(NEXT) | instid1(VALU_DEP_2)
	v_mov_b32_e32 v17, v16
	v_fma_f32 v5, 0xcf800000, v3, |v1|
	v_cvt_u32_f32_e32 v1, v3
	s_delay_alu instid0(VALU_DEP_2) | instskip(NEXT) | instid1(VALU_DEP_2)
	v_cvt_u32_f32_e32 v3, v5
	v_xor_b32_e32 v19, v1, v16
	s_delay_alu instid0(VALU_DEP_2) | instskip(NEXT) | instid1(VALU_DEP_1)
	v_xor_b32_e32 v18, v3, v16
	v_sub_nc_u64_e32 v[16:17], v[18:19], v[16:17]
.LBB199_1639:
	s_or_b32 exec_lo, exec_lo, s7
	s_mov_b32 s7, 0
	s_branch .LBB199_1645
.LBB199_1640:
	s_mov_b32 s7, -1
                                        ; implicit-def: $vgpr16_vgpr17
	s_branch .LBB199_1651
.LBB199_1641:
	s_and_not1_saveexec_b32 s13, s13
	s_cbranch_execz .LBB199_1626
.LBB199_1642:
	v_cmp_ne_u16_e32 vcc_lo, 0, v1
	s_and_not1_b32 s14, s14, exec_lo
	s_and_b32 s15, vcc_lo, exec_lo
	s_delay_alu instid0(SALU_CYCLE_1)
	s_or_b32 s14, s14, s15
	s_or_b32 exec_lo, exec_lo, s13
	v_mov_b64_e32 v[16:17], 0
	s_and_saveexec_b32 s13, s14
	s_cbranch_execnz .LBB199_1627
	s_branch .LBB199_1628
.LBB199_1643:
	s_mov_b32 s7, -1
                                        ; implicit-def: $vgpr16_vgpr17
	s_branch .LBB199_1648
.LBB199_1644:
	s_mov_b32 s7, -1
                                        ; implicit-def: $vgpr16_vgpr17
.LBB199_1645:
	s_delay_alu instid0(SALU_CYCLE_1)
	s_and_b32 vcc_lo, exec_lo, s7
	s_cbranch_vccz .LBB199_1647
; %bb.1646:
	global_load_u8 v1, v[12:13], off
	s_wait_loadcnt 0x0
	v_lshlrev_b32_e32 v1, 24, v1
	s_delay_alu instid0(VALU_DEP_1) | instskip(NEXT) | instid1(VALU_DEP_1)
	v_and_b32_e32 v3, 0x7f000000, v1
	v_clz_i32_u32_e32 v5, v3
	v_cmp_ne_u32_e32 vcc_lo, 0, v3
	v_add_nc_u32_e32 v16, 0x1000000, v3
	s_delay_alu instid0(VALU_DEP_3) | instskip(NEXT) | instid1(VALU_DEP_1)
	v_min_u32_e32 v5, 32, v5
	v_sub_nc_u32_e64 v5, v5, 4 clamp
	s_delay_alu instid0(VALU_DEP_1) | instskip(NEXT) | instid1(VALU_DEP_1)
	v_dual_lshlrev_b32 v7, v5, v3 :: v_dual_lshlrev_b32 v5, 23, v5
	v_lshrrev_b32_e32 v7, 4, v7
	s_delay_alu instid0(VALU_DEP_1) | instskip(NEXT) | instid1(VALU_DEP_1)
	v_dual_sub_nc_u32 v5, v7, v5 :: v_dual_ashrrev_i32 v7, 8, v16
	v_add_nc_u32_e32 v5, 0x3c000000, v5
	s_delay_alu instid0(VALU_DEP_1) | instskip(NEXT) | instid1(VALU_DEP_1)
	v_and_or_b32 v5, 0x7f800000, v7, v5
	v_cndmask_b32_e32 v3, 0, v5, vcc_lo
	s_delay_alu instid0(VALU_DEP_1) | instskip(NEXT) | instid1(VALU_DEP_1)
	v_and_or_b32 v1, 0x80000000, v1, v3
	v_trunc_f32_e32 v1, v1
	s_delay_alu instid0(VALU_DEP_1) | instskip(SKIP_1) | instid1(VALU_DEP_2)
	v_mul_f32_e64 v3, 0x2f800000, |v1|
	v_ashrrev_i32_e32 v16, 31, v1
	v_floor_f32_e32 v3, v3
	s_delay_alu instid0(VALU_DEP_1) | instskip(SKIP_1) | instid1(VALU_DEP_4)
	v_fma_f32 v5, 0xcf800000, v3, |v1|
	v_cvt_u32_f32_e32 v1, v3
	v_mov_b32_e32 v17, v16
	s_delay_alu instid0(VALU_DEP_3) | instskip(NEXT) | instid1(VALU_DEP_3)
	v_cvt_u32_f32_e32 v3, v5
	v_xor_b32_e32 v19, v1, v16
	s_delay_alu instid0(VALU_DEP_2) | instskip(NEXT) | instid1(VALU_DEP_1)
	v_xor_b32_e32 v18, v3, v16
	v_sub_nc_u64_e32 v[16:17], v[18:19], v[16:17]
.LBB199_1647:
	s_mov_b32 s7, 0
.LBB199_1648:
	s_delay_alu instid0(SALU_CYCLE_1)
	s_and_not1_b32 vcc_lo, exec_lo, s7
	s_cbranch_vccnz .LBB199_1650
; %bb.1649:
	global_load_u8 v1, v[12:13], off
	s_wait_loadcnt 0x0
	v_lshlrev_b32_e32 v3, 25, v1
	v_lshlrev_b16 v1, 8, v1
	s_delay_alu instid0(VALU_DEP_1) | instskip(SKIP_1) | instid1(VALU_DEP_2)
	v_and_or_b32 v7, 0x7f00, v1, 0.5
	v_bfe_i32 v1, v1, 0, 16
	v_add_f32_e32 v7, -0.5, v7
	v_lshrrev_b32_e32 v5, 4, v3
	v_cmp_gt_u32_e32 vcc_lo, 0x8000000, v3
	s_delay_alu instid0(VALU_DEP_2) | instskip(NEXT) | instid1(VALU_DEP_1)
	v_or_b32_e32 v5, 0x70000000, v5
	v_mul_f32_e32 v5, 0x7800000, v5
	s_delay_alu instid0(VALU_DEP_1) | instskip(NEXT) | instid1(VALU_DEP_1)
	v_cndmask_b32_e32 v3, v5, v7, vcc_lo
	v_and_or_b32 v1, 0x80000000, v1, v3
	s_delay_alu instid0(VALU_DEP_1) | instskip(NEXT) | instid1(VALU_DEP_1)
	v_trunc_f32_e32 v1, v1
	v_mul_f32_e64 v3, 0x2f800000, |v1|
	v_ashrrev_i32_e32 v16, 31, v1
	s_delay_alu instid0(VALU_DEP_2) | instskip(NEXT) | instid1(VALU_DEP_2)
	v_floor_f32_e32 v3, v3
	v_mov_b32_e32 v17, v16
	s_delay_alu instid0(VALU_DEP_2) | instskip(SKIP_1) | instid1(VALU_DEP_2)
	v_fma_f32 v5, 0xcf800000, v3, |v1|
	v_cvt_u32_f32_e32 v1, v3
	v_cvt_u32_f32_e32 v3, v5
	s_delay_alu instid0(VALU_DEP_2) | instskip(NEXT) | instid1(VALU_DEP_2)
	v_xor_b32_e32 v19, v1, v16
	v_xor_b32_e32 v18, v3, v16
	s_delay_alu instid0(VALU_DEP_1)
	v_sub_nc_u64_e32 v[16:17], v[18:19], v[16:17]
.LBB199_1650:
	s_mov_b32 s7, 0
	s_mov_b32 s13, -1
.LBB199_1651:
	s_and_not1_b32 vcc_lo, exec_lo, s7
	s_mov_b32 s7, 0
	s_cbranch_vccnz .LBB199_1662
; %bb.1652:
	s_cmp_gt_i32 s12, 14
	s_cbranch_scc0 .LBB199_1655
; %bb.1653:
	s_cmp_eq_u32 s12, 15
	s_cbranch_scc0 .LBB199_1658
; %bb.1654:
	global_load_u16 v1, v[12:13], off
	s_mov_b32 s6, 0
	s_mov_b32 s13, -1
	s_wait_loadcnt 0x0
	v_lshlrev_b32_e32 v1, 16, v1
	s_delay_alu instid0(VALU_DEP_1) | instskip(NEXT) | instid1(VALU_DEP_1)
	v_trunc_f32_e32 v1, v1
	v_mul_f32_e64 v3, 0x2f800000, |v1|
	v_ashrrev_i32_e32 v16, 31, v1
	s_delay_alu instid0(VALU_DEP_2) | instskip(NEXT) | instid1(VALU_DEP_2)
	v_floor_f32_e32 v3, v3
	v_mov_b32_e32 v17, v16
	s_delay_alu instid0(VALU_DEP_2) | instskip(SKIP_1) | instid1(VALU_DEP_2)
	v_fma_f32 v5, 0xcf800000, v3, |v1|
	v_cvt_u32_f32_e32 v1, v3
	v_cvt_u32_f32_e32 v3, v5
	s_delay_alu instid0(VALU_DEP_2) | instskip(NEXT) | instid1(VALU_DEP_2)
	v_xor_b32_e32 v19, v1, v16
	v_xor_b32_e32 v18, v3, v16
	s_delay_alu instid0(VALU_DEP_1)
	v_sub_nc_u64_e32 v[16:17], v[18:19], v[16:17]
	s_branch .LBB199_1660
.LBB199_1655:
	s_mov_b32 s7, -1
	s_branch .LBB199_1659
.LBB199_1656:
	s_and_not1_saveexec_b32 s7, s7
	s_cbranch_execz .LBB199_1637
.LBB199_1657:
	v_cmp_ne_u16_e32 vcc_lo, 0, v1
	s_and_not1_b32 s13, s13, exec_lo
	s_and_b32 s14, vcc_lo, exec_lo
	s_delay_alu instid0(SALU_CYCLE_1)
	s_or_b32 s13, s13, s14
	s_or_b32 exec_lo, exec_lo, s7
	v_mov_b64_e32 v[16:17], 0
	s_and_saveexec_b32 s7, s13
	s_cbranch_execnz .LBB199_1638
	s_branch .LBB199_1639
.LBB199_1658:
	s_mov_b32 s6, -1
.LBB199_1659:
                                        ; implicit-def: $vgpr16_vgpr17
.LBB199_1660:
	s_and_b32 vcc_lo, exec_lo, s7
	s_mov_b32 s7, 0
	s_cbranch_vccz .LBB199_1662
; %bb.1661:
	s_cmp_lg_u32 s12, 11
	s_mov_b32 s7, -1
	s_cselect_b32 s6, -1, 0
.LBB199_1662:
	s_delay_alu instid0(SALU_CYCLE_1)
	s_and_b32 vcc_lo, exec_lo, s6
	s_cbranch_vccnz .LBB199_2208
; %bb.1663:
	s_and_not1_b32 vcc_lo, exec_lo, s7
	s_cbranch_vccnz .LBB199_1665
.LBB199_1664:
	global_load_u8 v1, v[12:13], off
	s_mov_b32 s6, 0
	s_mov_b32 s13, -1
	s_wait_loadcnt 0x1
	v_mov_b32_e32 v17, s6
	s_wait_loadcnt 0x0
	v_cmp_ne_u16_e32 vcc_lo, 0, v1
	v_cndmask_b32_e64 v16, 0, 1, vcc_lo
.LBB199_1665:
	s_mov_b32 s6, 0
.LBB199_1666:
	s_delay_alu instid0(SALU_CYCLE_1)
	s_and_b32 vcc_lo, exec_lo, s6
	s_cbranch_vccz .LBB199_1715
; %bb.1667:
	s_cmp_lt_i32 s12, 5
	s_cbranch_scc1 .LBB199_1672
; %bb.1668:
	s_cmp_lt_i32 s12, 8
	s_cbranch_scc1 .LBB199_1673
	;; [unrolled: 3-line block ×3, first 2 shown]
; %bb.1670:
	s_cmp_gt_i32 s12, 9
	s_cbranch_scc0 .LBB199_1675
; %bb.1671:
	s_wait_loadcnt 0x0
	global_load_b64 v[16:17], v[12:13], off
	s_mov_b32 s6, 0
	s_wait_loadcnt 0x0
	v_trunc_f64_e32 v[16:17], v[16:17]
	s_delay_alu instid0(VALU_DEP_1) | instskip(NEXT) | instid1(VALU_DEP_1)
	v_ldexp_f64 v[18:19], v[16:17], 0xffffffe0
	v_floor_f64_e32 v[18:19], v[18:19]
	s_delay_alu instid0(VALU_DEP_1) | instskip(SKIP_1) | instid1(VALU_DEP_2)
	v_fmamk_f64 v[20:21], v[18:19], 0xc1f00000, v[16:17]
	v_cvt_i32_f64_e32 v17, v[18:19]
	v_cvt_u32_f64_e32 v16, v[20:21]
	s_branch .LBB199_1676
.LBB199_1672:
	s_mov_b32 s6, -1
                                        ; implicit-def: $vgpr16_vgpr17
	s_branch .LBB199_1694
.LBB199_1673:
	s_mov_b32 s6, -1
                                        ; implicit-def: $vgpr16_vgpr17
	s_branch .LBB199_1682
.LBB199_1674:
	s_mov_b32 s6, -1
                                        ; implicit-def: $vgpr16_vgpr17
	s_branch .LBB199_1679
.LBB199_1675:
	s_mov_b32 s6, -1
                                        ; implicit-def: $vgpr16_vgpr17
.LBB199_1676:
	s_delay_alu instid0(SALU_CYCLE_1)
	s_and_not1_b32 vcc_lo, exec_lo, s6
	s_cbranch_vccnz .LBB199_1678
; %bb.1677:
	global_load_b32 v1, v[12:13], off
	s_wait_loadcnt 0x0
	v_trunc_f32_e32 v1, v1
	s_delay_alu instid0(VALU_DEP_1) | instskip(SKIP_1) | instid1(VALU_DEP_2)
	v_mul_f32_e64 v3, 0x2f800000, |v1|
	v_ashrrev_i32_e32 v16, 31, v1
	v_floor_f32_e32 v3, v3
	s_delay_alu instid0(VALU_DEP_1) | instskip(SKIP_1) | instid1(VALU_DEP_4)
	v_fma_f32 v5, 0xcf800000, v3, |v1|
	v_cvt_u32_f32_e32 v1, v3
	v_mov_b32_e32 v17, v16
	s_delay_alu instid0(VALU_DEP_3) | instskip(NEXT) | instid1(VALU_DEP_3)
	v_cvt_u32_f32_e32 v3, v5
	v_xor_b32_e32 v19, v1, v16
	s_delay_alu instid0(VALU_DEP_2) | instskip(NEXT) | instid1(VALU_DEP_1)
	v_xor_b32_e32 v18, v3, v16
	v_sub_nc_u64_e32 v[16:17], v[18:19], v[16:17]
.LBB199_1678:
	s_mov_b32 s6, 0
.LBB199_1679:
	s_delay_alu instid0(SALU_CYCLE_1)
	s_and_not1_b32 vcc_lo, exec_lo, s6
	s_cbranch_vccnz .LBB199_1681
; %bb.1680:
	global_load_b32 v1, v[12:13], off
	s_wait_loadcnt 0x0
	v_cvt_f32_f16_e32 v1, v1
	s_delay_alu instid0(VALU_DEP_1) | instskip(NEXT) | instid1(VALU_DEP_1)
	v_cvt_i32_f32_e32 v16, v1
	v_ashrrev_i32_e32 v17, 31, v16
.LBB199_1681:
	s_mov_b32 s6, 0
.LBB199_1682:
	s_delay_alu instid0(SALU_CYCLE_1)
	s_and_not1_b32 vcc_lo, exec_lo, s6
	s_cbranch_vccnz .LBB199_1693
; %bb.1683:
	s_cmp_lt_i32 s12, 6
	s_cbranch_scc1 .LBB199_1686
; %bb.1684:
	s_cmp_gt_i32 s12, 6
	s_cbranch_scc0 .LBB199_1687
; %bb.1685:
	s_wait_loadcnt 0x0
	global_load_b64 v[16:17], v[12:13], off
	s_mov_b32 s6, 0
	s_wait_loadcnt 0x0
	v_trunc_f64_e32 v[16:17], v[16:17]
	s_delay_alu instid0(VALU_DEP_1) | instskip(NEXT) | instid1(VALU_DEP_1)
	v_ldexp_f64 v[18:19], v[16:17], 0xffffffe0
	v_floor_f64_e32 v[18:19], v[18:19]
	s_delay_alu instid0(VALU_DEP_1) | instskip(SKIP_1) | instid1(VALU_DEP_2)
	v_fmamk_f64 v[20:21], v[18:19], 0xc1f00000, v[16:17]
	v_cvt_i32_f64_e32 v17, v[18:19]
	v_cvt_u32_f64_e32 v16, v[20:21]
	s_branch .LBB199_1688
.LBB199_1686:
	s_mov_b32 s6, -1
                                        ; implicit-def: $vgpr16_vgpr17
	s_branch .LBB199_1691
.LBB199_1687:
	s_mov_b32 s6, -1
                                        ; implicit-def: $vgpr16_vgpr17
.LBB199_1688:
	s_delay_alu instid0(SALU_CYCLE_1)
	s_and_not1_b32 vcc_lo, exec_lo, s6
	s_cbranch_vccnz .LBB199_1690
; %bb.1689:
	global_load_b32 v1, v[12:13], off
	s_wait_loadcnt 0x0
	v_trunc_f32_e32 v1, v1
	s_delay_alu instid0(VALU_DEP_1) | instskip(SKIP_1) | instid1(VALU_DEP_2)
	v_mul_f32_e64 v3, 0x2f800000, |v1|
	v_ashrrev_i32_e32 v16, 31, v1
	v_floor_f32_e32 v3, v3
	s_delay_alu instid0(VALU_DEP_1) | instskip(SKIP_1) | instid1(VALU_DEP_4)
	v_fma_f32 v5, 0xcf800000, v3, |v1|
	v_cvt_u32_f32_e32 v1, v3
	v_mov_b32_e32 v17, v16
	s_delay_alu instid0(VALU_DEP_3) | instskip(NEXT) | instid1(VALU_DEP_3)
	v_cvt_u32_f32_e32 v3, v5
	v_xor_b32_e32 v19, v1, v16
	s_delay_alu instid0(VALU_DEP_2) | instskip(NEXT) | instid1(VALU_DEP_1)
	v_xor_b32_e32 v18, v3, v16
	v_sub_nc_u64_e32 v[16:17], v[18:19], v[16:17]
.LBB199_1690:
	s_mov_b32 s6, 0
.LBB199_1691:
	s_delay_alu instid0(SALU_CYCLE_1)
	s_and_not1_b32 vcc_lo, exec_lo, s6
	s_cbranch_vccnz .LBB199_1693
; %bb.1692:
	global_load_u16 v1, v[12:13], off
	s_wait_loadcnt 0x0
	v_cvt_f32_f16_e32 v1, v1
	s_delay_alu instid0(VALU_DEP_1) | instskip(NEXT) | instid1(VALU_DEP_1)
	v_cvt_i32_f32_e32 v16, v1
	v_ashrrev_i32_e32 v17, 31, v16
.LBB199_1693:
	s_mov_b32 s6, 0
.LBB199_1694:
	s_delay_alu instid0(SALU_CYCLE_1)
	s_and_not1_b32 vcc_lo, exec_lo, s6
	s_cbranch_vccnz .LBB199_1714
; %bb.1695:
	s_cmp_lt_i32 s12, 2
	s_cbranch_scc1 .LBB199_1699
; %bb.1696:
	s_cmp_lt_i32 s12, 3
	s_cbranch_scc1 .LBB199_1700
; %bb.1697:
	s_cmp_gt_i32 s12, 3
	s_cbranch_scc0 .LBB199_1701
; %bb.1698:
	s_wait_loadcnt 0x0
	global_load_b64 v[16:17], v[12:13], off
	s_mov_b32 s6, 0
	s_branch .LBB199_1702
.LBB199_1699:
	s_mov_b32 s6, -1
                                        ; implicit-def: $vgpr16_vgpr17
	s_branch .LBB199_1708
.LBB199_1700:
	s_mov_b32 s6, -1
                                        ; implicit-def: $vgpr16_vgpr17
	s_branch .LBB199_1705
.LBB199_1701:
	s_mov_b32 s6, -1
                                        ; implicit-def: $vgpr16_vgpr17
.LBB199_1702:
	s_delay_alu instid0(SALU_CYCLE_1)
	s_and_not1_b32 vcc_lo, exec_lo, s6
	s_cbranch_vccnz .LBB199_1704
; %bb.1703:
	s_wait_loadcnt 0x0
	global_load_b32 v16, v[12:13], off
	s_wait_loadcnt 0x0
	v_ashrrev_i32_e32 v17, 31, v16
.LBB199_1704:
	s_mov_b32 s6, 0
.LBB199_1705:
	s_delay_alu instid0(SALU_CYCLE_1)
	s_and_not1_b32 vcc_lo, exec_lo, s6
	s_cbranch_vccnz .LBB199_1707
; %bb.1706:
	global_load_u16 v1, v[12:13], off
	s_wait_loadcnt 0x0
	v_bfe_i32 v16, v1, 0, 16
	s_delay_alu instid0(VALU_DEP_1)
	v_ashrrev_i32_e32 v17, 31, v16
.LBB199_1707:
	s_mov_b32 s6, 0
.LBB199_1708:
	s_delay_alu instid0(SALU_CYCLE_1)
	s_and_not1_b32 vcc_lo, exec_lo, s6
	s_cbranch_vccnz .LBB199_1714
; %bb.1709:
	s_cmp_gt_i32 s12, 0
	s_mov_b32 s6, 0
	s_cbranch_scc0 .LBB199_1711
; %bb.1710:
	global_load_i8 v1, v[12:13], off
	s_wait_loadcnt 0x0
	v_bfe_i32 v16, v1, 0, 16
	s_delay_alu instid0(VALU_DEP_1)
	v_ashrrev_i32_e32 v17, 31, v16
	s_branch .LBB199_1712
.LBB199_1711:
	s_mov_b32 s6, -1
                                        ; implicit-def: $vgpr16_vgpr17
.LBB199_1712:
	s_delay_alu instid0(SALU_CYCLE_1)
	s_and_not1_b32 vcc_lo, exec_lo, s6
	s_cbranch_vccnz .LBB199_1714
; %bb.1713:
	global_load_u8 v1, v[12:13], off
	s_mov_b32 s6, 0
	s_wait_loadcnt 0x1
	v_mov_b32_e32 v17, s6
	s_wait_loadcnt 0x0
	v_and_b32_e32 v16, 0xffff, v1
.LBB199_1714:
	s_mov_b32 s13, -1
.LBB199_1715:
	s_delay_alu instid0(SALU_CYCLE_1)
	s_and_not1_b32 vcc_lo, exec_lo, s13
	s_cbranch_vccnz .LBB199_1719
; %bb.1716:
	s_cmp_lt_i32 s11, 1
	s_mov_b32 s6, 0
	s_cbranch_scc1 .LBB199_1764
; %bb.1717:
	s_cmp_eq_u32 s11, 1
	s_cbranch_scc0 .LBB199_1765
; %bb.1718:
	s_wait_loadcnt 0x0
	s_delay_alu instid0(VALU_DEP_1)
	v_min_i64 v[12:13], v[16:17], s[0:1]
	s_mov_b32 s7, 0
	s_branch .LBB199_1766
.LBB199_1719:
	s_mov_b32 s0, 0
	s_mov_b32 s3, 0
                                        ; implicit-def: $vgpr2_vgpr3
                                        ; implicit-def: $sgpr1
                                        ; implicit-def: $vgpr12_vgpr13
.LBB199_1720:
	s_and_not1_b32 s2, s8, exec_lo
	s_and_b32 s4, s10, exec_lo
	s_and_b32 s0, s0, exec_lo
	;; [unrolled: 1-line block ×3, first 2 shown]
	s_or_b32 s8, s2, s4
.LBB199_1721:
	s_wait_xcnt 0x0
	s_or_b32 exec_lo, exec_lo, s9
	s_and_saveexec_b32 s2, s8
	s_cbranch_execz .LBB199_1724
; %bb.1722:
	; divergent unreachable
	s_or_b32 exec_lo, exec_lo, s2
	s_and_saveexec_b32 s2, s35
	s_delay_alu instid0(SALU_CYCLE_1)
	s_xor_b32 s2, exec_lo, s2
	s_cbranch_execnz .LBB199_1725
.LBB199_1723:
	s_or_b32 exec_lo, exec_lo, s2
	s_and_saveexec_b32 s2, s0
	s_cbranch_execnz .LBB199_1726
	s_branch .LBB199_1763
.LBB199_1724:
	s_or_b32 exec_lo, exec_lo, s2
	s_and_saveexec_b32 s2, s35
	s_delay_alu instid0(SALU_CYCLE_1)
	s_xor_b32 s2, exec_lo, s2
	s_cbranch_execz .LBB199_1723
.LBB199_1725:
	s_delay_alu instid0(VALU_DEP_3)
	v_cmp_ne_u64_e32 vcc_lo, 0, v[12:13]
	v_cndmask_b32_e64 v0, 0, 1, vcc_lo
	global_store_b8 v[2:3], v0, off
	s_wait_xcnt 0x0
	s_or_b32 exec_lo, exec_lo, s2
	s_and_saveexec_b32 s2, s0
	s_cbranch_execz .LBB199_1763
.LBB199_1726:
	s_sext_i32_i16 s2, s1
	s_mov_b32 s0, -1
	s_cmp_lt_i32 s2, 5
	s_cbranch_scc1 .LBB199_1747
; %bb.1727:
	s_cmp_lt_i32 s2, 8
	s_cbranch_scc1 .LBB199_1737
; %bb.1728:
	s_cmp_lt_i32 s2, 9
	s_cbranch_scc1 .LBB199_1734
; %bb.1729:
	s_cmp_gt_i32 s2, 9
	s_cbranch_scc0 .LBB199_1731
; %bb.1730:
	v_cvt_f64_i32_e32 v[0:1], v13
	v_cvt_f64_u32_e32 v[4:5], v12
	s_mov_b32 s0, 0
	s_wait_loadcnt 0x0
	v_mov_b32_e32 v6, 0
	s_delay_alu instid0(VALU_DEP_1) | instskip(NEXT) | instid1(VALU_DEP_4)
	v_mov_b32_e32 v7, v6
	v_ldexp_f64 v[0:1], v[0:1], 32
	s_delay_alu instid0(VALU_DEP_1)
	v_add_f64_e32 v[4:5], v[0:1], v[4:5]
	global_store_b128 v[2:3], v[4:7], off
.LBB199_1731:
	s_and_not1_b32 vcc_lo, exec_lo, s0
	s_cbranch_vccnz .LBB199_1733
; %bb.1732:
	v_xor_b32_e32 v0, v12, v13
	v_cls_i32_e32 v1, v13
	s_delay_alu instid0(VALU_DEP_2) | instskip(NEXT) | instid1(VALU_DEP_1)
	v_ashrrev_i32_e32 v0, 31, v0
	v_add_nc_u32_e32 v0, 32, v0
	s_wait_xcnt 0x0
	s_delay_alu instid0(VALU_DEP_1) | instskip(NEXT) | instid1(VALU_DEP_1)
	v_add_min_u32_e64 v4, v1, -1, v0
	v_lshlrev_b64_e32 v[0:1], v4, v[12:13]
	s_delay_alu instid0(VALU_DEP_1) | instskip(NEXT) | instid1(VALU_DEP_1)
	v_min_u32_e32 v0, 1, v0
	v_or_b32_e32 v0, v1, v0
	v_sub_nc_u32_e32 v1, 32, v4
	s_delay_alu instid0(VALU_DEP_2) | instskip(NEXT) | instid1(VALU_DEP_1)
	v_cvt_f32_i32_e32 v0, v0
	v_ldexp_f32 v0, v0, v1
	v_mov_b32_e32 v1, 0
	global_store_b64 v[2:3], v[0:1], off
.LBB199_1733:
	s_mov_b32 s0, 0
.LBB199_1734:
	s_delay_alu instid0(SALU_CYCLE_1)
	s_and_not1_b32 vcc_lo, exec_lo, s0
	s_cbranch_vccnz .LBB199_1736
; %bb.1735:
	s_wait_xcnt 0x0
	v_xor_b32_e32 v0, v12, v13
	v_cls_i32_e32 v1, v13
	s_delay_alu instid0(VALU_DEP_2) | instskip(NEXT) | instid1(VALU_DEP_1)
	v_ashrrev_i32_e32 v0, 31, v0
	v_add_nc_u32_e32 v0, 32, v0
	s_delay_alu instid0(VALU_DEP_1) | instskip(NEXT) | instid1(VALU_DEP_1)
	v_add_min_u32_e64 v4, v1, -1, v0
	v_lshlrev_b64_e32 v[0:1], v4, v[12:13]
	s_delay_alu instid0(VALU_DEP_1) | instskip(NEXT) | instid1(VALU_DEP_1)
	v_min_u32_e32 v0, 1, v0
	v_or_b32_e32 v0, v1, v0
	v_sub_nc_u32_e32 v1, 32, v4
	s_delay_alu instid0(VALU_DEP_2) | instskip(NEXT) | instid1(VALU_DEP_1)
	v_cvt_f32_i32_e32 v0, v0
	v_ldexp_f32 v0, v0, v1
	s_delay_alu instid0(VALU_DEP_1) | instskip(NEXT) | instid1(VALU_DEP_1)
	v_cvt_f16_f32_e32 v0, v0
	v_and_b32_e32 v0, 0xffff, v0
	global_store_b32 v[2:3], v0, off
.LBB199_1736:
	s_mov_b32 s0, 0
.LBB199_1737:
	s_delay_alu instid0(SALU_CYCLE_1)
	s_and_not1_b32 vcc_lo, exec_lo, s0
	s_cbranch_vccnz .LBB199_1746
; %bb.1738:
	s_sext_i32_i16 s2, s1
	s_mov_b32 s0, -1
	s_cmp_lt_i32 s2, 6
	s_cbranch_scc1 .LBB199_1744
; %bb.1739:
	s_cmp_gt_i32 s2, 6
	s_cbranch_scc0 .LBB199_1741
; %bb.1740:
	s_wait_xcnt 0x0
	v_cvt_f64_i32_e32 v[0:1], v13
	v_cvt_f64_u32_e32 v[4:5], v12
	s_mov_b32 s0, 0
	s_delay_alu instid0(VALU_DEP_2) | instskip(NEXT) | instid1(VALU_DEP_1)
	v_ldexp_f64 v[0:1], v[0:1], 32
	v_add_f64_e32 v[0:1], v[0:1], v[4:5]
	global_store_b64 v[2:3], v[0:1], off
.LBB199_1741:
	s_and_not1_b32 vcc_lo, exec_lo, s0
	s_cbranch_vccnz .LBB199_1743
; %bb.1742:
	s_wait_xcnt 0x0
	v_xor_b32_e32 v0, v12, v13
	v_cls_i32_e32 v1, v13
	s_delay_alu instid0(VALU_DEP_2) | instskip(NEXT) | instid1(VALU_DEP_1)
	v_ashrrev_i32_e32 v0, 31, v0
	v_add_nc_u32_e32 v0, 32, v0
	s_delay_alu instid0(VALU_DEP_1) | instskip(NEXT) | instid1(VALU_DEP_1)
	v_add_min_u32_e64 v4, v1, -1, v0
	v_lshlrev_b64_e32 v[0:1], v4, v[12:13]
	s_delay_alu instid0(VALU_DEP_1) | instskip(NEXT) | instid1(VALU_DEP_1)
	v_min_u32_e32 v0, 1, v0
	v_or_b32_e32 v0, v1, v0
	v_sub_nc_u32_e32 v1, 32, v4
	s_delay_alu instid0(VALU_DEP_2) | instskip(NEXT) | instid1(VALU_DEP_1)
	v_cvt_f32_i32_e32 v0, v0
	v_ldexp_f32 v0, v0, v1
	global_store_b32 v[2:3], v0, off
.LBB199_1743:
	s_mov_b32 s0, 0
.LBB199_1744:
	s_delay_alu instid0(SALU_CYCLE_1)
	s_and_not1_b32 vcc_lo, exec_lo, s0
	s_cbranch_vccnz .LBB199_1746
; %bb.1745:
	s_wait_xcnt 0x0
	v_xor_b32_e32 v0, v12, v13
	v_cls_i32_e32 v1, v13
	s_delay_alu instid0(VALU_DEP_2) | instskip(NEXT) | instid1(VALU_DEP_1)
	v_ashrrev_i32_e32 v0, 31, v0
	v_add_nc_u32_e32 v0, 32, v0
	s_delay_alu instid0(VALU_DEP_1) | instskip(NEXT) | instid1(VALU_DEP_1)
	v_add_min_u32_e64 v4, v1, -1, v0
	v_lshlrev_b64_e32 v[0:1], v4, v[12:13]
	s_delay_alu instid0(VALU_DEP_1) | instskip(NEXT) | instid1(VALU_DEP_1)
	v_min_u32_e32 v0, 1, v0
	v_or_b32_e32 v0, v1, v0
	v_sub_nc_u32_e32 v1, 32, v4
	s_delay_alu instid0(VALU_DEP_2) | instskip(NEXT) | instid1(VALU_DEP_1)
	v_cvt_f32_i32_e32 v0, v0
	v_ldexp_f32 v0, v0, v1
	s_delay_alu instid0(VALU_DEP_1)
	v_cvt_f16_f32_e32 v0, v0
	global_store_b16 v[2:3], v0, off
.LBB199_1746:
	s_mov_b32 s0, 0
.LBB199_1747:
	s_delay_alu instid0(SALU_CYCLE_1)
	s_and_not1_b32 vcc_lo, exec_lo, s0
	s_cbranch_vccnz .LBB199_1763
; %bb.1748:
	s_sext_i32_i16 s2, s1
	s_mov_b32 s0, -1
	s_cmp_lt_i32 s2, 2
	s_cbranch_scc1 .LBB199_1758
; %bb.1749:
	s_cmp_lt_i32 s2, 3
	s_cbranch_scc1 .LBB199_1755
; %bb.1750:
	s_cmp_gt_i32 s2, 3
	s_cbranch_scc0 .LBB199_1752
; %bb.1751:
	s_mov_b32 s0, 0
	global_store_b64 v[2:3], v[12:13], off
.LBB199_1752:
	s_and_not1_b32 vcc_lo, exec_lo, s0
	s_cbranch_vccnz .LBB199_1754
; %bb.1753:
	global_store_b32 v[2:3], v12, off
.LBB199_1754:
	s_mov_b32 s0, 0
.LBB199_1755:
	s_delay_alu instid0(SALU_CYCLE_1)
	s_and_not1_b32 vcc_lo, exec_lo, s0
	s_cbranch_vccnz .LBB199_1757
; %bb.1756:
	global_store_b16 v[2:3], v12, off
.LBB199_1757:
	s_mov_b32 s0, 0
.LBB199_1758:
	s_delay_alu instid0(SALU_CYCLE_1)
	s_and_not1_b32 vcc_lo, exec_lo, s0
	s_cbranch_vccnz .LBB199_1763
; %bb.1759:
	s_sext_i32_i16 s0, s1
	s_delay_alu instid0(SALU_CYCLE_1)
	s_cmp_gt_i32 s0, 0
	s_mov_b32 s0, -1
	s_cbranch_scc0 .LBB199_1761
; %bb.1760:
	s_mov_b32 s0, 0
	global_store_b8 v[2:3], v12, off
.LBB199_1761:
	s_and_not1_b32 vcc_lo, exec_lo, s0
	s_cbranch_vccnz .LBB199_1763
; %bb.1762:
	global_store_b8 v[2:3], v12, off
	s_endpgm
.LBB199_1763:
	s_endpgm
.LBB199_1764:
	s_mov_b32 s12, -1
	s_mov_b32 s7, 0
                                        ; implicit-def: $vgpr12_vgpr13
	s_branch .LBB199_1767
.LBB199_1765:
	s_mov_b32 s7, -1
                                        ; implicit-def: $vgpr12_vgpr13
.LBB199_1766:
	s_mov_b32 s12, 0
.LBB199_1767:
	s_delay_alu instid0(SALU_CYCLE_1)
	s_and_b32 vcc_lo, exec_lo, s12
	s_cbranch_vccz .LBB199_1849
; %bb.1768:
	s_cmp_lg_u32 s11, 0
	s_mov_b32 s6, -1
	s_cselect_b32 s7, -1, 0
	s_delay_alu instid0(SALU_CYCLE_1)
	s_and_not1_b32 vcc_lo, exec_lo, s7
	s_cbranch_vccz .LBB199_1850
.LBB199_1769:
	s_and_not1_b32 vcc_lo, exec_lo, s6
	s_cbranch_vccnz .LBB199_1771
.LBB199_1770:
	s_wait_loadcnt 0x0
	s_delay_alu instid0(VALU_DEP_1)
	v_max_i64 v[12:13], v[16:17], s[0:1]
.LBB199_1771:
	s_load_b32 s0, s[2:3], 0x170
	v_mov_b32_e32 v7, 0
	s_delay_alu instid0(VALU_DEP_1) | instskip(SKIP_2) | instid1(SALU_CYCLE_1)
	v_add_nc_u64_e32 v[6:7], s[4:5], v[6:7]
	s_wait_kmcnt 0x0
	s_and_b32 s1, s0, 0xff
	s_cmp_lt_i32 s1, 11
	s_cbranch_scc1 .LBB199_1851
; %bb.1772:
	s_and_b32 s2, 0xffff, s1
	s_mov_b32 s7, -1
	s_mov_b32 s3, 0
	s_cmp_gt_i32 s2, 25
	s_mov_b32 s6, 0
	s_mov_b32 s0, 0
	s_cbranch_scc0 .LBB199_1805
; %bb.1773:
	s_cmp_gt_i32 s2, 28
	s_cbranch_scc0 .LBB199_1788
; %bb.1774:
	s_cmp_gt_i32 s2, 43
	s_cbranch_scc0 .LBB199_1784
; %bb.1775:
	s_cmp_gt_i32 s2, 45
	s_cbranch_scc0 .LBB199_1778
; %bb.1776:
	s_mov_b32 s0, -1
	s_mov_b32 s7, 0
	s_cmp_eq_u32 s2, 46
	s_cbranch_scc0 .LBB199_1778
; %bb.1777:
	v_xor_b32_e32 v1, v8, v9
	v_cls_i32_e32 v3, v9
	s_mov_b32 s6, -1
	s_mov_b32 s0, 0
	s_delay_alu instid0(VALU_DEP_2) | instskip(NEXT) | instid1(VALU_DEP_1)
	v_ashrrev_i32_e32 v1, 31, v1
	v_add_nc_u32_e32 v1, 32, v1
	s_delay_alu instid0(VALU_DEP_1) | instskip(SKIP_1) | instid1(VALU_DEP_1)
	v_add_min_u32_e64 v1, v3, -1, v1
	s_wait_loadcnt 0x0
	v_lshlrev_b64_e32 v[16:17], v1, v[8:9]
	v_sub_nc_u32_e32 v1, 32, v1
	s_delay_alu instid0(VALU_DEP_2) | instskip(NEXT) | instid1(VALU_DEP_1)
	v_min_u32_e32 v3, 1, v16
	v_or_b32_e32 v3, v17, v3
	s_delay_alu instid0(VALU_DEP_1) | instskip(NEXT) | instid1(VALU_DEP_1)
	v_cvt_f32_i32_e32 v3, v3
	v_ldexp_f32 v1, v3, v1
	s_delay_alu instid0(VALU_DEP_1) | instskip(NEXT) | instid1(VALU_DEP_1)
	v_bfe_u32 v3, v1, 16, 1
	v_add3_u32 v1, v1, v3, 0x7fff
	s_delay_alu instid0(VALU_DEP_1)
	v_lshrrev_b32_e32 v1, 16, v1
	global_store_b32 v[6:7], v1, off
.LBB199_1778:
	s_and_b32 vcc_lo, exec_lo, s7
	s_cbranch_vccz .LBB199_1783
; %bb.1779:
	s_cmp_eq_u32 s2, 44
	s_mov_b32 s0, -1
	s_cbranch_scc0 .LBB199_1783
; %bb.1780:
	s_wait_xcnt 0x0
	v_xor_b32_e32 v1, v8, v9
	v_cls_i32_e32 v3, v9
	s_mov_b32 s6, -1
	s_mov_b32 s7, exec_lo
	s_delay_alu instid0(VALU_DEP_2) | instskip(NEXT) | instid1(VALU_DEP_1)
	v_ashrrev_i32_e32 v1, 31, v1
	v_add_nc_u32_e32 v1, 32, v1
	s_delay_alu instid0(VALU_DEP_1) | instskip(SKIP_1) | instid1(VALU_DEP_1)
	v_add_min_u32_e64 v1, v3, -1, v1
	s_wait_loadcnt 0x0
	v_lshlrev_b64_e32 v[16:17], v1, v[8:9]
	v_sub_nc_u32_e32 v1, 32, v1
	s_delay_alu instid0(VALU_DEP_2) | instskip(NEXT) | instid1(VALU_DEP_1)
	v_min_u32_e32 v3, 1, v16
	v_or_b32_e32 v3, v17, v3
	s_delay_alu instid0(VALU_DEP_1) | instskip(NEXT) | instid1(VALU_DEP_1)
	v_cvt_f32_i32_e32 v3, v3
	v_ldexp_f32 v1, v3, v1
	v_mov_b32_e32 v3, 0xff
	s_delay_alu instid0(VALU_DEP_2) | instskip(NEXT) | instid1(VALU_DEP_1)
	v_bfe_u32 v5, v1, 23, 8
	v_cmpx_ne_u32_e32 0xff, v5
	s_cbranch_execz .LBB199_1782
; %bb.1781:
	v_and_b32_e32 v3, 0x400000, v1
	v_and_or_b32 v5, 0x3fffff, v1, v5
	v_lshrrev_b32_e32 v1, 23, v1
	s_delay_alu instid0(VALU_DEP_3) | instskip(NEXT) | instid1(VALU_DEP_3)
	v_cmp_ne_u32_e32 vcc_lo, 0, v3
	v_cmp_ne_u32_e64 s0, 0, v5
	s_and_b32 s0, vcc_lo, s0
	s_delay_alu instid0(SALU_CYCLE_1) | instskip(NEXT) | instid1(VALU_DEP_1)
	v_cndmask_b32_e64 v3, 0, 1, s0
	v_add_nc_u32_e32 v3, v1, v3
.LBB199_1782:
	s_or_b32 exec_lo, exec_lo, s7
	s_mov_b32 s0, 0
	global_store_b8 v[6:7], v3, off
.LBB199_1783:
	s_mov_b32 s7, 0
.LBB199_1784:
	s_delay_alu instid0(SALU_CYCLE_1)
	s_and_b32 vcc_lo, exec_lo, s7
	s_cbranch_vccz .LBB199_1787
; %bb.1785:
	s_cmp_eq_u32 s2, 29
	s_mov_b32 s0, -1
	s_cbranch_scc0 .LBB199_1787
; %bb.1786:
	s_mov_b32 s0, 0
	s_mov_b32 s6, -1
	global_store_b64 v[6:7], v[8:9], off
.LBB199_1787:
	s_mov_b32 s7, 0
.LBB199_1788:
	s_delay_alu instid0(SALU_CYCLE_1)
	s_and_b32 vcc_lo, exec_lo, s7
	s_cbranch_vccz .LBB199_1804
; %bb.1789:
	s_cmp_lt_i32 s2, 27
	s_mov_b32 s6, -1
	s_cbranch_scc1 .LBB199_1795
; %bb.1790:
	s_cmp_gt_i32 s2, 27
	s_cbranch_scc0 .LBB199_1792
; %bb.1791:
	s_mov_b32 s6, 0
	global_store_b32 v[6:7], v8, off
.LBB199_1792:
	s_and_not1_b32 vcc_lo, exec_lo, s6
	s_cbranch_vccnz .LBB199_1794
; %bb.1793:
	global_store_b16 v[6:7], v8, off
.LBB199_1794:
	s_mov_b32 s6, 0
.LBB199_1795:
	s_delay_alu instid0(SALU_CYCLE_1)
	s_and_not1_b32 vcc_lo, exec_lo, s6
	s_cbranch_vccnz .LBB199_1803
; %bb.1796:
	s_wait_xcnt 0x0
	v_xor_b32_e32 v1, v8, v9
	v_cls_i32_e32 v3, v9
	v_mov_b32_e32 v5, 0x80
	s_mov_b32 s6, exec_lo
	s_delay_alu instid0(VALU_DEP_3) | instskip(NEXT) | instid1(VALU_DEP_1)
	v_ashrrev_i32_e32 v1, 31, v1
	v_add_nc_u32_e32 v1, 32, v1
	s_delay_alu instid0(VALU_DEP_1) | instskip(SKIP_1) | instid1(VALU_DEP_1)
	v_add_min_u32_e64 v1, v3, -1, v1
	s_wait_loadcnt 0x0
	v_lshlrev_b64_e32 v[16:17], v1, v[8:9]
	v_sub_nc_u32_e32 v1, 32, v1
	s_delay_alu instid0(VALU_DEP_2) | instskip(NEXT) | instid1(VALU_DEP_1)
	v_min_u32_e32 v3, 1, v16
	v_or_b32_e32 v3, v17, v3
	s_delay_alu instid0(VALU_DEP_1) | instskip(NEXT) | instid1(VALU_DEP_1)
	v_cvt_f32_i32_e32 v3, v3
	v_ldexp_f32 v1, v3, v1
	s_delay_alu instid0(VALU_DEP_1) | instskip(NEXT) | instid1(VALU_DEP_1)
	v_and_b32_e32 v3, 0x7fffffff, v1
	v_cmpx_gt_u32_e32 0x43800000, v3
	s_cbranch_execz .LBB199_1802
; %bb.1797:
	v_cmp_lt_u32_e32 vcc_lo, 0x3bffffff, v3
	s_mov_b32 s7, 0
                                        ; implicit-def: $vgpr3
	s_and_saveexec_b32 s11, vcc_lo
	s_delay_alu instid0(SALU_CYCLE_1)
	s_xor_b32 s11, exec_lo, s11
	s_cbranch_execz .LBB199_2209
; %bb.1798:
	v_bfe_u32 v3, v1, 20, 1
	s_mov_b32 s7, exec_lo
	s_delay_alu instid0(VALU_DEP_1) | instskip(NEXT) | instid1(VALU_DEP_1)
	v_add3_u32 v3, v1, v3, 0x487ffff
	v_lshrrev_b32_e32 v3, 20, v3
	s_and_not1_saveexec_b32 s11, s11
	s_cbranch_execnz .LBB199_2210
.LBB199_1799:
	s_or_b32 exec_lo, exec_lo, s11
	v_mov_b32_e32 v5, 0
	s_and_saveexec_b32 s11, s7
.LBB199_1800:
	v_lshrrev_b32_e32 v1, 24, v1
	s_delay_alu instid0(VALU_DEP_1)
	v_and_or_b32 v5, 0x80, v1, v3
.LBB199_1801:
	s_or_b32 exec_lo, exec_lo, s11
.LBB199_1802:
	s_delay_alu instid0(SALU_CYCLE_1)
	s_or_b32 exec_lo, exec_lo, s6
	global_store_b8 v[6:7], v5, off
.LBB199_1803:
	s_mov_b32 s6, -1
.LBB199_1804:
	s_mov_b32 s7, 0
.LBB199_1805:
	s_delay_alu instid0(SALU_CYCLE_1)
	s_and_b32 vcc_lo, exec_lo, s7
	s_cbranch_vccz .LBB199_1845
; %bb.1806:
	s_cmp_gt_i32 s2, 22
	s_mov_b32 s3, -1
	s_cbranch_scc0 .LBB199_1838
; %bb.1807:
	s_cmp_lt_i32 s2, 24
	s_cbranch_scc1 .LBB199_1827
; %bb.1808:
	s_cmp_gt_i32 s2, 24
	s_cbranch_scc0 .LBB199_1816
; %bb.1809:
	s_wait_xcnt 0x0
	v_xor_b32_e32 v1, v8, v9
	v_cls_i32_e32 v3, v9
	v_mov_b32_e32 v5, 0x80
	s_mov_b32 s3, exec_lo
	s_delay_alu instid0(VALU_DEP_3) | instskip(NEXT) | instid1(VALU_DEP_1)
	v_ashrrev_i32_e32 v1, 31, v1
	v_add_nc_u32_e32 v1, 32, v1
	s_delay_alu instid0(VALU_DEP_1) | instskip(SKIP_1) | instid1(VALU_DEP_1)
	v_add_min_u32_e64 v1, v3, -1, v1
	s_wait_loadcnt 0x0
	v_lshlrev_b64_e32 v[16:17], v1, v[8:9]
	v_sub_nc_u32_e32 v1, 32, v1
	s_delay_alu instid0(VALU_DEP_2) | instskip(NEXT) | instid1(VALU_DEP_1)
	v_min_u32_e32 v3, 1, v16
	v_or_b32_e32 v3, v17, v3
	s_delay_alu instid0(VALU_DEP_1) | instskip(NEXT) | instid1(VALU_DEP_1)
	v_cvt_f32_i32_e32 v3, v3
	v_ldexp_f32 v1, v3, v1
	s_delay_alu instid0(VALU_DEP_1) | instskip(NEXT) | instid1(VALU_DEP_1)
	v_and_b32_e32 v3, 0x7fffffff, v1
	v_cmpx_gt_u32_e32 0x47800000, v3
	s_cbranch_execz .LBB199_1815
; %bb.1810:
	v_cmp_lt_u32_e32 vcc_lo, 0x37ffffff, v3
	s_mov_b32 s6, 0
                                        ; implicit-def: $vgpr3
	s_and_saveexec_b32 s7, vcc_lo
	s_delay_alu instid0(SALU_CYCLE_1)
	s_xor_b32 s7, exec_lo, s7
	s_cbranch_execz .LBB199_2212
; %bb.1811:
	v_bfe_u32 v3, v1, 21, 1
	s_mov_b32 s6, exec_lo
	s_delay_alu instid0(VALU_DEP_1) | instskip(NEXT) | instid1(VALU_DEP_1)
	v_add3_u32 v3, v1, v3, 0x88fffff
	v_lshrrev_b32_e32 v3, 21, v3
	s_and_not1_saveexec_b32 s7, s7
	s_cbranch_execnz .LBB199_2213
.LBB199_1812:
	s_or_b32 exec_lo, exec_lo, s7
	v_mov_b32_e32 v5, 0
	s_and_saveexec_b32 s7, s6
.LBB199_1813:
	v_lshrrev_b32_e32 v1, 24, v1
	s_delay_alu instid0(VALU_DEP_1)
	v_and_or_b32 v5, 0x80, v1, v3
.LBB199_1814:
	s_or_b32 exec_lo, exec_lo, s7
.LBB199_1815:
	s_delay_alu instid0(SALU_CYCLE_1)
	s_or_b32 exec_lo, exec_lo, s3
	s_mov_b32 s3, 0
	global_store_b8 v[6:7], v5, off
.LBB199_1816:
	s_and_b32 vcc_lo, exec_lo, s3
	s_cbranch_vccz .LBB199_1826
; %bb.1817:
	s_wait_xcnt 0x0
	v_xor_b32_e32 v1, v8, v9
	v_cls_i32_e32 v3, v9
	s_mov_b32 s3, exec_lo
	s_delay_alu instid0(VALU_DEP_2) | instskip(NEXT) | instid1(VALU_DEP_1)
	v_ashrrev_i32_e32 v1, 31, v1
	v_add_nc_u32_e32 v1, 32, v1
	s_delay_alu instid0(VALU_DEP_1) | instskip(SKIP_1) | instid1(VALU_DEP_1)
	v_add_min_u32_e64 v1, v3, -1, v1
	s_wait_loadcnt 0x0
	v_lshlrev_b64_e32 v[16:17], v1, v[8:9]
	v_sub_nc_u32_e32 v1, 32, v1
	s_delay_alu instid0(VALU_DEP_2) | instskip(NEXT) | instid1(VALU_DEP_1)
	v_min_u32_e32 v3, 1, v16
	v_or_b32_e32 v3, v17, v3
	s_delay_alu instid0(VALU_DEP_1) | instskip(NEXT) | instid1(VALU_DEP_1)
	v_cvt_f32_i32_e32 v3, v3
	v_ldexp_f32 v1, v3, v1
                                        ; implicit-def: $vgpr3
	s_delay_alu instid0(VALU_DEP_1) | instskip(NEXT) | instid1(VALU_DEP_1)
	v_and_b32_e32 v5, 0x7fffffff, v1
	v_cmpx_gt_u32_e32 0x43f00000, v5
	s_xor_b32 s3, exec_lo, s3
	s_cbranch_execz .LBB199_1823
; %bb.1818:
	s_mov_b32 s6, exec_lo
                                        ; implicit-def: $vgpr3
	v_cmpx_lt_u32_e32 0x3c7fffff, v5
	s_xor_b32 s6, exec_lo, s6
; %bb.1819:
	v_bfe_u32 v3, v1, 20, 1
	s_delay_alu instid0(VALU_DEP_1) | instskip(NEXT) | instid1(VALU_DEP_1)
	v_add3_u32 v3, v1, v3, 0x407ffff
	v_and_b32_e32 v5, 0xff00000, v3
	v_lshrrev_b32_e32 v3, 20, v3
	s_delay_alu instid0(VALU_DEP_2) | instskip(NEXT) | instid1(VALU_DEP_2)
	v_cmp_ne_u32_e32 vcc_lo, 0x7f00000, v5
	v_cndmask_b32_e32 v3, 0x7e, v3, vcc_lo
; %bb.1820:
	s_and_not1_saveexec_b32 s6, s6
; %bb.1821:
	v_add_f32_e64 v3, 0x46800000, |v1|
; %bb.1822:
	s_or_b32 exec_lo, exec_lo, s6
                                        ; implicit-def: $vgpr5
.LBB199_1823:
	s_and_not1_saveexec_b32 s3, s3
; %bb.1824:
	v_mov_b32_e32 v3, 0x7f
	v_cmp_lt_u32_e32 vcc_lo, 0x7f800000, v5
	s_delay_alu instid0(VALU_DEP_2)
	v_cndmask_b32_e32 v3, 0x7e, v3, vcc_lo
; %bb.1825:
	s_or_b32 exec_lo, exec_lo, s3
	v_lshrrev_b32_e32 v1, 24, v1
	s_delay_alu instid0(VALU_DEP_1)
	v_and_or_b32 v1, 0x80, v1, v3
	global_store_b8 v[6:7], v1, off
.LBB199_1826:
	s_mov_b32 s3, 0
.LBB199_1827:
	s_delay_alu instid0(SALU_CYCLE_1)
	s_and_not1_b32 vcc_lo, exec_lo, s3
	s_cbranch_vccnz .LBB199_1837
; %bb.1828:
	s_wait_xcnt 0x0
	v_xor_b32_e32 v1, v8, v9
	v_cls_i32_e32 v3, v9
	s_mov_b32 s3, exec_lo
	s_delay_alu instid0(VALU_DEP_2) | instskip(NEXT) | instid1(VALU_DEP_1)
	v_ashrrev_i32_e32 v1, 31, v1
	v_add_nc_u32_e32 v1, 32, v1
	s_delay_alu instid0(VALU_DEP_1) | instskip(SKIP_1) | instid1(VALU_DEP_1)
	v_add_min_u32_e64 v1, v3, -1, v1
	s_wait_loadcnt 0x0
	v_lshlrev_b64_e32 v[16:17], v1, v[8:9]
	v_sub_nc_u32_e32 v1, 32, v1
	s_delay_alu instid0(VALU_DEP_2) | instskip(NEXT) | instid1(VALU_DEP_1)
	v_min_u32_e32 v3, 1, v16
	v_or_b32_e32 v3, v17, v3
	s_delay_alu instid0(VALU_DEP_1) | instskip(NEXT) | instid1(VALU_DEP_1)
	v_cvt_f32_i32_e32 v3, v3
	v_ldexp_f32 v1, v3, v1
                                        ; implicit-def: $vgpr3
	s_delay_alu instid0(VALU_DEP_1) | instskip(NEXT) | instid1(VALU_DEP_1)
	v_and_b32_e32 v5, 0x7fffffff, v1
	v_cmpx_gt_u32_e32 0x47800000, v5
	s_xor_b32 s3, exec_lo, s3
	s_cbranch_execz .LBB199_1834
; %bb.1829:
	s_mov_b32 s6, exec_lo
                                        ; implicit-def: $vgpr3
	v_cmpx_lt_u32_e32 0x387fffff, v5
	s_xor_b32 s6, exec_lo, s6
; %bb.1830:
	v_bfe_u32 v3, v1, 21, 1
	s_delay_alu instid0(VALU_DEP_1) | instskip(NEXT) | instid1(VALU_DEP_1)
	v_add3_u32 v3, v1, v3, 0x80fffff
	v_lshrrev_b32_e32 v3, 21, v3
; %bb.1831:
	s_and_not1_saveexec_b32 s6, s6
; %bb.1832:
	v_add_f32_e64 v3, 0x43000000, |v1|
; %bb.1833:
	s_or_b32 exec_lo, exec_lo, s6
                                        ; implicit-def: $vgpr5
.LBB199_1834:
	s_and_not1_saveexec_b32 s3, s3
; %bb.1835:
	v_mov_b32_e32 v3, 0x7f
	v_cmp_lt_u32_e32 vcc_lo, 0x7f800000, v5
	s_delay_alu instid0(VALU_DEP_2)
	v_cndmask_b32_e32 v3, 0x7c, v3, vcc_lo
; %bb.1836:
	s_or_b32 exec_lo, exec_lo, s3
	v_lshrrev_b32_e32 v1, 24, v1
	s_delay_alu instid0(VALU_DEP_1)
	v_and_or_b32 v1, 0x80, v1, v3
	global_store_b8 v[6:7], v1, off
.LBB199_1837:
	s_mov_b32 s3, 0
	s_mov_b32 s6, -1
.LBB199_1838:
	s_and_not1_b32 vcc_lo, exec_lo, s3
	s_mov_b32 s3, 0
	s_cbranch_vccnz .LBB199_1845
; %bb.1839:
	s_cmp_gt_i32 s2, 14
	s_mov_b32 s3, -1
	s_cbranch_scc0 .LBB199_1843
; %bb.1840:
	s_cmp_eq_u32 s2, 15
	s_mov_b32 s0, -1
	s_cbranch_scc0 .LBB199_1842
; %bb.1841:
	s_wait_xcnt 0x0
	v_xor_b32_e32 v1, v8, v9
	v_cls_i32_e32 v3, v9
	s_mov_b32 s6, -1
	s_mov_b32 s0, 0
	s_delay_alu instid0(VALU_DEP_2) | instskip(NEXT) | instid1(VALU_DEP_1)
	v_ashrrev_i32_e32 v1, 31, v1
	v_add_nc_u32_e32 v1, 32, v1
	s_delay_alu instid0(VALU_DEP_1) | instskip(SKIP_1) | instid1(VALU_DEP_1)
	v_add_min_u32_e64 v1, v3, -1, v1
	s_wait_loadcnt 0x0
	v_lshlrev_b64_e32 v[16:17], v1, v[8:9]
	v_sub_nc_u32_e32 v1, 32, v1
	s_delay_alu instid0(VALU_DEP_2) | instskip(NEXT) | instid1(VALU_DEP_1)
	v_min_u32_e32 v3, 1, v16
	v_or_b32_e32 v3, v17, v3
	s_delay_alu instid0(VALU_DEP_1) | instskip(NEXT) | instid1(VALU_DEP_1)
	v_cvt_f32_i32_e32 v3, v3
	v_ldexp_f32 v1, v3, v1
	s_delay_alu instid0(VALU_DEP_1) | instskip(NEXT) | instid1(VALU_DEP_1)
	v_bfe_u32 v3, v1, 16, 1
	v_add3_u32 v1, v1, v3, 0x7fff
	global_store_d16_hi_b16 v[6:7], v1, off
.LBB199_1842:
	s_mov_b32 s3, 0
.LBB199_1843:
	s_delay_alu instid0(SALU_CYCLE_1)
	s_and_b32 vcc_lo, exec_lo, s3
	s_mov_b32 s3, 0
	s_cbranch_vccz .LBB199_1845
; %bb.1844:
	s_cmp_lg_u32 s2, 11
	s_mov_b32 s3, -1
	s_cselect_b32 s0, -1, 0
.LBB199_1845:
	s_delay_alu instid0(SALU_CYCLE_1)
	s_and_b32 vcc_lo, exec_lo, s0
	s_cbranch_vccnz .LBB199_2211
; %bb.1846:
	s_and_not1_b32 vcc_lo, exec_lo, s3
	s_cbranch_vccnz .LBB199_1848
.LBB199_1847:
	v_cmp_ne_u64_e32 vcc_lo, 0, v[8:9]
	s_mov_b32 s6, -1
	s_wait_xcnt 0x0
	v_cndmask_b32_e64 v1, 0, 1, vcc_lo
	global_store_b8 v[6:7], v1, off
.LBB199_1848:
	s_mov_b32 s0, 0
	s_branch .LBB199_1852
.LBB199_1849:
	s_and_not1_b32 vcc_lo, exec_lo, s7
	s_cbranch_vccnz .LBB199_1769
.LBB199_1850:
	s_wait_loadcnt 0x0
	s_delay_alu instid0(VALU_DEP_1) | instskip(SKIP_2) | instid1(VALU_DEP_1)
	v_max_i64 v[12:13], v[16:17], s[0:1]
	s_load_b64 s[6:7], s[2:3], 0x168
	s_wait_kmcnt 0x0
	v_min_i64 v[12:13], v[12:13], s[6:7]
	s_cbranch_execz .LBB199_1770
	s_branch .LBB199_1771
.LBB199_1851:
	s_mov_b32 s0, -1
	s_mov_b32 s6, 0
.LBB199_1852:
	s_and_b32 vcc_lo, exec_lo, s0
	s_cbranch_vccz .LBB199_1891
; %bb.1853:
	s_and_b32 s0, 0xffff, s1
	s_mov_b32 s2, -1
	s_cmp_lt_i32 s0, 5
	s_cbranch_scc1 .LBB199_1874
; %bb.1854:
	s_cmp_lt_i32 s0, 8
	s_cbranch_scc1 .LBB199_1864
; %bb.1855:
	;; [unrolled: 3-line block ×3, first 2 shown]
	s_cmp_gt_i32 s0, 9
	s_cbranch_scc0 .LBB199_1858
; %bb.1857:
	s_wait_loadcnt 0x0
	v_cvt_f64_i32_e32 v[16:17], v9
	v_cvt_f64_u32_e32 v[18:19], v8
	s_mov_b32 s2, 0
	s_delay_alu instid0(VALU_DEP_2) | instskip(NEXT) | instid1(VALU_DEP_1)
	v_ldexp_f64 v[16:17], v[16:17], 32
	v_dual_add_f64 v[16:17], v[16:17], v[18:19] :: v_dual_mov_b32 v18, 0
	s_delay_alu instid0(VALU_DEP_1)
	v_mov_b32_e32 v19, v18
	global_store_b128 v[6:7], v[16:19], off
.LBB199_1858:
	s_and_not1_b32 vcc_lo, exec_lo, s2
	s_cbranch_vccnz .LBB199_1860
; %bb.1859:
	s_wait_xcnt 0x0
	v_xor_b32_e32 v1, v8, v9
	v_cls_i32_e32 v3, v9
	s_delay_alu instid0(VALU_DEP_2) | instskip(NEXT) | instid1(VALU_DEP_1)
	v_ashrrev_i32_e32 v1, 31, v1
	v_add_nc_u32_e32 v1, 32, v1
	s_delay_alu instid0(VALU_DEP_1) | instskip(SKIP_1) | instid1(VALU_DEP_1)
	v_add_min_u32_e64 v1, v3, -1, v1
	s_wait_loadcnt 0x0
	v_lshlrev_b64_e32 v[16:17], v1, v[8:9]
	v_sub_nc_u32_e32 v1, 32, v1
	s_delay_alu instid0(VALU_DEP_2) | instskip(NEXT) | instid1(VALU_DEP_1)
	v_min_u32_e32 v3, 1, v16
	v_dual_mov_b32 v17, 0 :: v_dual_bitop2_b32 v3, v17, v3 bitop3:0x54
	s_delay_alu instid0(VALU_DEP_1) | instskip(NEXT) | instid1(VALU_DEP_1)
	v_cvt_f32_i32_e32 v3, v3
	v_ldexp_f32 v16, v3, v1
	global_store_b64 v[6:7], v[16:17], off
.LBB199_1860:
	s_mov_b32 s2, 0
.LBB199_1861:
	s_delay_alu instid0(SALU_CYCLE_1)
	s_and_not1_b32 vcc_lo, exec_lo, s2
	s_cbranch_vccnz .LBB199_1863
; %bb.1862:
	s_wait_xcnt 0x0
	v_xor_b32_e32 v1, v8, v9
	v_cls_i32_e32 v3, v9
	s_delay_alu instid0(VALU_DEP_2) | instskip(NEXT) | instid1(VALU_DEP_1)
	v_ashrrev_i32_e32 v1, 31, v1
	v_add_nc_u32_e32 v1, 32, v1
	s_delay_alu instid0(VALU_DEP_1) | instskip(SKIP_1) | instid1(VALU_DEP_1)
	v_add_min_u32_e64 v1, v3, -1, v1
	s_wait_loadcnt 0x0
	v_lshlrev_b64_e32 v[16:17], v1, v[8:9]
	v_sub_nc_u32_e32 v1, 32, v1
	s_delay_alu instid0(VALU_DEP_2) | instskip(NEXT) | instid1(VALU_DEP_1)
	v_min_u32_e32 v3, 1, v16
	v_or_b32_e32 v3, v17, v3
	s_delay_alu instid0(VALU_DEP_1) | instskip(NEXT) | instid1(VALU_DEP_1)
	v_cvt_f32_i32_e32 v3, v3
	v_ldexp_f32 v1, v3, v1
	s_delay_alu instid0(VALU_DEP_1) | instskip(NEXT) | instid1(VALU_DEP_1)
	v_cvt_f16_f32_e32 v1, v1
	v_and_b32_e32 v1, 0xffff, v1
	global_store_b32 v[6:7], v1, off
.LBB199_1863:
	s_mov_b32 s2, 0
.LBB199_1864:
	s_delay_alu instid0(SALU_CYCLE_1)
	s_and_not1_b32 vcc_lo, exec_lo, s2
	s_cbranch_vccnz .LBB199_1873
; %bb.1865:
	s_cmp_lt_i32 s0, 6
	s_mov_b32 s2, -1
	s_cbranch_scc1 .LBB199_1871
; %bb.1866:
	s_cmp_gt_i32 s0, 6
	s_cbranch_scc0 .LBB199_1868
; %bb.1867:
	s_wait_loadcnt 0x0
	v_cvt_f64_i32_e32 v[16:17], v9
	v_cvt_f64_u32_e32 v[18:19], v8
	s_mov_b32 s2, 0
	s_delay_alu instid0(VALU_DEP_2) | instskip(NEXT) | instid1(VALU_DEP_1)
	v_ldexp_f64 v[16:17], v[16:17], 32
	v_add_f64_e32 v[16:17], v[16:17], v[18:19]
	global_store_b64 v[6:7], v[16:17], off
.LBB199_1868:
	s_and_not1_b32 vcc_lo, exec_lo, s2
	s_cbranch_vccnz .LBB199_1870
; %bb.1869:
	s_wait_xcnt 0x0
	v_xor_b32_e32 v1, v8, v9
	v_cls_i32_e32 v3, v9
	s_delay_alu instid0(VALU_DEP_2) | instskip(NEXT) | instid1(VALU_DEP_1)
	v_ashrrev_i32_e32 v1, 31, v1
	v_add_nc_u32_e32 v1, 32, v1
	s_delay_alu instid0(VALU_DEP_1) | instskip(SKIP_1) | instid1(VALU_DEP_1)
	v_add_min_u32_e64 v1, v3, -1, v1
	s_wait_loadcnt 0x0
	v_lshlrev_b64_e32 v[16:17], v1, v[8:9]
	v_sub_nc_u32_e32 v1, 32, v1
	s_delay_alu instid0(VALU_DEP_2) | instskip(NEXT) | instid1(VALU_DEP_1)
	v_min_u32_e32 v3, 1, v16
	v_or_b32_e32 v3, v17, v3
	s_delay_alu instid0(VALU_DEP_1) | instskip(NEXT) | instid1(VALU_DEP_1)
	v_cvt_f32_i32_e32 v3, v3
	v_ldexp_f32 v1, v3, v1
	global_store_b32 v[6:7], v1, off
.LBB199_1870:
	s_mov_b32 s2, 0
.LBB199_1871:
	s_delay_alu instid0(SALU_CYCLE_1)
	s_and_not1_b32 vcc_lo, exec_lo, s2
	s_cbranch_vccnz .LBB199_1873
; %bb.1872:
	s_wait_xcnt 0x0
	v_xor_b32_e32 v1, v8, v9
	v_cls_i32_e32 v3, v9
	s_delay_alu instid0(VALU_DEP_2) | instskip(NEXT) | instid1(VALU_DEP_1)
	v_ashrrev_i32_e32 v1, 31, v1
	v_add_nc_u32_e32 v1, 32, v1
	s_delay_alu instid0(VALU_DEP_1) | instskip(SKIP_1) | instid1(VALU_DEP_1)
	v_add_min_u32_e64 v1, v3, -1, v1
	s_wait_loadcnt 0x0
	v_lshlrev_b64_e32 v[16:17], v1, v[8:9]
	v_sub_nc_u32_e32 v1, 32, v1
	s_delay_alu instid0(VALU_DEP_2) | instskip(NEXT) | instid1(VALU_DEP_1)
	v_min_u32_e32 v3, 1, v16
	v_or_b32_e32 v3, v17, v3
	s_delay_alu instid0(VALU_DEP_1) | instskip(NEXT) | instid1(VALU_DEP_1)
	v_cvt_f32_i32_e32 v3, v3
	v_ldexp_f32 v1, v3, v1
	s_delay_alu instid0(VALU_DEP_1)
	v_cvt_f16_f32_e32 v1, v1
	global_store_b16 v[6:7], v1, off
.LBB199_1873:
	s_mov_b32 s2, 0
.LBB199_1874:
	s_delay_alu instid0(SALU_CYCLE_1)
	s_and_not1_b32 vcc_lo, exec_lo, s2
	s_cbranch_vccnz .LBB199_1890
; %bb.1875:
	s_cmp_lt_i32 s0, 2
	s_mov_b32 s2, -1
	s_cbranch_scc1 .LBB199_1885
; %bb.1876:
	s_cmp_lt_i32 s0, 3
	s_cbranch_scc1 .LBB199_1882
; %bb.1877:
	s_cmp_gt_i32 s0, 3
	s_cbranch_scc0 .LBB199_1879
; %bb.1878:
	s_mov_b32 s2, 0
	global_store_b64 v[6:7], v[8:9], off
.LBB199_1879:
	s_and_not1_b32 vcc_lo, exec_lo, s2
	s_cbranch_vccnz .LBB199_1881
; %bb.1880:
	global_store_b32 v[6:7], v8, off
.LBB199_1881:
	s_mov_b32 s2, 0
.LBB199_1882:
	s_delay_alu instid0(SALU_CYCLE_1)
	s_and_not1_b32 vcc_lo, exec_lo, s2
	s_cbranch_vccnz .LBB199_1884
; %bb.1883:
	global_store_b16 v[6:7], v8, off
.LBB199_1884:
	s_mov_b32 s2, 0
.LBB199_1885:
	s_delay_alu instid0(SALU_CYCLE_1)
	s_and_not1_b32 vcc_lo, exec_lo, s2
	s_cbranch_vccnz .LBB199_1890
; %bb.1886:
	s_cmp_gt_i32 s0, 0
	s_mov_b32 s0, -1
	s_cbranch_scc0 .LBB199_1888
; %bb.1887:
	s_mov_b32 s0, 0
	global_store_b8 v[6:7], v8, off
.LBB199_1888:
	s_and_not1_b32 vcc_lo, exec_lo, s0
	s_cbranch_vccnz .LBB199_1890
; %bb.1889:
	global_store_b8 v[6:7], v8, off
.LBB199_1890:
	s_mov_b32 s6, -1
.LBB199_1891:
	s_delay_alu instid0(SALU_CYCLE_1)
	s_and_not1_b32 vcc_lo, exec_lo, s6
	s_cbranch_vccnz .LBB199_2206
; %bb.1892:
	s_wait_xcnt 0x0
	v_mov_b32_e32 v5, 0
	s_and_b32 s2, 0xffff, s1
	s_delay_alu instid0(SALU_CYCLE_1) | instskip(NEXT) | instid1(VALU_DEP_1)
	s_cmp_lt_i32 s2, 11
	v_add_nc_u64_e32 v[4:5], s[4:5], v[4:5]
	s_cbranch_scc1 .LBB199_1970
; %bb.1893:
	s_mov_b32 s7, -1
	s_mov_b32 s3, 0
	s_cmp_gt_i32 s2, 25
	s_mov_b32 s6, 0
	s_mov_b32 s0, 0
	s_cbranch_scc0 .LBB199_1926
; %bb.1894:
	s_cmp_gt_i32 s2, 28
	s_cbranch_scc0 .LBB199_1909
; %bb.1895:
	s_cmp_gt_i32 s2, 43
	;; [unrolled: 3-line block ×3, first 2 shown]
	s_cbranch_scc0 .LBB199_1899
; %bb.1897:
	s_mov_b32 s0, -1
	s_mov_b32 s7, 0
	s_cmp_eq_u32 s2, 46
	s_cbranch_scc0 .LBB199_1899
; %bb.1898:
	v_xor_b32_e32 v1, v10, v11
	v_cls_i32_e32 v3, v11
	s_mov_b32 s6, -1
	s_mov_b32 s0, 0
	s_delay_alu instid0(VALU_DEP_2) | instskip(NEXT) | instid1(VALU_DEP_1)
	v_ashrrev_i32_e32 v1, 31, v1
	v_add_nc_u32_e32 v1, 32, v1
	s_delay_alu instid0(VALU_DEP_1) | instskip(NEXT) | instid1(VALU_DEP_1)
	v_add_min_u32_e64 v1, v3, -1, v1
	v_lshlrev_b64_e32 v[6:7], v1, v[10:11]
	v_sub_nc_u32_e32 v1, 32, v1
	s_delay_alu instid0(VALU_DEP_2) | instskip(NEXT) | instid1(VALU_DEP_1)
	v_min_u32_e32 v3, 1, v6
	v_or_b32_e32 v3, v7, v3
	s_delay_alu instid0(VALU_DEP_1) | instskip(NEXT) | instid1(VALU_DEP_1)
	v_cvt_f32_i32_e32 v3, v3
	v_ldexp_f32 v1, v3, v1
	s_delay_alu instid0(VALU_DEP_1) | instskip(NEXT) | instid1(VALU_DEP_1)
	v_bfe_u32 v3, v1, 16, 1
	v_add3_u32 v1, v1, v3, 0x7fff
	s_delay_alu instid0(VALU_DEP_1)
	v_lshrrev_b32_e32 v1, 16, v1
	global_store_b32 v[4:5], v1, off
.LBB199_1899:
	s_and_b32 vcc_lo, exec_lo, s7
	s_cbranch_vccz .LBB199_1904
; %bb.1900:
	s_cmp_eq_u32 s2, 44
	s_mov_b32 s0, -1
	s_cbranch_scc0 .LBB199_1904
; %bb.1901:
	s_wait_xcnt 0x0
	v_xor_b32_e32 v1, v10, v11
	v_cls_i32_e32 v3, v11
	s_mov_b32 s6, -1
	s_mov_b32 s7, exec_lo
	s_delay_alu instid0(VALU_DEP_2) | instskip(NEXT) | instid1(VALU_DEP_1)
	v_ashrrev_i32_e32 v1, 31, v1
	v_add_nc_u32_e32 v1, 32, v1
	s_delay_alu instid0(VALU_DEP_1) | instskip(NEXT) | instid1(VALU_DEP_1)
	v_add_min_u32_e64 v1, v3, -1, v1
	v_lshlrev_b64_e32 v[6:7], v1, v[10:11]
	v_sub_nc_u32_e32 v1, 32, v1
	s_delay_alu instid0(VALU_DEP_2) | instskip(NEXT) | instid1(VALU_DEP_1)
	v_min_u32_e32 v3, 1, v6
	v_or_b32_e32 v3, v7, v3
	s_delay_alu instid0(VALU_DEP_1) | instskip(NEXT) | instid1(VALU_DEP_1)
	v_cvt_f32_i32_e32 v3, v3
	v_ldexp_f32 v1, v3, v1
	v_mov_b32_e32 v3, 0xff
	s_delay_alu instid0(VALU_DEP_2) | instskip(NEXT) | instid1(VALU_DEP_1)
	v_bfe_u32 v6, v1, 23, 8
	v_cmpx_ne_u32_e32 0xff, v6
	s_cbranch_execz .LBB199_1903
; %bb.1902:
	v_and_b32_e32 v3, 0x400000, v1
	v_and_or_b32 v6, 0x3fffff, v1, v6
	v_lshrrev_b32_e32 v1, 23, v1
	s_delay_alu instid0(VALU_DEP_3) | instskip(NEXT) | instid1(VALU_DEP_3)
	v_cmp_ne_u32_e32 vcc_lo, 0, v3
	v_cmp_ne_u32_e64 s0, 0, v6
	s_and_b32 s0, vcc_lo, s0
	s_delay_alu instid0(SALU_CYCLE_1) | instskip(NEXT) | instid1(VALU_DEP_1)
	v_cndmask_b32_e64 v3, 0, 1, s0
	v_add_nc_u32_e32 v3, v1, v3
.LBB199_1903:
	s_or_b32 exec_lo, exec_lo, s7
	s_mov_b32 s0, 0
	global_store_b8 v[4:5], v3, off
.LBB199_1904:
	s_mov_b32 s7, 0
.LBB199_1905:
	s_delay_alu instid0(SALU_CYCLE_1)
	s_and_b32 vcc_lo, exec_lo, s7
	s_cbranch_vccz .LBB199_1908
; %bb.1906:
	s_cmp_eq_u32 s2, 29
	s_mov_b32 s0, -1
	s_cbranch_scc0 .LBB199_1908
; %bb.1907:
	s_mov_b32 s0, 0
	s_mov_b32 s6, -1
	global_store_b64 v[4:5], v[10:11], off
.LBB199_1908:
	s_mov_b32 s7, 0
.LBB199_1909:
	s_delay_alu instid0(SALU_CYCLE_1)
	s_and_b32 vcc_lo, exec_lo, s7
	s_cbranch_vccz .LBB199_1925
; %bb.1910:
	s_cmp_lt_i32 s2, 27
	s_mov_b32 s6, -1
	s_cbranch_scc1 .LBB199_1916
; %bb.1911:
	s_cmp_gt_i32 s2, 27
	s_cbranch_scc0 .LBB199_1913
; %bb.1912:
	s_mov_b32 s6, 0
	global_store_b32 v[4:5], v10, off
.LBB199_1913:
	s_and_not1_b32 vcc_lo, exec_lo, s6
	s_cbranch_vccnz .LBB199_1915
; %bb.1914:
	global_store_b16 v[4:5], v10, off
.LBB199_1915:
	s_mov_b32 s6, 0
.LBB199_1916:
	s_delay_alu instid0(SALU_CYCLE_1)
	s_and_not1_b32 vcc_lo, exec_lo, s6
	s_cbranch_vccnz .LBB199_1924
; %bb.1917:
	s_wait_xcnt 0x0
	v_xor_b32_e32 v1, v10, v11
	v_cls_i32_e32 v3, v11
	s_mov_b32 s6, exec_lo
	s_delay_alu instid0(VALU_DEP_2) | instskip(NEXT) | instid1(VALU_DEP_1)
	v_ashrrev_i32_e32 v1, 31, v1
	v_add_nc_u32_e32 v1, 32, v1
	s_delay_alu instid0(VALU_DEP_1) | instskip(NEXT) | instid1(VALU_DEP_1)
	v_add_min_u32_e64 v1, v3, -1, v1
	v_lshlrev_b64_e32 v[6:7], v1, v[10:11]
	v_sub_nc_u32_e32 v1, 32, v1
	s_delay_alu instid0(VALU_DEP_2) | instskip(SKIP_1) | instid1(VALU_DEP_2)
	v_min_u32_e32 v3, 1, v6
	v_mov_b32_e32 v6, 0x80
	v_or_b32_e32 v3, v7, v3
	s_delay_alu instid0(VALU_DEP_1) | instskip(NEXT) | instid1(VALU_DEP_1)
	v_cvt_f32_i32_e32 v3, v3
	v_ldexp_f32 v1, v3, v1
	s_delay_alu instid0(VALU_DEP_1) | instskip(NEXT) | instid1(VALU_DEP_1)
	v_and_b32_e32 v3, 0x7fffffff, v1
	v_cmpx_gt_u32_e32 0x43800000, v3
	s_cbranch_execz .LBB199_1923
; %bb.1918:
	v_cmp_lt_u32_e32 vcc_lo, 0x3bffffff, v3
	s_mov_b32 s7, 0
                                        ; implicit-def: $vgpr3
	s_and_saveexec_b32 s11, vcc_lo
	s_delay_alu instid0(SALU_CYCLE_1)
	s_xor_b32 s11, exec_lo, s11
	s_cbranch_execz .LBB199_2214
; %bb.1919:
	v_bfe_u32 v3, v1, 20, 1
	s_mov_b32 s7, exec_lo
	s_delay_alu instid0(VALU_DEP_1) | instskip(NEXT) | instid1(VALU_DEP_1)
	v_add3_u32 v3, v1, v3, 0x487ffff
	v_lshrrev_b32_e32 v3, 20, v3
	s_and_not1_saveexec_b32 s11, s11
	s_cbranch_execnz .LBB199_2215
.LBB199_1920:
	s_or_b32 exec_lo, exec_lo, s11
	v_mov_b32_e32 v6, 0
	s_and_saveexec_b32 s11, s7
.LBB199_1921:
	v_lshrrev_b32_e32 v1, 24, v1
	s_delay_alu instid0(VALU_DEP_1)
	v_and_or_b32 v6, 0x80, v1, v3
.LBB199_1922:
	s_or_b32 exec_lo, exec_lo, s11
.LBB199_1923:
	s_delay_alu instid0(SALU_CYCLE_1)
	s_or_b32 exec_lo, exec_lo, s6
	global_store_b8 v[4:5], v6, off
.LBB199_1924:
	s_mov_b32 s6, -1
.LBB199_1925:
	s_mov_b32 s7, 0
.LBB199_1926:
	s_delay_alu instid0(SALU_CYCLE_1)
	s_and_b32 vcc_lo, exec_lo, s7
	s_cbranch_vccz .LBB199_1966
; %bb.1927:
	s_cmp_gt_i32 s2, 22
	s_mov_b32 s3, -1
	s_cbranch_scc0 .LBB199_1959
; %bb.1928:
	s_cmp_lt_i32 s2, 24
	s_cbranch_scc1 .LBB199_1948
; %bb.1929:
	s_cmp_gt_i32 s2, 24
	s_cbranch_scc0 .LBB199_1937
; %bb.1930:
	s_wait_xcnt 0x0
	v_xor_b32_e32 v1, v10, v11
	v_cls_i32_e32 v3, v11
	s_mov_b32 s3, exec_lo
	s_delay_alu instid0(VALU_DEP_2) | instskip(NEXT) | instid1(VALU_DEP_1)
	v_ashrrev_i32_e32 v1, 31, v1
	v_add_nc_u32_e32 v1, 32, v1
	s_delay_alu instid0(VALU_DEP_1) | instskip(NEXT) | instid1(VALU_DEP_1)
	v_add_min_u32_e64 v1, v3, -1, v1
	v_lshlrev_b64_e32 v[6:7], v1, v[10:11]
	v_sub_nc_u32_e32 v1, 32, v1
	s_delay_alu instid0(VALU_DEP_2) | instskip(SKIP_1) | instid1(VALU_DEP_2)
	v_min_u32_e32 v3, 1, v6
	v_mov_b32_e32 v6, 0x80
	v_or_b32_e32 v3, v7, v3
	s_delay_alu instid0(VALU_DEP_1) | instskip(NEXT) | instid1(VALU_DEP_1)
	v_cvt_f32_i32_e32 v3, v3
	v_ldexp_f32 v1, v3, v1
	s_delay_alu instid0(VALU_DEP_1) | instskip(NEXT) | instid1(VALU_DEP_1)
	v_and_b32_e32 v3, 0x7fffffff, v1
	v_cmpx_gt_u32_e32 0x47800000, v3
	s_cbranch_execz .LBB199_1936
; %bb.1931:
	v_cmp_lt_u32_e32 vcc_lo, 0x37ffffff, v3
	s_mov_b32 s6, 0
                                        ; implicit-def: $vgpr3
	s_and_saveexec_b32 s7, vcc_lo
	s_delay_alu instid0(SALU_CYCLE_1)
	s_xor_b32 s7, exec_lo, s7
	s_cbranch_execz .LBB199_2217
; %bb.1932:
	v_bfe_u32 v3, v1, 21, 1
	s_mov_b32 s6, exec_lo
	s_delay_alu instid0(VALU_DEP_1) | instskip(NEXT) | instid1(VALU_DEP_1)
	v_add3_u32 v3, v1, v3, 0x88fffff
	v_lshrrev_b32_e32 v3, 21, v3
	s_and_not1_saveexec_b32 s7, s7
	s_cbranch_execnz .LBB199_2218
.LBB199_1933:
	s_or_b32 exec_lo, exec_lo, s7
	v_mov_b32_e32 v6, 0
	s_and_saveexec_b32 s7, s6
.LBB199_1934:
	v_lshrrev_b32_e32 v1, 24, v1
	s_delay_alu instid0(VALU_DEP_1)
	v_and_or_b32 v6, 0x80, v1, v3
.LBB199_1935:
	s_or_b32 exec_lo, exec_lo, s7
.LBB199_1936:
	s_delay_alu instid0(SALU_CYCLE_1)
	s_or_b32 exec_lo, exec_lo, s3
	s_mov_b32 s3, 0
	global_store_b8 v[4:5], v6, off
.LBB199_1937:
	s_and_b32 vcc_lo, exec_lo, s3
	s_cbranch_vccz .LBB199_1947
; %bb.1938:
	s_wait_xcnt 0x0
	v_xor_b32_e32 v1, v10, v11
	v_cls_i32_e32 v3, v11
	s_mov_b32 s3, exec_lo
	s_delay_alu instid0(VALU_DEP_2) | instskip(NEXT) | instid1(VALU_DEP_1)
	v_ashrrev_i32_e32 v1, 31, v1
	v_add_nc_u32_e32 v1, 32, v1
	s_delay_alu instid0(VALU_DEP_1) | instskip(NEXT) | instid1(VALU_DEP_1)
	v_add_min_u32_e64 v1, v3, -1, v1
	v_lshlrev_b64_e32 v[6:7], v1, v[10:11]
	v_sub_nc_u32_e32 v1, 32, v1
	s_delay_alu instid0(VALU_DEP_2) | instskip(NEXT) | instid1(VALU_DEP_1)
	v_min_u32_e32 v3, 1, v6
	v_or_b32_e32 v3, v7, v3
	s_delay_alu instid0(VALU_DEP_1) | instskip(NEXT) | instid1(VALU_DEP_1)
	v_cvt_f32_i32_e32 v3, v3
	v_ldexp_f32 v1, v3, v1
                                        ; implicit-def: $vgpr3
	s_delay_alu instid0(VALU_DEP_1) | instskip(NEXT) | instid1(VALU_DEP_1)
	v_and_b32_e32 v6, 0x7fffffff, v1
	v_cmpx_gt_u32_e32 0x43f00000, v6
	s_xor_b32 s3, exec_lo, s3
	s_cbranch_execz .LBB199_1944
; %bb.1939:
	s_mov_b32 s6, exec_lo
                                        ; implicit-def: $vgpr3
	v_cmpx_lt_u32_e32 0x3c7fffff, v6
	s_xor_b32 s6, exec_lo, s6
; %bb.1940:
	v_bfe_u32 v3, v1, 20, 1
	s_delay_alu instid0(VALU_DEP_1) | instskip(NEXT) | instid1(VALU_DEP_1)
	v_add3_u32 v3, v1, v3, 0x407ffff
	v_and_b32_e32 v6, 0xff00000, v3
	v_lshrrev_b32_e32 v3, 20, v3
	s_delay_alu instid0(VALU_DEP_2) | instskip(NEXT) | instid1(VALU_DEP_2)
	v_cmp_ne_u32_e32 vcc_lo, 0x7f00000, v6
	v_cndmask_b32_e32 v3, 0x7e, v3, vcc_lo
; %bb.1941:
	s_and_not1_saveexec_b32 s6, s6
; %bb.1942:
	v_add_f32_e64 v3, 0x46800000, |v1|
; %bb.1943:
	s_or_b32 exec_lo, exec_lo, s6
                                        ; implicit-def: $vgpr6
.LBB199_1944:
	s_and_not1_saveexec_b32 s3, s3
; %bb.1945:
	v_mov_b32_e32 v3, 0x7f
	v_cmp_lt_u32_e32 vcc_lo, 0x7f800000, v6
	s_delay_alu instid0(VALU_DEP_2)
	v_cndmask_b32_e32 v3, 0x7e, v3, vcc_lo
; %bb.1946:
	s_or_b32 exec_lo, exec_lo, s3
	v_lshrrev_b32_e32 v1, 24, v1
	s_delay_alu instid0(VALU_DEP_1)
	v_and_or_b32 v1, 0x80, v1, v3
	global_store_b8 v[4:5], v1, off
.LBB199_1947:
	s_mov_b32 s3, 0
.LBB199_1948:
	s_delay_alu instid0(SALU_CYCLE_1)
	s_and_not1_b32 vcc_lo, exec_lo, s3
	s_cbranch_vccnz .LBB199_1958
; %bb.1949:
	s_wait_xcnt 0x0
	v_xor_b32_e32 v1, v10, v11
	v_cls_i32_e32 v3, v11
	s_mov_b32 s3, exec_lo
	s_delay_alu instid0(VALU_DEP_2) | instskip(NEXT) | instid1(VALU_DEP_1)
	v_ashrrev_i32_e32 v1, 31, v1
	v_add_nc_u32_e32 v1, 32, v1
	s_delay_alu instid0(VALU_DEP_1) | instskip(NEXT) | instid1(VALU_DEP_1)
	v_add_min_u32_e64 v1, v3, -1, v1
	v_lshlrev_b64_e32 v[6:7], v1, v[10:11]
	v_sub_nc_u32_e32 v1, 32, v1
	s_delay_alu instid0(VALU_DEP_2) | instskip(NEXT) | instid1(VALU_DEP_1)
	v_min_u32_e32 v3, 1, v6
	v_or_b32_e32 v3, v7, v3
	s_delay_alu instid0(VALU_DEP_1) | instskip(NEXT) | instid1(VALU_DEP_1)
	v_cvt_f32_i32_e32 v3, v3
	v_ldexp_f32 v1, v3, v1
                                        ; implicit-def: $vgpr3
	s_delay_alu instid0(VALU_DEP_1) | instskip(NEXT) | instid1(VALU_DEP_1)
	v_and_b32_e32 v6, 0x7fffffff, v1
	v_cmpx_gt_u32_e32 0x47800000, v6
	s_xor_b32 s3, exec_lo, s3
	s_cbranch_execz .LBB199_1955
; %bb.1950:
	s_mov_b32 s6, exec_lo
                                        ; implicit-def: $vgpr3
	v_cmpx_lt_u32_e32 0x387fffff, v6
	s_xor_b32 s6, exec_lo, s6
; %bb.1951:
	v_bfe_u32 v3, v1, 21, 1
	s_delay_alu instid0(VALU_DEP_1) | instskip(NEXT) | instid1(VALU_DEP_1)
	v_add3_u32 v3, v1, v3, 0x80fffff
	v_lshrrev_b32_e32 v3, 21, v3
; %bb.1952:
	s_and_not1_saveexec_b32 s6, s6
; %bb.1953:
	v_add_f32_e64 v3, 0x43000000, |v1|
; %bb.1954:
	s_or_b32 exec_lo, exec_lo, s6
                                        ; implicit-def: $vgpr6
.LBB199_1955:
	s_and_not1_saveexec_b32 s3, s3
; %bb.1956:
	v_mov_b32_e32 v3, 0x7f
	v_cmp_lt_u32_e32 vcc_lo, 0x7f800000, v6
	s_delay_alu instid0(VALU_DEP_2)
	v_cndmask_b32_e32 v3, 0x7c, v3, vcc_lo
; %bb.1957:
	s_or_b32 exec_lo, exec_lo, s3
	v_lshrrev_b32_e32 v1, 24, v1
	s_delay_alu instid0(VALU_DEP_1)
	v_and_or_b32 v1, 0x80, v1, v3
	global_store_b8 v[4:5], v1, off
.LBB199_1958:
	s_mov_b32 s3, 0
	s_mov_b32 s6, -1
.LBB199_1959:
	s_and_not1_b32 vcc_lo, exec_lo, s3
	s_mov_b32 s3, 0
	s_cbranch_vccnz .LBB199_1966
; %bb.1960:
	s_cmp_gt_i32 s2, 14
	s_mov_b32 s3, -1
	s_cbranch_scc0 .LBB199_1964
; %bb.1961:
	s_cmp_eq_u32 s2, 15
	s_mov_b32 s0, -1
	s_cbranch_scc0 .LBB199_1963
; %bb.1962:
	s_wait_xcnt 0x0
	v_xor_b32_e32 v1, v10, v11
	v_cls_i32_e32 v3, v11
	s_mov_b32 s6, -1
	s_mov_b32 s0, 0
	s_delay_alu instid0(VALU_DEP_2) | instskip(NEXT) | instid1(VALU_DEP_1)
	v_ashrrev_i32_e32 v1, 31, v1
	v_add_nc_u32_e32 v1, 32, v1
	s_delay_alu instid0(VALU_DEP_1) | instskip(NEXT) | instid1(VALU_DEP_1)
	v_add_min_u32_e64 v1, v3, -1, v1
	v_lshlrev_b64_e32 v[6:7], v1, v[10:11]
	v_sub_nc_u32_e32 v1, 32, v1
	s_delay_alu instid0(VALU_DEP_2) | instskip(NEXT) | instid1(VALU_DEP_1)
	v_min_u32_e32 v3, 1, v6
	v_or_b32_e32 v3, v7, v3
	s_delay_alu instid0(VALU_DEP_1) | instskip(NEXT) | instid1(VALU_DEP_1)
	v_cvt_f32_i32_e32 v3, v3
	v_ldexp_f32 v1, v3, v1
	s_delay_alu instid0(VALU_DEP_1) | instskip(NEXT) | instid1(VALU_DEP_1)
	v_bfe_u32 v3, v1, 16, 1
	v_add3_u32 v1, v1, v3, 0x7fff
	global_store_d16_hi_b16 v[4:5], v1, off
.LBB199_1963:
	s_mov_b32 s3, 0
.LBB199_1964:
	s_delay_alu instid0(SALU_CYCLE_1)
	s_and_b32 vcc_lo, exec_lo, s3
	s_mov_b32 s3, 0
	s_cbranch_vccz .LBB199_1966
; %bb.1965:
	s_cmp_lg_u32 s2, 11
	s_mov_b32 s3, -1
	s_cselect_b32 s0, -1, 0
.LBB199_1966:
	s_delay_alu instid0(SALU_CYCLE_1)
	s_and_b32 vcc_lo, exec_lo, s0
	s_cbranch_vccnz .LBB199_2216
; %bb.1967:
	s_and_not1_b32 vcc_lo, exec_lo, s3
	s_cbranch_vccnz .LBB199_1969
.LBB199_1968:
	v_cmp_ne_u64_e32 vcc_lo, 0, v[10:11]
	s_mov_b32 s6, -1
	s_wait_xcnt 0x0
	v_cndmask_b32_e64 v1, 0, 1, vcc_lo
	global_store_b8 v[4:5], v1, off
.LBB199_1969:
	s_mov_b32 s0, 0
	s_branch .LBB199_1971
.LBB199_1970:
	s_mov_b32 s0, -1
	s_mov_b32 s6, 0
.LBB199_1971:
	s_and_b32 vcc_lo, exec_lo, s0
	s_cbranch_vccz .LBB199_2010
; %bb.1972:
	s_cmp_lt_i32 s2, 5
	s_mov_b32 s0, -1
	s_cbranch_scc1 .LBB199_1993
; %bb.1973:
	s_cmp_lt_i32 s2, 8
	s_cbranch_scc1 .LBB199_1983
; %bb.1974:
	s_cmp_lt_i32 s2, 9
	s_cbranch_scc1 .LBB199_1980
; %bb.1975:
	s_cmp_gt_i32 s2, 9
	s_cbranch_scc0 .LBB199_1977
; %bb.1976:
	s_wait_xcnt 0x0
	v_cvt_f64_i32_e32 v[6:7], v11
	v_cvt_f64_u32_e32 v[8:9], v10
	s_mov_b32 s0, 0
	s_delay_alu instid0(VALU_DEP_2) | instskip(NEXT) | instid1(VALU_DEP_1)
	v_ldexp_f64 v[6:7], v[6:7], 32
	v_dual_add_f64 v[6:7], v[6:7], v[8:9] :: v_dual_mov_b32 v8, 0
	s_delay_alu instid0(VALU_DEP_1)
	v_mov_b32_e32 v9, v8
	global_store_b128 v[4:5], v[6:9], off
.LBB199_1977:
	s_and_not1_b32 vcc_lo, exec_lo, s0
	s_cbranch_vccnz .LBB199_1979
; %bb.1978:
	s_wait_xcnt 0x0
	v_xor_b32_e32 v1, v10, v11
	v_cls_i32_e32 v3, v11
	s_delay_alu instid0(VALU_DEP_2) | instskip(NEXT) | instid1(VALU_DEP_1)
	v_ashrrev_i32_e32 v1, 31, v1
	v_add_nc_u32_e32 v1, 32, v1
	s_delay_alu instid0(VALU_DEP_1) | instskip(NEXT) | instid1(VALU_DEP_1)
	v_add_min_u32_e64 v1, v3, -1, v1
	v_lshlrev_b64_e32 v[6:7], v1, v[10:11]
	v_sub_nc_u32_e32 v1, 32, v1
	s_delay_alu instid0(VALU_DEP_2) | instskip(NEXT) | instid1(VALU_DEP_1)
	v_min_u32_e32 v3, 1, v6
	v_dual_mov_b32 v7, 0 :: v_dual_bitop2_b32 v3, v7, v3 bitop3:0x54
	s_delay_alu instid0(VALU_DEP_1) | instskip(NEXT) | instid1(VALU_DEP_1)
	v_cvt_f32_i32_e32 v3, v3
	v_ldexp_f32 v6, v3, v1
	global_store_b64 v[4:5], v[6:7], off
.LBB199_1979:
	s_mov_b32 s0, 0
.LBB199_1980:
	s_delay_alu instid0(SALU_CYCLE_1)
	s_and_not1_b32 vcc_lo, exec_lo, s0
	s_cbranch_vccnz .LBB199_1982
; %bb.1981:
	s_wait_xcnt 0x0
	v_xor_b32_e32 v1, v10, v11
	v_cls_i32_e32 v3, v11
	s_delay_alu instid0(VALU_DEP_2) | instskip(NEXT) | instid1(VALU_DEP_1)
	v_ashrrev_i32_e32 v1, 31, v1
	v_add_nc_u32_e32 v1, 32, v1
	s_delay_alu instid0(VALU_DEP_1) | instskip(NEXT) | instid1(VALU_DEP_1)
	v_add_min_u32_e64 v1, v3, -1, v1
	v_lshlrev_b64_e32 v[6:7], v1, v[10:11]
	v_sub_nc_u32_e32 v1, 32, v1
	s_delay_alu instid0(VALU_DEP_2) | instskip(NEXT) | instid1(VALU_DEP_1)
	v_min_u32_e32 v3, 1, v6
	v_or_b32_e32 v3, v7, v3
	s_delay_alu instid0(VALU_DEP_1) | instskip(NEXT) | instid1(VALU_DEP_1)
	v_cvt_f32_i32_e32 v3, v3
	v_ldexp_f32 v1, v3, v1
	s_delay_alu instid0(VALU_DEP_1) | instskip(NEXT) | instid1(VALU_DEP_1)
	v_cvt_f16_f32_e32 v1, v1
	v_and_b32_e32 v1, 0xffff, v1
	global_store_b32 v[4:5], v1, off
.LBB199_1982:
	s_mov_b32 s0, 0
.LBB199_1983:
	s_delay_alu instid0(SALU_CYCLE_1)
	s_and_not1_b32 vcc_lo, exec_lo, s0
	s_cbranch_vccnz .LBB199_1992
; %bb.1984:
	s_cmp_lt_i32 s2, 6
	s_mov_b32 s0, -1
	s_cbranch_scc1 .LBB199_1990
; %bb.1985:
	s_cmp_gt_i32 s2, 6
	s_cbranch_scc0 .LBB199_1987
; %bb.1986:
	s_wait_xcnt 0x0
	v_cvt_f64_i32_e32 v[6:7], v11
	v_cvt_f64_u32_e32 v[8:9], v10
	s_mov_b32 s0, 0
	s_delay_alu instid0(VALU_DEP_2) | instskip(NEXT) | instid1(VALU_DEP_1)
	v_ldexp_f64 v[6:7], v[6:7], 32
	v_add_f64_e32 v[6:7], v[6:7], v[8:9]
	global_store_b64 v[4:5], v[6:7], off
.LBB199_1987:
	s_and_not1_b32 vcc_lo, exec_lo, s0
	s_cbranch_vccnz .LBB199_1989
; %bb.1988:
	s_wait_xcnt 0x0
	v_xor_b32_e32 v1, v10, v11
	v_cls_i32_e32 v3, v11
	s_delay_alu instid0(VALU_DEP_2) | instskip(NEXT) | instid1(VALU_DEP_1)
	v_ashrrev_i32_e32 v1, 31, v1
	v_add_nc_u32_e32 v1, 32, v1
	s_delay_alu instid0(VALU_DEP_1) | instskip(NEXT) | instid1(VALU_DEP_1)
	v_add_min_u32_e64 v1, v3, -1, v1
	v_lshlrev_b64_e32 v[6:7], v1, v[10:11]
	v_sub_nc_u32_e32 v1, 32, v1
	s_delay_alu instid0(VALU_DEP_2) | instskip(NEXT) | instid1(VALU_DEP_1)
	v_min_u32_e32 v3, 1, v6
	v_or_b32_e32 v3, v7, v3
	s_delay_alu instid0(VALU_DEP_1) | instskip(NEXT) | instid1(VALU_DEP_1)
	v_cvt_f32_i32_e32 v3, v3
	v_ldexp_f32 v1, v3, v1
	global_store_b32 v[4:5], v1, off
.LBB199_1989:
	s_mov_b32 s0, 0
.LBB199_1990:
	s_delay_alu instid0(SALU_CYCLE_1)
	s_and_not1_b32 vcc_lo, exec_lo, s0
	s_cbranch_vccnz .LBB199_1992
; %bb.1991:
	s_wait_xcnt 0x0
	v_xor_b32_e32 v1, v10, v11
	v_cls_i32_e32 v3, v11
	s_delay_alu instid0(VALU_DEP_2) | instskip(NEXT) | instid1(VALU_DEP_1)
	v_ashrrev_i32_e32 v1, 31, v1
	v_add_nc_u32_e32 v1, 32, v1
	s_delay_alu instid0(VALU_DEP_1) | instskip(NEXT) | instid1(VALU_DEP_1)
	v_add_min_u32_e64 v1, v3, -1, v1
	v_lshlrev_b64_e32 v[6:7], v1, v[10:11]
	v_sub_nc_u32_e32 v1, 32, v1
	s_delay_alu instid0(VALU_DEP_2) | instskip(NEXT) | instid1(VALU_DEP_1)
	v_min_u32_e32 v3, 1, v6
	v_or_b32_e32 v3, v7, v3
	s_delay_alu instid0(VALU_DEP_1) | instskip(NEXT) | instid1(VALU_DEP_1)
	v_cvt_f32_i32_e32 v3, v3
	v_ldexp_f32 v1, v3, v1
	s_delay_alu instid0(VALU_DEP_1)
	v_cvt_f16_f32_e32 v1, v1
	global_store_b16 v[4:5], v1, off
.LBB199_1992:
	s_mov_b32 s0, 0
.LBB199_1993:
	s_delay_alu instid0(SALU_CYCLE_1)
	s_and_not1_b32 vcc_lo, exec_lo, s0
	s_cbranch_vccnz .LBB199_2009
; %bb.1994:
	s_cmp_lt_i32 s2, 2
	s_mov_b32 s0, -1
	s_cbranch_scc1 .LBB199_2004
; %bb.1995:
	s_cmp_lt_i32 s2, 3
	s_cbranch_scc1 .LBB199_2001
; %bb.1996:
	s_cmp_gt_i32 s2, 3
	s_cbranch_scc0 .LBB199_1998
; %bb.1997:
	s_mov_b32 s0, 0
	global_store_b64 v[4:5], v[10:11], off
.LBB199_1998:
	s_and_not1_b32 vcc_lo, exec_lo, s0
	s_cbranch_vccnz .LBB199_2000
; %bb.1999:
	global_store_b32 v[4:5], v10, off
.LBB199_2000:
	s_mov_b32 s0, 0
.LBB199_2001:
	s_delay_alu instid0(SALU_CYCLE_1)
	s_and_not1_b32 vcc_lo, exec_lo, s0
	s_cbranch_vccnz .LBB199_2003
; %bb.2002:
	global_store_b16 v[4:5], v10, off
.LBB199_2003:
	s_mov_b32 s0, 0
.LBB199_2004:
	s_delay_alu instid0(SALU_CYCLE_1)
	s_and_not1_b32 vcc_lo, exec_lo, s0
	s_cbranch_vccnz .LBB199_2009
; %bb.2005:
	s_cmp_gt_i32 s2, 0
	s_mov_b32 s0, -1
	s_cbranch_scc0 .LBB199_2007
; %bb.2006:
	s_mov_b32 s0, 0
	global_store_b8 v[4:5], v10, off
.LBB199_2007:
	s_and_not1_b32 vcc_lo, exec_lo, s0
	s_cbranch_vccnz .LBB199_2009
; %bb.2008:
	global_store_b8 v[4:5], v10, off
.LBB199_2009:
	s_mov_b32 s6, -1
.LBB199_2010:
	s_delay_alu instid0(SALU_CYCLE_1)
	s_and_not1_b32 vcc_lo, exec_lo, s6
	s_cbranch_vccnz .LBB199_2206
; %bb.2011:
	s_wait_xcnt 0x0
	v_mov_b32_e32 v3, 0
	s_cmp_lt_i32 s2, 11
	s_delay_alu instid0(VALU_DEP_1)
	v_add_nc_u64_e32 v[2:3], s[4:5], v[2:3]
	s_cbranch_scc1 .LBB199_2089
; %bb.2012:
	s_mov_b32 s7, -1
	s_mov_b32 s3, 0
	s_cmp_gt_i32 s2, 25
	s_mov_b32 s6, 0
	s_mov_b32 s0, 0
	s_cbranch_scc0 .LBB199_2045
; %bb.2013:
	s_cmp_gt_i32 s2, 28
	s_cbranch_scc0 .LBB199_2028
; %bb.2014:
	s_cmp_gt_i32 s2, 43
	s_cbranch_scc0 .LBB199_2024
; %bb.2015:
	s_cmp_gt_i32 s2, 45
	s_cbranch_scc0 .LBB199_2018
; %bb.2016:
	s_mov_b32 s0, -1
	s_mov_b32 s7, 0
	s_cmp_eq_u32 s2, 46
	s_cbranch_scc0 .LBB199_2018
; %bb.2017:
	v_xor_b32_e32 v1, v14, v15
	v_cls_i32_e32 v4, v15
	s_mov_b32 s6, -1
	s_mov_b32 s0, 0
	s_delay_alu instid0(VALU_DEP_2) | instskip(NEXT) | instid1(VALU_DEP_1)
	v_ashrrev_i32_e32 v1, 31, v1
	v_add_nc_u32_e32 v1, 32, v1
	s_delay_alu instid0(VALU_DEP_1) | instskip(NEXT) | instid1(VALU_DEP_1)
	v_add_min_u32_e64 v1, v4, -1, v1
	v_lshlrev_b64_e32 v[4:5], v1, v[14:15]
	v_sub_nc_u32_e32 v1, 32, v1
	s_delay_alu instid0(VALU_DEP_2) | instskip(NEXT) | instid1(VALU_DEP_1)
	v_min_u32_e32 v4, 1, v4
	v_or_b32_e32 v4, v5, v4
	s_delay_alu instid0(VALU_DEP_1) | instskip(NEXT) | instid1(VALU_DEP_1)
	v_cvt_f32_i32_e32 v4, v4
	v_ldexp_f32 v1, v4, v1
	s_delay_alu instid0(VALU_DEP_1) | instskip(NEXT) | instid1(VALU_DEP_1)
	v_bfe_u32 v4, v1, 16, 1
	v_add3_u32 v1, v1, v4, 0x7fff
	s_delay_alu instid0(VALU_DEP_1)
	v_lshrrev_b32_e32 v1, 16, v1
	global_store_b32 v[2:3], v1, off
.LBB199_2018:
	s_and_b32 vcc_lo, exec_lo, s7
	s_cbranch_vccz .LBB199_2023
; %bb.2019:
	s_cmp_eq_u32 s2, 44
	s_mov_b32 s0, -1
	s_cbranch_scc0 .LBB199_2023
; %bb.2020:
	s_wait_xcnt 0x0
	v_xor_b32_e32 v1, v14, v15
	v_cls_i32_e32 v4, v15
	s_mov_b32 s6, -1
	s_mov_b32 s7, exec_lo
	s_delay_alu instid0(VALU_DEP_2) | instskip(NEXT) | instid1(VALU_DEP_1)
	v_ashrrev_i32_e32 v1, 31, v1
	v_add_nc_u32_e32 v1, 32, v1
	s_delay_alu instid0(VALU_DEP_1) | instskip(NEXT) | instid1(VALU_DEP_1)
	v_add_min_u32_e64 v1, v4, -1, v1
	v_lshlrev_b64_e32 v[4:5], v1, v[14:15]
	v_sub_nc_u32_e32 v1, 32, v1
	s_delay_alu instid0(VALU_DEP_2) | instskip(NEXT) | instid1(VALU_DEP_1)
	v_min_u32_e32 v4, 1, v4
	v_or_b32_e32 v4, v5, v4
	s_delay_alu instid0(VALU_DEP_1) | instskip(NEXT) | instid1(VALU_DEP_1)
	v_cvt_f32_i32_e32 v4, v4
	v_ldexp_f32 v1, v4, v1
	v_mov_b32_e32 v4, 0xff
	s_delay_alu instid0(VALU_DEP_2) | instskip(NEXT) | instid1(VALU_DEP_1)
	v_bfe_u32 v5, v1, 23, 8
	v_cmpx_ne_u32_e32 0xff, v5
	s_cbranch_execz .LBB199_2022
; %bb.2021:
	v_and_b32_e32 v4, 0x400000, v1
	v_and_or_b32 v5, 0x3fffff, v1, v5
	v_lshrrev_b32_e32 v1, 23, v1
	s_delay_alu instid0(VALU_DEP_3) | instskip(NEXT) | instid1(VALU_DEP_3)
	v_cmp_ne_u32_e32 vcc_lo, 0, v4
	v_cmp_ne_u32_e64 s0, 0, v5
	s_and_b32 s0, vcc_lo, s0
	s_delay_alu instid0(SALU_CYCLE_1) | instskip(NEXT) | instid1(VALU_DEP_1)
	v_cndmask_b32_e64 v4, 0, 1, s0
	v_add_nc_u32_e32 v4, v1, v4
.LBB199_2022:
	s_or_b32 exec_lo, exec_lo, s7
	s_mov_b32 s0, 0
	global_store_b8 v[2:3], v4, off
.LBB199_2023:
	s_mov_b32 s7, 0
.LBB199_2024:
	s_delay_alu instid0(SALU_CYCLE_1)
	s_and_b32 vcc_lo, exec_lo, s7
	s_cbranch_vccz .LBB199_2027
; %bb.2025:
	s_cmp_eq_u32 s2, 29
	s_mov_b32 s0, -1
	s_cbranch_scc0 .LBB199_2027
; %bb.2026:
	s_mov_b32 s0, 0
	s_mov_b32 s6, -1
	global_store_b64 v[2:3], v[14:15], off
.LBB199_2027:
	s_mov_b32 s7, 0
.LBB199_2028:
	s_delay_alu instid0(SALU_CYCLE_1)
	s_and_b32 vcc_lo, exec_lo, s7
	s_cbranch_vccz .LBB199_2044
; %bb.2029:
	s_cmp_lt_i32 s2, 27
	s_mov_b32 s6, -1
	s_cbranch_scc1 .LBB199_2035
; %bb.2030:
	s_cmp_gt_i32 s2, 27
	s_cbranch_scc0 .LBB199_2032
; %bb.2031:
	s_mov_b32 s6, 0
	global_store_b32 v[2:3], v14, off
.LBB199_2032:
	s_and_not1_b32 vcc_lo, exec_lo, s6
	s_cbranch_vccnz .LBB199_2034
; %bb.2033:
	global_store_b16 v[2:3], v14, off
.LBB199_2034:
	s_mov_b32 s6, 0
.LBB199_2035:
	s_delay_alu instid0(SALU_CYCLE_1)
	s_and_not1_b32 vcc_lo, exec_lo, s6
	s_cbranch_vccnz .LBB199_2043
; %bb.2036:
	s_wait_xcnt 0x0
	v_xor_b32_e32 v1, v14, v15
	v_cls_i32_e32 v4, v15
	s_mov_b32 s6, exec_lo
	s_delay_alu instid0(VALU_DEP_2) | instskip(NEXT) | instid1(VALU_DEP_1)
	v_ashrrev_i32_e32 v1, 31, v1
	v_add_nc_u32_e32 v1, 32, v1
	s_delay_alu instid0(VALU_DEP_1) | instskip(NEXT) | instid1(VALU_DEP_1)
	v_add_min_u32_e64 v1, v4, -1, v1
	v_lshlrev_b64_e32 v[4:5], v1, v[14:15]
	v_sub_nc_u32_e32 v1, 32, v1
	s_delay_alu instid0(VALU_DEP_2) | instskip(NEXT) | instid1(VALU_DEP_1)
	v_min_u32_e32 v4, 1, v4
	v_or_b32_e32 v4, v5, v4
	v_mov_b32_e32 v5, 0x80
	s_delay_alu instid0(VALU_DEP_2) | instskip(NEXT) | instid1(VALU_DEP_1)
	v_cvt_f32_i32_e32 v4, v4
	v_ldexp_f32 v1, v4, v1
	s_delay_alu instid0(VALU_DEP_1) | instskip(NEXT) | instid1(VALU_DEP_1)
	v_and_b32_e32 v4, 0x7fffffff, v1
	v_cmpx_gt_u32_e32 0x43800000, v4
	s_cbranch_execz .LBB199_2042
; %bb.2037:
	v_cmp_lt_u32_e32 vcc_lo, 0x3bffffff, v4
	s_mov_b32 s7, 0
                                        ; implicit-def: $vgpr4
	s_and_saveexec_b32 s11, vcc_lo
	s_delay_alu instid0(SALU_CYCLE_1)
	s_xor_b32 s11, exec_lo, s11
	s_cbranch_execz .LBB199_2219
; %bb.2038:
	v_bfe_u32 v4, v1, 20, 1
	s_mov_b32 s7, exec_lo
	s_delay_alu instid0(VALU_DEP_1) | instskip(NEXT) | instid1(VALU_DEP_1)
	v_add3_u32 v4, v1, v4, 0x487ffff
	v_lshrrev_b32_e32 v4, 20, v4
	s_and_not1_saveexec_b32 s11, s11
	s_cbranch_execnz .LBB199_2220
.LBB199_2039:
	s_or_b32 exec_lo, exec_lo, s11
	v_mov_b32_e32 v5, 0
	s_and_saveexec_b32 s11, s7
.LBB199_2040:
	v_lshrrev_b32_e32 v1, 24, v1
	s_delay_alu instid0(VALU_DEP_1)
	v_and_or_b32 v5, 0x80, v1, v4
.LBB199_2041:
	s_or_b32 exec_lo, exec_lo, s11
.LBB199_2042:
	s_delay_alu instid0(SALU_CYCLE_1)
	s_or_b32 exec_lo, exec_lo, s6
	global_store_b8 v[2:3], v5, off
.LBB199_2043:
	s_mov_b32 s6, -1
.LBB199_2044:
	s_mov_b32 s7, 0
.LBB199_2045:
	s_delay_alu instid0(SALU_CYCLE_1)
	s_and_b32 vcc_lo, exec_lo, s7
	s_cbranch_vccz .LBB199_2085
; %bb.2046:
	s_cmp_gt_i32 s2, 22
	s_mov_b32 s3, -1
	s_cbranch_scc0 .LBB199_2078
; %bb.2047:
	s_cmp_lt_i32 s2, 24
	s_cbranch_scc1 .LBB199_2067
; %bb.2048:
	s_cmp_gt_i32 s2, 24
	s_cbranch_scc0 .LBB199_2056
; %bb.2049:
	s_wait_xcnt 0x0
	v_xor_b32_e32 v1, v14, v15
	v_cls_i32_e32 v4, v15
	s_mov_b32 s3, exec_lo
	s_delay_alu instid0(VALU_DEP_2) | instskip(NEXT) | instid1(VALU_DEP_1)
	v_ashrrev_i32_e32 v1, 31, v1
	v_add_nc_u32_e32 v1, 32, v1
	s_delay_alu instid0(VALU_DEP_1) | instskip(NEXT) | instid1(VALU_DEP_1)
	v_add_min_u32_e64 v1, v4, -1, v1
	v_lshlrev_b64_e32 v[4:5], v1, v[14:15]
	v_sub_nc_u32_e32 v1, 32, v1
	s_delay_alu instid0(VALU_DEP_2) | instskip(NEXT) | instid1(VALU_DEP_1)
	v_min_u32_e32 v4, 1, v4
	v_or_b32_e32 v4, v5, v4
	v_mov_b32_e32 v5, 0x80
	s_delay_alu instid0(VALU_DEP_2) | instskip(NEXT) | instid1(VALU_DEP_1)
	v_cvt_f32_i32_e32 v4, v4
	v_ldexp_f32 v1, v4, v1
	s_delay_alu instid0(VALU_DEP_1) | instskip(NEXT) | instid1(VALU_DEP_1)
	v_and_b32_e32 v4, 0x7fffffff, v1
	v_cmpx_gt_u32_e32 0x47800000, v4
	s_cbranch_execz .LBB199_2055
; %bb.2050:
	v_cmp_lt_u32_e32 vcc_lo, 0x37ffffff, v4
	s_mov_b32 s6, 0
                                        ; implicit-def: $vgpr4
	s_and_saveexec_b32 s7, vcc_lo
	s_delay_alu instid0(SALU_CYCLE_1)
	s_xor_b32 s7, exec_lo, s7
	s_cbranch_execz .LBB199_2222
; %bb.2051:
	v_bfe_u32 v4, v1, 21, 1
	s_mov_b32 s6, exec_lo
	s_delay_alu instid0(VALU_DEP_1) | instskip(NEXT) | instid1(VALU_DEP_1)
	v_add3_u32 v4, v1, v4, 0x88fffff
	v_lshrrev_b32_e32 v4, 21, v4
	s_and_not1_saveexec_b32 s7, s7
	s_cbranch_execnz .LBB199_2223
.LBB199_2052:
	s_or_b32 exec_lo, exec_lo, s7
	v_mov_b32_e32 v5, 0
	s_and_saveexec_b32 s7, s6
.LBB199_2053:
	v_lshrrev_b32_e32 v1, 24, v1
	s_delay_alu instid0(VALU_DEP_1)
	v_and_or_b32 v5, 0x80, v1, v4
.LBB199_2054:
	s_or_b32 exec_lo, exec_lo, s7
.LBB199_2055:
	s_delay_alu instid0(SALU_CYCLE_1)
	s_or_b32 exec_lo, exec_lo, s3
	s_mov_b32 s3, 0
	global_store_b8 v[2:3], v5, off
.LBB199_2056:
	s_and_b32 vcc_lo, exec_lo, s3
	s_cbranch_vccz .LBB199_2066
; %bb.2057:
	s_wait_xcnt 0x0
	v_xor_b32_e32 v1, v14, v15
	v_cls_i32_e32 v4, v15
	s_mov_b32 s3, exec_lo
	s_delay_alu instid0(VALU_DEP_2) | instskip(NEXT) | instid1(VALU_DEP_1)
	v_ashrrev_i32_e32 v1, 31, v1
	v_add_nc_u32_e32 v1, 32, v1
	s_delay_alu instid0(VALU_DEP_1) | instskip(NEXT) | instid1(VALU_DEP_1)
	v_add_min_u32_e64 v1, v4, -1, v1
	v_lshlrev_b64_e32 v[4:5], v1, v[14:15]
	v_sub_nc_u32_e32 v1, 32, v1
	s_delay_alu instid0(VALU_DEP_2) | instskip(NEXT) | instid1(VALU_DEP_1)
	v_min_u32_e32 v4, 1, v4
	v_or_b32_e32 v4, v5, v4
	s_delay_alu instid0(VALU_DEP_1) | instskip(NEXT) | instid1(VALU_DEP_1)
	v_cvt_f32_i32_e32 v4, v4
	v_ldexp_f32 v1, v4, v1
                                        ; implicit-def: $vgpr4
	s_delay_alu instid0(VALU_DEP_1) | instskip(NEXT) | instid1(VALU_DEP_1)
	v_and_b32_e32 v5, 0x7fffffff, v1
	v_cmpx_gt_u32_e32 0x43f00000, v5
	s_xor_b32 s3, exec_lo, s3
	s_cbranch_execz .LBB199_2063
; %bb.2058:
	s_mov_b32 s6, exec_lo
                                        ; implicit-def: $vgpr4
	v_cmpx_lt_u32_e32 0x3c7fffff, v5
	s_xor_b32 s6, exec_lo, s6
; %bb.2059:
	v_bfe_u32 v4, v1, 20, 1
	s_delay_alu instid0(VALU_DEP_1) | instskip(NEXT) | instid1(VALU_DEP_1)
	v_add3_u32 v4, v1, v4, 0x407ffff
	v_and_b32_e32 v5, 0xff00000, v4
	v_lshrrev_b32_e32 v4, 20, v4
	s_delay_alu instid0(VALU_DEP_2) | instskip(NEXT) | instid1(VALU_DEP_2)
	v_cmp_ne_u32_e32 vcc_lo, 0x7f00000, v5
	v_cndmask_b32_e32 v4, 0x7e, v4, vcc_lo
; %bb.2060:
	s_and_not1_saveexec_b32 s6, s6
; %bb.2061:
	v_add_f32_e64 v4, 0x46800000, |v1|
; %bb.2062:
	s_or_b32 exec_lo, exec_lo, s6
                                        ; implicit-def: $vgpr5
.LBB199_2063:
	s_and_not1_saveexec_b32 s3, s3
; %bb.2064:
	v_mov_b32_e32 v4, 0x7f
	v_cmp_lt_u32_e32 vcc_lo, 0x7f800000, v5
	s_delay_alu instid0(VALU_DEP_2)
	v_cndmask_b32_e32 v4, 0x7e, v4, vcc_lo
; %bb.2065:
	s_or_b32 exec_lo, exec_lo, s3
	v_lshrrev_b32_e32 v1, 24, v1
	s_delay_alu instid0(VALU_DEP_1)
	v_and_or_b32 v1, 0x80, v1, v4
	global_store_b8 v[2:3], v1, off
.LBB199_2066:
	s_mov_b32 s3, 0
.LBB199_2067:
	s_delay_alu instid0(SALU_CYCLE_1)
	s_and_not1_b32 vcc_lo, exec_lo, s3
	s_cbranch_vccnz .LBB199_2077
; %bb.2068:
	s_wait_xcnt 0x0
	v_xor_b32_e32 v1, v14, v15
	v_cls_i32_e32 v4, v15
	s_mov_b32 s3, exec_lo
	s_delay_alu instid0(VALU_DEP_2) | instskip(NEXT) | instid1(VALU_DEP_1)
	v_ashrrev_i32_e32 v1, 31, v1
	v_add_nc_u32_e32 v1, 32, v1
	s_delay_alu instid0(VALU_DEP_1) | instskip(NEXT) | instid1(VALU_DEP_1)
	v_add_min_u32_e64 v1, v4, -1, v1
	v_lshlrev_b64_e32 v[4:5], v1, v[14:15]
	v_sub_nc_u32_e32 v1, 32, v1
	s_delay_alu instid0(VALU_DEP_2) | instskip(NEXT) | instid1(VALU_DEP_1)
	v_min_u32_e32 v4, 1, v4
	v_or_b32_e32 v4, v5, v4
	s_delay_alu instid0(VALU_DEP_1) | instskip(NEXT) | instid1(VALU_DEP_1)
	v_cvt_f32_i32_e32 v4, v4
	v_ldexp_f32 v1, v4, v1
                                        ; implicit-def: $vgpr4
	s_delay_alu instid0(VALU_DEP_1) | instskip(NEXT) | instid1(VALU_DEP_1)
	v_and_b32_e32 v5, 0x7fffffff, v1
	v_cmpx_gt_u32_e32 0x47800000, v5
	s_xor_b32 s3, exec_lo, s3
	s_cbranch_execz .LBB199_2074
; %bb.2069:
	s_mov_b32 s6, exec_lo
                                        ; implicit-def: $vgpr4
	v_cmpx_lt_u32_e32 0x387fffff, v5
	s_xor_b32 s6, exec_lo, s6
; %bb.2070:
	v_bfe_u32 v4, v1, 21, 1
	s_delay_alu instid0(VALU_DEP_1) | instskip(NEXT) | instid1(VALU_DEP_1)
	v_add3_u32 v4, v1, v4, 0x80fffff
	v_lshrrev_b32_e32 v4, 21, v4
; %bb.2071:
	s_and_not1_saveexec_b32 s6, s6
; %bb.2072:
	v_add_f32_e64 v4, 0x43000000, |v1|
; %bb.2073:
	s_or_b32 exec_lo, exec_lo, s6
                                        ; implicit-def: $vgpr5
.LBB199_2074:
	s_and_not1_saveexec_b32 s3, s3
; %bb.2075:
	v_mov_b32_e32 v4, 0x7f
	v_cmp_lt_u32_e32 vcc_lo, 0x7f800000, v5
	s_delay_alu instid0(VALU_DEP_2)
	v_cndmask_b32_e32 v4, 0x7c, v4, vcc_lo
; %bb.2076:
	s_or_b32 exec_lo, exec_lo, s3
	v_lshrrev_b32_e32 v1, 24, v1
	s_delay_alu instid0(VALU_DEP_1)
	v_and_or_b32 v1, 0x80, v1, v4
	global_store_b8 v[2:3], v1, off
.LBB199_2077:
	s_mov_b32 s3, 0
	s_mov_b32 s6, -1
.LBB199_2078:
	s_and_not1_b32 vcc_lo, exec_lo, s3
	s_mov_b32 s3, 0
	s_cbranch_vccnz .LBB199_2085
; %bb.2079:
	s_cmp_gt_i32 s2, 14
	s_mov_b32 s3, -1
	s_cbranch_scc0 .LBB199_2083
; %bb.2080:
	s_cmp_eq_u32 s2, 15
	s_mov_b32 s0, -1
	s_cbranch_scc0 .LBB199_2082
; %bb.2081:
	s_wait_xcnt 0x0
	v_xor_b32_e32 v1, v14, v15
	v_cls_i32_e32 v4, v15
	s_mov_b32 s6, -1
	s_mov_b32 s0, 0
	s_delay_alu instid0(VALU_DEP_2) | instskip(NEXT) | instid1(VALU_DEP_1)
	v_ashrrev_i32_e32 v1, 31, v1
	v_add_nc_u32_e32 v1, 32, v1
	s_delay_alu instid0(VALU_DEP_1) | instskip(NEXT) | instid1(VALU_DEP_1)
	v_add_min_u32_e64 v1, v4, -1, v1
	v_lshlrev_b64_e32 v[4:5], v1, v[14:15]
	v_sub_nc_u32_e32 v1, 32, v1
	s_delay_alu instid0(VALU_DEP_2) | instskip(NEXT) | instid1(VALU_DEP_1)
	v_min_u32_e32 v4, 1, v4
	v_or_b32_e32 v4, v5, v4
	s_delay_alu instid0(VALU_DEP_1) | instskip(NEXT) | instid1(VALU_DEP_1)
	v_cvt_f32_i32_e32 v4, v4
	v_ldexp_f32 v1, v4, v1
	s_delay_alu instid0(VALU_DEP_1) | instskip(NEXT) | instid1(VALU_DEP_1)
	v_bfe_u32 v4, v1, 16, 1
	v_add3_u32 v1, v1, v4, 0x7fff
	global_store_d16_hi_b16 v[2:3], v1, off
.LBB199_2082:
	s_mov_b32 s3, 0
.LBB199_2083:
	s_delay_alu instid0(SALU_CYCLE_1)
	s_and_b32 vcc_lo, exec_lo, s3
	s_mov_b32 s3, 0
	s_cbranch_vccz .LBB199_2085
; %bb.2084:
	s_cmp_lg_u32 s2, 11
	s_mov_b32 s3, -1
	s_cselect_b32 s0, -1, 0
.LBB199_2085:
	s_delay_alu instid0(SALU_CYCLE_1)
	s_and_b32 vcc_lo, exec_lo, s0
	s_cbranch_vccnz .LBB199_2221
; %bb.2086:
	s_and_not1_b32 vcc_lo, exec_lo, s3
	s_cbranch_vccnz .LBB199_2088
.LBB199_2087:
	v_cmp_ne_u64_e32 vcc_lo, 0, v[14:15]
	s_mov_b32 s6, -1
	s_wait_xcnt 0x0
	v_cndmask_b32_e64 v1, 0, 1, vcc_lo
	global_store_b8 v[2:3], v1, off
.LBB199_2088:
	s_mov_b32 s0, 0
	s_branch .LBB199_2090
.LBB199_2089:
	s_mov_b32 s0, -1
	s_mov_b32 s6, 0
.LBB199_2090:
	s_and_b32 vcc_lo, exec_lo, s0
	s_cbranch_vccz .LBB199_2129
; %bb.2091:
	s_cmp_lt_i32 s2, 5
	s_mov_b32 s0, -1
	s_cbranch_scc1 .LBB199_2112
; %bb.2092:
	s_cmp_lt_i32 s2, 8
	s_cbranch_scc1 .LBB199_2102
; %bb.2093:
	s_cmp_lt_i32 s2, 9
	s_cbranch_scc1 .LBB199_2099
; %bb.2094:
	s_cmp_gt_i32 s2, 9
	s_cbranch_scc0 .LBB199_2096
; %bb.2095:
	s_wait_xcnt 0x0
	v_cvt_f64_i32_e32 v[4:5], v15
	v_cvt_f64_u32_e32 v[6:7], v14
	s_mov_b32 s0, 0
	s_delay_alu instid0(VALU_DEP_2) | instskip(NEXT) | instid1(VALU_DEP_1)
	v_ldexp_f64 v[4:5], v[4:5], 32
	v_dual_add_f64 v[4:5], v[4:5], v[6:7] :: v_dual_mov_b32 v6, 0
	s_delay_alu instid0(VALU_DEP_1)
	v_mov_b32_e32 v7, v6
	global_store_b128 v[2:3], v[4:7], off
.LBB199_2096:
	s_and_not1_b32 vcc_lo, exec_lo, s0
	s_cbranch_vccnz .LBB199_2098
; %bb.2097:
	s_wait_xcnt 0x0
	v_xor_b32_e32 v1, v14, v15
	v_cls_i32_e32 v4, v15
	s_delay_alu instid0(VALU_DEP_2) | instskip(NEXT) | instid1(VALU_DEP_1)
	v_ashrrev_i32_e32 v1, 31, v1
	v_add_nc_u32_e32 v1, 32, v1
	s_delay_alu instid0(VALU_DEP_1) | instskip(NEXT) | instid1(VALU_DEP_1)
	v_add_min_u32_e64 v1, v4, -1, v1
	v_lshlrev_b64_e32 v[4:5], v1, v[14:15]
	v_sub_nc_u32_e32 v1, 32, v1
	s_delay_alu instid0(VALU_DEP_2) | instskip(NEXT) | instid1(VALU_DEP_1)
	v_min_u32_e32 v4, 1, v4
	v_dual_mov_b32 v5, 0 :: v_dual_bitop2_b32 v4, v5, v4 bitop3:0x54
	s_delay_alu instid0(VALU_DEP_1) | instskip(NEXT) | instid1(VALU_DEP_1)
	v_cvt_f32_i32_e32 v4, v4
	v_ldexp_f32 v4, v4, v1
	global_store_b64 v[2:3], v[4:5], off
.LBB199_2098:
	s_mov_b32 s0, 0
.LBB199_2099:
	s_delay_alu instid0(SALU_CYCLE_1)
	s_and_not1_b32 vcc_lo, exec_lo, s0
	s_cbranch_vccnz .LBB199_2101
; %bb.2100:
	s_wait_xcnt 0x0
	v_xor_b32_e32 v1, v14, v15
	v_cls_i32_e32 v4, v15
	s_delay_alu instid0(VALU_DEP_2) | instskip(NEXT) | instid1(VALU_DEP_1)
	v_ashrrev_i32_e32 v1, 31, v1
	v_add_nc_u32_e32 v1, 32, v1
	s_delay_alu instid0(VALU_DEP_1) | instskip(NEXT) | instid1(VALU_DEP_1)
	v_add_min_u32_e64 v1, v4, -1, v1
	v_lshlrev_b64_e32 v[4:5], v1, v[14:15]
	v_sub_nc_u32_e32 v1, 32, v1
	s_delay_alu instid0(VALU_DEP_2) | instskip(NEXT) | instid1(VALU_DEP_1)
	v_min_u32_e32 v4, 1, v4
	v_or_b32_e32 v4, v5, v4
	s_delay_alu instid0(VALU_DEP_1) | instskip(NEXT) | instid1(VALU_DEP_1)
	v_cvt_f32_i32_e32 v4, v4
	v_ldexp_f32 v1, v4, v1
	s_delay_alu instid0(VALU_DEP_1) | instskip(NEXT) | instid1(VALU_DEP_1)
	v_cvt_f16_f32_e32 v1, v1
	v_and_b32_e32 v1, 0xffff, v1
	global_store_b32 v[2:3], v1, off
.LBB199_2101:
	s_mov_b32 s0, 0
.LBB199_2102:
	s_delay_alu instid0(SALU_CYCLE_1)
	s_and_not1_b32 vcc_lo, exec_lo, s0
	s_cbranch_vccnz .LBB199_2111
; %bb.2103:
	s_cmp_lt_i32 s2, 6
	s_mov_b32 s0, -1
	s_cbranch_scc1 .LBB199_2109
; %bb.2104:
	s_cmp_gt_i32 s2, 6
	s_cbranch_scc0 .LBB199_2106
; %bb.2105:
	s_wait_xcnt 0x0
	v_cvt_f64_i32_e32 v[4:5], v15
	v_cvt_f64_u32_e32 v[6:7], v14
	s_mov_b32 s0, 0
	s_delay_alu instid0(VALU_DEP_2) | instskip(NEXT) | instid1(VALU_DEP_1)
	v_ldexp_f64 v[4:5], v[4:5], 32
	v_add_f64_e32 v[4:5], v[4:5], v[6:7]
	global_store_b64 v[2:3], v[4:5], off
.LBB199_2106:
	s_and_not1_b32 vcc_lo, exec_lo, s0
	s_cbranch_vccnz .LBB199_2108
; %bb.2107:
	s_wait_xcnt 0x0
	v_xor_b32_e32 v1, v14, v15
	v_cls_i32_e32 v4, v15
	s_delay_alu instid0(VALU_DEP_2) | instskip(NEXT) | instid1(VALU_DEP_1)
	v_ashrrev_i32_e32 v1, 31, v1
	v_add_nc_u32_e32 v1, 32, v1
	s_delay_alu instid0(VALU_DEP_1) | instskip(NEXT) | instid1(VALU_DEP_1)
	v_add_min_u32_e64 v1, v4, -1, v1
	v_lshlrev_b64_e32 v[4:5], v1, v[14:15]
	v_sub_nc_u32_e32 v1, 32, v1
	s_delay_alu instid0(VALU_DEP_2) | instskip(NEXT) | instid1(VALU_DEP_1)
	v_min_u32_e32 v4, 1, v4
	v_or_b32_e32 v4, v5, v4
	s_delay_alu instid0(VALU_DEP_1) | instskip(NEXT) | instid1(VALU_DEP_1)
	v_cvt_f32_i32_e32 v4, v4
	v_ldexp_f32 v1, v4, v1
	global_store_b32 v[2:3], v1, off
.LBB199_2108:
	s_mov_b32 s0, 0
.LBB199_2109:
	s_delay_alu instid0(SALU_CYCLE_1)
	s_and_not1_b32 vcc_lo, exec_lo, s0
	s_cbranch_vccnz .LBB199_2111
; %bb.2110:
	s_wait_xcnt 0x0
	v_xor_b32_e32 v1, v14, v15
	v_cls_i32_e32 v4, v15
	s_delay_alu instid0(VALU_DEP_2) | instskip(NEXT) | instid1(VALU_DEP_1)
	v_ashrrev_i32_e32 v1, 31, v1
	v_add_nc_u32_e32 v1, 32, v1
	s_delay_alu instid0(VALU_DEP_1) | instskip(NEXT) | instid1(VALU_DEP_1)
	v_add_min_u32_e64 v1, v4, -1, v1
	v_lshlrev_b64_e32 v[4:5], v1, v[14:15]
	v_sub_nc_u32_e32 v1, 32, v1
	s_delay_alu instid0(VALU_DEP_2) | instskip(NEXT) | instid1(VALU_DEP_1)
	v_min_u32_e32 v4, 1, v4
	v_or_b32_e32 v4, v5, v4
	s_delay_alu instid0(VALU_DEP_1) | instskip(NEXT) | instid1(VALU_DEP_1)
	v_cvt_f32_i32_e32 v4, v4
	v_ldexp_f32 v1, v4, v1
	s_delay_alu instid0(VALU_DEP_1)
	v_cvt_f16_f32_e32 v1, v1
	global_store_b16 v[2:3], v1, off
.LBB199_2111:
	s_mov_b32 s0, 0
.LBB199_2112:
	s_delay_alu instid0(SALU_CYCLE_1)
	s_and_not1_b32 vcc_lo, exec_lo, s0
	s_cbranch_vccnz .LBB199_2128
; %bb.2113:
	s_cmp_lt_i32 s2, 2
	s_mov_b32 s0, -1
	s_cbranch_scc1 .LBB199_2123
; %bb.2114:
	s_cmp_lt_i32 s2, 3
	s_cbranch_scc1 .LBB199_2120
; %bb.2115:
	s_cmp_gt_i32 s2, 3
	s_cbranch_scc0 .LBB199_2117
; %bb.2116:
	s_mov_b32 s0, 0
	global_store_b64 v[2:3], v[14:15], off
.LBB199_2117:
	s_and_not1_b32 vcc_lo, exec_lo, s0
	s_cbranch_vccnz .LBB199_2119
; %bb.2118:
	global_store_b32 v[2:3], v14, off
.LBB199_2119:
	s_mov_b32 s0, 0
.LBB199_2120:
	s_delay_alu instid0(SALU_CYCLE_1)
	s_and_not1_b32 vcc_lo, exec_lo, s0
	s_cbranch_vccnz .LBB199_2122
; %bb.2121:
	global_store_b16 v[2:3], v14, off
.LBB199_2122:
	s_mov_b32 s0, 0
.LBB199_2123:
	s_delay_alu instid0(SALU_CYCLE_1)
	s_and_not1_b32 vcc_lo, exec_lo, s0
	s_cbranch_vccnz .LBB199_2128
; %bb.2124:
	s_cmp_gt_i32 s2, 0
	s_mov_b32 s0, -1
	s_cbranch_scc0 .LBB199_2126
; %bb.2125:
	s_mov_b32 s0, 0
	global_store_b8 v[2:3], v14, off
.LBB199_2126:
	s_and_not1_b32 vcc_lo, exec_lo, s0
	s_cbranch_vccnz .LBB199_2128
; %bb.2127:
	global_store_b8 v[2:3], v14, off
.LBB199_2128:
	s_mov_b32 s6, -1
.LBB199_2129:
	s_delay_alu instid0(SALU_CYCLE_1)
	s_and_not1_b32 vcc_lo, exec_lo, s6
	s_cbranch_vccnz .LBB199_2206
; %bb.2130:
	s_wait_xcnt 0x0
	v_mov_b32_e32 v1, 0
	s_cmp_lt_i32 s2, 11
	s_delay_alu instid0(VALU_DEP_1)
	v_add_nc_u64_e32 v[2:3], s[4:5], v[0:1]
	s_cbranch_scc1 .LBB199_2207
; %bb.2131:
	s_mov_b32 s4, -1
	s_mov_b32 s3, 0
	s_cmp_gt_i32 s2, 25
	s_mov_b32 s0, 0
	s_cbranch_scc0 .LBB199_2164
; %bb.2132:
	s_cmp_gt_i32 s2, 28
	s_cbranch_scc0 .LBB199_2148
; %bb.2133:
	s_cmp_gt_i32 s2, 43
	;; [unrolled: 3-line block ×3, first 2 shown]
	s_cbranch_scc0 .LBB199_2138
; %bb.2135:
	s_cmp_eq_u32 s2, 46
	s_mov_b32 s0, -1
	s_cbranch_scc0 .LBB199_2137
; %bb.2136:
	v_xor_b32_e32 v0, v12, v13
	v_cls_i32_e32 v1, v13
	s_mov_b32 s0, 0
	s_delay_alu instid0(VALU_DEP_2) | instskip(NEXT) | instid1(VALU_DEP_1)
	v_ashrrev_i32_e32 v0, 31, v0
	v_add_nc_u32_e32 v0, 32, v0
	s_delay_alu instid0(VALU_DEP_1) | instskip(NEXT) | instid1(VALU_DEP_1)
	v_add_min_u32_e64 v4, v1, -1, v0
	v_lshlrev_b64_e32 v[0:1], v4, v[12:13]
	s_delay_alu instid0(VALU_DEP_1) | instskip(NEXT) | instid1(VALU_DEP_1)
	v_min_u32_e32 v0, 1, v0
	v_or_b32_e32 v0, v1, v0
	v_sub_nc_u32_e32 v1, 32, v4
	s_delay_alu instid0(VALU_DEP_2) | instskip(NEXT) | instid1(VALU_DEP_1)
	v_cvt_f32_i32_e32 v0, v0
	v_ldexp_f32 v0, v0, v1
	s_delay_alu instid0(VALU_DEP_1) | instskip(NEXT) | instid1(VALU_DEP_1)
	v_bfe_u32 v1, v0, 16, 1
	v_add3_u32 v0, v0, v1, 0x7fff
	s_delay_alu instid0(VALU_DEP_1)
	v_lshrrev_b32_e32 v0, 16, v0
	global_store_b32 v[2:3], v0, off
.LBB199_2137:
	s_mov_b32 s4, 0
.LBB199_2138:
	s_delay_alu instid0(SALU_CYCLE_1)
	s_and_b32 vcc_lo, exec_lo, s4
	s_cbranch_vccz .LBB199_2143
; %bb.2139:
	s_cmp_eq_u32 s2, 44
	s_mov_b32 s0, -1
	s_cbranch_scc0 .LBB199_2143
; %bb.2140:
	s_wait_xcnt 0x0
	v_xor_b32_e32 v0, v12, v13
	v_cls_i32_e32 v1, v13
	s_mov_b32 s4, exec_lo
	s_delay_alu instid0(VALU_DEP_2) | instskip(NEXT) | instid1(VALU_DEP_1)
	v_ashrrev_i32_e32 v0, 31, v0
	v_add_nc_u32_e32 v0, 32, v0
	s_delay_alu instid0(VALU_DEP_1) | instskip(NEXT) | instid1(VALU_DEP_1)
	v_add_min_u32_e64 v4, v1, -1, v0
	v_lshlrev_b64_e32 v[0:1], v4, v[12:13]
	s_delay_alu instid0(VALU_DEP_1) | instskip(NEXT) | instid1(VALU_DEP_1)
	v_min_u32_e32 v0, 1, v0
	v_or_b32_e32 v0, v1, v0
	v_sub_nc_u32_e32 v1, 32, v4
	s_delay_alu instid0(VALU_DEP_2) | instskip(NEXT) | instid1(VALU_DEP_1)
	v_cvt_f32_i32_e32 v0, v0
	v_ldexp_f32 v0, v0, v1
	v_mov_b32_e32 v1, 0xff
	s_delay_alu instid0(VALU_DEP_2) | instskip(NEXT) | instid1(VALU_DEP_1)
	v_bfe_u32 v4, v0, 23, 8
	v_cmpx_ne_u32_e32 0xff, v4
	s_cbranch_execz .LBB199_2142
; %bb.2141:
	v_and_b32_e32 v1, 0x400000, v0
	v_and_or_b32 v4, 0x3fffff, v0, v4
	v_lshrrev_b32_e32 v0, 23, v0
	s_delay_alu instid0(VALU_DEP_3) | instskip(NEXT) | instid1(VALU_DEP_3)
	v_cmp_ne_u32_e32 vcc_lo, 0, v1
	v_cmp_ne_u32_e64 s0, 0, v4
	s_and_b32 s0, vcc_lo, s0
	s_delay_alu instid0(SALU_CYCLE_1) | instskip(NEXT) | instid1(VALU_DEP_1)
	v_cndmask_b32_e64 v1, 0, 1, s0
	v_add_nc_u32_e32 v1, v0, v1
.LBB199_2142:
	s_or_b32 exec_lo, exec_lo, s4
	s_mov_b32 s0, 0
	global_store_b8 v[2:3], v1, off
.LBB199_2143:
	s_mov_b32 s4, 0
.LBB199_2144:
	s_delay_alu instid0(SALU_CYCLE_1)
	s_and_b32 vcc_lo, exec_lo, s4
	s_cbranch_vccz .LBB199_2147
; %bb.2145:
	s_cmp_eq_u32 s2, 29
	s_mov_b32 s0, -1
	s_cbranch_scc0 .LBB199_2147
; %bb.2146:
	s_mov_b32 s0, 0
	global_store_b64 v[2:3], v[12:13], off
.LBB199_2147:
	s_mov_b32 s4, 0
.LBB199_2148:
	s_delay_alu instid0(SALU_CYCLE_1)
	s_and_b32 vcc_lo, exec_lo, s4
	s_cbranch_vccz .LBB199_2163
; %bb.2149:
	s_cmp_lt_i32 s2, 27
	s_mov_b32 s4, -1
	s_cbranch_scc1 .LBB199_2155
; %bb.2150:
	s_cmp_gt_i32 s2, 27
	s_cbranch_scc0 .LBB199_2152
; %bb.2151:
	s_mov_b32 s4, 0
	global_store_b32 v[2:3], v12, off
.LBB199_2152:
	s_and_not1_b32 vcc_lo, exec_lo, s4
	s_cbranch_vccnz .LBB199_2154
; %bb.2153:
	global_store_b16 v[2:3], v12, off
.LBB199_2154:
	s_mov_b32 s4, 0
.LBB199_2155:
	s_delay_alu instid0(SALU_CYCLE_1)
	s_and_not1_b32 vcc_lo, exec_lo, s4
	s_cbranch_vccnz .LBB199_2163
; %bb.2156:
	s_wait_xcnt 0x0
	v_xor_b32_e32 v0, v12, v13
	v_cls_i32_e32 v1, v13
	s_mov_b32 s4, exec_lo
	s_delay_alu instid0(VALU_DEP_2) | instskip(NEXT) | instid1(VALU_DEP_1)
	v_ashrrev_i32_e32 v0, 31, v0
	v_add_nc_u32_e32 v0, 32, v0
	s_delay_alu instid0(VALU_DEP_1) | instskip(NEXT) | instid1(VALU_DEP_1)
	v_add_min_u32_e64 v4, v1, -1, v0
	v_lshlrev_b64_e32 v[0:1], v4, v[12:13]
	s_delay_alu instid0(VALU_DEP_1) | instskip(NEXT) | instid1(VALU_DEP_1)
	v_min_u32_e32 v0, 1, v0
	v_or_b32_e32 v0, v1, v0
	v_dual_mov_b32 v4, 0x80 :: v_dual_sub_nc_u32 v1, 32, v4
	s_delay_alu instid0(VALU_DEP_2) | instskip(NEXT) | instid1(VALU_DEP_1)
	v_cvt_f32_i32_e32 v0, v0
	v_ldexp_f32 v0, v0, v1
	s_delay_alu instid0(VALU_DEP_1) | instskip(NEXT) | instid1(VALU_DEP_1)
	v_and_b32_e32 v1, 0x7fffffff, v0
	v_cmpx_gt_u32_e32 0x43800000, v1
	s_cbranch_execz .LBB199_2162
; %bb.2157:
	v_cmp_lt_u32_e32 vcc_lo, 0x3bffffff, v1
	s_mov_b32 s5, 0
                                        ; implicit-def: $vgpr1
	s_and_saveexec_b32 s6, vcc_lo
	s_delay_alu instid0(SALU_CYCLE_1)
	s_xor_b32 s6, exec_lo, s6
	s_cbranch_execz .LBB199_2224
; %bb.2158:
	v_bfe_u32 v1, v0, 20, 1
	s_mov_b32 s5, exec_lo
	s_delay_alu instid0(VALU_DEP_1) | instskip(NEXT) | instid1(VALU_DEP_1)
	v_add3_u32 v1, v0, v1, 0x487ffff
	v_lshrrev_b32_e32 v1, 20, v1
	s_and_not1_saveexec_b32 s6, s6
	s_cbranch_execnz .LBB199_2225
.LBB199_2159:
	s_or_b32 exec_lo, exec_lo, s6
	v_mov_b32_e32 v4, 0
	s_and_saveexec_b32 s6, s5
.LBB199_2160:
	v_lshrrev_b32_e32 v0, 24, v0
	s_delay_alu instid0(VALU_DEP_1)
	v_and_or_b32 v4, 0x80, v0, v1
.LBB199_2161:
	s_or_b32 exec_lo, exec_lo, s6
.LBB199_2162:
	s_delay_alu instid0(SALU_CYCLE_1)
	s_or_b32 exec_lo, exec_lo, s4
	global_store_b8 v[2:3], v4, off
.LBB199_2163:
	s_mov_b32 s4, 0
.LBB199_2164:
	s_delay_alu instid0(SALU_CYCLE_1)
	s_and_b32 vcc_lo, exec_lo, s4
	s_cbranch_vccz .LBB199_2204
; %bb.2165:
	s_cmp_gt_i32 s2, 22
	s_mov_b32 s3, -1
	s_cbranch_scc0 .LBB199_2197
; %bb.2166:
	s_cmp_lt_i32 s2, 24
	s_cbranch_scc1 .LBB199_2186
; %bb.2167:
	s_cmp_gt_i32 s2, 24
	s_cbranch_scc0 .LBB199_2175
; %bb.2168:
	s_wait_xcnt 0x0
	v_xor_b32_e32 v0, v12, v13
	v_cls_i32_e32 v1, v13
	s_mov_b32 s3, exec_lo
	s_delay_alu instid0(VALU_DEP_2) | instskip(NEXT) | instid1(VALU_DEP_1)
	v_ashrrev_i32_e32 v0, 31, v0
	v_add_nc_u32_e32 v0, 32, v0
	s_delay_alu instid0(VALU_DEP_1) | instskip(NEXT) | instid1(VALU_DEP_1)
	v_add_min_u32_e64 v4, v1, -1, v0
	v_lshlrev_b64_e32 v[0:1], v4, v[12:13]
	s_delay_alu instid0(VALU_DEP_1) | instskip(NEXT) | instid1(VALU_DEP_1)
	v_min_u32_e32 v0, 1, v0
	v_or_b32_e32 v0, v1, v0
	v_dual_mov_b32 v4, 0x80 :: v_dual_sub_nc_u32 v1, 32, v4
	s_delay_alu instid0(VALU_DEP_2) | instskip(NEXT) | instid1(VALU_DEP_1)
	v_cvt_f32_i32_e32 v0, v0
	v_ldexp_f32 v0, v0, v1
	s_delay_alu instid0(VALU_DEP_1) | instskip(NEXT) | instid1(VALU_DEP_1)
	v_and_b32_e32 v1, 0x7fffffff, v0
	v_cmpx_gt_u32_e32 0x47800000, v1
	s_cbranch_execz .LBB199_2174
; %bb.2169:
	v_cmp_lt_u32_e32 vcc_lo, 0x37ffffff, v1
	s_mov_b32 s4, 0
                                        ; implicit-def: $vgpr1
	s_and_saveexec_b32 s5, vcc_lo
	s_delay_alu instid0(SALU_CYCLE_1)
	s_xor_b32 s5, exec_lo, s5
	s_cbranch_execz .LBB199_2227
; %bb.2170:
	v_bfe_u32 v1, v0, 21, 1
	s_mov_b32 s4, exec_lo
	s_delay_alu instid0(VALU_DEP_1) | instskip(NEXT) | instid1(VALU_DEP_1)
	v_add3_u32 v1, v0, v1, 0x88fffff
	v_lshrrev_b32_e32 v1, 21, v1
	s_and_not1_saveexec_b32 s5, s5
	s_cbranch_execnz .LBB199_2228
.LBB199_2171:
	s_or_b32 exec_lo, exec_lo, s5
	v_mov_b32_e32 v4, 0
	s_and_saveexec_b32 s5, s4
.LBB199_2172:
	v_lshrrev_b32_e32 v0, 24, v0
	s_delay_alu instid0(VALU_DEP_1)
	v_and_or_b32 v4, 0x80, v0, v1
.LBB199_2173:
	s_or_b32 exec_lo, exec_lo, s5
.LBB199_2174:
	s_delay_alu instid0(SALU_CYCLE_1)
	s_or_b32 exec_lo, exec_lo, s3
	s_mov_b32 s3, 0
	global_store_b8 v[2:3], v4, off
.LBB199_2175:
	s_and_b32 vcc_lo, exec_lo, s3
	s_cbranch_vccz .LBB199_2185
; %bb.2176:
	s_wait_xcnt 0x0
	v_xor_b32_e32 v0, v12, v13
	v_cls_i32_e32 v1, v13
	s_mov_b32 s3, exec_lo
	s_delay_alu instid0(VALU_DEP_2) | instskip(NEXT) | instid1(VALU_DEP_1)
	v_ashrrev_i32_e32 v0, 31, v0
	v_add_nc_u32_e32 v0, 32, v0
	s_delay_alu instid0(VALU_DEP_1) | instskip(NEXT) | instid1(VALU_DEP_1)
	v_add_min_u32_e64 v4, v1, -1, v0
	v_lshlrev_b64_e32 v[0:1], v4, v[12:13]
	s_delay_alu instid0(VALU_DEP_1) | instskip(NEXT) | instid1(VALU_DEP_1)
	v_min_u32_e32 v0, 1, v0
	v_or_b32_e32 v0, v1, v0
	v_sub_nc_u32_e32 v1, 32, v4
	s_delay_alu instid0(VALU_DEP_2) | instskip(NEXT) | instid1(VALU_DEP_1)
	v_cvt_f32_i32_e32 v0, v0
	v_ldexp_f32 v0, v0, v1
                                        ; implicit-def: $vgpr1
	s_delay_alu instid0(VALU_DEP_1) | instskip(NEXT) | instid1(VALU_DEP_1)
	v_and_b32_e32 v4, 0x7fffffff, v0
	v_cmpx_gt_u32_e32 0x43f00000, v4
	s_xor_b32 s3, exec_lo, s3
	s_cbranch_execz .LBB199_2182
; %bb.2177:
	s_mov_b32 s4, exec_lo
                                        ; implicit-def: $vgpr1
	v_cmpx_lt_u32_e32 0x3c7fffff, v4
	s_xor_b32 s4, exec_lo, s4
; %bb.2178:
	v_bfe_u32 v1, v0, 20, 1
	s_delay_alu instid0(VALU_DEP_1) | instskip(NEXT) | instid1(VALU_DEP_1)
	v_add3_u32 v1, v0, v1, 0x407ffff
	v_and_b32_e32 v4, 0xff00000, v1
	v_lshrrev_b32_e32 v1, 20, v1
	s_delay_alu instid0(VALU_DEP_2) | instskip(NEXT) | instid1(VALU_DEP_2)
	v_cmp_ne_u32_e32 vcc_lo, 0x7f00000, v4
	v_cndmask_b32_e32 v1, 0x7e, v1, vcc_lo
; %bb.2179:
	s_and_not1_saveexec_b32 s4, s4
; %bb.2180:
	v_add_f32_e64 v1, 0x46800000, |v0|
; %bb.2181:
	s_or_b32 exec_lo, exec_lo, s4
                                        ; implicit-def: $vgpr4
.LBB199_2182:
	s_and_not1_saveexec_b32 s3, s3
; %bb.2183:
	v_mov_b32_e32 v1, 0x7f
	v_cmp_lt_u32_e32 vcc_lo, 0x7f800000, v4
	s_delay_alu instid0(VALU_DEP_2)
	v_cndmask_b32_e32 v1, 0x7e, v1, vcc_lo
; %bb.2184:
	s_or_b32 exec_lo, exec_lo, s3
	v_lshrrev_b32_e32 v0, 24, v0
	s_delay_alu instid0(VALU_DEP_1)
	v_and_or_b32 v0, 0x80, v0, v1
	global_store_b8 v[2:3], v0, off
.LBB199_2185:
	s_mov_b32 s3, 0
.LBB199_2186:
	s_delay_alu instid0(SALU_CYCLE_1)
	s_and_not1_b32 vcc_lo, exec_lo, s3
	s_cbranch_vccnz .LBB199_2196
; %bb.2187:
	s_wait_xcnt 0x0
	v_xor_b32_e32 v0, v12, v13
	v_cls_i32_e32 v1, v13
	s_mov_b32 s3, exec_lo
	s_delay_alu instid0(VALU_DEP_2) | instskip(NEXT) | instid1(VALU_DEP_1)
	v_ashrrev_i32_e32 v0, 31, v0
	v_add_nc_u32_e32 v0, 32, v0
	s_delay_alu instid0(VALU_DEP_1) | instskip(NEXT) | instid1(VALU_DEP_1)
	v_add_min_u32_e64 v4, v1, -1, v0
	v_lshlrev_b64_e32 v[0:1], v4, v[12:13]
	s_delay_alu instid0(VALU_DEP_1) | instskip(NEXT) | instid1(VALU_DEP_1)
	v_min_u32_e32 v0, 1, v0
	v_or_b32_e32 v0, v1, v0
	v_sub_nc_u32_e32 v1, 32, v4
	s_delay_alu instid0(VALU_DEP_2) | instskip(NEXT) | instid1(VALU_DEP_1)
	v_cvt_f32_i32_e32 v0, v0
	v_ldexp_f32 v0, v0, v1
                                        ; implicit-def: $vgpr1
	s_delay_alu instid0(VALU_DEP_1) | instskip(NEXT) | instid1(VALU_DEP_1)
	v_and_b32_e32 v4, 0x7fffffff, v0
	v_cmpx_gt_u32_e32 0x47800000, v4
	s_xor_b32 s3, exec_lo, s3
	s_cbranch_execz .LBB199_2193
; %bb.2188:
	s_mov_b32 s4, exec_lo
                                        ; implicit-def: $vgpr1
	v_cmpx_lt_u32_e32 0x387fffff, v4
	s_xor_b32 s4, exec_lo, s4
; %bb.2189:
	v_bfe_u32 v1, v0, 21, 1
	s_delay_alu instid0(VALU_DEP_1) | instskip(NEXT) | instid1(VALU_DEP_1)
	v_add3_u32 v1, v0, v1, 0x80fffff
	v_lshrrev_b32_e32 v1, 21, v1
; %bb.2190:
	s_and_not1_saveexec_b32 s4, s4
; %bb.2191:
	v_add_f32_e64 v1, 0x43000000, |v0|
; %bb.2192:
	s_or_b32 exec_lo, exec_lo, s4
                                        ; implicit-def: $vgpr4
.LBB199_2193:
	s_and_not1_saveexec_b32 s3, s3
; %bb.2194:
	v_mov_b32_e32 v1, 0x7f
	v_cmp_lt_u32_e32 vcc_lo, 0x7f800000, v4
	s_delay_alu instid0(VALU_DEP_2)
	v_cndmask_b32_e32 v1, 0x7c, v1, vcc_lo
; %bb.2195:
	s_or_b32 exec_lo, exec_lo, s3
	v_lshrrev_b32_e32 v0, 24, v0
	s_delay_alu instid0(VALU_DEP_1)
	v_and_or_b32 v0, 0x80, v0, v1
	global_store_b8 v[2:3], v0, off
.LBB199_2196:
	s_mov_b32 s3, 0
.LBB199_2197:
	s_delay_alu instid0(SALU_CYCLE_1)
	s_and_not1_b32 vcc_lo, exec_lo, s3
	s_mov_b32 s3, 0
	s_cbranch_vccnz .LBB199_2204
; %bb.2198:
	s_cmp_gt_i32 s2, 14
	s_mov_b32 s3, -1
	s_cbranch_scc0 .LBB199_2202
; %bb.2199:
	s_cmp_eq_u32 s2, 15
	s_mov_b32 s0, -1
	s_cbranch_scc0 .LBB199_2201
; %bb.2200:
	s_wait_xcnt 0x0
	v_xor_b32_e32 v0, v12, v13
	v_cls_i32_e32 v1, v13
	s_mov_b32 s0, 0
	s_delay_alu instid0(VALU_DEP_2) | instskip(NEXT) | instid1(VALU_DEP_1)
	v_ashrrev_i32_e32 v0, 31, v0
	v_add_nc_u32_e32 v0, 32, v0
	s_delay_alu instid0(VALU_DEP_1) | instskip(NEXT) | instid1(VALU_DEP_1)
	v_add_min_u32_e64 v4, v1, -1, v0
	v_lshlrev_b64_e32 v[0:1], v4, v[12:13]
	s_delay_alu instid0(VALU_DEP_1) | instskip(NEXT) | instid1(VALU_DEP_1)
	v_min_u32_e32 v0, 1, v0
	v_or_b32_e32 v0, v1, v0
	v_sub_nc_u32_e32 v1, 32, v4
	s_delay_alu instid0(VALU_DEP_2) | instskip(NEXT) | instid1(VALU_DEP_1)
	v_cvt_f32_i32_e32 v0, v0
	v_ldexp_f32 v0, v0, v1
	s_delay_alu instid0(VALU_DEP_1) | instskip(NEXT) | instid1(VALU_DEP_1)
	v_bfe_u32 v1, v0, 16, 1
	v_add3_u32 v0, v0, v1, 0x7fff
	global_store_d16_hi_b16 v[2:3], v0, off
.LBB199_2201:
	s_mov_b32 s3, 0
.LBB199_2202:
	s_delay_alu instid0(SALU_CYCLE_1)
	s_and_b32 vcc_lo, exec_lo, s3
	s_mov_b32 s3, 0
	s_cbranch_vccz .LBB199_2204
; %bb.2203:
	s_cmp_lg_u32 s2, 11
	s_mov_b32 s3, -1
	s_cselect_b32 s0, -1, 0
.LBB199_2204:
	s_delay_alu instid0(SALU_CYCLE_1)
	s_and_b32 vcc_lo, exec_lo, s0
	s_cbranch_vccnz .LBB199_2226
.LBB199_2205:
	s_mov_b32 s0, 0
	s_branch .LBB199_1720
.LBB199_2206:
	s_mov_b32 s0, 0
	s_mov_b32 s3, 0
                                        ; implicit-def: $vgpr2_vgpr3
                                        ; implicit-def: $sgpr1
	s_branch .LBB199_1720
.LBB199_2207:
	s_mov_b32 s3, 0
	s_mov_b32 s0, -1
	s_branch .LBB199_1720
.LBB199_2208:
	s_or_b32 s10, s10, exec_lo
	s_trap 2
	s_cbranch_execz .LBB199_1664
	s_branch .LBB199_1665
.LBB199_2209:
	s_and_not1_saveexec_b32 s11, s11
	s_cbranch_execz .LBB199_1799
.LBB199_2210:
	v_add_f32_e64 v3, 0x46000000, |v1|
	s_and_not1_b32 s7, s7, exec_lo
	s_delay_alu instid0(VALU_DEP_1) | instskip(NEXT) | instid1(VALU_DEP_1)
	v_and_b32_e32 v3, 0xff, v3
	v_cmp_ne_u32_e32 vcc_lo, 0, v3
	s_and_b32 s12, vcc_lo, exec_lo
	s_delay_alu instid0(SALU_CYCLE_1)
	s_or_b32 s7, s7, s12
	s_or_b32 exec_lo, exec_lo, s11
	v_mov_b32_e32 v5, 0
	s_and_saveexec_b32 s11, s7
	s_cbranch_execnz .LBB199_1800
	s_branch .LBB199_1801
.LBB199_2211:
	s_or_b32 s10, s10, exec_lo
	s_trap 2
	s_cbranch_execz .LBB199_1847
	s_branch .LBB199_1848
.LBB199_2212:
	s_and_not1_saveexec_b32 s7, s7
	s_cbranch_execz .LBB199_1812
.LBB199_2213:
	v_add_f32_e64 v3, 0x42800000, |v1|
	s_and_not1_b32 s6, s6, exec_lo
	s_delay_alu instid0(VALU_DEP_1) | instskip(NEXT) | instid1(VALU_DEP_1)
	v_and_b32_e32 v3, 0xff, v3
	v_cmp_ne_u32_e32 vcc_lo, 0, v3
	s_and_b32 s11, vcc_lo, exec_lo
	s_delay_alu instid0(SALU_CYCLE_1)
	s_or_b32 s6, s6, s11
	s_or_b32 exec_lo, exec_lo, s7
	v_mov_b32_e32 v5, 0
	s_and_saveexec_b32 s7, s6
	s_cbranch_execnz .LBB199_1813
	s_branch .LBB199_1814
.LBB199_2214:
	s_and_not1_saveexec_b32 s11, s11
	s_cbranch_execz .LBB199_1920
.LBB199_2215:
	v_add_f32_e64 v3, 0x46000000, |v1|
	s_and_not1_b32 s7, s7, exec_lo
	s_delay_alu instid0(VALU_DEP_1) | instskip(NEXT) | instid1(VALU_DEP_1)
	v_and_b32_e32 v3, 0xff, v3
	v_cmp_ne_u32_e32 vcc_lo, 0, v3
	s_and_b32 s12, vcc_lo, exec_lo
	s_delay_alu instid0(SALU_CYCLE_1)
	s_or_b32 s7, s7, s12
	s_or_b32 exec_lo, exec_lo, s11
	v_mov_b32_e32 v6, 0
	s_and_saveexec_b32 s11, s7
	s_cbranch_execnz .LBB199_1921
	s_branch .LBB199_1922
.LBB199_2216:
	s_or_b32 s10, s10, exec_lo
	s_trap 2
	s_cbranch_execz .LBB199_1968
	s_branch .LBB199_1969
.LBB199_2217:
	s_and_not1_saveexec_b32 s7, s7
	s_cbranch_execz .LBB199_1933
.LBB199_2218:
	v_add_f32_e64 v3, 0x42800000, |v1|
	s_and_not1_b32 s6, s6, exec_lo
	s_delay_alu instid0(VALU_DEP_1) | instskip(NEXT) | instid1(VALU_DEP_1)
	v_and_b32_e32 v3, 0xff, v3
	v_cmp_ne_u32_e32 vcc_lo, 0, v3
	s_and_b32 s11, vcc_lo, exec_lo
	s_delay_alu instid0(SALU_CYCLE_1)
	s_or_b32 s6, s6, s11
	s_or_b32 exec_lo, exec_lo, s7
	v_mov_b32_e32 v6, 0
	s_and_saveexec_b32 s7, s6
	s_cbranch_execnz .LBB199_1934
	s_branch .LBB199_1935
.LBB199_2219:
	s_and_not1_saveexec_b32 s11, s11
	s_cbranch_execz .LBB199_2039
.LBB199_2220:
	v_add_f32_e64 v4, 0x46000000, |v1|
	s_and_not1_b32 s7, s7, exec_lo
	s_delay_alu instid0(VALU_DEP_1) | instskip(NEXT) | instid1(VALU_DEP_1)
	v_and_b32_e32 v4, 0xff, v4
	v_cmp_ne_u32_e32 vcc_lo, 0, v4
	s_and_b32 s12, vcc_lo, exec_lo
	s_delay_alu instid0(SALU_CYCLE_1)
	s_or_b32 s7, s7, s12
	s_or_b32 exec_lo, exec_lo, s11
	v_mov_b32_e32 v5, 0
	s_and_saveexec_b32 s11, s7
	s_cbranch_execnz .LBB199_2040
	s_branch .LBB199_2041
.LBB199_2221:
	s_or_b32 s10, s10, exec_lo
	s_trap 2
	s_cbranch_execz .LBB199_2087
	s_branch .LBB199_2088
.LBB199_2222:
	s_and_not1_saveexec_b32 s7, s7
	s_cbranch_execz .LBB199_2052
.LBB199_2223:
	v_add_f32_e64 v4, 0x42800000, |v1|
	s_and_not1_b32 s6, s6, exec_lo
	s_delay_alu instid0(VALU_DEP_1) | instskip(NEXT) | instid1(VALU_DEP_1)
	v_and_b32_e32 v4, 0xff, v4
	v_cmp_ne_u32_e32 vcc_lo, 0, v4
	s_and_b32 s11, vcc_lo, exec_lo
	s_delay_alu instid0(SALU_CYCLE_1)
	s_or_b32 s6, s6, s11
	s_or_b32 exec_lo, exec_lo, s7
	v_mov_b32_e32 v5, 0
	s_and_saveexec_b32 s7, s6
	s_cbranch_execnz .LBB199_2053
	s_branch .LBB199_2054
.LBB199_2224:
	s_and_not1_saveexec_b32 s6, s6
	s_cbranch_execz .LBB199_2159
.LBB199_2225:
	v_add_f32_e64 v1, 0x46000000, |v0|
	s_and_not1_b32 s5, s5, exec_lo
	s_delay_alu instid0(VALU_DEP_1) | instskip(NEXT) | instid1(VALU_DEP_1)
	v_and_b32_e32 v1, 0xff, v1
	v_cmp_ne_u32_e32 vcc_lo, 0, v1
	s_and_b32 s7, vcc_lo, exec_lo
	s_delay_alu instid0(SALU_CYCLE_1)
	s_or_b32 s5, s5, s7
	s_or_b32 exec_lo, exec_lo, s6
	v_mov_b32_e32 v4, 0
	s_and_saveexec_b32 s6, s5
	s_cbranch_execnz .LBB199_2160
	s_branch .LBB199_2161
.LBB199_2226:
	s_mov_b32 s3, 0
	s_or_b32 s10, s10, exec_lo
	s_trap 2
	s_branch .LBB199_2205
.LBB199_2227:
	s_and_not1_saveexec_b32 s5, s5
	s_cbranch_execz .LBB199_2171
.LBB199_2228:
	v_add_f32_e64 v1, 0x42800000, |v0|
	s_and_not1_b32 s4, s4, exec_lo
	s_delay_alu instid0(VALU_DEP_1) | instskip(NEXT) | instid1(VALU_DEP_1)
	v_and_b32_e32 v1, 0xff, v1
	v_cmp_ne_u32_e32 vcc_lo, 0, v1
	s_and_b32 s6, vcc_lo, exec_lo
	s_delay_alu instid0(SALU_CYCLE_1)
	s_or_b32 s4, s4, s6
	s_or_b32 exec_lo, exec_lo, s5
	v_mov_b32_e32 v4, 0
	s_and_saveexec_b32 s5, s4
	s_cbranch_execnz .LBB199_2172
	s_branch .LBB199_2173
	.section	.rodata,"a",@progbits
	.p2align	6, 0x0
	.amdhsa_kernel _ZN2at6native32elementwise_kernel_manual_unrollILi128ELi4EZNS0_15gpu_kernel_implIZZZNS0_12_GLOBAL__N_119launch_clamp_scalarERNS_18TensorIteratorBaseEN3c106ScalarES7_NS0_6detail11ClampLimitsEENKUlvE_clEvENKUlvE2_clEvEUllE_EEvS5_RKT_EUlibE0_EEviT1_
		.amdhsa_group_segment_fixed_size 0
		.amdhsa_private_segment_fixed_size 0
		.amdhsa_kernarg_size 384
		.amdhsa_user_sgpr_count 2
		.amdhsa_user_sgpr_dispatch_ptr 0
		.amdhsa_user_sgpr_queue_ptr 0
		.amdhsa_user_sgpr_kernarg_segment_ptr 1
		.amdhsa_user_sgpr_dispatch_id 0
		.amdhsa_user_sgpr_kernarg_preload_length 0
		.amdhsa_user_sgpr_kernarg_preload_offset 0
		.amdhsa_user_sgpr_private_segment_size 0
		.amdhsa_wavefront_size32 1
		.amdhsa_uses_dynamic_stack 0
		.amdhsa_enable_private_segment 0
		.amdhsa_system_sgpr_workgroup_id_x 1
		.amdhsa_system_sgpr_workgroup_id_y 0
		.amdhsa_system_sgpr_workgroup_id_z 0
		.amdhsa_system_sgpr_workgroup_info 0
		.amdhsa_system_vgpr_workitem_id 0
		.amdhsa_next_free_vgpr 22
		.amdhsa_next_free_sgpr 72
		.amdhsa_named_barrier_count 0
		.amdhsa_reserve_vcc 1
		.amdhsa_float_round_mode_32 0
		.amdhsa_float_round_mode_16_64 0
		.amdhsa_float_denorm_mode_32 3
		.amdhsa_float_denorm_mode_16_64 3
		.amdhsa_fp16_overflow 0
		.amdhsa_memory_ordered 1
		.amdhsa_forward_progress 1
		.amdhsa_inst_pref_size 255
		.amdhsa_round_robin_scheduling 0
		.amdhsa_exception_fp_ieee_invalid_op 0
		.amdhsa_exception_fp_denorm_src 0
		.amdhsa_exception_fp_ieee_div_zero 0
		.amdhsa_exception_fp_ieee_overflow 0
		.amdhsa_exception_fp_ieee_underflow 0
		.amdhsa_exception_fp_ieee_inexact 0
		.amdhsa_exception_int_div_zero 0
	.end_amdhsa_kernel
	.section	.text._ZN2at6native32elementwise_kernel_manual_unrollILi128ELi4EZNS0_15gpu_kernel_implIZZZNS0_12_GLOBAL__N_119launch_clamp_scalarERNS_18TensorIteratorBaseEN3c106ScalarES7_NS0_6detail11ClampLimitsEENKUlvE_clEvENKUlvE2_clEvEUllE_EEvS5_RKT_EUlibE0_EEviT1_,"axG",@progbits,_ZN2at6native32elementwise_kernel_manual_unrollILi128ELi4EZNS0_15gpu_kernel_implIZZZNS0_12_GLOBAL__N_119launch_clamp_scalarERNS_18TensorIteratorBaseEN3c106ScalarES7_NS0_6detail11ClampLimitsEENKUlvE_clEvENKUlvE2_clEvEUllE_EEvS5_RKT_EUlibE0_EEviT1_,comdat
.Lfunc_end199:
	.size	_ZN2at6native32elementwise_kernel_manual_unrollILi128ELi4EZNS0_15gpu_kernel_implIZZZNS0_12_GLOBAL__N_119launch_clamp_scalarERNS_18TensorIteratorBaseEN3c106ScalarES7_NS0_6detail11ClampLimitsEENKUlvE_clEvENKUlvE2_clEvEUllE_EEvS5_RKT_EUlibE0_EEviT1_, .Lfunc_end199-_ZN2at6native32elementwise_kernel_manual_unrollILi128ELi4EZNS0_15gpu_kernel_implIZZZNS0_12_GLOBAL__N_119launch_clamp_scalarERNS_18TensorIteratorBaseEN3c106ScalarES7_NS0_6detail11ClampLimitsEENKUlvE_clEvENKUlvE2_clEvEUllE_EEvS5_RKT_EUlibE0_EEviT1_
                                        ; -- End function
	.set _ZN2at6native32elementwise_kernel_manual_unrollILi128ELi4EZNS0_15gpu_kernel_implIZZZNS0_12_GLOBAL__N_119launch_clamp_scalarERNS_18TensorIteratorBaseEN3c106ScalarES7_NS0_6detail11ClampLimitsEENKUlvE_clEvENKUlvE2_clEvEUllE_EEvS5_RKT_EUlibE0_EEviT1_.num_vgpr, 22
	.set _ZN2at6native32elementwise_kernel_manual_unrollILi128ELi4EZNS0_15gpu_kernel_implIZZZNS0_12_GLOBAL__N_119launch_clamp_scalarERNS_18TensorIteratorBaseEN3c106ScalarES7_NS0_6detail11ClampLimitsEENKUlvE_clEvENKUlvE2_clEvEUllE_EEvS5_RKT_EUlibE0_EEviT1_.num_agpr, 0
	.set _ZN2at6native32elementwise_kernel_manual_unrollILi128ELi4EZNS0_15gpu_kernel_implIZZZNS0_12_GLOBAL__N_119launch_clamp_scalarERNS_18TensorIteratorBaseEN3c106ScalarES7_NS0_6detail11ClampLimitsEENKUlvE_clEvENKUlvE2_clEvEUllE_EEvS5_RKT_EUlibE0_EEviT1_.numbered_sgpr, 72
	.set _ZN2at6native32elementwise_kernel_manual_unrollILi128ELi4EZNS0_15gpu_kernel_implIZZZNS0_12_GLOBAL__N_119launch_clamp_scalarERNS_18TensorIteratorBaseEN3c106ScalarES7_NS0_6detail11ClampLimitsEENKUlvE_clEvENKUlvE2_clEvEUllE_EEvS5_RKT_EUlibE0_EEviT1_.num_named_barrier, 0
	.set _ZN2at6native32elementwise_kernel_manual_unrollILi128ELi4EZNS0_15gpu_kernel_implIZZZNS0_12_GLOBAL__N_119launch_clamp_scalarERNS_18TensorIteratorBaseEN3c106ScalarES7_NS0_6detail11ClampLimitsEENKUlvE_clEvENKUlvE2_clEvEUllE_EEvS5_RKT_EUlibE0_EEviT1_.private_seg_size, 0
	.set _ZN2at6native32elementwise_kernel_manual_unrollILi128ELi4EZNS0_15gpu_kernel_implIZZZNS0_12_GLOBAL__N_119launch_clamp_scalarERNS_18TensorIteratorBaseEN3c106ScalarES7_NS0_6detail11ClampLimitsEENKUlvE_clEvENKUlvE2_clEvEUllE_EEvS5_RKT_EUlibE0_EEviT1_.uses_vcc, 1
	.set _ZN2at6native32elementwise_kernel_manual_unrollILi128ELi4EZNS0_15gpu_kernel_implIZZZNS0_12_GLOBAL__N_119launch_clamp_scalarERNS_18TensorIteratorBaseEN3c106ScalarES7_NS0_6detail11ClampLimitsEENKUlvE_clEvENKUlvE2_clEvEUllE_EEvS5_RKT_EUlibE0_EEviT1_.uses_flat_scratch, 0
	.set _ZN2at6native32elementwise_kernel_manual_unrollILi128ELi4EZNS0_15gpu_kernel_implIZZZNS0_12_GLOBAL__N_119launch_clamp_scalarERNS_18TensorIteratorBaseEN3c106ScalarES7_NS0_6detail11ClampLimitsEENKUlvE_clEvENKUlvE2_clEvEUllE_EEvS5_RKT_EUlibE0_EEviT1_.has_dyn_sized_stack, 0
	.set _ZN2at6native32elementwise_kernel_manual_unrollILi128ELi4EZNS0_15gpu_kernel_implIZZZNS0_12_GLOBAL__N_119launch_clamp_scalarERNS_18TensorIteratorBaseEN3c106ScalarES7_NS0_6detail11ClampLimitsEENKUlvE_clEvENKUlvE2_clEvEUllE_EEvS5_RKT_EUlibE0_EEviT1_.has_recursion, 0
	.set _ZN2at6native32elementwise_kernel_manual_unrollILi128ELi4EZNS0_15gpu_kernel_implIZZZNS0_12_GLOBAL__N_119launch_clamp_scalarERNS_18TensorIteratorBaseEN3c106ScalarES7_NS0_6detail11ClampLimitsEENKUlvE_clEvENKUlvE2_clEvEUllE_EEvS5_RKT_EUlibE0_EEviT1_.has_indirect_call, 0
	.section	.AMDGPU.csdata,"",@progbits
; Kernel info:
; codeLenInByte = 54212
; TotalNumSgprs: 74
; NumVgprs: 22
; ScratchSize: 0
; MemoryBound: 1
; FloatMode: 240
; IeeeMode: 1
; LDSByteSize: 0 bytes/workgroup (compile time only)
; SGPRBlocks: 0
; VGPRBlocks: 1
; NumSGPRsForWavesPerEU: 74
; NumVGPRsForWavesPerEU: 22
; NamedBarCnt: 0
; Occupancy: 16
; WaveLimiterHint : 1
; COMPUTE_PGM_RSRC2:SCRATCH_EN: 0
; COMPUTE_PGM_RSRC2:USER_SGPR: 2
; COMPUTE_PGM_RSRC2:TRAP_HANDLER: 0
; COMPUTE_PGM_RSRC2:TGID_X_EN: 1
; COMPUTE_PGM_RSRC2:TGID_Y_EN: 0
; COMPUTE_PGM_RSRC2:TGID_Z_EN: 0
; COMPUTE_PGM_RSRC2:TIDIG_COMP_CNT: 0
	.section	.text._ZN2at6native29vectorized_elementwise_kernelILi16EZZZNS0_12_GLOBAL__N_119launch_clamp_scalarERNS_18TensorIteratorBaseEN3c106ScalarES6_NS0_6detail11ClampLimitsEENKUlvE_clEvENKUlvE3_clEvEUlsE_St5arrayIPcLm2EEEEviT0_T1_,"axG",@progbits,_ZN2at6native29vectorized_elementwise_kernelILi16EZZZNS0_12_GLOBAL__N_119launch_clamp_scalarERNS_18TensorIteratorBaseEN3c106ScalarES6_NS0_6detail11ClampLimitsEENKUlvE_clEvENKUlvE3_clEvEUlsE_St5arrayIPcLm2EEEEviT0_T1_,comdat
	.globl	_ZN2at6native29vectorized_elementwise_kernelILi16EZZZNS0_12_GLOBAL__N_119launch_clamp_scalarERNS_18TensorIteratorBaseEN3c106ScalarES6_NS0_6detail11ClampLimitsEENKUlvE_clEvENKUlvE3_clEvEUlsE_St5arrayIPcLm2EEEEviT0_T1_ ; -- Begin function _ZN2at6native29vectorized_elementwise_kernelILi16EZZZNS0_12_GLOBAL__N_119launch_clamp_scalarERNS_18TensorIteratorBaseEN3c106ScalarES6_NS0_6detail11ClampLimitsEENKUlvE_clEvENKUlvE3_clEvEUlsE_St5arrayIPcLm2EEEEviT0_T1_
	.p2align	8
	.type	_ZN2at6native29vectorized_elementwise_kernelILi16EZZZNS0_12_GLOBAL__N_119launch_clamp_scalarERNS_18TensorIteratorBaseEN3c106ScalarES6_NS0_6detail11ClampLimitsEENKUlvE_clEvENKUlvE3_clEvEUlsE_St5arrayIPcLm2EEEEviT0_T1_,@function
_ZN2at6native29vectorized_elementwise_kernelILi16EZZZNS0_12_GLOBAL__N_119launch_clamp_scalarERNS_18TensorIteratorBaseEN3c106ScalarES6_NS0_6detail11ClampLimitsEENKUlvE_clEvENKUlvE3_clEvEUlsE_St5arrayIPcLm2EEEEviT0_T1_: ; @_ZN2at6native29vectorized_elementwise_kernelILi16EZZZNS0_12_GLOBAL__N_119launch_clamp_scalarERNS_18TensorIteratorBaseEN3c106ScalarES6_NS0_6detail11ClampLimitsEENKUlvE_clEvENKUlvE3_clEvEUlsE_St5arrayIPcLm2EEEEviT0_T1_
; %bb.0:
	s_clause 0x1
	s_load_b96 s[8:10], s[0:1], 0x0
	s_load_b128 s[4:7], s[0:1], 0x10
	s_wait_xcnt 0x0
	s_bfe_u32 s0, ttmp6, 0x4000c
	s_and_b32 s1, ttmp6, 15
	s_add_co_i32 s0, s0, 1
	s_getreg_b32 s2, hwreg(HW_REG_IB_STS2, 6, 4)
	s_mul_i32 s0, ttmp9, s0
	s_mov_b32 s11, 0
	s_add_co_i32 s1, s1, s0
	s_cmp_eq_u32 s2, 0
	s_cselect_b32 s0, ttmp9, s1
	s_delay_alu instid0(SALU_CYCLE_1) | instskip(SKIP_3) | instid1(SALU_CYCLE_1)
	s_lshl_b32 s2, s0, 11
	s_mov_b32 s0, -1
	s_wait_kmcnt 0x0
	s_sub_co_i32 s8, s8, s2
	s_cmp_gt_i32 s8, 0x7ff
	s_cbranch_scc0 .LBB200_89
; %bb.1:
	s_ashr_i32 s3, s2, 31
	s_delay_alu instid0(SALU_CYCLE_1)
	s_lshl_b64 s[0:1], s[2:3], 1
	s_cmp_lt_i32 s9, 1
	s_add_nc_u64 s[12:13], s[6:7], s[0:1]
	global_load_b128 v[2:5], v0, s[12:13] scale_offset
	s_cbranch_scc1 .LBB200_4
; %bb.2:
	s_cmp_eq_u32 s9, 1
	s_cbranch_scc0 .LBB200_5
; %bb.3:
	s_wait_loadcnt 0x0
	v_min_i16 v1, v2, s10
	s_branch .LBB200_6
.LBB200_4:
                                        ; implicit-def: $vgpr1
	s_wait_xcnt 0x0
	s_mov_b32 s12, 0
	s_cbranch_execnz .LBB200_7
	s_branch .LBB200_8
.LBB200_5:
	s_mov_b32 s11, -1
                                        ; implicit-def: $vgpr1
.LBB200_6:
	s_wait_xcnt 0x0
	s_mov_b32 s12, 0
	s_branch .LBB200_8
.LBB200_7:
	s_cmp_lg_u32 s9, 0
	s_mov_b32 s12, -1
	s_cselect_b32 s11, -1, 0
.LBB200_8:
	s_wait_loadcnt 0x0
	v_max_i16 v6, v2, s10
	s_and_not1_b32 vcc_lo, exec_lo, s11
	s_lshr_b32 s3, s10, 16
	s_cbranch_vccz .LBB200_13
; %bb.9:
	s_and_not1_b32 vcc_lo, exec_lo, s12
	s_cbranch_vccz .LBB200_14
.LBB200_10:
	v_lshrrev_b32_e32 v6, 16, v2
	s_cmp_lt_i32 s9, 1
	s_mov_b32 s11, 0
	s_cbranch_scc1 .LBB200_15
.LBB200_11:
	s_cmp_eq_u32 s9, 1
	s_cbranch_scc0 .LBB200_16
; %bb.12:
	v_min_i16 v2, v6, s10
	s_mov_b32 s12, 0
	s_branch .LBB200_17
.LBB200_13:
	v_max_i16 v1, v2, s10
	s_delay_alu instid0(VALU_DEP_1)
	v_min_i16 v1, v1, s3
	s_cbranch_execnz .LBB200_10
.LBB200_14:
	v_dual_mov_b32 v1, v6 :: v_dual_lshrrev_b32 v6, 16, v2
	s_cmp_lt_i32 s9, 1
	s_mov_b32 s11, 0
	s_cbranch_scc0 .LBB200_11
.LBB200_15:
	s_mov_b32 s12, 0
                                        ; implicit-def: $vgpr2
	s_cbranch_execnz .LBB200_18
	s_branch .LBB200_19
.LBB200_16:
	s_mov_b32 s12, -1
                                        ; implicit-def: $vgpr2
.LBB200_17:
	s_branch .LBB200_19
.LBB200_18:
	s_cmp_lg_u32 s9, 0
	s_mov_b32 s11, -1
	s_cselect_b32 s12, -1, 0
.LBB200_19:
	v_max_i16 v7, v6, s10
	s_and_not1_b32 vcc_lo, exec_lo, s12
	s_cbranch_vccz .LBB200_24
; %bb.20:
	s_and_not1_b32 vcc_lo, exec_lo, s11
	s_cbranch_vccz .LBB200_25
.LBB200_21:
	s_cmp_lt_i32 s9, 1
	s_mov_b32 s11, 0
	s_cbranch_scc1 .LBB200_26
.LBB200_22:
	s_cmp_eq_u32 s9, 1
	s_cbranch_scc0 .LBB200_27
; %bb.23:
	v_min_i16 v6, v3, s10
	s_mov_b32 s12, 0
	s_branch .LBB200_28
.LBB200_24:
	v_max_i16 v2, v6, s10
	s_delay_alu instid0(VALU_DEP_1)
	v_min_i16 v2, v2, s3
	s_cbranch_execnz .LBB200_21
.LBB200_25:
	v_mov_b32_e32 v2, v7
	s_cmp_lt_i32 s9, 1
	s_mov_b32 s11, 0
	s_cbranch_scc0 .LBB200_22
.LBB200_26:
	s_mov_b32 s12, 0
                                        ; implicit-def: $vgpr6
	s_cbranch_execnz .LBB200_29
	s_branch .LBB200_30
.LBB200_27:
	s_mov_b32 s12, -1
                                        ; implicit-def: $vgpr6
.LBB200_28:
	s_branch .LBB200_30
.LBB200_29:
	s_cmp_lg_u32 s9, 0
	s_mov_b32 s11, -1
	s_cselect_b32 s12, -1, 0
.LBB200_30:
	v_max_i16 v7, v3, s10
	s_and_not1_b32 vcc_lo, exec_lo, s12
	s_cbranch_vccz .LBB200_35
; %bb.31:
	s_and_not1_b32 vcc_lo, exec_lo, s11
	s_cbranch_vccz .LBB200_36
.LBB200_32:
	v_lshrrev_b32_e32 v7, 16, v3
	s_cmp_lt_i32 s9, 1
	s_mov_b32 s11, 0
	s_cbranch_scc1 .LBB200_37
.LBB200_33:
	s_cmp_eq_u32 s9, 1
	s_cbranch_scc0 .LBB200_38
; %bb.34:
	v_min_i16 v3, v7, s10
	s_mov_b32 s12, 0
	s_branch .LBB200_39
.LBB200_35:
	v_max_i16 v6, v3, s10
	s_delay_alu instid0(VALU_DEP_1)
	v_min_i16 v6, v6, s3
	s_cbranch_execnz .LBB200_32
.LBB200_36:
	v_dual_mov_b32 v6, v7 :: v_dual_lshrrev_b32 v7, 16, v3
	s_cmp_lt_i32 s9, 1
	s_mov_b32 s11, 0
	s_cbranch_scc0 .LBB200_33
.LBB200_37:
	s_mov_b32 s12, 0
                                        ; implicit-def: $vgpr3
	s_cbranch_execnz .LBB200_40
	s_branch .LBB200_41
.LBB200_38:
	s_mov_b32 s12, -1
                                        ; implicit-def: $vgpr3
.LBB200_39:
	s_branch .LBB200_41
.LBB200_40:
	s_cmp_lg_u32 s9, 0
	s_mov_b32 s11, -1
	s_cselect_b32 s12, -1, 0
.LBB200_41:
	v_max_i16 v8, v7, s10
	s_and_not1_b32 vcc_lo, exec_lo, s12
	s_cbranch_vccz .LBB200_46
; %bb.42:
	s_and_not1_b32 vcc_lo, exec_lo, s11
	s_cbranch_vccz .LBB200_47
.LBB200_43:
	s_cmp_lt_i32 s9, 1
	s_mov_b32 s11, 0
	s_cbranch_scc1 .LBB200_48
.LBB200_44:
	s_cmp_eq_u32 s9, 1
	s_cbranch_scc0 .LBB200_49
; %bb.45:
	v_min_i16 v7, v4, s10
	s_mov_b32 s12, 0
	s_branch .LBB200_50
.LBB200_46:
	v_max_i16 v3, v7, s10
	s_delay_alu instid0(VALU_DEP_1)
	v_min_i16 v3, v3, s3
	s_cbranch_execnz .LBB200_43
.LBB200_47:
	v_mov_b32_e32 v3, v8
	s_cmp_lt_i32 s9, 1
	s_mov_b32 s11, 0
	s_cbranch_scc0 .LBB200_44
.LBB200_48:
	s_mov_b32 s12, 0
                                        ; implicit-def: $vgpr7
	s_cbranch_execnz .LBB200_51
	s_branch .LBB200_52
.LBB200_49:
	s_mov_b32 s12, -1
                                        ; implicit-def: $vgpr7
.LBB200_50:
	s_branch .LBB200_52
.LBB200_51:
	s_cmp_lg_u32 s9, 0
	s_mov_b32 s11, -1
	s_cselect_b32 s12, -1, 0
.LBB200_52:
	v_max_i16 v8, v4, s10
	s_and_not1_b32 vcc_lo, exec_lo, s12
	s_cbranch_vccz .LBB200_57
; %bb.53:
	s_and_not1_b32 vcc_lo, exec_lo, s11
	s_cbranch_vccz .LBB200_58
.LBB200_54:
	v_lshrrev_b32_e32 v8, 16, v4
	s_cmp_lt_i32 s9, 1
	s_mov_b32 s11, 0
	s_cbranch_scc1 .LBB200_59
.LBB200_55:
	s_cmp_eq_u32 s9, 1
	s_cbranch_scc0 .LBB200_60
; %bb.56:
	v_min_i16 v4, v8, s10
	s_mov_b32 s12, 0
	s_branch .LBB200_61
.LBB200_57:
	v_max_i16 v7, v4, s10
	s_delay_alu instid0(VALU_DEP_1)
	v_min_i16 v7, v7, s3
	s_cbranch_execnz .LBB200_54
.LBB200_58:
	v_dual_mov_b32 v7, v8 :: v_dual_lshrrev_b32 v8, 16, v4
	s_cmp_lt_i32 s9, 1
	s_mov_b32 s11, 0
	s_cbranch_scc0 .LBB200_55
.LBB200_59:
	s_mov_b32 s12, 0
                                        ; implicit-def: $vgpr4
	s_cbranch_execnz .LBB200_62
	s_branch .LBB200_63
.LBB200_60:
	s_mov_b32 s12, -1
                                        ; implicit-def: $vgpr4
.LBB200_61:
	s_branch .LBB200_63
.LBB200_62:
	s_cmp_lg_u32 s9, 0
	s_mov_b32 s11, -1
	s_cselect_b32 s12, -1, 0
.LBB200_63:
	v_max_i16 v9, v8, s10
	s_and_not1_b32 vcc_lo, exec_lo, s12
	s_cbranch_vccz .LBB200_68
; %bb.64:
	s_and_not1_b32 vcc_lo, exec_lo, s11
	s_cbranch_vccz .LBB200_69
.LBB200_65:
	s_cmp_lt_i32 s9, 1
	s_mov_b32 s11, 0
	s_cbranch_scc1 .LBB200_70
.LBB200_66:
	s_cmp_eq_u32 s9, 1
	s_cbranch_scc0 .LBB200_71
; %bb.67:
	v_min_i16 v8, v5, s10
	s_mov_b32 s12, 0
	s_branch .LBB200_72
.LBB200_68:
	v_max_i16 v4, v8, s10
	s_delay_alu instid0(VALU_DEP_1)
	v_min_i16 v4, v4, s3
	s_cbranch_execnz .LBB200_65
.LBB200_69:
	v_mov_b32_e32 v4, v9
	s_cmp_lt_i32 s9, 1
	s_mov_b32 s11, 0
	s_cbranch_scc0 .LBB200_66
.LBB200_70:
	s_mov_b32 s12, 0
                                        ; implicit-def: $vgpr8
	s_cbranch_execnz .LBB200_73
	s_branch .LBB200_74
.LBB200_71:
	s_mov_b32 s12, -1
                                        ; implicit-def: $vgpr8
.LBB200_72:
	s_branch .LBB200_74
.LBB200_73:
	s_cmp_lg_u32 s9, 0
	s_mov_b32 s11, -1
	s_cselect_b32 s12, -1, 0
.LBB200_74:
	v_max_i16 v9, v5, s10
	s_and_not1_b32 vcc_lo, exec_lo, s12
	s_cbranch_vccz .LBB200_79
; %bb.75:
	s_and_not1_b32 vcc_lo, exec_lo, s11
	s_cbranch_vccz .LBB200_80
.LBB200_76:
	v_lshrrev_b32_e32 v9, 16, v5
	s_cmp_lt_i32 s9, 1
	s_mov_b32 s11, 0
	s_cbranch_scc1 .LBB200_81
.LBB200_77:
	s_cmp_eq_u32 s9, 1
	s_cbranch_scc0 .LBB200_82
; %bb.78:
	v_min_i16 v5, v9, s10
	s_mov_b32 s12, 0
	s_branch .LBB200_83
.LBB200_79:
	v_max_i16 v8, v5, s10
	s_delay_alu instid0(VALU_DEP_1)
	v_min_i16 v8, v8, s3
	s_cbranch_execnz .LBB200_76
.LBB200_80:
	v_dual_mov_b32 v8, v9 :: v_dual_lshrrev_b32 v9, 16, v5
	s_cmp_lt_i32 s9, 1
	s_mov_b32 s11, 0
	s_cbranch_scc0 .LBB200_77
.LBB200_81:
	s_mov_b32 s12, 0
                                        ; implicit-def: $vgpr5
	s_cbranch_execnz .LBB200_84
	s_branch .LBB200_85
.LBB200_82:
	s_mov_b32 s12, -1
                                        ; implicit-def: $vgpr5
.LBB200_83:
	s_branch .LBB200_85
.LBB200_84:
	s_cmp_lg_u32 s9, 0
	s_mov_b32 s11, -1
	s_cselect_b32 s12, -1, 0
.LBB200_85:
	v_max_i16 v10, v9, s10
	s_and_not1_b32 vcc_lo, exec_lo, s12
	s_cbranch_vccz .LBB200_110
; %bb.86:
	s_and_not1_b32 vcc_lo, exec_lo, s11
	s_cbranch_vccnz .LBB200_88
.LBB200_87:
	v_mov_b32_e32 v5, v10
.LBB200_88:
	s_delay_alu instid0(VALU_DEP_1)
	v_perm_b32 v5, v5, v8, 0x5040100
	v_perm_b32 v4, v4, v7, 0x5040100
	;; [unrolled: 1-line block ×4, first 2 shown]
	s_add_nc_u64 s[12:13], s[4:5], s[0:1]
	s_mov_b32 s0, 0
	global_store_b128 v0, v[2:5], s[12:13] scale_offset
.LBB200_89:
	s_and_b32 vcc_lo, exec_lo, s0
	s_cbranch_vccz .LBB200_220
; %bb.90:
	v_cmp_gt_i32_e64 s0, s8, v0
	s_wait_xcnt 0x0
	v_dual_mov_b32 v13, 0 :: v_dual_bitop2_b32 v5, s2, v0 bitop3:0x54
	v_or_b32_e32 v6, 0x100, v0
	v_dual_mov_b32 v14, 0 :: v_dual_mov_b32 v1, v0
	s_and_saveexec_b32 s1, s0
	s_cbranch_execz .LBB200_92
; %bb.91:
	global_load_u16 v14, v5, s[6:7] scale_offset
	v_or_b32_e32 v1, 0x100, v0
.LBB200_92:
	s_wait_xcnt 0x0
	s_or_b32 exec_lo, exec_lo, s1
	s_delay_alu instid0(SALU_CYCLE_1) | instskip(NEXT) | instid1(VALU_DEP_1)
	s_mov_b32 s1, exec_lo
	v_cmpx_gt_i32_e64 s8, v1
	s_cbranch_execz .LBB200_94
; %bb.93:
	v_add_nc_u32_e32 v2, s2, v1
	v_add_nc_u32_e32 v1, 0x100, v1
	global_load_u16 v13, v2, s[6:7] scale_offset
.LBB200_94:
	s_wait_xcnt 0x0
	s_or_b32 exec_lo, exec_lo, s1
	v_dual_mov_b32 v11, 0 :: v_dual_mov_b32 v12, 0
	s_mov_b32 s1, exec_lo
	v_cmpx_gt_i32_e64 s8, v1
	s_cbranch_execz .LBB200_96
; %bb.95:
	v_add_nc_u32_e32 v2, s2, v1
	v_add_nc_u32_e32 v1, 0x100, v1
	global_load_u16 v12, v2, s[6:7] scale_offset
.LBB200_96:
	s_wait_xcnt 0x0
	s_or_b32 exec_lo, exec_lo, s1
	s_delay_alu instid0(SALU_CYCLE_1)
	s_mov_b32 s1, exec_lo
	v_cmpx_gt_i32_e64 s8, v1
	s_cbranch_execz .LBB200_98
; %bb.97:
	v_add_nc_u32_e32 v2, s2, v1
	v_add_nc_u32_e32 v1, 0x100, v1
	global_load_u16 v11, v2, s[6:7] scale_offset
.LBB200_98:
	s_wait_xcnt 0x0
	s_or_b32 exec_lo, exec_lo, s1
	v_dual_mov_b32 v9, 0 :: v_dual_mov_b32 v10, 0
	s_mov_b32 s1, exec_lo
	v_cmpx_gt_i32_e64 s8, v1
	s_cbranch_execz .LBB200_100
; %bb.99:
	v_add_nc_u32_e32 v2, s2, v1
	v_add_nc_u32_e32 v1, 0x100, v1
	global_load_u16 v10, v2, s[6:7] scale_offset
.LBB200_100:
	s_wait_xcnt 0x0
	s_or_b32 exec_lo, exec_lo, s1
	s_delay_alu instid0(SALU_CYCLE_1)
	;; [unrolled: 22-line block ×3, first 2 shown]
	s_mov_b32 s1, exec_lo
	v_cmpx_gt_i32_e64 s8, v1
	s_cbranch_execz .LBB200_106
; %bb.105:
	v_add_nc_u32_e32 v1, s2, v1
	global_load_u16 v7, v1, s[6:7] scale_offset
.LBB200_106:
	s_wait_xcnt 0x0
	s_or_b32 exec_lo, exec_lo, s1
	v_mov_b32_e32 v4, 0
	s_lshr_b32 s1, s10, 16
	s_delay_alu instid0(VALU_DEP_1)
	v_dual_mov_b32 v1, v4 :: v_dual_mov_b32 v2, v4
	v_mov_b32_e32 v3, v4
	s_and_saveexec_b32 s3, s0
	s_cbranch_execz .LBB200_119
; %bb.107:
	s_cmp_lt_i32 s9, 1
	s_mov_b32 s6, 0
	s_cbranch_scc1 .LBB200_111
; %bb.108:
	s_cmp_eq_u32 s9, 1
	s_cbranch_scc0 .LBB200_112
; %bb.109:
	s_wait_loadcnt 0x0
	v_min_i16 v2, v14, s10
	s_mov_b32 s7, 0
	s_branch .LBB200_113
.LBB200_110:
	v_max_i16 v5, v9, s10
	s_delay_alu instid0(VALU_DEP_1)
	v_min_i16 v5, v5, s3
	s_cbranch_execz .LBB200_87
	s_branch .LBB200_88
.LBB200_111:
	s_mov_b32 s7, 0
                                        ; implicit-def: $vgpr2
	s_cbranch_execnz .LBB200_114
	s_branch .LBB200_115
.LBB200_112:
	s_mov_b32 s7, -1
                                        ; implicit-def: $vgpr2
.LBB200_113:
	s_branch .LBB200_115
.LBB200_114:
	s_cmp_lg_u32 s9, 0
	s_mov_b32 s6, -1
	s_cselect_b32 s7, -1, 0
.LBB200_115:
	s_wait_loadcnt 0x0
	v_max_i16 v1, v14, s10
	s_and_not1_b32 vcc_lo, exec_lo, s7
	s_cbranch_vccz .LBB200_123
; %bb.116:
	s_and_not1_b32 vcc_lo, exec_lo, s6
	s_cbranch_vccnz .LBB200_118
.LBB200_117:
	v_mov_b32_e32 v2, v1
.LBB200_118:
	v_mov_b32_e32 v1, 0
	s_delay_alu instid0(VALU_DEP_2) | instskip(NEXT) | instid1(VALU_DEP_2)
	v_and_b32_e32 v4, 0xffff, v2
	v_dual_mov_b32 v2, v1 :: v_dual_mov_b32 v3, v1
.LBB200_119:
	s_or_b32 exec_lo, exec_lo, s3
	s_delay_alu instid0(SALU_CYCLE_1)
	s_mov_b32 s3, exec_lo
	v_cmpx_gt_i32_e64 s8, v6
	s_cbranch_execz .LBB200_132
; %bb.120:
	s_cmp_lt_i32 s9, 1
	s_mov_b32 s6, 0
	s_cbranch_scc1 .LBB200_124
; %bb.121:
	s_cmp_eq_u32 s9, 1
	s_cbranch_scc0 .LBB200_125
; %bb.122:
	s_wait_loadcnt 0x0
	v_min_i16 v14, v13, s10
	s_mov_b32 s7, 0
	s_branch .LBB200_126
.LBB200_123:
	v_max_i16 v2, v14, s10
	s_delay_alu instid0(VALU_DEP_1)
	v_min_i16 v2, v2, s1
	s_cbranch_execz .LBB200_117
	s_branch .LBB200_118
.LBB200_124:
	s_mov_b32 s7, 0
                                        ; implicit-def: $vgpr14
	s_cbranch_execnz .LBB200_127
	s_branch .LBB200_128
.LBB200_125:
	s_mov_b32 s7, -1
                                        ; implicit-def: $vgpr14
.LBB200_126:
	s_branch .LBB200_128
.LBB200_127:
	s_cmp_lg_u32 s9, 0
	s_mov_b32 s6, -1
	s_cselect_b32 s7, -1, 0
.LBB200_128:
	s_wait_loadcnt 0x0
	v_max_i16 v15, v13, s10
	s_and_not1_b32 vcc_lo, exec_lo, s7
	s_cbranch_vccz .LBB200_136
; %bb.129:
	s_and_not1_b32 vcc_lo, exec_lo, s6
	s_cbranch_vccnz .LBB200_131
.LBB200_130:
	v_mov_b32_e32 v14, v15
.LBB200_131:
	s_delay_alu instid0(VALU_DEP_1)
	v_perm_b32 v4, v14, v4, 0x5040100
.LBB200_132:
	s_or_b32 exec_lo, exec_lo, s3
	s_wait_loadcnt 0x0
	v_or_b32_e32 v13, 0x200, v0
	s_mov_b32 s3, exec_lo
	s_delay_alu instid0(VALU_DEP_1)
	v_cmpx_gt_i32_e64 s8, v13
	s_cbranch_execz .LBB200_145
; %bb.133:
	s_cmp_lt_i32 s9, 1
	s_mov_b32 s6, 0
	s_cbranch_scc1 .LBB200_137
; %bb.134:
	s_cmp_eq_u32 s9, 1
	s_cbranch_scc0 .LBB200_138
; %bb.135:
	v_min_i16 v13, v12, s10
	s_mov_b32 s7, 0
	s_branch .LBB200_139
.LBB200_136:
	v_max_i16 v13, v13, s10
	s_delay_alu instid0(VALU_DEP_1)
	v_min_i16 v14, v13, s1
	s_cbranch_execz .LBB200_130
	s_branch .LBB200_131
.LBB200_137:
	s_mov_b32 s7, 0
                                        ; implicit-def: $vgpr13
	s_cbranch_execnz .LBB200_140
	s_branch .LBB200_141
.LBB200_138:
	s_mov_b32 s7, -1
                                        ; implicit-def: $vgpr13
.LBB200_139:
	s_branch .LBB200_141
.LBB200_140:
	s_cmp_lg_u32 s9, 0
	s_mov_b32 s6, -1
	s_cselect_b32 s7, -1, 0
.LBB200_141:
	v_max_i16 v14, v12, s10
	s_and_not1_b32 vcc_lo, exec_lo, s7
	s_cbranch_vccz .LBB200_149
; %bb.142:
	s_and_not1_b32 vcc_lo, exec_lo, s6
	s_cbranch_vccnz .LBB200_144
.LBB200_143:
	v_mov_b32_e32 v13, v14
.LBB200_144:
	s_delay_alu instid0(VALU_DEP_1)
	v_bfi_b32 v1, 0xffff, v13, v1
.LBB200_145:
	s_or_b32 exec_lo, exec_lo, s3
	v_or_b32_e32 v12, 0x300, v0
	s_mov_b32 s3, exec_lo
	s_delay_alu instid0(VALU_DEP_1)
	v_cmpx_gt_i32_e64 s8, v12
	s_cbranch_execz .LBB200_158
; %bb.146:
	s_cmp_lt_i32 s9, 1
	s_mov_b32 s6, 0
	s_cbranch_scc1 .LBB200_150
; %bb.147:
	s_cmp_eq_u32 s9, 1
	s_cbranch_scc0 .LBB200_151
; %bb.148:
	v_min_i16 v12, v11, s10
	s_mov_b32 s7, 0
	s_branch .LBB200_152
.LBB200_149:
	v_max_i16 v12, v12, s10
	s_delay_alu instid0(VALU_DEP_1)
	v_min_i16 v13, v12, s1
	s_cbranch_execz .LBB200_143
	s_branch .LBB200_144
.LBB200_150:
	s_mov_b32 s7, 0
                                        ; implicit-def: $vgpr12
	s_cbranch_execnz .LBB200_153
	s_branch .LBB200_154
.LBB200_151:
	s_mov_b32 s7, -1
                                        ; implicit-def: $vgpr12
.LBB200_152:
	s_branch .LBB200_154
.LBB200_153:
	s_cmp_lg_u32 s9, 0
	s_mov_b32 s6, -1
	s_cselect_b32 s7, -1, 0
.LBB200_154:
	v_max_i16 v13, v11, s10
	s_and_not1_b32 vcc_lo, exec_lo, s7
	s_cbranch_vccz .LBB200_162
; %bb.155:
	s_and_not1_b32 vcc_lo, exec_lo, s6
	s_cbranch_vccnz .LBB200_157
.LBB200_156:
	v_mov_b32_e32 v12, v13
.LBB200_157:
	s_delay_alu instid0(VALU_DEP_1)
	v_perm_b32 v1, v12, v1, 0x5040100
.LBB200_158:
	s_or_b32 exec_lo, exec_lo, s3
	v_or_b32_e32 v11, 0x400, v0
	s_mov_b32 s3, exec_lo
	s_delay_alu instid0(VALU_DEP_1)
	v_cmpx_gt_i32_e64 s8, v11
	s_cbranch_execz .LBB200_171
; %bb.159:
	s_cmp_lt_i32 s9, 1
	s_mov_b32 s6, 0
	s_cbranch_scc1 .LBB200_163
; %bb.160:
	s_cmp_eq_u32 s9, 1
	s_cbranch_scc0 .LBB200_164
; %bb.161:
	v_min_i16 v11, v10, s10
	s_mov_b32 s7, 0
	s_branch .LBB200_165
.LBB200_162:
	v_max_i16 v11, v11, s10
	s_delay_alu instid0(VALU_DEP_1)
	v_min_i16 v12, v11, s1
	s_cbranch_execz .LBB200_156
	s_branch .LBB200_157
.LBB200_163:
	s_mov_b32 s7, 0
                                        ; implicit-def: $vgpr11
	s_cbranch_execnz .LBB200_166
	s_branch .LBB200_167
.LBB200_164:
	s_mov_b32 s7, -1
                                        ; implicit-def: $vgpr11
.LBB200_165:
	s_branch .LBB200_167
.LBB200_166:
	s_cmp_lg_u32 s9, 0
	s_mov_b32 s6, -1
	s_cselect_b32 s7, -1, 0
.LBB200_167:
	v_max_i16 v12, v10, s10
	s_and_not1_b32 vcc_lo, exec_lo, s7
	s_cbranch_vccz .LBB200_175
; %bb.168:
	s_and_not1_b32 vcc_lo, exec_lo, s6
	s_cbranch_vccnz .LBB200_170
.LBB200_169:
	v_mov_b32_e32 v11, v12
.LBB200_170:
	s_delay_alu instid0(VALU_DEP_1)
	v_bfi_b32 v2, 0xffff, v11, v2
.LBB200_171:
	s_or_b32 exec_lo, exec_lo, s3
	v_or_b32_e32 v10, 0x500, v0
	s_mov_b32 s3, exec_lo
	s_delay_alu instid0(VALU_DEP_1)
	v_cmpx_gt_i32_e64 s8, v10
	s_cbranch_execz .LBB200_184
; %bb.172:
	s_cmp_lt_i32 s9, 1
	s_mov_b32 s6, 0
	s_cbranch_scc1 .LBB200_176
; %bb.173:
	s_cmp_eq_u32 s9, 1
	s_cbranch_scc0 .LBB200_177
; %bb.174:
	v_min_i16 v10, v9, s10
	s_mov_b32 s7, 0
	s_branch .LBB200_178
.LBB200_175:
	v_max_i16 v10, v10, s10
	s_delay_alu instid0(VALU_DEP_1)
	v_min_i16 v11, v10, s1
	s_cbranch_execz .LBB200_169
	s_branch .LBB200_170
.LBB200_176:
	s_mov_b32 s7, 0
                                        ; implicit-def: $vgpr10
	s_cbranch_execnz .LBB200_179
	s_branch .LBB200_180
.LBB200_177:
	s_mov_b32 s7, -1
                                        ; implicit-def: $vgpr10
.LBB200_178:
	s_branch .LBB200_180
.LBB200_179:
	s_cmp_lg_u32 s9, 0
	s_mov_b32 s6, -1
	s_cselect_b32 s7, -1, 0
.LBB200_180:
	v_max_i16 v11, v9, s10
	s_and_not1_b32 vcc_lo, exec_lo, s7
	s_cbranch_vccz .LBB200_188
; %bb.181:
	s_and_not1_b32 vcc_lo, exec_lo, s6
	s_cbranch_vccnz .LBB200_183
.LBB200_182:
	v_mov_b32_e32 v10, v11
.LBB200_183:
	s_delay_alu instid0(VALU_DEP_1)
	v_perm_b32 v2, v10, v2, 0x5040100
.LBB200_184:
	s_or_b32 exec_lo, exec_lo, s3
	v_or_b32_e32 v9, 0x600, v0
	s_mov_b32 s3, exec_lo
	s_delay_alu instid0(VALU_DEP_1)
	v_cmpx_gt_i32_e64 s8, v9
	s_cbranch_execz .LBB200_197
; %bb.185:
	s_cmp_lt_i32 s9, 1
	s_mov_b32 s6, 0
	s_cbranch_scc1 .LBB200_189
; %bb.186:
	s_cmp_eq_u32 s9, 1
	s_cbranch_scc0 .LBB200_190
; %bb.187:
	v_min_i16 v9, v8, s10
	s_mov_b32 s7, 0
	s_branch .LBB200_191
.LBB200_188:
	v_max_i16 v9, v9, s10
	s_delay_alu instid0(VALU_DEP_1)
	v_min_i16 v10, v9, s1
	s_cbranch_execz .LBB200_182
	s_branch .LBB200_183
.LBB200_189:
	s_mov_b32 s7, 0
                                        ; implicit-def: $vgpr9
	s_cbranch_execnz .LBB200_192
	s_branch .LBB200_193
.LBB200_190:
	s_mov_b32 s7, -1
                                        ; implicit-def: $vgpr9
.LBB200_191:
	s_branch .LBB200_193
.LBB200_192:
	s_cmp_lg_u32 s9, 0
	s_mov_b32 s6, -1
	s_cselect_b32 s7, -1, 0
.LBB200_193:
	v_max_i16 v10, v8, s10
	s_and_not1_b32 vcc_lo, exec_lo, s7
	s_cbranch_vccz .LBB200_201
; %bb.194:
	s_and_not1_b32 vcc_lo, exec_lo, s6
	s_cbranch_vccnz .LBB200_196
.LBB200_195:
	v_mov_b32_e32 v9, v10
.LBB200_196:
	s_delay_alu instid0(VALU_DEP_1)
	v_bfi_b32 v3, 0xffff, v9, v3
.LBB200_197:
	s_or_b32 exec_lo, exec_lo, s3
	v_or_b32_e32 v8, 0x700, v0
	s_mov_b32 s3, exec_lo
	s_delay_alu instid0(VALU_DEP_1)
	v_cmpx_gt_i32_e64 s8, v8
	s_cbranch_execz .LBB200_210
; %bb.198:
	s_cmp_lt_i32 s9, 1
	s_mov_b32 s6, 0
	s_cbranch_scc1 .LBB200_202
; %bb.199:
	s_cmp_eq_u32 s9, 1
	s_cbranch_scc0 .LBB200_203
; %bb.200:
	v_min_i16 v8, v7, s10
	s_mov_b32 s7, 0
	s_branch .LBB200_204
.LBB200_201:
	v_max_i16 v8, v8, s10
	s_delay_alu instid0(VALU_DEP_1)
	v_min_i16 v9, v8, s1
	s_cbranch_execz .LBB200_195
	s_branch .LBB200_196
.LBB200_202:
	s_mov_b32 s7, 0
                                        ; implicit-def: $vgpr8
	s_cbranch_execnz .LBB200_205
	s_branch .LBB200_206
.LBB200_203:
	s_mov_b32 s7, -1
                                        ; implicit-def: $vgpr8
.LBB200_204:
	s_branch .LBB200_206
.LBB200_205:
	s_cmp_lg_u32 s9, 0
	s_mov_b32 s6, -1
	s_cselect_b32 s7, -1, 0
.LBB200_206:
	v_max_i16 v9, v7, s10
	s_and_not1_b32 vcc_lo, exec_lo, s7
	s_cbranch_vccz .LBB200_227
; %bb.207:
	s_and_not1_b32 vcc_lo, exec_lo, s6
	s_cbranch_vccnz .LBB200_209
.LBB200_208:
	v_mov_b32_e32 v8, v9
.LBB200_209:
	s_delay_alu instid0(VALU_DEP_1)
	v_perm_b32 v3, v8, v3, 0x5040100
.LBB200_210:
	s_or_b32 exec_lo, exec_lo, s3
	s_and_saveexec_b32 s1, s0
	s_delay_alu instid0(SALU_CYCLE_1)
	s_xor_b32 s0, exec_lo, s1
	s_cbranch_execz .LBB200_212
; %bb.211:
	v_mov_b32_e32 v0, v6
	global_store_b16 v5, v4, s[4:5] scale_offset
.LBB200_212:
	s_wait_xcnt 0x0
	s_or_b32 exec_lo, exec_lo, s0
	s_delay_alu instid0(SALU_CYCLE_1)
	s_mov_b32 s0, exec_lo
	v_cmpx_gt_i32_e64 s8, v0
	s_cbranch_execnz .LBB200_221
; %bb.213:
	s_or_b32 exec_lo, exec_lo, s0
	s_delay_alu instid0(SALU_CYCLE_1)
	s_mov_b32 s0, exec_lo
	v_cmpx_gt_i32_e64 s8, v0
	s_cbranch_execnz .LBB200_222
.LBB200_214:
	s_or_b32 exec_lo, exec_lo, s0
	s_delay_alu instid0(SALU_CYCLE_1)
	s_mov_b32 s0, exec_lo
	v_cmpx_gt_i32_e64 s8, v0
	s_cbranch_execnz .LBB200_223
.LBB200_215:
	s_or_b32 exec_lo, exec_lo, s0
	s_delay_alu instid0(SALU_CYCLE_1)
	s_mov_b32 s0, exec_lo
	v_cmpx_gt_i32_e64 s8, v0
	s_cbranch_execnz .LBB200_224
.LBB200_216:
	s_or_b32 exec_lo, exec_lo, s0
	s_delay_alu instid0(SALU_CYCLE_1)
	s_mov_b32 s0, exec_lo
	v_cmpx_gt_i32_e64 s8, v0
	s_cbranch_execnz .LBB200_225
.LBB200_217:
	s_or_b32 exec_lo, exec_lo, s0
	s_delay_alu instid0(SALU_CYCLE_1)
	s_mov_b32 s0, exec_lo
	v_cmpx_gt_i32_e64 s8, v0
	s_cbranch_execnz .LBB200_226
.LBB200_218:
	s_or_b32 exec_lo, exec_lo, s0
	s_delay_alu instid0(SALU_CYCLE_1)
	s_mov_b32 s0, exec_lo
	v_cmpx_gt_i32_e64 s8, v0
	s_cbranch_execz .LBB200_220
.LBB200_219:
	v_add_nc_u32_e32 v0, s2, v0
	global_store_d16_hi_b16 v0, v3, s[4:5] scale_offset
.LBB200_220:
	s_endpgm
.LBB200_221:
	v_add_nc_u32_e32 v5, s2, v0
	v_add_nc_u32_e32 v0, 0x100, v0
	global_store_d16_hi_b16 v5, v4, s[4:5] scale_offset
	s_wait_xcnt 0x0
	s_or_b32 exec_lo, exec_lo, s0
	s_delay_alu instid0(SALU_CYCLE_1)
	s_mov_b32 s0, exec_lo
	v_cmpx_gt_i32_e64 s8, v0
	s_cbranch_execz .LBB200_214
.LBB200_222:
	v_add_nc_u32_e32 v4, s2, v0
	v_add_nc_u32_e32 v0, 0x100, v0
	global_store_b16 v4, v1, s[4:5] scale_offset
	s_wait_xcnt 0x0
	s_or_b32 exec_lo, exec_lo, s0
	s_delay_alu instid0(SALU_CYCLE_1)
	s_mov_b32 s0, exec_lo
	v_cmpx_gt_i32_e64 s8, v0
	s_cbranch_execz .LBB200_215
.LBB200_223:
	v_add_nc_u32_e32 v4, s2, v0
	v_add_nc_u32_e32 v0, 0x100, v0
	global_store_d16_hi_b16 v4, v1, s[4:5] scale_offset
	s_wait_xcnt 0x0
	s_or_b32 exec_lo, exec_lo, s0
	s_delay_alu instid0(SALU_CYCLE_1)
	s_mov_b32 s0, exec_lo
	v_cmpx_gt_i32_e64 s8, v0
	s_cbranch_execz .LBB200_216
.LBB200_224:
	v_add_nc_u32_e32 v1, s2, v0
	v_add_nc_u32_e32 v0, 0x100, v0
	global_store_b16 v1, v2, s[4:5] scale_offset
	s_wait_xcnt 0x0
	s_or_b32 exec_lo, exec_lo, s0
	s_delay_alu instid0(SALU_CYCLE_1)
	s_mov_b32 s0, exec_lo
	v_cmpx_gt_i32_e64 s8, v0
	s_cbranch_execz .LBB200_217
.LBB200_225:
	v_add_nc_u32_e32 v1, s2, v0
	v_add_nc_u32_e32 v0, 0x100, v0
	global_store_d16_hi_b16 v1, v2, s[4:5] scale_offset
	s_wait_xcnt 0x0
	s_or_b32 exec_lo, exec_lo, s0
	s_delay_alu instid0(SALU_CYCLE_1)
	s_mov_b32 s0, exec_lo
	v_cmpx_gt_i32_e64 s8, v0
	s_cbranch_execz .LBB200_218
.LBB200_226:
	v_add_nc_u32_e32 v1, s2, v0
	v_add_nc_u32_e32 v0, 0x100, v0
	global_store_b16 v1, v3, s[4:5] scale_offset
	s_wait_xcnt 0x0
	s_or_b32 exec_lo, exec_lo, s0
	s_delay_alu instid0(SALU_CYCLE_1)
	s_mov_b32 s0, exec_lo
	v_cmpx_gt_i32_e64 s8, v0
	s_cbranch_execnz .LBB200_219
	s_branch .LBB200_220
.LBB200_227:
	v_max_i16 v7, v7, s10
	s_delay_alu instid0(VALU_DEP_1)
	v_min_i16 v8, v7, s1
	s_cbranch_execz .LBB200_208
	s_branch .LBB200_209
	.section	.rodata,"a",@progbits
	.p2align	6, 0x0
	.amdhsa_kernel _ZN2at6native29vectorized_elementwise_kernelILi16EZZZNS0_12_GLOBAL__N_119launch_clamp_scalarERNS_18TensorIteratorBaseEN3c106ScalarES6_NS0_6detail11ClampLimitsEENKUlvE_clEvENKUlvE3_clEvEUlsE_St5arrayIPcLm2EEEEviT0_T1_
		.amdhsa_group_segment_fixed_size 0
		.amdhsa_private_segment_fixed_size 0
		.amdhsa_kernarg_size 32
		.amdhsa_user_sgpr_count 2
		.amdhsa_user_sgpr_dispatch_ptr 0
		.amdhsa_user_sgpr_queue_ptr 0
		.amdhsa_user_sgpr_kernarg_segment_ptr 1
		.amdhsa_user_sgpr_dispatch_id 0
		.amdhsa_user_sgpr_kernarg_preload_length 0
		.amdhsa_user_sgpr_kernarg_preload_offset 0
		.amdhsa_user_sgpr_private_segment_size 0
		.amdhsa_wavefront_size32 1
		.amdhsa_uses_dynamic_stack 0
		.amdhsa_enable_private_segment 0
		.amdhsa_system_sgpr_workgroup_id_x 1
		.amdhsa_system_sgpr_workgroup_id_y 0
		.amdhsa_system_sgpr_workgroup_id_z 0
		.amdhsa_system_sgpr_workgroup_info 0
		.amdhsa_system_vgpr_workitem_id 0
		.amdhsa_next_free_vgpr 16
		.amdhsa_next_free_sgpr 14
		.amdhsa_named_barrier_count 0
		.amdhsa_reserve_vcc 1
		.amdhsa_float_round_mode_32 0
		.amdhsa_float_round_mode_16_64 0
		.amdhsa_float_denorm_mode_32 3
		.amdhsa_float_denorm_mode_16_64 3
		.amdhsa_fp16_overflow 0
		.amdhsa_memory_ordered 1
		.amdhsa_forward_progress 1
		.amdhsa_inst_pref_size 29
		.amdhsa_round_robin_scheduling 0
		.amdhsa_exception_fp_ieee_invalid_op 0
		.amdhsa_exception_fp_denorm_src 0
		.amdhsa_exception_fp_ieee_div_zero 0
		.amdhsa_exception_fp_ieee_overflow 0
		.amdhsa_exception_fp_ieee_underflow 0
		.amdhsa_exception_fp_ieee_inexact 0
		.amdhsa_exception_int_div_zero 0
	.end_amdhsa_kernel
	.section	.text._ZN2at6native29vectorized_elementwise_kernelILi16EZZZNS0_12_GLOBAL__N_119launch_clamp_scalarERNS_18TensorIteratorBaseEN3c106ScalarES6_NS0_6detail11ClampLimitsEENKUlvE_clEvENKUlvE3_clEvEUlsE_St5arrayIPcLm2EEEEviT0_T1_,"axG",@progbits,_ZN2at6native29vectorized_elementwise_kernelILi16EZZZNS0_12_GLOBAL__N_119launch_clamp_scalarERNS_18TensorIteratorBaseEN3c106ScalarES6_NS0_6detail11ClampLimitsEENKUlvE_clEvENKUlvE3_clEvEUlsE_St5arrayIPcLm2EEEEviT0_T1_,comdat
.Lfunc_end200:
	.size	_ZN2at6native29vectorized_elementwise_kernelILi16EZZZNS0_12_GLOBAL__N_119launch_clamp_scalarERNS_18TensorIteratorBaseEN3c106ScalarES6_NS0_6detail11ClampLimitsEENKUlvE_clEvENKUlvE3_clEvEUlsE_St5arrayIPcLm2EEEEviT0_T1_, .Lfunc_end200-_ZN2at6native29vectorized_elementwise_kernelILi16EZZZNS0_12_GLOBAL__N_119launch_clamp_scalarERNS_18TensorIteratorBaseEN3c106ScalarES6_NS0_6detail11ClampLimitsEENKUlvE_clEvENKUlvE3_clEvEUlsE_St5arrayIPcLm2EEEEviT0_T1_
                                        ; -- End function
	.set _ZN2at6native29vectorized_elementwise_kernelILi16EZZZNS0_12_GLOBAL__N_119launch_clamp_scalarERNS_18TensorIteratorBaseEN3c106ScalarES6_NS0_6detail11ClampLimitsEENKUlvE_clEvENKUlvE3_clEvEUlsE_St5arrayIPcLm2EEEEviT0_T1_.num_vgpr, 16
	.set _ZN2at6native29vectorized_elementwise_kernelILi16EZZZNS0_12_GLOBAL__N_119launch_clamp_scalarERNS_18TensorIteratorBaseEN3c106ScalarES6_NS0_6detail11ClampLimitsEENKUlvE_clEvENKUlvE3_clEvEUlsE_St5arrayIPcLm2EEEEviT0_T1_.num_agpr, 0
	.set _ZN2at6native29vectorized_elementwise_kernelILi16EZZZNS0_12_GLOBAL__N_119launch_clamp_scalarERNS_18TensorIteratorBaseEN3c106ScalarES6_NS0_6detail11ClampLimitsEENKUlvE_clEvENKUlvE3_clEvEUlsE_St5arrayIPcLm2EEEEviT0_T1_.numbered_sgpr, 14
	.set _ZN2at6native29vectorized_elementwise_kernelILi16EZZZNS0_12_GLOBAL__N_119launch_clamp_scalarERNS_18TensorIteratorBaseEN3c106ScalarES6_NS0_6detail11ClampLimitsEENKUlvE_clEvENKUlvE3_clEvEUlsE_St5arrayIPcLm2EEEEviT0_T1_.num_named_barrier, 0
	.set _ZN2at6native29vectorized_elementwise_kernelILi16EZZZNS0_12_GLOBAL__N_119launch_clamp_scalarERNS_18TensorIteratorBaseEN3c106ScalarES6_NS0_6detail11ClampLimitsEENKUlvE_clEvENKUlvE3_clEvEUlsE_St5arrayIPcLm2EEEEviT0_T1_.private_seg_size, 0
	.set _ZN2at6native29vectorized_elementwise_kernelILi16EZZZNS0_12_GLOBAL__N_119launch_clamp_scalarERNS_18TensorIteratorBaseEN3c106ScalarES6_NS0_6detail11ClampLimitsEENKUlvE_clEvENKUlvE3_clEvEUlsE_St5arrayIPcLm2EEEEviT0_T1_.uses_vcc, 1
	.set _ZN2at6native29vectorized_elementwise_kernelILi16EZZZNS0_12_GLOBAL__N_119launch_clamp_scalarERNS_18TensorIteratorBaseEN3c106ScalarES6_NS0_6detail11ClampLimitsEENKUlvE_clEvENKUlvE3_clEvEUlsE_St5arrayIPcLm2EEEEviT0_T1_.uses_flat_scratch, 0
	.set _ZN2at6native29vectorized_elementwise_kernelILi16EZZZNS0_12_GLOBAL__N_119launch_clamp_scalarERNS_18TensorIteratorBaseEN3c106ScalarES6_NS0_6detail11ClampLimitsEENKUlvE_clEvENKUlvE3_clEvEUlsE_St5arrayIPcLm2EEEEviT0_T1_.has_dyn_sized_stack, 0
	.set _ZN2at6native29vectorized_elementwise_kernelILi16EZZZNS0_12_GLOBAL__N_119launch_clamp_scalarERNS_18TensorIteratorBaseEN3c106ScalarES6_NS0_6detail11ClampLimitsEENKUlvE_clEvENKUlvE3_clEvEUlsE_St5arrayIPcLm2EEEEviT0_T1_.has_recursion, 0
	.set _ZN2at6native29vectorized_elementwise_kernelILi16EZZZNS0_12_GLOBAL__N_119launch_clamp_scalarERNS_18TensorIteratorBaseEN3c106ScalarES6_NS0_6detail11ClampLimitsEENKUlvE_clEvENKUlvE3_clEvEUlsE_St5arrayIPcLm2EEEEviT0_T1_.has_indirect_call, 0
	.section	.AMDGPU.csdata,"",@progbits
; Kernel info:
; codeLenInByte = 3684
; TotalNumSgprs: 16
; NumVgprs: 16
; ScratchSize: 0
; MemoryBound: 0
; FloatMode: 240
; IeeeMode: 1
; LDSByteSize: 0 bytes/workgroup (compile time only)
; SGPRBlocks: 0
; VGPRBlocks: 0
; NumSGPRsForWavesPerEU: 16
; NumVGPRsForWavesPerEU: 16
; NamedBarCnt: 0
; Occupancy: 16
; WaveLimiterHint : 0
; COMPUTE_PGM_RSRC2:SCRATCH_EN: 0
; COMPUTE_PGM_RSRC2:USER_SGPR: 2
; COMPUTE_PGM_RSRC2:TRAP_HANDLER: 0
; COMPUTE_PGM_RSRC2:TGID_X_EN: 1
; COMPUTE_PGM_RSRC2:TGID_Y_EN: 0
; COMPUTE_PGM_RSRC2:TGID_Z_EN: 0
; COMPUTE_PGM_RSRC2:TIDIG_COMP_CNT: 0
	.section	.text._ZN2at6native29vectorized_elementwise_kernelILi8EZZZNS0_12_GLOBAL__N_119launch_clamp_scalarERNS_18TensorIteratorBaseEN3c106ScalarES6_NS0_6detail11ClampLimitsEENKUlvE_clEvENKUlvE3_clEvEUlsE_St5arrayIPcLm2EEEEviT0_T1_,"axG",@progbits,_ZN2at6native29vectorized_elementwise_kernelILi8EZZZNS0_12_GLOBAL__N_119launch_clamp_scalarERNS_18TensorIteratorBaseEN3c106ScalarES6_NS0_6detail11ClampLimitsEENKUlvE_clEvENKUlvE3_clEvEUlsE_St5arrayIPcLm2EEEEviT0_T1_,comdat
	.globl	_ZN2at6native29vectorized_elementwise_kernelILi8EZZZNS0_12_GLOBAL__N_119launch_clamp_scalarERNS_18TensorIteratorBaseEN3c106ScalarES6_NS0_6detail11ClampLimitsEENKUlvE_clEvENKUlvE3_clEvEUlsE_St5arrayIPcLm2EEEEviT0_T1_ ; -- Begin function _ZN2at6native29vectorized_elementwise_kernelILi8EZZZNS0_12_GLOBAL__N_119launch_clamp_scalarERNS_18TensorIteratorBaseEN3c106ScalarES6_NS0_6detail11ClampLimitsEENKUlvE_clEvENKUlvE3_clEvEUlsE_St5arrayIPcLm2EEEEviT0_T1_
	.p2align	8
	.type	_ZN2at6native29vectorized_elementwise_kernelILi8EZZZNS0_12_GLOBAL__N_119launch_clamp_scalarERNS_18TensorIteratorBaseEN3c106ScalarES6_NS0_6detail11ClampLimitsEENKUlvE_clEvENKUlvE3_clEvEUlsE_St5arrayIPcLm2EEEEviT0_T1_,@function
_ZN2at6native29vectorized_elementwise_kernelILi8EZZZNS0_12_GLOBAL__N_119launch_clamp_scalarERNS_18TensorIteratorBaseEN3c106ScalarES6_NS0_6detail11ClampLimitsEENKUlvE_clEvENKUlvE3_clEvEUlsE_St5arrayIPcLm2EEEEviT0_T1_: ; @_ZN2at6native29vectorized_elementwise_kernelILi8EZZZNS0_12_GLOBAL__N_119launch_clamp_scalarERNS_18TensorIteratorBaseEN3c106ScalarES6_NS0_6detail11ClampLimitsEENKUlvE_clEvENKUlvE3_clEvEUlsE_St5arrayIPcLm2EEEEviT0_T1_
; %bb.0:
	s_clause 0x1
	s_load_b96 s[8:10], s[0:1], 0x0
	s_load_b128 s[4:7], s[0:1], 0x10
	s_wait_xcnt 0x0
	s_bfe_u32 s0, ttmp6, 0x4000c
	s_and_b32 s1, ttmp6, 15
	s_add_co_i32 s0, s0, 1
	s_getreg_b32 s2, hwreg(HW_REG_IB_STS2, 6, 4)
	s_mul_i32 s0, ttmp9, s0
	s_mov_b32 s11, 0
	s_add_co_i32 s1, s1, s0
	s_cmp_eq_u32 s2, 0
	s_cselect_b32 s0, ttmp9, s1
	s_delay_alu instid0(SALU_CYCLE_1) | instskip(SKIP_3) | instid1(SALU_CYCLE_1)
	s_lshl_b32 s2, s0, 11
	s_mov_b32 s0, -1
	s_wait_kmcnt 0x0
	s_sub_co_i32 s8, s8, s2
	s_cmp_gt_i32 s8, 0x7ff
	s_cbranch_scc0 .LBB201_89
; %bb.1:
	s_ashr_i32 s3, s2, 31
	s_delay_alu instid0(SALU_CYCLE_1)
	s_lshl_b64 s[0:1], s[2:3], 1
	s_cmp_lt_i32 s9, 1
	s_add_nc_u64 s[12:13], s[6:7], s[0:1]
	global_load_b128 v[2:5], v0, s[12:13] scale_offset
	s_cbranch_scc1 .LBB201_4
; %bb.2:
	s_cmp_eq_u32 s9, 1
	s_cbranch_scc0 .LBB201_5
; %bb.3:
	s_wait_loadcnt 0x0
	v_min_i16 v1, v2, s10
	s_branch .LBB201_6
.LBB201_4:
                                        ; implicit-def: $vgpr1
	s_wait_xcnt 0x0
	s_mov_b32 s12, 0
	s_cbranch_execnz .LBB201_7
	s_branch .LBB201_8
.LBB201_5:
	s_mov_b32 s11, -1
                                        ; implicit-def: $vgpr1
.LBB201_6:
	s_wait_xcnt 0x0
	s_mov_b32 s12, 0
	s_branch .LBB201_8
.LBB201_7:
	s_cmp_lg_u32 s9, 0
	s_mov_b32 s12, -1
	s_cselect_b32 s11, -1, 0
.LBB201_8:
	s_wait_loadcnt 0x0
	v_max_i16 v6, v2, s10
	s_and_not1_b32 vcc_lo, exec_lo, s11
	s_lshr_b32 s3, s10, 16
	s_cbranch_vccz .LBB201_13
; %bb.9:
	s_and_not1_b32 vcc_lo, exec_lo, s12
	s_cbranch_vccz .LBB201_14
.LBB201_10:
	v_lshrrev_b32_e32 v6, 16, v2
	s_cmp_lt_i32 s9, 1
	s_mov_b32 s11, 0
	s_cbranch_scc1 .LBB201_15
.LBB201_11:
	s_cmp_eq_u32 s9, 1
	s_cbranch_scc0 .LBB201_16
; %bb.12:
	v_min_i16 v2, v6, s10
	s_mov_b32 s12, 0
	s_branch .LBB201_17
.LBB201_13:
	v_max_i16 v1, v2, s10
	s_delay_alu instid0(VALU_DEP_1)
	v_min_i16 v1, v1, s3
	s_cbranch_execnz .LBB201_10
.LBB201_14:
	v_dual_mov_b32 v1, v6 :: v_dual_lshrrev_b32 v6, 16, v2
	s_cmp_lt_i32 s9, 1
	s_mov_b32 s11, 0
	s_cbranch_scc0 .LBB201_11
.LBB201_15:
	s_mov_b32 s12, 0
                                        ; implicit-def: $vgpr2
	s_cbranch_execnz .LBB201_18
	s_branch .LBB201_19
.LBB201_16:
	s_mov_b32 s12, -1
                                        ; implicit-def: $vgpr2
.LBB201_17:
	s_branch .LBB201_19
.LBB201_18:
	s_cmp_lg_u32 s9, 0
	s_mov_b32 s11, -1
	s_cselect_b32 s12, -1, 0
.LBB201_19:
	v_max_i16 v7, v6, s10
	s_and_not1_b32 vcc_lo, exec_lo, s12
	s_cbranch_vccz .LBB201_24
; %bb.20:
	s_and_not1_b32 vcc_lo, exec_lo, s11
	s_cbranch_vccz .LBB201_25
.LBB201_21:
	s_cmp_lt_i32 s9, 1
	s_mov_b32 s11, 0
	s_cbranch_scc1 .LBB201_26
.LBB201_22:
	s_cmp_eq_u32 s9, 1
	s_cbranch_scc0 .LBB201_27
; %bb.23:
	v_min_i16 v6, v3, s10
	s_mov_b32 s12, 0
	s_branch .LBB201_28
.LBB201_24:
	v_max_i16 v2, v6, s10
	s_delay_alu instid0(VALU_DEP_1)
	v_min_i16 v2, v2, s3
	s_cbranch_execnz .LBB201_21
.LBB201_25:
	v_mov_b32_e32 v2, v7
	s_cmp_lt_i32 s9, 1
	s_mov_b32 s11, 0
	s_cbranch_scc0 .LBB201_22
.LBB201_26:
	s_mov_b32 s12, 0
                                        ; implicit-def: $vgpr6
	s_cbranch_execnz .LBB201_29
	s_branch .LBB201_30
.LBB201_27:
	s_mov_b32 s12, -1
                                        ; implicit-def: $vgpr6
.LBB201_28:
	s_branch .LBB201_30
.LBB201_29:
	s_cmp_lg_u32 s9, 0
	s_mov_b32 s11, -1
	s_cselect_b32 s12, -1, 0
.LBB201_30:
	v_max_i16 v7, v3, s10
	s_and_not1_b32 vcc_lo, exec_lo, s12
	s_cbranch_vccz .LBB201_35
; %bb.31:
	s_and_not1_b32 vcc_lo, exec_lo, s11
	s_cbranch_vccz .LBB201_36
.LBB201_32:
	v_lshrrev_b32_e32 v7, 16, v3
	s_cmp_lt_i32 s9, 1
	s_mov_b32 s11, 0
	s_cbranch_scc1 .LBB201_37
.LBB201_33:
	s_cmp_eq_u32 s9, 1
	s_cbranch_scc0 .LBB201_38
; %bb.34:
	v_min_i16 v3, v7, s10
	s_mov_b32 s12, 0
	s_branch .LBB201_39
.LBB201_35:
	v_max_i16 v6, v3, s10
	s_delay_alu instid0(VALU_DEP_1)
	v_min_i16 v6, v6, s3
	s_cbranch_execnz .LBB201_32
.LBB201_36:
	v_dual_mov_b32 v6, v7 :: v_dual_lshrrev_b32 v7, 16, v3
	s_cmp_lt_i32 s9, 1
	s_mov_b32 s11, 0
	s_cbranch_scc0 .LBB201_33
.LBB201_37:
	s_mov_b32 s12, 0
                                        ; implicit-def: $vgpr3
	s_cbranch_execnz .LBB201_40
	s_branch .LBB201_41
.LBB201_38:
	s_mov_b32 s12, -1
                                        ; implicit-def: $vgpr3
.LBB201_39:
	s_branch .LBB201_41
.LBB201_40:
	s_cmp_lg_u32 s9, 0
	s_mov_b32 s11, -1
	s_cselect_b32 s12, -1, 0
.LBB201_41:
	v_max_i16 v8, v7, s10
	s_and_not1_b32 vcc_lo, exec_lo, s12
	s_cbranch_vccz .LBB201_46
; %bb.42:
	s_and_not1_b32 vcc_lo, exec_lo, s11
	s_cbranch_vccz .LBB201_47
.LBB201_43:
	s_cmp_lt_i32 s9, 1
	s_mov_b32 s11, 0
	s_cbranch_scc1 .LBB201_48
.LBB201_44:
	s_cmp_eq_u32 s9, 1
	s_cbranch_scc0 .LBB201_49
; %bb.45:
	v_min_i16 v7, v4, s10
	s_mov_b32 s12, 0
	s_branch .LBB201_50
.LBB201_46:
	v_max_i16 v3, v7, s10
	s_delay_alu instid0(VALU_DEP_1)
	v_min_i16 v3, v3, s3
	s_cbranch_execnz .LBB201_43
.LBB201_47:
	v_mov_b32_e32 v3, v8
	s_cmp_lt_i32 s9, 1
	s_mov_b32 s11, 0
	s_cbranch_scc0 .LBB201_44
.LBB201_48:
	s_mov_b32 s12, 0
                                        ; implicit-def: $vgpr7
	s_cbranch_execnz .LBB201_51
	s_branch .LBB201_52
.LBB201_49:
	s_mov_b32 s12, -1
                                        ; implicit-def: $vgpr7
.LBB201_50:
	s_branch .LBB201_52
.LBB201_51:
	s_cmp_lg_u32 s9, 0
	s_mov_b32 s11, -1
	s_cselect_b32 s12, -1, 0
.LBB201_52:
	v_max_i16 v8, v4, s10
	s_and_not1_b32 vcc_lo, exec_lo, s12
	s_cbranch_vccz .LBB201_57
; %bb.53:
	s_and_not1_b32 vcc_lo, exec_lo, s11
	s_cbranch_vccz .LBB201_58
.LBB201_54:
	v_lshrrev_b32_e32 v8, 16, v4
	s_cmp_lt_i32 s9, 1
	s_mov_b32 s11, 0
	s_cbranch_scc1 .LBB201_59
.LBB201_55:
	s_cmp_eq_u32 s9, 1
	s_cbranch_scc0 .LBB201_60
; %bb.56:
	v_min_i16 v4, v8, s10
	s_mov_b32 s12, 0
	s_branch .LBB201_61
.LBB201_57:
	v_max_i16 v7, v4, s10
	s_delay_alu instid0(VALU_DEP_1)
	v_min_i16 v7, v7, s3
	s_cbranch_execnz .LBB201_54
.LBB201_58:
	v_dual_mov_b32 v7, v8 :: v_dual_lshrrev_b32 v8, 16, v4
	s_cmp_lt_i32 s9, 1
	s_mov_b32 s11, 0
	s_cbranch_scc0 .LBB201_55
.LBB201_59:
	s_mov_b32 s12, 0
                                        ; implicit-def: $vgpr4
	s_cbranch_execnz .LBB201_62
	s_branch .LBB201_63
.LBB201_60:
	s_mov_b32 s12, -1
                                        ; implicit-def: $vgpr4
.LBB201_61:
	s_branch .LBB201_63
.LBB201_62:
	s_cmp_lg_u32 s9, 0
	s_mov_b32 s11, -1
	s_cselect_b32 s12, -1, 0
.LBB201_63:
	v_max_i16 v9, v8, s10
	s_and_not1_b32 vcc_lo, exec_lo, s12
	s_cbranch_vccz .LBB201_68
; %bb.64:
	s_and_not1_b32 vcc_lo, exec_lo, s11
	s_cbranch_vccz .LBB201_69
.LBB201_65:
	s_cmp_lt_i32 s9, 1
	s_mov_b32 s11, 0
	s_cbranch_scc1 .LBB201_70
.LBB201_66:
	s_cmp_eq_u32 s9, 1
	s_cbranch_scc0 .LBB201_71
; %bb.67:
	v_min_i16 v8, v5, s10
	s_mov_b32 s12, 0
	s_branch .LBB201_72
.LBB201_68:
	v_max_i16 v4, v8, s10
	s_delay_alu instid0(VALU_DEP_1)
	v_min_i16 v4, v4, s3
	s_cbranch_execnz .LBB201_65
.LBB201_69:
	v_mov_b32_e32 v4, v9
	s_cmp_lt_i32 s9, 1
	s_mov_b32 s11, 0
	s_cbranch_scc0 .LBB201_66
.LBB201_70:
	s_mov_b32 s12, 0
                                        ; implicit-def: $vgpr8
	s_cbranch_execnz .LBB201_73
	s_branch .LBB201_74
.LBB201_71:
	s_mov_b32 s12, -1
                                        ; implicit-def: $vgpr8
.LBB201_72:
	s_branch .LBB201_74
.LBB201_73:
	s_cmp_lg_u32 s9, 0
	s_mov_b32 s11, -1
	s_cselect_b32 s12, -1, 0
.LBB201_74:
	v_max_i16 v9, v5, s10
	s_and_not1_b32 vcc_lo, exec_lo, s12
	s_cbranch_vccz .LBB201_79
; %bb.75:
	s_and_not1_b32 vcc_lo, exec_lo, s11
	s_cbranch_vccz .LBB201_80
.LBB201_76:
	v_lshrrev_b32_e32 v9, 16, v5
	s_cmp_lt_i32 s9, 1
	s_mov_b32 s11, 0
	s_cbranch_scc1 .LBB201_81
.LBB201_77:
	s_cmp_eq_u32 s9, 1
	s_cbranch_scc0 .LBB201_82
; %bb.78:
	v_min_i16 v5, v9, s10
	s_mov_b32 s12, 0
	s_branch .LBB201_83
.LBB201_79:
	v_max_i16 v8, v5, s10
	s_delay_alu instid0(VALU_DEP_1)
	v_min_i16 v8, v8, s3
	s_cbranch_execnz .LBB201_76
.LBB201_80:
	v_dual_mov_b32 v8, v9 :: v_dual_lshrrev_b32 v9, 16, v5
	s_cmp_lt_i32 s9, 1
	s_mov_b32 s11, 0
	s_cbranch_scc0 .LBB201_77
.LBB201_81:
	s_mov_b32 s12, 0
                                        ; implicit-def: $vgpr5
	s_cbranch_execnz .LBB201_84
	s_branch .LBB201_85
.LBB201_82:
	s_mov_b32 s12, -1
                                        ; implicit-def: $vgpr5
.LBB201_83:
	s_branch .LBB201_85
.LBB201_84:
	s_cmp_lg_u32 s9, 0
	s_mov_b32 s11, -1
	s_cselect_b32 s12, -1, 0
.LBB201_85:
	v_max_i16 v10, v9, s10
	s_and_not1_b32 vcc_lo, exec_lo, s12
	s_cbranch_vccz .LBB201_110
; %bb.86:
	s_and_not1_b32 vcc_lo, exec_lo, s11
	s_cbranch_vccnz .LBB201_88
.LBB201_87:
	v_mov_b32_e32 v5, v10
.LBB201_88:
	s_delay_alu instid0(VALU_DEP_1)
	v_perm_b32 v5, v5, v8, 0x5040100
	v_perm_b32 v4, v4, v7, 0x5040100
	;; [unrolled: 1-line block ×4, first 2 shown]
	s_add_nc_u64 s[12:13], s[4:5], s[0:1]
	s_mov_b32 s0, 0
	global_store_b128 v0, v[2:5], s[12:13] scale_offset
.LBB201_89:
	s_and_b32 vcc_lo, exec_lo, s0
	s_cbranch_vccz .LBB201_220
; %bb.90:
	v_cmp_gt_i32_e64 s0, s8, v0
	s_wait_xcnt 0x0
	v_dual_mov_b32 v13, 0 :: v_dual_bitop2_b32 v5, s2, v0 bitop3:0x54
	v_or_b32_e32 v6, 0x100, v0
	v_dual_mov_b32 v14, 0 :: v_dual_mov_b32 v1, v0
	s_and_saveexec_b32 s1, s0
	s_cbranch_execz .LBB201_92
; %bb.91:
	global_load_u16 v14, v5, s[6:7] scale_offset
	v_or_b32_e32 v1, 0x100, v0
.LBB201_92:
	s_wait_xcnt 0x0
	s_or_b32 exec_lo, exec_lo, s1
	s_delay_alu instid0(SALU_CYCLE_1) | instskip(NEXT) | instid1(VALU_DEP_1)
	s_mov_b32 s1, exec_lo
	v_cmpx_gt_i32_e64 s8, v1
	s_cbranch_execz .LBB201_94
; %bb.93:
	v_add_nc_u32_e32 v2, s2, v1
	v_add_nc_u32_e32 v1, 0x100, v1
	global_load_u16 v13, v2, s[6:7] scale_offset
.LBB201_94:
	s_wait_xcnt 0x0
	s_or_b32 exec_lo, exec_lo, s1
	v_dual_mov_b32 v11, 0 :: v_dual_mov_b32 v12, 0
	s_mov_b32 s1, exec_lo
	v_cmpx_gt_i32_e64 s8, v1
	s_cbranch_execz .LBB201_96
; %bb.95:
	v_add_nc_u32_e32 v2, s2, v1
	v_add_nc_u32_e32 v1, 0x100, v1
	global_load_u16 v12, v2, s[6:7] scale_offset
.LBB201_96:
	s_wait_xcnt 0x0
	s_or_b32 exec_lo, exec_lo, s1
	s_delay_alu instid0(SALU_CYCLE_1)
	s_mov_b32 s1, exec_lo
	v_cmpx_gt_i32_e64 s8, v1
	s_cbranch_execz .LBB201_98
; %bb.97:
	v_add_nc_u32_e32 v2, s2, v1
	v_add_nc_u32_e32 v1, 0x100, v1
	global_load_u16 v11, v2, s[6:7] scale_offset
.LBB201_98:
	s_wait_xcnt 0x0
	s_or_b32 exec_lo, exec_lo, s1
	v_dual_mov_b32 v9, 0 :: v_dual_mov_b32 v10, 0
	s_mov_b32 s1, exec_lo
	v_cmpx_gt_i32_e64 s8, v1
	s_cbranch_execz .LBB201_100
; %bb.99:
	v_add_nc_u32_e32 v2, s2, v1
	v_add_nc_u32_e32 v1, 0x100, v1
	global_load_u16 v10, v2, s[6:7] scale_offset
.LBB201_100:
	s_wait_xcnt 0x0
	s_or_b32 exec_lo, exec_lo, s1
	s_delay_alu instid0(SALU_CYCLE_1)
	;; [unrolled: 22-line block ×3, first 2 shown]
	s_mov_b32 s1, exec_lo
	v_cmpx_gt_i32_e64 s8, v1
	s_cbranch_execz .LBB201_106
; %bb.105:
	v_add_nc_u32_e32 v1, s2, v1
	global_load_u16 v7, v1, s[6:7] scale_offset
.LBB201_106:
	s_wait_xcnt 0x0
	s_or_b32 exec_lo, exec_lo, s1
	v_mov_b32_e32 v4, 0
	s_lshr_b32 s1, s10, 16
	s_delay_alu instid0(VALU_DEP_1)
	v_dual_mov_b32 v1, v4 :: v_dual_mov_b32 v2, v4
	v_mov_b32_e32 v3, v4
	s_and_saveexec_b32 s3, s0
	s_cbranch_execz .LBB201_119
; %bb.107:
	s_cmp_lt_i32 s9, 1
	s_mov_b32 s6, 0
	s_cbranch_scc1 .LBB201_111
; %bb.108:
	s_cmp_eq_u32 s9, 1
	s_cbranch_scc0 .LBB201_112
; %bb.109:
	s_wait_loadcnt 0x0
	v_min_i16 v2, v14, s10
	s_mov_b32 s7, 0
	s_branch .LBB201_113
.LBB201_110:
	v_max_i16 v5, v9, s10
	s_delay_alu instid0(VALU_DEP_1)
	v_min_i16 v5, v5, s3
	s_cbranch_execz .LBB201_87
	s_branch .LBB201_88
.LBB201_111:
	s_mov_b32 s7, 0
                                        ; implicit-def: $vgpr2
	s_cbranch_execnz .LBB201_114
	s_branch .LBB201_115
.LBB201_112:
	s_mov_b32 s7, -1
                                        ; implicit-def: $vgpr2
.LBB201_113:
	s_branch .LBB201_115
.LBB201_114:
	s_cmp_lg_u32 s9, 0
	s_mov_b32 s6, -1
	s_cselect_b32 s7, -1, 0
.LBB201_115:
	s_wait_loadcnt 0x0
	v_max_i16 v1, v14, s10
	s_and_not1_b32 vcc_lo, exec_lo, s7
	s_cbranch_vccz .LBB201_123
; %bb.116:
	s_and_not1_b32 vcc_lo, exec_lo, s6
	s_cbranch_vccnz .LBB201_118
.LBB201_117:
	v_mov_b32_e32 v2, v1
.LBB201_118:
	v_mov_b32_e32 v1, 0
	s_delay_alu instid0(VALU_DEP_2) | instskip(NEXT) | instid1(VALU_DEP_2)
	v_and_b32_e32 v4, 0xffff, v2
	v_dual_mov_b32 v2, v1 :: v_dual_mov_b32 v3, v1
.LBB201_119:
	s_or_b32 exec_lo, exec_lo, s3
	s_delay_alu instid0(SALU_CYCLE_1)
	s_mov_b32 s3, exec_lo
	v_cmpx_gt_i32_e64 s8, v6
	s_cbranch_execz .LBB201_132
; %bb.120:
	s_cmp_lt_i32 s9, 1
	s_mov_b32 s6, 0
	s_cbranch_scc1 .LBB201_124
; %bb.121:
	s_cmp_eq_u32 s9, 1
	s_cbranch_scc0 .LBB201_125
; %bb.122:
	s_wait_loadcnt 0x0
	v_min_i16 v14, v13, s10
	s_mov_b32 s7, 0
	s_branch .LBB201_126
.LBB201_123:
	v_max_i16 v2, v14, s10
	s_delay_alu instid0(VALU_DEP_1)
	v_min_i16 v2, v2, s1
	s_cbranch_execz .LBB201_117
	s_branch .LBB201_118
.LBB201_124:
	s_mov_b32 s7, 0
                                        ; implicit-def: $vgpr14
	s_cbranch_execnz .LBB201_127
	s_branch .LBB201_128
.LBB201_125:
	s_mov_b32 s7, -1
                                        ; implicit-def: $vgpr14
.LBB201_126:
	s_branch .LBB201_128
.LBB201_127:
	s_cmp_lg_u32 s9, 0
	s_mov_b32 s6, -1
	s_cselect_b32 s7, -1, 0
.LBB201_128:
	s_wait_loadcnt 0x0
	v_max_i16 v15, v13, s10
	s_and_not1_b32 vcc_lo, exec_lo, s7
	s_cbranch_vccz .LBB201_136
; %bb.129:
	s_and_not1_b32 vcc_lo, exec_lo, s6
	s_cbranch_vccnz .LBB201_131
.LBB201_130:
	v_mov_b32_e32 v14, v15
.LBB201_131:
	s_delay_alu instid0(VALU_DEP_1)
	v_perm_b32 v4, v14, v4, 0x5040100
.LBB201_132:
	s_or_b32 exec_lo, exec_lo, s3
	s_wait_loadcnt 0x0
	v_or_b32_e32 v13, 0x200, v0
	s_mov_b32 s3, exec_lo
	s_delay_alu instid0(VALU_DEP_1)
	v_cmpx_gt_i32_e64 s8, v13
	s_cbranch_execz .LBB201_145
; %bb.133:
	s_cmp_lt_i32 s9, 1
	s_mov_b32 s6, 0
	s_cbranch_scc1 .LBB201_137
; %bb.134:
	s_cmp_eq_u32 s9, 1
	s_cbranch_scc0 .LBB201_138
; %bb.135:
	v_min_i16 v13, v12, s10
	s_mov_b32 s7, 0
	s_branch .LBB201_139
.LBB201_136:
	v_max_i16 v13, v13, s10
	s_delay_alu instid0(VALU_DEP_1)
	v_min_i16 v14, v13, s1
	s_cbranch_execz .LBB201_130
	s_branch .LBB201_131
.LBB201_137:
	s_mov_b32 s7, 0
                                        ; implicit-def: $vgpr13
	s_cbranch_execnz .LBB201_140
	s_branch .LBB201_141
.LBB201_138:
	s_mov_b32 s7, -1
                                        ; implicit-def: $vgpr13
.LBB201_139:
	s_branch .LBB201_141
.LBB201_140:
	s_cmp_lg_u32 s9, 0
	s_mov_b32 s6, -1
	s_cselect_b32 s7, -1, 0
.LBB201_141:
	v_max_i16 v14, v12, s10
	s_and_not1_b32 vcc_lo, exec_lo, s7
	s_cbranch_vccz .LBB201_149
; %bb.142:
	s_and_not1_b32 vcc_lo, exec_lo, s6
	s_cbranch_vccnz .LBB201_144
.LBB201_143:
	v_mov_b32_e32 v13, v14
.LBB201_144:
	s_delay_alu instid0(VALU_DEP_1)
	v_bfi_b32 v1, 0xffff, v13, v1
.LBB201_145:
	s_or_b32 exec_lo, exec_lo, s3
	v_or_b32_e32 v12, 0x300, v0
	s_mov_b32 s3, exec_lo
	s_delay_alu instid0(VALU_DEP_1)
	v_cmpx_gt_i32_e64 s8, v12
	s_cbranch_execz .LBB201_158
; %bb.146:
	s_cmp_lt_i32 s9, 1
	s_mov_b32 s6, 0
	s_cbranch_scc1 .LBB201_150
; %bb.147:
	s_cmp_eq_u32 s9, 1
	s_cbranch_scc0 .LBB201_151
; %bb.148:
	v_min_i16 v12, v11, s10
	s_mov_b32 s7, 0
	s_branch .LBB201_152
.LBB201_149:
	v_max_i16 v12, v12, s10
	s_delay_alu instid0(VALU_DEP_1)
	v_min_i16 v13, v12, s1
	s_cbranch_execz .LBB201_143
	s_branch .LBB201_144
.LBB201_150:
	s_mov_b32 s7, 0
                                        ; implicit-def: $vgpr12
	s_cbranch_execnz .LBB201_153
	s_branch .LBB201_154
.LBB201_151:
	s_mov_b32 s7, -1
                                        ; implicit-def: $vgpr12
.LBB201_152:
	s_branch .LBB201_154
.LBB201_153:
	s_cmp_lg_u32 s9, 0
	s_mov_b32 s6, -1
	s_cselect_b32 s7, -1, 0
.LBB201_154:
	v_max_i16 v13, v11, s10
	s_and_not1_b32 vcc_lo, exec_lo, s7
	s_cbranch_vccz .LBB201_162
; %bb.155:
	s_and_not1_b32 vcc_lo, exec_lo, s6
	s_cbranch_vccnz .LBB201_157
.LBB201_156:
	v_mov_b32_e32 v12, v13
.LBB201_157:
	s_delay_alu instid0(VALU_DEP_1)
	v_perm_b32 v1, v12, v1, 0x5040100
.LBB201_158:
	s_or_b32 exec_lo, exec_lo, s3
	v_or_b32_e32 v11, 0x400, v0
	s_mov_b32 s3, exec_lo
	s_delay_alu instid0(VALU_DEP_1)
	v_cmpx_gt_i32_e64 s8, v11
	s_cbranch_execz .LBB201_171
; %bb.159:
	s_cmp_lt_i32 s9, 1
	s_mov_b32 s6, 0
	s_cbranch_scc1 .LBB201_163
; %bb.160:
	s_cmp_eq_u32 s9, 1
	s_cbranch_scc0 .LBB201_164
; %bb.161:
	v_min_i16 v11, v10, s10
	s_mov_b32 s7, 0
	s_branch .LBB201_165
.LBB201_162:
	v_max_i16 v11, v11, s10
	s_delay_alu instid0(VALU_DEP_1)
	v_min_i16 v12, v11, s1
	s_cbranch_execz .LBB201_156
	s_branch .LBB201_157
.LBB201_163:
	s_mov_b32 s7, 0
                                        ; implicit-def: $vgpr11
	s_cbranch_execnz .LBB201_166
	s_branch .LBB201_167
.LBB201_164:
	s_mov_b32 s7, -1
                                        ; implicit-def: $vgpr11
.LBB201_165:
	s_branch .LBB201_167
.LBB201_166:
	s_cmp_lg_u32 s9, 0
	s_mov_b32 s6, -1
	s_cselect_b32 s7, -1, 0
.LBB201_167:
	v_max_i16 v12, v10, s10
	s_and_not1_b32 vcc_lo, exec_lo, s7
	s_cbranch_vccz .LBB201_175
; %bb.168:
	s_and_not1_b32 vcc_lo, exec_lo, s6
	s_cbranch_vccnz .LBB201_170
.LBB201_169:
	v_mov_b32_e32 v11, v12
.LBB201_170:
	s_delay_alu instid0(VALU_DEP_1)
	v_bfi_b32 v2, 0xffff, v11, v2
.LBB201_171:
	s_or_b32 exec_lo, exec_lo, s3
	v_or_b32_e32 v10, 0x500, v0
	s_mov_b32 s3, exec_lo
	s_delay_alu instid0(VALU_DEP_1)
	v_cmpx_gt_i32_e64 s8, v10
	s_cbranch_execz .LBB201_184
; %bb.172:
	s_cmp_lt_i32 s9, 1
	s_mov_b32 s6, 0
	s_cbranch_scc1 .LBB201_176
; %bb.173:
	s_cmp_eq_u32 s9, 1
	s_cbranch_scc0 .LBB201_177
; %bb.174:
	v_min_i16 v10, v9, s10
	s_mov_b32 s7, 0
	s_branch .LBB201_178
.LBB201_175:
	v_max_i16 v10, v10, s10
	s_delay_alu instid0(VALU_DEP_1)
	v_min_i16 v11, v10, s1
	s_cbranch_execz .LBB201_169
	s_branch .LBB201_170
.LBB201_176:
	s_mov_b32 s7, 0
                                        ; implicit-def: $vgpr10
	s_cbranch_execnz .LBB201_179
	s_branch .LBB201_180
.LBB201_177:
	s_mov_b32 s7, -1
                                        ; implicit-def: $vgpr10
.LBB201_178:
	s_branch .LBB201_180
.LBB201_179:
	s_cmp_lg_u32 s9, 0
	s_mov_b32 s6, -1
	s_cselect_b32 s7, -1, 0
.LBB201_180:
	v_max_i16 v11, v9, s10
	s_and_not1_b32 vcc_lo, exec_lo, s7
	s_cbranch_vccz .LBB201_188
; %bb.181:
	s_and_not1_b32 vcc_lo, exec_lo, s6
	s_cbranch_vccnz .LBB201_183
.LBB201_182:
	v_mov_b32_e32 v10, v11
.LBB201_183:
	s_delay_alu instid0(VALU_DEP_1)
	v_perm_b32 v2, v10, v2, 0x5040100
.LBB201_184:
	s_or_b32 exec_lo, exec_lo, s3
	v_or_b32_e32 v9, 0x600, v0
	s_mov_b32 s3, exec_lo
	s_delay_alu instid0(VALU_DEP_1)
	v_cmpx_gt_i32_e64 s8, v9
	s_cbranch_execz .LBB201_197
; %bb.185:
	s_cmp_lt_i32 s9, 1
	s_mov_b32 s6, 0
	s_cbranch_scc1 .LBB201_189
; %bb.186:
	s_cmp_eq_u32 s9, 1
	s_cbranch_scc0 .LBB201_190
; %bb.187:
	v_min_i16 v9, v8, s10
	s_mov_b32 s7, 0
	s_branch .LBB201_191
.LBB201_188:
	v_max_i16 v9, v9, s10
	s_delay_alu instid0(VALU_DEP_1)
	v_min_i16 v10, v9, s1
	s_cbranch_execz .LBB201_182
	s_branch .LBB201_183
.LBB201_189:
	s_mov_b32 s7, 0
                                        ; implicit-def: $vgpr9
	s_cbranch_execnz .LBB201_192
	s_branch .LBB201_193
.LBB201_190:
	s_mov_b32 s7, -1
                                        ; implicit-def: $vgpr9
.LBB201_191:
	s_branch .LBB201_193
.LBB201_192:
	s_cmp_lg_u32 s9, 0
	s_mov_b32 s6, -1
	s_cselect_b32 s7, -1, 0
.LBB201_193:
	v_max_i16 v10, v8, s10
	s_and_not1_b32 vcc_lo, exec_lo, s7
	s_cbranch_vccz .LBB201_201
; %bb.194:
	s_and_not1_b32 vcc_lo, exec_lo, s6
	s_cbranch_vccnz .LBB201_196
.LBB201_195:
	v_mov_b32_e32 v9, v10
.LBB201_196:
	s_delay_alu instid0(VALU_DEP_1)
	v_bfi_b32 v3, 0xffff, v9, v3
.LBB201_197:
	s_or_b32 exec_lo, exec_lo, s3
	v_or_b32_e32 v8, 0x700, v0
	s_mov_b32 s3, exec_lo
	s_delay_alu instid0(VALU_DEP_1)
	v_cmpx_gt_i32_e64 s8, v8
	s_cbranch_execz .LBB201_210
; %bb.198:
	s_cmp_lt_i32 s9, 1
	s_mov_b32 s6, 0
	s_cbranch_scc1 .LBB201_202
; %bb.199:
	s_cmp_eq_u32 s9, 1
	s_cbranch_scc0 .LBB201_203
; %bb.200:
	v_min_i16 v8, v7, s10
	s_mov_b32 s7, 0
	s_branch .LBB201_204
.LBB201_201:
	v_max_i16 v8, v8, s10
	s_delay_alu instid0(VALU_DEP_1)
	v_min_i16 v9, v8, s1
	s_cbranch_execz .LBB201_195
	s_branch .LBB201_196
.LBB201_202:
	s_mov_b32 s7, 0
                                        ; implicit-def: $vgpr8
	s_cbranch_execnz .LBB201_205
	s_branch .LBB201_206
.LBB201_203:
	s_mov_b32 s7, -1
                                        ; implicit-def: $vgpr8
.LBB201_204:
	s_branch .LBB201_206
.LBB201_205:
	s_cmp_lg_u32 s9, 0
	s_mov_b32 s6, -1
	s_cselect_b32 s7, -1, 0
.LBB201_206:
	v_max_i16 v9, v7, s10
	s_and_not1_b32 vcc_lo, exec_lo, s7
	s_cbranch_vccz .LBB201_227
; %bb.207:
	s_and_not1_b32 vcc_lo, exec_lo, s6
	s_cbranch_vccnz .LBB201_209
.LBB201_208:
	v_mov_b32_e32 v8, v9
.LBB201_209:
	s_delay_alu instid0(VALU_DEP_1)
	v_perm_b32 v3, v8, v3, 0x5040100
.LBB201_210:
	s_or_b32 exec_lo, exec_lo, s3
	s_and_saveexec_b32 s1, s0
	s_delay_alu instid0(SALU_CYCLE_1)
	s_xor_b32 s0, exec_lo, s1
	s_cbranch_execz .LBB201_212
; %bb.211:
	v_mov_b32_e32 v0, v6
	global_store_b16 v5, v4, s[4:5] scale_offset
.LBB201_212:
	s_wait_xcnt 0x0
	s_or_b32 exec_lo, exec_lo, s0
	s_delay_alu instid0(SALU_CYCLE_1)
	s_mov_b32 s0, exec_lo
	v_cmpx_gt_i32_e64 s8, v0
	s_cbranch_execnz .LBB201_221
; %bb.213:
	s_or_b32 exec_lo, exec_lo, s0
	s_delay_alu instid0(SALU_CYCLE_1)
	s_mov_b32 s0, exec_lo
	v_cmpx_gt_i32_e64 s8, v0
	s_cbranch_execnz .LBB201_222
.LBB201_214:
	s_or_b32 exec_lo, exec_lo, s0
	s_delay_alu instid0(SALU_CYCLE_1)
	s_mov_b32 s0, exec_lo
	v_cmpx_gt_i32_e64 s8, v0
	s_cbranch_execnz .LBB201_223
.LBB201_215:
	s_or_b32 exec_lo, exec_lo, s0
	s_delay_alu instid0(SALU_CYCLE_1)
	s_mov_b32 s0, exec_lo
	v_cmpx_gt_i32_e64 s8, v0
	s_cbranch_execnz .LBB201_224
.LBB201_216:
	s_or_b32 exec_lo, exec_lo, s0
	s_delay_alu instid0(SALU_CYCLE_1)
	s_mov_b32 s0, exec_lo
	v_cmpx_gt_i32_e64 s8, v0
	s_cbranch_execnz .LBB201_225
.LBB201_217:
	s_or_b32 exec_lo, exec_lo, s0
	s_delay_alu instid0(SALU_CYCLE_1)
	s_mov_b32 s0, exec_lo
	v_cmpx_gt_i32_e64 s8, v0
	s_cbranch_execnz .LBB201_226
.LBB201_218:
	s_or_b32 exec_lo, exec_lo, s0
	s_delay_alu instid0(SALU_CYCLE_1)
	s_mov_b32 s0, exec_lo
	v_cmpx_gt_i32_e64 s8, v0
	s_cbranch_execz .LBB201_220
.LBB201_219:
	v_add_nc_u32_e32 v0, s2, v0
	global_store_d16_hi_b16 v0, v3, s[4:5] scale_offset
.LBB201_220:
	s_endpgm
.LBB201_221:
	v_add_nc_u32_e32 v5, s2, v0
	v_add_nc_u32_e32 v0, 0x100, v0
	global_store_d16_hi_b16 v5, v4, s[4:5] scale_offset
	s_wait_xcnt 0x0
	s_or_b32 exec_lo, exec_lo, s0
	s_delay_alu instid0(SALU_CYCLE_1)
	s_mov_b32 s0, exec_lo
	v_cmpx_gt_i32_e64 s8, v0
	s_cbranch_execz .LBB201_214
.LBB201_222:
	v_add_nc_u32_e32 v4, s2, v0
	v_add_nc_u32_e32 v0, 0x100, v0
	global_store_b16 v4, v1, s[4:5] scale_offset
	s_wait_xcnt 0x0
	s_or_b32 exec_lo, exec_lo, s0
	s_delay_alu instid0(SALU_CYCLE_1)
	s_mov_b32 s0, exec_lo
	v_cmpx_gt_i32_e64 s8, v0
	s_cbranch_execz .LBB201_215
.LBB201_223:
	v_add_nc_u32_e32 v4, s2, v0
	v_add_nc_u32_e32 v0, 0x100, v0
	global_store_d16_hi_b16 v4, v1, s[4:5] scale_offset
	s_wait_xcnt 0x0
	s_or_b32 exec_lo, exec_lo, s0
	s_delay_alu instid0(SALU_CYCLE_1)
	s_mov_b32 s0, exec_lo
	v_cmpx_gt_i32_e64 s8, v0
	s_cbranch_execz .LBB201_216
.LBB201_224:
	v_add_nc_u32_e32 v1, s2, v0
	v_add_nc_u32_e32 v0, 0x100, v0
	global_store_b16 v1, v2, s[4:5] scale_offset
	s_wait_xcnt 0x0
	s_or_b32 exec_lo, exec_lo, s0
	s_delay_alu instid0(SALU_CYCLE_1)
	s_mov_b32 s0, exec_lo
	v_cmpx_gt_i32_e64 s8, v0
	s_cbranch_execz .LBB201_217
.LBB201_225:
	v_add_nc_u32_e32 v1, s2, v0
	v_add_nc_u32_e32 v0, 0x100, v0
	global_store_d16_hi_b16 v1, v2, s[4:5] scale_offset
	s_wait_xcnt 0x0
	s_or_b32 exec_lo, exec_lo, s0
	s_delay_alu instid0(SALU_CYCLE_1)
	s_mov_b32 s0, exec_lo
	v_cmpx_gt_i32_e64 s8, v0
	s_cbranch_execz .LBB201_218
.LBB201_226:
	v_add_nc_u32_e32 v1, s2, v0
	v_add_nc_u32_e32 v0, 0x100, v0
	global_store_b16 v1, v3, s[4:5] scale_offset
	s_wait_xcnt 0x0
	s_or_b32 exec_lo, exec_lo, s0
	s_delay_alu instid0(SALU_CYCLE_1)
	s_mov_b32 s0, exec_lo
	v_cmpx_gt_i32_e64 s8, v0
	s_cbranch_execnz .LBB201_219
	s_branch .LBB201_220
.LBB201_227:
	v_max_i16 v7, v7, s10
	s_delay_alu instid0(VALU_DEP_1)
	v_min_i16 v8, v7, s1
	s_cbranch_execz .LBB201_208
	s_branch .LBB201_209
	.section	.rodata,"a",@progbits
	.p2align	6, 0x0
	.amdhsa_kernel _ZN2at6native29vectorized_elementwise_kernelILi8EZZZNS0_12_GLOBAL__N_119launch_clamp_scalarERNS_18TensorIteratorBaseEN3c106ScalarES6_NS0_6detail11ClampLimitsEENKUlvE_clEvENKUlvE3_clEvEUlsE_St5arrayIPcLm2EEEEviT0_T1_
		.amdhsa_group_segment_fixed_size 0
		.amdhsa_private_segment_fixed_size 0
		.amdhsa_kernarg_size 32
		.amdhsa_user_sgpr_count 2
		.amdhsa_user_sgpr_dispatch_ptr 0
		.amdhsa_user_sgpr_queue_ptr 0
		.amdhsa_user_sgpr_kernarg_segment_ptr 1
		.amdhsa_user_sgpr_dispatch_id 0
		.amdhsa_user_sgpr_kernarg_preload_length 0
		.amdhsa_user_sgpr_kernarg_preload_offset 0
		.amdhsa_user_sgpr_private_segment_size 0
		.amdhsa_wavefront_size32 1
		.amdhsa_uses_dynamic_stack 0
		.amdhsa_enable_private_segment 0
		.amdhsa_system_sgpr_workgroup_id_x 1
		.amdhsa_system_sgpr_workgroup_id_y 0
		.amdhsa_system_sgpr_workgroup_id_z 0
		.amdhsa_system_sgpr_workgroup_info 0
		.amdhsa_system_vgpr_workitem_id 0
		.amdhsa_next_free_vgpr 16
		.amdhsa_next_free_sgpr 14
		.amdhsa_named_barrier_count 0
		.amdhsa_reserve_vcc 1
		.amdhsa_float_round_mode_32 0
		.amdhsa_float_round_mode_16_64 0
		.amdhsa_float_denorm_mode_32 3
		.amdhsa_float_denorm_mode_16_64 3
		.amdhsa_fp16_overflow 0
		.amdhsa_memory_ordered 1
		.amdhsa_forward_progress 1
		.amdhsa_inst_pref_size 29
		.amdhsa_round_robin_scheduling 0
		.amdhsa_exception_fp_ieee_invalid_op 0
		.amdhsa_exception_fp_denorm_src 0
		.amdhsa_exception_fp_ieee_div_zero 0
		.amdhsa_exception_fp_ieee_overflow 0
		.amdhsa_exception_fp_ieee_underflow 0
		.amdhsa_exception_fp_ieee_inexact 0
		.amdhsa_exception_int_div_zero 0
	.end_amdhsa_kernel
	.section	.text._ZN2at6native29vectorized_elementwise_kernelILi8EZZZNS0_12_GLOBAL__N_119launch_clamp_scalarERNS_18TensorIteratorBaseEN3c106ScalarES6_NS0_6detail11ClampLimitsEENKUlvE_clEvENKUlvE3_clEvEUlsE_St5arrayIPcLm2EEEEviT0_T1_,"axG",@progbits,_ZN2at6native29vectorized_elementwise_kernelILi8EZZZNS0_12_GLOBAL__N_119launch_clamp_scalarERNS_18TensorIteratorBaseEN3c106ScalarES6_NS0_6detail11ClampLimitsEENKUlvE_clEvENKUlvE3_clEvEUlsE_St5arrayIPcLm2EEEEviT0_T1_,comdat
.Lfunc_end201:
	.size	_ZN2at6native29vectorized_elementwise_kernelILi8EZZZNS0_12_GLOBAL__N_119launch_clamp_scalarERNS_18TensorIteratorBaseEN3c106ScalarES6_NS0_6detail11ClampLimitsEENKUlvE_clEvENKUlvE3_clEvEUlsE_St5arrayIPcLm2EEEEviT0_T1_, .Lfunc_end201-_ZN2at6native29vectorized_elementwise_kernelILi8EZZZNS0_12_GLOBAL__N_119launch_clamp_scalarERNS_18TensorIteratorBaseEN3c106ScalarES6_NS0_6detail11ClampLimitsEENKUlvE_clEvENKUlvE3_clEvEUlsE_St5arrayIPcLm2EEEEviT0_T1_
                                        ; -- End function
	.set _ZN2at6native29vectorized_elementwise_kernelILi8EZZZNS0_12_GLOBAL__N_119launch_clamp_scalarERNS_18TensorIteratorBaseEN3c106ScalarES6_NS0_6detail11ClampLimitsEENKUlvE_clEvENKUlvE3_clEvEUlsE_St5arrayIPcLm2EEEEviT0_T1_.num_vgpr, 16
	.set _ZN2at6native29vectorized_elementwise_kernelILi8EZZZNS0_12_GLOBAL__N_119launch_clamp_scalarERNS_18TensorIteratorBaseEN3c106ScalarES6_NS0_6detail11ClampLimitsEENKUlvE_clEvENKUlvE3_clEvEUlsE_St5arrayIPcLm2EEEEviT0_T1_.num_agpr, 0
	.set _ZN2at6native29vectorized_elementwise_kernelILi8EZZZNS0_12_GLOBAL__N_119launch_clamp_scalarERNS_18TensorIteratorBaseEN3c106ScalarES6_NS0_6detail11ClampLimitsEENKUlvE_clEvENKUlvE3_clEvEUlsE_St5arrayIPcLm2EEEEviT0_T1_.numbered_sgpr, 14
	.set _ZN2at6native29vectorized_elementwise_kernelILi8EZZZNS0_12_GLOBAL__N_119launch_clamp_scalarERNS_18TensorIteratorBaseEN3c106ScalarES6_NS0_6detail11ClampLimitsEENKUlvE_clEvENKUlvE3_clEvEUlsE_St5arrayIPcLm2EEEEviT0_T1_.num_named_barrier, 0
	.set _ZN2at6native29vectorized_elementwise_kernelILi8EZZZNS0_12_GLOBAL__N_119launch_clamp_scalarERNS_18TensorIteratorBaseEN3c106ScalarES6_NS0_6detail11ClampLimitsEENKUlvE_clEvENKUlvE3_clEvEUlsE_St5arrayIPcLm2EEEEviT0_T1_.private_seg_size, 0
	.set _ZN2at6native29vectorized_elementwise_kernelILi8EZZZNS0_12_GLOBAL__N_119launch_clamp_scalarERNS_18TensorIteratorBaseEN3c106ScalarES6_NS0_6detail11ClampLimitsEENKUlvE_clEvENKUlvE3_clEvEUlsE_St5arrayIPcLm2EEEEviT0_T1_.uses_vcc, 1
	.set _ZN2at6native29vectorized_elementwise_kernelILi8EZZZNS0_12_GLOBAL__N_119launch_clamp_scalarERNS_18TensorIteratorBaseEN3c106ScalarES6_NS0_6detail11ClampLimitsEENKUlvE_clEvENKUlvE3_clEvEUlsE_St5arrayIPcLm2EEEEviT0_T1_.uses_flat_scratch, 0
	.set _ZN2at6native29vectorized_elementwise_kernelILi8EZZZNS0_12_GLOBAL__N_119launch_clamp_scalarERNS_18TensorIteratorBaseEN3c106ScalarES6_NS0_6detail11ClampLimitsEENKUlvE_clEvENKUlvE3_clEvEUlsE_St5arrayIPcLm2EEEEviT0_T1_.has_dyn_sized_stack, 0
	.set _ZN2at6native29vectorized_elementwise_kernelILi8EZZZNS0_12_GLOBAL__N_119launch_clamp_scalarERNS_18TensorIteratorBaseEN3c106ScalarES6_NS0_6detail11ClampLimitsEENKUlvE_clEvENKUlvE3_clEvEUlsE_St5arrayIPcLm2EEEEviT0_T1_.has_recursion, 0
	.set _ZN2at6native29vectorized_elementwise_kernelILi8EZZZNS0_12_GLOBAL__N_119launch_clamp_scalarERNS_18TensorIteratorBaseEN3c106ScalarES6_NS0_6detail11ClampLimitsEENKUlvE_clEvENKUlvE3_clEvEUlsE_St5arrayIPcLm2EEEEviT0_T1_.has_indirect_call, 0
	.section	.AMDGPU.csdata,"",@progbits
; Kernel info:
; codeLenInByte = 3684
; TotalNumSgprs: 16
; NumVgprs: 16
; ScratchSize: 0
; MemoryBound: 0
; FloatMode: 240
; IeeeMode: 1
; LDSByteSize: 0 bytes/workgroup (compile time only)
; SGPRBlocks: 0
; VGPRBlocks: 0
; NumSGPRsForWavesPerEU: 16
; NumVGPRsForWavesPerEU: 16
; NamedBarCnt: 0
; Occupancy: 16
; WaveLimiterHint : 0
; COMPUTE_PGM_RSRC2:SCRATCH_EN: 0
; COMPUTE_PGM_RSRC2:USER_SGPR: 2
; COMPUTE_PGM_RSRC2:TRAP_HANDLER: 0
; COMPUTE_PGM_RSRC2:TGID_X_EN: 1
; COMPUTE_PGM_RSRC2:TGID_Y_EN: 0
; COMPUTE_PGM_RSRC2:TGID_Z_EN: 0
; COMPUTE_PGM_RSRC2:TIDIG_COMP_CNT: 0
	.section	.text._ZN2at6native29vectorized_elementwise_kernelILi4EZZZNS0_12_GLOBAL__N_119launch_clamp_scalarERNS_18TensorIteratorBaseEN3c106ScalarES6_NS0_6detail11ClampLimitsEENKUlvE_clEvENKUlvE3_clEvEUlsE_St5arrayIPcLm2EEEEviT0_T1_,"axG",@progbits,_ZN2at6native29vectorized_elementwise_kernelILi4EZZZNS0_12_GLOBAL__N_119launch_clamp_scalarERNS_18TensorIteratorBaseEN3c106ScalarES6_NS0_6detail11ClampLimitsEENKUlvE_clEvENKUlvE3_clEvEUlsE_St5arrayIPcLm2EEEEviT0_T1_,comdat
	.globl	_ZN2at6native29vectorized_elementwise_kernelILi4EZZZNS0_12_GLOBAL__N_119launch_clamp_scalarERNS_18TensorIteratorBaseEN3c106ScalarES6_NS0_6detail11ClampLimitsEENKUlvE_clEvENKUlvE3_clEvEUlsE_St5arrayIPcLm2EEEEviT0_T1_ ; -- Begin function _ZN2at6native29vectorized_elementwise_kernelILi4EZZZNS0_12_GLOBAL__N_119launch_clamp_scalarERNS_18TensorIteratorBaseEN3c106ScalarES6_NS0_6detail11ClampLimitsEENKUlvE_clEvENKUlvE3_clEvEUlsE_St5arrayIPcLm2EEEEviT0_T1_
	.p2align	8
	.type	_ZN2at6native29vectorized_elementwise_kernelILi4EZZZNS0_12_GLOBAL__N_119launch_clamp_scalarERNS_18TensorIteratorBaseEN3c106ScalarES6_NS0_6detail11ClampLimitsEENKUlvE_clEvENKUlvE3_clEvEUlsE_St5arrayIPcLm2EEEEviT0_T1_,@function
_ZN2at6native29vectorized_elementwise_kernelILi4EZZZNS0_12_GLOBAL__N_119launch_clamp_scalarERNS_18TensorIteratorBaseEN3c106ScalarES6_NS0_6detail11ClampLimitsEENKUlvE_clEvENKUlvE3_clEvEUlsE_St5arrayIPcLm2EEEEviT0_T1_: ; @_ZN2at6native29vectorized_elementwise_kernelILi4EZZZNS0_12_GLOBAL__N_119launch_clamp_scalarERNS_18TensorIteratorBaseEN3c106ScalarES6_NS0_6detail11ClampLimitsEENKUlvE_clEvENKUlvE3_clEvEUlsE_St5arrayIPcLm2EEEEviT0_T1_
; %bb.0:
	s_clause 0x1
	s_load_b96 s[8:10], s[0:1], 0x0
	s_load_b128 s[4:7], s[0:1], 0x10
	s_wait_xcnt 0x0
	s_bfe_u32 s0, ttmp6, 0x4000c
	s_and_b32 s1, ttmp6, 15
	s_add_co_i32 s0, s0, 1
	s_getreg_b32 s2, hwreg(HW_REG_IB_STS2, 6, 4)
	s_mul_i32 s0, ttmp9, s0
	s_mov_b32 s11, 0
	s_add_co_i32 s1, s1, s0
	s_cmp_eq_u32 s2, 0
	s_cselect_b32 s0, ttmp9, s1
	s_delay_alu instid0(SALU_CYCLE_1) | instskip(SKIP_3) | instid1(SALU_CYCLE_1)
	s_lshl_b32 s2, s0, 11
	s_mov_b32 s0, -1
	s_wait_kmcnt 0x0
	s_sub_co_i32 s8, s8, s2
	s_cmp_gt_i32 s8, 0x7ff
	s_cbranch_scc0 .LBB202_89
; %bb.1:
	s_ashr_i32 s3, s2, 31
	s_delay_alu instid0(SALU_CYCLE_1)
	s_lshl_b64 s[0:1], s[2:3], 1
	s_cmp_lt_i32 s9, 1
	s_add_nc_u64 s[12:13], s[6:7], s[0:1]
	s_clause 0x1
	global_load_b64 v[4:5], v0, s[12:13] scale_offset
	global_load_b64 v[2:3], v0, s[12:13] offset:2048 scale_offset
	s_cbranch_scc1 .LBB202_4
; %bb.2:
	s_cmp_eq_u32 s9, 1
	s_cbranch_scc0 .LBB202_5
; %bb.3:
	s_wait_loadcnt 0x1
	v_min_i16 v1, v4, s10
	s_branch .LBB202_6
.LBB202_4:
                                        ; implicit-def: $vgpr1
	s_wait_xcnt 0x0
	s_mov_b32 s12, 0
	s_cbranch_execnz .LBB202_7
	s_branch .LBB202_8
.LBB202_5:
	s_mov_b32 s11, -1
                                        ; implicit-def: $vgpr1
.LBB202_6:
	s_wait_xcnt 0x0
	s_mov_b32 s12, 0
	s_branch .LBB202_8
.LBB202_7:
	s_cmp_lg_u32 s9, 0
	s_mov_b32 s12, -1
	s_cselect_b32 s11, -1, 0
.LBB202_8:
	s_wait_loadcnt 0x1
	v_max_i16 v6, v4, s10
	s_and_not1_b32 vcc_lo, exec_lo, s11
	s_lshr_b32 s3, s10, 16
	s_cbranch_vccz .LBB202_13
; %bb.9:
	s_and_not1_b32 vcc_lo, exec_lo, s12
	s_cbranch_vccz .LBB202_14
.LBB202_10:
	v_lshrrev_b32_e32 v6, 16, v4
	s_cmp_lt_i32 s9, 1
	s_mov_b32 s11, 0
	s_cbranch_scc1 .LBB202_15
.LBB202_11:
	s_cmp_eq_u32 s9, 1
	s_cbranch_scc0 .LBB202_16
; %bb.12:
	v_min_i16 v4, v6, s10
	s_mov_b32 s12, 0
	s_branch .LBB202_17
.LBB202_13:
	v_max_i16 v1, v4, s10
	s_delay_alu instid0(VALU_DEP_1)
	v_min_i16 v1, v1, s3
	s_cbranch_execnz .LBB202_10
.LBB202_14:
	v_dual_mov_b32 v1, v6 :: v_dual_lshrrev_b32 v6, 16, v4
	s_cmp_lt_i32 s9, 1
	s_mov_b32 s11, 0
	s_cbranch_scc0 .LBB202_11
.LBB202_15:
	s_mov_b32 s12, 0
                                        ; implicit-def: $vgpr4
	s_cbranch_execnz .LBB202_18
	s_branch .LBB202_19
.LBB202_16:
	s_mov_b32 s12, -1
                                        ; implicit-def: $vgpr4
.LBB202_17:
	s_branch .LBB202_19
.LBB202_18:
	s_cmp_lg_u32 s9, 0
	s_mov_b32 s11, -1
	s_cselect_b32 s12, -1, 0
.LBB202_19:
	v_max_i16 v7, v6, s10
	s_and_not1_b32 vcc_lo, exec_lo, s12
	s_cbranch_vccz .LBB202_24
; %bb.20:
	s_and_not1_b32 vcc_lo, exec_lo, s11
	s_cbranch_vccz .LBB202_25
.LBB202_21:
	s_cmp_lt_i32 s9, 1
	s_mov_b32 s11, 0
	s_cbranch_scc1 .LBB202_26
.LBB202_22:
	s_cmp_eq_u32 s9, 1
	s_cbranch_scc0 .LBB202_27
; %bb.23:
	v_min_i16 v6, v5, s10
	s_mov_b32 s12, 0
	s_branch .LBB202_28
.LBB202_24:
	v_max_i16 v4, v6, s10
	s_delay_alu instid0(VALU_DEP_1)
	v_min_i16 v4, v4, s3
	s_cbranch_execnz .LBB202_21
.LBB202_25:
	v_mov_b32_e32 v4, v7
	s_cmp_lt_i32 s9, 1
	s_mov_b32 s11, 0
	s_cbranch_scc0 .LBB202_22
.LBB202_26:
	s_mov_b32 s12, 0
                                        ; implicit-def: $vgpr6
	s_cbranch_execnz .LBB202_29
	s_branch .LBB202_30
.LBB202_27:
	s_mov_b32 s12, -1
                                        ; implicit-def: $vgpr6
.LBB202_28:
	s_branch .LBB202_30
.LBB202_29:
	s_cmp_lg_u32 s9, 0
	s_mov_b32 s11, -1
	s_cselect_b32 s12, -1, 0
.LBB202_30:
	v_max_i16 v7, v5, s10
	s_and_not1_b32 vcc_lo, exec_lo, s12
	s_cbranch_vccz .LBB202_35
; %bb.31:
	s_and_not1_b32 vcc_lo, exec_lo, s11
	s_cbranch_vccz .LBB202_36
.LBB202_32:
	v_lshrrev_b32_e32 v7, 16, v5
	s_cmp_lt_i32 s9, 1
	s_mov_b32 s11, 0
	s_cbranch_scc1 .LBB202_37
.LBB202_33:
	s_cmp_eq_u32 s9, 1
	s_cbranch_scc0 .LBB202_38
; %bb.34:
	v_min_i16 v5, v7, s10
	s_mov_b32 s12, 0
	s_branch .LBB202_39
.LBB202_35:
	v_max_i16 v6, v5, s10
	s_delay_alu instid0(VALU_DEP_1)
	v_min_i16 v6, v6, s3
	s_cbranch_execnz .LBB202_32
.LBB202_36:
	v_dual_mov_b32 v6, v7 :: v_dual_lshrrev_b32 v7, 16, v5
	s_cmp_lt_i32 s9, 1
	s_mov_b32 s11, 0
	s_cbranch_scc0 .LBB202_33
.LBB202_37:
	s_mov_b32 s12, 0
                                        ; implicit-def: $vgpr5
	s_cbranch_execnz .LBB202_40
	s_branch .LBB202_41
.LBB202_38:
	s_mov_b32 s12, -1
                                        ; implicit-def: $vgpr5
.LBB202_39:
	s_branch .LBB202_41
.LBB202_40:
	s_cmp_lg_u32 s9, 0
	s_mov_b32 s11, -1
	s_cselect_b32 s12, -1, 0
.LBB202_41:
	v_max_i16 v8, v7, s10
	s_and_not1_b32 vcc_lo, exec_lo, s12
	s_cbranch_vccz .LBB202_46
; %bb.42:
	s_and_not1_b32 vcc_lo, exec_lo, s11
	s_cbranch_vccz .LBB202_47
.LBB202_43:
	s_cmp_lt_i32 s9, 1
	s_mov_b32 s11, 0
	s_cbranch_scc1 .LBB202_48
.LBB202_44:
	s_cmp_eq_u32 s9, 1
	s_cbranch_scc0 .LBB202_49
; %bb.45:
	s_wait_loadcnt 0x0
	v_min_i16 v7, v2, s10
	s_mov_b32 s12, 0
	s_branch .LBB202_50
.LBB202_46:
	v_max_i16 v5, v7, s10
	s_delay_alu instid0(VALU_DEP_1)
	v_min_i16 v5, v5, s3
	s_cbranch_execnz .LBB202_43
.LBB202_47:
	v_mov_b32_e32 v5, v8
	s_cmp_lt_i32 s9, 1
	s_mov_b32 s11, 0
	s_cbranch_scc0 .LBB202_44
.LBB202_48:
	s_mov_b32 s12, 0
                                        ; implicit-def: $vgpr7
	s_cbranch_execnz .LBB202_51
	s_branch .LBB202_52
.LBB202_49:
	s_mov_b32 s12, -1
                                        ; implicit-def: $vgpr7
.LBB202_50:
	s_branch .LBB202_52
.LBB202_51:
	s_cmp_lg_u32 s9, 0
	s_mov_b32 s11, -1
	s_cselect_b32 s12, -1, 0
.LBB202_52:
	s_wait_loadcnt 0x0
	v_max_i16 v8, v2, s10
	s_and_not1_b32 vcc_lo, exec_lo, s12
	s_cbranch_vccz .LBB202_57
; %bb.53:
	s_and_not1_b32 vcc_lo, exec_lo, s11
	s_cbranch_vccz .LBB202_58
.LBB202_54:
	v_lshrrev_b32_e32 v8, 16, v2
	s_cmp_lt_i32 s9, 1
	s_mov_b32 s11, 0
	s_cbranch_scc1 .LBB202_59
.LBB202_55:
	s_cmp_eq_u32 s9, 1
	s_cbranch_scc0 .LBB202_60
; %bb.56:
	v_min_i16 v2, v8, s10
	s_mov_b32 s12, 0
	s_branch .LBB202_61
.LBB202_57:
	v_max_i16 v7, v2, s10
	s_delay_alu instid0(VALU_DEP_1)
	v_min_i16 v7, v7, s3
	s_cbranch_execnz .LBB202_54
.LBB202_58:
	v_dual_mov_b32 v7, v8 :: v_dual_lshrrev_b32 v8, 16, v2
	s_cmp_lt_i32 s9, 1
	s_mov_b32 s11, 0
	s_cbranch_scc0 .LBB202_55
.LBB202_59:
	s_mov_b32 s12, 0
                                        ; implicit-def: $vgpr2
	s_cbranch_execnz .LBB202_62
	s_branch .LBB202_63
.LBB202_60:
	s_mov_b32 s12, -1
                                        ; implicit-def: $vgpr2
.LBB202_61:
	s_branch .LBB202_63
.LBB202_62:
	s_cmp_lg_u32 s9, 0
	s_mov_b32 s11, -1
	s_cselect_b32 s12, -1, 0
.LBB202_63:
	v_max_i16 v9, v8, s10
	s_and_not1_b32 vcc_lo, exec_lo, s12
	s_cbranch_vccz .LBB202_68
; %bb.64:
	s_and_not1_b32 vcc_lo, exec_lo, s11
	s_cbranch_vccz .LBB202_69
.LBB202_65:
	s_cmp_lt_i32 s9, 1
	s_mov_b32 s11, 0
	s_cbranch_scc1 .LBB202_70
.LBB202_66:
	s_cmp_eq_u32 s9, 1
	s_cbranch_scc0 .LBB202_71
; %bb.67:
	v_min_i16 v8, v3, s10
	s_mov_b32 s12, 0
	s_branch .LBB202_72
.LBB202_68:
	v_max_i16 v2, v8, s10
	s_delay_alu instid0(VALU_DEP_1)
	v_min_i16 v2, v2, s3
	s_cbranch_execnz .LBB202_65
.LBB202_69:
	v_mov_b32_e32 v2, v9
	s_cmp_lt_i32 s9, 1
	s_mov_b32 s11, 0
	s_cbranch_scc0 .LBB202_66
.LBB202_70:
	s_mov_b32 s12, 0
                                        ; implicit-def: $vgpr8
	s_cbranch_execnz .LBB202_73
	s_branch .LBB202_74
.LBB202_71:
	s_mov_b32 s12, -1
                                        ; implicit-def: $vgpr8
.LBB202_72:
	s_branch .LBB202_74
.LBB202_73:
	s_cmp_lg_u32 s9, 0
	s_mov_b32 s11, -1
	s_cselect_b32 s12, -1, 0
.LBB202_74:
	v_max_i16 v9, v3, s10
	s_and_not1_b32 vcc_lo, exec_lo, s12
	s_cbranch_vccz .LBB202_79
; %bb.75:
	s_and_not1_b32 vcc_lo, exec_lo, s11
	s_cbranch_vccz .LBB202_80
.LBB202_76:
	v_lshrrev_b32_e32 v9, 16, v3
	s_cmp_lt_i32 s9, 1
	s_mov_b32 s11, 0
	s_cbranch_scc1 .LBB202_81
.LBB202_77:
	s_cmp_eq_u32 s9, 1
	s_cbranch_scc0 .LBB202_82
; %bb.78:
	v_min_i16 v3, v9, s10
	s_mov_b32 s12, 0
	s_branch .LBB202_83
.LBB202_79:
	v_max_i16 v8, v3, s10
	s_delay_alu instid0(VALU_DEP_1)
	v_min_i16 v8, v8, s3
	s_cbranch_execnz .LBB202_76
.LBB202_80:
	v_dual_mov_b32 v8, v9 :: v_dual_lshrrev_b32 v9, 16, v3
	s_cmp_lt_i32 s9, 1
	s_mov_b32 s11, 0
	s_cbranch_scc0 .LBB202_77
.LBB202_81:
	s_mov_b32 s12, 0
                                        ; implicit-def: $vgpr3
	s_cbranch_execnz .LBB202_84
	s_branch .LBB202_85
.LBB202_82:
	s_mov_b32 s12, -1
                                        ; implicit-def: $vgpr3
.LBB202_83:
	s_branch .LBB202_85
.LBB202_84:
	s_cmp_lg_u32 s9, 0
	s_mov_b32 s11, -1
	s_cselect_b32 s12, -1, 0
.LBB202_85:
	v_max_i16 v10, v9, s10
	s_and_not1_b32 vcc_lo, exec_lo, s12
	s_cbranch_vccz .LBB202_110
; %bb.86:
	s_and_not1_b32 vcc_lo, exec_lo, s11
	s_cbranch_vccnz .LBB202_88
.LBB202_87:
	v_mov_b32_e32 v3, v10
.LBB202_88:
	v_perm_b32 v5, v5, v6, 0x5040100
	v_perm_b32 v4, v4, v1, 0x5040100
	s_delay_alu instid0(VALU_DEP_3)
	v_perm_b32 v3, v3, v8, 0x5040100
	v_perm_b32 v2, v2, v7, 0x5040100
	s_add_nc_u64 s[12:13], s[4:5], s[0:1]
	s_mov_b32 s0, 0
	s_clause 0x1
	global_store_b64 v0, v[4:5], s[12:13] scale_offset
	global_store_b64 v0, v[2:3], s[12:13] offset:2048 scale_offset
.LBB202_89:
	s_and_b32 vcc_lo, exec_lo, s0
	s_cbranch_vccz .LBB202_220
; %bb.90:
	v_cmp_gt_i32_e64 s0, s8, v0
	s_wait_xcnt 0x1
	v_dual_mov_b32 v13, 0 :: v_dual_bitop2_b32 v5, s2, v0 bitop3:0x54
	v_or_b32_e32 v6, 0x100, v0
	v_dual_mov_b32 v14, 0 :: v_dual_mov_b32 v1, v0
	s_wait_xcnt 0x0
	s_and_saveexec_b32 s1, s0
	s_cbranch_execz .LBB202_92
; %bb.91:
	global_load_u16 v14, v5, s[6:7] scale_offset
	v_or_b32_e32 v1, 0x100, v0
.LBB202_92:
	s_wait_xcnt 0x0
	s_or_b32 exec_lo, exec_lo, s1
	s_delay_alu instid0(SALU_CYCLE_1) | instskip(NEXT) | instid1(VALU_DEP_1)
	s_mov_b32 s1, exec_lo
	v_cmpx_gt_i32_e64 s8, v1
	s_cbranch_execz .LBB202_94
; %bb.93:
	v_add_nc_u32_e32 v2, s2, v1
	v_add_nc_u32_e32 v1, 0x100, v1
	global_load_u16 v13, v2, s[6:7] scale_offset
.LBB202_94:
	s_wait_xcnt 0x0
	s_or_b32 exec_lo, exec_lo, s1
	v_dual_mov_b32 v11, 0 :: v_dual_mov_b32 v12, 0
	s_mov_b32 s1, exec_lo
	v_cmpx_gt_i32_e64 s8, v1
	s_cbranch_execz .LBB202_96
; %bb.95:
	v_add_nc_u32_e32 v2, s2, v1
	v_add_nc_u32_e32 v1, 0x100, v1
	global_load_u16 v12, v2, s[6:7] scale_offset
.LBB202_96:
	s_wait_xcnt 0x0
	s_or_b32 exec_lo, exec_lo, s1
	s_delay_alu instid0(SALU_CYCLE_1)
	s_mov_b32 s1, exec_lo
	v_cmpx_gt_i32_e64 s8, v1
	s_cbranch_execz .LBB202_98
; %bb.97:
	v_add_nc_u32_e32 v2, s2, v1
	v_add_nc_u32_e32 v1, 0x100, v1
	global_load_u16 v11, v2, s[6:7] scale_offset
.LBB202_98:
	s_wait_xcnt 0x0
	s_or_b32 exec_lo, exec_lo, s1
	v_dual_mov_b32 v9, 0 :: v_dual_mov_b32 v10, 0
	s_mov_b32 s1, exec_lo
	v_cmpx_gt_i32_e64 s8, v1
	s_cbranch_execz .LBB202_100
; %bb.99:
	v_add_nc_u32_e32 v2, s2, v1
	v_add_nc_u32_e32 v1, 0x100, v1
	global_load_u16 v10, v2, s[6:7] scale_offset
.LBB202_100:
	s_wait_xcnt 0x0
	s_or_b32 exec_lo, exec_lo, s1
	s_delay_alu instid0(SALU_CYCLE_1)
	;; [unrolled: 22-line block ×3, first 2 shown]
	s_mov_b32 s1, exec_lo
	v_cmpx_gt_i32_e64 s8, v1
	s_cbranch_execz .LBB202_106
; %bb.105:
	v_add_nc_u32_e32 v1, s2, v1
	global_load_u16 v7, v1, s[6:7] scale_offset
.LBB202_106:
	s_wait_xcnt 0x0
	s_or_b32 exec_lo, exec_lo, s1
	v_mov_b32_e32 v4, 0
	s_lshr_b32 s1, s10, 16
	s_delay_alu instid0(VALU_DEP_1)
	v_dual_mov_b32 v1, v4 :: v_dual_mov_b32 v2, v4
	v_mov_b32_e32 v3, v4
	s_and_saveexec_b32 s3, s0
	s_cbranch_execz .LBB202_119
; %bb.107:
	s_cmp_lt_i32 s9, 1
	s_mov_b32 s6, 0
	s_cbranch_scc1 .LBB202_111
; %bb.108:
	s_cmp_eq_u32 s9, 1
	s_cbranch_scc0 .LBB202_112
; %bb.109:
	s_wait_loadcnt 0x0
	v_min_i16 v2, v14, s10
	s_mov_b32 s7, 0
	s_branch .LBB202_113
.LBB202_110:
	v_max_i16 v3, v9, s10
	s_delay_alu instid0(VALU_DEP_1)
	v_min_i16 v3, v3, s3
	s_cbranch_execz .LBB202_87
	s_branch .LBB202_88
.LBB202_111:
	s_mov_b32 s7, 0
                                        ; implicit-def: $vgpr2
	s_cbranch_execnz .LBB202_114
	s_branch .LBB202_115
.LBB202_112:
	s_mov_b32 s7, -1
                                        ; implicit-def: $vgpr2
.LBB202_113:
	s_branch .LBB202_115
.LBB202_114:
	s_cmp_lg_u32 s9, 0
	s_mov_b32 s6, -1
	s_cselect_b32 s7, -1, 0
.LBB202_115:
	s_wait_loadcnt 0x0
	v_max_i16 v1, v14, s10
	s_and_not1_b32 vcc_lo, exec_lo, s7
	s_cbranch_vccz .LBB202_123
; %bb.116:
	s_and_not1_b32 vcc_lo, exec_lo, s6
	s_cbranch_vccnz .LBB202_118
.LBB202_117:
	v_mov_b32_e32 v2, v1
.LBB202_118:
	v_mov_b32_e32 v1, 0
	s_delay_alu instid0(VALU_DEP_2) | instskip(NEXT) | instid1(VALU_DEP_2)
	v_and_b32_e32 v4, 0xffff, v2
	v_dual_mov_b32 v2, v1 :: v_dual_mov_b32 v3, v1
.LBB202_119:
	s_or_b32 exec_lo, exec_lo, s3
	s_delay_alu instid0(SALU_CYCLE_1)
	s_mov_b32 s3, exec_lo
	v_cmpx_gt_i32_e64 s8, v6
	s_cbranch_execz .LBB202_132
; %bb.120:
	s_cmp_lt_i32 s9, 1
	s_mov_b32 s6, 0
	s_cbranch_scc1 .LBB202_124
; %bb.121:
	s_cmp_eq_u32 s9, 1
	s_cbranch_scc0 .LBB202_125
; %bb.122:
	s_wait_loadcnt 0x0
	v_min_i16 v14, v13, s10
	s_mov_b32 s7, 0
	s_branch .LBB202_126
.LBB202_123:
	v_max_i16 v2, v14, s10
	s_delay_alu instid0(VALU_DEP_1)
	v_min_i16 v2, v2, s1
	s_cbranch_execz .LBB202_117
	s_branch .LBB202_118
.LBB202_124:
	s_mov_b32 s7, 0
                                        ; implicit-def: $vgpr14
	s_cbranch_execnz .LBB202_127
	s_branch .LBB202_128
.LBB202_125:
	s_mov_b32 s7, -1
                                        ; implicit-def: $vgpr14
.LBB202_126:
	s_branch .LBB202_128
.LBB202_127:
	s_cmp_lg_u32 s9, 0
	s_mov_b32 s6, -1
	s_cselect_b32 s7, -1, 0
.LBB202_128:
	s_wait_loadcnt 0x0
	v_max_i16 v15, v13, s10
	s_and_not1_b32 vcc_lo, exec_lo, s7
	s_cbranch_vccz .LBB202_136
; %bb.129:
	s_and_not1_b32 vcc_lo, exec_lo, s6
	s_cbranch_vccnz .LBB202_131
.LBB202_130:
	v_mov_b32_e32 v14, v15
.LBB202_131:
	s_delay_alu instid0(VALU_DEP_1)
	v_perm_b32 v4, v14, v4, 0x5040100
.LBB202_132:
	s_or_b32 exec_lo, exec_lo, s3
	s_wait_loadcnt 0x0
	v_or_b32_e32 v13, 0x200, v0
	s_mov_b32 s3, exec_lo
	s_delay_alu instid0(VALU_DEP_1)
	v_cmpx_gt_i32_e64 s8, v13
	s_cbranch_execz .LBB202_145
; %bb.133:
	s_cmp_lt_i32 s9, 1
	s_mov_b32 s6, 0
	s_cbranch_scc1 .LBB202_137
; %bb.134:
	s_cmp_eq_u32 s9, 1
	s_cbranch_scc0 .LBB202_138
; %bb.135:
	v_min_i16 v13, v12, s10
	s_mov_b32 s7, 0
	s_branch .LBB202_139
.LBB202_136:
	v_max_i16 v13, v13, s10
	s_delay_alu instid0(VALU_DEP_1)
	v_min_i16 v14, v13, s1
	s_cbranch_execz .LBB202_130
	s_branch .LBB202_131
.LBB202_137:
	s_mov_b32 s7, 0
                                        ; implicit-def: $vgpr13
	s_cbranch_execnz .LBB202_140
	s_branch .LBB202_141
.LBB202_138:
	s_mov_b32 s7, -1
                                        ; implicit-def: $vgpr13
.LBB202_139:
	s_branch .LBB202_141
.LBB202_140:
	s_cmp_lg_u32 s9, 0
	s_mov_b32 s6, -1
	s_cselect_b32 s7, -1, 0
.LBB202_141:
	v_max_i16 v14, v12, s10
	s_and_not1_b32 vcc_lo, exec_lo, s7
	s_cbranch_vccz .LBB202_149
; %bb.142:
	s_and_not1_b32 vcc_lo, exec_lo, s6
	s_cbranch_vccnz .LBB202_144
.LBB202_143:
	v_mov_b32_e32 v13, v14
.LBB202_144:
	s_delay_alu instid0(VALU_DEP_1)
	v_bfi_b32 v1, 0xffff, v13, v1
.LBB202_145:
	s_or_b32 exec_lo, exec_lo, s3
	v_or_b32_e32 v12, 0x300, v0
	s_mov_b32 s3, exec_lo
	s_delay_alu instid0(VALU_DEP_1)
	v_cmpx_gt_i32_e64 s8, v12
	s_cbranch_execz .LBB202_158
; %bb.146:
	s_cmp_lt_i32 s9, 1
	s_mov_b32 s6, 0
	s_cbranch_scc1 .LBB202_150
; %bb.147:
	s_cmp_eq_u32 s9, 1
	s_cbranch_scc0 .LBB202_151
; %bb.148:
	v_min_i16 v12, v11, s10
	s_mov_b32 s7, 0
	s_branch .LBB202_152
.LBB202_149:
	v_max_i16 v12, v12, s10
	s_delay_alu instid0(VALU_DEP_1)
	v_min_i16 v13, v12, s1
	s_cbranch_execz .LBB202_143
	s_branch .LBB202_144
.LBB202_150:
	s_mov_b32 s7, 0
                                        ; implicit-def: $vgpr12
	s_cbranch_execnz .LBB202_153
	s_branch .LBB202_154
.LBB202_151:
	s_mov_b32 s7, -1
                                        ; implicit-def: $vgpr12
.LBB202_152:
	s_branch .LBB202_154
.LBB202_153:
	s_cmp_lg_u32 s9, 0
	s_mov_b32 s6, -1
	s_cselect_b32 s7, -1, 0
.LBB202_154:
	v_max_i16 v13, v11, s10
	s_and_not1_b32 vcc_lo, exec_lo, s7
	s_cbranch_vccz .LBB202_162
; %bb.155:
	s_and_not1_b32 vcc_lo, exec_lo, s6
	s_cbranch_vccnz .LBB202_157
.LBB202_156:
	v_mov_b32_e32 v12, v13
.LBB202_157:
	s_delay_alu instid0(VALU_DEP_1)
	v_perm_b32 v1, v12, v1, 0x5040100
.LBB202_158:
	s_or_b32 exec_lo, exec_lo, s3
	v_or_b32_e32 v11, 0x400, v0
	s_mov_b32 s3, exec_lo
	s_delay_alu instid0(VALU_DEP_1)
	v_cmpx_gt_i32_e64 s8, v11
	s_cbranch_execz .LBB202_171
; %bb.159:
	s_cmp_lt_i32 s9, 1
	s_mov_b32 s6, 0
	s_cbranch_scc1 .LBB202_163
; %bb.160:
	s_cmp_eq_u32 s9, 1
	s_cbranch_scc0 .LBB202_164
; %bb.161:
	v_min_i16 v11, v10, s10
	s_mov_b32 s7, 0
	s_branch .LBB202_165
.LBB202_162:
	v_max_i16 v11, v11, s10
	s_delay_alu instid0(VALU_DEP_1)
	v_min_i16 v12, v11, s1
	s_cbranch_execz .LBB202_156
	s_branch .LBB202_157
.LBB202_163:
	s_mov_b32 s7, 0
                                        ; implicit-def: $vgpr11
	s_cbranch_execnz .LBB202_166
	s_branch .LBB202_167
.LBB202_164:
	s_mov_b32 s7, -1
                                        ; implicit-def: $vgpr11
.LBB202_165:
	s_branch .LBB202_167
.LBB202_166:
	s_cmp_lg_u32 s9, 0
	s_mov_b32 s6, -1
	s_cselect_b32 s7, -1, 0
.LBB202_167:
	v_max_i16 v12, v10, s10
	s_and_not1_b32 vcc_lo, exec_lo, s7
	s_cbranch_vccz .LBB202_175
; %bb.168:
	s_and_not1_b32 vcc_lo, exec_lo, s6
	s_cbranch_vccnz .LBB202_170
.LBB202_169:
	v_mov_b32_e32 v11, v12
.LBB202_170:
	s_delay_alu instid0(VALU_DEP_1)
	v_bfi_b32 v2, 0xffff, v11, v2
.LBB202_171:
	s_or_b32 exec_lo, exec_lo, s3
	v_or_b32_e32 v10, 0x500, v0
	s_mov_b32 s3, exec_lo
	s_delay_alu instid0(VALU_DEP_1)
	v_cmpx_gt_i32_e64 s8, v10
	s_cbranch_execz .LBB202_184
; %bb.172:
	s_cmp_lt_i32 s9, 1
	s_mov_b32 s6, 0
	s_cbranch_scc1 .LBB202_176
; %bb.173:
	s_cmp_eq_u32 s9, 1
	s_cbranch_scc0 .LBB202_177
; %bb.174:
	v_min_i16 v10, v9, s10
	s_mov_b32 s7, 0
	s_branch .LBB202_178
.LBB202_175:
	v_max_i16 v10, v10, s10
	s_delay_alu instid0(VALU_DEP_1)
	v_min_i16 v11, v10, s1
	s_cbranch_execz .LBB202_169
	s_branch .LBB202_170
.LBB202_176:
	s_mov_b32 s7, 0
                                        ; implicit-def: $vgpr10
	s_cbranch_execnz .LBB202_179
	s_branch .LBB202_180
.LBB202_177:
	s_mov_b32 s7, -1
                                        ; implicit-def: $vgpr10
.LBB202_178:
	s_branch .LBB202_180
.LBB202_179:
	s_cmp_lg_u32 s9, 0
	s_mov_b32 s6, -1
	s_cselect_b32 s7, -1, 0
.LBB202_180:
	v_max_i16 v11, v9, s10
	s_and_not1_b32 vcc_lo, exec_lo, s7
	s_cbranch_vccz .LBB202_188
; %bb.181:
	s_and_not1_b32 vcc_lo, exec_lo, s6
	s_cbranch_vccnz .LBB202_183
.LBB202_182:
	v_mov_b32_e32 v10, v11
.LBB202_183:
	s_delay_alu instid0(VALU_DEP_1)
	v_perm_b32 v2, v10, v2, 0x5040100
.LBB202_184:
	s_or_b32 exec_lo, exec_lo, s3
	v_or_b32_e32 v9, 0x600, v0
	s_mov_b32 s3, exec_lo
	s_delay_alu instid0(VALU_DEP_1)
	v_cmpx_gt_i32_e64 s8, v9
	s_cbranch_execz .LBB202_197
; %bb.185:
	s_cmp_lt_i32 s9, 1
	s_mov_b32 s6, 0
	s_cbranch_scc1 .LBB202_189
; %bb.186:
	s_cmp_eq_u32 s9, 1
	s_cbranch_scc0 .LBB202_190
; %bb.187:
	v_min_i16 v9, v8, s10
	s_mov_b32 s7, 0
	s_branch .LBB202_191
.LBB202_188:
	v_max_i16 v9, v9, s10
	s_delay_alu instid0(VALU_DEP_1)
	v_min_i16 v10, v9, s1
	s_cbranch_execz .LBB202_182
	s_branch .LBB202_183
.LBB202_189:
	s_mov_b32 s7, 0
                                        ; implicit-def: $vgpr9
	s_cbranch_execnz .LBB202_192
	s_branch .LBB202_193
.LBB202_190:
	s_mov_b32 s7, -1
                                        ; implicit-def: $vgpr9
.LBB202_191:
	s_branch .LBB202_193
.LBB202_192:
	s_cmp_lg_u32 s9, 0
	s_mov_b32 s6, -1
	s_cselect_b32 s7, -1, 0
.LBB202_193:
	v_max_i16 v10, v8, s10
	s_and_not1_b32 vcc_lo, exec_lo, s7
	s_cbranch_vccz .LBB202_201
; %bb.194:
	s_and_not1_b32 vcc_lo, exec_lo, s6
	s_cbranch_vccnz .LBB202_196
.LBB202_195:
	v_mov_b32_e32 v9, v10
.LBB202_196:
	s_delay_alu instid0(VALU_DEP_1)
	v_bfi_b32 v3, 0xffff, v9, v3
.LBB202_197:
	s_or_b32 exec_lo, exec_lo, s3
	v_or_b32_e32 v8, 0x700, v0
	s_mov_b32 s3, exec_lo
	s_delay_alu instid0(VALU_DEP_1)
	v_cmpx_gt_i32_e64 s8, v8
	s_cbranch_execz .LBB202_210
; %bb.198:
	s_cmp_lt_i32 s9, 1
	s_mov_b32 s6, 0
	s_cbranch_scc1 .LBB202_202
; %bb.199:
	s_cmp_eq_u32 s9, 1
	s_cbranch_scc0 .LBB202_203
; %bb.200:
	v_min_i16 v8, v7, s10
	s_mov_b32 s7, 0
	s_branch .LBB202_204
.LBB202_201:
	v_max_i16 v8, v8, s10
	s_delay_alu instid0(VALU_DEP_1)
	v_min_i16 v9, v8, s1
	s_cbranch_execz .LBB202_195
	s_branch .LBB202_196
.LBB202_202:
	s_mov_b32 s7, 0
                                        ; implicit-def: $vgpr8
	s_cbranch_execnz .LBB202_205
	s_branch .LBB202_206
.LBB202_203:
	s_mov_b32 s7, -1
                                        ; implicit-def: $vgpr8
.LBB202_204:
	s_branch .LBB202_206
.LBB202_205:
	s_cmp_lg_u32 s9, 0
	s_mov_b32 s6, -1
	s_cselect_b32 s7, -1, 0
.LBB202_206:
	v_max_i16 v9, v7, s10
	s_and_not1_b32 vcc_lo, exec_lo, s7
	s_cbranch_vccz .LBB202_227
; %bb.207:
	s_and_not1_b32 vcc_lo, exec_lo, s6
	s_cbranch_vccnz .LBB202_209
.LBB202_208:
	v_mov_b32_e32 v8, v9
.LBB202_209:
	s_delay_alu instid0(VALU_DEP_1)
	v_perm_b32 v3, v8, v3, 0x5040100
.LBB202_210:
	s_or_b32 exec_lo, exec_lo, s3
	s_and_saveexec_b32 s1, s0
	s_delay_alu instid0(SALU_CYCLE_1)
	s_xor_b32 s0, exec_lo, s1
	s_cbranch_execz .LBB202_212
; %bb.211:
	v_mov_b32_e32 v0, v6
	global_store_b16 v5, v4, s[4:5] scale_offset
.LBB202_212:
	s_wait_xcnt 0x0
	s_or_b32 exec_lo, exec_lo, s0
	s_delay_alu instid0(SALU_CYCLE_1)
	s_mov_b32 s0, exec_lo
	v_cmpx_gt_i32_e64 s8, v0
	s_cbranch_execnz .LBB202_221
; %bb.213:
	s_or_b32 exec_lo, exec_lo, s0
	s_delay_alu instid0(SALU_CYCLE_1)
	s_mov_b32 s0, exec_lo
	v_cmpx_gt_i32_e64 s8, v0
	s_cbranch_execnz .LBB202_222
.LBB202_214:
	s_or_b32 exec_lo, exec_lo, s0
	s_delay_alu instid0(SALU_CYCLE_1)
	s_mov_b32 s0, exec_lo
	v_cmpx_gt_i32_e64 s8, v0
	s_cbranch_execnz .LBB202_223
.LBB202_215:
	s_or_b32 exec_lo, exec_lo, s0
	s_delay_alu instid0(SALU_CYCLE_1)
	s_mov_b32 s0, exec_lo
	v_cmpx_gt_i32_e64 s8, v0
	s_cbranch_execnz .LBB202_224
.LBB202_216:
	s_or_b32 exec_lo, exec_lo, s0
	s_delay_alu instid0(SALU_CYCLE_1)
	s_mov_b32 s0, exec_lo
	v_cmpx_gt_i32_e64 s8, v0
	s_cbranch_execnz .LBB202_225
.LBB202_217:
	s_or_b32 exec_lo, exec_lo, s0
	s_delay_alu instid0(SALU_CYCLE_1)
	s_mov_b32 s0, exec_lo
	v_cmpx_gt_i32_e64 s8, v0
	s_cbranch_execnz .LBB202_226
.LBB202_218:
	s_or_b32 exec_lo, exec_lo, s0
	s_delay_alu instid0(SALU_CYCLE_1)
	s_mov_b32 s0, exec_lo
	v_cmpx_gt_i32_e64 s8, v0
	s_cbranch_execz .LBB202_220
.LBB202_219:
	v_add_nc_u32_e32 v0, s2, v0
	global_store_d16_hi_b16 v0, v3, s[4:5] scale_offset
.LBB202_220:
	s_endpgm
.LBB202_221:
	v_add_nc_u32_e32 v5, s2, v0
	v_add_nc_u32_e32 v0, 0x100, v0
	global_store_d16_hi_b16 v5, v4, s[4:5] scale_offset
	s_wait_xcnt 0x0
	s_or_b32 exec_lo, exec_lo, s0
	s_delay_alu instid0(SALU_CYCLE_1)
	s_mov_b32 s0, exec_lo
	v_cmpx_gt_i32_e64 s8, v0
	s_cbranch_execz .LBB202_214
.LBB202_222:
	v_add_nc_u32_e32 v4, s2, v0
	v_add_nc_u32_e32 v0, 0x100, v0
	global_store_b16 v4, v1, s[4:5] scale_offset
	s_wait_xcnt 0x0
	s_or_b32 exec_lo, exec_lo, s0
	s_delay_alu instid0(SALU_CYCLE_1)
	s_mov_b32 s0, exec_lo
	v_cmpx_gt_i32_e64 s8, v0
	s_cbranch_execz .LBB202_215
.LBB202_223:
	v_add_nc_u32_e32 v4, s2, v0
	v_add_nc_u32_e32 v0, 0x100, v0
	global_store_d16_hi_b16 v4, v1, s[4:5] scale_offset
	s_wait_xcnt 0x0
	s_or_b32 exec_lo, exec_lo, s0
	s_delay_alu instid0(SALU_CYCLE_1)
	s_mov_b32 s0, exec_lo
	v_cmpx_gt_i32_e64 s8, v0
	s_cbranch_execz .LBB202_216
.LBB202_224:
	v_add_nc_u32_e32 v1, s2, v0
	v_add_nc_u32_e32 v0, 0x100, v0
	global_store_b16 v1, v2, s[4:5] scale_offset
	s_wait_xcnt 0x0
	s_or_b32 exec_lo, exec_lo, s0
	s_delay_alu instid0(SALU_CYCLE_1)
	s_mov_b32 s0, exec_lo
	v_cmpx_gt_i32_e64 s8, v0
	s_cbranch_execz .LBB202_217
.LBB202_225:
	v_add_nc_u32_e32 v1, s2, v0
	v_add_nc_u32_e32 v0, 0x100, v0
	global_store_d16_hi_b16 v1, v2, s[4:5] scale_offset
	s_wait_xcnt 0x0
	s_or_b32 exec_lo, exec_lo, s0
	s_delay_alu instid0(SALU_CYCLE_1)
	s_mov_b32 s0, exec_lo
	v_cmpx_gt_i32_e64 s8, v0
	s_cbranch_execz .LBB202_218
.LBB202_226:
	v_add_nc_u32_e32 v1, s2, v0
	v_add_nc_u32_e32 v0, 0x100, v0
	global_store_b16 v1, v3, s[4:5] scale_offset
	s_wait_xcnt 0x0
	s_or_b32 exec_lo, exec_lo, s0
	s_delay_alu instid0(SALU_CYCLE_1)
	s_mov_b32 s0, exec_lo
	v_cmpx_gt_i32_e64 s8, v0
	s_cbranch_execnz .LBB202_219
	s_branch .LBB202_220
.LBB202_227:
	v_max_i16 v7, v7, s10
	s_delay_alu instid0(VALU_DEP_1)
	v_min_i16 v8, v7, s1
	s_cbranch_execz .LBB202_208
	s_branch .LBB202_209
	.section	.rodata,"a",@progbits
	.p2align	6, 0x0
	.amdhsa_kernel _ZN2at6native29vectorized_elementwise_kernelILi4EZZZNS0_12_GLOBAL__N_119launch_clamp_scalarERNS_18TensorIteratorBaseEN3c106ScalarES6_NS0_6detail11ClampLimitsEENKUlvE_clEvENKUlvE3_clEvEUlsE_St5arrayIPcLm2EEEEviT0_T1_
		.amdhsa_group_segment_fixed_size 0
		.amdhsa_private_segment_fixed_size 0
		.amdhsa_kernarg_size 32
		.amdhsa_user_sgpr_count 2
		.amdhsa_user_sgpr_dispatch_ptr 0
		.amdhsa_user_sgpr_queue_ptr 0
		.amdhsa_user_sgpr_kernarg_segment_ptr 1
		.amdhsa_user_sgpr_dispatch_id 0
		.amdhsa_user_sgpr_kernarg_preload_length 0
		.amdhsa_user_sgpr_kernarg_preload_offset 0
		.amdhsa_user_sgpr_private_segment_size 0
		.amdhsa_wavefront_size32 1
		.amdhsa_uses_dynamic_stack 0
		.amdhsa_enable_private_segment 0
		.amdhsa_system_sgpr_workgroup_id_x 1
		.amdhsa_system_sgpr_workgroup_id_y 0
		.amdhsa_system_sgpr_workgroup_id_z 0
		.amdhsa_system_sgpr_workgroup_info 0
		.amdhsa_system_vgpr_workitem_id 0
		.amdhsa_next_free_vgpr 16
		.amdhsa_next_free_sgpr 14
		.amdhsa_named_barrier_count 0
		.amdhsa_reserve_vcc 1
		.amdhsa_float_round_mode_32 0
		.amdhsa_float_round_mode_16_64 0
		.amdhsa_float_denorm_mode_32 3
		.amdhsa_float_denorm_mode_16_64 3
		.amdhsa_fp16_overflow 0
		.amdhsa_memory_ordered 1
		.amdhsa_forward_progress 1
		.amdhsa_inst_pref_size 30
		.amdhsa_round_robin_scheduling 0
		.amdhsa_exception_fp_ieee_invalid_op 0
		.amdhsa_exception_fp_denorm_src 0
		.amdhsa_exception_fp_ieee_div_zero 0
		.amdhsa_exception_fp_ieee_overflow 0
		.amdhsa_exception_fp_ieee_underflow 0
		.amdhsa_exception_fp_ieee_inexact 0
		.amdhsa_exception_int_div_zero 0
	.end_amdhsa_kernel
	.section	.text._ZN2at6native29vectorized_elementwise_kernelILi4EZZZNS0_12_GLOBAL__N_119launch_clamp_scalarERNS_18TensorIteratorBaseEN3c106ScalarES6_NS0_6detail11ClampLimitsEENKUlvE_clEvENKUlvE3_clEvEUlsE_St5arrayIPcLm2EEEEviT0_T1_,"axG",@progbits,_ZN2at6native29vectorized_elementwise_kernelILi4EZZZNS0_12_GLOBAL__N_119launch_clamp_scalarERNS_18TensorIteratorBaseEN3c106ScalarES6_NS0_6detail11ClampLimitsEENKUlvE_clEvENKUlvE3_clEvEUlsE_St5arrayIPcLm2EEEEviT0_T1_,comdat
.Lfunc_end202:
	.size	_ZN2at6native29vectorized_elementwise_kernelILi4EZZZNS0_12_GLOBAL__N_119launch_clamp_scalarERNS_18TensorIteratorBaseEN3c106ScalarES6_NS0_6detail11ClampLimitsEENKUlvE_clEvENKUlvE3_clEvEUlsE_St5arrayIPcLm2EEEEviT0_T1_, .Lfunc_end202-_ZN2at6native29vectorized_elementwise_kernelILi4EZZZNS0_12_GLOBAL__N_119launch_clamp_scalarERNS_18TensorIteratorBaseEN3c106ScalarES6_NS0_6detail11ClampLimitsEENKUlvE_clEvENKUlvE3_clEvEUlsE_St5arrayIPcLm2EEEEviT0_T1_
                                        ; -- End function
	.set _ZN2at6native29vectorized_elementwise_kernelILi4EZZZNS0_12_GLOBAL__N_119launch_clamp_scalarERNS_18TensorIteratorBaseEN3c106ScalarES6_NS0_6detail11ClampLimitsEENKUlvE_clEvENKUlvE3_clEvEUlsE_St5arrayIPcLm2EEEEviT0_T1_.num_vgpr, 16
	.set _ZN2at6native29vectorized_elementwise_kernelILi4EZZZNS0_12_GLOBAL__N_119launch_clamp_scalarERNS_18TensorIteratorBaseEN3c106ScalarES6_NS0_6detail11ClampLimitsEENKUlvE_clEvENKUlvE3_clEvEUlsE_St5arrayIPcLm2EEEEviT0_T1_.num_agpr, 0
	.set _ZN2at6native29vectorized_elementwise_kernelILi4EZZZNS0_12_GLOBAL__N_119launch_clamp_scalarERNS_18TensorIteratorBaseEN3c106ScalarES6_NS0_6detail11ClampLimitsEENKUlvE_clEvENKUlvE3_clEvEUlsE_St5arrayIPcLm2EEEEviT0_T1_.numbered_sgpr, 14
	.set _ZN2at6native29vectorized_elementwise_kernelILi4EZZZNS0_12_GLOBAL__N_119launch_clamp_scalarERNS_18TensorIteratorBaseEN3c106ScalarES6_NS0_6detail11ClampLimitsEENKUlvE_clEvENKUlvE3_clEvEUlsE_St5arrayIPcLm2EEEEviT0_T1_.num_named_barrier, 0
	.set _ZN2at6native29vectorized_elementwise_kernelILi4EZZZNS0_12_GLOBAL__N_119launch_clamp_scalarERNS_18TensorIteratorBaseEN3c106ScalarES6_NS0_6detail11ClampLimitsEENKUlvE_clEvENKUlvE3_clEvEUlsE_St5arrayIPcLm2EEEEviT0_T1_.private_seg_size, 0
	.set _ZN2at6native29vectorized_elementwise_kernelILi4EZZZNS0_12_GLOBAL__N_119launch_clamp_scalarERNS_18TensorIteratorBaseEN3c106ScalarES6_NS0_6detail11ClampLimitsEENKUlvE_clEvENKUlvE3_clEvEUlsE_St5arrayIPcLm2EEEEviT0_T1_.uses_vcc, 1
	.set _ZN2at6native29vectorized_elementwise_kernelILi4EZZZNS0_12_GLOBAL__N_119launch_clamp_scalarERNS_18TensorIteratorBaseEN3c106ScalarES6_NS0_6detail11ClampLimitsEENKUlvE_clEvENKUlvE3_clEvEUlsE_St5arrayIPcLm2EEEEviT0_T1_.uses_flat_scratch, 0
	.set _ZN2at6native29vectorized_elementwise_kernelILi4EZZZNS0_12_GLOBAL__N_119launch_clamp_scalarERNS_18TensorIteratorBaseEN3c106ScalarES6_NS0_6detail11ClampLimitsEENKUlvE_clEvENKUlvE3_clEvEUlsE_St5arrayIPcLm2EEEEviT0_T1_.has_dyn_sized_stack, 0
	.set _ZN2at6native29vectorized_elementwise_kernelILi4EZZZNS0_12_GLOBAL__N_119launch_clamp_scalarERNS_18TensorIteratorBaseEN3c106ScalarES6_NS0_6detail11ClampLimitsEENKUlvE_clEvENKUlvE3_clEvEUlsE_St5arrayIPcLm2EEEEviT0_T1_.has_recursion, 0
	.set _ZN2at6native29vectorized_elementwise_kernelILi4EZZZNS0_12_GLOBAL__N_119launch_clamp_scalarERNS_18TensorIteratorBaseEN3c106ScalarES6_NS0_6detail11ClampLimitsEENKUlvE_clEvENKUlvE3_clEvEUlsE_St5arrayIPcLm2EEEEviT0_T1_.has_indirect_call, 0
	.section	.AMDGPU.csdata,"",@progbits
; Kernel info:
; codeLenInByte = 3728
; TotalNumSgprs: 16
; NumVgprs: 16
; ScratchSize: 0
; MemoryBound: 0
; FloatMode: 240
; IeeeMode: 1
; LDSByteSize: 0 bytes/workgroup (compile time only)
; SGPRBlocks: 0
; VGPRBlocks: 0
; NumSGPRsForWavesPerEU: 16
; NumVGPRsForWavesPerEU: 16
; NamedBarCnt: 0
; Occupancy: 16
; WaveLimiterHint : 1
; COMPUTE_PGM_RSRC2:SCRATCH_EN: 0
; COMPUTE_PGM_RSRC2:USER_SGPR: 2
; COMPUTE_PGM_RSRC2:TRAP_HANDLER: 0
; COMPUTE_PGM_RSRC2:TGID_X_EN: 1
; COMPUTE_PGM_RSRC2:TGID_Y_EN: 0
; COMPUTE_PGM_RSRC2:TGID_Z_EN: 0
; COMPUTE_PGM_RSRC2:TIDIG_COMP_CNT: 0
	.section	.text._ZN2at6native29vectorized_elementwise_kernelILi2EZZZNS0_12_GLOBAL__N_119launch_clamp_scalarERNS_18TensorIteratorBaseEN3c106ScalarES6_NS0_6detail11ClampLimitsEENKUlvE_clEvENKUlvE3_clEvEUlsE_St5arrayIPcLm2EEEEviT0_T1_,"axG",@progbits,_ZN2at6native29vectorized_elementwise_kernelILi2EZZZNS0_12_GLOBAL__N_119launch_clamp_scalarERNS_18TensorIteratorBaseEN3c106ScalarES6_NS0_6detail11ClampLimitsEENKUlvE_clEvENKUlvE3_clEvEUlsE_St5arrayIPcLm2EEEEviT0_T1_,comdat
	.globl	_ZN2at6native29vectorized_elementwise_kernelILi2EZZZNS0_12_GLOBAL__N_119launch_clamp_scalarERNS_18TensorIteratorBaseEN3c106ScalarES6_NS0_6detail11ClampLimitsEENKUlvE_clEvENKUlvE3_clEvEUlsE_St5arrayIPcLm2EEEEviT0_T1_ ; -- Begin function _ZN2at6native29vectorized_elementwise_kernelILi2EZZZNS0_12_GLOBAL__N_119launch_clamp_scalarERNS_18TensorIteratorBaseEN3c106ScalarES6_NS0_6detail11ClampLimitsEENKUlvE_clEvENKUlvE3_clEvEUlsE_St5arrayIPcLm2EEEEviT0_T1_
	.p2align	8
	.type	_ZN2at6native29vectorized_elementwise_kernelILi2EZZZNS0_12_GLOBAL__N_119launch_clamp_scalarERNS_18TensorIteratorBaseEN3c106ScalarES6_NS0_6detail11ClampLimitsEENKUlvE_clEvENKUlvE3_clEvEUlsE_St5arrayIPcLm2EEEEviT0_T1_,@function
_ZN2at6native29vectorized_elementwise_kernelILi2EZZZNS0_12_GLOBAL__N_119launch_clamp_scalarERNS_18TensorIteratorBaseEN3c106ScalarES6_NS0_6detail11ClampLimitsEENKUlvE_clEvENKUlvE3_clEvEUlsE_St5arrayIPcLm2EEEEviT0_T1_: ; @_ZN2at6native29vectorized_elementwise_kernelILi2EZZZNS0_12_GLOBAL__N_119launch_clamp_scalarERNS_18TensorIteratorBaseEN3c106ScalarES6_NS0_6detail11ClampLimitsEENKUlvE_clEvENKUlvE3_clEvEUlsE_St5arrayIPcLm2EEEEviT0_T1_
; %bb.0:
	s_clause 0x1
	s_load_b96 s[8:10], s[0:1], 0x0
	s_load_b128 s[4:7], s[0:1], 0x10
	s_wait_xcnt 0x0
	s_bfe_u32 s0, ttmp6, 0x4000c
	s_and_b32 s1, ttmp6, 15
	s_add_co_i32 s0, s0, 1
	s_getreg_b32 s2, hwreg(HW_REG_IB_STS2, 6, 4)
	s_mul_i32 s0, ttmp9, s0
	s_mov_b32 s11, 0
	s_add_co_i32 s1, s1, s0
	s_cmp_eq_u32 s2, 0
	s_cselect_b32 s0, ttmp9, s1
	s_delay_alu instid0(SALU_CYCLE_1) | instskip(SKIP_3) | instid1(SALU_CYCLE_1)
	s_lshl_b32 s2, s0, 11
	s_mov_b32 s0, -1
	s_wait_kmcnt 0x0
	s_sub_co_i32 s8, s8, s2
	s_cmp_gt_i32 s8, 0x7ff
	s_cbranch_scc0 .LBB203_89
; %bb.1:
	s_ashr_i32 s3, s2, 31
	s_delay_alu instid0(SALU_CYCLE_1)
	s_lshl_b64 s[0:1], s[2:3], 1
	s_cmp_lt_i32 s9, 1
	s_add_nc_u64 s[12:13], s[6:7], s[0:1]
	s_clause 0x3
	global_load_b32 v3, v0, s[12:13] scale_offset
	global_load_b32 v6, v0, s[12:13] offset:1024 scale_offset
	global_load_b32 v5, v0, s[12:13] offset:2048 scale_offset
	;; [unrolled: 1-line block ×3, first 2 shown]
	s_cbranch_scc1 .LBB203_4
; %bb.2:
	s_cmp_eq_u32 s9, 1
	s_cbranch_scc0 .LBB203_5
; %bb.3:
	s_wait_loadcnt 0x3
	v_min_i16 v1, v3, s10
	s_branch .LBB203_6
.LBB203_4:
                                        ; implicit-def: $vgpr1
	s_wait_xcnt 0x0
	s_mov_b32 s12, 0
	s_cbranch_execnz .LBB203_7
	s_branch .LBB203_8
.LBB203_5:
	s_mov_b32 s11, -1
                                        ; implicit-def: $vgpr1
.LBB203_6:
	s_wait_xcnt 0x0
	s_mov_b32 s12, 0
	s_branch .LBB203_8
.LBB203_7:
	s_cmp_lg_u32 s9, 0
	s_mov_b32 s12, -1
	s_cselect_b32 s11, -1, 0
.LBB203_8:
	s_wait_loadcnt 0x3
	v_max_i16 v4, v3, s10
	s_and_not1_b32 vcc_lo, exec_lo, s11
	s_lshr_b32 s3, s10, 16
	s_cbranch_vccz .LBB203_13
; %bb.9:
	s_and_not1_b32 vcc_lo, exec_lo, s12
	s_cbranch_vccz .LBB203_14
.LBB203_10:
	v_lshrrev_b32_e32 v4, 16, v3
	s_cmp_lt_i32 s9, 1
	s_mov_b32 s11, 0
	s_cbranch_scc1 .LBB203_15
.LBB203_11:
	s_cmp_eq_u32 s9, 1
	s_cbranch_scc0 .LBB203_16
; %bb.12:
	v_min_i16 v3, v4, s10
	s_mov_b32 s12, 0
	s_branch .LBB203_17
.LBB203_13:
	v_max_i16 v1, v3, s10
	s_delay_alu instid0(VALU_DEP_1)
	v_min_i16 v1, v1, s3
	s_cbranch_execnz .LBB203_10
.LBB203_14:
	v_dual_mov_b32 v1, v4 :: v_dual_lshrrev_b32 v4, 16, v3
	s_cmp_lt_i32 s9, 1
	s_mov_b32 s11, 0
	s_cbranch_scc0 .LBB203_11
.LBB203_15:
	s_mov_b32 s12, 0
                                        ; implicit-def: $vgpr3
	s_cbranch_execnz .LBB203_18
	s_branch .LBB203_19
.LBB203_16:
	s_mov_b32 s12, -1
                                        ; implicit-def: $vgpr3
.LBB203_17:
	s_branch .LBB203_19
.LBB203_18:
	s_cmp_lg_u32 s9, 0
	s_mov_b32 s11, -1
	s_cselect_b32 s12, -1, 0
.LBB203_19:
	v_max_i16 v7, v4, s10
	s_and_not1_b32 vcc_lo, exec_lo, s12
	s_cbranch_vccz .LBB203_24
; %bb.20:
	s_and_not1_b32 vcc_lo, exec_lo, s11
	s_cbranch_vccz .LBB203_25
.LBB203_21:
	s_cmp_lt_i32 s9, 1
	s_mov_b32 s11, 0
	s_cbranch_scc1 .LBB203_26
.LBB203_22:
	s_cmp_eq_u32 s9, 1
	s_cbranch_scc0 .LBB203_27
; %bb.23:
	s_wait_loadcnt 0x2
	v_min_i16 v4, v6, s10
	s_mov_b32 s12, 0
	s_branch .LBB203_28
.LBB203_24:
	v_max_i16 v3, v4, s10
	s_delay_alu instid0(VALU_DEP_1)
	v_min_i16 v3, v3, s3
	s_cbranch_execnz .LBB203_21
.LBB203_25:
	v_mov_b32_e32 v3, v7
	s_cmp_lt_i32 s9, 1
	s_mov_b32 s11, 0
	s_cbranch_scc0 .LBB203_22
.LBB203_26:
	s_mov_b32 s12, 0
                                        ; implicit-def: $vgpr4
	s_cbranch_execnz .LBB203_29
	s_branch .LBB203_30
.LBB203_27:
	s_mov_b32 s12, -1
                                        ; implicit-def: $vgpr4
.LBB203_28:
	s_branch .LBB203_30
.LBB203_29:
	s_cmp_lg_u32 s9, 0
	s_mov_b32 s11, -1
	s_cselect_b32 s12, -1, 0
.LBB203_30:
	s_wait_loadcnt 0x2
	v_max_i16 v7, v6, s10
	s_and_not1_b32 vcc_lo, exec_lo, s12
	s_cbranch_vccz .LBB203_35
; %bb.31:
	s_and_not1_b32 vcc_lo, exec_lo, s11
	s_cbranch_vccz .LBB203_36
.LBB203_32:
	v_lshrrev_b32_e32 v7, 16, v6
	s_cmp_lt_i32 s9, 1
	s_mov_b32 s11, 0
	s_cbranch_scc1 .LBB203_37
.LBB203_33:
	s_cmp_eq_u32 s9, 1
	s_cbranch_scc0 .LBB203_38
; %bb.34:
	v_min_i16 v6, v7, s10
	s_mov_b32 s12, 0
	s_branch .LBB203_39
.LBB203_35:
	v_max_i16 v4, v6, s10
	s_delay_alu instid0(VALU_DEP_1)
	v_min_i16 v4, v4, s3
	s_cbranch_execnz .LBB203_32
.LBB203_36:
	v_dual_mov_b32 v4, v7 :: v_dual_lshrrev_b32 v7, 16, v6
	s_cmp_lt_i32 s9, 1
	s_mov_b32 s11, 0
	s_cbranch_scc0 .LBB203_33
.LBB203_37:
	s_mov_b32 s12, 0
                                        ; implicit-def: $vgpr6
	s_cbranch_execnz .LBB203_40
	s_branch .LBB203_41
.LBB203_38:
	s_mov_b32 s12, -1
                                        ; implicit-def: $vgpr6
.LBB203_39:
	s_branch .LBB203_41
.LBB203_40:
	s_cmp_lg_u32 s9, 0
	s_mov_b32 s11, -1
	s_cselect_b32 s12, -1, 0
.LBB203_41:
	v_max_i16 v8, v7, s10
	s_and_not1_b32 vcc_lo, exec_lo, s12
	s_cbranch_vccz .LBB203_46
; %bb.42:
	s_and_not1_b32 vcc_lo, exec_lo, s11
	s_cbranch_vccz .LBB203_47
.LBB203_43:
	s_cmp_lt_i32 s9, 1
	s_mov_b32 s11, 0
	s_cbranch_scc1 .LBB203_48
.LBB203_44:
	s_cmp_eq_u32 s9, 1
	s_cbranch_scc0 .LBB203_49
; %bb.45:
	s_wait_loadcnt 0x1
	v_min_i16 v7, v5, s10
	s_mov_b32 s12, 0
	s_branch .LBB203_50
.LBB203_46:
	v_max_i16 v6, v7, s10
	s_delay_alu instid0(VALU_DEP_1)
	v_min_i16 v6, v6, s3
	s_cbranch_execnz .LBB203_43
.LBB203_47:
	v_mov_b32_e32 v6, v8
	s_cmp_lt_i32 s9, 1
	s_mov_b32 s11, 0
	s_cbranch_scc0 .LBB203_44
.LBB203_48:
	s_mov_b32 s12, 0
                                        ; implicit-def: $vgpr7
	s_cbranch_execnz .LBB203_51
	s_branch .LBB203_52
.LBB203_49:
	s_mov_b32 s12, -1
                                        ; implicit-def: $vgpr7
.LBB203_50:
	s_branch .LBB203_52
.LBB203_51:
	s_cmp_lg_u32 s9, 0
	s_mov_b32 s11, -1
	s_cselect_b32 s12, -1, 0
.LBB203_52:
	s_wait_loadcnt 0x1
	v_max_i16 v8, v5, s10
	s_and_not1_b32 vcc_lo, exec_lo, s12
	s_cbranch_vccz .LBB203_57
; %bb.53:
	s_and_not1_b32 vcc_lo, exec_lo, s11
	s_cbranch_vccz .LBB203_58
.LBB203_54:
	v_lshrrev_b32_e32 v8, 16, v5
	s_cmp_lt_i32 s9, 1
	s_mov_b32 s11, 0
	s_cbranch_scc1 .LBB203_59
.LBB203_55:
	s_cmp_eq_u32 s9, 1
	s_cbranch_scc0 .LBB203_60
; %bb.56:
	v_min_i16 v5, v8, s10
	s_mov_b32 s12, 0
	s_branch .LBB203_61
.LBB203_57:
	v_max_i16 v7, v5, s10
	s_delay_alu instid0(VALU_DEP_1)
	v_min_i16 v7, v7, s3
	s_cbranch_execnz .LBB203_54
.LBB203_58:
	v_dual_mov_b32 v7, v8 :: v_dual_lshrrev_b32 v8, 16, v5
	s_cmp_lt_i32 s9, 1
	s_mov_b32 s11, 0
	s_cbranch_scc0 .LBB203_55
.LBB203_59:
	s_mov_b32 s12, 0
                                        ; implicit-def: $vgpr5
	s_cbranch_execnz .LBB203_62
	s_branch .LBB203_63
.LBB203_60:
	s_mov_b32 s12, -1
                                        ; implicit-def: $vgpr5
.LBB203_61:
	s_branch .LBB203_63
.LBB203_62:
	s_cmp_lg_u32 s9, 0
	s_mov_b32 s11, -1
	s_cselect_b32 s12, -1, 0
.LBB203_63:
	v_max_i16 v9, v8, s10
	s_and_not1_b32 vcc_lo, exec_lo, s12
	s_cbranch_vccz .LBB203_68
; %bb.64:
	s_and_not1_b32 vcc_lo, exec_lo, s11
	s_cbranch_vccz .LBB203_69
.LBB203_65:
	s_cmp_lt_i32 s9, 1
	s_mov_b32 s11, 0
	s_cbranch_scc1 .LBB203_70
.LBB203_66:
	s_cmp_eq_u32 s9, 1
	s_cbranch_scc0 .LBB203_71
; %bb.67:
	s_wait_loadcnt 0x0
	v_min_i16 v8, v2, s10
	s_mov_b32 s12, 0
	s_branch .LBB203_72
.LBB203_68:
	v_max_i16 v5, v8, s10
	s_delay_alu instid0(VALU_DEP_1)
	v_min_i16 v5, v5, s3
	s_cbranch_execnz .LBB203_65
.LBB203_69:
	v_mov_b32_e32 v5, v9
	s_cmp_lt_i32 s9, 1
	s_mov_b32 s11, 0
	s_cbranch_scc0 .LBB203_66
.LBB203_70:
	s_mov_b32 s12, 0
                                        ; implicit-def: $vgpr8
	s_cbranch_execnz .LBB203_73
	s_branch .LBB203_74
.LBB203_71:
	s_mov_b32 s12, -1
                                        ; implicit-def: $vgpr8
.LBB203_72:
	s_branch .LBB203_74
.LBB203_73:
	s_cmp_lg_u32 s9, 0
	s_mov_b32 s11, -1
	s_cselect_b32 s12, -1, 0
.LBB203_74:
	s_wait_loadcnt 0x0
	v_max_i16 v9, v2, s10
	s_and_not1_b32 vcc_lo, exec_lo, s12
	s_cbranch_vccz .LBB203_79
; %bb.75:
	s_and_not1_b32 vcc_lo, exec_lo, s11
	s_cbranch_vccz .LBB203_80
.LBB203_76:
	v_lshrrev_b32_e32 v9, 16, v2
	s_cmp_lt_i32 s9, 1
	s_mov_b32 s11, 0
	s_cbranch_scc1 .LBB203_81
.LBB203_77:
	s_cmp_eq_u32 s9, 1
	s_cbranch_scc0 .LBB203_82
; %bb.78:
	v_min_i16 v2, v9, s10
	s_mov_b32 s12, 0
	s_branch .LBB203_83
.LBB203_79:
	v_max_i16 v8, v2, s10
	s_delay_alu instid0(VALU_DEP_1)
	v_min_i16 v8, v8, s3
	s_cbranch_execnz .LBB203_76
.LBB203_80:
	v_dual_mov_b32 v8, v9 :: v_dual_lshrrev_b32 v9, 16, v2
	s_cmp_lt_i32 s9, 1
	s_mov_b32 s11, 0
	s_cbranch_scc0 .LBB203_77
.LBB203_81:
	s_mov_b32 s12, 0
                                        ; implicit-def: $vgpr2
	s_cbranch_execnz .LBB203_84
	s_branch .LBB203_85
.LBB203_82:
	s_mov_b32 s12, -1
                                        ; implicit-def: $vgpr2
.LBB203_83:
	s_branch .LBB203_85
.LBB203_84:
	s_cmp_lg_u32 s9, 0
	s_mov_b32 s11, -1
	s_cselect_b32 s12, -1, 0
.LBB203_85:
	v_max_i16 v10, v9, s10
	s_and_not1_b32 vcc_lo, exec_lo, s12
	s_cbranch_vccz .LBB203_110
; %bb.86:
	s_and_not1_b32 vcc_lo, exec_lo, s11
	s_cbranch_vccnz .LBB203_88
.LBB203_87:
	v_mov_b32_e32 v2, v10
.LBB203_88:
	v_perm_b32 v1, v3, v1, 0x5040100
	v_perm_b32 v3, v6, v4, 0x5040100
	;; [unrolled: 1-line block ×3, first 2 shown]
	s_delay_alu instid0(VALU_DEP_4)
	v_perm_b32 v2, v2, v8, 0x5040100
	s_add_nc_u64 s[12:13], s[4:5], s[0:1]
	s_mov_b32 s0, 0
	s_clause 0x3
	global_store_b32 v0, v1, s[12:13] scale_offset
	global_store_b32 v0, v3, s[12:13] offset:1024 scale_offset
	global_store_b32 v0, v4, s[12:13] offset:2048 scale_offset
	;; [unrolled: 1-line block ×3, first 2 shown]
.LBB203_89:
	s_and_b32 vcc_lo, exec_lo, s0
	s_cbranch_vccz .LBB203_220
; %bb.90:
	v_cmp_gt_i32_e64 s0, s8, v0
	v_dual_mov_b32 v13, 0 :: v_dual_bitop2_b32 v5, s2, v0 bitop3:0x54
	v_or_b32_e32 v6, 0x100, v0
	s_wait_xcnt 0x3
	v_dual_mov_b32 v14, 0 :: v_dual_mov_b32 v1, v0
	s_wait_xcnt 0x0
	s_and_saveexec_b32 s1, s0
	s_cbranch_execz .LBB203_92
; %bb.91:
	global_load_u16 v14, v5, s[6:7] scale_offset
	v_or_b32_e32 v1, 0x100, v0
.LBB203_92:
	s_wait_xcnt 0x0
	s_or_b32 exec_lo, exec_lo, s1
	s_delay_alu instid0(SALU_CYCLE_1) | instskip(NEXT) | instid1(VALU_DEP_1)
	s_mov_b32 s1, exec_lo
	v_cmpx_gt_i32_e64 s8, v1
	s_cbranch_execz .LBB203_94
; %bb.93:
	v_add_nc_u32_e32 v2, s2, v1
	v_add_nc_u32_e32 v1, 0x100, v1
	global_load_u16 v13, v2, s[6:7] scale_offset
.LBB203_94:
	s_wait_xcnt 0x0
	s_or_b32 exec_lo, exec_lo, s1
	v_dual_mov_b32 v11, 0 :: v_dual_mov_b32 v12, 0
	s_mov_b32 s1, exec_lo
	v_cmpx_gt_i32_e64 s8, v1
	s_cbranch_execz .LBB203_96
; %bb.95:
	v_add_nc_u32_e32 v2, s2, v1
	v_add_nc_u32_e32 v1, 0x100, v1
	global_load_u16 v12, v2, s[6:7] scale_offset
.LBB203_96:
	s_wait_xcnt 0x0
	s_or_b32 exec_lo, exec_lo, s1
	s_delay_alu instid0(SALU_CYCLE_1)
	s_mov_b32 s1, exec_lo
	v_cmpx_gt_i32_e64 s8, v1
	s_cbranch_execz .LBB203_98
; %bb.97:
	v_add_nc_u32_e32 v2, s2, v1
	v_add_nc_u32_e32 v1, 0x100, v1
	global_load_u16 v11, v2, s[6:7] scale_offset
.LBB203_98:
	s_wait_xcnt 0x0
	s_or_b32 exec_lo, exec_lo, s1
	v_dual_mov_b32 v9, 0 :: v_dual_mov_b32 v10, 0
	s_mov_b32 s1, exec_lo
	v_cmpx_gt_i32_e64 s8, v1
	s_cbranch_execz .LBB203_100
; %bb.99:
	v_add_nc_u32_e32 v2, s2, v1
	v_add_nc_u32_e32 v1, 0x100, v1
	global_load_u16 v10, v2, s[6:7] scale_offset
.LBB203_100:
	s_wait_xcnt 0x0
	s_or_b32 exec_lo, exec_lo, s1
	s_delay_alu instid0(SALU_CYCLE_1)
	;; [unrolled: 22-line block ×3, first 2 shown]
	s_mov_b32 s1, exec_lo
	v_cmpx_gt_i32_e64 s8, v1
	s_cbranch_execz .LBB203_106
; %bb.105:
	v_add_nc_u32_e32 v1, s2, v1
	global_load_u16 v7, v1, s[6:7] scale_offset
.LBB203_106:
	s_wait_xcnt 0x0
	s_or_b32 exec_lo, exec_lo, s1
	v_mov_b32_e32 v4, 0
	s_lshr_b32 s1, s10, 16
	s_delay_alu instid0(VALU_DEP_1)
	v_dual_mov_b32 v1, v4 :: v_dual_mov_b32 v2, v4
	v_mov_b32_e32 v3, v4
	s_and_saveexec_b32 s3, s0
	s_cbranch_execz .LBB203_119
; %bb.107:
	s_cmp_lt_i32 s9, 1
	s_mov_b32 s6, 0
	s_cbranch_scc1 .LBB203_111
; %bb.108:
	s_cmp_eq_u32 s9, 1
	s_cbranch_scc0 .LBB203_112
; %bb.109:
	s_wait_loadcnt 0x0
	v_min_i16 v2, v14, s10
	s_mov_b32 s7, 0
	s_branch .LBB203_113
.LBB203_110:
	v_max_i16 v2, v9, s10
	s_delay_alu instid0(VALU_DEP_1)
	v_min_i16 v2, v2, s3
	s_cbranch_execz .LBB203_87
	s_branch .LBB203_88
.LBB203_111:
	s_mov_b32 s7, 0
                                        ; implicit-def: $vgpr2
	s_cbranch_execnz .LBB203_114
	s_branch .LBB203_115
.LBB203_112:
	s_mov_b32 s7, -1
                                        ; implicit-def: $vgpr2
.LBB203_113:
	s_branch .LBB203_115
.LBB203_114:
	s_cmp_lg_u32 s9, 0
	s_mov_b32 s6, -1
	s_cselect_b32 s7, -1, 0
.LBB203_115:
	s_wait_loadcnt 0x0
	v_max_i16 v1, v14, s10
	s_and_not1_b32 vcc_lo, exec_lo, s7
	s_cbranch_vccz .LBB203_123
; %bb.116:
	s_and_not1_b32 vcc_lo, exec_lo, s6
	s_cbranch_vccnz .LBB203_118
.LBB203_117:
	v_mov_b32_e32 v2, v1
.LBB203_118:
	v_mov_b32_e32 v1, 0
	s_delay_alu instid0(VALU_DEP_2) | instskip(NEXT) | instid1(VALU_DEP_2)
	v_and_b32_e32 v4, 0xffff, v2
	v_dual_mov_b32 v2, v1 :: v_dual_mov_b32 v3, v1
.LBB203_119:
	s_or_b32 exec_lo, exec_lo, s3
	s_delay_alu instid0(SALU_CYCLE_1)
	s_mov_b32 s3, exec_lo
	v_cmpx_gt_i32_e64 s8, v6
	s_cbranch_execz .LBB203_132
; %bb.120:
	s_cmp_lt_i32 s9, 1
	s_mov_b32 s6, 0
	s_cbranch_scc1 .LBB203_124
; %bb.121:
	s_cmp_eq_u32 s9, 1
	s_cbranch_scc0 .LBB203_125
; %bb.122:
	s_wait_loadcnt 0x0
	v_min_i16 v14, v13, s10
	s_mov_b32 s7, 0
	s_branch .LBB203_126
.LBB203_123:
	v_max_i16 v2, v14, s10
	s_delay_alu instid0(VALU_DEP_1)
	v_min_i16 v2, v2, s1
	s_cbranch_execz .LBB203_117
	s_branch .LBB203_118
.LBB203_124:
	s_mov_b32 s7, 0
                                        ; implicit-def: $vgpr14
	s_cbranch_execnz .LBB203_127
	s_branch .LBB203_128
.LBB203_125:
	s_mov_b32 s7, -1
                                        ; implicit-def: $vgpr14
.LBB203_126:
	s_branch .LBB203_128
.LBB203_127:
	s_cmp_lg_u32 s9, 0
	s_mov_b32 s6, -1
	s_cselect_b32 s7, -1, 0
.LBB203_128:
	s_wait_loadcnt 0x0
	v_max_i16 v15, v13, s10
	s_and_not1_b32 vcc_lo, exec_lo, s7
	s_cbranch_vccz .LBB203_136
; %bb.129:
	s_and_not1_b32 vcc_lo, exec_lo, s6
	s_cbranch_vccnz .LBB203_131
.LBB203_130:
	v_mov_b32_e32 v14, v15
.LBB203_131:
	s_delay_alu instid0(VALU_DEP_1)
	v_perm_b32 v4, v14, v4, 0x5040100
.LBB203_132:
	s_or_b32 exec_lo, exec_lo, s3
	s_wait_loadcnt 0x0
	v_or_b32_e32 v13, 0x200, v0
	s_mov_b32 s3, exec_lo
	s_delay_alu instid0(VALU_DEP_1)
	v_cmpx_gt_i32_e64 s8, v13
	s_cbranch_execz .LBB203_145
; %bb.133:
	s_cmp_lt_i32 s9, 1
	s_mov_b32 s6, 0
	s_cbranch_scc1 .LBB203_137
; %bb.134:
	s_cmp_eq_u32 s9, 1
	s_cbranch_scc0 .LBB203_138
; %bb.135:
	v_min_i16 v13, v12, s10
	s_mov_b32 s7, 0
	s_branch .LBB203_139
.LBB203_136:
	v_max_i16 v13, v13, s10
	s_delay_alu instid0(VALU_DEP_1)
	v_min_i16 v14, v13, s1
	s_cbranch_execz .LBB203_130
	s_branch .LBB203_131
.LBB203_137:
	s_mov_b32 s7, 0
                                        ; implicit-def: $vgpr13
	s_cbranch_execnz .LBB203_140
	s_branch .LBB203_141
.LBB203_138:
	s_mov_b32 s7, -1
                                        ; implicit-def: $vgpr13
.LBB203_139:
	s_branch .LBB203_141
.LBB203_140:
	s_cmp_lg_u32 s9, 0
	s_mov_b32 s6, -1
	s_cselect_b32 s7, -1, 0
.LBB203_141:
	v_max_i16 v14, v12, s10
	s_and_not1_b32 vcc_lo, exec_lo, s7
	s_cbranch_vccz .LBB203_149
; %bb.142:
	s_and_not1_b32 vcc_lo, exec_lo, s6
	s_cbranch_vccnz .LBB203_144
.LBB203_143:
	v_mov_b32_e32 v13, v14
.LBB203_144:
	s_delay_alu instid0(VALU_DEP_1)
	v_bfi_b32 v1, 0xffff, v13, v1
.LBB203_145:
	s_or_b32 exec_lo, exec_lo, s3
	v_or_b32_e32 v12, 0x300, v0
	s_mov_b32 s3, exec_lo
	s_delay_alu instid0(VALU_DEP_1)
	v_cmpx_gt_i32_e64 s8, v12
	s_cbranch_execz .LBB203_158
; %bb.146:
	s_cmp_lt_i32 s9, 1
	s_mov_b32 s6, 0
	s_cbranch_scc1 .LBB203_150
; %bb.147:
	s_cmp_eq_u32 s9, 1
	s_cbranch_scc0 .LBB203_151
; %bb.148:
	v_min_i16 v12, v11, s10
	s_mov_b32 s7, 0
	s_branch .LBB203_152
.LBB203_149:
	v_max_i16 v12, v12, s10
	s_delay_alu instid0(VALU_DEP_1)
	v_min_i16 v13, v12, s1
	s_cbranch_execz .LBB203_143
	s_branch .LBB203_144
.LBB203_150:
	s_mov_b32 s7, 0
                                        ; implicit-def: $vgpr12
	s_cbranch_execnz .LBB203_153
	s_branch .LBB203_154
.LBB203_151:
	s_mov_b32 s7, -1
                                        ; implicit-def: $vgpr12
.LBB203_152:
	s_branch .LBB203_154
.LBB203_153:
	s_cmp_lg_u32 s9, 0
	s_mov_b32 s6, -1
	s_cselect_b32 s7, -1, 0
.LBB203_154:
	v_max_i16 v13, v11, s10
	s_and_not1_b32 vcc_lo, exec_lo, s7
	s_cbranch_vccz .LBB203_162
; %bb.155:
	s_and_not1_b32 vcc_lo, exec_lo, s6
	s_cbranch_vccnz .LBB203_157
.LBB203_156:
	v_mov_b32_e32 v12, v13
.LBB203_157:
	s_delay_alu instid0(VALU_DEP_1)
	v_perm_b32 v1, v12, v1, 0x5040100
.LBB203_158:
	s_or_b32 exec_lo, exec_lo, s3
	v_or_b32_e32 v11, 0x400, v0
	s_mov_b32 s3, exec_lo
	s_delay_alu instid0(VALU_DEP_1)
	v_cmpx_gt_i32_e64 s8, v11
	s_cbranch_execz .LBB203_171
; %bb.159:
	s_cmp_lt_i32 s9, 1
	s_mov_b32 s6, 0
	s_cbranch_scc1 .LBB203_163
; %bb.160:
	s_cmp_eq_u32 s9, 1
	s_cbranch_scc0 .LBB203_164
; %bb.161:
	v_min_i16 v11, v10, s10
	s_mov_b32 s7, 0
	s_branch .LBB203_165
.LBB203_162:
	v_max_i16 v11, v11, s10
	s_delay_alu instid0(VALU_DEP_1)
	v_min_i16 v12, v11, s1
	s_cbranch_execz .LBB203_156
	s_branch .LBB203_157
.LBB203_163:
	s_mov_b32 s7, 0
                                        ; implicit-def: $vgpr11
	s_cbranch_execnz .LBB203_166
	s_branch .LBB203_167
.LBB203_164:
	s_mov_b32 s7, -1
                                        ; implicit-def: $vgpr11
.LBB203_165:
	s_branch .LBB203_167
.LBB203_166:
	s_cmp_lg_u32 s9, 0
	s_mov_b32 s6, -1
	s_cselect_b32 s7, -1, 0
.LBB203_167:
	v_max_i16 v12, v10, s10
	s_and_not1_b32 vcc_lo, exec_lo, s7
	s_cbranch_vccz .LBB203_175
; %bb.168:
	s_and_not1_b32 vcc_lo, exec_lo, s6
	s_cbranch_vccnz .LBB203_170
.LBB203_169:
	v_mov_b32_e32 v11, v12
.LBB203_170:
	s_delay_alu instid0(VALU_DEP_1)
	v_bfi_b32 v2, 0xffff, v11, v2
.LBB203_171:
	s_or_b32 exec_lo, exec_lo, s3
	v_or_b32_e32 v10, 0x500, v0
	s_mov_b32 s3, exec_lo
	s_delay_alu instid0(VALU_DEP_1)
	v_cmpx_gt_i32_e64 s8, v10
	s_cbranch_execz .LBB203_184
; %bb.172:
	s_cmp_lt_i32 s9, 1
	s_mov_b32 s6, 0
	s_cbranch_scc1 .LBB203_176
; %bb.173:
	s_cmp_eq_u32 s9, 1
	s_cbranch_scc0 .LBB203_177
; %bb.174:
	v_min_i16 v10, v9, s10
	s_mov_b32 s7, 0
	s_branch .LBB203_178
.LBB203_175:
	v_max_i16 v10, v10, s10
	s_delay_alu instid0(VALU_DEP_1)
	v_min_i16 v11, v10, s1
	s_cbranch_execz .LBB203_169
	s_branch .LBB203_170
.LBB203_176:
	s_mov_b32 s7, 0
                                        ; implicit-def: $vgpr10
	s_cbranch_execnz .LBB203_179
	s_branch .LBB203_180
.LBB203_177:
	s_mov_b32 s7, -1
                                        ; implicit-def: $vgpr10
.LBB203_178:
	s_branch .LBB203_180
.LBB203_179:
	s_cmp_lg_u32 s9, 0
	s_mov_b32 s6, -1
	s_cselect_b32 s7, -1, 0
.LBB203_180:
	v_max_i16 v11, v9, s10
	s_and_not1_b32 vcc_lo, exec_lo, s7
	s_cbranch_vccz .LBB203_188
; %bb.181:
	s_and_not1_b32 vcc_lo, exec_lo, s6
	s_cbranch_vccnz .LBB203_183
.LBB203_182:
	v_mov_b32_e32 v10, v11
.LBB203_183:
	s_delay_alu instid0(VALU_DEP_1)
	v_perm_b32 v2, v10, v2, 0x5040100
.LBB203_184:
	s_or_b32 exec_lo, exec_lo, s3
	v_or_b32_e32 v9, 0x600, v0
	s_mov_b32 s3, exec_lo
	s_delay_alu instid0(VALU_DEP_1)
	v_cmpx_gt_i32_e64 s8, v9
	s_cbranch_execz .LBB203_197
; %bb.185:
	s_cmp_lt_i32 s9, 1
	s_mov_b32 s6, 0
	s_cbranch_scc1 .LBB203_189
; %bb.186:
	s_cmp_eq_u32 s9, 1
	s_cbranch_scc0 .LBB203_190
; %bb.187:
	v_min_i16 v9, v8, s10
	s_mov_b32 s7, 0
	s_branch .LBB203_191
.LBB203_188:
	v_max_i16 v9, v9, s10
	s_delay_alu instid0(VALU_DEP_1)
	v_min_i16 v10, v9, s1
	s_cbranch_execz .LBB203_182
	s_branch .LBB203_183
.LBB203_189:
	s_mov_b32 s7, 0
                                        ; implicit-def: $vgpr9
	s_cbranch_execnz .LBB203_192
	s_branch .LBB203_193
.LBB203_190:
	s_mov_b32 s7, -1
                                        ; implicit-def: $vgpr9
.LBB203_191:
	s_branch .LBB203_193
.LBB203_192:
	s_cmp_lg_u32 s9, 0
	s_mov_b32 s6, -1
	s_cselect_b32 s7, -1, 0
.LBB203_193:
	v_max_i16 v10, v8, s10
	s_and_not1_b32 vcc_lo, exec_lo, s7
	s_cbranch_vccz .LBB203_201
; %bb.194:
	s_and_not1_b32 vcc_lo, exec_lo, s6
	s_cbranch_vccnz .LBB203_196
.LBB203_195:
	v_mov_b32_e32 v9, v10
.LBB203_196:
	s_delay_alu instid0(VALU_DEP_1)
	v_bfi_b32 v3, 0xffff, v9, v3
.LBB203_197:
	s_or_b32 exec_lo, exec_lo, s3
	v_or_b32_e32 v8, 0x700, v0
	s_mov_b32 s3, exec_lo
	s_delay_alu instid0(VALU_DEP_1)
	v_cmpx_gt_i32_e64 s8, v8
	s_cbranch_execz .LBB203_210
; %bb.198:
	s_cmp_lt_i32 s9, 1
	s_mov_b32 s6, 0
	s_cbranch_scc1 .LBB203_202
; %bb.199:
	s_cmp_eq_u32 s9, 1
	s_cbranch_scc0 .LBB203_203
; %bb.200:
	v_min_i16 v8, v7, s10
	s_mov_b32 s7, 0
	s_branch .LBB203_204
.LBB203_201:
	v_max_i16 v8, v8, s10
	s_delay_alu instid0(VALU_DEP_1)
	v_min_i16 v9, v8, s1
	s_cbranch_execz .LBB203_195
	s_branch .LBB203_196
.LBB203_202:
	s_mov_b32 s7, 0
                                        ; implicit-def: $vgpr8
	s_cbranch_execnz .LBB203_205
	s_branch .LBB203_206
.LBB203_203:
	s_mov_b32 s7, -1
                                        ; implicit-def: $vgpr8
.LBB203_204:
	s_branch .LBB203_206
.LBB203_205:
	s_cmp_lg_u32 s9, 0
	s_mov_b32 s6, -1
	s_cselect_b32 s7, -1, 0
.LBB203_206:
	v_max_i16 v9, v7, s10
	s_and_not1_b32 vcc_lo, exec_lo, s7
	s_cbranch_vccz .LBB203_227
; %bb.207:
	s_and_not1_b32 vcc_lo, exec_lo, s6
	s_cbranch_vccnz .LBB203_209
.LBB203_208:
	v_mov_b32_e32 v8, v9
.LBB203_209:
	s_delay_alu instid0(VALU_DEP_1)
	v_perm_b32 v3, v8, v3, 0x5040100
.LBB203_210:
	s_or_b32 exec_lo, exec_lo, s3
	s_and_saveexec_b32 s1, s0
	s_delay_alu instid0(SALU_CYCLE_1)
	s_xor_b32 s0, exec_lo, s1
	s_cbranch_execz .LBB203_212
; %bb.211:
	v_mov_b32_e32 v0, v6
	global_store_b16 v5, v4, s[4:5] scale_offset
.LBB203_212:
	s_wait_xcnt 0x0
	s_or_b32 exec_lo, exec_lo, s0
	s_delay_alu instid0(SALU_CYCLE_1)
	s_mov_b32 s0, exec_lo
	v_cmpx_gt_i32_e64 s8, v0
	s_cbranch_execnz .LBB203_221
; %bb.213:
	s_or_b32 exec_lo, exec_lo, s0
	s_delay_alu instid0(SALU_CYCLE_1)
	s_mov_b32 s0, exec_lo
	v_cmpx_gt_i32_e64 s8, v0
	s_cbranch_execnz .LBB203_222
.LBB203_214:
	s_or_b32 exec_lo, exec_lo, s0
	s_delay_alu instid0(SALU_CYCLE_1)
	s_mov_b32 s0, exec_lo
	v_cmpx_gt_i32_e64 s8, v0
	s_cbranch_execnz .LBB203_223
.LBB203_215:
	s_or_b32 exec_lo, exec_lo, s0
	s_delay_alu instid0(SALU_CYCLE_1)
	s_mov_b32 s0, exec_lo
	v_cmpx_gt_i32_e64 s8, v0
	s_cbranch_execnz .LBB203_224
.LBB203_216:
	s_or_b32 exec_lo, exec_lo, s0
	s_delay_alu instid0(SALU_CYCLE_1)
	s_mov_b32 s0, exec_lo
	v_cmpx_gt_i32_e64 s8, v0
	s_cbranch_execnz .LBB203_225
.LBB203_217:
	s_or_b32 exec_lo, exec_lo, s0
	s_delay_alu instid0(SALU_CYCLE_1)
	s_mov_b32 s0, exec_lo
	v_cmpx_gt_i32_e64 s8, v0
	s_cbranch_execnz .LBB203_226
.LBB203_218:
	s_or_b32 exec_lo, exec_lo, s0
	s_delay_alu instid0(SALU_CYCLE_1)
	s_mov_b32 s0, exec_lo
	v_cmpx_gt_i32_e64 s8, v0
	s_cbranch_execz .LBB203_220
.LBB203_219:
	v_add_nc_u32_e32 v0, s2, v0
	global_store_d16_hi_b16 v0, v3, s[4:5] scale_offset
.LBB203_220:
	s_endpgm
.LBB203_221:
	v_add_nc_u32_e32 v5, s2, v0
	v_add_nc_u32_e32 v0, 0x100, v0
	global_store_d16_hi_b16 v5, v4, s[4:5] scale_offset
	s_wait_xcnt 0x0
	s_or_b32 exec_lo, exec_lo, s0
	s_delay_alu instid0(SALU_CYCLE_1)
	s_mov_b32 s0, exec_lo
	v_cmpx_gt_i32_e64 s8, v0
	s_cbranch_execz .LBB203_214
.LBB203_222:
	v_add_nc_u32_e32 v4, s2, v0
	v_add_nc_u32_e32 v0, 0x100, v0
	global_store_b16 v4, v1, s[4:5] scale_offset
	s_wait_xcnt 0x0
	s_or_b32 exec_lo, exec_lo, s0
	s_delay_alu instid0(SALU_CYCLE_1)
	s_mov_b32 s0, exec_lo
	v_cmpx_gt_i32_e64 s8, v0
	s_cbranch_execz .LBB203_215
.LBB203_223:
	v_add_nc_u32_e32 v4, s2, v0
	v_add_nc_u32_e32 v0, 0x100, v0
	global_store_d16_hi_b16 v4, v1, s[4:5] scale_offset
	s_wait_xcnt 0x0
	s_or_b32 exec_lo, exec_lo, s0
	s_delay_alu instid0(SALU_CYCLE_1)
	s_mov_b32 s0, exec_lo
	v_cmpx_gt_i32_e64 s8, v0
	s_cbranch_execz .LBB203_216
.LBB203_224:
	v_add_nc_u32_e32 v1, s2, v0
	v_add_nc_u32_e32 v0, 0x100, v0
	global_store_b16 v1, v2, s[4:5] scale_offset
	s_wait_xcnt 0x0
	s_or_b32 exec_lo, exec_lo, s0
	s_delay_alu instid0(SALU_CYCLE_1)
	s_mov_b32 s0, exec_lo
	v_cmpx_gt_i32_e64 s8, v0
	s_cbranch_execz .LBB203_217
.LBB203_225:
	v_add_nc_u32_e32 v1, s2, v0
	v_add_nc_u32_e32 v0, 0x100, v0
	global_store_d16_hi_b16 v1, v2, s[4:5] scale_offset
	s_wait_xcnt 0x0
	s_or_b32 exec_lo, exec_lo, s0
	s_delay_alu instid0(SALU_CYCLE_1)
	s_mov_b32 s0, exec_lo
	v_cmpx_gt_i32_e64 s8, v0
	s_cbranch_execz .LBB203_218
.LBB203_226:
	v_add_nc_u32_e32 v1, s2, v0
	v_add_nc_u32_e32 v0, 0x100, v0
	global_store_b16 v1, v3, s[4:5] scale_offset
	s_wait_xcnt 0x0
	s_or_b32 exec_lo, exec_lo, s0
	s_delay_alu instid0(SALU_CYCLE_1)
	s_mov_b32 s0, exec_lo
	v_cmpx_gt_i32_e64 s8, v0
	s_cbranch_execnz .LBB203_219
	s_branch .LBB203_220
.LBB203_227:
	v_max_i16 v7, v7, s10
	s_delay_alu instid0(VALU_DEP_1)
	v_min_i16 v8, v7, s1
	s_cbranch_execz .LBB203_208
	s_branch .LBB203_209
	.section	.rodata,"a",@progbits
	.p2align	6, 0x0
	.amdhsa_kernel _ZN2at6native29vectorized_elementwise_kernelILi2EZZZNS0_12_GLOBAL__N_119launch_clamp_scalarERNS_18TensorIteratorBaseEN3c106ScalarES6_NS0_6detail11ClampLimitsEENKUlvE_clEvENKUlvE3_clEvEUlsE_St5arrayIPcLm2EEEEviT0_T1_
		.amdhsa_group_segment_fixed_size 0
		.amdhsa_private_segment_fixed_size 0
		.amdhsa_kernarg_size 32
		.amdhsa_user_sgpr_count 2
		.amdhsa_user_sgpr_dispatch_ptr 0
		.amdhsa_user_sgpr_queue_ptr 0
		.amdhsa_user_sgpr_kernarg_segment_ptr 1
		.amdhsa_user_sgpr_dispatch_id 0
		.amdhsa_user_sgpr_kernarg_preload_length 0
		.amdhsa_user_sgpr_kernarg_preload_offset 0
		.amdhsa_user_sgpr_private_segment_size 0
		.amdhsa_wavefront_size32 1
		.amdhsa_uses_dynamic_stack 0
		.amdhsa_enable_private_segment 0
		.amdhsa_system_sgpr_workgroup_id_x 1
		.amdhsa_system_sgpr_workgroup_id_y 0
		.amdhsa_system_sgpr_workgroup_id_z 0
		.amdhsa_system_sgpr_workgroup_info 0
		.amdhsa_system_vgpr_workitem_id 0
		.amdhsa_next_free_vgpr 16
		.amdhsa_next_free_sgpr 14
		.amdhsa_named_barrier_count 0
		.amdhsa_reserve_vcc 1
		.amdhsa_float_round_mode_32 0
		.amdhsa_float_round_mode_16_64 0
		.amdhsa_float_denorm_mode_32 3
		.amdhsa_float_denorm_mode_16_64 3
		.amdhsa_fp16_overflow 0
		.amdhsa_memory_ordered 1
		.amdhsa_forward_progress 1
		.amdhsa_inst_pref_size 30
		.amdhsa_round_robin_scheduling 0
		.amdhsa_exception_fp_ieee_invalid_op 0
		.amdhsa_exception_fp_denorm_src 0
		.amdhsa_exception_fp_ieee_div_zero 0
		.amdhsa_exception_fp_ieee_overflow 0
		.amdhsa_exception_fp_ieee_underflow 0
		.amdhsa_exception_fp_ieee_inexact 0
		.amdhsa_exception_int_div_zero 0
	.end_amdhsa_kernel
	.section	.text._ZN2at6native29vectorized_elementwise_kernelILi2EZZZNS0_12_GLOBAL__N_119launch_clamp_scalarERNS_18TensorIteratorBaseEN3c106ScalarES6_NS0_6detail11ClampLimitsEENKUlvE_clEvENKUlvE3_clEvEUlsE_St5arrayIPcLm2EEEEviT0_T1_,"axG",@progbits,_ZN2at6native29vectorized_elementwise_kernelILi2EZZZNS0_12_GLOBAL__N_119launch_clamp_scalarERNS_18TensorIteratorBaseEN3c106ScalarES6_NS0_6detail11ClampLimitsEENKUlvE_clEvENKUlvE3_clEvEUlsE_St5arrayIPcLm2EEEEviT0_T1_,comdat
.Lfunc_end203:
	.size	_ZN2at6native29vectorized_elementwise_kernelILi2EZZZNS0_12_GLOBAL__N_119launch_clamp_scalarERNS_18TensorIteratorBaseEN3c106ScalarES6_NS0_6detail11ClampLimitsEENKUlvE_clEvENKUlvE3_clEvEUlsE_St5arrayIPcLm2EEEEviT0_T1_, .Lfunc_end203-_ZN2at6native29vectorized_elementwise_kernelILi2EZZZNS0_12_GLOBAL__N_119launch_clamp_scalarERNS_18TensorIteratorBaseEN3c106ScalarES6_NS0_6detail11ClampLimitsEENKUlvE_clEvENKUlvE3_clEvEUlsE_St5arrayIPcLm2EEEEviT0_T1_
                                        ; -- End function
	.set _ZN2at6native29vectorized_elementwise_kernelILi2EZZZNS0_12_GLOBAL__N_119launch_clamp_scalarERNS_18TensorIteratorBaseEN3c106ScalarES6_NS0_6detail11ClampLimitsEENKUlvE_clEvENKUlvE3_clEvEUlsE_St5arrayIPcLm2EEEEviT0_T1_.num_vgpr, 16
	.set _ZN2at6native29vectorized_elementwise_kernelILi2EZZZNS0_12_GLOBAL__N_119launch_clamp_scalarERNS_18TensorIteratorBaseEN3c106ScalarES6_NS0_6detail11ClampLimitsEENKUlvE_clEvENKUlvE3_clEvEUlsE_St5arrayIPcLm2EEEEviT0_T1_.num_agpr, 0
	.set _ZN2at6native29vectorized_elementwise_kernelILi2EZZZNS0_12_GLOBAL__N_119launch_clamp_scalarERNS_18TensorIteratorBaseEN3c106ScalarES6_NS0_6detail11ClampLimitsEENKUlvE_clEvENKUlvE3_clEvEUlsE_St5arrayIPcLm2EEEEviT0_T1_.numbered_sgpr, 14
	.set _ZN2at6native29vectorized_elementwise_kernelILi2EZZZNS0_12_GLOBAL__N_119launch_clamp_scalarERNS_18TensorIteratorBaseEN3c106ScalarES6_NS0_6detail11ClampLimitsEENKUlvE_clEvENKUlvE3_clEvEUlsE_St5arrayIPcLm2EEEEviT0_T1_.num_named_barrier, 0
	.set _ZN2at6native29vectorized_elementwise_kernelILi2EZZZNS0_12_GLOBAL__N_119launch_clamp_scalarERNS_18TensorIteratorBaseEN3c106ScalarES6_NS0_6detail11ClampLimitsEENKUlvE_clEvENKUlvE3_clEvEUlsE_St5arrayIPcLm2EEEEviT0_T1_.private_seg_size, 0
	.set _ZN2at6native29vectorized_elementwise_kernelILi2EZZZNS0_12_GLOBAL__N_119launch_clamp_scalarERNS_18TensorIteratorBaseEN3c106ScalarES6_NS0_6detail11ClampLimitsEENKUlvE_clEvENKUlvE3_clEvEUlsE_St5arrayIPcLm2EEEEviT0_T1_.uses_vcc, 1
	.set _ZN2at6native29vectorized_elementwise_kernelILi2EZZZNS0_12_GLOBAL__N_119launch_clamp_scalarERNS_18TensorIteratorBaseEN3c106ScalarES6_NS0_6detail11ClampLimitsEENKUlvE_clEvENKUlvE3_clEvEUlsE_St5arrayIPcLm2EEEEviT0_T1_.uses_flat_scratch, 0
	.set _ZN2at6native29vectorized_elementwise_kernelILi2EZZZNS0_12_GLOBAL__N_119launch_clamp_scalarERNS_18TensorIteratorBaseEN3c106ScalarES6_NS0_6detail11ClampLimitsEENKUlvE_clEvENKUlvE3_clEvEUlsE_St5arrayIPcLm2EEEEviT0_T1_.has_dyn_sized_stack, 0
	.set _ZN2at6native29vectorized_elementwise_kernelILi2EZZZNS0_12_GLOBAL__N_119launch_clamp_scalarERNS_18TensorIteratorBaseEN3c106ScalarES6_NS0_6detail11ClampLimitsEENKUlvE_clEvENKUlvE3_clEvEUlsE_St5arrayIPcLm2EEEEviT0_T1_.has_recursion, 0
	.set _ZN2at6native29vectorized_elementwise_kernelILi2EZZZNS0_12_GLOBAL__N_119launch_clamp_scalarERNS_18TensorIteratorBaseEN3c106ScalarES6_NS0_6detail11ClampLimitsEENKUlvE_clEvENKUlvE3_clEvEUlsE_St5arrayIPcLm2EEEEviT0_T1_.has_indirect_call, 0
	.section	.AMDGPU.csdata,"",@progbits
; Kernel info:
; codeLenInByte = 3792
; TotalNumSgprs: 16
; NumVgprs: 16
; ScratchSize: 0
; MemoryBound: 0
; FloatMode: 240
; IeeeMode: 1
; LDSByteSize: 0 bytes/workgroup (compile time only)
; SGPRBlocks: 0
; VGPRBlocks: 0
; NumSGPRsForWavesPerEU: 16
; NumVGPRsForWavesPerEU: 16
; NamedBarCnt: 0
; Occupancy: 16
; WaveLimiterHint : 1
; COMPUTE_PGM_RSRC2:SCRATCH_EN: 0
; COMPUTE_PGM_RSRC2:USER_SGPR: 2
; COMPUTE_PGM_RSRC2:TRAP_HANDLER: 0
; COMPUTE_PGM_RSRC2:TGID_X_EN: 1
; COMPUTE_PGM_RSRC2:TGID_Y_EN: 0
; COMPUTE_PGM_RSRC2:TGID_Z_EN: 0
; COMPUTE_PGM_RSRC2:TIDIG_COMP_CNT: 0
	.section	.text._ZN2at6native27unrolled_elementwise_kernelIZZZNS0_12_GLOBAL__N_119launch_clamp_scalarERNS_18TensorIteratorBaseEN3c106ScalarES6_NS0_6detail11ClampLimitsEENKUlvE_clEvENKUlvE3_clEvEUlsE_St5arrayIPcLm2EELi4E23TrivialOffsetCalculatorILi1EjESG_NS0_6memory15LoadWithoutCastENSH_16StoreWithoutCastEEEviT_T0_T2_T3_T4_T5_,"axG",@progbits,_ZN2at6native27unrolled_elementwise_kernelIZZZNS0_12_GLOBAL__N_119launch_clamp_scalarERNS_18TensorIteratorBaseEN3c106ScalarES6_NS0_6detail11ClampLimitsEENKUlvE_clEvENKUlvE3_clEvEUlsE_St5arrayIPcLm2EELi4E23TrivialOffsetCalculatorILi1EjESG_NS0_6memory15LoadWithoutCastENSH_16StoreWithoutCastEEEviT_T0_T2_T3_T4_T5_,comdat
	.globl	_ZN2at6native27unrolled_elementwise_kernelIZZZNS0_12_GLOBAL__N_119launch_clamp_scalarERNS_18TensorIteratorBaseEN3c106ScalarES6_NS0_6detail11ClampLimitsEENKUlvE_clEvENKUlvE3_clEvEUlsE_St5arrayIPcLm2EELi4E23TrivialOffsetCalculatorILi1EjESG_NS0_6memory15LoadWithoutCastENSH_16StoreWithoutCastEEEviT_T0_T2_T3_T4_T5_ ; -- Begin function _ZN2at6native27unrolled_elementwise_kernelIZZZNS0_12_GLOBAL__N_119launch_clamp_scalarERNS_18TensorIteratorBaseEN3c106ScalarES6_NS0_6detail11ClampLimitsEENKUlvE_clEvENKUlvE3_clEvEUlsE_St5arrayIPcLm2EELi4E23TrivialOffsetCalculatorILi1EjESG_NS0_6memory15LoadWithoutCastENSH_16StoreWithoutCastEEEviT_T0_T2_T3_T4_T5_
	.p2align	8
	.type	_ZN2at6native27unrolled_elementwise_kernelIZZZNS0_12_GLOBAL__N_119launch_clamp_scalarERNS_18TensorIteratorBaseEN3c106ScalarES6_NS0_6detail11ClampLimitsEENKUlvE_clEvENKUlvE3_clEvEUlsE_St5arrayIPcLm2EELi4E23TrivialOffsetCalculatorILi1EjESG_NS0_6memory15LoadWithoutCastENSH_16StoreWithoutCastEEEviT_T0_T2_T3_T4_T5_,@function
_ZN2at6native27unrolled_elementwise_kernelIZZZNS0_12_GLOBAL__N_119launch_clamp_scalarERNS_18TensorIteratorBaseEN3c106ScalarES6_NS0_6detail11ClampLimitsEENKUlvE_clEvENKUlvE3_clEvEUlsE_St5arrayIPcLm2EELi4E23TrivialOffsetCalculatorILi1EjESG_NS0_6memory15LoadWithoutCastENSH_16StoreWithoutCastEEEviT_T0_T2_T3_T4_T5_: ; @_ZN2at6native27unrolled_elementwise_kernelIZZZNS0_12_GLOBAL__N_119launch_clamp_scalarERNS_18TensorIteratorBaseEN3c106ScalarES6_NS0_6detail11ClampLimitsEENKUlvE_clEvENKUlvE3_clEvEUlsE_St5arrayIPcLm2EELi4E23TrivialOffsetCalculatorILi1EjESG_NS0_6memory15LoadWithoutCastENSH_16StoreWithoutCastEEEviT_T0_T2_T3_T4_T5_
; %bb.0:
	s_clause 0x1
	s_load_b96 s[8:10], s[0:1], 0x0
	s_load_b128 s[4:7], s[0:1], 0x10
	s_bfe_u32 s2, ttmp6, 0x4000c
	s_wait_xcnt 0x0
	s_and_b32 s0, ttmp6, 15
	s_add_co_i32 s2, s2, 1
	v_dual_mov_b32 v7, 0 :: v_dual_mov_b32 v8, 0
	s_mul_i32 s1, ttmp9, s2
	s_getreg_b32 s2, hwreg(HW_REG_IB_STS2, 6, 4)
	s_add_co_i32 s0, s0, s1
	s_cmp_eq_u32 s2, 0
	v_or_b32_e32 v3, 0x100, v0
	s_cselect_b32 s0, ttmp9, s0
	v_mov_b32_e32 v1, v0
	s_lshl_b32 s1, s0, 10
	s_delay_alu instid0(SALU_CYCLE_1) | instskip(SKIP_2) | instid1(SALU_CYCLE_1)
	v_or_b32_e32 v4, s1, v0
	s_wait_kmcnt 0x0
	s_sub_co_i32 s2, s8, s1
	v_cmp_gt_i32_e64 s0, s2, v0
	s_and_saveexec_b32 s3, s0
	s_cbranch_execz .LBB204_2
; %bb.1:
	global_load_u16 v8, v4, s[6:7] scale_offset
	v_or_b32_e32 v1, 0x100, v0
.LBB204_2:
	s_wait_xcnt 0x0
	s_or_b32 exec_lo, exec_lo, s3
	s_delay_alu instid0(SALU_CYCLE_1) | instskip(NEXT) | instid1(VALU_DEP_1)
	s_mov_b32 s3, exec_lo
	v_cmpx_gt_i32_e64 s2, v1
	s_cbranch_execz .LBB204_4
; %bb.3:
	v_add_nc_u32_e32 v2, s1, v1
	v_add_nc_u32_e32 v1, 0x100, v1
	global_load_u16 v7, v2, s[6:7] scale_offset
.LBB204_4:
	s_wait_xcnt 0x0
	s_or_b32 exec_lo, exec_lo, s3
	v_dual_mov_b32 v5, 0 :: v_dual_mov_b32 v6, 0
	s_mov_b32 s3, exec_lo
	v_cmpx_gt_i32_e64 s2, v1
	s_cbranch_execz .LBB204_6
; %bb.5:
	v_add_nc_u32_e32 v2, s1, v1
	v_add_nc_u32_e32 v1, 0x100, v1
	global_load_u16 v6, v2, s[6:7] scale_offset
.LBB204_6:
	s_wait_xcnt 0x0
	s_or_b32 exec_lo, exec_lo, s3
	s_delay_alu instid0(SALU_CYCLE_1)
	s_mov_b32 s3, exec_lo
	v_cmpx_gt_i32_e64 s2, v1
	s_cbranch_execz .LBB204_8
; %bb.7:
	v_add_nc_u32_e32 v1, s1, v1
	global_load_u16 v5, v1, s[6:7] scale_offset
.LBB204_8:
	s_wait_xcnt 0x0
	s_or_b32 exec_lo, exec_lo, s3
	v_mov_b32_e32 v2, 0
	s_lshr_b32 s3, s10, 16
	s_delay_alu instid0(VALU_DEP_1)
	v_mov_b32_e32 v1, v2
	s_and_saveexec_b32 s6, s0
	s_cbranch_execz .LBB204_20
; %bb.9:
	s_cmp_lt_i32 s9, 1
	s_mov_b32 s7, 0
	s_cbranch_scc1 .LBB204_12
; %bb.10:
	s_cmp_eq_u32 s9, 1
	s_cbranch_scc0 .LBB204_13
; %bb.11:
	s_wait_loadcnt 0x0
	v_min_i16 v1, v8, s10
	s_mov_b32 s8, 0
	s_branch .LBB204_14
.LBB204_12:
	s_mov_b32 s8, 0
                                        ; implicit-def: $vgpr1
	s_cbranch_execnz .LBB204_15
	s_branch .LBB204_16
.LBB204_13:
	s_mov_b32 s8, -1
                                        ; implicit-def: $vgpr1
.LBB204_14:
	s_branch .LBB204_16
.LBB204_15:
	s_cmp_lg_u32 s9, 0
	s_mov_b32 s7, -1
	s_cselect_b32 s8, -1, 0
.LBB204_16:
	s_wait_loadcnt 0x0
	v_max_i16 v2, v8, s10
	s_and_not1_b32 vcc_lo, exec_lo, s8
	s_cbranch_vccz .LBB204_24
; %bb.17:
	s_and_not1_b32 vcc_lo, exec_lo, s7
	s_cbranch_vccnz .LBB204_19
.LBB204_18:
	v_mov_b32_e32 v1, v2
.LBB204_19:
	s_delay_alu instid0(VALU_DEP_1)
	v_and_b32_e32 v2, 0xffff, v1
	v_mov_b32_e32 v1, 0
.LBB204_20:
	s_or_b32 exec_lo, exec_lo, s6
	s_delay_alu instid0(SALU_CYCLE_1)
	s_mov_b32 s6, exec_lo
	v_cmpx_gt_i32_e64 s2, v3
	s_cbranch_execz .LBB204_33
; %bb.21:
	s_cmp_lt_i32 s9, 1
	s_mov_b32 s7, 0
	s_cbranch_scc1 .LBB204_25
; %bb.22:
	s_cmp_eq_u32 s9, 1
	s_cbranch_scc0 .LBB204_26
; %bb.23:
	s_wait_loadcnt 0x0
	v_min_i16 v8, v7, s10
	s_mov_b32 s8, 0
	s_branch .LBB204_27
.LBB204_24:
	v_max_i16 v1, v8, s10
	s_delay_alu instid0(VALU_DEP_1)
	v_min_i16 v1, v1, s3
	s_cbranch_execz .LBB204_18
	s_branch .LBB204_19
.LBB204_25:
	s_mov_b32 s8, 0
                                        ; implicit-def: $vgpr8
	s_cbranch_execnz .LBB204_28
	s_branch .LBB204_29
.LBB204_26:
	s_mov_b32 s8, -1
                                        ; implicit-def: $vgpr8
.LBB204_27:
	s_branch .LBB204_29
.LBB204_28:
	s_cmp_lg_u32 s9, 0
	s_mov_b32 s7, -1
	s_cselect_b32 s8, -1, 0
.LBB204_29:
	s_wait_loadcnt 0x0
	v_max_i16 v9, v7, s10
	s_and_not1_b32 vcc_lo, exec_lo, s8
	s_cbranch_vccz .LBB204_37
; %bb.30:
	s_and_not1_b32 vcc_lo, exec_lo, s7
	s_cbranch_vccnz .LBB204_32
.LBB204_31:
	v_mov_b32_e32 v8, v9
.LBB204_32:
	s_delay_alu instid0(VALU_DEP_1)
	v_perm_b32 v2, v8, v2, 0x5040100
.LBB204_33:
	s_or_b32 exec_lo, exec_lo, s6
	s_wait_loadcnt 0x0
	v_or_b32_e32 v7, 0x200, v0
	s_mov_b32 s6, exec_lo
	s_delay_alu instid0(VALU_DEP_1)
	v_cmpx_gt_i32_e64 s2, v7
	s_cbranch_execz .LBB204_46
; %bb.34:
	s_cmp_lt_i32 s9, 1
	s_mov_b32 s7, 0
	s_cbranch_scc1 .LBB204_38
; %bb.35:
	s_cmp_eq_u32 s9, 1
	s_cbranch_scc0 .LBB204_39
; %bb.36:
	v_min_i16 v7, v6, s10
	s_mov_b32 s8, 0
	s_branch .LBB204_40
.LBB204_37:
	v_max_i16 v7, v7, s10
	s_delay_alu instid0(VALU_DEP_1)
	v_min_i16 v8, v7, s3
	s_cbranch_execz .LBB204_31
	s_branch .LBB204_32
.LBB204_38:
	s_mov_b32 s8, 0
                                        ; implicit-def: $vgpr7
	s_cbranch_execnz .LBB204_41
	s_branch .LBB204_42
.LBB204_39:
	s_mov_b32 s8, -1
                                        ; implicit-def: $vgpr7
.LBB204_40:
	s_branch .LBB204_42
.LBB204_41:
	s_cmp_lg_u32 s9, 0
	s_mov_b32 s7, -1
	s_cselect_b32 s8, -1, 0
.LBB204_42:
	v_max_i16 v8, v6, s10
	s_and_not1_b32 vcc_lo, exec_lo, s8
	s_cbranch_vccz .LBB204_50
; %bb.43:
	s_and_not1_b32 vcc_lo, exec_lo, s7
	s_cbranch_vccnz .LBB204_45
.LBB204_44:
	v_mov_b32_e32 v7, v8
.LBB204_45:
	s_delay_alu instid0(VALU_DEP_1)
	v_bfi_b32 v1, 0xffff, v7, v1
.LBB204_46:
	s_or_b32 exec_lo, exec_lo, s6
	v_or_b32_e32 v6, 0x300, v0
	s_mov_b32 s6, exec_lo
	s_delay_alu instid0(VALU_DEP_1)
	v_cmpx_gt_i32_e64 s2, v6
	s_cbranch_execz .LBB204_59
; %bb.47:
	s_cmp_lt_i32 s9, 1
	s_mov_b32 s7, 0
	s_cbranch_scc1 .LBB204_51
; %bb.48:
	s_cmp_eq_u32 s9, 1
	s_cbranch_scc0 .LBB204_52
; %bb.49:
	v_min_i16 v6, v5, s10
	s_mov_b32 s8, 0
	s_branch .LBB204_53
.LBB204_50:
	v_max_i16 v6, v6, s10
	s_delay_alu instid0(VALU_DEP_1)
	v_min_i16 v7, v6, s3
	s_cbranch_execz .LBB204_44
	s_branch .LBB204_45
.LBB204_51:
	s_mov_b32 s8, 0
                                        ; implicit-def: $vgpr6
	s_cbranch_execnz .LBB204_54
	s_branch .LBB204_55
.LBB204_52:
	s_mov_b32 s8, -1
                                        ; implicit-def: $vgpr6
.LBB204_53:
	s_branch .LBB204_55
.LBB204_54:
	s_cmp_lg_u32 s9, 0
	s_mov_b32 s7, -1
	s_cselect_b32 s8, -1, 0
.LBB204_55:
	v_max_i16 v7, v5, s10
	s_and_not1_b32 vcc_lo, exec_lo, s8
	s_cbranch_vccz .LBB204_68
; %bb.56:
	s_and_not1_b32 vcc_lo, exec_lo, s7
	s_cbranch_vccnz .LBB204_58
.LBB204_57:
	v_mov_b32_e32 v6, v7
.LBB204_58:
	s_delay_alu instid0(VALU_DEP_1)
	v_perm_b32 v1, v6, v1, 0x5040100
.LBB204_59:
	s_or_b32 exec_lo, exec_lo, s6
	s_and_saveexec_b32 s3, s0
	s_delay_alu instid0(SALU_CYCLE_1)
	s_xor_b32 s0, exec_lo, s3
	s_cbranch_execz .LBB204_61
; %bb.60:
	v_mov_b32_e32 v0, v3
	global_store_b16 v4, v2, s[4:5] scale_offset
.LBB204_61:
	s_wait_xcnt 0x0
	s_or_b32 exec_lo, exec_lo, s0
	s_delay_alu instid0(SALU_CYCLE_1)
	s_mov_b32 s0, exec_lo
	v_cmpx_gt_i32_e64 s2, v0
	s_cbranch_execnz .LBB204_65
; %bb.62:
	s_or_b32 exec_lo, exec_lo, s0
	s_delay_alu instid0(SALU_CYCLE_1)
	s_mov_b32 s0, exec_lo
	v_cmpx_gt_i32_e64 s2, v0
	s_cbranch_execnz .LBB204_66
.LBB204_63:
	s_or_b32 exec_lo, exec_lo, s0
	s_delay_alu instid0(SALU_CYCLE_1)
	s_mov_b32 s0, exec_lo
	v_cmpx_gt_i32_e64 s2, v0
	s_cbranch_execnz .LBB204_67
.LBB204_64:
	s_endpgm
.LBB204_65:
	v_add_nc_u32_e32 v3, 0x100, v0
	s_delay_alu instid0(VALU_DEP_1) | instskip(SKIP_3) | instid1(SALU_CYCLE_1)
	v_dual_add_nc_u32 v4, s1, v0 :: v_dual_mov_b32 v0, v3
	global_store_d16_hi_b16 v4, v2, s[4:5] scale_offset
	s_wait_xcnt 0x0
	s_or_b32 exec_lo, exec_lo, s0
	s_mov_b32 s0, exec_lo
	v_cmpx_gt_i32_e64 s2, v0
	s_cbranch_execz .LBB204_63
.LBB204_66:
	v_add_nc_u32_e32 v2, 0x100, v0
	s_delay_alu instid0(VALU_DEP_1) | instskip(SKIP_3) | instid1(SALU_CYCLE_1)
	v_dual_mov_b32 v0, v2 :: v_dual_add_nc_u32 v3, s1, v0
	global_store_b16 v3, v1, s[4:5] scale_offset
	s_wait_xcnt 0x0
	s_or_b32 exec_lo, exec_lo, s0
	s_mov_b32 s0, exec_lo
	v_cmpx_gt_i32_e64 s2, v0
	s_cbranch_execz .LBB204_64
.LBB204_67:
	v_add_nc_u32_e32 v0, s1, v0
	global_store_d16_hi_b16 v0, v1, s[4:5] scale_offset
	s_endpgm
.LBB204_68:
	v_max_i16 v5, v5, s10
	s_delay_alu instid0(VALU_DEP_1)
	v_min_i16 v6, v5, s3
	s_cbranch_execz .LBB204_57
	s_branch .LBB204_58
	.section	.rodata,"a",@progbits
	.p2align	6, 0x0
	.amdhsa_kernel _ZN2at6native27unrolled_elementwise_kernelIZZZNS0_12_GLOBAL__N_119launch_clamp_scalarERNS_18TensorIteratorBaseEN3c106ScalarES6_NS0_6detail11ClampLimitsEENKUlvE_clEvENKUlvE3_clEvEUlsE_St5arrayIPcLm2EELi4E23TrivialOffsetCalculatorILi1EjESG_NS0_6memory15LoadWithoutCastENSH_16StoreWithoutCastEEEviT_T0_T2_T3_T4_T5_
		.amdhsa_group_segment_fixed_size 0
		.amdhsa_private_segment_fixed_size 0
		.amdhsa_kernarg_size 36
		.amdhsa_user_sgpr_count 2
		.amdhsa_user_sgpr_dispatch_ptr 0
		.amdhsa_user_sgpr_queue_ptr 0
		.amdhsa_user_sgpr_kernarg_segment_ptr 1
		.amdhsa_user_sgpr_dispatch_id 0
		.amdhsa_user_sgpr_kernarg_preload_length 0
		.amdhsa_user_sgpr_kernarg_preload_offset 0
		.amdhsa_user_sgpr_private_segment_size 0
		.amdhsa_wavefront_size32 1
		.amdhsa_uses_dynamic_stack 0
		.amdhsa_enable_private_segment 0
		.amdhsa_system_sgpr_workgroup_id_x 1
		.amdhsa_system_sgpr_workgroup_id_y 0
		.amdhsa_system_sgpr_workgroup_id_z 0
		.amdhsa_system_sgpr_workgroup_info 0
		.amdhsa_system_vgpr_workitem_id 0
		.amdhsa_next_free_vgpr 10
		.amdhsa_next_free_sgpr 11
		.amdhsa_named_barrier_count 0
		.amdhsa_reserve_vcc 1
		.amdhsa_float_round_mode_32 0
		.amdhsa_float_round_mode_16_64 0
		.amdhsa_float_denorm_mode_32 3
		.amdhsa_float_denorm_mode_16_64 3
		.amdhsa_fp16_overflow 0
		.amdhsa_memory_ordered 1
		.amdhsa_forward_progress 1
		.amdhsa_inst_pref_size 10
		.amdhsa_round_robin_scheduling 0
		.amdhsa_exception_fp_ieee_invalid_op 0
		.amdhsa_exception_fp_denorm_src 0
		.amdhsa_exception_fp_ieee_div_zero 0
		.amdhsa_exception_fp_ieee_overflow 0
		.amdhsa_exception_fp_ieee_underflow 0
		.amdhsa_exception_fp_ieee_inexact 0
		.amdhsa_exception_int_div_zero 0
	.end_amdhsa_kernel
	.section	.text._ZN2at6native27unrolled_elementwise_kernelIZZZNS0_12_GLOBAL__N_119launch_clamp_scalarERNS_18TensorIteratorBaseEN3c106ScalarES6_NS0_6detail11ClampLimitsEENKUlvE_clEvENKUlvE3_clEvEUlsE_St5arrayIPcLm2EELi4E23TrivialOffsetCalculatorILi1EjESG_NS0_6memory15LoadWithoutCastENSH_16StoreWithoutCastEEEviT_T0_T2_T3_T4_T5_,"axG",@progbits,_ZN2at6native27unrolled_elementwise_kernelIZZZNS0_12_GLOBAL__N_119launch_clamp_scalarERNS_18TensorIteratorBaseEN3c106ScalarES6_NS0_6detail11ClampLimitsEENKUlvE_clEvENKUlvE3_clEvEUlsE_St5arrayIPcLm2EELi4E23TrivialOffsetCalculatorILi1EjESG_NS0_6memory15LoadWithoutCastENSH_16StoreWithoutCastEEEviT_T0_T2_T3_T4_T5_,comdat
.Lfunc_end204:
	.size	_ZN2at6native27unrolled_elementwise_kernelIZZZNS0_12_GLOBAL__N_119launch_clamp_scalarERNS_18TensorIteratorBaseEN3c106ScalarES6_NS0_6detail11ClampLimitsEENKUlvE_clEvENKUlvE3_clEvEUlsE_St5arrayIPcLm2EELi4E23TrivialOffsetCalculatorILi1EjESG_NS0_6memory15LoadWithoutCastENSH_16StoreWithoutCastEEEviT_T0_T2_T3_T4_T5_, .Lfunc_end204-_ZN2at6native27unrolled_elementwise_kernelIZZZNS0_12_GLOBAL__N_119launch_clamp_scalarERNS_18TensorIteratorBaseEN3c106ScalarES6_NS0_6detail11ClampLimitsEENKUlvE_clEvENKUlvE3_clEvEUlsE_St5arrayIPcLm2EELi4E23TrivialOffsetCalculatorILi1EjESG_NS0_6memory15LoadWithoutCastENSH_16StoreWithoutCastEEEviT_T0_T2_T3_T4_T5_
                                        ; -- End function
	.set _ZN2at6native27unrolled_elementwise_kernelIZZZNS0_12_GLOBAL__N_119launch_clamp_scalarERNS_18TensorIteratorBaseEN3c106ScalarES6_NS0_6detail11ClampLimitsEENKUlvE_clEvENKUlvE3_clEvEUlsE_St5arrayIPcLm2EELi4E23TrivialOffsetCalculatorILi1EjESG_NS0_6memory15LoadWithoutCastENSH_16StoreWithoutCastEEEviT_T0_T2_T3_T4_T5_.num_vgpr, 10
	.set _ZN2at6native27unrolled_elementwise_kernelIZZZNS0_12_GLOBAL__N_119launch_clamp_scalarERNS_18TensorIteratorBaseEN3c106ScalarES6_NS0_6detail11ClampLimitsEENKUlvE_clEvENKUlvE3_clEvEUlsE_St5arrayIPcLm2EELi4E23TrivialOffsetCalculatorILi1EjESG_NS0_6memory15LoadWithoutCastENSH_16StoreWithoutCastEEEviT_T0_T2_T3_T4_T5_.num_agpr, 0
	.set _ZN2at6native27unrolled_elementwise_kernelIZZZNS0_12_GLOBAL__N_119launch_clamp_scalarERNS_18TensorIteratorBaseEN3c106ScalarES6_NS0_6detail11ClampLimitsEENKUlvE_clEvENKUlvE3_clEvEUlsE_St5arrayIPcLm2EELi4E23TrivialOffsetCalculatorILi1EjESG_NS0_6memory15LoadWithoutCastENSH_16StoreWithoutCastEEEviT_T0_T2_T3_T4_T5_.numbered_sgpr, 11
	.set _ZN2at6native27unrolled_elementwise_kernelIZZZNS0_12_GLOBAL__N_119launch_clamp_scalarERNS_18TensorIteratorBaseEN3c106ScalarES6_NS0_6detail11ClampLimitsEENKUlvE_clEvENKUlvE3_clEvEUlsE_St5arrayIPcLm2EELi4E23TrivialOffsetCalculatorILi1EjESG_NS0_6memory15LoadWithoutCastENSH_16StoreWithoutCastEEEviT_T0_T2_T3_T4_T5_.num_named_barrier, 0
	.set _ZN2at6native27unrolled_elementwise_kernelIZZZNS0_12_GLOBAL__N_119launch_clamp_scalarERNS_18TensorIteratorBaseEN3c106ScalarES6_NS0_6detail11ClampLimitsEENKUlvE_clEvENKUlvE3_clEvEUlsE_St5arrayIPcLm2EELi4E23TrivialOffsetCalculatorILi1EjESG_NS0_6memory15LoadWithoutCastENSH_16StoreWithoutCastEEEviT_T0_T2_T3_T4_T5_.private_seg_size, 0
	.set _ZN2at6native27unrolled_elementwise_kernelIZZZNS0_12_GLOBAL__N_119launch_clamp_scalarERNS_18TensorIteratorBaseEN3c106ScalarES6_NS0_6detail11ClampLimitsEENKUlvE_clEvENKUlvE3_clEvEUlsE_St5arrayIPcLm2EELi4E23TrivialOffsetCalculatorILi1EjESG_NS0_6memory15LoadWithoutCastENSH_16StoreWithoutCastEEEviT_T0_T2_T3_T4_T5_.uses_vcc, 1
	.set _ZN2at6native27unrolled_elementwise_kernelIZZZNS0_12_GLOBAL__N_119launch_clamp_scalarERNS_18TensorIteratorBaseEN3c106ScalarES6_NS0_6detail11ClampLimitsEENKUlvE_clEvENKUlvE3_clEvEUlsE_St5arrayIPcLm2EELi4E23TrivialOffsetCalculatorILi1EjESG_NS0_6memory15LoadWithoutCastENSH_16StoreWithoutCastEEEviT_T0_T2_T3_T4_T5_.uses_flat_scratch, 0
	.set _ZN2at6native27unrolled_elementwise_kernelIZZZNS0_12_GLOBAL__N_119launch_clamp_scalarERNS_18TensorIteratorBaseEN3c106ScalarES6_NS0_6detail11ClampLimitsEENKUlvE_clEvENKUlvE3_clEvEUlsE_St5arrayIPcLm2EELi4E23TrivialOffsetCalculatorILi1EjESG_NS0_6memory15LoadWithoutCastENSH_16StoreWithoutCastEEEviT_T0_T2_T3_T4_T5_.has_dyn_sized_stack, 0
	.set _ZN2at6native27unrolled_elementwise_kernelIZZZNS0_12_GLOBAL__N_119launch_clamp_scalarERNS_18TensorIteratorBaseEN3c106ScalarES6_NS0_6detail11ClampLimitsEENKUlvE_clEvENKUlvE3_clEvEUlsE_St5arrayIPcLm2EELi4E23TrivialOffsetCalculatorILi1EjESG_NS0_6memory15LoadWithoutCastENSH_16StoreWithoutCastEEEviT_T0_T2_T3_T4_T5_.has_recursion, 0
	.set _ZN2at6native27unrolled_elementwise_kernelIZZZNS0_12_GLOBAL__N_119launch_clamp_scalarERNS_18TensorIteratorBaseEN3c106ScalarES6_NS0_6detail11ClampLimitsEENKUlvE_clEvENKUlvE3_clEvEUlsE_St5arrayIPcLm2EELi4E23TrivialOffsetCalculatorILi1EjESG_NS0_6memory15LoadWithoutCastENSH_16StoreWithoutCastEEEviT_T0_T2_T3_T4_T5_.has_indirect_call, 0
	.section	.AMDGPU.csdata,"",@progbits
; Kernel info:
; codeLenInByte = 1240
; TotalNumSgprs: 13
; NumVgprs: 10
; ScratchSize: 0
; MemoryBound: 0
; FloatMode: 240
; IeeeMode: 1
; LDSByteSize: 0 bytes/workgroup (compile time only)
; SGPRBlocks: 0
; VGPRBlocks: 0
; NumSGPRsForWavesPerEU: 13
; NumVGPRsForWavesPerEU: 10
; NamedBarCnt: 0
; Occupancy: 16
; WaveLimiterHint : 0
; COMPUTE_PGM_RSRC2:SCRATCH_EN: 0
; COMPUTE_PGM_RSRC2:USER_SGPR: 2
; COMPUTE_PGM_RSRC2:TRAP_HANDLER: 0
; COMPUTE_PGM_RSRC2:TGID_X_EN: 1
; COMPUTE_PGM_RSRC2:TGID_Y_EN: 0
; COMPUTE_PGM_RSRC2:TGID_Z_EN: 0
; COMPUTE_PGM_RSRC2:TIDIG_COMP_CNT: 0
	.section	.text._ZN2at6native32elementwise_kernel_manual_unrollILi128ELi8EZNS0_22gpu_kernel_impl_nocastIZZZNS0_12_GLOBAL__N_119launch_clamp_scalarERNS_18TensorIteratorBaseEN3c106ScalarES7_NS0_6detail11ClampLimitsEENKUlvE_clEvENKUlvE3_clEvEUlsE_EEvS5_RKT_EUlibE_EEviT1_,"axG",@progbits,_ZN2at6native32elementwise_kernel_manual_unrollILi128ELi8EZNS0_22gpu_kernel_impl_nocastIZZZNS0_12_GLOBAL__N_119launch_clamp_scalarERNS_18TensorIteratorBaseEN3c106ScalarES7_NS0_6detail11ClampLimitsEENKUlvE_clEvENKUlvE3_clEvEUlsE_EEvS5_RKT_EUlibE_EEviT1_,comdat
	.globl	_ZN2at6native32elementwise_kernel_manual_unrollILi128ELi8EZNS0_22gpu_kernel_impl_nocastIZZZNS0_12_GLOBAL__N_119launch_clamp_scalarERNS_18TensorIteratorBaseEN3c106ScalarES7_NS0_6detail11ClampLimitsEENKUlvE_clEvENKUlvE3_clEvEUlsE_EEvS5_RKT_EUlibE_EEviT1_ ; -- Begin function _ZN2at6native32elementwise_kernel_manual_unrollILi128ELi8EZNS0_22gpu_kernel_impl_nocastIZZZNS0_12_GLOBAL__N_119launch_clamp_scalarERNS_18TensorIteratorBaseEN3c106ScalarES7_NS0_6detail11ClampLimitsEENKUlvE_clEvENKUlvE3_clEvEUlsE_EEvS5_RKT_EUlibE_EEviT1_
	.p2align	8
	.type	_ZN2at6native32elementwise_kernel_manual_unrollILi128ELi8EZNS0_22gpu_kernel_impl_nocastIZZZNS0_12_GLOBAL__N_119launch_clamp_scalarERNS_18TensorIteratorBaseEN3c106ScalarES7_NS0_6detail11ClampLimitsEENKUlvE_clEvENKUlvE3_clEvEUlsE_EEvS5_RKT_EUlibE_EEviT1_,@function
_ZN2at6native32elementwise_kernel_manual_unrollILi128ELi8EZNS0_22gpu_kernel_impl_nocastIZZZNS0_12_GLOBAL__N_119launch_clamp_scalarERNS_18TensorIteratorBaseEN3c106ScalarES7_NS0_6detail11ClampLimitsEENKUlvE_clEvENKUlvE3_clEvEUlsE_EEvS5_RKT_EUlibE_EEviT1_: ; @_ZN2at6native32elementwise_kernel_manual_unrollILi128ELi8EZNS0_22gpu_kernel_impl_nocastIZZZNS0_12_GLOBAL__N_119launch_clamp_scalarERNS_18TensorIteratorBaseEN3c106ScalarES7_NS0_6detail11ClampLimitsEENKUlvE_clEvENKUlvE3_clEvEUlsE_EEvS5_RKT_EUlibE_EEviT1_
; %bb.0:
	s_clause 0x1
	s_load_b32 s30, s[0:1], 0x8
	s_load_b32 s36, s[0:1], 0x0
	s_bfe_u32 s2, ttmp6, 0x4000c
	s_and_b32 s3, ttmp6, 15
	s_add_co_i32 s2, s2, 1
	s_getreg_b32 s4, hwreg(HW_REG_IB_STS2, 6, 4)
	s_mul_i32 s2, ttmp9, s2
	s_add_nc_u64 s[12:13], s[0:1], 8
	s_add_co_i32 s3, s3, s2
	s_cmp_eq_u32 s4, 0
	s_mov_b32 s19, 0
	s_cselect_b32 s2, ttmp9, s3
	s_wait_xcnt 0x0
	s_mov_b32 s0, exec_lo
	v_lshl_or_b32 v0, s2, 10, v0
	s_delay_alu instid0(VALU_DEP_1) | instskip(SKIP_2) | instid1(SALU_CYCLE_1)
	v_or_b32_e32 v16, 0x380, v0
	s_wait_kmcnt 0x0
	s_add_co_i32 s31, s30, -1
	s_cmp_gt_u32 s31, 1
	s_cselect_b32 s33, -1, 0
	v_cmpx_le_i32_e64 s36, v16
	s_xor_b32 s34, exec_lo, s0
	s_cbranch_execz .LBB205_217
; %bb.1:
	s_clause 0x4
	s_load_b128 s[4:7], s[12:13], 0x4
	s_load_b64 s[16:17], s[12:13], 0x14
	s_load_b64 s[14:15], s[12:13], 0x158
	s_load_b128 s[8:11], s[12:13], 0xc4
	s_load_b128 s[0:3], s[12:13], 0x148
	s_cmp_lg_u32 s30, 0
	s_add_nc_u64 s[22:23], s[12:13], 0xc4
	s_cselect_b32 s38, -1, 0
	s_min_u32 s37, s31, 15
	s_cmp_gt_u32 s30, 1
	s_mov_b32 s21, s19
	s_cselect_b32 s35, -1, 0
	s_wait_kmcnt 0x0
	s_mov_b32 s18, s5
	s_mov_b32 s20, s16
	s_lshr_b32 s5, s15, 16
	s_mov_b32 s16, exec_lo
	v_cmpx_gt_i32_e64 s36, v0
	s_cbranch_execnz .LBB205_9
; %bb.2:
	s_or_b32 exec_lo, exec_lo, s16
	s_delay_alu instid0(SALU_CYCLE_1)
	s_mov_b32 s16, exec_lo
	v_cmpx_gt_i32_e64 s36, v0
	s_cbranch_execnz .LBB205_34
.LBB205_3:
	s_or_b32 exec_lo, exec_lo, s16
	s_delay_alu instid0(SALU_CYCLE_1)
	s_mov_b32 s16, exec_lo
	v_cmpx_gt_i32_e64 s36, v0
	s_cbranch_execnz .LBB205_60
.LBB205_4:
	s_or_b32 exec_lo, exec_lo, s16
	s_delay_alu instid0(SALU_CYCLE_1)
	s_mov_b32 s16, exec_lo
	v_cmpx_gt_i32_e64 s36, v0
	s_cbranch_execnz .LBB205_86
.LBB205_5:
	s_or_b32 exec_lo, exec_lo, s16
	s_delay_alu instid0(SALU_CYCLE_1)
	s_mov_b32 s16, exec_lo
	v_cmpx_gt_i32_e64 s36, v0
	s_cbranch_execnz .LBB205_112
.LBB205_6:
	s_or_b32 exec_lo, exec_lo, s16
	s_delay_alu instid0(SALU_CYCLE_1)
	s_mov_b32 s16, exec_lo
	v_cmpx_gt_i32_e64 s36, v0
	s_cbranch_execnz .LBB205_138
.LBB205_7:
	s_or_b32 exec_lo, exec_lo, s16
	s_delay_alu instid0(SALU_CYCLE_1)
	s_mov_b32 s16, exec_lo
	v_cmpx_gt_i32_e64 s36, v0
	s_cbranch_execnz .LBB205_164
.LBB205_8:
	s_or_b32 exec_lo, exec_lo, s16
	s_delay_alu instid0(SALU_CYCLE_1)
	s_mov_b32 s16, exec_lo
	v_cmpx_gt_i32_e64 s36, v0
	s_cbranch_execnz .LBB205_190
	s_branch .LBB205_216
.LBB205_9:
	s_and_not1_b32 vcc_lo, exec_lo, s33
	s_cbranch_vccnz .LBB205_14
; %bb.10:
	s_and_not1_b32 vcc_lo, exec_lo, s38
	s_cbranch_vccnz .LBB205_15
; %bb.11:
	s_add_co_i32 s25, s37, 1
	s_cmp_eq_u32 s31, 2
	s_cbranch_scc1 .LBB205_16
; %bb.12:
	v_dual_mov_b32 v2, 0 :: v_dual_mov_b32 v3, 0
	v_mov_b32_e32 v1, v0
	s_and_b32 s24, s25, 28
	s_mov_b32 s39, 0
	s_mov_b64 s[26:27], s[12:13]
	s_mov_b64 s[28:29], s[22:23]
.LBB205_13:                             ; =>This Inner Loop Header: Depth=1
	s_clause 0x1
	s_load_b256 s[40:47], s[26:27], 0x4
	s_load_b128 s[56:59], s[26:27], 0x24
	s_load_b256 s[48:55], s[28:29], 0x0
	s_add_co_i32 s39, s39, 4
	s_wait_xcnt 0x0
	s_add_nc_u64 s[26:27], s[26:27], 48
	s_cmp_lg_u32 s24, s39
	s_add_nc_u64 s[28:29], s[28:29], 32
	s_wait_kmcnt 0x0
	v_mul_hi_u32 v4, s41, v1
	s_delay_alu instid0(VALU_DEP_1) | instskip(NEXT) | instid1(VALU_DEP_1)
	v_add_nc_u32_e32 v4, v1, v4
	v_lshrrev_b32_e32 v4, s42, v4
	s_delay_alu instid0(VALU_DEP_1) | instskip(NEXT) | instid1(VALU_DEP_1)
	v_mul_hi_u32 v5, s44, v4
	v_add_nc_u32_e32 v5, v4, v5
	s_delay_alu instid0(VALU_DEP_1) | instskip(NEXT) | instid1(VALU_DEP_1)
	v_lshrrev_b32_e32 v5, s45, v5
	v_mul_hi_u32 v6, s47, v5
	s_delay_alu instid0(VALU_DEP_1) | instskip(SKIP_1) | instid1(VALU_DEP_1)
	v_add_nc_u32_e32 v6, v5, v6
	v_mul_lo_u32 v7, v4, s40
	v_sub_nc_u32_e32 v1, v1, v7
	v_mul_lo_u32 v7, v5, s43
	s_delay_alu instid0(VALU_DEP_4) | instskip(NEXT) | instid1(VALU_DEP_3)
	v_lshrrev_b32_e32 v6, s56, v6
	v_mad_u32 v3, v1, s49, v3
	v_mad_u32 v1, v1, s48, v2
	s_delay_alu instid0(VALU_DEP_4) | instskip(NEXT) | instid1(VALU_DEP_4)
	v_sub_nc_u32_e32 v2, v4, v7
	v_mul_hi_u32 v8, s58, v6
	v_mul_lo_u32 v4, v6, s46
	s_delay_alu instid0(VALU_DEP_3) | instskip(SKIP_1) | instid1(VALU_DEP_4)
	v_mad_u32 v3, v2, s51, v3
	v_mad_u32 v2, v2, s50, v1
	v_add_nc_u32_e32 v7, v6, v8
	s_delay_alu instid0(VALU_DEP_1) | instskip(NEXT) | instid1(VALU_DEP_1)
	v_dual_sub_nc_u32 v4, v5, v4 :: v_dual_lshrrev_b32 v1, s59, v7
	v_mad_u32 v3, v4, s53, v3
	s_delay_alu instid0(VALU_DEP_4) | instskip(NEXT) | instid1(VALU_DEP_3)
	v_mad_u32 v2, v4, s52, v2
	v_mul_lo_u32 v5, v1, s57
	s_delay_alu instid0(VALU_DEP_1) | instskip(NEXT) | instid1(VALU_DEP_1)
	v_sub_nc_u32_e32 v4, v6, v5
	v_mad_u32 v3, v4, s55, v3
	s_delay_alu instid0(VALU_DEP_4)
	v_mad_u32 v2, v4, s54, v2
	s_cbranch_scc1 .LBB205_13
	s_branch .LBB205_17
.LBB205_14:
                                        ; implicit-def: $vgpr3
	s_branch .LBB205_21
.LBB205_15:
	v_dual_mov_b32 v3, 0 :: v_dual_mov_b32 v2, 0
	s_branch .LBB205_20
.LBB205_16:
	v_mov_b64_e32 v[2:3], 0
	v_mov_b32_e32 v1, v0
	s_mov_b32 s24, 0
.LBB205_17:
	s_and_b32 s28, s25, 3
	s_mov_b32 s25, 0
	s_cmp_eq_u32 s28, 0
	s_cbranch_scc1 .LBB205_20
; %bb.18:
	s_lshl_b32 s26, s24, 3
	s_mov_b32 s27, s25
	s_mul_u64 s[40:41], s[24:25], 12
	s_add_nc_u64 s[26:27], s[12:13], s[26:27]
	s_delay_alu instid0(SALU_CYCLE_1)
	s_add_nc_u64 s[24:25], s[26:27], 0xc4
	s_add_nc_u64 s[26:27], s[12:13], s[40:41]
.LBB205_19:                             ; =>This Inner Loop Header: Depth=1
	s_load_b96 s[40:42], s[26:27], 0x4
	s_add_co_i32 s28, s28, -1
	s_wait_xcnt 0x0
	s_add_nc_u64 s[26:27], s[26:27], 12
	s_cmp_lg_u32 s28, 0
	s_wait_kmcnt 0x0
	v_mul_hi_u32 v4, s41, v1
	s_delay_alu instid0(VALU_DEP_1) | instskip(NEXT) | instid1(VALU_DEP_1)
	v_add_nc_u32_e32 v4, v1, v4
	v_lshrrev_b32_e32 v4, s42, v4
	s_load_b64 s[42:43], s[24:25], 0x0
	s_wait_xcnt 0x0
	s_add_nc_u64 s[24:25], s[24:25], 8
	s_delay_alu instid0(VALU_DEP_1) | instskip(NEXT) | instid1(VALU_DEP_1)
	v_mul_lo_u32 v5, v4, s40
	v_sub_nc_u32_e32 v1, v1, v5
	s_wait_kmcnt 0x0
	s_delay_alu instid0(VALU_DEP_1)
	v_mad_u32 v3, v1, s43, v3
	v_mad_u32 v2, v1, s42, v2
	v_mov_b32_e32 v1, v4
	s_cbranch_scc1 .LBB205_19
.LBB205_20:
	s_cbranch_execnz .LBB205_23
.LBB205_21:
	v_mov_b32_e32 v1, 0
	s_and_not1_b32 vcc_lo, exec_lo, s35
	s_delay_alu instid0(VALU_DEP_1) | instskip(NEXT) | instid1(VALU_DEP_1)
	v_mul_u64_e32 v[2:3], s[18:19], v[0:1]
	v_add_nc_u32_e32 v2, v0, v3
	s_delay_alu instid0(VALU_DEP_1) | instskip(NEXT) | instid1(VALU_DEP_1)
	v_lshrrev_b32_e32 v4, s6, v2
	v_mul_lo_u32 v2, v4, s4
	s_delay_alu instid0(VALU_DEP_1) | instskip(NEXT) | instid1(VALU_DEP_1)
	v_sub_nc_u32_e32 v2, v0, v2
	v_mul_lo_u32 v3, v2, s9
	v_mul_lo_u32 v2, v2, s8
	s_cbranch_vccnz .LBB205_23
; %bb.22:
	v_mov_b32_e32 v5, v1
	s_delay_alu instid0(VALU_DEP_1) | instskip(NEXT) | instid1(VALU_DEP_1)
	v_mul_u64_e32 v[6:7], s[20:21], v[4:5]
	v_add_nc_u32_e32 v1, v4, v7
	s_delay_alu instid0(VALU_DEP_1) | instskip(NEXT) | instid1(VALU_DEP_1)
	v_lshrrev_b32_e32 v1, s17, v1
	v_mul_lo_u32 v1, v1, s7
	s_delay_alu instid0(VALU_DEP_1) | instskip(NEXT) | instid1(VALU_DEP_1)
	v_sub_nc_u32_e32 v1, v4, v1
	v_mad_u32 v2, v1, s10, v2
	v_mad_u32 v3, v1, s11, v3
.LBB205_23:
	global_load_u16 v3, v3, s[2:3]
	s_cmp_lt_i32 s14, 1
	s_mov_b32 s24, 0
	s_cbranch_scc1 .LBB205_26
; %bb.24:
	s_cmp_eq_u32 s14, 1
	s_cbranch_scc0 .LBB205_27
; %bb.25:
	s_wait_loadcnt 0x0
	v_min_i16 v1, v3, s15
	s_mov_b32 s25, 0
	s_branch .LBB205_28
.LBB205_26:
	s_mov_b32 s25, 0
                                        ; implicit-def: $vgpr1
	s_cbranch_execnz .LBB205_29
	s_branch .LBB205_30
.LBB205_27:
	s_mov_b32 s25, -1
                                        ; implicit-def: $vgpr1
.LBB205_28:
	s_branch .LBB205_30
.LBB205_29:
	s_cmp_lg_u32 s14, 0
	s_mov_b32 s24, -1
	s_cselect_b32 s25, -1, 0
.LBB205_30:
	s_wait_loadcnt 0x0
	v_max_i16 v4, v3, s15
	s_and_not1_b32 vcc_lo, exec_lo, s25
	s_cbranch_vccz .LBB205_39
; %bb.31:
	s_and_not1_b32 vcc_lo, exec_lo, s24
	s_cbranch_vccnz .LBB205_33
.LBB205_32:
	v_mov_b32_e32 v1, v4
.LBB205_33:
	v_add_nc_u32_e32 v0, 0x80, v0
	global_store_b16 v2, v1, s[0:1]
	s_wait_xcnt 0x0
	s_or_b32 exec_lo, exec_lo, s16
	s_delay_alu instid0(SALU_CYCLE_1)
	s_mov_b32 s16, exec_lo
	v_cmpx_gt_i32_e64 s36, v0
	s_cbranch_execz .LBB205_3
.LBB205_34:
	s_and_not1_b32 vcc_lo, exec_lo, s33
	s_cbranch_vccnz .LBB205_40
; %bb.35:
	s_and_not1_b32 vcc_lo, exec_lo, s38
	s_cbranch_vccnz .LBB205_41
; %bb.36:
	s_add_co_i32 s25, s37, 1
	s_cmp_eq_u32 s31, 2
	s_cbranch_scc1 .LBB205_42
; %bb.37:
	v_dual_mov_b32 v2, 0 :: v_dual_mov_b32 v3, 0
	v_mov_b32_e32 v1, v0
	s_and_b32 s24, s25, 28
	s_mov_b32 s39, 0
	s_mov_b64 s[26:27], s[12:13]
	s_mov_b64 s[28:29], s[22:23]
.LBB205_38:                             ; =>This Inner Loop Header: Depth=1
	s_clause 0x1
	s_load_b256 s[40:47], s[26:27], 0x4
	s_load_b128 s[56:59], s[26:27], 0x24
	s_load_b256 s[48:55], s[28:29], 0x0
	s_add_co_i32 s39, s39, 4
	s_wait_xcnt 0x0
	s_add_nc_u64 s[26:27], s[26:27], 48
	s_cmp_eq_u32 s24, s39
	s_add_nc_u64 s[28:29], s[28:29], 32
	s_wait_kmcnt 0x0
	v_mul_hi_u32 v4, s41, v1
	s_delay_alu instid0(VALU_DEP_1) | instskip(NEXT) | instid1(VALU_DEP_1)
	v_add_nc_u32_e32 v4, v1, v4
	v_lshrrev_b32_e32 v4, s42, v4
	s_delay_alu instid0(VALU_DEP_1) | instskip(NEXT) | instid1(VALU_DEP_1)
	v_mul_hi_u32 v5, s44, v4
	v_add_nc_u32_e32 v5, v4, v5
	s_delay_alu instid0(VALU_DEP_1) | instskip(NEXT) | instid1(VALU_DEP_1)
	v_lshrrev_b32_e32 v5, s45, v5
	v_mul_hi_u32 v6, s47, v5
	s_delay_alu instid0(VALU_DEP_1) | instskip(SKIP_1) | instid1(VALU_DEP_1)
	v_add_nc_u32_e32 v6, v5, v6
	v_mul_lo_u32 v7, v4, s40
	v_sub_nc_u32_e32 v1, v1, v7
	v_mul_lo_u32 v7, v5, s43
	s_delay_alu instid0(VALU_DEP_4) | instskip(NEXT) | instid1(VALU_DEP_3)
	v_lshrrev_b32_e32 v6, s56, v6
	v_mad_u32 v3, v1, s49, v3
	v_mad_u32 v1, v1, s48, v2
	s_delay_alu instid0(VALU_DEP_4) | instskip(NEXT) | instid1(VALU_DEP_4)
	v_sub_nc_u32_e32 v2, v4, v7
	v_mul_hi_u32 v8, s58, v6
	v_mul_lo_u32 v4, v6, s46
	s_delay_alu instid0(VALU_DEP_3) | instskip(SKIP_1) | instid1(VALU_DEP_4)
	v_mad_u32 v3, v2, s51, v3
	v_mad_u32 v2, v2, s50, v1
	v_add_nc_u32_e32 v7, v6, v8
	s_delay_alu instid0(VALU_DEP_1) | instskip(NEXT) | instid1(VALU_DEP_1)
	v_dual_sub_nc_u32 v4, v5, v4 :: v_dual_lshrrev_b32 v1, s59, v7
	v_mad_u32 v3, v4, s53, v3
	s_delay_alu instid0(VALU_DEP_4) | instskip(NEXT) | instid1(VALU_DEP_3)
	v_mad_u32 v2, v4, s52, v2
	v_mul_lo_u32 v5, v1, s57
	s_delay_alu instid0(VALU_DEP_1) | instskip(NEXT) | instid1(VALU_DEP_1)
	v_sub_nc_u32_e32 v4, v6, v5
	v_mad_u32 v3, v4, s55, v3
	s_delay_alu instid0(VALU_DEP_4)
	v_mad_u32 v2, v4, s54, v2
	s_cbranch_scc0 .LBB205_38
	s_branch .LBB205_43
.LBB205_39:
	v_max_i16 v1, v3, s15
	s_delay_alu instid0(VALU_DEP_1)
	v_min_i16 v1, v1, s5
	s_cbranch_execz .LBB205_32
	s_branch .LBB205_33
.LBB205_40:
                                        ; implicit-def: $vgpr3
	s_branch .LBB205_47
.LBB205_41:
	v_dual_mov_b32 v3, 0 :: v_dual_mov_b32 v2, 0
	s_branch .LBB205_46
.LBB205_42:
	v_mov_b64_e32 v[2:3], 0
	v_mov_b32_e32 v1, v0
	s_mov_b32 s24, 0
.LBB205_43:
	s_and_b32 s28, s25, 3
	s_mov_b32 s25, 0
	s_cmp_eq_u32 s28, 0
	s_cbranch_scc1 .LBB205_46
; %bb.44:
	s_lshl_b32 s26, s24, 3
	s_mov_b32 s27, s25
	s_mul_u64 s[40:41], s[24:25], 12
	s_add_nc_u64 s[26:27], s[12:13], s[26:27]
	s_delay_alu instid0(SALU_CYCLE_1)
	s_add_nc_u64 s[24:25], s[26:27], 0xc4
	s_add_nc_u64 s[26:27], s[12:13], s[40:41]
.LBB205_45:                             ; =>This Inner Loop Header: Depth=1
	s_load_b96 s[40:42], s[26:27], 0x4
	s_add_co_i32 s28, s28, -1
	s_wait_xcnt 0x0
	s_add_nc_u64 s[26:27], s[26:27], 12
	s_cmp_lg_u32 s28, 0
	s_wait_kmcnt 0x0
	v_mul_hi_u32 v4, s41, v1
	s_delay_alu instid0(VALU_DEP_1) | instskip(NEXT) | instid1(VALU_DEP_1)
	v_add_nc_u32_e32 v4, v1, v4
	v_lshrrev_b32_e32 v4, s42, v4
	s_load_b64 s[42:43], s[24:25], 0x0
	s_wait_xcnt 0x0
	s_add_nc_u64 s[24:25], s[24:25], 8
	s_delay_alu instid0(VALU_DEP_1) | instskip(NEXT) | instid1(VALU_DEP_1)
	v_mul_lo_u32 v5, v4, s40
	v_sub_nc_u32_e32 v1, v1, v5
	s_wait_kmcnt 0x0
	s_delay_alu instid0(VALU_DEP_1)
	v_mad_u32 v3, v1, s43, v3
	v_mad_u32 v2, v1, s42, v2
	v_mov_b32_e32 v1, v4
	s_cbranch_scc1 .LBB205_45
.LBB205_46:
	s_cbranch_execnz .LBB205_49
.LBB205_47:
	v_mov_b32_e32 v1, 0
	s_and_not1_b32 vcc_lo, exec_lo, s35
	s_delay_alu instid0(VALU_DEP_1) | instskip(NEXT) | instid1(VALU_DEP_1)
	v_mul_u64_e32 v[2:3], s[18:19], v[0:1]
	v_add_nc_u32_e32 v2, v0, v3
	s_delay_alu instid0(VALU_DEP_1) | instskip(NEXT) | instid1(VALU_DEP_1)
	v_lshrrev_b32_e32 v4, s6, v2
	v_mul_lo_u32 v2, v4, s4
	s_delay_alu instid0(VALU_DEP_1) | instskip(NEXT) | instid1(VALU_DEP_1)
	v_sub_nc_u32_e32 v2, v0, v2
	v_mul_lo_u32 v3, v2, s9
	v_mul_lo_u32 v2, v2, s8
	s_cbranch_vccnz .LBB205_49
; %bb.48:
	v_mov_b32_e32 v5, v1
	s_delay_alu instid0(VALU_DEP_1) | instskip(NEXT) | instid1(VALU_DEP_1)
	v_mul_u64_e32 v[6:7], s[20:21], v[4:5]
	v_add_nc_u32_e32 v1, v4, v7
	s_delay_alu instid0(VALU_DEP_1) | instskip(NEXT) | instid1(VALU_DEP_1)
	v_lshrrev_b32_e32 v1, s17, v1
	v_mul_lo_u32 v1, v1, s7
	s_delay_alu instid0(VALU_DEP_1) | instskip(NEXT) | instid1(VALU_DEP_1)
	v_sub_nc_u32_e32 v1, v4, v1
	v_mad_u32 v2, v1, s10, v2
	v_mad_u32 v3, v1, s11, v3
.LBB205_49:
	global_load_u16 v3, v3, s[2:3]
	s_cmp_lt_i32 s14, 1
	s_mov_b32 s24, 0
	s_cbranch_scc1 .LBB205_52
; %bb.50:
	s_cmp_eq_u32 s14, 1
	s_cbranch_scc0 .LBB205_53
; %bb.51:
	s_wait_loadcnt 0x0
	v_min_i16 v1, v3, s15
	s_mov_b32 s25, 0
	s_branch .LBB205_54
.LBB205_52:
	s_mov_b32 s25, 0
                                        ; implicit-def: $vgpr1
	s_cbranch_execnz .LBB205_55
	s_branch .LBB205_56
.LBB205_53:
	s_mov_b32 s25, -1
                                        ; implicit-def: $vgpr1
.LBB205_54:
	s_branch .LBB205_56
.LBB205_55:
	s_cmp_lg_u32 s14, 0
	s_mov_b32 s24, -1
	s_cselect_b32 s25, -1, 0
.LBB205_56:
	s_wait_loadcnt 0x0
	v_max_i16 v4, v3, s15
	s_and_not1_b32 vcc_lo, exec_lo, s25
	s_cbranch_vccz .LBB205_65
; %bb.57:
	s_and_not1_b32 vcc_lo, exec_lo, s24
	s_cbranch_vccnz .LBB205_59
.LBB205_58:
	v_mov_b32_e32 v1, v4
.LBB205_59:
	v_add_nc_u32_e32 v0, 0x80, v0
	global_store_b16 v2, v1, s[0:1]
	s_wait_xcnt 0x0
	s_or_b32 exec_lo, exec_lo, s16
	s_delay_alu instid0(SALU_CYCLE_1)
	s_mov_b32 s16, exec_lo
	v_cmpx_gt_i32_e64 s36, v0
	s_cbranch_execz .LBB205_4
.LBB205_60:
	s_and_not1_b32 vcc_lo, exec_lo, s33
	s_cbranch_vccnz .LBB205_66
; %bb.61:
	s_and_not1_b32 vcc_lo, exec_lo, s38
	s_cbranch_vccnz .LBB205_67
; %bb.62:
	s_add_co_i32 s25, s37, 1
	s_cmp_eq_u32 s31, 2
	s_cbranch_scc1 .LBB205_68
; %bb.63:
	v_dual_mov_b32 v2, 0 :: v_dual_mov_b32 v3, 0
	v_mov_b32_e32 v1, v0
	s_and_b32 s24, s25, 28
	s_mov_b32 s39, 0
	s_mov_b64 s[26:27], s[12:13]
	s_mov_b64 s[28:29], s[22:23]
.LBB205_64:                             ; =>This Inner Loop Header: Depth=1
	s_clause 0x1
	s_load_b256 s[40:47], s[26:27], 0x4
	s_load_b128 s[56:59], s[26:27], 0x24
	s_load_b256 s[48:55], s[28:29], 0x0
	s_add_co_i32 s39, s39, 4
	s_wait_xcnt 0x0
	s_add_nc_u64 s[26:27], s[26:27], 48
	s_cmp_eq_u32 s24, s39
	s_add_nc_u64 s[28:29], s[28:29], 32
	s_wait_kmcnt 0x0
	v_mul_hi_u32 v4, s41, v1
	s_delay_alu instid0(VALU_DEP_1) | instskip(NEXT) | instid1(VALU_DEP_1)
	v_add_nc_u32_e32 v4, v1, v4
	v_lshrrev_b32_e32 v4, s42, v4
	s_delay_alu instid0(VALU_DEP_1) | instskip(NEXT) | instid1(VALU_DEP_1)
	v_mul_hi_u32 v5, s44, v4
	v_add_nc_u32_e32 v5, v4, v5
	s_delay_alu instid0(VALU_DEP_1) | instskip(NEXT) | instid1(VALU_DEP_1)
	v_lshrrev_b32_e32 v5, s45, v5
	v_mul_hi_u32 v6, s47, v5
	s_delay_alu instid0(VALU_DEP_1) | instskip(SKIP_1) | instid1(VALU_DEP_1)
	v_add_nc_u32_e32 v6, v5, v6
	v_mul_lo_u32 v7, v4, s40
	v_sub_nc_u32_e32 v1, v1, v7
	v_mul_lo_u32 v7, v5, s43
	s_delay_alu instid0(VALU_DEP_4) | instskip(NEXT) | instid1(VALU_DEP_3)
	v_lshrrev_b32_e32 v6, s56, v6
	v_mad_u32 v3, v1, s49, v3
	v_mad_u32 v1, v1, s48, v2
	s_delay_alu instid0(VALU_DEP_4) | instskip(NEXT) | instid1(VALU_DEP_4)
	v_sub_nc_u32_e32 v2, v4, v7
	v_mul_hi_u32 v8, s58, v6
	v_mul_lo_u32 v4, v6, s46
	s_delay_alu instid0(VALU_DEP_3) | instskip(SKIP_1) | instid1(VALU_DEP_4)
	v_mad_u32 v3, v2, s51, v3
	v_mad_u32 v2, v2, s50, v1
	v_add_nc_u32_e32 v7, v6, v8
	s_delay_alu instid0(VALU_DEP_1) | instskip(NEXT) | instid1(VALU_DEP_1)
	v_dual_sub_nc_u32 v4, v5, v4 :: v_dual_lshrrev_b32 v1, s59, v7
	v_mad_u32 v3, v4, s53, v3
	s_delay_alu instid0(VALU_DEP_4) | instskip(NEXT) | instid1(VALU_DEP_3)
	v_mad_u32 v2, v4, s52, v2
	v_mul_lo_u32 v5, v1, s57
	s_delay_alu instid0(VALU_DEP_1) | instskip(NEXT) | instid1(VALU_DEP_1)
	v_sub_nc_u32_e32 v4, v6, v5
	v_mad_u32 v3, v4, s55, v3
	s_delay_alu instid0(VALU_DEP_4)
	v_mad_u32 v2, v4, s54, v2
	s_cbranch_scc0 .LBB205_64
	s_branch .LBB205_69
.LBB205_65:
	v_max_i16 v1, v3, s15
	s_delay_alu instid0(VALU_DEP_1)
	v_min_i16 v1, v1, s5
	s_cbranch_execz .LBB205_58
	s_branch .LBB205_59
.LBB205_66:
                                        ; implicit-def: $vgpr3
	s_branch .LBB205_73
.LBB205_67:
	v_dual_mov_b32 v3, 0 :: v_dual_mov_b32 v2, 0
	s_branch .LBB205_72
.LBB205_68:
	v_mov_b64_e32 v[2:3], 0
	v_mov_b32_e32 v1, v0
	s_mov_b32 s24, 0
.LBB205_69:
	s_and_b32 s28, s25, 3
	s_mov_b32 s25, 0
	s_cmp_eq_u32 s28, 0
	s_cbranch_scc1 .LBB205_72
; %bb.70:
	s_lshl_b32 s26, s24, 3
	s_mov_b32 s27, s25
	s_mul_u64 s[40:41], s[24:25], 12
	s_add_nc_u64 s[26:27], s[12:13], s[26:27]
	s_delay_alu instid0(SALU_CYCLE_1)
	s_add_nc_u64 s[24:25], s[26:27], 0xc4
	s_add_nc_u64 s[26:27], s[12:13], s[40:41]
.LBB205_71:                             ; =>This Inner Loop Header: Depth=1
	s_load_b96 s[40:42], s[26:27], 0x4
	s_add_co_i32 s28, s28, -1
	s_wait_xcnt 0x0
	s_add_nc_u64 s[26:27], s[26:27], 12
	s_cmp_lg_u32 s28, 0
	s_wait_kmcnt 0x0
	v_mul_hi_u32 v4, s41, v1
	s_delay_alu instid0(VALU_DEP_1) | instskip(NEXT) | instid1(VALU_DEP_1)
	v_add_nc_u32_e32 v4, v1, v4
	v_lshrrev_b32_e32 v4, s42, v4
	s_load_b64 s[42:43], s[24:25], 0x0
	s_wait_xcnt 0x0
	s_add_nc_u64 s[24:25], s[24:25], 8
	s_delay_alu instid0(VALU_DEP_1) | instskip(NEXT) | instid1(VALU_DEP_1)
	v_mul_lo_u32 v5, v4, s40
	v_sub_nc_u32_e32 v1, v1, v5
	s_wait_kmcnt 0x0
	s_delay_alu instid0(VALU_DEP_1)
	v_mad_u32 v3, v1, s43, v3
	v_mad_u32 v2, v1, s42, v2
	v_mov_b32_e32 v1, v4
	s_cbranch_scc1 .LBB205_71
.LBB205_72:
	s_cbranch_execnz .LBB205_75
.LBB205_73:
	v_mov_b32_e32 v1, 0
	s_and_not1_b32 vcc_lo, exec_lo, s35
	s_delay_alu instid0(VALU_DEP_1) | instskip(NEXT) | instid1(VALU_DEP_1)
	v_mul_u64_e32 v[2:3], s[18:19], v[0:1]
	v_add_nc_u32_e32 v2, v0, v3
	s_delay_alu instid0(VALU_DEP_1) | instskip(NEXT) | instid1(VALU_DEP_1)
	v_lshrrev_b32_e32 v4, s6, v2
	v_mul_lo_u32 v2, v4, s4
	s_delay_alu instid0(VALU_DEP_1) | instskip(NEXT) | instid1(VALU_DEP_1)
	v_sub_nc_u32_e32 v2, v0, v2
	v_mul_lo_u32 v3, v2, s9
	v_mul_lo_u32 v2, v2, s8
	s_cbranch_vccnz .LBB205_75
; %bb.74:
	v_mov_b32_e32 v5, v1
	s_delay_alu instid0(VALU_DEP_1) | instskip(NEXT) | instid1(VALU_DEP_1)
	v_mul_u64_e32 v[6:7], s[20:21], v[4:5]
	v_add_nc_u32_e32 v1, v4, v7
	s_delay_alu instid0(VALU_DEP_1) | instskip(NEXT) | instid1(VALU_DEP_1)
	v_lshrrev_b32_e32 v1, s17, v1
	v_mul_lo_u32 v1, v1, s7
	s_delay_alu instid0(VALU_DEP_1) | instskip(NEXT) | instid1(VALU_DEP_1)
	v_sub_nc_u32_e32 v1, v4, v1
	v_mad_u32 v2, v1, s10, v2
	v_mad_u32 v3, v1, s11, v3
.LBB205_75:
	global_load_u16 v3, v3, s[2:3]
	s_cmp_lt_i32 s14, 1
	s_mov_b32 s24, 0
	s_cbranch_scc1 .LBB205_78
; %bb.76:
	s_cmp_eq_u32 s14, 1
	s_cbranch_scc0 .LBB205_79
; %bb.77:
	s_wait_loadcnt 0x0
	v_min_i16 v1, v3, s15
	s_mov_b32 s25, 0
	s_branch .LBB205_80
.LBB205_78:
	s_mov_b32 s25, 0
                                        ; implicit-def: $vgpr1
	s_cbranch_execnz .LBB205_81
	s_branch .LBB205_82
.LBB205_79:
	s_mov_b32 s25, -1
                                        ; implicit-def: $vgpr1
.LBB205_80:
	s_branch .LBB205_82
.LBB205_81:
	s_cmp_lg_u32 s14, 0
	s_mov_b32 s24, -1
	s_cselect_b32 s25, -1, 0
.LBB205_82:
	s_wait_loadcnt 0x0
	v_max_i16 v4, v3, s15
	s_and_not1_b32 vcc_lo, exec_lo, s25
	s_cbranch_vccz .LBB205_91
; %bb.83:
	s_and_not1_b32 vcc_lo, exec_lo, s24
	s_cbranch_vccnz .LBB205_85
.LBB205_84:
	v_mov_b32_e32 v1, v4
.LBB205_85:
	v_add_nc_u32_e32 v0, 0x80, v0
	global_store_b16 v2, v1, s[0:1]
	s_wait_xcnt 0x0
	s_or_b32 exec_lo, exec_lo, s16
	s_delay_alu instid0(SALU_CYCLE_1)
	s_mov_b32 s16, exec_lo
	v_cmpx_gt_i32_e64 s36, v0
	s_cbranch_execz .LBB205_5
.LBB205_86:
	s_and_not1_b32 vcc_lo, exec_lo, s33
	s_cbranch_vccnz .LBB205_92
; %bb.87:
	s_and_not1_b32 vcc_lo, exec_lo, s38
	s_cbranch_vccnz .LBB205_93
; %bb.88:
	s_add_co_i32 s25, s37, 1
	s_cmp_eq_u32 s31, 2
	s_cbranch_scc1 .LBB205_94
; %bb.89:
	v_dual_mov_b32 v2, 0 :: v_dual_mov_b32 v3, 0
	v_mov_b32_e32 v1, v0
	s_and_b32 s24, s25, 28
	s_mov_b32 s39, 0
	s_mov_b64 s[26:27], s[12:13]
	s_mov_b64 s[28:29], s[22:23]
.LBB205_90:                             ; =>This Inner Loop Header: Depth=1
	s_clause 0x1
	s_load_b256 s[40:47], s[26:27], 0x4
	s_load_b128 s[56:59], s[26:27], 0x24
	s_load_b256 s[48:55], s[28:29], 0x0
	s_add_co_i32 s39, s39, 4
	s_wait_xcnt 0x0
	s_add_nc_u64 s[26:27], s[26:27], 48
	s_cmp_eq_u32 s24, s39
	s_add_nc_u64 s[28:29], s[28:29], 32
	s_wait_kmcnt 0x0
	v_mul_hi_u32 v4, s41, v1
	s_delay_alu instid0(VALU_DEP_1) | instskip(NEXT) | instid1(VALU_DEP_1)
	v_add_nc_u32_e32 v4, v1, v4
	v_lshrrev_b32_e32 v4, s42, v4
	s_delay_alu instid0(VALU_DEP_1) | instskip(NEXT) | instid1(VALU_DEP_1)
	v_mul_hi_u32 v5, s44, v4
	v_add_nc_u32_e32 v5, v4, v5
	s_delay_alu instid0(VALU_DEP_1) | instskip(NEXT) | instid1(VALU_DEP_1)
	v_lshrrev_b32_e32 v5, s45, v5
	v_mul_hi_u32 v6, s47, v5
	s_delay_alu instid0(VALU_DEP_1) | instskip(SKIP_1) | instid1(VALU_DEP_1)
	v_add_nc_u32_e32 v6, v5, v6
	v_mul_lo_u32 v7, v4, s40
	v_sub_nc_u32_e32 v1, v1, v7
	v_mul_lo_u32 v7, v5, s43
	s_delay_alu instid0(VALU_DEP_4) | instskip(NEXT) | instid1(VALU_DEP_3)
	v_lshrrev_b32_e32 v6, s56, v6
	v_mad_u32 v3, v1, s49, v3
	v_mad_u32 v1, v1, s48, v2
	s_delay_alu instid0(VALU_DEP_4) | instskip(NEXT) | instid1(VALU_DEP_4)
	v_sub_nc_u32_e32 v2, v4, v7
	v_mul_hi_u32 v8, s58, v6
	v_mul_lo_u32 v4, v6, s46
	s_delay_alu instid0(VALU_DEP_3) | instskip(SKIP_1) | instid1(VALU_DEP_4)
	v_mad_u32 v3, v2, s51, v3
	v_mad_u32 v2, v2, s50, v1
	v_add_nc_u32_e32 v7, v6, v8
	s_delay_alu instid0(VALU_DEP_1) | instskip(NEXT) | instid1(VALU_DEP_1)
	v_dual_sub_nc_u32 v4, v5, v4 :: v_dual_lshrrev_b32 v1, s59, v7
	v_mad_u32 v3, v4, s53, v3
	s_delay_alu instid0(VALU_DEP_4) | instskip(NEXT) | instid1(VALU_DEP_3)
	v_mad_u32 v2, v4, s52, v2
	v_mul_lo_u32 v5, v1, s57
	s_delay_alu instid0(VALU_DEP_1) | instskip(NEXT) | instid1(VALU_DEP_1)
	v_sub_nc_u32_e32 v4, v6, v5
	v_mad_u32 v3, v4, s55, v3
	s_delay_alu instid0(VALU_DEP_4)
	v_mad_u32 v2, v4, s54, v2
	s_cbranch_scc0 .LBB205_90
	s_branch .LBB205_95
.LBB205_91:
	v_max_i16 v1, v3, s15
	s_delay_alu instid0(VALU_DEP_1)
	v_min_i16 v1, v1, s5
	s_cbranch_execz .LBB205_84
	s_branch .LBB205_85
.LBB205_92:
                                        ; implicit-def: $vgpr3
	s_branch .LBB205_99
.LBB205_93:
	v_dual_mov_b32 v3, 0 :: v_dual_mov_b32 v2, 0
	s_branch .LBB205_98
.LBB205_94:
	v_mov_b64_e32 v[2:3], 0
	v_mov_b32_e32 v1, v0
	s_mov_b32 s24, 0
.LBB205_95:
	s_and_b32 s28, s25, 3
	s_mov_b32 s25, 0
	s_cmp_eq_u32 s28, 0
	s_cbranch_scc1 .LBB205_98
; %bb.96:
	s_lshl_b32 s26, s24, 3
	s_mov_b32 s27, s25
	s_mul_u64 s[40:41], s[24:25], 12
	s_add_nc_u64 s[26:27], s[12:13], s[26:27]
	s_delay_alu instid0(SALU_CYCLE_1)
	s_add_nc_u64 s[24:25], s[26:27], 0xc4
	s_add_nc_u64 s[26:27], s[12:13], s[40:41]
.LBB205_97:                             ; =>This Inner Loop Header: Depth=1
	s_load_b96 s[40:42], s[26:27], 0x4
	s_add_co_i32 s28, s28, -1
	s_wait_xcnt 0x0
	s_add_nc_u64 s[26:27], s[26:27], 12
	s_cmp_lg_u32 s28, 0
	s_wait_kmcnt 0x0
	v_mul_hi_u32 v4, s41, v1
	s_delay_alu instid0(VALU_DEP_1) | instskip(NEXT) | instid1(VALU_DEP_1)
	v_add_nc_u32_e32 v4, v1, v4
	v_lshrrev_b32_e32 v4, s42, v4
	s_load_b64 s[42:43], s[24:25], 0x0
	s_wait_xcnt 0x0
	s_add_nc_u64 s[24:25], s[24:25], 8
	s_delay_alu instid0(VALU_DEP_1) | instskip(NEXT) | instid1(VALU_DEP_1)
	v_mul_lo_u32 v5, v4, s40
	v_sub_nc_u32_e32 v1, v1, v5
	s_wait_kmcnt 0x0
	s_delay_alu instid0(VALU_DEP_1)
	v_mad_u32 v3, v1, s43, v3
	v_mad_u32 v2, v1, s42, v2
	v_mov_b32_e32 v1, v4
	s_cbranch_scc1 .LBB205_97
.LBB205_98:
	s_cbranch_execnz .LBB205_101
.LBB205_99:
	v_mov_b32_e32 v1, 0
	s_and_not1_b32 vcc_lo, exec_lo, s35
	s_delay_alu instid0(VALU_DEP_1) | instskip(NEXT) | instid1(VALU_DEP_1)
	v_mul_u64_e32 v[2:3], s[18:19], v[0:1]
	v_add_nc_u32_e32 v2, v0, v3
	s_delay_alu instid0(VALU_DEP_1) | instskip(NEXT) | instid1(VALU_DEP_1)
	v_lshrrev_b32_e32 v4, s6, v2
	v_mul_lo_u32 v2, v4, s4
	s_delay_alu instid0(VALU_DEP_1) | instskip(NEXT) | instid1(VALU_DEP_1)
	v_sub_nc_u32_e32 v2, v0, v2
	v_mul_lo_u32 v3, v2, s9
	v_mul_lo_u32 v2, v2, s8
	s_cbranch_vccnz .LBB205_101
; %bb.100:
	v_mov_b32_e32 v5, v1
	s_delay_alu instid0(VALU_DEP_1) | instskip(NEXT) | instid1(VALU_DEP_1)
	v_mul_u64_e32 v[6:7], s[20:21], v[4:5]
	v_add_nc_u32_e32 v1, v4, v7
	s_delay_alu instid0(VALU_DEP_1) | instskip(NEXT) | instid1(VALU_DEP_1)
	v_lshrrev_b32_e32 v1, s17, v1
	v_mul_lo_u32 v1, v1, s7
	s_delay_alu instid0(VALU_DEP_1) | instskip(NEXT) | instid1(VALU_DEP_1)
	v_sub_nc_u32_e32 v1, v4, v1
	v_mad_u32 v2, v1, s10, v2
	v_mad_u32 v3, v1, s11, v3
.LBB205_101:
	global_load_u16 v3, v3, s[2:3]
	s_cmp_lt_i32 s14, 1
	s_mov_b32 s24, 0
	s_cbranch_scc1 .LBB205_104
; %bb.102:
	s_cmp_eq_u32 s14, 1
	s_cbranch_scc0 .LBB205_105
; %bb.103:
	s_wait_loadcnt 0x0
	v_min_i16 v1, v3, s15
	s_mov_b32 s25, 0
	s_branch .LBB205_106
.LBB205_104:
	s_mov_b32 s25, 0
                                        ; implicit-def: $vgpr1
	s_cbranch_execnz .LBB205_107
	s_branch .LBB205_108
.LBB205_105:
	s_mov_b32 s25, -1
                                        ; implicit-def: $vgpr1
.LBB205_106:
	s_branch .LBB205_108
.LBB205_107:
	s_cmp_lg_u32 s14, 0
	s_mov_b32 s24, -1
	s_cselect_b32 s25, -1, 0
.LBB205_108:
	s_wait_loadcnt 0x0
	v_max_i16 v4, v3, s15
	s_and_not1_b32 vcc_lo, exec_lo, s25
	s_cbranch_vccz .LBB205_117
; %bb.109:
	s_and_not1_b32 vcc_lo, exec_lo, s24
	s_cbranch_vccnz .LBB205_111
.LBB205_110:
	v_mov_b32_e32 v1, v4
.LBB205_111:
	v_add_nc_u32_e32 v0, 0x80, v0
	global_store_b16 v2, v1, s[0:1]
	s_wait_xcnt 0x0
	s_or_b32 exec_lo, exec_lo, s16
	s_delay_alu instid0(SALU_CYCLE_1)
	s_mov_b32 s16, exec_lo
	v_cmpx_gt_i32_e64 s36, v0
	s_cbranch_execz .LBB205_6
.LBB205_112:
	s_and_not1_b32 vcc_lo, exec_lo, s33
	s_cbranch_vccnz .LBB205_118
; %bb.113:
	s_and_not1_b32 vcc_lo, exec_lo, s38
	s_cbranch_vccnz .LBB205_119
; %bb.114:
	s_add_co_i32 s25, s37, 1
	s_cmp_eq_u32 s31, 2
	s_cbranch_scc1 .LBB205_120
; %bb.115:
	v_dual_mov_b32 v2, 0 :: v_dual_mov_b32 v3, 0
	v_mov_b32_e32 v1, v0
	s_and_b32 s24, s25, 28
	s_mov_b32 s39, 0
	s_mov_b64 s[26:27], s[12:13]
	s_mov_b64 s[28:29], s[22:23]
.LBB205_116:                            ; =>This Inner Loop Header: Depth=1
	s_clause 0x1
	s_load_b256 s[40:47], s[26:27], 0x4
	s_load_b128 s[56:59], s[26:27], 0x24
	s_load_b256 s[48:55], s[28:29], 0x0
	s_add_co_i32 s39, s39, 4
	s_wait_xcnt 0x0
	s_add_nc_u64 s[26:27], s[26:27], 48
	s_cmp_eq_u32 s24, s39
	s_add_nc_u64 s[28:29], s[28:29], 32
	s_wait_kmcnt 0x0
	v_mul_hi_u32 v4, s41, v1
	s_delay_alu instid0(VALU_DEP_1) | instskip(NEXT) | instid1(VALU_DEP_1)
	v_add_nc_u32_e32 v4, v1, v4
	v_lshrrev_b32_e32 v4, s42, v4
	s_delay_alu instid0(VALU_DEP_1) | instskip(NEXT) | instid1(VALU_DEP_1)
	v_mul_hi_u32 v5, s44, v4
	v_add_nc_u32_e32 v5, v4, v5
	s_delay_alu instid0(VALU_DEP_1) | instskip(NEXT) | instid1(VALU_DEP_1)
	v_lshrrev_b32_e32 v5, s45, v5
	v_mul_hi_u32 v6, s47, v5
	s_delay_alu instid0(VALU_DEP_1) | instskip(SKIP_1) | instid1(VALU_DEP_1)
	v_add_nc_u32_e32 v6, v5, v6
	v_mul_lo_u32 v7, v4, s40
	v_sub_nc_u32_e32 v1, v1, v7
	v_mul_lo_u32 v7, v5, s43
	s_delay_alu instid0(VALU_DEP_4) | instskip(NEXT) | instid1(VALU_DEP_3)
	v_lshrrev_b32_e32 v6, s56, v6
	v_mad_u32 v3, v1, s49, v3
	v_mad_u32 v1, v1, s48, v2
	s_delay_alu instid0(VALU_DEP_4) | instskip(NEXT) | instid1(VALU_DEP_4)
	v_sub_nc_u32_e32 v2, v4, v7
	v_mul_hi_u32 v8, s58, v6
	v_mul_lo_u32 v4, v6, s46
	s_delay_alu instid0(VALU_DEP_3) | instskip(SKIP_1) | instid1(VALU_DEP_4)
	v_mad_u32 v3, v2, s51, v3
	v_mad_u32 v2, v2, s50, v1
	v_add_nc_u32_e32 v7, v6, v8
	s_delay_alu instid0(VALU_DEP_1) | instskip(NEXT) | instid1(VALU_DEP_1)
	v_dual_sub_nc_u32 v4, v5, v4 :: v_dual_lshrrev_b32 v1, s59, v7
	v_mad_u32 v3, v4, s53, v3
	s_delay_alu instid0(VALU_DEP_4) | instskip(NEXT) | instid1(VALU_DEP_3)
	v_mad_u32 v2, v4, s52, v2
	v_mul_lo_u32 v5, v1, s57
	s_delay_alu instid0(VALU_DEP_1) | instskip(NEXT) | instid1(VALU_DEP_1)
	v_sub_nc_u32_e32 v4, v6, v5
	v_mad_u32 v3, v4, s55, v3
	s_delay_alu instid0(VALU_DEP_4)
	v_mad_u32 v2, v4, s54, v2
	s_cbranch_scc0 .LBB205_116
	s_branch .LBB205_121
.LBB205_117:
	v_max_i16 v1, v3, s15
	s_delay_alu instid0(VALU_DEP_1)
	v_min_i16 v1, v1, s5
	s_cbranch_execz .LBB205_110
	s_branch .LBB205_111
.LBB205_118:
                                        ; implicit-def: $vgpr3
	s_branch .LBB205_125
.LBB205_119:
	v_dual_mov_b32 v3, 0 :: v_dual_mov_b32 v2, 0
	s_branch .LBB205_124
.LBB205_120:
	v_mov_b64_e32 v[2:3], 0
	v_mov_b32_e32 v1, v0
	s_mov_b32 s24, 0
.LBB205_121:
	s_and_b32 s28, s25, 3
	s_mov_b32 s25, 0
	s_cmp_eq_u32 s28, 0
	s_cbranch_scc1 .LBB205_124
; %bb.122:
	s_lshl_b32 s26, s24, 3
	s_mov_b32 s27, s25
	s_mul_u64 s[40:41], s[24:25], 12
	s_add_nc_u64 s[26:27], s[12:13], s[26:27]
	s_delay_alu instid0(SALU_CYCLE_1)
	s_add_nc_u64 s[24:25], s[26:27], 0xc4
	s_add_nc_u64 s[26:27], s[12:13], s[40:41]
.LBB205_123:                            ; =>This Inner Loop Header: Depth=1
	s_load_b96 s[40:42], s[26:27], 0x4
	s_add_co_i32 s28, s28, -1
	s_wait_xcnt 0x0
	s_add_nc_u64 s[26:27], s[26:27], 12
	s_cmp_lg_u32 s28, 0
	s_wait_kmcnt 0x0
	v_mul_hi_u32 v4, s41, v1
	s_delay_alu instid0(VALU_DEP_1) | instskip(NEXT) | instid1(VALU_DEP_1)
	v_add_nc_u32_e32 v4, v1, v4
	v_lshrrev_b32_e32 v4, s42, v4
	s_load_b64 s[42:43], s[24:25], 0x0
	s_wait_xcnt 0x0
	s_add_nc_u64 s[24:25], s[24:25], 8
	s_delay_alu instid0(VALU_DEP_1) | instskip(NEXT) | instid1(VALU_DEP_1)
	v_mul_lo_u32 v5, v4, s40
	v_sub_nc_u32_e32 v1, v1, v5
	s_wait_kmcnt 0x0
	s_delay_alu instid0(VALU_DEP_1)
	v_mad_u32 v3, v1, s43, v3
	v_mad_u32 v2, v1, s42, v2
	v_mov_b32_e32 v1, v4
	s_cbranch_scc1 .LBB205_123
.LBB205_124:
	s_cbranch_execnz .LBB205_127
.LBB205_125:
	v_mov_b32_e32 v1, 0
	s_and_not1_b32 vcc_lo, exec_lo, s35
	s_delay_alu instid0(VALU_DEP_1) | instskip(NEXT) | instid1(VALU_DEP_1)
	v_mul_u64_e32 v[2:3], s[18:19], v[0:1]
	v_add_nc_u32_e32 v2, v0, v3
	s_delay_alu instid0(VALU_DEP_1) | instskip(NEXT) | instid1(VALU_DEP_1)
	v_lshrrev_b32_e32 v4, s6, v2
	v_mul_lo_u32 v2, v4, s4
	s_delay_alu instid0(VALU_DEP_1) | instskip(NEXT) | instid1(VALU_DEP_1)
	v_sub_nc_u32_e32 v2, v0, v2
	v_mul_lo_u32 v3, v2, s9
	v_mul_lo_u32 v2, v2, s8
	s_cbranch_vccnz .LBB205_127
; %bb.126:
	v_mov_b32_e32 v5, v1
	s_delay_alu instid0(VALU_DEP_1) | instskip(NEXT) | instid1(VALU_DEP_1)
	v_mul_u64_e32 v[6:7], s[20:21], v[4:5]
	v_add_nc_u32_e32 v1, v4, v7
	s_delay_alu instid0(VALU_DEP_1) | instskip(NEXT) | instid1(VALU_DEP_1)
	v_lshrrev_b32_e32 v1, s17, v1
	v_mul_lo_u32 v1, v1, s7
	s_delay_alu instid0(VALU_DEP_1) | instskip(NEXT) | instid1(VALU_DEP_1)
	v_sub_nc_u32_e32 v1, v4, v1
	v_mad_u32 v2, v1, s10, v2
	v_mad_u32 v3, v1, s11, v3
.LBB205_127:
	global_load_u16 v3, v3, s[2:3]
	s_cmp_lt_i32 s14, 1
	s_mov_b32 s24, 0
	s_cbranch_scc1 .LBB205_130
; %bb.128:
	s_cmp_eq_u32 s14, 1
	s_cbranch_scc0 .LBB205_131
; %bb.129:
	s_wait_loadcnt 0x0
	v_min_i16 v1, v3, s15
	s_mov_b32 s25, 0
	s_branch .LBB205_132
.LBB205_130:
	s_mov_b32 s25, 0
                                        ; implicit-def: $vgpr1
	s_cbranch_execnz .LBB205_133
	s_branch .LBB205_134
.LBB205_131:
	s_mov_b32 s25, -1
                                        ; implicit-def: $vgpr1
.LBB205_132:
	s_branch .LBB205_134
.LBB205_133:
	s_cmp_lg_u32 s14, 0
	s_mov_b32 s24, -1
	s_cselect_b32 s25, -1, 0
.LBB205_134:
	s_wait_loadcnt 0x0
	v_max_i16 v4, v3, s15
	s_and_not1_b32 vcc_lo, exec_lo, s25
	s_cbranch_vccz .LBB205_143
; %bb.135:
	s_and_not1_b32 vcc_lo, exec_lo, s24
	s_cbranch_vccnz .LBB205_137
.LBB205_136:
	v_mov_b32_e32 v1, v4
.LBB205_137:
	v_add_nc_u32_e32 v0, 0x80, v0
	global_store_b16 v2, v1, s[0:1]
	s_wait_xcnt 0x0
	s_or_b32 exec_lo, exec_lo, s16
	s_delay_alu instid0(SALU_CYCLE_1)
	s_mov_b32 s16, exec_lo
	v_cmpx_gt_i32_e64 s36, v0
	s_cbranch_execz .LBB205_7
.LBB205_138:
	s_and_not1_b32 vcc_lo, exec_lo, s33
	s_cbranch_vccnz .LBB205_144
; %bb.139:
	s_and_not1_b32 vcc_lo, exec_lo, s38
	s_cbranch_vccnz .LBB205_145
; %bb.140:
	s_add_co_i32 s25, s37, 1
	s_cmp_eq_u32 s31, 2
	s_cbranch_scc1 .LBB205_146
; %bb.141:
	v_dual_mov_b32 v2, 0 :: v_dual_mov_b32 v3, 0
	v_mov_b32_e32 v1, v0
	s_and_b32 s24, s25, 28
	s_mov_b32 s39, 0
	s_mov_b64 s[26:27], s[12:13]
	s_mov_b64 s[28:29], s[22:23]
.LBB205_142:                            ; =>This Inner Loop Header: Depth=1
	s_clause 0x1
	s_load_b256 s[40:47], s[26:27], 0x4
	s_load_b128 s[56:59], s[26:27], 0x24
	s_load_b256 s[48:55], s[28:29], 0x0
	s_add_co_i32 s39, s39, 4
	s_wait_xcnt 0x0
	s_add_nc_u64 s[26:27], s[26:27], 48
	s_cmp_eq_u32 s24, s39
	s_add_nc_u64 s[28:29], s[28:29], 32
	s_wait_kmcnt 0x0
	v_mul_hi_u32 v4, s41, v1
	s_delay_alu instid0(VALU_DEP_1) | instskip(NEXT) | instid1(VALU_DEP_1)
	v_add_nc_u32_e32 v4, v1, v4
	v_lshrrev_b32_e32 v4, s42, v4
	s_delay_alu instid0(VALU_DEP_1) | instskip(NEXT) | instid1(VALU_DEP_1)
	v_mul_hi_u32 v5, s44, v4
	v_add_nc_u32_e32 v5, v4, v5
	s_delay_alu instid0(VALU_DEP_1) | instskip(NEXT) | instid1(VALU_DEP_1)
	v_lshrrev_b32_e32 v5, s45, v5
	v_mul_hi_u32 v6, s47, v5
	s_delay_alu instid0(VALU_DEP_1) | instskip(SKIP_1) | instid1(VALU_DEP_1)
	v_add_nc_u32_e32 v6, v5, v6
	v_mul_lo_u32 v7, v4, s40
	v_sub_nc_u32_e32 v1, v1, v7
	v_mul_lo_u32 v7, v5, s43
	s_delay_alu instid0(VALU_DEP_4) | instskip(NEXT) | instid1(VALU_DEP_3)
	v_lshrrev_b32_e32 v6, s56, v6
	v_mad_u32 v3, v1, s49, v3
	v_mad_u32 v1, v1, s48, v2
	s_delay_alu instid0(VALU_DEP_4) | instskip(NEXT) | instid1(VALU_DEP_4)
	v_sub_nc_u32_e32 v2, v4, v7
	v_mul_hi_u32 v8, s58, v6
	v_mul_lo_u32 v4, v6, s46
	s_delay_alu instid0(VALU_DEP_3) | instskip(SKIP_1) | instid1(VALU_DEP_4)
	v_mad_u32 v3, v2, s51, v3
	v_mad_u32 v2, v2, s50, v1
	v_add_nc_u32_e32 v7, v6, v8
	s_delay_alu instid0(VALU_DEP_1) | instskip(NEXT) | instid1(VALU_DEP_1)
	v_dual_sub_nc_u32 v4, v5, v4 :: v_dual_lshrrev_b32 v1, s59, v7
	v_mad_u32 v3, v4, s53, v3
	s_delay_alu instid0(VALU_DEP_4) | instskip(NEXT) | instid1(VALU_DEP_3)
	v_mad_u32 v2, v4, s52, v2
	v_mul_lo_u32 v5, v1, s57
	s_delay_alu instid0(VALU_DEP_1) | instskip(NEXT) | instid1(VALU_DEP_1)
	v_sub_nc_u32_e32 v4, v6, v5
	v_mad_u32 v3, v4, s55, v3
	s_delay_alu instid0(VALU_DEP_4)
	v_mad_u32 v2, v4, s54, v2
	s_cbranch_scc0 .LBB205_142
	s_branch .LBB205_147
.LBB205_143:
	v_max_i16 v1, v3, s15
	s_delay_alu instid0(VALU_DEP_1)
	v_min_i16 v1, v1, s5
	s_cbranch_execz .LBB205_136
	s_branch .LBB205_137
.LBB205_144:
                                        ; implicit-def: $vgpr3
	s_branch .LBB205_151
.LBB205_145:
	v_dual_mov_b32 v3, 0 :: v_dual_mov_b32 v2, 0
	s_branch .LBB205_150
.LBB205_146:
	v_mov_b64_e32 v[2:3], 0
	v_mov_b32_e32 v1, v0
	s_mov_b32 s24, 0
.LBB205_147:
	s_and_b32 s28, s25, 3
	s_mov_b32 s25, 0
	s_cmp_eq_u32 s28, 0
	s_cbranch_scc1 .LBB205_150
; %bb.148:
	s_lshl_b32 s26, s24, 3
	s_mov_b32 s27, s25
	s_mul_u64 s[40:41], s[24:25], 12
	s_add_nc_u64 s[26:27], s[12:13], s[26:27]
	s_delay_alu instid0(SALU_CYCLE_1)
	s_add_nc_u64 s[24:25], s[26:27], 0xc4
	s_add_nc_u64 s[26:27], s[12:13], s[40:41]
.LBB205_149:                            ; =>This Inner Loop Header: Depth=1
	s_load_b96 s[40:42], s[26:27], 0x4
	s_add_co_i32 s28, s28, -1
	s_wait_xcnt 0x0
	s_add_nc_u64 s[26:27], s[26:27], 12
	s_cmp_lg_u32 s28, 0
	s_wait_kmcnt 0x0
	v_mul_hi_u32 v4, s41, v1
	s_delay_alu instid0(VALU_DEP_1) | instskip(NEXT) | instid1(VALU_DEP_1)
	v_add_nc_u32_e32 v4, v1, v4
	v_lshrrev_b32_e32 v4, s42, v4
	s_load_b64 s[42:43], s[24:25], 0x0
	s_wait_xcnt 0x0
	s_add_nc_u64 s[24:25], s[24:25], 8
	s_delay_alu instid0(VALU_DEP_1) | instskip(NEXT) | instid1(VALU_DEP_1)
	v_mul_lo_u32 v5, v4, s40
	v_sub_nc_u32_e32 v1, v1, v5
	s_wait_kmcnt 0x0
	s_delay_alu instid0(VALU_DEP_1)
	v_mad_u32 v3, v1, s43, v3
	v_mad_u32 v2, v1, s42, v2
	v_mov_b32_e32 v1, v4
	s_cbranch_scc1 .LBB205_149
.LBB205_150:
	s_cbranch_execnz .LBB205_153
.LBB205_151:
	v_mov_b32_e32 v1, 0
	s_and_not1_b32 vcc_lo, exec_lo, s35
	s_delay_alu instid0(VALU_DEP_1) | instskip(NEXT) | instid1(VALU_DEP_1)
	v_mul_u64_e32 v[2:3], s[18:19], v[0:1]
	v_add_nc_u32_e32 v2, v0, v3
	s_delay_alu instid0(VALU_DEP_1) | instskip(NEXT) | instid1(VALU_DEP_1)
	v_lshrrev_b32_e32 v4, s6, v2
	v_mul_lo_u32 v2, v4, s4
	s_delay_alu instid0(VALU_DEP_1) | instskip(NEXT) | instid1(VALU_DEP_1)
	v_sub_nc_u32_e32 v2, v0, v2
	v_mul_lo_u32 v3, v2, s9
	v_mul_lo_u32 v2, v2, s8
	s_cbranch_vccnz .LBB205_153
; %bb.152:
	v_mov_b32_e32 v5, v1
	s_delay_alu instid0(VALU_DEP_1) | instskip(NEXT) | instid1(VALU_DEP_1)
	v_mul_u64_e32 v[6:7], s[20:21], v[4:5]
	v_add_nc_u32_e32 v1, v4, v7
	s_delay_alu instid0(VALU_DEP_1) | instskip(NEXT) | instid1(VALU_DEP_1)
	v_lshrrev_b32_e32 v1, s17, v1
	v_mul_lo_u32 v1, v1, s7
	s_delay_alu instid0(VALU_DEP_1) | instskip(NEXT) | instid1(VALU_DEP_1)
	v_sub_nc_u32_e32 v1, v4, v1
	v_mad_u32 v2, v1, s10, v2
	v_mad_u32 v3, v1, s11, v3
.LBB205_153:
	global_load_u16 v3, v3, s[2:3]
	s_cmp_lt_i32 s14, 1
	s_mov_b32 s24, 0
	s_cbranch_scc1 .LBB205_156
; %bb.154:
	s_cmp_eq_u32 s14, 1
	s_cbranch_scc0 .LBB205_157
; %bb.155:
	s_wait_loadcnt 0x0
	v_min_i16 v1, v3, s15
	s_mov_b32 s25, 0
	s_branch .LBB205_158
.LBB205_156:
	s_mov_b32 s25, 0
                                        ; implicit-def: $vgpr1
	s_cbranch_execnz .LBB205_159
	s_branch .LBB205_160
.LBB205_157:
	s_mov_b32 s25, -1
                                        ; implicit-def: $vgpr1
.LBB205_158:
	s_branch .LBB205_160
.LBB205_159:
	s_cmp_lg_u32 s14, 0
	s_mov_b32 s24, -1
	s_cselect_b32 s25, -1, 0
.LBB205_160:
	s_wait_loadcnt 0x0
	v_max_i16 v4, v3, s15
	s_and_not1_b32 vcc_lo, exec_lo, s25
	s_cbranch_vccz .LBB205_169
; %bb.161:
	s_and_not1_b32 vcc_lo, exec_lo, s24
	s_cbranch_vccnz .LBB205_163
.LBB205_162:
	v_mov_b32_e32 v1, v4
.LBB205_163:
	v_add_nc_u32_e32 v0, 0x80, v0
	global_store_b16 v2, v1, s[0:1]
	s_wait_xcnt 0x0
	s_or_b32 exec_lo, exec_lo, s16
	s_delay_alu instid0(SALU_CYCLE_1)
	s_mov_b32 s16, exec_lo
	v_cmpx_gt_i32_e64 s36, v0
	s_cbranch_execz .LBB205_8
.LBB205_164:
	s_and_not1_b32 vcc_lo, exec_lo, s33
	s_cbranch_vccnz .LBB205_170
; %bb.165:
	s_and_not1_b32 vcc_lo, exec_lo, s38
	s_cbranch_vccnz .LBB205_171
; %bb.166:
	s_add_co_i32 s25, s37, 1
	s_cmp_eq_u32 s31, 2
	s_cbranch_scc1 .LBB205_172
; %bb.167:
	v_dual_mov_b32 v2, 0 :: v_dual_mov_b32 v3, 0
	v_mov_b32_e32 v1, v0
	s_and_b32 s24, s25, 28
	s_mov_b32 s39, 0
	s_mov_b64 s[26:27], s[12:13]
	s_mov_b64 s[28:29], s[22:23]
.LBB205_168:                            ; =>This Inner Loop Header: Depth=1
	s_clause 0x1
	s_load_b256 s[40:47], s[26:27], 0x4
	s_load_b128 s[56:59], s[26:27], 0x24
	s_load_b256 s[48:55], s[28:29], 0x0
	s_add_co_i32 s39, s39, 4
	s_wait_xcnt 0x0
	s_add_nc_u64 s[26:27], s[26:27], 48
	s_cmp_eq_u32 s24, s39
	s_add_nc_u64 s[28:29], s[28:29], 32
	s_wait_kmcnt 0x0
	v_mul_hi_u32 v4, s41, v1
	s_delay_alu instid0(VALU_DEP_1) | instskip(NEXT) | instid1(VALU_DEP_1)
	v_add_nc_u32_e32 v4, v1, v4
	v_lshrrev_b32_e32 v4, s42, v4
	s_delay_alu instid0(VALU_DEP_1) | instskip(NEXT) | instid1(VALU_DEP_1)
	v_mul_hi_u32 v5, s44, v4
	v_add_nc_u32_e32 v5, v4, v5
	s_delay_alu instid0(VALU_DEP_1) | instskip(NEXT) | instid1(VALU_DEP_1)
	v_lshrrev_b32_e32 v5, s45, v5
	v_mul_hi_u32 v6, s47, v5
	s_delay_alu instid0(VALU_DEP_1) | instskip(SKIP_1) | instid1(VALU_DEP_1)
	v_add_nc_u32_e32 v6, v5, v6
	v_mul_lo_u32 v7, v4, s40
	v_sub_nc_u32_e32 v1, v1, v7
	v_mul_lo_u32 v7, v5, s43
	s_delay_alu instid0(VALU_DEP_4) | instskip(NEXT) | instid1(VALU_DEP_3)
	v_lshrrev_b32_e32 v6, s56, v6
	v_mad_u32 v3, v1, s49, v3
	v_mad_u32 v1, v1, s48, v2
	s_delay_alu instid0(VALU_DEP_4) | instskip(NEXT) | instid1(VALU_DEP_4)
	v_sub_nc_u32_e32 v2, v4, v7
	v_mul_hi_u32 v8, s58, v6
	v_mul_lo_u32 v4, v6, s46
	s_delay_alu instid0(VALU_DEP_3) | instskip(SKIP_1) | instid1(VALU_DEP_4)
	v_mad_u32 v3, v2, s51, v3
	v_mad_u32 v2, v2, s50, v1
	v_add_nc_u32_e32 v7, v6, v8
	s_delay_alu instid0(VALU_DEP_1) | instskip(NEXT) | instid1(VALU_DEP_1)
	v_dual_sub_nc_u32 v4, v5, v4 :: v_dual_lshrrev_b32 v1, s59, v7
	v_mad_u32 v3, v4, s53, v3
	s_delay_alu instid0(VALU_DEP_4) | instskip(NEXT) | instid1(VALU_DEP_3)
	v_mad_u32 v2, v4, s52, v2
	v_mul_lo_u32 v5, v1, s57
	s_delay_alu instid0(VALU_DEP_1) | instskip(NEXT) | instid1(VALU_DEP_1)
	v_sub_nc_u32_e32 v4, v6, v5
	v_mad_u32 v3, v4, s55, v3
	s_delay_alu instid0(VALU_DEP_4)
	v_mad_u32 v2, v4, s54, v2
	s_cbranch_scc0 .LBB205_168
	s_branch .LBB205_173
.LBB205_169:
	v_max_i16 v1, v3, s15
	s_delay_alu instid0(VALU_DEP_1)
	v_min_i16 v1, v1, s5
	s_cbranch_execz .LBB205_162
	s_branch .LBB205_163
.LBB205_170:
                                        ; implicit-def: $vgpr3
	s_branch .LBB205_177
.LBB205_171:
	v_dual_mov_b32 v3, 0 :: v_dual_mov_b32 v2, 0
	s_branch .LBB205_176
.LBB205_172:
	v_mov_b64_e32 v[2:3], 0
	v_mov_b32_e32 v1, v0
	s_mov_b32 s24, 0
.LBB205_173:
	s_and_b32 s28, s25, 3
	s_mov_b32 s25, 0
	s_cmp_eq_u32 s28, 0
	s_cbranch_scc1 .LBB205_176
; %bb.174:
	s_lshl_b32 s26, s24, 3
	s_mov_b32 s27, s25
	s_mul_u64 s[40:41], s[24:25], 12
	s_add_nc_u64 s[26:27], s[12:13], s[26:27]
	s_delay_alu instid0(SALU_CYCLE_1)
	s_add_nc_u64 s[24:25], s[26:27], 0xc4
	s_add_nc_u64 s[26:27], s[12:13], s[40:41]
.LBB205_175:                            ; =>This Inner Loop Header: Depth=1
	s_load_b96 s[40:42], s[26:27], 0x4
	s_add_co_i32 s28, s28, -1
	s_wait_xcnt 0x0
	s_add_nc_u64 s[26:27], s[26:27], 12
	s_cmp_lg_u32 s28, 0
	s_wait_kmcnt 0x0
	v_mul_hi_u32 v4, s41, v1
	s_delay_alu instid0(VALU_DEP_1) | instskip(NEXT) | instid1(VALU_DEP_1)
	v_add_nc_u32_e32 v4, v1, v4
	v_lshrrev_b32_e32 v4, s42, v4
	s_load_b64 s[42:43], s[24:25], 0x0
	s_wait_xcnt 0x0
	s_add_nc_u64 s[24:25], s[24:25], 8
	s_delay_alu instid0(VALU_DEP_1) | instskip(NEXT) | instid1(VALU_DEP_1)
	v_mul_lo_u32 v5, v4, s40
	v_sub_nc_u32_e32 v1, v1, v5
	s_wait_kmcnt 0x0
	s_delay_alu instid0(VALU_DEP_1)
	v_mad_u32 v3, v1, s43, v3
	v_mad_u32 v2, v1, s42, v2
	v_mov_b32_e32 v1, v4
	s_cbranch_scc1 .LBB205_175
.LBB205_176:
	s_cbranch_execnz .LBB205_179
.LBB205_177:
	v_mov_b32_e32 v1, 0
	s_and_not1_b32 vcc_lo, exec_lo, s35
	s_delay_alu instid0(VALU_DEP_1) | instskip(NEXT) | instid1(VALU_DEP_1)
	v_mul_u64_e32 v[2:3], s[18:19], v[0:1]
	v_add_nc_u32_e32 v2, v0, v3
	s_delay_alu instid0(VALU_DEP_1) | instskip(NEXT) | instid1(VALU_DEP_1)
	v_lshrrev_b32_e32 v4, s6, v2
	v_mul_lo_u32 v2, v4, s4
	s_delay_alu instid0(VALU_DEP_1) | instskip(NEXT) | instid1(VALU_DEP_1)
	v_sub_nc_u32_e32 v2, v0, v2
	v_mul_lo_u32 v3, v2, s9
	v_mul_lo_u32 v2, v2, s8
	s_cbranch_vccnz .LBB205_179
; %bb.178:
	v_mov_b32_e32 v5, v1
	s_delay_alu instid0(VALU_DEP_1) | instskip(NEXT) | instid1(VALU_DEP_1)
	v_mul_u64_e32 v[6:7], s[20:21], v[4:5]
	v_add_nc_u32_e32 v1, v4, v7
	s_delay_alu instid0(VALU_DEP_1) | instskip(NEXT) | instid1(VALU_DEP_1)
	v_lshrrev_b32_e32 v1, s17, v1
	v_mul_lo_u32 v1, v1, s7
	s_delay_alu instid0(VALU_DEP_1) | instskip(NEXT) | instid1(VALU_DEP_1)
	v_sub_nc_u32_e32 v1, v4, v1
	v_mad_u32 v2, v1, s10, v2
	v_mad_u32 v3, v1, s11, v3
.LBB205_179:
	global_load_u16 v3, v3, s[2:3]
	s_cmp_lt_i32 s14, 1
	s_mov_b32 s24, 0
	s_cbranch_scc1 .LBB205_182
; %bb.180:
	s_cmp_eq_u32 s14, 1
	s_cbranch_scc0 .LBB205_183
; %bb.181:
	s_wait_loadcnt 0x0
	v_min_i16 v1, v3, s15
	s_mov_b32 s25, 0
	s_branch .LBB205_184
.LBB205_182:
	s_mov_b32 s25, 0
                                        ; implicit-def: $vgpr1
	s_cbranch_execnz .LBB205_185
	s_branch .LBB205_186
.LBB205_183:
	s_mov_b32 s25, -1
                                        ; implicit-def: $vgpr1
.LBB205_184:
	s_branch .LBB205_186
.LBB205_185:
	s_cmp_lg_u32 s14, 0
	s_mov_b32 s24, -1
	s_cselect_b32 s25, -1, 0
.LBB205_186:
	s_wait_loadcnt 0x0
	v_max_i16 v4, v3, s15
	s_and_not1_b32 vcc_lo, exec_lo, s25
	s_cbranch_vccz .LBB205_195
; %bb.187:
	s_and_not1_b32 vcc_lo, exec_lo, s24
	s_cbranch_vccnz .LBB205_189
.LBB205_188:
	v_mov_b32_e32 v1, v4
.LBB205_189:
	v_add_nc_u32_e32 v0, 0x80, v0
	global_store_b16 v2, v1, s[0:1]
	s_wait_xcnt 0x0
	s_or_b32 exec_lo, exec_lo, s16
	s_delay_alu instid0(SALU_CYCLE_1)
	s_mov_b32 s16, exec_lo
	v_cmpx_gt_i32_e64 s36, v0
	s_cbranch_execz .LBB205_216
.LBB205_190:
	s_and_not1_b32 vcc_lo, exec_lo, s33
	s_cbranch_vccnz .LBB205_196
; %bb.191:
	s_and_not1_b32 vcc_lo, exec_lo, s38
	s_cbranch_vccnz .LBB205_197
; %bb.192:
	s_add_co_i32 s37, s37, 1
	s_cmp_eq_u32 s31, 2
	s_cbranch_scc1 .LBB205_198
; %bb.193:
	v_dual_mov_b32 v2, 0 :: v_dual_mov_b32 v3, 0
	v_mov_b32_e32 v1, v0
	s_and_b32 s24, s37, 28
	s_mov_b32 s25, 0
	s_mov_b64 s[26:27], s[12:13]
.LBB205_194:                            ; =>This Inner Loop Header: Depth=1
	s_clause 0x1
	s_load_b256 s[40:47], s[26:27], 0x4
	s_load_b128 s[56:59], s[26:27], 0x24
	s_load_b256 s[48:55], s[22:23], 0x0
	s_add_co_i32 s25, s25, 4
	s_wait_xcnt 0x0
	s_add_nc_u64 s[26:27], s[26:27], 48
	s_cmp_eq_u32 s24, s25
	s_add_nc_u64 s[22:23], s[22:23], 32
	s_wait_kmcnt 0x0
	v_mul_hi_u32 v4, s41, v1
	s_delay_alu instid0(VALU_DEP_1) | instskip(NEXT) | instid1(VALU_DEP_1)
	v_add_nc_u32_e32 v4, v1, v4
	v_lshrrev_b32_e32 v4, s42, v4
	s_delay_alu instid0(VALU_DEP_1) | instskip(NEXT) | instid1(VALU_DEP_1)
	v_mul_hi_u32 v5, s44, v4
	v_add_nc_u32_e32 v5, v4, v5
	s_delay_alu instid0(VALU_DEP_1) | instskip(NEXT) | instid1(VALU_DEP_1)
	v_lshrrev_b32_e32 v5, s45, v5
	v_mul_hi_u32 v6, s47, v5
	s_delay_alu instid0(VALU_DEP_1) | instskip(SKIP_1) | instid1(VALU_DEP_1)
	v_add_nc_u32_e32 v6, v5, v6
	v_mul_lo_u32 v7, v4, s40
	v_sub_nc_u32_e32 v1, v1, v7
	v_mul_lo_u32 v7, v5, s43
	s_delay_alu instid0(VALU_DEP_4) | instskip(NEXT) | instid1(VALU_DEP_3)
	v_lshrrev_b32_e32 v6, s56, v6
	v_mad_u32 v3, v1, s49, v3
	v_mad_u32 v1, v1, s48, v2
	s_delay_alu instid0(VALU_DEP_4) | instskip(NEXT) | instid1(VALU_DEP_4)
	v_sub_nc_u32_e32 v2, v4, v7
	v_mul_hi_u32 v8, s58, v6
	v_mul_lo_u32 v4, v6, s46
	s_delay_alu instid0(VALU_DEP_3) | instskip(SKIP_1) | instid1(VALU_DEP_4)
	v_mad_u32 v3, v2, s51, v3
	v_mad_u32 v2, v2, s50, v1
	v_add_nc_u32_e32 v7, v6, v8
	s_delay_alu instid0(VALU_DEP_1) | instskip(NEXT) | instid1(VALU_DEP_1)
	v_dual_sub_nc_u32 v4, v5, v4 :: v_dual_lshrrev_b32 v1, s59, v7
	v_mad_u32 v3, v4, s53, v3
	s_delay_alu instid0(VALU_DEP_4) | instskip(NEXT) | instid1(VALU_DEP_3)
	v_mad_u32 v2, v4, s52, v2
	v_mul_lo_u32 v5, v1, s57
	s_delay_alu instid0(VALU_DEP_1) | instskip(NEXT) | instid1(VALU_DEP_1)
	v_sub_nc_u32_e32 v4, v6, v5
	v_mad_u32 v3, v4, s55, v3
	s_delay_alu instid0(VALU_DEP_4)
	v_mad_u32 v2, v4, s54, v2
	s_cbranch_scc0 .LBB205_194
	s_branch .LBB205_199
.LBB205_195:
	v_max_i16 v1, v3, s15
	s_delay_alu instid0(VALU_DEP_1)
	v_min_i16 v1, v1, s5
	s_cbranch_execz .LBB205_188
	s_branch .LBB205_189
.LBB205_196:
                                        ; implicit-def: $vgpr3
	s_branch .LBB205_203
.LBB205_197:
	v_dual_mov_b32 v3, 0 :: v_dual_mov_b32 v2, 0
	s_branch .LBB205_202
.LBB205_198:
	v_mov_b64_e32 v[2:3], 0
	v_mov_b32_e32 v1, v0
	s_mov_b32 s24, 0
.LBB205_199:
	s_and_b32 s26, s37, 3
	s_mov_b32 s25, 0
	s_cmp_eq_u32 s26, 0
	s_cbranch_scc1 .LBB205_202
; %bb.200:
	s_lshl_b32 s22, s24, 3
	s_mov_b32 s23, s25
	s_mul_u64 s[24:25], s[24:25], 12
	s_add_nc_u64 s[22:23], s[12:13], s[22:23]
	s_add_nc_u64 s[24:25], s[12:13], s[24:25]
	;; [unrolled: 1-line block ×3, first 2 shown]
.LBB205_201:                            ; =>This Inner Loop Header: Depth=1
	s_load_b96 s[36:38], s[24:25], 0x4
	s_load_b64 s[28:29], s[22:23], 0x0
	s_add_co_i32 s26, s26, -1
	s_wait_xcnt 0x0
	s_add_nc_u64 s[24:25], s[24:25], 12
	s_cmp_lg_u32 s26, 0
	s_add_nc_u64 s[22:23], s[22:23], 8
	s_wait_kmcnt 0x0
	v_mul_hi_u32 v4, s37, v1
	s_delay_alu instid0(VALU_DEP_1) | instskip(NEXT) | instid1(VALU_DEP_1)
	v_add_nc_u32_e32 v4, v1, v4
	v_lshrrev_b32_e32 v4, s38, v4
	s_delay_alu instid0(VALU_DEP_1) | instskip(NEXT) | instid1(VALU_DEP_1)
	v_mul_lo_u32 v5, v4, s36
	v_sub_nc_u32_e32 v1, v1, v5
	s_delay_alu instid0(VALU_DEP_1)
	v_mad_u32 v3, v1, s29, v3
	v_mad_u32 v2, v1, s28, v2
	v_mov_b32_e32 v1, v4
	s_cbranch_scc1 .LBB205_201
.LBB205_202:
	s_cbranch_execnz .LBB205_205
.LBB205_203:
	v_mov_b32_e32 v1, 0
	s_and_not1_b32 vcc_lo, exec_lo, s35
	s_delay_alu instid0(VALU_DEP_1) | instskip(NEXT) | instid1(VALU_DEP_1)
	v_mul_u64_e32 v[2:3], s[18:19], v[0:1]
	v_add_nc_u32_e32 v2, v0, v3
	s_delay_alu instid0(VALU_DEP_1) | instskip(NEXT) | instid1(VALU_DEP_1)
	v_lshrrev_b32_e32 v4, s6, v2
	v_mul_lo_u32 v2, v4, s4
	s_delay_alu instid0(VALU_DEP_1) | instskip(NEXT) | instid1(VALU_DEP_1)
	v_sub_nc_u32_e32 v0, v0, v2
	v_mul_lo_u32 v3, v0, s9
	v_mul_lo_u32 v2, v0, s8
	s_cbranch_vccnz .LBB205_205
; %bb.204:
	v_mov_b32_e32 v5, v1
	s_delay_alu instid0(VALU_DEP_1) | instskip(NEXT) | instid1(VALU_DEP_1)
	v_mul_u64_e32 v[0:1], s[20:21], v[4:5]
	v_add_nc_u32_e32 v0, v4, v1
	s_delay_alu instid0(VALU_DEP_1) | instskip(NEXT) | instid1(VALU_DEP_1)
	v_lshrrev_b32_e32 v0, s17, v0
	v_mul_lo_u32 v0, v0, s7
	s_delay_alu instid0(VALU_DEP_1) | instskip(NEXT) | instid1(VALU_DEP_1)
	v_sub_nc_u32_e32 v0, v4, v0
	v_mad_u32 v2, v0, s10, v2
	v_mad_u32 v3, v0, s11, v3
.LBB205_205:
	global_load_u16 v1, v3, s[2:3]
	s_cmp_lt_i32 s14, 1
	s_wait_xcnt 0x0
	s_mov_b32 s2, 0
	s_cbranch_scc1 .LBB205_208
; %bb.206:
	s_cmp_eq_u32 s14, 1
	s_cbranch_scc0 .LBB205_209
; %bb.207:
	s_wait_loadcnt 0x0
	v_min_i16 v0, v1, s15
	s_mov_b32 s3, 0
	s_branch .LBB205_210
.LBB205_208:
	s_mov_b32 s3, 0
                                        ; implicit-def: $vgpr0
	s_cbranch_execnz .LBB205_211
	s_branch .LBB205_212
.LBB205_209:
	s_mov_b32 s3, -1
                                        ; implicit-def: $vgpr0
.LBB205_210:
	s_branch .LBB205_212
.LBB205_211:
	s_cmp_lg_u32 s14, 0
	s_mov_b32 s2, -1
	s_cselect_b32 s3, -1, 0
.LBB205_212:
	s_wait_loadcnt 0x0
	v_max_i16 v3, v1, s15
	s_and_not1_b32 vcc_lo, exec_lo, s3
	s_cbranch_vccz .LBB205_226
; %bb.213:
	s_and_not1_b32 vcc_lo, exec_lo, s2
	s_cbranch_vccnz .LBB205_215
.LBB205_214:
	v_mov_b32_e32 v0, v3
.LBB205_215:
	global_store_b16 v2, v0, s[0:1]
.LBB205_216:
	s_wait_xcnt 0x0
	s_or_b32 exec_lo, exec_lo, s16
                                        ; implicit-def: $vgpr16
                                        ; implicit-def: $vgpr0
.LBB205_217:
	s_and_not1_saveexec_b32 s0, s34
	s_cbranch_execz .LBB205_224
; %bb.218:
	v_cndmask_b32_e64 v14, 0, 1, s33
	s_and_not1_b32 vcc_lo, exec_lo, s33
	s_cbranch_vccnz .LBB205_225
; %bb.219:
	s_cmp_lg_u32 s30, 0
	s_mov_b32 s6, 0
	s_cbranch_scc0 .LBB205_227
; %bb.220:
	s_min_u32 s1, s31, 15
	s_delay_alu instid0(SALU_CYCLE_1)
	s_add_co_i32 s1, s1, 1
	s_cmp_eq_u32 s31, 2
	s_cbranch_scc1 .LBB205_228
; %bb.221:
	v_dual_mov_b32 v2, 0 :: v_dual_mov_b32 v3, 0
	v_mov_b32_e32 v1, v0
	s_and_b32 s0, s1, 28
	s_add_nc_u64 s[2:3], s[12:13], 0xc4
	s_mov_b32 s7, 0
	s_mov_b64 s[4:5], s[12:13]
.LBB205_222:                            ; =>This Inner Loop Header: Depth=1
	s_clause 0x1
	s_load_b256 s[16:23], s[4:5], 0x4
	s_load_b128 s[8:11], s[4:5], 0x24
	s_load_b256 s[36:43], s[2:3], 0x0
	s_add_co_i32 s7, s7, 4
	s_wait_xcnt 0x0
	s_add_nc_u64 s[4:5], s[4:5], 48
	s_cmp_lg_u32 s0, s7
	s_add_nc_u64 s[2:3], s[2:3], 32
	s_wait_kmcnt 0x0
	v_mul_hi_u32 v4, s17, v1
	s_delay_alu instid0(VALU_DEP_1) | instskip(NEXT) | instid1(VALU_DEP_1)
	v_add_nc_u32_e32 v4, v1, v4
	v_lshrrev_b32_e32 v4, s18, v4
	s_delay_alu instid0(VALU_DEP_1) | instskip(NEXT) | instid1(VALU_DEP_1)
	v_mul_hi_u32 v5, s20, v4
	v_add_nc_u32_e32 v5, v4, v5
	s_delay_alu instid0(VALU_DEP_1) | instskip(NEXT) | instid1(VALU_DEP_1)
	v_lshrrev_b32_e32 v5, s21, v5
	v_mul_hi_u32 v6, s23, v5
	s_delay_alu instid0(VALU_DEP_1) | instskip(SKIP_1) | instid1(VALU_DEP_1)
	v_add_nc_u32_e32 v6, v5, v6
	v_mul_lo_u32 v7, v4, s16
	v_sub_nc_u32_e32 v1, v1, v7
	v_mul_lo_u32 v7, v5, s19
	s_delay_alu instid0(VALU_DEP_4) | instskip(NEXT) | instid1(VALU_DEP_3)
	v_lshrrev_b32_e32 v6, s8, v6
	v_mad_u32 v3, v1, s37, v3
	v_mad_u32 v1, v1, s36, v2
	s_delay_alu instid0(VALU_DEP_4) | instskip(NEXT) | instid1(VALU_DEP_4)
	v_sub_nc_u32_e32 v2, v4, v7
	v_mul_hi_u32 v8, s10, v6
	v_mul_lo_u32 v4, v6, s22
	s_delay_alu instid0(VALU_DEP_3) | instskip(SKIP_1) | instid1(VALU_DEP_4)
	v_mad_u32 v3, v2, s39, v3
	v_mad_u32 v2, v2, s38, v1
	v_add_nc_u32_e32 v7, v6, v8
	s_delay_alu instid0(VALU_DEP_1) | instskip(NEXT) | instid1(VALU_DEP_1)
	v_dual_sub_nc_u32 v4, v5, v4 :: v_dual_lshrrev_b32 v1, s11, v7
	v_mad_u32 v3, v4, s41, v3
	s_delay_alu instid0(VALU_DEP_4) | instskip(NEXT) | instid1(VALU_DEP_3)
	v_mad_u32 v2, v4, s40, v2
	v_mul_lo_u32 v5, v1, s9
	s_delay_alu instid0(VALU_DEP_1) | instskip(NEXT) | instid1(VALU_DEP_1)
	v_sub_nc_u32_e32 v4, v6, v5
	v_mad_u32 v3, v4, s43, v3
	s_delay_alu instid0(VALU_DEP_4)
	v_mad_u32 v2, v4, s42, v2
	s_cbranch_scc1 .LBB205_222
; %bb.223:
	s_and_b32 s4, s1, 3
	s_mov_b32 s1, 0
	s_cmp_eq_u32 s4, 0
	s_cbranch_scc0 .LBB205_229
	s_branch .LBB205_231
.LBB205_224:
	s_endpgm
.LBB205_225:
	s_mov_b32 s6, -1
                                        ; implicit-def: $vgpr3
	s_branch .LBB205_231
.LBB205_226:
	v_max_i16 v0, v1, s15
	s_delay_alu instid0(VALU_DEP_1)
	v_min_i16 v0, v0, s5
	s_cbranch_execz .LBB205_214
	s_branch .LBB205_215
.LBB205_227:
	v_dual_mov_b32 v3, 0 :: v_dual_mov_b32 v2, 0
	s_branch .LBB205_231
.LBB205_228:
	v_mov_b64_e32 v[2:3], 0
	v_mov_b32_e32 v1, v0
	s_mov_b32 s0, 0
	s_and_b32 s4, s1, 3
	s_mov_b32 s1, 0
	s_cmp_eq_u32 s4, 0
	s_cbranch_scc1 .LBB205_231
.LBB205_229:
	s_lshl_b32 s2, s0, 3
	s_mov_b32 s3, s1
	s_mul_u64 s[8:9], s[0:1], 12
	s_add_nc_u64 s[2:3], s[12:13], s[2:3]
	s_delay_alu instid0(SALU_CYCLE_1)
	s_add_nc_u64 s[0:1], s[2:3], 0xc4
	s_add_nc_u64 s[2:3], s[12:13], s[8:9]
.LBB205_230:                            ; =>This Inner Loop Header: Depth=1
	s_load_b96 s[8:10], s[2:3], 0x4
	s_add_co_i32 s4, s4, -1
	s_wait_xcnt 0x0
	s_add_nc_u64 s[2:3], s[2:3], 12
	s_cmp_lg_u32 s4, 0
	s_wait_kmcnt 0x0
	v_mul_hi_u32 v4, s9, v1
	s_delay_alu instid0(VALU_DEP_1) | instskip(NEXT) | instid1(VALU_DEP_1)
	v_add_nc_u32_e32 v4, v1, v4
	v_lshrrev_b32_e32 v4, s10, v4
	s_load_b64 s[10:11], s[0:1], 0x0
	s_wait_xcnt 0x0
	s_add_nc_u64 s[0:1], s[0:1], 8
	s_delay_alu instid0(VALU_DEP_1) | instskip(NEXT) | instid1(VALU_DEP_1)
	v_mul_lo_u32 v5, v4, s8
	v_sub_nc_u32_e32 v1, v1, v5
	s_wait_kmcnt 0x0
	s_delay_alu instid0(VALU_DEP_1)
	v_mad_u32 v3, v1, s11, v3
	v_mad_u32 v2, v1, s10, v2
	v_mov_b32_e32 v1, v4
	s_cbranch_scc1 .LBB205_230
.LBB205_231:
	s_and_not1_b32 vcc_lo, exec_lo, s6
	s_cbranch_vccnz .LBB205_234
; %bb.232:
	s_clause 0x1
	s_load_b96 s[0:2], s[12:13], 0x4
	s_load_b64 s[4:5], s[12:13], 0xc4
	s_cmp_lt_u32 s30, 2
	s_wait_kmcnt 0x0
	v_mul_hi_u32 v1, s1, v0
	s_delay_alu instid0(VALU_DEP_1) | instskip(NEXT) | instid1(VALU_DEP_1)
	v_add_nc_u32_e32 v1, v0, v1
	v_lshrrev_b32_e32 v1, s2, v1
	s_delay_alu instid0(VALU_DEP_1) | instskip(NEXT) | instid1(VALU_DEP_1)
	v_mul_lo_u32 v2, v1, s0
	v_sub_nc_u32_e32 v2, v0, v2
	s_delay_alu instid0(VALU_DEP_1)
	v_mul_lo_u32 v3, v2, s5
	v_mul_lo_u32 v2, v2, s4
	s_cbranch_scc1 .LBB205_234
; %bb.233:
	s_clause 0x1
	s_load_b96 s[0:2], s[12:13], 0x10
	s_load_b64 s[4:5], s[12:13], 0xcc
	s_wait_kmcnt 0x0
	v_mul_hi_u32 v4, s1, v1
	s_delay_alu instid0(VALU_DEP_1) | instskip(NEXT) | instid1(VALU_DEP_1)
	v_add_nc_u32_e32 v4, v1, v4
	v_lshrrev_b32_e32 v4, s2, v4
	s_delay_alu instid0(VALU_DEP_1) | instskip(NEXT) | instid1(VALU_DEP_1)
	v_mul_lo_u32 v4, v4, s0
	v_sub_nc_u32_e32 v1, v1, v4
	s_delay_alu instid0(VALU_DEP_1)
	v_mad_u32 v2, v1, s4, v2
	v_mad_u32 v3, v1, s5, v3
.LBB205_234:
	v_cmp_ne_u32_e32 vcc_lo, 1, v14
	v_add_nc_u32_e32 v1, 0x80, v0
	s_cbranch_vccnz .LBB205_240
; %bb.235:
	s_cmp_lg_u32 s30, 0
	s_mov_b32 s6, 0
	s_cbranch_scc0 .LBB205_241
; %bb.236:
	s_min_u32 s1, s31, 15
	s_delay_alu instid0(SALU_CYCLE_1)
	s_add_co_i32 s1, s1, 1
	s_cmp_eq_u32 s31, 2
	s_cbranch_scc1 .LBB205_242
; %bb.237:
	v_dual_mov_b32 v4, 0 :: v_dual_mov_b32 v5, 0
	v_mov_b32_e32 v6, v1
	s_and_b32 s0, s1, 28
	s_add_nc_u64 s[2:3], s[12:13], 0xc4
	s_mov_b32 s7, 0
	s_mov_b64 s[4:5], s[12:13]
.LBB205_238:                            ; =>This Inner Loop Header: Depth=1
	s_clause 0x1
	s_load_b256 s[16:23], s[4:5], 0x4
	s_load_b128 s[8:11], s[4:5], 0x24
	s_load_b256 s[36:43], s[2:3], 0x0
	s_add_co_i32 s7, s7, 4
	s_wait_xcnt 0x0
	s_add_nc_u64 s[4:5], s[4:5], 48
	s_cmp_lg_u32 s0, s7
	s_add_nc_u64 s[2:3], s[2:3], 32
	s_wait_kmcnt 0x0
	v_mul_hi_u32 v7, s17, v6
	s_delay_alu instid0(VALU_DEP_1) | instskip(NEXT) | instid1(VALU_DEP_1)
	v_add_nc_u32_e32 v7, v6, v7
	v_lshrrev_b32_e32 v7, s18, v7
	s_delay_alu instid0(VALU_DEP_1) | instskip(NEXT) | instid1(VALU_DEP_1)
	v_mul_hi_u32 v8, s20, v7
	v_add_nc_u32_e32 v8, v7, v8
	s_delay_alu instid0(VALU_DEP_1) | instskip(NEXT) | instid1(VALU_DEP_1)
	v_lshrrev_b32_e32 v8, s21, v8
	v_mul_hi_u32 v9, s23, v8
	s_delay_alu instid0(VALU_DEP_1) | instskip(SKIP_1) | instid1(VALU_DEP_1)
	v_add_nc_u32_e32 v9, v8, v9
	v_mul_lo_u32 v10, v7, s16
	v_sub_nc_u32_e32 v6, v6, v10
	v_mul_lo_u32 v10, v8, s19
	s_delay_alu instid0(VALU_DEP_4) | instskip(NEXT) | instid1(VALU_DEP_3)
	v_lshrrev_b32_e32 v9, s8, v9
	v_mad_u32 v5, v6, s37, v5
	v_mad_u32 v4, v6, s36, v4
	s_delay_alu instid0(VALU_DEP_4) | instskip(NEXT) | instid1(VALU_DEP_4)
	v_sub_nc_u32_e32 v6, v7, v10
	v_mul_hi_u32 v11, s10, v9
	v_mul_lo_u32 v7, v9, s22
	s_delay_alu instid0(VALU_DEP_3) | instskip(SKIP_1) | instid1(VALU_DEP_4)
	v_mad_u32 v5, v6, s39, v5
	v_mad_u32 v4, v6, s38, v4
	v_add_nc_u32_e32 v10, v9, v11
	s_delay_alu instid0(VALU_DEP_1) | instskip(NEXT) | instid1(VALU_DEP_1)
	v_dual_sub_nc_u32 v7, v8, v7 :: v_dual_lshrrev_b32 v6, s11, v10
	v_mad_u32 v5, v7, s41, v5
	s_delay_alu instid0(VALU_DEP_4) | instskip(NEXT) | instid1(VALU_DEP_3)
	v_mad_u32 v4, v7, s40, v4
	v_mul_lo_u32 v8, v6, s9
	s_delay_alu instid0(VALU_DEP_1) | instskip(NEXT) | instid1(VALU_DEP_1)
	v_sub_nc_u32_e32 v7, v9, v8
	v_mad_u32 v5, v7, s43, v5
	s_delay_alu instid0(VALU_DEP_4)
	v_mad_u32 v4, v7, s42, v4
	s_cbranch_scc1 .LBB205_238
; %bb.239:
	s_and_b32 s4, s1, 3
	s_mov_b32 s1, 0
	s_cmp_eq_u32 s4, 0
	s_cbranch_scc0 .LBB205_243
	s_branch .LBB205_245
.LBB205_240:
	s_mov_b32 s6, -1
                                        ; implicit-def: $vgpr5
	s_branch .LBB205_245
.LBB205_241:
	v_dual_mov_b32 v5, 0 :: v_dual_mov_b32 v4, 0
	s_branch .LBB205_245
.LBB205_242:
	v_mov_b64_e32 v[4:5], 0
	v_mov_b32_e32 v6, v1
	s_mov_b32 s0, 0
	s_and_b32 s4, s1, 3
	s_mov_b32 s1, 0
	s_cmp_eq_u32 s4, 0
	s_cbranch_scc1 .LBB205_245
.LBB205_243:
	s_lshl_b32 s2, s0, 3
	s_mov_b32 s3, s1
	s_mul_u64 s[8:9], s[0:1], 12
	s_add_nc_u64 s[2:3], s[12:13], s[2:3]
	s_delay_alu instid0(SALU_CYCLE_1)
	s_add_nc_u64 s[0:1], s[2:3], 0xc4
	s_add_nc_u64 s[2:3], s[12:13], s[8:9]
.LBB205_244:                            ; =>This Inner Loop Header: Depth=1
	s_load_b96 s[8:10], s[2:3], 0x4
	s_add_co_i32 s4, s4, -1
	s_wait_xcnt 0x0
	s_add_nc_u64 s[2:3], s[2:3], 12
	s_cmp_lg_u32 s4, 0
	s_wait_kmcnt 0x0
	v_mul_hi_u32 v7, s9, v6
	s_delay_alu instid0(VALU_DEP_1) | instskip(NEXT) | instid1(VALU_DEP_1)
	v_add_nc_u32_e32 v7, v6, v7
	v_lshrrev_b32_e32 v7, s10, v7
	s_load_b64 s[10:11], s[0:1], 0x0
	s_wait_xcnt 0x0
	s_add_nc_u64 s[0:1], s[0:1], 8
	s_delay_alu instid0(VALU_DEP_1) | instskip(NEXT) | instid1(VALU_DEP_1)
	v_mul_lo_u32 v8, v7, s8
	v_sub_nc_u32_e32 v6, v6, v8
	s_wait_kmcnt 0x0
	s_delay_alu instid0(VALU_DEP_1)
	v_mad_u32 v5, v6, s11, v5
	v_mad_u32 v4, v6, s10, v4
	v_mov_b32_e32 v6, v7
	s_cbranch_scc1 .LBB205_244
.LBB205_245:
	s_and_not1_b32 vcc_lo, exec_lo, s6
	s_cbranch_vccnz .LBB205_248
; %bb.246:
	s_clause 0x1
	s_load_b96 s[0:2], s[12:13], 0x4
	s_load_b64 s[4:5], s[12:13], 0xc4
	s_cmp_lt_u32 s30, 2
	s_wait_kmcnt 0x0
	v_mul_hi_u32 v4, s1, v1
	s_delay_alu instid0(VALU_DEP_1) | instskip(NEXT) | instid1(VALU_DEP_1)
	v_add_nc_u32_e32 v4, v1, v4
	v_lshrrev_b32_e32 v6, s2, v4
	s_delay_alu instid0(VALU_DEP_1) | instskip(NEXT) | instid1(VALU_DEP_1)
	v_mul_lo_u32 v4, v6, s0
	v_sub_nc_u32_e32 v1, v1, v4
	s_delay_alu instid0(VALU_DEP_1)
	v_mul_lo_u32 v5, v1, s5
	v_mul_lo_u32 v4, v1, s4
	s_cbranch_scc1 .LBB205_248
; %bb.247:
	s_clause 0x1
	s_load_b96 s[0:2], s[12:13], 0x10
	s_load_b64 s[4:5], s[12:13], 0xcc
	s_wait_kmcnt 0x0
	v_mul_hi_u32 v1, s1, v6
	s_delay_alu instid0(VALU_DEP_1) | instskip(NEXT) | instid1(VALU_DEP_1)
	v_add_nc_u32_e32 v1, v6, v1
	v_lshrrev_b32_e32 v1, s2, v1
	s_delay_alu instid0(VALU_DEP_1) | instskip(NEXT) | instid1(VALU_DEP_1)
	v_mul_lo_u32 v1, v1, s0
	v_sub_nc_u32_e32 v1, v6, v1
	s_delay_alu instid0(VALU_DEP_1)
	v_mad_u32 v4, v1, s4, v4
	v_mad_u32 v5, v1, s5, v5
.LBB205_248:
	v_cmp_ne_u32_e32 vcc_lo, 1, v14
	v_add_nc_u32_e32 v1, 0x100, v0
	s_cbranch_vccnz .LBB205_254
; %bb.249:
	s_cmp_lg_u32 s30, 0
	s_mov_b32 s6, 0
	s_cbranch_scc0 .LBB205_255
; %bb.250:
	s_min_u32 s1, s31, 15
	s_delay_alu instid0(SALU_CYCLE_1)
	s_add_co_i32 s1, s1, 1
	s_cmp_eq_u32 s31, 2
	s_cbranch_scc1 .LBB205_256
; %bb.251:
	v_dual_mov_b32 v6, 0 :: v_dual_mov_b32 v7, 0
	v_mov_b32_e32 v8, v1
	s_and_b32 s0, s1, 28
	s_add_nc_u64 s[2:3], s[12:13], 0xc4
	s_mov_b32 s7, 0
	s_mov_b64 s[4:5], s[12:13]
.LBB205_252:                            ; =>This Inner Loop Header: Depth=1
	s_clause 0x1
	s_load_b256 s[16:23], s[4:5], 0x4
	s_load_b128 s[8:11], s[4:5], 0x24
	s_load_b256 s[36:43], s[2:3], 0x0
	s_add_co_i32 s7, s7, 4
	s_wait_xcnt 0x0
	s_add_nc_u64 s[4:5], s[4:5], 48
	s_cmp_lg_u32 s0, s7
	s_add_nc_u64 s[2:3], s[2:3], 32
	s_wait_kmcnt 0x0
	v_mul_hi_u32 v9, s17, v8
	s_delay_alu instid0(VALU_DEP_1) | instskip(NEXT) | instid1(VALU_DEP_1)
	v_add_nc_u32_e32 v9, v8, v9
	v_lshrrev_b32_e32 v9, s18, v9
	s_delay_alu instid0(VALU_DEP_1) | instskip(NEXT) | instid1(VALU_DEP_1)
	v_mul_hi_u32 v10, s20, v9
	v_add_nc_u32_e32 v10, v9, v10
	s_delay_alu instid0(VALU_DEP_1) | instskip(NEXT) | instid1(VALU_DEP_1)
	v_lshrrev_b32_e32 v10, s21, v10
	v_mul_hi_u32 v11, s23, v10
	s_delay_alu instid0(VALU_DEP_1) | instskip(SKIP_1) | instid1(VALU_DEP_1)
	v_add_nc_u32_e32 v11, v10, v11
	v_mul_lo_u32 v12, v9, s16
	v_sub_nc_u32_e32 v8, v8, v12
	v_mul_lo_u32 v12, v10, s19
	s_delay_alu instid0(VALU_DEP_4) | instskip(NEXT) | instid1(VALU_DEP_3)
	v_lshrrev_b32_e32 v11, s8, v11
	v_mad_u32 v7, v8, s37, v7
	v_mad_u32 v6, v8, s36, v6
	s_delay_alu instid0(VALU_DEP_4) | instskip(NEXT) | instid1(VALU_DEP_4)
	v_sub_nc_u32_e32 v8, v9, v12
	v_mul_hi_u32 v13, s10, v11
	v_mul_lo_u32 v9, v11, s22
	s_delay_alu instid0(VALU_DEP_3) | instskip(SKIP_1) | instid1(VALU_DEP_4)
	v_mad_u32 v7, v8, s39, v7
	v_mad_u32 v6, v8, s38, v6
	v_add_nc_u32_e32 v12, v11, v13
	s_delay_alu instid0(VALU_DEP_1) | instskip(NEXT) | instid1(VALU_DEP_1)
	v_dual_sub_nc_u32 v9, v10, v9 :: v_dual_lshrrev_b32 v8, s11, v12
	v_mad_u32 v7, v9, s41, v7
	s_delay_alu instid0(VALU_DEP_4) | instskip(NEXT) | instid1(VALU_DEP_3)
	v_mad_u32 v6, v9, s40, v6
	v_mul_lo_u32 v10, v8, s9
	s_delay_alu instid0(VALU_DEP_1) | instskip(NEXT) | instid1(VALU_DEP_1)
	v_sub_nc_u32_e32 v9, v11, v10
	v_mad_u32 v7, v9, s43, v7
	s_delay_alu instid0(VALU_DEP_4)
	v_mad_u32 v6, v9, s42, v6
	s_cbranch_scc1 .LBB205_252
; %bb.253:
	s_and_b32 s4, s1, 3
	s_mov_b32 s1, 0
	s_cmp_eq_u32 s4, 0
	s_cbranch_scc0 .LBB205_257
	s_branch .LBB205_259
.LBB205_254:
	s_mov_b32 s6, -1
                                        ; implicit-def: $vgpr7
	s_branch .LBB205_259
.LBB205_255:
	v_dual_mov_b32 v7, 0 :: v_dual_mov_b32 v6, 0
	s_branch .LBB205_259
.LBB205_256:
	v_mov_b64_e32 v[6:7], 0
	v_mov_b32_e32 v8, v1
	s_mov_b32 s0, 0
	s_and_b32 s4, s1, 3
	s_mov_b32 s1, 0
	s_cmp_eq_u32 s4, 0
	s_cbranch_scc1 .LBB205_259
.LBB205_257:
	s_lshl_b32 s2, s0, 3
	s_mov_b32 s3, s1
	s_mul_u64 s[8:9], s[0:1], 12
	s_add_nc_u64 s[2:3], s[12:13], s[2:3]
	s_delay_alu instid0(SALU_CYCLE_1)
	s_add_nc_u64 s[0:1], s[2:3], 0xc4
	s_add_nc_u64 s[2:3], s[12:13], s[8:9]
.LBB205_258:                            ; =>This Inner Loop Header: Depth=1
	s_load_b96 s[8:10], s[2:3], 0x4
	s_add_co_i32 s4, s4, -1
	s_wait_xcnt 0x0
	s_add_nc_u64 s[2:3], s[2:3], 12
	s_cmp_lg_u32 s4, 0
	s_wait_kmcnt 0x0
	v_mul_hi_u32 v9, s9, v8
	s_delay_alu instid0(VALU_DEP_1) | instskip(NEXT) | instid1(VALU_DEP_1)
	v_add_nc_u32_e32 v9, v8, v9
	v_lshrrev_b32_e32 v9, s10, v9
	s_load_b64 s[10:11], s[0:1], 0x0
	s_wait_xcnt 0x0
	s_add_nc_u64 s[0:1], s[0:1], 8
	s_delay_alu instid0(VALU_DEP_1) | instskip(NEXT) | instid1(VALU_DEP_1)
	v_mul_lo_u32 v10, v9, s8
	v_sub_nc_u32_e32 v8, v8, v10
	s_wait_kmcnt 0x0
	s_delay_alu instid0(VALU_DEP_1)
	v_mad_u32 v7, v8, s11, v7
	v_mad_u32 v6, v8, s10, v6
	v_mov_b32_e32 v8, v9
	s_cbranch_scc1 .LBB205_258
.LBB205_259:
	s_and_not1_b32 vcc_lo, exec_lo, s6
	s_cbranch_vccnz .LBB205_262
; %bb.260:
	s_clause 0x1
	s_load_b96 s[0:2], s[12:13], 0x4
	s_load_b64 s[4:5], s[12:13], 0xc4
	s_cmp_lt_u32 s30, 2
	s_wait_kmcnt 0x0
	v_mul_hi_u32 v6, s1, v1
	s_delay_alu instid0(VALU_DEP_1) | instskip(NEXT) | instid1(VALU_DEP_1)
	v_add_nc_u32_e32 v6, v1, v6
	v_lshrrev_b32_e32 v8, s2, v6
	s_delay_alu instid0(VALU_DEP_1) | instskip(NEXT) | instid1(VALU_DEP_1)
	v_mul_lo_u32 v6, v8, s0
	v_sub_nc_u32_e32 v1, v1, v6
	s_delay_alu instid0(VALU_DEP_1)
	v_mul_lo_u32 v7, v1, s5
	v_mul_lo_u32 v6, v1, s4
	s_cbranch_scc1 .LBB205_262
; %bb.261:
	s_clause 0x1
	s_load_b96 s[0:2], s[12:13], 0x10
	s_load_b64 s[4:5], s[12:13], 0xcc
	s_wait_kmcnt 0x0
	v_mul_hi_u32 v1, s1, v8
	s_delay_alu instid0(VALU_DEP_1) | instskip(NEXT) | instid1(VALU_DEP_1)
	v_add_nc_u32_e32 v1, v8, v1
	v_lshrrev_b32_e32 v1, s2, v1
	s_delay_alu instid0(VALU_DEP_1) | instskip(NEXT) | instid1(VALU_DEP_1)
	v_mul_lo_u32 v1, v1, s0
	v_sub_nc_u32_e32 v1, v8, v1
	s_delay_alu instid0(VALU_DEP_1)
	v_mad_u32 v6, v1, s4, v6
	v_mad_u32 v7, v1, s5, v7
.LBB205_262:
	v_cmp_ne_u32_e32 vcc_lo, 1, v14
	v_add_nc_u32_e32 v1, 0x180, v0
	s_cbranch_vccnz .LBB205_268
; %bb.263:
	s_cmp_lg_u32 s30, 0
	s_mov_b32 s6, 0
	s_cbranch_scc0 .LBB205_269
; %bb.264:
	s_min_u32 s1, s31, 15
	s_delay_alu instid0(SALU_CYCLE_1)
	s_add_co_i32 s1, s1, 1
	s_cmp_eq_u32 s31, 2
	s_cbranch_scc1 .LBB205_270
; %bb.265:
	v_dual_mov_b32 v8, 0 :: v_dual_mov_b32 v9, 0
	v_mov_b32_e32 v10, v1
	s_and_b32 s0, s1, 28
	s_add_nc_u64 s[2:3], s[12:13], 0xc4
	s_mov_b32 s7, 0
	s_mov_b64 s[4:5], s[12:13]
.LBB205_266:                            ; =>This Inner Loop Header: Depth=1
	s_clause 0x1
	s_load_b256 s[16:23], s[4:5], 0x4
	s_load_b128 s[8:11], s[4:5], 0x24
	s_load_b256 s[36:43], s[2:3], 0x0
	s_add_co_i32 s7, s7, 4
	s_wait_xcnt 0x0
	s_add_nc_u64 s[4:5], s[4:5], 48
	s_cmp_lg_u32 s0, s7
	s_add_nc_u64 s[2:3], s[2:3], 32
	s_wait_kmcnt 0x0
	v_mul_hi_u32 v11, s17, v10
	s_delay_alu instid0(VALU_DEP_1) | instskip(NEXT) | instid1(VALU_DEP_1)
	v_add_nc_u32_e32 v11, v10, v11
	v_lshrrev_b32_e32 v11, s18, v11
	s_delay_alu instid0(VALU_DEP_1) | instskip(NEXT) | instid1(VALU_DEP_1)
	v_mul_hi_u32 v12, s20, v11
	v_add_nc_u32_e32 v12, v11, v12
	s_delay_alu instid0(VALU_DEP_1) | instskip(NEXT) | instid1(VALU_DEP_1)
	v_lshrrev_b32_e32 v12, s21, v12
	v_mul_hi_u32 v13, s23, v12
	s_delay_alu instid0(VALU_DEP_1) | instskip(SKIP_1) | instid1(VALU_DEP_1)
	v_add_nc_u32_e32 v13, v12, v13
	v_mul_lo_u32 v15, v11, s16
	v_sub_nc_u32_e32 v10, v10, v15
	v_mul_lo_u32 v15, v12, s19
	s_delay_alu instid0(VALU_DEP_4) | instskip(NEXT) | instid1(VALU_DEP_3)
	v_lshrrev_b32_e32 v13, s8, v13
	v_mad_u32 v9, v10, s37, v9
	v_mad_u32 v8, v10, s36, v8
	s_delay_alu instid0(VALU_DEP_4) | instskip(NEXT) | instid1(VALU_DEP_4)
	v_sub_nc_u32_e32 v10, v11, v15
	v_mul_hi_u32 v17, s10, v13
	v_mul_lo_u32 v11, v13, s22
	s_delay_alu instid0(VALU_DEP_3) | instskip(SKIP_1) | instid1(VALU_DEP_3)
	v_mad_u32 v9, v10, s39, v9
	v_mad_u32 v8, v10, s38, v8
	v_dual_add_nc_u32 v15, v13, v17 :: v_dual_sub_nc_u32 v11, v12, v11
	s_delay_alu instid0(VALU_DEP_1) | instskip(NEXT) | instid1(VALU_DEP_2)
	v_lshrrev_b32_e32 v10, s11, v15
	v_mad_u32 v9, v11, s41, v9
	s_delay_alu instid0(VALU_DEP_4) | instskip(NEXT) | instid1(VALU_DEP_3)
	v_mad_u32 v8, v11, s40, v8
	v_mul_lo_u32 v12, v10, s9
	s_delay_alu instid0(VALU_DEP_1) | instskip(NEXT) | instid1(VALU_DEP_1)
	v_sub_nc_u32_e32 v11, v13, v12
	v_mad_u32 v9, v11, s43, v9
	s_delay_alu instid0(VALU_DEP_4)
	v_mad_u32 v8, v11, s42, v8
	s_cbranch_scc1 .LBB205_266
; %bb.267:
	s_and_b32 s4, s1, 3
	s_mov_b32 s1, 0
	s_cmp_eq_u32 s4, 0
	s_cbranch_scc0 .LBB205_271
	s_branch .LBB205_273
.LBB205_268:
	s_mov_b32 s6, -1
                                        ; implicit-def: $vgpr9
	s_branch .LBB205_273
.LBB205_269:
	v_dual_mov_b32 v9, 0 :: v_dual_mov_b32 v8, 0
	s_branch .LBB205_273
.LBB205_270:
	v_mov_b64_e32 v[8:9], 0
	v_mov_b32_e32 v10, v1
	s_mov_b32 s0, 0
	s_and_b32 s4, s1, 3
	s_mov_b32 s1, 0
	s_cmp_eq_u32 s4, 0
	s_cbranch_scc1 .LBB205_273
.LBB205_271:
	s_lshl_b32 s2, s0, 3
	s_mov_b32 s3, s1
	s_mul_u64 s[8:9], s[0:1], 12
	s_add_nc_u64 s[2:3], s[12:13], s[2:3]
	s_delay_alu instid0(SALU_CYCLE_1)
	s_add_nc_u64 s[0:1], s[2:3], 0xc4
	s_add_nc_u64 s[2:3], s[12:13], s[8:9]
.LBB205_272:                            ; =>This Inner Loop Header: Depth=1
	s_load_b96 s[8:10], s[2:3], 0x4
	s_add_co_i32 s4, s4, -1
	s_wait_xcnt 0x0
	s_add_nc_u64 s[2:3], s[2:3], 12
	s_cmp_lg_u32 s4, 0
	s_wait_kmcnt 0x0
	v_mul_hi_u32 v11, s9, v10
	s_delay_alu instid0(VALU_DEP_1) | instskip(NEXT) | instid1(VALU_DEP_1)
	v_add_nc_u32_e32 v11, v10, v11
	v_lshrrev_b32_e32 v11, s10, v11
	s_load_b64 s[10:11], s[0:1], 0x0
	s_wait_xcnt 0x0
	s_add_nc_u64 s[0:1], s[0:1], 8
	s_delay_alu instid0(VALU_DEP_1) | instskip(NEXT) | instid1(VALU_DEP_1)
	v_mul_lo_u32 v12, v11, s8
	v_sub_nc_u32_e32 v10, v10, v12
	s_wait_kmcnt 0x0
	s_delay_alu instid0(VALU_DEP_1)
	v_mad_u32 v9, v10, s11, v9
	v_mad_u32 v8, v10, s10, v8
	v_mov_b32_e32 v10, v11
	s_cbranch_scc1 .LBB205_272
.LBB205_273:
	s_and_not1_b32 vcc_lo, exec_lo, s6
	s_cbranch_vccnz .LBB205_276
; %bb.274:
	s_clause 0x1
	s_load_b96 s[0:2], s[12:13], 0x4
	s_load_b64 s[4:5], s[12:13], 0xc4
	s_cmp_lt_u32 s30, 2
	s_wait_kmcnt 0x0
	v_mul_hi_u32 v8, s1, v1
	s_delay_alu instid0(VALU_DEP_1) | instskip(NEXT) | instid1(VALU_DEP_1)
	v_add_nc_u32_e32 v8, v1, v8
	v_lshrrev_b32_e32 v10, s2, v8
	s_delay_alu instid0(VALU_DEP_1) | instskip(NEXT) | instid1(VALU_DEP_1)
	v_mul_lo_u32 v8, v10, s0
	v_sub_nc_u32_e32 v1, v1, v8
	s_delay_alu instid0(VALU_DEP_1)
	v_mul_lo_u32 v9, v1, s5
	v_mul_lo_u32 v8, v1, s4
	s_cbranch_scc1 .LBB205_276
; %bb.275:
	s_clause 0x1
	s_load_b96 s[0:2], s[12:13], 0x10
	s_load_b64 s[4:5], s[12:13], 0xcc
	s_wait_kmcnt 0x0
	v_mul_hi_u32 v1, s1, v10
	s_delay_alu instid0(VALU_DEP_1) | instskip(NEXT) | instid1(VALU_DEP_1)
	v_add_nc_u32_e32 v1, v10, v1
	v_lshrrev_b32_e32 v1, s2, v1
	s_delay_alu instid0(VALU_DEP_1) | instskip(NEXT) | instid1(VALU_DEP_1)
	v_mul_lo_u32 v1, v1, s0
	v_sub_nc_u32_e32 v1, v10, v1
	s_delay_alu instid0(VALU_DEP_1)
	v_mad_u32 v8, v1, s4, v8
	v_mad_u32 v9, v1, s5, v9
.LBB205_276:
	v_cmp_ne_u32_e32 vcc_lo, 1, v14
	v_add_nc_u32_e32 v1, 0x200, v0
	s_cbranch_vccnz .LBB205_282
; %bb.277:
	s_cmp_lg_u32 s30, 0
	s_mov_b32 s6, 0
	s_cbranch_scc0 .LBB205_283
; %bb.278:
	s_min_u32 s1, s31, 15
	s_delay_alu instid0(SALU_CYCLE_1)
	s_add_co_i32 s1, s1, 1
	s_cmp_eq_u32 s31, 2
	s_cbranch_scc1 .LBB205_284
; %bb.279:
	v_dual_mov_b32 v10, 0 :: v_dual_mov_b32 v11, 0
	v_mov_b32_e32 v12, v1
	s_and_b32 s0, s1, 28
	s_add_nc_u64 s[2:3], s[12:13], 0xc4
	s_mov_b32 s7, 0
	s_mov_b64 s[4:5], s[12:13]
.LBB205_280:                            ; =>This Inner Loop Header: Depth=1
	s_clause 0x1
	s_load_b256 s[16:23], s[4:5], 0x4
	s_load_b128 s[8:11], s[4:5], 0x24
	s_load_b256 s[36:43], s[2:3], 0x0
	s_add_co_i32 s7, s7, 4
	s_wait_xcnt 0x0
	s_add_nc_u64 s[4:5], s[4:5], 48
	s_cmp_lg_u32 s0, s7
	s_add_nc_u64 s[2:3], s[2:3], 32
	s_wait_kmcnt 0x0
	v_mul_hi_u32 v13, s17, v12
	s_delay_alu instid0(VALU_DEP_1) | instskip(NEXT) | instid1(VALU_DEP_1)
	v_add_nc_u32_e32 v13, v12, v13
	v_lshrrev_b32_e32 v13, s18, v13
	s_delay_alu instid0(VALU_DEP_1) | instskip(NEXT) | instid1(VALU_DEP_1)
	v_mul_lo_u32 v18, v13, s16
	v_sub_nc_u32_e32 v12, v12, v18
	v_mul_hi_u32 v15, s20, v13
	s_delay_alu instid0(VALU_DEP_2) | instskip(SKIP_1) | instid1(VALU_DEP_3)
	v_mad_u32 v11, v12, s37, v11
	v_mad_u32 v10, v12, s36, v10
	v_add_nc_u32_e32 v15, v13, v15
	s_delay_alu instid0(VALU_DEP_1) | instskip(NEXT) | instid1(VALU_DEP_1)
	v_lshrrev_b32_e32 v15, s21, v15
	v_mul_hi_u32 v17, s23, v15
	v_mul_lo_u32 v18, v15, s19
	s_delay_alu instid0(VALU_DEP_1) | instskip(NEXT) | instid1(VALU_DEP_1)
	v_dual_add_nc_u32 v17, v15, v17 :: v_dual_sub_nc_u32 v12, v13, v18
	v_lshrrev_b32_e32 v17, s8, v17
	s_delay_alu instid0(VALU_DEP_2) | instskip(SKIP_1) | instid1(VALU_DEP_3)
	v_mad_u32 v11, v12, s39, v11
	v_mad_u32 v10, v12, s38, v10
	v_mul_hi_u32 v19, s10, v17
	v_mul_lo_u32 v13, v17, s22
	s_delay_alu instid0(VALU_DEP_1) | instskip(NEXT) | instid1(VALU_DEP_1)
	v_dual_add_nc_u32 v18, v17, v19 :: v_dual_sub_nc_u32 v13, v15, v13
	v_lshrrev_b32_e32 v12, s11, v18
	s_delay_alu instid0(VALU_DEP_2) | instskip(SKIP_1) | instid1(VALU_DEP_3)
	v_mad_u32 v11, v13, s41, v11
	v_mad_u32 v10, v13, s40, v10
	v_mul_lo_u32 v15, v12, s9
	s_delay_alu instid0(VALU_DEP_1) | instskip(NEXT) | instid1(VALU_DEP_1)
	v_sub_nc_u32_e32 v13, v17, v15
	v_mad_u32 v11, v13, s43, v11
	s_delay_alu instid0(VALU_DEP_4)
	v_mad_u32 v10, v13, s42, v10
	s_cbranch_scc1 .LBB205_280
; %bb.281:
	s_and_b32 s4, s1, 3
	s_mov_b32 s1, 0
	s_cmp_eq_u32 s4, 0
	s_cbranch_scc0 .LBB205_285
	s_branch .LBB205_287
.LBB205_282:
	s_mov_b32 s6, -1
                                        ; implicit-def: $vgpr11
	s_branch .LBB205_287
.LBB205_283:
	v_dual_mov_b32 v11, 0 :: v_dual_mov_b32 v10, 0
	s_branch .LBB205_287
.LBB205_284:
	v_mov_b64_e32 v[10:11], 0
	v_mov_b32_e32 v12, v1
	s_mov_b32 s0, 0
	s_and_b32 s4, s1, 3
	s_mov_b32 s1, 0
	s_cmp_eq_u32 s4, 0
	s_cbranch_scc1 .LBB205_287
.LBB205_285:
	s_lshl_b32 s2, s0, 3
	s_mov_b32 s3, s1
	s_mul_u64 s[8:9], s[0:1], 12
	s_add_nc_u64 s[2:3], s[12:13], s[2:3]
	s_delay_alu instid0(SALU_CYCLE_1)
	s_add_nc_u64 s[0:1], s[2:3], 0xc4
	s_add_nc_u64 s[2:3], s[12:13], s[8:9]
.LBB205_286:                            ; =>This Inner Loop Header: Depth=1
	s_load_b96 s[8:10], s[2:3], 0x4
	s_add_co_i32 s4, s4, -1
	s_wait_xcnt 0x0
	s_add_nc_u64 s[2:3], s[2:3], 12
	s_cmp_lg_u32 s4, 0
	s_wait_kmcnt 0x0
	v_mul_hi_u32 v13, s9, v12
	s_delay_alu instid0(VALU_DEP_1) | instskip(NEXT) | instid1(VALU_DEP_1)
	v_add_nc_u32_e32 v13, v12, v13
	v_lshrrev_b32_e32 v13, s10, v13
	s_load_b64 s[10:11], s[0:1], 0x0
	s_wait_xcnt 0x0
	s_add_nc_u64 s[0:1], s[0:1], 8
	s_delay_alu instid0(VALU_DEP_1) | instskip(NEXT) | instid1(VALU_DEP_1)
	v_mul_lo_u32 v15, v13, s8
	v_sub_nc_u32_e32 v12, v12, v15
	s_wait_kmcnt 0x0
	s_delay_alu instid0(VALU_DEP_1)
	v_mad_u32 v11, v12, s11, v11
	v_mad_u32 v10, v12, s10, v10
	v_mov_b32_e32 v12, v13
	s_cbranch_scc1 .LBB205_286
.LBB205_287:
	s_and_not1_b32 vcc_lo, exec_lo, s6
	s_cbranch_vccnz .LBB205_290
; %bb.288:
	s_clause 0x1
	s_load_b96 s[0:2], s[12:13], 0x4
	s_load_b64 s[4:5], s[12:13], 0xc4
	s_cmp_lt_u32 s30, 2
	s_wait_kmcnt 0x0
	v_mul_hi_u32 v10, s1, v1
	s_delay_alu instid0(VALU_DEP_1) | instskip(NEXT) | instid1(VALU_DEP_1)
	v_add_nc_u32_e32 v10, v1, v10
	v_lshrrev_b32_e32 v12, s2, v10
	s_delay_alu instid0(VALU_DEP_1) | instskip(NEXT) | instid1(VALU_DEP_1)
	v_mul_lo_u32 v10, v12, s0
	v_sub_nc_u32_e32 v1, v1, v10
	s_delay_alu instid0(VALU_DEP_1)
	v_mul_lo_u32 v11, v1, s5
	v_mul_lo_u32 v10, v1, s4
	s_cbranch_scc1 .LBB205_290
; %bb.289:
	s_clause 0x1
	s_load_b96 s[0:2], s[12:13], 0x10
	s_load_b64 s[4:5], s[12:13], 0xcc
	s_wait_kmcnt 0x0
	v_mul_hi_u32 v1, s1, v12
	s_delay_alu instid0(VALU_DEP_1) | instskip(NEXT) | instid1(VALU_DEP_1)
	v_add_nc_u32_e32 v1, v12, v1
	v_lshrrev_b32_e32 v1, s2, v1
	s_delay_alu instid0(VALU_DEP_1) | instskip(NEXT) | instid1(VALU_DEP_1)
	v_mul_lo_u32 v1, v1, s0
	v_sub_nc_u32_e32 v1, v12, v1
	s_delay_alu instid0(VALU_DEP_1)
	v_mad_u32 v10, v1, s4, v10
	v_mad_u32 v11, v1, s5, v11
.LBB205_290:
	v_cmp_ne_u32_e32 vcc_lo, 1, v14
	v_add_nc_u32_e32 v1, 0x280, v0
	s_cbranch_vccnz .LBB205_296
; %bb.291:
	s_cmp_lg_u32 s30, 0
	s_mov_b32 s6, 0
	s_cbranch_scc0 .LBB205_297
; %bb.292:
	s_min_u32 s1, s31, 15
	s_delay_alu instid0(SALU_CYCLE_1)
	s_add_co_i32 s1, s1, 1
	s_cmp_eq_u32 s31, 2
	s_cbranch_scc1 .LBB205_298
; %bb.293:
	v_dual_mov_b32 v12, 0 :: v_dual_mov_b32 v13, 0
	v_mov_b32_e32 v15, v1
	s_and_b32 s0, s1, 28
	s_add_nc_u64 s[2:3], s[12:13], 0xc4
	s_mov_b32 s7, 0
	s_mov_b64 s[4:5], s[12:13]
.LBB205_294:                            ; =>This Inner Loop Header: Depth=1
	s_clause 0x1
	s_load_b256 s[16:23], s[4:5], 0x4
	s_load_b128 s[8:11], s[4:5], 0x24
	s_load_b256 s[36:43], s[2:3], 0x0
	s_add_co_i32 s7, s7, 4
	s_wait_xcnt 0x0
	s_add_nc_u64 s[4:5], s[4:5], 48
	s_cmp_lg_u32 s0, s7
	s_add_nc_u64 s[2:3], s[2:3], 32
	s_wait_kmcnt 0x0
	v_mul_hi_u32 v17, s17, v15
	s_delay_alu instid0(VALU_DEP_1) | instskip(NEXT) | instid1(VALU_DEP_1)
	v_add_nc_u32_e32 v17, v15, v17
	v_lshrrev_b32_e32 v17, s18, v17
	s_delay_alu instid0(VALU_DEP_1) | instskip(NEXT) | instid1(VALU_DEP_1)
	v_mul_hi_u32 v18, s20, v17
	v_add_nc_u32_e32 v18, v17, v18
	s_delay_alu instid0(VALU_DEP_1) | instskip(NEXT) | instid1(VALU_DEP_1)
	v_lshrrev_b32_e32 v18, s21, v18
	v_mul_hi_u32 v19, s23, v18
	s_delay_alu instid0(VALU_DEP_1) | instskip(SKIP_1) | instid1(VALU_DEP_1)
	v_add_nc_u32_e32 v19, v18, v19
	v_mul_lo_u32 v20, v17, s16
	v_sub_nc_u32_e32 v15, v15, v20
	v_mul_lo_u32 v20, v18, s19
	s_delay_alu instid0(VALU_DEP_4) | instskip(NEXT) | instid1(VALU_DEP_3)
	v_lshrrev_b32_e32 v19, s8, v19
	v_mad_u32 v13, v15, s37, v13
	v_mad_u32 v12, v15, s36, v12
	s_delay_alu instid0(VALU_DEP_4) | instskip(NEXT) | instid1(VALU_DEP_4)
	v_sub_nc_u32_e32 v15, v17, v20
	v_mul_hi_u32 v21, s10, v19
	v_mul_lo_u32 v17, v19, s22
	s_delay_alu instid0(VALU_DEP_3) | instskip(SKIP_1) | instid1(VALU_DEP_4)
	v_mad_u32 v13, v15, s39, v13
	v_mad_u32 v12, v15, s38, v12
	v_add_nc_u32_e32 v20, v19, v21
	s_delay_alu instid0(VALU_DEP_1) | instskip(NEXT) | instid1(VALU_DEP_1)
	v_dual_sub_nc_u32 v17, v18, v17 :: v_dual_lshrrev_b32 v15, s11, v20
	v_mad_u32 v13, v17, s41, v13
	s_delay_alu instid0(VALU_DEP_4) | instskip(NEXT) | instid1(VALU_DEP_3)
	v_mad_u32 v12, v17, s40, v12
	v_mul_lo_u32 v18, v15, s9
	s_delay_alu instid0(VALU_DEP_1) | instskip(NEXT) | instid1(VALU_DEP_1)
	v_sub_nc_u32_e32 v17, v19, v18
	v_mad_u32 v13, v17, s43, v13
	s_delay_alu instid0(VALU_DEP_4)
	v_mad_u32 v12, v17, s42, v12
	s_cbranch_scc1 .LBB205_294
; %bb.295:
	s_and_b32 s4, s1, 3
	s_mov_b32 s1, 0
	s_cmp_eq_u32 s4, 0
	s_cbranch_scc0 .LBB205_299
	s_branch .LBB205_301
.LBB205_296:
	s_mov_b32 s6, -1
                                        ; implicit-def: $vgpr13
	s_branch .LBB205_301
.LBB205_297:
	v_dual_mov_b32 v13, 0 :: v_dual_mov_b32 v12, 0
	s_branch .LBB205_301
.LBB205_298:
	v_mov_b64_e32 v[12:13], 0
	v_mov_b32_e32 v15, v1
	s_mov_b32 s0, 0
	s_and_b32 s4, s1, 3
	s_mov_b32 s1, 0
	s_cmp_eq_u32 s4, 0
	s_cbranch_scc1 .LBB205_301
.LBB205_299:
	s_lshl_b32 s2, s0, 3
	s_mov_b32 s3, s1
	s_mul_u64 s[8:9], s[0:1], 12
	s_add_nc_u64 s[2:3], s[12:13], s[2:3]
	s_delay_alu instid0(SALU_CYCLE_1)
	s_add_nc_u64 s[0:1], s[2:3], 0xc4
	s_add_nc_u64 s[2:3], s[12:13], s[8:9]
.LBB205_300:                            ; =>This Inner Loop Header: Depth=1
	s_load_b96 s[8:10], s[2:3], 0x4
	s_add_co_i32 s4, s4, -1
	s_wait_xcnt 0x0
	s_add_nc_u64 s[2:3], s[2:3], 12
	s_cmp_lg_u32 s4, 0
	s_wait_kmcnt 0x0
	v_mul_hi_u32 v17, s9, v15
	s_delay_alu instid0(VALU_DEP_1) | instskip(NEXT) | instid1(VALU_DEP_1)
	v_add_nc_u32_e32 v17, v15, v17
	v_lshrrev_b32_e32 v17, s10, v17
	s_load_b64 s[10:11], s[0:1], 0x0
	s_wait_xcnt 0x0
	s_add_nc_u64 s[0:1], s[0:1], 8
	s_delay_alu instid0(VALU_DEP_1) | instskip(NEXT) | instid1(VALU_DEP_1)
	v_mul_lo_u32 v18, v17, s8
	v_sub_nc_u32_e32 v15, v15, v18
	s_wait_kmcnt 0x0
	s_delay_alu instid0(VALU_DEP_1)
	v_mad_u32 v13, v15, s11, v13
	v_mad_u32 v12, v15, s10, v12
	v_mov_b32_e32 v15, v17
	s_cbranch_scc1 .LBB205_300
.LBB205_301:
	s_and_not1_b32 vcc_lo, exec_lo, s6
	s_cbranch_vccnz .LBB205_304
; %bb.302:
	s_clause 0x1
	s_load_b96 s[0:2], s[12:13], 0x4
	s_load_b64 s[4:5], s[12:13], 0xc4
	s_cmp_lt_u32 s30, 2
	s_wait_kmcnt 0x0
	v_mul_hi_u32 v12, s1, v1
	s_delay_alu instid0(VALU_DEP_1) | instskip(NEXT) | instid1(VALU_DEP_1)
	v_add_nc_u32_e32 v12, v1, v12
	v_lshrrev_b32_e32 v15, s2, v12
	s_delay_alu instid0(VALU_DEP_1) | instskip(NEXT) | instid1(VALU_DEP_1)
	v_mul_lo_u32 v12, v15, s0
	v_sub_nc_u32_e32 v1, v1, v12
	s_delay_alu instid0(VALU_DEP_1)
	v_mul_lo_u32 v13, v1, s5
	v_mul_lo_u32 v12, v1, s4
	s_cbranch_scc1 .LBB205_304
; %bb.303:
	s_clause 0x1
	s_load_b96 s[0:2], s[12:13], 0x10
	s_load_b64 s[4:5], s[12:13], 0xcc
	s_wait_kmcnt 0x0
	v_mul_hi_u32 v1, s1, v15
	s_delay_alu instid0(VALU_DEP_1) | instskip(NEXT) | instid1(VALU_DEP_1)
	v_add_nc_u32_e32 v1, v15, v1
	v_lshrrev_b32_e32 v1, s2, v1
	s_delay_alu instid0(VALU_DEP_1) | instskip(NEXT) | instid1(VALU_DEP_1)
	v_mul_lo_u32 v1, v1, s0
	v_sub_nc_u32_e32 v1, v15, v1
	s_delay_alu instid0(VALU_DEP_1)
	v_mad_u32 v12, v1, s4, v12
	v_mad_u32 v13, v1, s5, v13
.LBB205_304:
	v_cmp_ne_u32_e32 vcc_lo, 1, v14
	v_add_nc_u32_e32 v15, 0x300, v0
	s_cbranch_vccnz .LBB205_310
; %bb.305:
	s_cmp_lg_u32 s30, 0
	s_mov_b32 s6, 0
	s_cbranch_scc0 .LBB205_311
; %bb.306:
	s_min_u32 s1, s31, 15
	s_delay_alu instid0(SALU_CYCLE_1)
	s_add_co_i32 s1, s1, 1
	s_cmp_eq_u32 s31, 2
	s_cbranch_scc1 .LBB205_312
; %bb.307:
	v_dual_mov_b32 v0, 0 :: v_dual_mov_b32 v1, 0
	v_mov_b32_e32 v17, v15
	s_and_b32 s0, s1, 28
	s_add_nc_u64 s[2:3], s[12:13], 0xc4
	s_mov_b32 s7, 0
	s_mov_b64 s[4:5], s[12:13]
.LBB205_308:                            ; =>This Inner Loop Header: Depth=1
	s_clause 0x1
	s_load_b256 s[16:23], s[4:5], 0x4
	s_load_b128 s[8:11], s[4:5], 0x24
	s_load_b256 s[36:43], s[2:3], 0x0
	s_add_co_i32 s7, s7, 4
	s_wait_xcnt 0x0
	s_add_nc_u64 s[4:5], s[4:5], 48
	s_cmp_lg_u32 s0, s7
	s_add_nc_u64 s[2:3], s[2:3], 32
	s_wait_kmcnt 0x0
	v_mul_hi_u32 v18, s17, v17
	s_delay_alu instid0(VALU_DEP_1) | instskip(NEXT) | instid1(VALU_DEP_1)
	v_add_nc_u32_e32 v18, v17, v18
	v_lshrrev_b32_e32 v18, s18, v18
	s_delay_alu instid0(VALU_DEP_1) | instskip(NEXT) | instid1(VALU_DEP_1)
	v_mul_hi_u32 v19, s20, v18
	v_add_nc_u32_e32 v19, v18, v19
	s_delay_alu instid0(VALU_DEP_1) | instskip(NEXT) | instid1(VALU_DEP_1)
	v_lshrrev_b32_e32 v19, s21, v19
	v_mul_hi_u32 v20, s23, v19
	s_delay_alu instid0(VALU_DEP_1) | instskip(SKIP_1) | instid1(VALU_DEP_1)
	v_add_nc_u32_e32 v20, v19, v20
	v_mul_lo_u32 v21, v18, s16
	v_sub_nc_u32_e32 v17, v17, v21
	v_mul_lo_u32 v21, v19, s19
	s_delay_alu instid0(VALU_DEP_4) | instskip(NEXT) | instid1(VALU_DEP_3)
	v_lshrrev_b32_e32 v20, s8, v20
	v_mad_u32 v1, v17, s37, v1
	v_mad_u32 v0, v17, s36, v0
	s_delay_alu instid0(VALU_DEP_4) | instskip(NEXT) | instid1(VALU_DEP_4)
	v_sub_nc_u32_e32 v17, v18, v21
	v_mul_hi_u32 v22, s10, v20
	v_mul_lo_u32 v18, v20, s22
	s_delay_alu instid0(VALU_DEP_3) | instskip(SKIP_1) | instid1(VALU_DEP_4)
	v_mad_u32 v1, v17, s39, v1
	v_mad_u32 v0, v17, s38, v0
	v_add_nc_u32_e32 v21, v20, v22
	s_delay_alu instid0(VALU_DEP_1) | instskip(NEXT) | instid1(VALU_DEP_1)
	v_dual_sub_nc_u32 v18, v19, v18 :: v_dual_lshrrev_b32 v17, s11, v21
	v_mad_u32 v1, v18, s41, v1
	s_delay_alu instid0(VALU_DEP_4) | instskip(NEXT) | instid1(VALU_DEP_3)
	v_mad_u32 v0, v18, s40, v0
	v_mul_lo_u32 v19, v17, s9
	s_delay_alu instid0(VALU_DEP_1) | instskip(NEXT) | instid1(VALU_DEP_1)
	v_sub_nc_u32_e32 v18, v20, v19
	v_mad_u32 v1, v18, s43, v1
	s_delay_alu instid0(VALU_DEP_4)
	v_mad_u32 v0, v18, s42, v0
	s_cbranch_scc1 .LBB205_308
; %bb.309:
	s_and_b32 s4, s1, 3
	s_mov_b32 s1, 0
	s_cmp_eq_u32 s4, 0
	s_cbranch_scc0 .LBB205_313
	s_branch .LBB205_315
.LBB205_310:
	s_mov_b32 s6, -1
                                        ; implicit-def: $vgpr1
	s_branch .LBB205_315
.LBB205_311:
	v_dual_mov_b32 v1, 0 :: v_dual_mov_b32 v0, 0
	s_branch .LBB205_315
.LBB205_312:
	v_mov_b64_e32 v[0:1], 0
	v_mov_b32_e32 v17, v15
	s_mov_b32 s0, 0
	s_and_b32 s4, s1, 3
	s_mov_b32 s1, 0
	s_cmp_eq_u32 s4, 0
	s_cbranch_scc1 .LBB205_315
.LBB205_313:
	s_lshl_b32 s2, s0, 3
	s_mov_b32 s3, s1
	s_mul_u64 s[8:9], s[0:1], 12
	s_add_nc_u64 s[2:3], s[12:13], s[2:3]
	s_delay_alu instid0(SALU_CYCLE_1)
	s_add_nc_u64 s[0:1], s[2:3], 0xc4
	s_add_nc_u64 s[2:3], s[12:13], s[8:9]
.LBB205_314:                            ; =>This Inner Loop Header: Depth=1
	s_load_b96 s[8:10], s[2:3], 0x4
	s_add_co_i32 s4, s4, -1
	s_wait_xcnt 0x0
	s_add_nc_u64 s[2:3], s[2:3], 12
	s_cmp_lg_u32 s4, 0
	s_wait_kmcnt 0x0
	v_mul_hi_u32 v18, s9, v17
	s_delay_alu instid0(VALU_DEP_1) | instskip(NEXT) | instid1(VALU_DEP_1)
	v_add_nc_u32_e32 v18, v17, v18
	v_lshrrev_b32_e32 v18, s10, v18
	s_load_b64 s[10:11], s[0:1], 0x0
	s_wait_xcnt 0x0
	s_add_nc_u64 s[0:1], s[0:1], 8
	s_delay_alu instid0(VALU_DEP_1) | instskip(NEXT) | instid1(VALU_DEP_1)
	v_mul_lo_u32 v19, v18, s8
	v_sub_nc_u32_e32 v17, v17, v19
	s_wait_kmcnt 0x0
	s_delay_alu instid0(VALU_DEP_1)
	v_mad_u32 v1, v17, s11, v1
	v_mad_u32 v0, v17, s10, v0
	v_mov_b32_e32 v17, v18
	s_cbranch_scc1 .LBB205_314
.LBB205_315:
	s_and_not1_b32 vcc_lo, exec_lo, s6
	s_cbranch_vccnz .LBB205_318
; %bb.316:
	s_clause 0x1
	s_load_b96 s[0:2], s[12:13], 0x4
	s_load_b64 s[4:5], s[12:13], 0xc4
	s_cmp_lt_u32 s30, 2
	s_wait_kmcnt 0x0
	v_mul_hi_u32 v0, s1, v15
	s_delay_alu instid0(VALU_DEP_1) | instskip(NEXT) | instid1(VALU_DEP_1)
	v_add_nc_u32_e32 v0, v15, v0
	v_lshrrev_b32_e32 v17, s2, v0
	s_delay_alu instid0(VALU_DEP_1) | instskip(NEXT) | instid1(VALU_DEP_1)
	v_mul_lo_u32 v0, v17, s0
	v_sub_nc_u32_e32 v0, v15, v0
	s_delay_alu instid0(VALU_DEP_1)
	v_mul_lo_u32 v1, v0, s5
	v_mul_lo_u32 v0, v0, s4
	s_cbranch_scc1 .LBB205_318
; %bb.317:
	s_clause 0x1
	s_load_b96 s[0:2], s[12:13], 0x10
	s_load_b64 s[4:5], s[12:13], 0xcc
	s_wait_kmcnt 0x0
	v_mul_hi_u32 v15, s1, v17
	s_delay_alu instid0(VALU_DEP_1) | instskip(NEXT) | instid1(VALU_DEP_1)
	v_add_nc_u32_e32 v15, v17, v15
	v_lshrrev_b32_e32 v15, s2, v15
	s_delay_alu instid0(VALU_DEP_1) | instskip(NEXT) | instid1(VALU_DEP_1)
	v_mul_lo_u32 v15, v15, s0
	v_sub_nc_u32_e32 v15, v17, v15
	s_delay_alu instid0(VALU_DEP_1)
	v_mad_u32 v0, v15, s4, v0
	v_mad_u32 v1, v15, s5, v1
.LBB205_318:
	v_cmp_ne_u32_e32 vcc_lo, 1, v14
	s_cbranch_vccnz .LBB205_324
; %bb.319:
	s_cmp_lg_u32 s30, 0
	s_mov_b32 s6, 0
	s_cbranch_scc0 .LBB205_325
; %bb.320:
	s_min_u32 s1, s31, 15
	s_delay_alu instid0(SALU_CYCLE_1)
	s_add_co_i32 s1, s1, 1
	s_cmp_eq_u32 s31, 2
	s_cbranch_scc1 .LBB205_326
; %bb.321:
	v_dual_mov_b32 v14, 0 :: v_dual_mov_b32 v15, 0
	v_mov_b32_e32 v17, v16
	s_and_b32 s0, s1, 28
	s_add_nc_u64 s[2:3], s[12:13], 0xc4
	s_mov_b32 s7, 0
	s_mov_b64 s[4:5], s[12:13]
.LBB205_322:                            ; =>This Inner Loop Header: Depth=1
	s_clause 0x1
	s_load_b256 s[16:23], s[4:5], 0x4
	s_load_b128 s[8:11], s[4:5], 0x24
	s_load_b256 s[36:43], s[2:3], 0x0
	s_add_co_i32 s7, s7, 4
	s_wait_xcnt 0x0
	s_add_nc_u64 s[4:5], s[4:5], 48
	s_cmp_lg_u32 s0, s7
	s_add_nc_u64 s[2:3], s[2:3], 32
	s_wait_kmcnt 0x0
	v_mul_hi_u32 v18, s17, v17
	s_delay_alu instid0(VALU_DEP_1) | instskip(NEXT) | instid1(VALU_DEP_1)
	v_add_nc_u32_e32 v18, v17, v18
	v_lshrrev_b32_e32 v18, s18, v18
	s_delay_alu instid0(VALU_DEP_1) | instskip(NEXT) | instid1(VALU_DEP_1)
	v_mul_hi_u32 v19, s20, v18
	v_add_nc_u32_e32 v19, v18, v19
	s_delay_alu instid0(VALU_DEP_1) | instskip(NEXT) | instid1(VALU_DEP_1)
	v_lshrrev_b32_e32 v19, s21, v19
	v_mul_hi_u32 v20, s23, v19
	s_delay_alu instid0(VALU_DEP_1) | instskip(SKIP_1) | instid1(VALU_DEP_1)
	v_add_nc_u32_e32 v20, v19, v20
	v_mul_lo_u32 v21, v18, s16
	v_sub_nc_u32_e32 v17, v17, v21
	v_mul_lo_u32 v21, v19, s19
	s_delay_alu instid0(VALU_DEP_4) | instskip(NEXT) | instid1(VALU_DEP_3)
	v_lshrrev_b32_e32 v20, s8, v20
	v_mad_u32 v15, v17, s37, v15
	v_mad_u32 v14, v17, s36, v14
	s_delay_alu instid0(VALU_DEP_4) | instskip(NEXT) | instid1(VALU_DEP_4)
	v_sub_nc_u32_e32 v17, v18, v21
	v_mul_hi_u32 v22, s10, v20
	v_mul_lo_u32 v18, v20, s22
	s_delay_alu instid0(VALU_DEP_3) | instskip(SKIP_1) | instid1(VALU_DEP_4)
	v_mad_u32 v15, v17, s39, v15
	v_mad_u32 v14, v17, s38, v14
	v_add_nc_u32_e32 v21, v20, v22
	s_delay_alu instid0(VALU_DEP_1) | instskip(NEXT) | instid1(VALU_DEP_1)
	v_dual_sub_nc_u32 v18, v19, v18 :: v_dual_lshrrev_b32 v17, s11, v21
	v_mad_u32 v15, v18, s41, v15
	s_delay_alu instid0(VALU_DEP_4) | instskip(NEXT) | instid1(VALU_DEP_3)
	v_mad_u32 v14, v18, s40, v14
	v_mul_lo_u32 v19, v17, s9
	s_delay_alu instid0(VALU_DEP_1) | instskip(NEXT) | instid1(VALU_DEP_1)
	v_sub_nc_u32_e32 v18, v20, v19
	v_mad_u32 v15, v18, s43, v15
	s_delay_alu instid0(VALU_DEP_4)
	v_mad_u32 v14, v18, s42, v14
	s_cbranch_scc1 .LBB205_322
; %bb.323:
	s_and_b32 s4, s1, 3
	s_mov_b32 s1, 0
	s_cmp_eq_u32 s4, 0
	s_cbranch_scc0 .LBB205_327
	s_branch .LBB205_329
.LBB205_324:
	s_mov_b32 s6, -1
                                        ; implicit-def: $vgpr15
	s_branch .LBB205_329
.LBB205_325:
	v_dual_mov_b32 v15, 0 :: v_dual_mov_b32 v14, 0
	s_branch .LBB205_329
.LBB205_326:
	v_mov_b64_e32 v[14:15], 0
	v_mov_b32_e32 v17, v16
	s_mov_b32 s0, 0
	s_and_b32 s4, s1, 3
	s_mov_b32 s1, 0
	s_cmp_eq_u32 s4, 0
	s_cbranch_scc1 .LBB205_329
.LBB205_327:
	s_lshl_b32 s2, s0, 3
	s_mov_b32 s3, s1
	s_mul_u64 s[8:9], s[0:1], 12
	s_add_nc_u64 s[2:3], s[12:13], s[2:3]
	s_delay_alu instid0(SALU_CYCLE_1)
	s_add_nc_u64 s[0:1], s[2:3], 0xc4
	s_add_nc_u64 s[2:3], s[12:13], s[8:9]
.LBB205_328:                            ; =>This Inner Loop Header: Depth=1
	s_load_b96 s[8:10], s[2:3], 0x4
	s_add_co_i32 s4, s4, -1
	s_wait_xcnt 0x0
	s_add_nc_u64 s[2:3], s[2:3], 12
	s_cmp_lg_u32 s4, 0
	s_wait_kmcnt 0x0
	v_mul_hi_u32 v18, s9, v17
	s_delay_alu instid0(VALU_DEP_1) | instskip(NEXT) | instid1(VALU_DEP_1)
	v_add_nc_u32_e32 v18, v17, v18
	v_lshrrev_b32_e32 v18, s10, v18
	s_load_b64 s[10:11], s[0:1], 0x0
	s_wait_xcnt 0x0
	s_add_nc_u64 s[0:1], s[0:1], 8
	s_delay_alu instid0(VALU_DEP_1) | instskip(NEXT) | instid1(VALU_DEP_1)
	v_mul_lo_u32 v19, v18, s8
	v_sub_nc_u32_e32 v17, v17, v19
	s_wait_kmcnt 0x0
	s_delay_alu instid0(VALU_DEP_1)
	v_mad_u32 v15, v17, s11, v15
	v_mad_u32 v14, v17, s10, v14
	v_mov_b32_e32 v17, v18
	s_cbranch_scc1 .LBB205_328
.LBB205_329:
	s_and_not1_b32 vcc_lo, exec_lo, s6
	s_cbranch_vccnz .LBB205_332
; %bb.330:
	s_clause 0x1
	s_load_b96 s[0:2], s[12:13], 0x4
	s_load_b64 s[4:5], s[12:13], 0xc4
	s_cmp_lt_u32 s30, 2
	s_wait_kmcnt 0x0
	v_mul_hi_u32 v14, s1, v16
	s_delay_alu instid0(VALU_DEP_1) | instskip(NEXT) | instid1(VALU_DEP_1)
	v_add_nc_u32_e32 v14, v16, v14
	v_lshrrev_b32_e32 v17, s2, v14
	s_delay_alu instid0(VALU_DEP_1) | instskip(NEXT) | instid1(VALU_DEP_1)
	v_mul_lo_u32 v14, v17, s0
	v_sub_nc_u32_e32 v14, v16, v14
	s_delay_alu instid0(VALU_DEP_1)
	v_mul_lo_u32 v15, v14, s5
	v_mul_lo_u32 v14, v14, s4
	s_cbranch_scc1 .LBB205_332
; %bb.331:
	s_clause 0x1
	s_load_b96 s[0:2], s[12:13], 0x10
	s_load_b64 s[4:5], s[12:13], 0xcc
	s_wait_kmcnt 0x0
	v_mul_hi_u32 v16, s1, v17
	s_delay_alu instid0(VALU_DEP_1) | instskip(NEXT) | instid1(VALU_DEP_1)
	v_add_nc_u32_e32 v16, v17, v16
	v_lshrrev_b32_e32 v16, s2, v16
	s_delay_alu instid0(VALU_DEP_1) | instskip(NEXT) | instid1(VALU_DEP_1)
	v_mul_lo_u32 v16, v16, s0
	v_sub_nc_u32_e32 v16, v17, v16
	s_delay_alu instid0(VALU_DEP_1)
	v_mad_u32 v14, v16, s4, v14
	v_mad_u32 v15, v16, s5, v15
.LBB205_332:
	s_clause 0x1
	s_load_b128 s[0:3], s[12:13], 0x148
	s_load_b64 s[4:5], s[12:13], 0x158
	s_mov_b32 s6, 0
	s_wait_kmcnt 0x0
	global_load_u16 v16, v3, s[2:3]
	s_cmp_lt_i32 s4, 1
	s_cbranch_scc1 .LBB205_335
; %bb.333:
	s_cmp_eq_u32 s4, 1
	s_cbranch_scc0 .LBB205_336
; %bb.334:
	s_wait_loadcnt 0x0
	v_min_i16 v3, v16, s5
	s_mov_b32 s7, 0
	s_branch .LBB205_337
.LBB205_335:
	s_mov_b32 s7, 0
                                        ; implicit-def: $vgpr3
	s_cbranch_execnz .LBB205_338
	s_branch .LBB205_339
.LBB205_336:
	s_mov_b32 s7, -1
                                        ; implicit-def: $vgpr3
.LBB205_337:
	s_branch .LBB205_339
.LBB205_338:
	s_cmp_lg_u32 s4, 0
	s_mov_b32 s6, -1
	s_cselect_b32 s7, -1, 0
.LBB205_339:
	s_delay_alu instid0(SALU_CYCLE_1)
	s_and_not1_b32 vcc_lo, exec_lo, s7
	s_cbranch_vccz .LBB205_344
; %bb.340:
	s_and_not1_b32 vcc_lo, exec_lo, s6
	s_cbranch_vccz .LBB205_345
.LBB205_341:
	s_wait_loadcnt 0x0
	global_load_u16 v16, v5, s[2:3]
	s_cmp_lt_i32 s4, 1
	s_mov_b32 s6, 0
	s_cbranch_scc1 .LBB205_346
.LBB205_342:
	s_cmp_eq_u32 s4, 1
	s_cbranch_scc0 .LBB205_347
; %bb.343:
	s_wait_loadcnt 0x0
	v_min_i16 v5, v16, s5
	s_mov_b32 s7, 0
	s_branch .LBB205_348
.LBB205_344:
	s_wait_xcnt 0x0
	v_mov_b32_e32 v3, 0
	s_wait_loadcnt 0x0
	v_max_i16 v17, v16, s5
	global_load_u16 v3, v3, s[12:13] offset:350
	s_wait_loadcnt 0x0
	v_min_i16 v3, v17, v3
	s_cbranch_execnz .LBB205_341
.LBB205_345:
	s_wait_loadcnt 0x0
	v_max_i16 v3, v16, s5
	global_load_u16 v16, v5, s[2:3]
	s_cmp_lt_i32 s4, 1
	s_mov_b32 s6, 0
	s_cbranch_scc0 .LBB205_342
.LBB205_346:
	s_mov_b32 s7, 0
                                        ; implicit-def: $vgpr5
	s_cbranch_execnz .LBB205_349
	s_branch .LBB205_350
.LBB205_347:
	s_mov_b32 s7, -1
                                        ; implicit-def: $vgpr5
.LBB205_348:
	s_branch .LBB205_350
.LBB205_349:
	s_cmp_lg_u32 s4, 0
	s_mov_b32 s6, -1
	s_cselect_b32 s7, -1, 0
.LBB205_350:
	s_delay_alu instid0(SALU_CYCLE_1)
	s_and_not1_b32 vcc_lo, exec_lo, s7
	s_cbranch_vccz .LBB205_355
; %bb.351:
	s_and_not1_b32 vcc_lo, exec_lo, s6
	s_cbranch_vccz .LBB205_356
.LBB205_352:
	s_wait_loadcnt 0x0
	global_load_u16 v16, v7, s[2:3]
	s_cmp_lt_i32 s4, 1
	s_mov_b32 s6, 0
	s_cbranch_scc1 .LBB205_357
.LBB205_353:
	s_cmp_eq_u32 s4, 1
	s_cbranch_scc0 .LBB205_358
; %bb.354:
	s_wait_loadcnt 0x0
	v_min_i16 v7, v16, s5
	s_mov_b32 s7, 0
	s_branch .LBB205_359
.LBB205_355:
	s_wait_xcnt 0x0
	v_mov_b32_e32 v5, 0
	s_wait_loadcnt 0x0
	v_max_i16 v17, v16, s5
	global_load_u16 v5, v5, s[12:13] offset:350
	s_wait_loadcnt 0x0
	v_min_i16 v5, v17, v5
	s_cbranch_execnz .LBB205_352
.LBB205_356:
	s_wait_loadcnt 0x0
	v_max_i16 v5, v16, s5
	global_load_u16 v16, v7, s[2:3]
	s_cmp_lt_i32 s4, 1
	s_mov_b32 s6, 0
	s_cbranch_scc0 .LBB205_353
.LBB205_357:
	s_mov_b32 s7, 0
                                        ; implicit-def: $vgpr7
	s_cbranch_execnz .LBB205_360
	s_branch .LBB205_361
.LBB205_358:
	s_mov_b32 s7, -1
                                        ; implicit-def: $vgpr7
.LBB205_359:
	s_branch .LBB205_361
.LBB205_360:
	s_cmp_lg_u32 s4, 0
	s_mov_b32 s6, -1
	s_cselect_b32 s7, -1, 0
.LBB205_361:
	s_delay_alu instid0(SALU_CYCLE_1)
	s_and_not1_b32 vcc_lo, exec_lo, s7
	s_cbranch_vccz .LBB205_366
; %bb.362:
	s_and_not1_b32 vcc_lo, exec_lo, s6
	s_cbranch_vccz .LBB205_367
.LBB205_363:
	s_wait_loadcnt 0x0
	global_load_u16 v16, v9, s[2:3]
	s_cmp_lt_i32 s4, 1
	s_mov_b32 s6, 0
	s_cbranch_scc1 .LBB205_368
.LBB205_364:
	s_cmp_eq_u32 s4, 1
	s_cbranch_scc0 .LBB205_369
; %bb.365:
	s_wait_loadcnt 0x0
	v_min_i16 v9, v16, s5
	s_mov_b32 s7, 0
	s_branch .LBB205_370
.LBB205_366:
	s_wait_xcnt 0x0
	v_mov_b32_e32 v7, 0
	s_wait_loadcnt 0x0
	v_max_i16 v17, v16, s5
	global_load_u16 v7, v7, s[12:13] offset:350
	s_wait_loadcnt 0x0
	v_min_i16 v7, v17, v7
	s_cbranch_execnz .LBB205_363
.LBB205_367:
	s_wait_loadcnt 0x0
	v_max_i16 v7, v16, s5
	global_load_u16 v16, v9, s[2:3]
	s_cmp_lt_i32 s4, 1
	s_mov_b32 s6, 0
	s_cbranch_scc0 .LBB205_364
.LBB205_368:
	s_mov_b32 s7, 0
                                        ; implicit-def: $vgpr9
	s_cbranch_execnz .LBB205_371
	s_branch .LBB205_372
.LBB205_369:
	s_mov_b32 s7, -1
                                        ; implicit-def: $vgpr9
.LBB205_370:
	s_branch .LBB205_372
.LBB205_371:
	s_cmp_lg_u32 s4, 0
	s_mov_b32 s6, -1
	s_cselect_b32 s7, -1, 0
.LBB205_372:
	s_delay_alu instid0(SALU_CYCLE_1)
	s_and_not1_b32 vcc_lo, exec_lo, s7
	s_cbranch_vccz .LBB205_377
; %bb.373:
	s_and_not1_b32 vcc_lo, exec_lo, s6
	s_cbranch_vccz .LBB205_378
.LBB205_374:
	s_wait_loadcnt 0x0
	global_load_u16 v16, v11, s[2:3]
	s_cmp_lt_i32 s4, 1
	s_mov_b32 s6, 0
	s_cbranch_scc1 .LBB205_379
.LBB205_375:
	s_cmp_eq_u32 s4, 1
	s_cbranch_scc0 .LBB205_380
; %bb.376:
	s_wait_loadcnt 0x0
	v_min_i16 v11, v16, s5
	s_mov_b32 s7, 0
	s_branch .LBB205_381
.LBB205_377:
	s_wait_xcnt 0x0
	v_mov_b32_e32 v9, 0
	s_wait_loadcnt 0x0
	v_max_i16 v17, v16, s5
	global_load_u16 v9, v9, s[12:13] offset:350
	s_wait_loadcnt 0x0
	v_min_i16 v9, v17, v9
	s_cbranch_execnz .LBB205_374
.LBB205_378:
	s_wait_loadcnt 0x0
	v_max_i16 v9, v16, s5
	global_load_u16 v16, v11, s[2:3]
	s_cmp_lt_i32 s4, 1
	s_mov_b32 s6, 0
	s_cbranch_scc0 .LBB205_375
.LBB205_379:
	s_mov_b32 s7, 0
                                        ; implicit-def: $vgpr11
	s_cbranch_execnz .LBB205_382
	s_branch .LBB205_383
.LBB205_380:
	s_mov_b32 s7, -1
                                        ; implicit-def: $vgpr11
.LBB205_381:
	s_branch .LBB205_383
.LBB205_382:
	s_cmp_lg_u32 s4, 0
	s_mov_b32 s6, -1
	s_cselect_b32 s7, -1, 0
.LBB205_383:
	s_delay_alu instid0(SALU_CYCLE_1)
	s_and_not1_b32 vcc_lo, exec_lo, s7
	s_cbranch_vccz .LBB205_388
; %bb.384:
	s_and_not1_b32 vcc_lo, exec_lo, s6
	s_cbranch_vccz .LBB205_389
.LBB205_385:
	s_wait_loadcnt 0x0
	global_load_u16 v16, v13, s[2:3]
	s_cmp_lt_i32 s4, 1
	s_mov_b32 s6, 0
	s_cbranch_scc1 .LBB205_390
.LBB205_386:
	s_cmp_eq_u32 s4, 1
	s_cbranch_scc0 .LBB205_391
; %bb.387:
	s_wait_loadcnt 0x0
	v_min_i16 v13, v16, s5
	s_mov_b32 s7, 0
	s_branch .LBB205_392
.LBB205_388:
	s_wait_xcnt 0x0
	v_mov_b32_e32 v11, 0
	s_wait_loadcnt 0x0
	v_max_i16 v17, v16, s5
	global_load_u16 v11, v11, s[12:13] offset:350
	s_wait_loadcnt 0x0
	v_min_i16 v11, v17, v11
	s_cbranch_execnz .LBB205_385
.LBB205_389:
	s_wait_loadcnt 0x0
	v_max_i16 v11, v16, s5
	global_load_u16 v16, v13, s[2:3]
	s_cmp_lt_i32 s4, 1
	s_mov_b32 s6, 0
	s_cbranch_scc0 .LBB205_386
.LBB205_390:
	s_mov_b32 s7, 0
                                        ; implicit-def: $vgpr13
	s_cbranch_execnz .LBB205_393
	s_branch .LBB205_394
.LBB205_391:
	s_mov_b32 s7, -1
                                        ; implicit-def: $vgpr13
.LBB205_392:
	s_branch .LBB205_394
.LBB205_393:
	s_cmp_lg_u32 s4, 0
	s_mov_b32 s6, -1
	s_cselect_b32 s7, -1, 0
.LBB205_394:
	s_delay_alu instid0(SALU_CYCLE_1)
	s_and_not1_b32 vcc_lo, exec_lo, s7
	s_cbranch_vccz .LBB205_399
; %bb.395:
	s_and_not1_b32 vcc_lo, exec_lo, s6
	s_cbranch_vccz .LBB205_400
.LBB205_396:
	s_wait_loadcnt 0x0
	global_load_u16 v16, v1, s[2:3]
	s_cmp_lt_i32 s4, 1
	s_mov_b32 s6, 0
	s_cbranch_scc1 .LBB205_401
.LBB205_397:
	s_cmp_eq_u32 s4, 1
	s_cbranch_scc0 .LBB205_402
; %bb.398:
	s_wait_loadcnt 0x0
	v_min_i16 v1, v16, s5
	s_mov_b32 s7, 0
	s_branch .LBB205_403
.LBB205_399:
	s_wait_xcnt 0x0
	v_mov_b32_e32 v13, 0
	s_wait_loadcnt 0x0
	v_max_i16 v17, v16, s5
	global_load_u16 v13, v13, s[12:13] offset:350
	s_wait_loadcnt 0x0
	v_min_i16 v13, v17, v13
	s_cbranch_execnz .LBB205_396
.LBB205_400:
	s_wait_loadcnt 0x0
	v_max_i16 v13, v16, s5
	global_load_u16 v16, v1, s[2:3]
	s_cmp_lt_i32 s4, 1
	s_mov_b32 s6, 0
	s_cbranch_scc0 .LBB205_397
.LBB205_401:
	s_mov_b32 s7, 0
                                        ; implicit-def: $vgpr1
	s_cbranch_execnz .LBB205_404
	s_branch .LBB205_405
.LBB205_402:
	s_mov_b32 s7, -1
                                        ; implicit-def: $vgpr1
.LBB205_403:
	s_branch .LBB205_405
.LBB205_404:
	s_cmp_lg_u32 s4, 0
	s_mov_b32 s6, -1
	s_cselect_b32 s7, -1, 0
.LBB205_405:
	s_delay_alu instid0(SALU_CYCLE_1)
	s_and_not1_b32 vcc_lo, exec_lo, s7
	s_cbranch_vccz .LBB205_410
; %bb.406:
	s_and_not1_b32 vcc_lo, exec_lo, s6
	s_cbranch_vccz .LBB205_411
.LBB205_407:
	global_load_u16 v15, v15, s[2:3]
	s_cmp_lt_i32 s4, 1
	s_wait_xcnt 0x0
	s_mov_b32 s2, 0
	s_cbranch_scc1 .LBB205_412
.LBB205_408:
	s_cmp_eq_u32 s4, 1
	s_cbranch_scc0 .LBB205_413
; %bb.409:
	s_wait_loadcnt 0x0
	v_min_i16 v16, v15, s5
	s_mov_b32 s3, 0
	s_branch .LBB205_414
.LBB205_410:
	s_wait_xcnt 0x0
	v_mov_b32_e32 v1, 0
	s_wait_loadcnt 0x0
	v_max_i16 v17, v16, s5
	global_load_u16 v1, v1, s[12:13] offset:350
	s_wait_loadcnt 0x0
	v_min_i16 v1, v17, v1
	s_cbranch_execnz .LBB205_407
.LBB205_411:
	s_wait_loadcnt 0x0
	v_max_i16 v1, v16, s5
	global_load_u16 v15, v15, s[2:3]
	s_cmp_lt_i32 s4, 1
	s_wait_xcnt 0x0
	s_mov_b32 s2, 0
	s_cbranch_scc0 .LBB205_408
.LBB205_412:
	s_mov_b32 s3, 0
                                        ; implicit-def: $vgpr16
	s_cbranch_execnz .LBB205_415
	s_branch .LBB205_416
.LBB205_413:
	s_mov_b32 s3, -1
                                        ; implicit-def: $vgpr16
.LBB205_414:
	s_branch .LBB205_416
.LBB205_415:
	s_cmp_lg_u32 s4, 0
	s_mov_b32 s2, -1
	s_cselect_b32 s3, -1, 0
.LBB205_416:
	s_delay_alu instid0(SALU_CYCLE_1)
	s_and_not1_b32 vcc_lo, exec_lo, s3
	s_cbranch_vccz .LBB205_420
; %bb.417:
	s_and_not1_b32 vcc_lo, exec_lo, s2
	s_cbranch_vccnz .LBB205_419
.LBB205_418:
	s_wait_loadcnt 0x0
	v_max_i16 v16, v15, s5
.LBB205_419:
	s_clause 0x6
	global_store_b16 v2, v3, s[0:1]
	global_store_b16 v4, v5, s[0:1]
	;; [unrolled: 1-line block ×7, first 2 shown]
	s_wait_loadcnt 0x1
	global_store_b16 v14, v16, s[0:1]
	s_endpgm
.LBB205_420:
	s_wait_loadcnt 0x1
	v_mov_b32_e32 v16, 0
	s_wait_loadcnt 0x0
	v_max_i16 v17, v15, s5
	global_load_u16 v16, v16, s[12:13] offset:350
	s_wait_loadcnt 0x0
	v_min_i16 v16, v17, v16
	s_cbranch_execz .LBB205_418
	s_branch .LBB205_419
	.section	.rodata,"a",@progbits
	.p2align	6, 0x0
	.amdhsa_kernel _ZN2at6native32elementwise_kernel_manual_unrollILi128ELi8EZNS0_22gpu_kernel_impl_nocastIZZZNS0_12_GLOBAL__N_119launch_clamp_scalarERNS_18TensorIteratorBaseEN3c106ScalarES7_NS0_6detail11ClampLimitsEENKUlvE_clEvENKUlvE3_clEvEUlsE_EEvS5_RKT_EUlibE_EEviT1_
		.amdhsa_group_segment_fixed_size 0
		.amdhsa_private_segment_fixed_size 0
		.amdhsa_kernarg_size 360
		.amdhsa_user_sgpr_count 2
		.amdhsa_user_sgpr_dispatch_ptr 0
		.amdhsa_user_sgpr_queue_ptr 0
		.amdhsa_user_sgpr_kernarg_segment_ptr 1
		.amdhsa_user_sgpr_dispatch_id 0
		.amdhsa_user_sgpr_kernarg_preload_length 0
		.amdhsa_user_sgpr_kernarg_preload_offset 0
		.amdhsa_user_sgpr_private_segment_size 0
		.amdhsa_wavefront_size32 1
		.amdhsa_uses_dynamic_stack 0
		.amdhsa_enable_private_segment 0
		.amdhsa_system_sgpr_workgroup_id_x 1
		.amdhsa_system_sgpr_workgroup_id_y 0
		.amdhsa_system_sgpr_workgroup_id_z 0
		.amdhsa_system_sgpr_workgroup_info 0
		.amdhsa_system_vgpr_workitem_id 0
		.amdhsa_next_free_vgpr 23
		.amdhsa_next_free_sgpr 60
		.amdhsa_named_barrier_count 0
		.amdhsa_reserve_vcc 1
		.amdhsa_float_round_mode_32 0
		.amdhsa_float_round_mode_16_64 0
		.amdhsa_float_denorm_mode_32 3
		.amdhsa_float_denorm_mode_16_64 3
		.amdhsa_fp16_overflow 0
		.amdhsa_memory_ordered 1
		.amdhsa_forward_progress 1
		.amdhsa_inst_pref_size 116
		.amdhsa_round_robin_scheduling 0
		.amdhsa_exception_fp_ieee_invalid_op 0
		.amdhsa_exception_fp_denorm_src 0
		.amdhsa_exception_fp_ieee_div_zero 0
		.amdhsa_exception_fp_ieee_overflow 0
		.amdhsa_exception_fp_ieee_underflow 0
		.amdhsa_exception_fp_ieee_inexact 0
		.amdhsa_exception_int_div_zero 0
	.end_amdhsa_kernel
	.section	.text._ZN2at6native32elementwise_kernel_manual_unrollILi128ELi8EZNS0_22gpu_kernel_impl_nocastIZZZNS0_12_GLOBAL__N_119launch_clamp_scalarERNS_18TensorIteratorBaseEN3c106ScalarES7_NS0_6detail11ClampLimitsEENKUlvE_clEvENKUlvE3_clEvEUlsE_EEvS5_RKT_EUlibE_EEviT1_,"axG",@progbits,_ZN2at6native32elementwise_kernel_manual_unrollILi128ELi8EZNS0_22gpu_kernel_impl_nocastIZZZNS0_12_GLOBAL__N_119launch_clamp_scalarERNS_18TensorIteratorBaseEN3c106ScalarES7_NS0_6detail11ClampLimitsEENKUlvE_clEvENKUlvE3_clEvEUlsE_EEvS5_RKT_EUlibE_EEviT1_,comdat
.Lfunc_end205:
	.size	_ZN2at6native32elementwise_kernel_manual_unrollILi128ELi8EZNS0_22gpu_kernel_impl_nocastIZZZNS0_12_GLOBAL__N_119launch_clamp_scalarERNS_18TensorIteratorBaseEN3c106ScalarES7_NS0_6detail11ClampLimitsEENKUlvE_clEvENKUlvE3_clEvEUlsE_EEvS5_RKT_EUlibE_EEviT1_, .Lfunc_end205-_ZN2at6native32elementwise_kernel_manual_unrollILi128ELi8EZNS0_22gpu_kernel_impl_nocastIZZZNS0_12_GLOBAL__N_119launch_clamp_scalarERNS_18TensorIteratorBaseEN3c106ScalarES7_NS0_6detail11ClampLimitsEENKUlvE_clEvENKUlvE3_clEvEUlsE_EEvS5_RKT_EUlibE_EEviT1_
                                        ; -- End function
	.set _ZN2at6native32elementwise_kernel_manual_unrollILi128ELi8EZNS0_22gpu_kernel_impl_nocastIZZZNS0_12_GLOBAL__N_119launch_clamp_scalarERNS_18TensorIteratorBaseEN3c106ScalarES7_NS0_6detail11ClampLimitsEENKUlvE_clEvENKUlvE3_clEvEUlsE_EEvS5_RKT_EUlibE_EEviT1_.num_vgpr, 23
	.set _ZN2at6native32elementwise_kernel_manual_unrollILi128ELi8EZNS0_22gpu_kernel_impl_nocastIZZZNS0_12_GLOBAL__N_119launch_clamp_scalarERNS_18TensorIteratorBaseEN3c106ScalarES7_NS0_6detail11ClampLimitsEENKUlvE_clEvENKUlvE3_clEvEUlsE_EEvS5_RKT_EUlibE_EEviT1_.num_agpr, 0
	.set _ZN2at6native32elementwise_kernel_manual_unrollILi128ELi8EZNS0_22gpu_kernel_impl_nocastIZZZNS0_12_GLOBAL__N_119launch_clamp_scalarERNS_18TensorIteratorBaseEN3c106ScalarES7_NS0_6detail11ClampLimitsEENKUlvE_clEvENKUlvE3_clEvEUlsE_EEvS5_RKT_EUlibE_EEviT1_.numbered_sgpr, 60
	.set _ZN2at6native32elementwise_kernel_manual_unrollILi128ELi8EZNS0_22gpu_kernel_impl_nocastIZZZNS0_12_GLOBAL__N_119launch_clamp_scalarERNS_18TensorIteratorBaseEN3c106ScalarES7_NS0_6detail11ClampLimitsEENKUlvE_clEvENKUlvE3_clEvEUlsE_EEvS5_RKT_EUlibE_EEviT1_.num_named_barrier, 0
	.set _ZN2at6native32elementwise_kernel_manual_unrollILi128ELi8EZNS0_22gpu_kernel_impl_nocastIZZZNS0_12_GLOBAL__N_119launch_clamp_scalarERNS_18TensorIteratorBaseEN3c106ScalarES7_NS0_6detail11ClampLimitsEENKUlvE_clEvENKUlvE3_clEvEUlsE_EEvS5_RKT_EUlibE_EEviT1_.private_seg_size, 0
	.set _ZN2at6native32elementwise_kernel_manual_unrollILi128ELi8EZNS0_22gpu_kernel_impl_nocastIZZZNS0_12_GLOBAL__N_119launch_clamp_scalarERNS_18TensorIteratorBaseEN3c106ScalarES7_NS0_6detail11ClampLimitsEENKUlvE_clEvENKUlvE3_clEvEUlsE_EEvS5_RKT_EUlibE_EEviT1_.uses_vcc, 1
	.set _ZN2at6native32elementwise_kernel_manual_unrollILi128ELi8EZNS0_22gpu_kernel_impl_nocastIZZZNS0_12_GLOBAL__N_119launch_clamp_scalarERNS_18TensorIteratorBaseEN3c106ScalarES7_NS0_6detail11ClampLimitsEENKUlvE_clEvENKUlvE3_clEvEUlsE_EEvS5_RKT_EUlibE_EEviT1_.uses_flat_scratch, 0
	.set _ZN2at6native32elementwise_kernel_manual_unrollILi128ELi8EZNS0_22gpu_kernel_impl_nocastIZZZNS0_12_GLOBAL__N_119launch_clamp_scalarERNS_18TensorIteratorBaseEN3c106ScalarES7_NS0_6detail11ClampLimitsEENKUlvE_clEvENKUlvE3_clEvEUlsE_EEvS5_RKT_EUlibE_EEviT1_.has_dyn_sized_stack, 0
	.set _ZN2at6native32elementwise_kernel_manual_unrollILi128ELi8EZNS0_22gpu_kernel_impl_nocastIZZZNS0_12_GLOBAL__N_119launch_clamp_scalarERNS_18TensorIteratorBaseEN3c106ScalarES7_NS0_6detail11ClampLimitsEENKUlvE_clEvENKUlvE3_clEvEUlsE_EEvS5_RKT_EUlibE_EEviT1_.has_recursion, 0
	.set _ZN2at6native32elementwise_kernel_manual_unrollILi128ELi8EZNS0_22gpu_kernel_impl_nocastIZZZNS0_12_GLOBAL__N_119launch_clamp_scalarERNS_18TensorIteratorBaseEN3c106ScalarES7_NS0_6detail11ClampLimitsEENKUlvE_clEvENKUlvE3_clEvEUlsE_EEvS5_RKT_EUlibE_EEviT1_.has_indirect_call, 0
	.section	.AMDGPU.csdata,"",@progbits
; Kernel info:
; codeLenInByte = 14752
; TotalNumSgprs: 62
; NumVgprs: 23
; ScratchSize: 0
; MemoryBound: 0
; FloatMode: 240
; IeeeMode: 1
; LDSByteSize: 0 bytes/workgroup (compile time only)
; SGPRBlocks: 0
; VGPRBlocks: 1
; NumSGPRsForWavesPerEU: 62
; NumVGPRsForWavesPerEU: 23
; NamedBarCnt: 0
; Occupancy: 16
; WaveLimiterHint : 1
; COMPUTE_PGM_RSRC2:SCRATCH_EN: 0
; COMPUTE_PGM_RSRC2:USER_SGPR: 2
; COMPUTE_PGM_RSRC2:TRAP_HANDLER: 0
; COMPUTE_PGM_RSRC2:TGID_X_EN: 1
; COMPUTE_PGM_RSRC2:TGID_Y_EN: 0
; COMPUTE_PGM_RSRC2:TGID_Z_EN: 0
; COMPUTE_PGM_RSRC2:TIDIG_COMP_CNT: 0
	.section	.text._ZN2at6native32elementwise_kernel_manual_unrollILi128ELi4EZNS0_15gpu_kernel_implIZZZNS0_12_GLOBAL__N_119launch_clamp_scalarERNS_18TensorIteratorBaseEN3c106ScalarES7_NS0_6detail11ClampLimitsEENKUlvE_clEvENKUlvE3_clEvEUlsE_EEvS5_RKT_EUlibE_EEviT1_,"axG",@progbits,_ZN2at6native32elementwise_kernel_manual_unrollILi128ELi4EZNS0_15gpu_kernel_implIZZZNS0_12_GLOBAL__N_119launch_clamp_scalarERNS_18TensorIteratorBaseEN3c106ScalarES7_NS0_6detail11ClampLimitsEENKUlvE_clEvENKUlvE3_clEvEUlsE_EEvS5_RKT_EUlibE_EEviT1_,comdat
	.globl	_ZN2at6native32elementwise_kernel_manual_unrollILi128ELi4EZNS0_15gpu_kernel_implIZZZNS0_12_GLOBAL__N_119launch_clamp_scalarERNS_18TensorIteratorBaseEN3c106ScalarES7_NS0_6detail11ClampLimitsEENKUlvE_clEvENKUlvE3_clEvEUlsE_EEvS5_RKT_EUlibE_EEviT1_ ; -- Begin function _ZN2at6native32elementwise_kernel_manual_unrollILi128ELi4EZNS0_15gpu_kernel_implIZZZNS0_12_GLOBAL__N_119launch_clamp_scalarERNS_18TensorIteratorBaseEN3c106ScalarES7_NS0_6detail11ClampLimitsEENKUlvE_clEvENKUlvE3_clEvEUlsE_EEvS5_RKT_EUlibE_EEviT1_
	.p2align	8
	.type	_ZN2at6native32elementwise_kernel_manual_unrollILi128ELi4EZNS0_15gpu_kernel_implIZZZNS0_12_GLOBAL__N_119launch_clamp_scalarERNS_18TensorIteratorBaseEN3c106ScalarES7_NS0_6detail11ClampLimitsEENKUlvE_clEvENKUlvE3_clEvEUlsE_EEvS5_RKT_EUlibE_EEviT1_,@function
_ZN2at6native32elementwise_kernel_manual_unrollILi128ELi4EZNS0_15gpu_kernel_implIZZZNS0_12_GLOBAL__N_119launch_clamp_scalarERNS_18TensorIteratorBaseEN3c106ScalarES7_NS0_6detail11ClampLimitsEENKUlvE_clEvENKUlvE3_clEvEUlsE_EEvS5_RKT_EUlibE_EEviT1_: ; @_ZN2at6native32elementwise_kernel_manual_unrollILi128ELi4EZNS0_15gpu_kernel_implIZZZNS0_12_GLOBAL__N_119launch_clamp_scalarERNS_18TensorIteratorBaseEN3c106ScalarES7_NS0_6detail11ClampLimitsEENKUlvE_clEvENKUlvE3_clEvEUlsE_EEvS5_RKT_EUlibE_EEviT1_
; %bb.0:
	s_clause 0x1
	s_load_b256 s[4:11], s[0:1], 0x8
	s_load_b32 s2, s[0:1], 0x28
	s_bfe_u32 s12, ttmp6, 0x4000c
	s_load_b32 s15, s[0:1], 0x0
	s_add_co_i32 s12, s12, 1
	s_and_b32 s3, ttmp6, 15
	s_mul_i32 s13, ttmp9, s12
	s_wait_xcnt 0x0
	s_getreg_b32 s0, hwreg(HW_REG_IB_STS2, 6, 4)
	s_add_co_i32 s3, s3, s13
	s_mov_b32 s14, 0
	s_wait_kmcnt 0x0
	s_lshr_b32 s1, s11, 16
	s_bfe_u32 s12, s2, 0x80008
	s_cmp_eq_u32 s0, 0
	s_cselect_b32 s0, ttmp9, s3
	s_mov_b32 s3, 0
	v_lshl_or_b32 v6, s0, 9, v0
	s_mov_b32 s0, exec_lo
	s_delay_alu instid0(VALU_DEP_1) | instskip(NEXT) | instid1(VALU_DEP_1)
	v_or_b32_e32 v0, 0x180, v6
	v_cmpx_le_i32_e64 s15, v0
	s_xor_b32 s13, exec_lo, s0
	s_cbranch_execz .LBB206_1059
; %bb.1:
	s_mov_b32 s20, -1
	s_mov_b32 s18, 0
	s_mov_b32 s16, 0
	s_mov_b32 s17, exec_lo
	v_cmpx_gt_i32_e64 s15, v6
	s_cbranch_execz .LBB206_259
; %bb.2:
	v_mul_lo_u32 v0, v6, s9
	s_and_b32 s0, 0xffff, s12
	s_delay_alu instid0(SALU_CYCLE_1) | instskip(NEXT) | instid1(VALU_DEP_1)
	s_cmp_lt_i32 s0, 11
	v_ashrrev_i32_e32 v1, 31, v0
	s_delay_alu instid0(VALU_DEP_1)
	v_add_nc_u64_e32 v[0:1], s[6:7], v[0:1]
	s_cbranch_scc1 .LBB206_9
; %bb.3:
	s_cmp_gt_i32 s0, 25
	s_cbranch_scc0 .LBB206_14
; %bb.4:
	s_cmp_gt_i32 s0, 28
	s_cbranch_scc0 .LBB206_16
	;; [unrolled: 3-line block ×4, first 2 shown]
; %bb.7:
	s_cmp_eq_u32 s0, 46
	s_mov_b32 s19, 0
	s_cbranch_scc0 .LBB206_38
; %bb.8:
	global_load_b32 v2, v[0:1], off
	s_mov_b32 s14, -1
	s_wait_loadcnt 0x0
	v_lshlrev_b32_e32 v2, 16, v2
	s_delay_alu instid0(VALU_DEP_1)
	v_cvt_i32_f32_e32 v2, v2
	s_branch .LBB206_40
.LBB206_9:
                                        ; implicit-def: $vgpr2
	s_cbranch_execnz .LBB206_209
.LBB206_10:
	s_and_not1_b32 vcc_lo, exec_lo, s14
	s_cbranch_vccnz .LBB206_256
.LBB206_11:
	s_cmp_lt_i32 s10, 1
	s_mov_b32 s0, 0
	s_cbranch_scc1 .LBB206_15
; %bb.12:
	s_cmp_eq_u32 s10, 1
	s_cbranch_scc0 .LBB206_17
; %bb.13:
	s_wait_loadcnt 0x0
	s_delay_alu instid0(VALU_DEP_1)
	v_min_i16 v4, v2, s11
	s_mov_b32 s14, 0
	s_branch .LBB206_18
.LBB206_14:
                                        ; implicit-def: $vgpr2
	s_cbranch_execnz .LBB206_176
	s_branch .LBB206_208
.LBB206_15:
	s_mov_b32 s14, 0
                                        ; implicit-def: $vgpr4
	s_cbranch_execnz .LBB206_19
	s_branch .LBB206_20
.LBB206_16:
	s_mov_b32 s19, -1
                                        ; implicit-def: $vgpr2
	s_branch .LBB206_159
.LBB206_17:
	s_mov_b32 s14, -1
                                        ; implicit-def: $vgpr4
.LBB206_18:
	s_branch .LBB206_20
.LBB206_19:
	s_cmp_lg_u32 s10, 0
	s_mov_b32 s0, -1
	s_cselect_b32 s14, -1, 0
.LBB206_20:
	s_wait_loadcnt 0x0
	s_delay_alu instid0(VALU_DEP_1)
	v_max_i16 v0, v2, s11
	s_and_not1_b32 vcc_lo, exec_lo, s14
	s_cbranch_vccnz .LBB206_22
; %bb.21:
	v_max_i16 v1, v2, s11
	s_delay_alu instid0(VALU_DEP_1)
	v_min_i16 v4, v1, s1
	s_cbranch_execz .LBB206_23
	s_branch .LBB206_24
.LBB206_22:
	s_and_not1_b32 vcc_lo, exec_lo, s0
	s_cbranch_vccnz .LBB206_24
.LBB206_23:
	v_mov_b32_e32 v4, v0
.LBB206_24:
	v_mul_lo_u32 v0, v6, s8
	s_and_b32 s14, s2, 0xff
	s_delay_alu instid0(SALU_CYCLE_1) | instskip(NEXT) | instid1(VALU_DEP_1)
	s_cmp_lt_i32 s14, 11
	v_ashrrev_i32_e32 v1, 31, v0
	s_delay_alu instid0(VALU_DEP_1)
	v_add_nc_u64_e32 v[0:1], s[4:5], v[0:1]
	s_cbranch_scc1 .LBB206_31
; %bb.25:
	s_and_b32 s19, 0xffff, s14
	s_delay_alu instid0(SALU_CYCLE_1)
	s_cmp_gt_i32 s19, 25
	s_cbranch_scc0 .LBB206_33
; %bb.26:
	s_cmp_gt_i32 s19, 28
	s_cbranch_scc0 .LBB206_35
; %bb.27:
	s_cmp_gt_i32 s19, 43
	s_cbranch_scc0 .LBB206_37
; %bb.28:
	s_cmp_gt_i32 s19, 45
	s_cbranch_scc0 .LBB206_43
; %bb.29:
	s_mov_b32 s21, 0
	s_mov_b32 s0, -1
	s_cmp_eq_u32 s19, 46
	s_mov_b32 s20, 0
	s_cbranch_scc0 .LBB206_44
; %bb.30:
	v_bfe_i32 v2, v4, 0, 16
	s_mov_b32 s20, -1
	s_mov_b32 s0, 0
	s_delay_alu instid0(VALU_DEP_1) | instskip(NEXT) | instid1(VALU_DEP_1)
	v_cvt_f32_i32_e32 v2, v2
	v_bfe_u32 v3, v2, 16, 1
	s_delay_alu instid0(VALU_DEP_1) | instskip(NEXT) | instid1(VALU_DEP_1)
	v_add3_u32 v2, v2, v3, 0x7fff
	v_lshrrev_b32_e32 v2, 16, v2
	global_store_b32 v[0:1], v2, off
	s_branch .LBB206_44
.LBB206_31:
	s_mov_b32 s0, 0
	s_mov_b32 s20, 0
	s_cbranch_execnz .LBB206_113
.LBB206_32:
	s_and_not1_b32 vcc_lo, exec_lo, s20
	s_cbranch_vccnz .LBB206_257
	s_branch .LBB206_151
.LBB206_33:
	s_mov_b32 s21, -1
	s_mov_b32 s0, 0
	s_mov_b32 s20, 0
	s_branch .LBB206_71
.LBB206_34:
	s_mov_b32 s19, -1
                                        ; implicit-def: $vgpr2
	s_branch .LBB206_154
.LBB206_35:
	s_mov_b32 s21, -1
	s_mov_b32 s0, 0
	s_mov_b32 s20, 0
	s_branch .LBB206_54
.LBB206_36:
	s_mov_b32 s19, -1
	s_branch .LBB206_39
.LBB206_37:
	s_mov_b32 s21, -1
	s_mov_b32 s0, 0
	s_mov_b32 s20, 0
	s_branch .LBB206_50
.LBB206_38:
	s_mov_b32 s16, -1
.LBB206_39:
                                        ; implicit-def: $vgpr2
.LBB206_40:
	s_and_b32 vcc_lo, exec_lo, s19
	s_cbranch_vccz .LBB206_153
; %bb.41:
	s_cmp_eq_u32 s0, 44
	s_cbranch_scc0 .LBB206_152
; %bb.42:
	global_load_u8 v2, v[0:1], off
	s_mov_b32 s16, 0
	s_mov_b32 s14, -1
	s_wait_loadcnt 0x0
	v_lshlrev_b32_e32 v3, 23, v2
	v_cmp_ne_u32_e32 vcc_lo, 0, v2
	s_delay_alu instid0(VALU_DEP_2) | instskip(NEXT) | instid1(VALU_DEP_1)
	v_cvt_i32_f32_e32 v3, v3
	v_cndmask_b32_e32 v2, 0, v3, vcc_lo
	s_branch .LBB206_153
.LBB206_43:
	s_mov_b32 s21, -1
	s_mov_b32 s0, 0
	s_mov_b32 s20, 0
.LBB206_44:
	s_and_b32 vcc_lo, exec_lo, s21
	s_cbranch_vccz .LBB206_49
; %bb.45:
	s_cmp_eq_u32 s19, 44
	s_mov_b32 s0, -1
	s_cbranch_scc0 .LBB206_49
; %bb.46:
	s_wait_xcnt 0x0
	v_bfe_i32 v2, v4, 0, 16
	v_mov_b32_e32 v3, 0xff
	s_mov_b32 s20, exec_lo
	s_delay_alu instid0(VALU_DEP_2) | instskip(NEXT) | instid1(VALU_DEP_1)
	v_cvt_f32_i32_e32 v2, v2
	v_bfe_u32 v5, v2, 23, 8
	s_delay_alu instid0(VALU_DEP_1)
	v_cmpx_ne_u32_e32 0xff, v5
	s_cbranch_execz .LBB206_48
; %bb.47:
	v_and_b32_e32 v3, 0x400000, v2
	v_and_or_b32 v5, 0x3fffff, v2, v5
	v_lshrrev_b32_e32 v2, 23, v2
	s_delay_alu instid0(VALU_DEP_3) | instskip(NEXT) | instid1(VALU_DEP_3)
	v_cmp_ne_u32_e32 vcc_lo, 0, v3
	v_cmp_ne_u32_e64 s0, 0, v5
	s_and_b32 s0, vcc_lo, s0
	s_delay_alu instid0(SALU_CYCLE_1) | instskip(NEXT) | instid1(VALU_DEP_1)
	v_cndmask_b32_e64 v3, 0, 1, s0
	v_add_nc_u32_e32 v3, v2, v3
.LBB206_48:
	s_or_b32 exec_lo, exec_lo, s20
	s_mov_b32 s20, -1
	s_mov_b32 s0, 0
	global_store_b8 v[0:1], v3, off
.LBB206_49:
	s_mov_b32 s21, 0
.LBB206_50:
	s_delay_alu instid0(SALU_CYCLE_1)
	s_and_b32 vcc_lo, exec_lo, s21
	s_cbranch_vccz .LBB206_53
; %bb.51:
	s_cmp_eq_u32 s19, 29
	s_mov_b32 s0, -1
	s_cbranch_scc0 .LBB206_53
; %bb.52:
	s_wait_xcnt 0x0
	v_bfe_i32 v2, v4, 0, 16
	s_mov_b32 s0, 0
	s_mov_b32 s20, -1
	s_mov_b32 s21, 0
	s_delay_alu instid0(VALU_DEP_1)
	v_ashrrev_i32_e32 v3, 31, v2
	global_store_b64 v[0:1], v[2:3], off
	s_branch .LBB206_54
.LBB206_53:
	s_mov_b32 s21, 0
.LBB206_54:
	s_delay_alu instid0(SALU_CYCLE_1)
	s_and_b32 vcc_lo, exec_lo, s21
	s_cbranch_vccz .LBB206_70
; %bb.55:
	s_cmp_lt_i32 s19, 27
	s_mov_b32 s20, -1
	s_cbranch_scc1 .LBB206_61
; %bb.56:
	s_cmp_gt_i32 s19, 27
	s_cbranch_scc0 .LBB206_58
; %bb.57:
	s_wait_xcnt 0x0
	v_bfe_i32 v2, v4, 0, 16
	s_mov_b32 s20, 0
	global_store_b32 v[0:1], v2, off
.LBB206_58:
	s_and_not1_b32 vcc_lo, exec_lo, s20
	s_cbranch_vccnz .LBB206_60
; %bb.59:
	global_store_b16 v[0:1], v4, off
.LBB206_60:
	s_mov_b32 s20, 0
.LBB206_61:
	s_delay_alu instid0(SALU_CYCLE_1)
	s_and_not1_b32 vcc_lo, exec_lo, s20
	s_cbranch_vccnz .LBB206_69
; %bb.62:
	s_wait_xcnt 0x0
	v_bfe_i32 v2, v4, 0, 16
	v_mov_b32_e32 v5, 0x80
	s_mov_b32 s20, exec_lo
	s_delay_alu instid0(VALU_DEP_2) | instskip(NEXT) | instid1(VALU_DEP_1)
	v_cvt_f32_i32_e32 v2, v2
	v_and_b32_e32 v3, 0x7fffffff, v2
	s_delay_alu instid0(VALU_DEP_1)
	v_cmpx_gt_u32_e32 0x43800000, v3
	s_cbranch_execz .LBB206_68
; %bb.63:
	v_cmp_lt_u32_e32 vcc_lo, 0x3bffffff, v3
	s_mov_b32 s21, 0
                                        ; implicit-def: $vgpr3
	s_and_saveexec_b32 s22, vcc_lo
	s_delay_alu instid0(SALU_CYCLE_1)
	s_xor_b32 s22, exec_lo, s22
	s_cbranch_execz .LBB206_297
; %bb.64:
	v_bfe_u32 v3, v2, 20, 1
	s_mov_b32 s21, exec_lo
	s_delay_alu instid0(VALU_DEP_1) | instskip(NEXT) | instid1(VALU_DEP_1)
	v_add3_u32 v3, v2, v3, 0x487ffff
	v_lshrrev_b32_e32 v3, 20, v3
	s_and_not1_saveexec_b32 s22, s22
	s_cbranch_execnz .LBB206_298
.LBB206_65:
	s_or_b32 exec_lo, exec_lo, s22
	v_mov_b32_e32 v5, 0
	s_and_saveexec_b32 s22, s21
.LBB206_66:
	v_lshrrev_b32_e32 v2, 24, v2
	s_delay_alu instid0(VALU_DEP_1)
	v_and_or_b32 v5, 0x80, v2, v3
.LBB206_67:
	s_or_b32 exec_lo, exec_lo, s22
.LBB206_68:
	s_delay_alu instid0(SALU_CYCLE_1)
	s_or_b32 exec_lo, exec_lo, s20
	global_store_b8 v[0:1], v5, off
.LBB206_69:
	s_mov_b32 s20, -1
.LBB206_70:
	s_mov_b32 s21, 0
.LBB206_71:
	s_delay_alu instid0(SALU_CYCLE_1)
	s_and_b32 vcc_lo, exec_lo, s21
	s_cbranch_vccz .LBB206_112
; %bb.72:
	s_cmp_gt_i32 s19, 22
	s_mov_b32 s21, -1
	s_cbranch_scc0 .LBB206_104
; %bb.73:
	s_cmp_lt_i32 s19, 24
	s_mov_b32 s20, -1
	s_cbranch_scc1 .LBB206_93
; %bb.74:
	s_cmp_gt_i32 s19, 24
	s_cbranch_scc0 .LBB206_82
; %bb.75:
	s_wait_xcnt 0x0
	v_bfe_i32 v2, v4, 0, 16
	v_mov_b32_e32 v5, 0x80
	s_mov_b32 s20, exec_lo
	s_delay_alu instid0(VALU_DEP_2) | instskip(NEXT) | instid1(VALU_DEP_1)
	v_cvt_f32_i32_e32 v2, v2
	v_and_b32_e32 v3, 0x7fffffff, v2
	s_delay_alu instid0(VALU_DEP_1)
	v_cmpx_gt_u32_e32 0x47800000, v3
	s_cbranch_execz .LBB206_81
; %bb.76:
	v_cmp_lt_u32_e32 vcc_lo, 0x37ffffff, v3
	s_mov_b32 s21, 0
                                        ; implicit-def: $vgpr3
	s_and_saveexec_b32 s22, vcc_lo
	s_delay_alu instid0(SALU_CYCLE_1)
	s_xor_b32 s22, exec_lo, s22
	s_cbranch_execz .LBB206_301
; %bb.77:
	v_bfe_u32 v3, v2, 21, 1
	s_mov_b32 s21, exec_lo
	s_delay_alu instid0(VALU_DEP_1) | instskip(NEXT) | instid1(VALU_DEP_1)
	v_add3_u32 v3, v2, v3, 0x88fffff
	v_lshrrev_b32_e32 v3, 21, v3
	s_and_not1_saveexec_b32 s22, s22
	s_cbranch_execnz .LBB206_302
.LBB206_78:
	s_or_b32 exec_lo, exec_lo, s22
	v_mov_b32_e32 v5, 0
	s_and_saveexec_b32 s22, s21
.LBB206_79:
	v_lshrrev_b32_e32 v2, 24, v2
	s_delay_alu instid0(VALU_DEP_1)
	v_and_or_b32 v5, 0x80, v2, v3
.LBB206_80:
	s_or_b32 exec_lo, exec_lo, s22
.LBB206_81:
	s_delay_alu instid0(SALU_CYCLE_1)
	s_or_b32 exec_lo, exec_lo, s20
	s_mov_b32 s20, 0
	global_store_b8 v[0:1], v5, off
.LBB206_82:
	s_and_b32 vcc_lo, exec_lo, s20
	s_cbranch_vccz .LBB206_92
; %bb.83:
	s_wait_xcnt 0x0
	v_bfe_i32 v2, v4, 0, 16
	s_mov_b32 s20, exec_lo
                                        ; implicit-def: $vgpr3
	s_delay_alu instid0(VALU_DEP_1) | instskip(NEXT) | instid1(VALU_DEP_1)
	v_cvt_f32_i32_e32 v2, v2
	v_and_b32_e32 v5, 0x7fffffff, v2
	s_delay_alu instid0(VALU_DEP_1)
	v_cmpx_gt_u32_e32 0x43f00000, v5
	s_xor_b32 s20, exec_lo, s20
	s_cbranch_execz .LBB206_89
; %bb.84:
	s_mov_b32 s21, exec_lo
                                        ; implicit-def: $vgpr3
	v_cmpx_lt_u32_e32 0x3c7fffff, v5
	s_xor_b32 s21, exec_lo, s21
; %bb.85:
	v_bfe_u32 v3, v2, 20, 1
	s_delay_alu instid0(VALU_DEP_1) | instskip(NEXT) | instid1(VALU_DEP_1)
	v_add3_u32 v3, v2, v3, 0x407ffff
	v_and_b32_e32 v5, 0xff00000, v3
	v_lshrrev_b32_e32 v3, 20, v3
	s_delay_alu instid0(VALU_DEP_2) | instskip(NEXT) | instid1(VALU_DEP_2)
	v_cmp_ne_u32_e32 vcc_lo, 0x7f00000, v5
	v_cndmask_b32_e32 v3, 0x7e, v3, vcc_lo
; %bb.86:
	s_and_not1_saveexec_b32 s21, s21
; %bb.87:
	v_add_f32_e64 v3, 0x46800000, |v2|
; %bb.88:
	s_or_b32 exec_lo, exec_lo, s21
                                        ; implicit-def: $vgpr5
.LBB206_89:
	s_and_not1_saveexec_b32 s20, s20
; %bb.90:
	v_mov_b32_e32 v3, 0x7f
	v_cmp_lt_u32_e32 vcc_lo, 0x7f800000, v5
	s_delay_alu instid0(VALU_DEP_2)
	v_cndmask_b32_e32 v3, 0x7e, v3, vcc_lo
; %bb.91:
	s_or_b32 exec_lo, exec_lo, s20
	v_lshrrev_b32_e32 v2, 24, v2
	s_delay_alu instid0(VALU_DEP_1)
	v_and_or_b32 v2, 0x80, v2, v3
	global_store_b8 v[0:1], v2, off
.LBB206_92:
	s_mov_b32 s20, 0
.LBB206_93:
	s_delay_alu instid0(SALU_CYCLE_1)
	s_and_not1_b32 vcc_lo, exec_lo, s20
	s_cbranch_vccnz .LBB206_103
; %bb.94:
	s_wait_xcnt 0x0
	v_bfe_i32 v2, v4, 0, 16
	s_mov_b32 s20, exec_lo
                                        ; implicit-def: $vgpr3
	s_delay_alu instid0(VALU_DEP_1) | instskip(NEXT) | instid1(VALU_DEP_1)
	v_cvt_f32_i32_e32 v2, v2
	v_and_b32_e32 v5, 0x7fffffff, v2
	s_delay_alu instid0(VALU_DEP_1)
	v_cmpx_gt_u32_e32 0x47800000, v5
	s_xor_b32 s20, exec_lo, s20
	s_cbranch_execz .LBB206_100
; %bb.95:
	s_mov_b32 s21, exec_lo
                                        ; implicit-def: $vgpr3
	v_cmpx_lt_u32_e32 0x387fffff, v5
	s_xor_b32 s21, exec_lo, s21
; %bb.96:
	v_bfe_u32 v3, v2, 21, 1
	s_delay_alu instid0(VALU_DEP_1) | instskip(NEXT) | instid1(VALU_DEP_1)
	v_add3_u32 v3, v2, v3, 0x80fffff
	v_lshrrev_b32_e32 v3, 21, v3
; %bb.97:
	s_and_not1_saveexec_b32 s21, s21
; %bb.98:
	v_add_f32_e64 v3, 0x43000000, |v2|
; %bb.99:
	s_or_b32 exec_lo, exec_lo, s21
                                        ; implicit-def: $vgpr5
.LBB206_100:
	s_and_not1_saveexec_b32 s20, s20
; %bb.101:
	v_mov_b32_e32 v3, 0x7f
	v_cmp_lt_u32_e32 vcc_lo, 0x7f800000, v5
	s_delay_alu instid0(VALU_DEP_2)
	v_cndmask_b32_e32 v3, 0x7c, v3, vcc_lo
; %bb.102:
	s_or_b32 exec_lo, exec_lo, s20
	v_lshrrev_b32_e32 v2, 24, v2
	s_delay_alu instid0(VALU_DEP_1)
	v_and_or_b32 v2, 0x80, v2, v3
	global_store_b8 v[0:1], v2, off
.LBB206_103:
	s_mov_b32 s21, 0
	s_mov_b32 s20, -1
.LBB206_104:
	s_and_not1_b32 vcc_lo, exec_lo, s21
	s_cbranch_vccnz .LBB206_112
; %bb.105:
	s_cmp_gt_i32 s19, 14
	s_mov_b32 s21, -1
	s_cbranch_scc0 .LBB206_109
; %bb.106:
	s_cmp_eq_u32 s19, 15
	s_mov_b32 s0, -1
	s_cbranch_scc0 .LBB206_108
; %bb.107:
	s_wait_xcnt 0x0
	v_bfe_i32 v2, v4, 0, 16
	s_mov_b32 s20, -1
	s_mov_b32 s0, 0
	s_delay_alu instid0(VALU_DEP_1) | instskip(NEXT) | instid1(VALU_DEP_1)
	v_cvt_f32_i32_e32 v2, v2
	v_bfe_u32 v3, v2, 16, 1
	s_delay_alu instid0(VALU_DEP_1)
	v_add3_u32 v2, v2, v3, 0x7fff
	global_store_d16_hi_b16 v[0:1], v2, off
.LBB206_108:
	s_mov_b32 s21, 0
.LBB206_109:
	s_delay_alu instid0(SALU_CYCLE_1)
	s_and_b32 vcc_lo, exec_lo, s21
	s_cbranch_vccz .LBB206_112
; %bb.110:
	s_cmp_eq_u32 s19, 11
	s_mov_b32 s0, -1
	s_cbranch_scc0 .LBB206_112
; %bb.111:
	v_cmp_ne_u16_e32 vcc_lo, 0, v4
	s_mov_b32 s0, 0
	s_mov_b32 s20, -1
	s_wait_xcnt 0x0
	v_cndmask_b32_e64 v2, 0, 1, vcc_lo
	global_store_b8 v[0:1], v2, off
.LBB206_112:
	s_branch .LBB206_32
.LBB206_113:
	s_and_b32 s14, 0xffff, s14
	s_mov_b32 s19, -1
	s_cmp_lt_i32 s14, 5
	s_cbranch_scc1 .LBB206_134
; %bb.114:
	s_cmp_lt_i32 s14, 8
	s_cbranch_scc1 .LBB206_124
; %bb.115:
	;; [unrolled: 3-line block ×3, first 2 shown]
	s_cmp_gt_i32 s14, 9
	s_cbranch_scc0 .LBB206_118
; %bb.117:
	s_wait_xcnt 0x0
	v_bfe_i32 v2, v4, 0, 16
	v_mov_b32_e32 v10, 0
	s_mov_b32 s19, 0
	s_delay_alu instid0(VALU_DEP_2) | instskip(NEXT) | instid1(VALU_DEP_2)
	v_cvt_f64_i32_e32 v[8:9], v2
	v_mov_b32_e32 v11, v10
	global_store_b128 v[0:1], v[8:11], off
.LBB206_118:
	s_and_not1_b32 vcc_lo, exec_lo, s19
	s_cbranch_vccnz .LBB206_120
; %bb.119:
	s_wait_xcnt 0x0
	v_bfe_i32 v2, v4, 0, 16
	v_mov_b32_e32 v3, 0
	s_delay_alu instid0(VALU_DEP_2)
	v_cvt_f32_i32_e32 v2, v2
	global_store_b64 v[0:1], v[2:3], off
.LBB206_120:
	s_mov_b32 s19, 0
.LBB206_121:
	s_delay_alu instid0(SALU_CYCLE_1)
	s_and_not1_b32 vcc_lo, exec_lo, s19
	s_cbranch_vccnz .LBB206_123
; %bb.122:
	s_wait_xcnt 0x0
	v_cvt_f16_i16_e32 v2, v4
	s_delay_alu instid0(VALU_DEP_1)
	v_and_b32_e32 v2, 0xffff, v2
	global_store_b32 v[0:1], v2, off
.LBB206_123:
	s_mov_b32 s19, 0
.LBB206_124:
	s_delay_alu instid0(SALU_CYCLE_1)
	s_and_not1_b32 vcc_lo, exec_lo, s19
	s_cbranch_vccnz .LBB206_133
; %bb.125:
	s_cmp_lt_i32 s14, 6
	s_mov_b32 s19, -1
	s_cbranch_scc1 .LBB206_131
; %bb.126:
	s_cmp_gt_i32 s14, 6
	s_cbranch_scc0 .LBB206_128
; %bb.127:
	s_wait_xcnt 0x0
	v_bfe_i32 v2, v4, 0, 16
	s_mov_b32 s19, 0
	s_delay_alu instid0(VALU_DEP_1)
	v_cvt_f64_i32_e32 v[2:3], v2
	global_store_b64 v[0:1], v[2:3], off
.LBB206_128:
	s_and_not1_b32 vcc_lo, exec_lo, s19
	s_cbranch_vccnz .LBB206_130
; %bb.129:
	s_wait_xcnt 0x0
	v_bfe_i32 v2, v4, 0, 16
	s_delay_alu instid0(VALU_DEP_1)
	v_cvt_f32_i32_e32 v2, v2
	global_store_b32 v[0:1], v2, off
.LBB206_130:
	s_mov_b32 s19, 0
.LBB206_131:
	s_delay_alu instid0(SALU_CYCLE_1)
	s_and_not1_b32 vcc_lo, exec_lo, s19
	s_cbranch_vccnz .LBB206_133
; %bb.132:
	s_wait_xcnt 0x0
	v_cvt_f16_i16_e32 v2, v4
	global_store_b16 v[0:1], v2, off
.LBB206_133:
	s_mov_b32 s19, 0
.LBB206_134:
	s_delay_alu instid0(SALU_CYCLE_1)
	s_and_not1_b32 vcc_lo, exec_lo, s19
	s_cbranch_vccnz .LBB206_150
; %bb.135:
	s_cmp_lt_i32 s14, 2
	s_mov_b32 s19, -1
	s_cbranch_scc1 .LBB206_145
; %bb.136:
	s_cmp_lt_i32 s14, 3
	s_cbranch_scc1 .LBB206_142
; %bb.137:
	s_wait_xcnt 0x0
	v_bfe_i32 v2, v4, 0, 16
	s_cmp_gt_i32 s14, 3
	s_cbranch_scc0 .LBB206_139
; %bb.138:
	s_delay_alu instid0(VALU_DEP_1)
	v_ashrrev_i32_e32 v3, 31, v2
	s_mov_b32 s19, 0
	global_store_b64 v[0:1], v[2:3], off
.LBB206_139:
	s_and_not1_b32 vcc_lo, exec_lo, s19
	s_cbranch_vccnz .LBB206_141
; %bb.140:
	global_store_b32 v[0:1], v2, off
.LBB206_141:
	s_mov_b32 s19, 0
.LBB206_142:
	s_delay_alu instid0(SALU_CYCLE_1)
	s_and_not1_b32 vcc_lo, exec_lo, s19
	s_cbranch_vccnz .LBB206_144
; %bb.143:
	global_store_b16 v[0:1], v4, off
.LBB206_144:
	s_mov_b32 s19, 0
.LBB206_145:
	s_delay_alu instid0(SALU_CYCLE_1)
	s_and_not1_b32 vcc_lo, exec_lo, s19
	s_cbranch_vccnz .LBB206_150
; %bb.146:
	s_cmp_gt_i32 s14, 0
	s_mov_b32 s14, -1
	s_cbranch_scc0 .LBB206_148
; %bb.147:
	s_mov_b32 s14, 0
	global_store_b8 v[0:1], v4, off
.LBB206_148:
	s_and_not1_b32 vcc_lo, exec_lo, s14
	s_cbranch_vccnz .LBB206_150
; %bb.149:
	global_store_b8 v[0:1], v4, off
.LBB206_150:
.LBB206_151:
	v_add_nc_u32_e32 v6, 0x80, v6
	s_mov_b32 s19, -1
	s_branch .LBB206_258
.LBB206_152:
	s_mov_b32 s16, -1
                                        ; implicit-def: $vgpr2
.LBB206_153:
	s_mov_b32 s19, 0
.LBB206_154:
	s_delay_alu instid0(SALU_CYCLE_1)
	s_and_b32 vcc_lo, exec_lo, s19
	s_cbranch_vccz .LBB206_158
; %bb.155:
	s_cmp_eq_u32 s0, 29
	s_cbranch_scc0 .LBB206_157
; %bb.156:
	global_load_b64 v[2:3], v[0:1], off
	s_mov_b32 s14, -1
	s_mov_b32 s16, 0
	s_branch .LBB206_158
.LBB206_157:
	s_mov_b32 s16, -1
                                        ; implicit-def: $vgpr2
.LBB206_158:
	s_mov_b32 s19, 0
.LBB206_159:
	s_delay_alu instid0(SALU_CYCLE_1)
	s_and_b32 vcc_lo, exec_lo, s19
	s_cbranch_vccz .LBB206_175
; %bb.160:
	s_cmp_lt_i32 s0, 27
	s_cbranch_scc1 .LBB206_163
; %bb.161:
	s_cmp_gt_i32 s0, 27
	s_cbranch_scc0 .LBB206_164
; %bb.162:
	s_wait_loadcnt 0x0
	global_load_b32 v2, v[0:1], off
	s_mov_b32 s14, 0
	s_branch .LBB206_165
.LBB206_163:
	s_mov_b32 s14, -1
                                        ; implicit-def: $vgpr2
	s_branch .LBB206_168
.LBB206_164:
	s_mov_b32 s14, -1
                                        ; implicit-def: $vgpr2
.LBB206_165:
	s_delay_alu instid0(SALU_CYCLE_1)
	s_and_not1_b32 vcc_lo, exec_lo, s14
	s_cbranch_vccnz .LBB206_167
; %bb.166:
	s_wait_loadcnt 0x0
	global_load_u16 v2, v[0:1], off
.LBB206_167:
	s_mov_b32 s14, 0
.LBB206_168:
	s_delay_alu instid0(SALU_CYCLE_1)
	s_and_not1_b32 vcc_lo, exec_lo, s14
	s_cbranch_vccnz .LBB206_174
; %bb.169:
	s_wait_loadcnt 0x0
	global_load_u8 v3, v[0:1], off
	s_mov_b32 s19, 0
	s_mov_b32 s14, exec_lo
	s_wait_loadcnt 0x0
	v_cmpx_lt_i16_e32 0x7f, v3
	s_xor_b32 s14, exec_lo, s14
	s_cbranch_execz .LBB206_185
; %bb.170:
	v_cmp_ne_u16_e32 vcc_lo, 0x80, v3
	s_and_b32 s19, vcc_lo, exec_lo
	s_and_not1_saveexec_b32 s14, s14
	s_cbranch_execnz .LBB206_186
.LBB206_171:
	s_or_b32 exec_lo, exec_lo, s14
	v_mov_b32_e32 v2, 0
	s_and_saveexec_b32 s14, s19
	s_cbranch_execz .LBB206_173
.LBB206_172:
	v_and_b32_e32 v2, 0xffff, v3
	s_delay_alu instid0(VALU_DEP_1) | instskip(SKIP_1) | instid1(VALU_DEP_2)
	v_and_b32_e32 v4, 7, v2
	v_bfe_u32 v8, v2, 3, 4
	v_clz_i32_u32_e32 v5, v4
	s_delay_alu instid0(VALU_DEP_2) | instskip(NEXT) | instid1(VALU_DEP_2)
	v_cmp_eq_u32_e32 vcc_lo, 0, v8
	v_min_u32_e32 v5, 32, v5
	s_delay_alu instid0(VALU_DEP_1) | instskip(NEXT) | instid1(VALU_DEP_1)
	v_subrev_nc_u32_e32 v7, 28, v5
	v_dual_lshlrev_b32 v2, v7, v2 :: v_dual_sub_nc_u32 v5, 29, v5
	s_delay_alu instid0(VALU_DEP_1) | instskip(NEXT) | instid1(VALU_DEP_2)
	v_dual_lshlrev_b32 v3, 24, v3 :: v_dual_bitop2_b32 v2, 7, v2 bitop3:0x40
	v_cndmask_b32_e32 v5, v8, v5, vcc_lo
	s_delay_alu instid0(VALU_DEP_2) | instskip(NEXT) | instid1(VALU_DEP_3)
	v_cndmask_b32_e32 v2, v4, v2, vcc_lo
	v_and_b32_e32 v3, 0x80000000, v3
	s_delay_alu instid0(VALU_DEP_3) | instskip(NEXT) | instid1(VALU_DEP_3)
	v_lshl_add_u32 v4, v5, 23, 0x3b800000
	v_lshlrev_b32_e32 v2, 20, v2
	s_delay_alu instid0(VALU_DEP_1) | instskip(NEXT) | instid1(VALU_DEP_1)
	v_or3_b32 v2, v3, v4, v2
	v_cvt_i32_f32_e32 v2, v2
.LBB206_173:
	s_or_b32 exec_lo, exec_lo, s14
.LBB206_174:
	s_mov_b32 s14, -1
.LBB206_175:
	s_branch .LBB206_208
.LBB206_176:
	s_cmp_gt_i32 s0, 22
	s_cbranch_scc0 .LBB206_184
; %bb.177:
	s_cmp_lt_i32 s0, 24
	s_cbranch_scc1 .LBB206_187
; %bb.178:
	s_cmp_gt_i32 s0, 24
	s_cbranch_scc0 .LBB206_188
; %bb.179:
	s_wait_loadcnt 0x0
	global_load_u8 v3, v[0:1], off
	s_mov_b32 s19, 0
	s_mov_b32 s14, exec_lo
	s_wait_loadcnt 0x0
	v_cmpx_lt_i16_e32 0x7f, v3
	s_xor_b32 s14, exec_lo, s14
	s_cbranch_execz .LBB206_200
; %bb.180:
	v_cmp_ne_u16_e32 vcc_lo, 0x80, v3
	s_and_b32 s19, vcc_lo, exec_lo
	s_and_not1_saveexec_b32 s14, s14
	s_cbranch_execnz .LBB206_201
.LBB206_181:
	s_or_b32 exec_lo, exec_lo, s14
	v_mov_b32_e32 v2, 0
	s_and_saveexec_b32 s14, s19
	s_cbranch_execz .LBB206_183
.LBB206_182:
	v_and_b32_e32 v2, 0xffff, v3
	s_delay_alu instid0(VALU_DEP_1) | instskip(SKIP_1) | instid1(VALU_DEP_2)
	v_and_b32_e32 v4, 3, v2
	v_bfe_u32 v8, v2, 2, 5
	v_clz_i32_u32_e32 v5, v4
	s_delay_alu instid0(VALU_DEP_2) | instskip(NEXT) | instid1(VALU_DEP_2)
	v_cmp_eq_u32_e32 vcc_lo, 0, v8
	v_min_u32_e32 v5, 32, v5
	s_delay_alu instid0(VALU_DEP_1) | instskip(NEXT) | instid1(VALU_DEP_1)
	v_subrev_nc_u32_e32 v7, 29, v5
	v_dual_lshlrev_b32 v2, v7, v2 :: v_dual_sub_nc_u32 v5, 30, v5
	s_delay_alu instid0(VALU_DEP_1) | instskip(NEXT) | instid1(VALU_DEP_2)
	v_dual_lshlrev_b32 v3, 24, v3 :: v_dual_bitop2_b32 v2, 3, v2 bitop3:0x40
	v_cndmask_b32_e32 v5, v8, v5, vcc_lo
	s_delay_alu instid0(VALU_DEP_2) | instskip(NEXT) | instid1(VALU_DEP_3)
	v_cndmask_b32_e32 v2, v4, v2, vcc_lo
	v_and_b32_e32 v3, 0x80000000, v3
	s_delay_alu instid0(VALU_DEP_3) | instskip(NEXT) | instid1(VALU_DEP_3)
	v_lshl_add_u32 v4, v5, 23, 0x37800000
	v_lshlrev_b32_e32 v2, 21, v2
	s_delay_alu instid0(VALU_DEP_1) | instskip(NEXT) | instid1(VALU_DEP_1)
	v_or3_b32 v2, v3, v4, v2
	v_cvt_i32_f32_e32 v2, v2
.LBB206_183:
	s_or_b32 exec_lo, exec_lo, s14
	s_mov_b32 s14, 0
	s_branch .LBB206_189
.LBB206_184:
	s_mov_b32 s19, -1
                                        ; implicit-def: $vgpr2
	s_branch .LBB206_195
.LBB206_185:
	s_and_not1_saveexec_b32 s14, s14
	s_cbranch_execz .LBB206_171
.LBB206_186:
	v_cmp_ne_u16_e32 vcc_lo, 0, v3
	s_and_not1_b32 s19, s19, exec_lo
	s_and_b32 s20, vcc_lo, exec_lo
	s_delay_alu instid0(SALU_CYCLE_1)
	s_or_b32 s19, s19, s20
	s_or_b32 exec_lo, exec_lo, s14
	v_mov_b32_e32 v2, 0
	s_and_saveexec_b32 s14, s19
	s_cbranch_execnz .LBB206_172
	s_branch .LBB206_173
.LBB206_187:
	s_mov_b32 s14, -1
                                        ; implicit-def: $vgpr2
	s_branch .LBB206_192
.LBB206_188:
	s_mov_b32 s14, -1
                                        ; implicit-def: $vgpr2
.LBB206_189:
	s_delay_alu instid0(SALU_CYCLE_1)
	s_and_b32 vcc_lo, exec_lo, s14
	s_cbranch_vccz .LBB206_191
; %bb.190:
	s_wait_loadcnt 0x0
	global_load_u8 v2, v[0:1], off
	s_wait_loadcnt 0x0
	v_lshlrev_b32_e32 v2, 24, v2
	s_delay_alu instid0(VALU_DEP_1) | instskip(NEXT) | instid1(VALU_DEP_1)
	v_and_b32_e32 v3, 0x7f000000, v2
	v_clz_i32_u32_e32 v4, v3
	v_add_nc_u32_e32 v7, 0x1000000, v3
	v_cmp_ne_u32_e32 vcc_lo, 0, v3
	s_delay_alu instid0(VALU_DEP_3) | instskip(NEXT) | instid1(VALU_DEP_1)
	v_min_u32_e32 v4, 32, v4
	v_sub_nc_u32_e64 v4, v4, 4 clamp
	s_delay_alu instid0(VALU_DEP_1) | instskip(NEXT) | instid1(VALU_DEP_1)
	v_dual_lshlrev_b32 v5, v4, v3 :: v_dual_lshlrev_b32 v4, 23, v4
	v_lshrrev_b32_e32 v5, 4, v5
	s_delay_alu instid0(VALU_DEP_1) | instskip(NEXT) | instid1(VALU_DEP_1)
	v_dual_sub_nc_u32 v4, v5, v4 :: v_dual_ashrrev_i32 v5, 8, v7
	v_add_nc_u32_e32 v4, 0x3c000000, v4
	s_delay_alu instid0(VALU_DEP_1) | instskip(NEXT) | instid1(VALU_DEP_1)
	v_and_or_b32 v4, 0x7f800000, v5, v4
	v_cndmask_b32_e32 v3, 0, v4, vcc_lo
	s_delay_alu instid0(VALU_DEP_1) | instskip(NEXT) | instid1(VALU_DEP_1)
	v_and_or_b32 v2, 0x80000000, v2, v3
	v_cvt_i32_f32_e32 v2, v2
.LBB206_191:
	s_mov_b32 s14, 0
.LBB206_192:
	s_delay_alu instid0(SALU_CYCLE_1)
	s_and_not1_b32 vcc_lo, exec_lo, s14
	s_cbranch_vccnz .LBB206_194
; %bb.193:
	s_wait_loadcnt 0x0
	global_load_u8 v2, v[0:1], off
	s_wait_loadcnt 0x0
	v_lshlrev_b32_e32 v3, 25, v2
	v_lshlrev_b16 v2, 8, v2
	s_delay_alu instid0(VALU_DEP_1) | instskip(SKIP_1) | instid1(VALU_DEP_2)
	v_and_or_b32 v5, 0x7f00, v2, 0.5
	v_bfe_i32 v2, v2, 0, 16
	v_dual_add_f32 v5, -0.5, v5 :: v_dual_lshrrev_b32 v4, 4, v3
	v_cmp_gt_u32_e32 vcc_lo, 0x8000000, v3
	s_delay_alu instid0(VALU_DEP_2) | instskip(NEXT) | instid1(VALU_DEP_1)
	v_or_b32_e32 v4, 0x70000000, v4
	v_mul_f32_e32 v4, 0x7800000, v4
	s_delay_alu instid0(VALU_DEP_1) | instskip(NEXT) | instid1(VALU_DEP_1)
	v_cndmask_b32_e32 v3, v4, v5, vcc_lo
	v_and_or_b32 v2, 0x80000000, v2, v3
	s_delay_alu instid0(VALU_DEP_1)
	v_cvt_i32_f32_e32 v2, v2
.LBB206_194:
	s_mov_b32 s19, 0
	s_mov_b32 s14, -1
.LBB206_195:
	s_and_not1_b32 vcc_lo, exec_lo, s19
	s_cbranch_vccnz .LBB206_208
; %bb.196:
	s_cmp_gt_i32 s0, 14
	s_cbranch_scc0 .LBB206_199
; %bb.197:
	s_cmp_eq_u32 s0, 15
	s_cbranch_scc0 .LBB206_202
; %bb.198:
	s_wait_loadcnt 0x0
	global_load_u16 v2, v[0:1], off
	s_mov_b32 s14, -1
	s_mov_b32 s16, 0
	s_wait_loadcnt 0x0
	v_lshlrev_b32_e32 v2, 16, v2
	s_delay_alu instid0(VALU_DEP_1)
	v_cvt_i32_f32_e32 v2, v2
	s_branch .LBB206_203
.LBB206_199:
	s_mov_b32 s19, -1
                                        ; implicit-def: $vgpr2
	s_branch .LBB206_204
.LBB206_200:
	s_and_not1_saveexec_b32 s14, s14
	s_cbranch_execz .LBB206_181
.LBB206_201:
	v_cmp_ne_u16_e32 vcc_lo, 0, v3
	s_and_not1_b32 s19, s19, exec_lo
	s_and_b32 s20, vcc_lo, exec_lo
	s_delay_alu instid0(SALU_CYCLE_1)
	s_or_b32 s19, s19, s20
	s_or_b32 exec_lo, exec_lo, s14
	v_mov_b32_e32 v2, 0
	s_and_saveexec_b32 s14, s19
	s_cbranch_execnz .LBB206_182
	s_branch .LBB206_183
.LBB206_202:
	s_mov_b32 s16, -1
                                        ; implicit-def: $vgpr2
.LBB206_203:
	s_mov_b32 s19, 0
.LBB206_204:
	s_delay_alu instid0(SALU_CYCLE_1)
	s_and_b32 vcc_lo, exec_lo, s19
	s_cbranch_vccz .LBB206_208
; %bb.205:
	s_cmp_eq_u32 s0, 11
	s_cbranch_scc0 .LBB206_207
; %bb.206:
	s_wait_loadcnt 0x0
	global_load_u8 v2, v[0:1], off
	s_mov_b32 s16, 0
	s_mov_b32 s14, -1
	s_wait_loadcnt 0x0
	v_cmp_ne_u16_e32 vcc_lo, 0, v2
	v_cndmask_b32_e64 v2, 0, 1, vcc_lo
	s_branch .LBB206_208
.LBB206_207:
	s_mov_b32 s16, -1
                                        ; implicit-def: $vgpr2
.LBB206_208:
	s_branch .LBB206_10
.LBB206_209:
	s_cmp_lt_i32 s0, 5
	s_cbranch_scc1 .LBB206_214
; %bb.210:
	s_cmp_lt_i32 s0, 8
	s_cbranch_scc1 .LBB206_215
; %bb.211:
	;; [unrolled: 3-line block ×3, first 2 shown]
	s_cmp_gt_i32 s0, 9
	s_cbranch_scc0 .LBB206_217
; %bb.213:
	s_wait_loadcnt 0x0
	global_load_b64 v[2:3], v[0:1], off
	s_mov_b32 s14, 0
	s_wait_loadcnt 0x0
	v_cvt_i32_f64_e32 v2, v[2:3]
	s_branch .LBB206_218
.LBB206_214:
                                        ; implicit-def: $vgpr2
	s_branch .LBB206_236
.LBB206_215:
	s_mov_b32 s14, -1
                                        ; implicit-def: $vgpr2
	s_branch .LBB206_224
.LBB206_216:
	s_mov_b32 s14, -1
                                        ; implicit-def: $vgpr2
	s_branch .LBB206_221
.LBB206_217:
	s_mov_b32 s14, -1
                                        ; implicit-def: $vgpr2
.LBB206_218:
	s_delay_alu instid0(SALU_CYCLE_1)
	s_and_not1_b32 vcc_lo, exec_lo, s14
	s_cbranch_vccnz .LBB206_220
; %bb.219:
	s_wait_loadcnt 0x0
	global_load_b32 v2, v[0:1], off
	s_wait_loadcnt 0x0
	v_cvt_i32_f32_e32 v2, v2
.LBB206_220:
	s_mov_b32 s14, 0
.LBB206_221:
	s_delay_alu instid0(SALU_CYCLE_1)
	s_and_not1_b32 vcc_lo, exec_lo, s14
	s_cbranch_vccnz .LBB206_223
; %bb.222:
	s_wait_loadcnt 0x0
	global_load_b32 v2, v[0:1], off
	s_wait_loadcnt 0x0
	v_cvt_i16_f16_e32 v2, v2
.LBB206_223:
	s_mov_b32 s14, 0
.LBB206_224:
	s_delay_alu instid0(SALU_CYCLE_1)
	s_and_not1_b32 vcc_lo, exec_lo, s14
	s_cbranch_vccnz .LBB206_235
; %bb.225:
	s_cmp_lt_i32 s0, 6
	s_cbranch_scc1 .LBB206_228
; %bb.226:
	s_cmp_gt_i32 s0, 6
	s_cbranch_scc0 .LBB206_229
; %bb.227:
	s_wait_loadcnt 0x0
	global_load_b64 v[2:3], v[0:1], off
	s_mov_b32 s14, 0
	s_wait_loadcnt 0x0
	v_cvt_i32_f64_e32 v2, v[2:3]
	s_branch .LBB206_230
.LBB206_228:
	s_mov_b32 s14, -1
                                        ; implicit-def: $vgpr2
	s_branch .LBB206_233
.LBB206_229:
	s_mov_b32 s14, -1
                                        ; implicit-def: $vgpr2
.LBB206_230:
	s_delay_alu instid0(SALU_CYCLE_1)
	s_and_not1_b32 vcc_lo, exec_lo, s14
	s_cbranch_vccnz .LBB206_232
; %bb.231:
	s_wait_loadcnt 0x0
	global_load_b32 v2, v[0:1], off
	s_wait_loadcnt 0x0
	v_cvt_i32_f32_e32 v2, v2
.LBB206_232:
	s_mov_b32 s14, 0
.LBB206_233:
	s_delay_alu instid0(SALU_CYCLE_1)
	s_and_not1_b32 vcc_lo, exec_lo, s14
	s_cbranch_vccnz .LBB206_235
; %bb.234:
	s_wait_loadcnt 0x0
	global_load_u16 v2, v[0:1], off
	s_wait_loadcnt 0x0
	v_cvt_i16_f16_e32 v2, v2
.LBB206_235:
	s_cbranch_execnz .LBB206_255
.LBB206_236:
	s_cmp_lt_i32 s0, 2
	s_cbranch_scc1 .LBB206_240
; %bb.237:
	s_cmp_lt_i32 s0, 3
	s_cbranch_scc1 .LBB206_241
; %bb.238:
	s_cmp_gt_i32 s0, 3
	s_cbranch_scc0 .LBB206_242
; %bb.239:
	s_wait_loadcnt 0x0
	global_load_b64 v[2:3], v[0:1], off
	s_mov_b32 s14, 0
	s_branch .LBB206_243
.LBB206_240:
	s_mov_b32 s14, -1
                                        ; implicit-def: $vgpr2
	s_branch .LBB206_249
.LBB206_241:
	s_mov_b32 s14, -1
                                        ; implicit-def: $vgpr2
	s_branch .LBB206_246
.LBB206_242:
	s_mov_b32 s14, -1
                                        ; implicit-def: $vgpr2
.LBB206_243:
	s_delay_alu instid0(SALU_CYCLE_1)
	s_and_not1_b32 vcc_lo, exec_lo, s14
	s_cbranch_vccnz .LBB206_245
; %bb.244:
	s_wait_loadcnt 0x0
	global_load_b32 v2, v[0:1], off
.LBB206_245:
	s_mov_b32 s14, 0
.LBB206_246:
	s_delay_alu instid0(SALU_CYCLE_1)
	s_and_not1_b32 vcc_lo, exec_lo, s14
	s_cbranch_vccnz .LBB206_248
; %bb.247:
	s_wait_loadcnt 0x0
	global_load_u16 v2, v[0:1], off
.LBB206_248:
	s_mov_b32 s14, 0
.LBB206_249:
	s_delay_alu instid0(SALU_CYCLE_1)
	s_and_not1_b32 vcc_lo, exec_lo, s14
	s_cbranch_vccnz .LBB206_255
; %bb.250:
	s_cmp_gt_i32 s0, 0
	s_mov_b32 s0, 0
	s_cbranch_scc0 .LBB206_252
; %bb.251:
	s_wait_loadcnt 0x0
	global_load_i8 v2, v[0:1], off
	s_branch .LBB206_253
.LBB206_252:
	s_mov_b32 s0, -1
                                        ; implicit-def: $vgpr2
.LBB206_253:
	s_delay_alu instid0(SALU_CYCLE_1)
	s_and_not1_b32 vcc_lo, exec_lo, s0
	s_cbranch_vccnz .LBB206_255
; %bb.254:
	s_wait_loadcnt 0x0
	global_load_u8 v2, v[0:1], off
.LBB206_255:
	s_branch .LBB206_11
.LBB206_256:
	s_mov_b32 s0, 0
.LBB206_257:
	s_mov_b32 s19, 0
                                        ; implicit-def: $vgpr6
.LBB206_258:
	s_and_b32 s14, s0, exec_lo
	s_and_b32 s16, s16, exec_lo
	s_or_not1_b32 s20, s19, exec_lo
.LBB206_259:
	s_wait_xcnt 0x0
	s_or_b32 exec_lo, exec_lo, s17
	s_mov_b32 s19, 0
	s_mov_b32 s0, 0
                                        ; implicit-def: $vgpr0_vgpr1
                                        ; implicit-def: $vgpr2
	s_and_saveexec_b32 s17, s20
	s_cbranch_execz .LBB206_268
; %bb.260:
	s_mov_b32 s0, -1
	s_mov_b32 s18, s16
	s_mov_b32 s19, s14
	s_mov_b32 s20, exec_lo
	v_cmpx_gt_i32_e64 s15, v6
	s_cbranch_execz .LBB206_529
; %bb.261:
	v_mul_lo_u32 v0, v6, s9
	s_and_b32 s0, 0xffff, s12
	s_delay_alu instid0(SALU_CYCLE_1) | instskip(NEXT) | instid1(VALU_DEP_1)
	s_cmp_lt_i32 s0, 11
	v_ashrrev_i32_e32 v1, 31, v0
	s_delay_alu instid0(VALU_DEP_1)
	v_add_nc_u64_e32 v[0:1], s[6:7], v[0:1]
	s_cbranch_scc1 .LBB206_271
; %bb.262:
	s_cmp_gt_i32 s0, 25
	s_cbranch_scc0 .LBB206_276
; %bb.263:
	s_cmp_gt_i32 s0, 28
	s_cbranch_scc0 .LBB206_280
	;; [unrolled: 3-line block ×4, first 2 shown]
; %bb.266:
	s_cmp_eq_u32 s0, 46
	s_mov_b32 s21, 0
	s_cbranch_scc0 .LBB206_303
; %bb.267:
	s_wait_loadcnt 0x0
	global_load_b32 v2, v[0:1], off
	s_mov_b32 s19, -1
	s_mov_b32 s18, 0
	s_wait_loadcnt 0x0
	v_lshlrev_b32_e32 v2, 16, v2
	s_delay_alu instid0(VALU_DEP_1)
	v_cvt_i32_f32_e32 v2, v2
	s_branch .LBB206_305
.LBB206_268:
	s_or_b32 exec_lo, exec_lo, s17
	s_mov_b32 s15, 0
	s_and_saveexec_b32 s17, s16
	s_cbranch_execnz .LBB206_881
.LBB206_269:
	s_or_b32 exec_lo, exec_lo, s17
	s_and_saveexec_b32 s16, s18
	s_delay_alu instid0(SALU_CYCLE_1)
	s_xor_b32 s16, exec_lo, s16
	s_cbranch_execz .LBB206_882
.LBB206_270:
	s_wait_loadcnt 0x0
	global_load_u8 v2, v[0:1], off
	s_or_b32 s0, s0, exec_lo
	s_wait_loadcnt 0x0
	v_cmp_ne_u16_e32 vcc_lo, 0, v2
	v_cndmask_b32_e64 v2, 0, 1, vcc_lo
	s_wait_xcnt 0x0
	s_or_b32 exec_lo, exec_lo, s16
	s_and_saveexec_b32 s16, s19
	s_cbranch_execz .LBB206_928
	s_branch .LBB206_883
.LBB206_271:
	s_mov_b32 s19, 0
	s_mov_b32 s18, s16
                                        ; implicit-def: $vgpr2
	s_cbranch_execnz .LBB206_478
.LBB206_272:
	s_and_not1_b32 vcc_lo, exec_lo, s19
	s_cbranch_vccnz .LBB206_526
.LBB206_273:
	s_cmp_lt_i32 s10, 1
	s_mov_b32 s0, 0
	s_cbranch_scc1 .LBB206_277
; %bb.274:
	s_cmp_eq_u32 s10, 1
	s_cbranch_scc0 .LBB206_281
; %bb.275:
	s_wait_loadcnt 0x0
	s_delay_alu instid0(VALU_DEP_1)
	v_min_i16 v4, v2, s11
	s_mov_b32 s19, 0
	s_branch .LBB206_282
.LBB206_276:
	s_mov_b32 s21, -1
	s_mov_b32 s19, 0
	s_mov_b32 s18, s16
                                        ; implicit-def: $vgpr2
	s_branch .LBB206_444
.LBB206_277:
	s_mov_b32 s19, 0
                                        ; implicit-def: $vgpr4
	s_cbranch_execnz .LBB206_283
.LBB206_278:
	s_wait_loadcnt 0x0
	s_delay_alu instid0(VALU_DEP_1)
	v_max_i16 v0, v2, s11
	s_and_not1_b32 vcc_lo, exec_lo, s19
	s_cbranch_vccnz .LBB206_284
.LBB206_279:
	v_max_i16 v1, v2, s11
	s_delay_alu instid0(VALU_DEP_1)
	v_min_i16 v4, v1, s1
	s_cbranch_execz .LBB206_285
	s_branch .LBB206_286
.LBB206_280:
	s_mov_b32 s21, -1
	s_mov_b32 s19, 0
	s_mov_b32 s18, s16
                                        ; implicit-def: $vgpr2
	s_branch .LBB206_427
.LBB206_281:
	s_mov_b32 s19, -1
                                        ; implicit-def: $vgpr4
.LBB206_282:
	s_branch .LBB206_278
.LBB206_283:
	s_cmp_lg_u32 s10, 0
	s_mov_b32 s0, -1
	s_cselect_b32 s19, -1, 0
	s_wait_loadcnt 0x0
	s_delay_alu instid0(VALU_DEP_1)
	v_max_i16 v0, v2, s11
	s_and_not1_b32 vcc_lo, exec_lo, s19
	s_cbranch_vccz .LBB206_279
.LBB206_284:
	s_and_not1_b32 vcc_lo, exec_lo, s0
	s_cbranch_vccnz .LBB206_286
.LBB206_285:
	v_mov_b32_e32 v4, v0
.LBB206_286:
	v_mul_lo_u32 v0, v6, s8
	s_and_b32 s19, s2, 0xff
	s_delay_alu instid0(SALU_CYCLE_1) | instskip(NEXT) | instid1(VALU_DEP_1)
	s_cmp_lt_i32 s19, 11
	v_ashrrev_i32_e32 v1, 31, v0
	s_delay_alu instid0(VALU_DEP_1)
	v_add_nc_u64_e32 v[0:1], s[4:5], v[0:1]
	s_cbranch_scc1 .LBB206_293
; %bb.287:
	s_and_b32 s21, 0xffff, s19
	s_delay_alu instid0(SALU_CYCLE_1)
	s_cmp_gt_i32 s21, 25
	s_cbranch_scc0 .LBB206_294
; %bb.288:
	s_cmp_gt_i32 s21, 28
	s_cbranch_scc0 .LBB206_296
; %bb.289:
	;; [unrolled: 3-line block ×4, first 2 shown]
	s_mov_b32 s23, 0
	s_mov_b32 s0, -1
	s_cmp_eq_u32 s21, 46
	s_mov_b32 s22, 0
	s_cbranch_scc0 .LBB206_309
; %bb.292:
	v_bfe_i32 v2, v4, 0, 16
	s_mov_b32 s22, -1
	s_mov_b32 s0, 0
	s_delay_alu instid0(VALU_DEP_1) | instskip(NEXT) | instid1(VALU_DEP_1)
	v_cvt_f32_i32_e32 v2, v2
	v_bfe_u32 v3, v2, 16, 1
	s_delay_alu instid0(VALU_DEP_1) | instskip(NEXT) | instid1(VALU_DEP_1)
	v_add3_u32 v2, v2, v3, 0x7fff
	v_lshrrev_b32_e32 v2, 16, v2
	global_store_b32 v[0:1], v2, off
	s_branch .LBB206_309
.LBB206_293:
	s_mov_b32 s21, -1
	s_mov_b32 s22, 0
	s_mov_b32 s0, s14
	s_branch .LBB206_378
.LBB206_294:
	s_mov_b32 s23, -1
	s_mov_b32 s22, 0
	s_mov_b32 s0, s14
	s_branch .LBB206_336
.LBB206_295:
	s_mov_b32 s21, -1
	s_mov_b32 s19, 0
	s_mov_b32 s18, s16
                                        ; implicit-def: $vgpr2
	s_branch .LBB206_422
.LBB206_296:
	s_mov_b32 s23, -1
	s_mov_b32 s22, 0
	s_mov_b32 s0, s14
	s_branch .LBB206_319
.LBB206_297:
	s_and_not1_saveexec_b32 s22, s22
	s_cbranch_execz .LBB206_65
.LBB206_298:
	v_add_f32_e64 v3, 0x46000000, |v2|
	s_and_not1_b32 s21, s21, exec_lo
	s_delay_alu instid0(VALU_DEP_1) | instskip(NEXT) | instid1(VALU_DEP_1)
	v_and_b32_e32 v3, 0xff, v3
	v_cmp_ne_u32_e32 vcc_lo, 0, v3
	s_and_b32 s23, vcc_lo, exec_lo
	s_delay_alu instid0(SALU_CYCLE_1)
	s_or_b32 s21, s21, s23
	s_or_b32 exec_lo, exec_lo, s22
	v_mov_b32_e32 v5, 0
	s_and_saveexec_b32 s22, s21
	s_cbranch_execnz .LBB206_66
	s_branch .LBB206_67
.LBB206_299:
	s_mov_b32 s21, -1
	s_mov_b32 s19, 0
	s_mov_b32 s18, s16
	s_branch .LBB206_304
.LBB206_300:
	s_mov_b32 s23, -1
	s_mov_b32 s22, 0
	s_mov_b32 s0, s14
	s_branch .LBB206_315
.LBB206_301:
	s_and_not1_saveexec_b32 s22, s22
	s_cbranch_execz .LBB206_78
.LBB206_302:
	v_add_f32_e64 v3, 0x42800000, |v2|
	s_and_not1_b32 s21, s21, exec_lo
	s_delay_alu instid0(VALU_DEP_1) | instskip(NEXT) | instid1(VALU_DEP_1)
	v_and_b32_e32 v3, 0xff, v3
	v_cmp_ne_u32_e32 vcc_lo, 0, v3
	s_and_b32 s23, vcc_lo, exec_lo
	s_delay_alu instid0(SALU_CYCLE_1)
	s_or_b32 s21, s21, s23
	s_or_b32 exec_lo, exec_lo, s22
	v_mov_b32_e32 v5, 0
	s_and_saveexec_b32 s22, s21
	s_cbranch_execnz .LBB206_79
	s_branch .LBB206_80
.LBB206_303:
	s_mov_b32 s18, -1
	s_mov_b32 s19, 0
.LBB206_304:
                                        ; implicit-def: $vgpr2
.LBB206_305:
	s_and_b32 vcc_lo, exec_lo, s21
	s_cbranch_vccz .LBB206_421
; %bb.306:
	s_cmp_eq_u32 s0, 44
	s_cbranch_scc0 .LBB206_420
; %bb.307:
	s_wait_loadcnt 0x0
	global_load_u8 v2, v[0:1], off
	s_mov_b32 s18, 0
	s_mov_b32 s19, -1
	s_wait_loadcnt 0x0
	v_lshlrev_b32_e32 v3, 23, v2
	v_cmp_ne_u32_e32 vcc_lo, 0, v2
	s_delay_alu instid0(VALU_DEP_2) | instskip(NEXT) | instid1(VALU_DEP_1)
	v_cvt_i32_f32_e32 v3, v3
	v_cndmask_b32_e32 v2, 0, v3, vcc_lo
	s_branch .LBB206_421
.LBB206_308:
	s_mov_b32 s23, -1
	s_mov_b32 s22, 0
	s_mov_b32 s0, s14
.LBB206_309:
	s_and_b32 vcc_lo, exec_lo, s23
	s_cbranch_vccz .LBB206_314
; %bb.310:
	s_cmp_eq_u32 s21, 44
	s_mov_b32 s0, -1
	s_cbranch_scc0 .LBB206_314
; %bb.311:
	s_wait_xcnt 0x0
	v_bfe_i32 v2, v4, 0, 16
	v_mov_b32_e32 v3, 0xff
	s_mov_b32 s22, exec_lo
	s_delay_alu instid0(VALU_DEP_2) | instskip(NEXT) | instid1(VALU_DEP_1)
	v_cvt_f32_i32_e32 v2, v2
	v_bfe_u32 v5, v2, 23, 8
	s_delay_alu instid0(VALU_DEP_1)
	v_cmpx_ne_u32_e32 0xff, v5
	s_cbranch_execz .LBB206_313
; %bb.312:
	v_and_b32_e32 v3, 0x400000, v2
	v_and_or_b32 v5, 0x3fffff, v2, v5
	v_lshrrev_b32_e32 v2, 23, v2
	s_delay_alu instid0(VALU_DEP_3) | instskip(NEXT) | instid1(VALU_DEP_3)
	v_cmp_ne_u32_e32 vcc_lo, 0, v3
	v_cmp_ne_u32_e64 s0, 0, v5
	s_and_b32 s0, vcc_lo, s0
	s_delay_alu instid0(SALU_CYCLE_1) | instskip(NEXT) | instid1(VALU_DEP_1)
	v_cndmask_b32_e64 v3, 0, 1, s0
	v_add_nc_u32_e32 v3, v2, v3
.LBB206_313:
	s_or_b32 exec_lo, exec_lo, s22
	s_mov_b32 s22, -1
	s_mov_b32 s0, 0
	global_store_b8 v[0:1], v3, off
.LBB206_314:
	s_mov_b32 s23, 0
.LBB206_315:
	s_delay_alu instid0(SALU_CYCLE_1)
	s_and_b32 vcc_lo, exec_lo, s23
	s_cbranch_vccz .LBB206_318
; %bb.316:
	s_cmp_eq_u32 s21, 29
	s_mov_b32 s0, -1
	s_cbranch_scc0 .LBB206_318
; %bb.317:
	s_wait_xcnt 0x0
	v_bfe_i32 v2, v4, 0, 16
	s_mov_b32 s0, 0
	s_mov_b32 s22, -1
	s_mov_b32 s23, 0
	s_delay_alu instid0(VALU_DEP_1)
	v_ashrrev_i32_e32 v3, 31, v2
	global_store_b64 v[0:1], v[2:3], off
	s_branch .LBB206_319
.LBB206_318:
	s_mov_b32 s23, 0
.LBB206_319:
	s_delay_alu instid0(SALU_CYCLE_1)
	s_and_b32 vcc_lo, exec_lo, s23
	s_cbranch_vccz .LBB206_335
; %bb.320:
	s_cmp_lt_i32 s21, 27
	s_mov_b32 s22, -1
	s_cbranch_scc1 .LBB206_326
; %bb.321:
	s_cmp_gt_i32 s21, 27
	s_cbranch_scc0 .LBB206_323
; %bb.322:
	s_wait_xcnt 0x0
	v_bfe_i32 v2, v4, 0, 16
	s_mov_b32 s22, 0
	global_store_b32 v[0:1], v2, off
.LBB206_323:
	s_and_not1_b32 vcc_lo, exec_lo, s22
	s_cbranch_vccnz .LBB206_325
; %bb.324:
	global_store_b16 v[0:1], v4, off
.LBB206_325:
	s_mov_b32 s22, 0
.LBB206_326:
	s_delay_alu instid0(SALU_CYCLE_1)
	s_and_not1_b32 vcc_lo, exec_lo, s22
	s_cbranch_vccnz .LBB206_334
; %bb.327:
	s_wait_xcnt 0x0
	v_bfe_i32 v2, v4, 0, 16
	v_mov_b32_e32 v5, 0x80
	s_mov_b32 s22, exec_lo
	s_delay_alu instid0(VALU_DEP_2) | instskip(NEXT) | instid1(VALU_DEP_1)
	v_cvt_f32_i32_e32 v2, v2
	v_and_b32_e32 v3, 0x7fffffff, v2
	s_delay_alu instid0(VALU_DEP_1)
	v_cmpx_gt_u32_e32 0x43800000, v3
	s_cbranch_execz .LBB206_333
; %bb.328:
	v_cmp_lt_u32_e32 vcc_lo, 0x3bffffff, v3
	s_mov_b32 s23, 0
                                        ; implicit-def: $vgpr3
	s_and_saveexec_b32 s24, vcc_lo
	s_delay_alu instid0(SALU_CYCLE_1)
	s_xor_b32 s24, exec_lo, s24
	s_cbranch_execz .LBB206_542
; %bb.329:
	v_bfe_u32 v3, v2, 20, 1
	s_mov_b32 s23, exec_lo
	s_delay_alu instid0(VALU_DEP_1) | instskip(NEXT) | instid1(VALU_DEP_1)
	v_add3_u32 v3, v2, v3, 0x487ffff
	v_lshrrev_b32_e32 v3, 20, v3
	s_and_not1_saveexec_b32 s24, s24
	s_cbranch_execnz .LBB206_543
.LBB206_330:
	s_or_b32 exec_lo, exec_lo, s24
	v_mov_b32_e32 v5, 0
	s_and_saveexec_b32 s24, s23
.LBB206_331:
	v_lshrrev_b32_e32 v2, 24, v2
	s_delay_alu instid0(VALU_DEP_1)
	v_and_or_b32 v5, 0x80, v2, v3
.LBB206_332:
	s_or_b32 exec_lo, exec_lo, s24
.LBB206_333:
	s_delay_alu instid0(SALU_CYCLE_1)
	s_or_b32 exec_lo, exec_lo, s22
	global_store_b8 v[0:1], v5, off
.LBB206_334:
	s_mov_b32 s22, -1
.LBB206_335:
	s_mov_b32 s23, 0
.LBB206_336:
	s_delay_alu instid0(SALU_CYCLE_1)
	s_and_b32 vcc_lo, exec_lo, s23
	s_cbranch_vccz .LBB206_377
; %bb.337:
	s_cmp_gt_i32 s21, 22
	s_mov_b32 s23, -1
	s_cbranch_scc0 .LBB206_369
; %bb.338:
	s_cmp_lt_i32 s21, 24
	s_mov_b32 s22, -1
	s_cbranch_scc1 .LBB206_358
; %bb.339:
	s_cmp_gt_i32 s21, 24
	s_cbranch_scc0 .LBB206_347
; %bb.340:
	s_wait_xcnt 0x0
	v_bfe_i32 v2, v4, 0, 16
	v_mov_b32_e32 v5, 0x80
	s_mov_b32 s22, exec_lo
	s_delay_alu instid0(VALU_DEP_2) | instskip(NEXT) | instid1(VALU_DEP_1)
	v_cvt_f32_i32_e32 v2, v2
	v_and_b32_e32 v3, 0x7fffffff, v2
	s_delay_alu instid0(VALU_DEP_1)
	v_cmpx_gt_u32_e32 0x47800000, v3
	s_cbranch_execz .LBB206_346
; %bb.341:
	v_cmp_lt_u32_e32 vcc_lo, 0x37ffffff, v3
	s_mov_b32 s23, 0
                                        ; implicit-def: $vgpr3
	s_and_saveexec_b32 s24, vcc_lo
	s_delay_alu instid0(SALU_CYCLE_1)
	s_xor_b32 s24, exec_lo, s24
	s_cbranch_execz .LBB206_545
; %bb.342:
	v_bfe_u32 v3, v2, 21, 1
	s_mov_b32 s23, exec_lo
	s_delay_alu instid0(VALU_DEP_1) | instskip(NEXT) | instid1(VALU_DEP_1)
	v_add3_u32 v3, v2, v3, 0x88fffff
	v_lshrrev_b32_e32 v3, 21, v3
	s_and_not1_saveexec_b32 s24, s24
	s_cbranch_execnz .LBB206_546
.LBB206_343:
	s_or_b32 exec_lo, exec_lo, s24
	v_mov_b32_e32 v5, 0
	s_and_saveexec_b32 s24, s23
.LBB206_344:
	v_lshrrev_b32_e32 v2, 24, v2
	s_delay_alu instid0(VALU_DEP_1)
	v_and_or_b32 v5, 0x80, v2, v3
.LBB206_345:
	s_or_b32 exec_lo, exec_lo, s24
.LBB206_346:
	s_delay_alu instid0(SALU_CYCLE_1)
	s_or_b32 exec_lo, exec_lo, s22
	s_mov_b32 s22, 0
	global_store_b8 v[0:1], v5, off
.LBB206_347:
	s_and_b32 vcc_lo, exec_lo, s22
	s_cbranch_vccz .LBB206_357
; %bb.348:
	s_wait_xcnt 0x0
	v_bfe_i32 v2, v4, 0, 16
	s_mov_b32 s22, exec_lo
                                        ; implicit-def: $vgpr3
	s_delay_alu instid0(VALU_DEP_1) | instskip(NEXT) | instid1(VALU_DEP_1)
	v_cvt_f32_i32_e32 v2, v2
	v_and_b32_e32 v5, 0x7fffffff, v2
	s_delay_alu instid0(VALU_DEP_1)
	v_cmpx_gt_u32_e32 0x43f00000, v5
	s_xor_b32 s22, exec_lo, s22
	s_cbranch_execz .LBB206_354
; %bb.349:
	s_mov_b32 s23, exec_lo
                                        ; implicit-def: $vgpr3
	v_cmpx_lt_u32_e32 0x3c7fffff, v5
	s_xor_b32 s23, exec_lo, s23
; %bb.350:
	v_bfe_u32 v3, v2, 20, 1
	s_delay_alu instid0(VALU_DEP_1) | instskip(NEXT) | instid1(VALU_DEP_1)
	v_add3_u32 v3, v2, v3, 0x407ffff
	v_and_b32_e32 v5, 0xff00000, v3
	v_lshrrev_b32_e32 v3, 20, v3
	s_delay_alu instid0(VALU_DEP_2) | instskip(NEXT) | instid1(VALU_DEP_2)
	v_cmp_ne_u32_e32 vcc_lo, 0x7f00000, v5
	v_cndmask_b32_e32 v3, 0x7e, v3, vcc_lo
; %bb.351:
	s_and_not1_saveexec_b32 s23, s23
; %bb.352:
	v_add_f32_e64 v3, 0x46800000, |v2|
; %bb.353:
	s_or_b32 exec_lo, exec_lo, s23
                                        ; implicit-def: $vgpr5
.LBB206_354:
	s_and_not1_saveexec_b32 s22, s22
; %bb.355:
	v_mov_b32_e32 v3, 0x7f
	v_cmp_lt_u32_e32 vcc_lo, 0x7f800000, v5
	s_delay_alu instid0(VALU_DEP_2)
	v_cndmask_b32_e32 v3, 0x7e, v3, vcc_lo
; %bb.356:
	s_or_b32 exec_lo, exec_lo, s22
	v_lshrrev_b32_e32 v2, 24, v2
	s_delay_alu instid0(VALU_DEP_1)
	v_and_or_b32 v2, 0x80, v2, v3
	global_store_b8 v[0:1], v2, off
.LBB206_357:
	s_mov_b32 s22, 0
.LBB206_358:
	s_delay_alu instid0(SALU_CYCLE_1)
	s_and_not1_b32 vcc_lo, exec_lo, s22
	s_cbranch_vccnz .LBB206_368
; %bb.359:
	s_wait_xcnt 0x0
	v_bfe_i32 v2, v4, 0, 16
	s_mov_b32 s22, exec_lo
                                        ; implicit-def: $vgpr3
	s_delay_alu instid0(VALU_DEP_1) | instskip(NEXT) | instid1(VALU_DEP_1)
	v_cvt_f32_i32_e32 v2, v2
	v_and_b32_e32 v5, 0x7fffffff, v2
	s_delay_alu instid0(VALU_DEP_1)
	v_cmpx_gt_u32_e32 0x47800000, v5
	s_xor_b32 s22, exec_lo, s22
	s_cbranch_execz .LBB206_365
; %bb.360:
	s_mov_b32 s23, exec_lo
                                        ; implicit-def: $vgpr3
	v_cmpx_lt_u32_e32 0x387fffff, v5
	s_xor_b32 s23, exec_lo, s23
; %bb.361:
	v_bfe_u32 v3, v2, 21, 1
	s_delay_alu instid0(VALU_DEP_1) | instskip(NEXT) | instid1(VALU_DEP_1)
	v_add3_u32 v3, v2, v3, 0x80fffff
	v_lshrrev_b32_e32 v3, 21, v3
; %bb.362:
	s_and_not1_saveexec_b32 s23, s23
; %bb.363:
	v_add_f32_e64 v3, 0x43000000, |v2|
; %bb.364:
	s_or_b32 exec_lo, exec_lo, s23
                                        ; implicit-def: $vgpr5
.LBB206_365:
	s_and_not1_saveexec_b32 s22, s22
; %bb.366:
	v_mov_b32_e32 v3, 0x7f
	v_cmp_lt_u32_e32 vcc_lo, 0x7f800000, v5
	s_delay_alu instid0(VALU_DEP_2)
	v_cndmask_b32_e32 v3, 0x7c, v3, vcc_lo
; %bb.367:
	s_or_b32 exec_lo, exec_lo, s22
	v_lshrrev_b32_e32 v2, 24, v2
	s_delay_alu instid0(VALU_DEP_1)
	v_and_or_b32 v2, 0x80, v2, v3
	global_store_b8 v[0:1], v2, off
.LBB206_368:
	s_mov_b32 s23, 0
	s_mov_b32 s22, -1
.LBB206_369:
	s_and_not1_b32 vcc_lo, exec_lo, s23
	s_cbranch_vccnz .LBB206_377
; %bb.370:
	s_cmp_gt_i32 s21, 14
	s_mov_b32 s23, -1
	s_cbranch_scc0 .LBB206_374
; %bb.371:
	s_cmp_eq_u32 s21, 15
	s_mov_b32 s0, -1
	s_cbranch_scc0 .LBB206_373
; %bb.372:
	s_wait_xcnt 0x0
	v_bfe_i32 v2, v4, 0, 16
	s_mov_b32 s22, -1
	s_mov_b32 s0, 0
	s_delay_alu instid0(VALU_DEP_1) | instskip(NEXT) | instid1(VALU_DEP_1)
	v_cvt_f32_i32_e32 v2, v2
	v_bfe_u32 v3, v2, 16, 1
	s_delay_alu instid0(VALU_DEP_1)
	v_add3_u32 v2, v2, v3, 0x7fff
	global_store_d16_hi_b16 v[0:1], v2, off
.LBB206_373:
	s_mov_b32 s23, 0
.LBB206_374:
	s_delay_alu instid0(SALU_CYCLE_1)
	s_and_b32 vcc_lo, exec_lo, s23
	s_cbranch_vccz .LBB206_377
; %bb.375:
	s_cmp_eq_u32 s21, 11
	s_mov_b32 s0, -1
	s_cbranch_scc0 .LBB206_377
; %bb.376:
	v_cmp_ne_u16_e32 vcc_lo, 0, v4
	s_mov_b32 s0, 0
	s_mov_b32 s22, -1
	s_wait_xcnt 0x0
	v_cndmask_b32_e64 v2, 0, 1, vcc_lo
	global_store_b8 v[0:1], v2, off
.LBB206_377:
	s_mov_b32 s21, 0
.LBB206_378:
	s_delay_alu instid0(SALU_CYCLE_1)
	s_and_b32 vcc_lo, exec_lo, s21
	s_cbranch_vccz .LBB206_417
; %bb.379:
	s_and_b32 s19, 0xffff, s19
	s_mov_b32 s21, -1
	s_cmp_lt_i32 s19, 5
	s_cbranch_scc1 .LBB206_400
; %bb.380:
	s_cmp_lt_i32 s19, 8
	s_cbranch_scc1 .LBB206_390
; %bb.381:
	;; [unrolled: 3-line block ×3, first 2 shown]
	s_cmp_gt_i32 s19, 9
	s_cbranch_scc0 .LBB206_384
; %bb.383:
	s_wait_xcnt 0x0
	v_bfe_i32 v2, v4, 0, 16
	v_mov_b32_e32 v10, 0
	s_mov_b32 s21, 0
	s_delay_alu instid0(VALU_DEP_2) | instskip(NEXT) | instid1(VALU_DEP_2)
	v_cvt_f64_i32_e32 v[8:9], v2
	v_mov_b32_e32 v11, v10
	global_store_b128 v[0:1], v[8:11], off
.LBB206_384:
	s_and_not1_b32 vcc_lo, exec_lo, s21
	s_cbranch_vccnz .LBB206_386
; %bb.385:
	s_wait_xcnt 0x0
	v_bfe_i32 v2, v4, 0, 16
	v_mov_b32_e32 v3, 0
	s_delay_alu instid0(VALU_DEP_2)
	v_cvt_f32_i32_e32 v2, v2
	global_store_b64 v[0:1], v[2:3], off
.LBB206_386:
	s_mov_b32 s21, 0
.LBB206_387:
	s_delay_alu instid0(SALU_CYCLE_1)
	s_and_not1_b32 vcc_lo, exec_lo, s21
	s_cbranch_vccnz .LBB206_389
; %bb.388:
	s_wait_xcnt 0x0
	v_cvt_f16_i16_e32 v2, v4
	s_delay_alu instid0(VALU_DEP_1)
	v_and_b32_e32 v2, 0xffff, v2
	global_store_b32 v[0:1], v2, off
.LBB206_389:
	s_mov_b32 s21, 0
.LBB206_390:
	s_delay_alu instid0(SALU_CYCLE_1)
	s_and_not1_b32 vcc_lo, exec_lo, s21
	s_cbranch_vccnz .LBB206_399
; %bb.391:
	s_cmp_lt_i32 s19, 6
	s_mov_b32 s21, -1
	s_cbranch_scc1 .LBB206_397
; %bb.392:
	s_cmp_gt_i32 s19, 6
	s_cbranch_scc0 .LBB206_394
; %bb.393:
	s_wait_xcnt 0x0
	v_bfe_i32 v2, v4, 0, 16
	s_mov_b32 s21, 0
	s_delay_alu instid0(VALU_DEP_1)
	v_cvt_f64_i32_e32 v[2:3], v2
	global_store_b64 v[0:1], v[2:3], off
.LBB206_394:
	s_and_not1_b32 vcc_lo, exec_lo, s21
	s_cbranch_vccnz .LBB206_396
; %bb.395:
	s_wait_xcnt 0x0
	v_bfe_i32 v2, v4, 0, 16
	s_delay_alu instid0(VALU_DEP_1)
	v_cvt_f32_i32_e32 v2, v2
	global_store_b32 v[0:1], v2, off
.LBB206_396:
	s_mov_b32 s21, 0
.LBB206_397:
	s_delay_alu instid0(SALU_CYCLE_1)
	s_and_not1_b32 vcc_lo, exec_lo, s21
	s_cbranch_vccnz .LBB206_399
; %bb.398:
	s_wait_xcnt 0x0
	v_cvt_f16_i16_e32 v2, v4
	global_store_b16 v[0:1], v2, off
.LBB206_399:
	s_mov_b32 s21, 0
.LBB206_400:
	s_delay_alu instid0(SALU_CYCLE_1)
	s_and_not1_b32 vcc_lo, exec_lo, s21
	s_cbranch_vccnz .LBB206_416
; %bb.401:
	s_cmp_lt_i32 s19, 2
	s_mov_b32 s21, -1
	s_cbranch_scc1 .LBB206_411
; %bb.402:
	s_cmp_lt_i32 s19, 3
	s_cbranch_scc1 .LBB206_408
; %bb.403:
	s_wait_xcnt 0x0
	v_bfe_i32 v2, v4, 0, 16
	s_cmp_gt_i32 s19, 3
	s_cbranch_scc0 .LBB206_405
; %bb.404:
	s_delay_alu instid0(VALU_DEP_1)
	v_ashrrev_i32_e32 v3, 31, v2
	s_mov_b32 s21, 0
	global_store_b64 v[0:1], v[2:3], off
.LBB206_405:
	s_and_not1_b32 vcc_lo, exec_lo, s21
	s_cbranch_vccnz .LBB206_407
; %bb.406:
	global_store_b32 v[0:1], v2, off
.LBB206_407:
	s_mov_b32 s21, 0
.LBB206_408:
	s_delay_alu instid0(SALU_CYCLE_1)
	s_and_not1_b32 vcc_lo, exec_lo, s21
	s_cbranch_vccnz .LBB206_410
; %bb.409:
	global_store_b16 v[0:1], v4, off
.LBB206_410:
	s_mov_b32 s21, 0
.LBB206_411:
	s_delay_alu instid0(SALU_CYCLE_1)
	s_and_not1_b32 vcc_lo, exec_lo, s21
	s_cbranch_vccnz .LBB206_416
; %bb.412:
	s_cmp_gt_i32 s19, 0
	s_mov_b32 s19, -1
	s_cbranch_scc0 .LBB206_414
; %bb.413:
	s_mov_b32 s19, 0
	global_store_b8 v[0:1], v4, off
.LBB206_414:
	s_and_not1_b32 vcc_lo, exec_lo, s19
	s_cbranch_vccnz .LBB206_416
; %bb.415:
	global_store_b8 v[0:1], v4, off
.LBB206_416:
	s_mov_b32 s22, -1
.LBB206_417:
	s_delay_alu instid0(SALU_CYCLE_1)
	s_and_not1_b32 vcc_lo, exec_lo, s22
	s_cbranch_vccnz .LBB206_419
; %bb.418:
	v_add_nc_u32_e32 v6, 0x80, v6
	s_mov_b32 s21, -1
	s_branch .LBB206_528
.LBB206_419:
	s_mov_b32 s21, 0
	s_branch .LBB206_527
.LBB206_420:
	s_mov_b32 s18, -1
                                        ; implicit-def: $vgpr2
.LBB206_421:
	s_mov_b32 s21, 0
.LBB206_422:
	s_delay_alu instid0(SALU_CYCLE_1)
	s_and_b32 vcc_lo, exec_lo, s21
	s_cbranch_vccz .LBB206_426
; %bb.423:
	s_cmp_eq_u32 s0, 29
	s_cbranch_scc0 .LBB206_425
; %bb.424:
	s_wait_loadcnt 0x0
	global_load_b64 v[2:3], v[0:1], off
	s_mov_b32 s19, -1
	s_mov_b32 s18, 0
	s_branch .LBB206_426
.LBB206_425:
	s_mov_b32 s18, -1
                                        ; implicit-def: $vgpr2
.LBB206_426:
	s_mov_b32 s21, 0
.LBB206_427:
	s_delay_alu instid0(SALU_CYCLE_1)
	s_and_b32 vcc_lo, exec_lo, s21
	s_cbranch_vccz .LBB206_443
; %bb.428:
	s_cmp_lt_i32 s0, 27
	s_cbranch_scc1 .LBB206_431
; %bb.429:
	s_cmp_gt_i32 s0, 27
	s_cbranch_scc0 .LBB206_432
; %bb.430:
	s_wait_loadcnt 0x0
	global_load_b32 v2, v[0:1], off
	s_mov_b32 s19, 0
	s_branch .LBB206_433
.LBB206_431:
	s_mov_b32 s19, -1
                                        ; implicit-def: $vgpr2
	s_branch .LBB206_436
.LBB206_432:
	s_mov_b32 s19, -1
                                        ; implicit-def: $vgpr2
.LBB206_433:
	s_delay_alu instid0(SALU_CYCLE_1)
	s_and_not1_b32 vcc_lo, exec_lo, s19
	s_cbranch_vccnz .LBB206_435
; %bb.434:
	s_wait_loadcnt 0x0
	global_load_u16 v2, v[0:1], off
.LBB206_435:
	s_mov_b32 s19, 0
.LBB206_436:
	s_delay_alu instid0(SALU_CYCLE_1)
	s_and_not1_b32 vcc_lo, exec_lo, s19
	s_cbranch_vccnz .LBB206_442
; %bb.437:
	s_wait_loadcnt 0x0
	global_load_u8 v3, v[0:1], off
	s_mov_b32 s21, 0
	s_mov_b32 s19, exec_lo
	s_wait_loadcnt 0x0
	v_cmpx_lt_i16_e32 0x7f, v3
	s_xor_b32 s19, exec_lo, s19
	s_cbranch_execz .LBB206_454
; %bb.438:
	v_cmp_ne_u16_e32 vcc_lo, 0x80, v3
	s_and_b32 s21, vcc_lo, exec_lo
	s_and_not1_saveexec_b32 s19, s19
	s_cbranch_execnz .LBB206_455
.LBB206_439:
	s_or_b32 exec_lo, exec_lo, s19
	v_mov_b32_e32 v2, 0
	s_and_saveexec_b32 s19, s21
	s_cbranch_execz .LBB206_441
.LBB206_440:
	v_and_b32_e32 v2, 0xffff, v3
	s_delay_alu instid0(VALU_DEP_1) | instskip(SKIP_1) | instid1(VALU_DEP_2)
	v_and_b32_e32 v4, 7, v2
	v_bfe_u32 v8, v2, 3, 4
	v_clz_i32_u32_e32 v5, v4
	s_delay_alu instid0(VALU_DEP_2) | instskip(NEXT) | instid1(VALU_DEP_2)
	v_cmp_eq_u32_e32 vcc_lo, 0, v8
	v_min_u32_e32 v5, 32, v5
	s_delay_alu instid0(VALU_DEP_1) | instskip(NEXT) | instid1(VALU_DEP_1)
	v_subrev_nc_u32_e32 v7, 28, v5
	v_dual_lshlrev_b32 v2, v7, v2 :: v_dual_sub_nc_u32 v5, 29, v5
	s_delay_alu instid0(VALU_DEP_1) | instskip(NEXT) | instid1(VALU_DEP_2)
	v_dual_lshlrev_b32 v3, 24, v3 :: v_dual_bitop2_b32 v2, 7, v2 bitop3:0x40
	v_cndmask_b32_e32 v5, v8, v5, vcc_lo
	s_delay_alu instid0(VALU_DEP_2) | instskip(NEXT) | instid1(VALU_DEP_3)
	v_cndmask_b32_e32 v2, v4, v2, vcc_lo
	v_and_b32_e32 v3, 0x80000000, v3
	s_delay_alu instid0(VALU_DEP_3) | instskip(NEXT) | instid1(VALU_DEP_3)
	v_lshl_add_u32 v4, v5, 23, 0x3b800000
	v_lshlrev_b32_e32 v2, 20, v2
	s_delay_alu instid0(VALU_DEP_1) | instskip(NEXT) | instid1(VALU_DEP_1)
	v_or3_b32 v2, v3, v4, v2
	v_cvt_i32_f32_e32 v2, v2
.LBB206_441:
	s_or_b32 exec_lo, exec_lo, s19
.LBB206_442:
	s_mov_b32 s19, -1
.LBB206_443:
	s_mov_b32 s21, 0
.LBB206_444:
	s_delay_alu instid0(SALU_CYCLE_1)
	s_and_b32 vcc_lo, exec_lo, s21
	s_cbranch_vccz .LBB206_477
; %bb.445:
	s_cmp_gt_i32 s0, 22
	s_cbranch_scc0 .LBB206_453
; %bb.446:
	s_cmp_lt_i32 s0, 24
	s_cbranch_scc1 .LBB206_456
; %bb.447:
	s_cmp_gt_i32 s0, 24
	s_cbranch_scc0 .LBB206_457
; %bb.448:
	s_wait_loadcnt 0x0
	global_load_u8 v3, v[0:1], off
	s_mov_b32 s21, 0
	s_mov_b32 s19, exec_lo
	s_wait_loadcnt 0x0
	v_cmpx_lt_i16_e32 0x7f, v3
	s_xor_b32 s19, exec_lo, s19
	s_cbranch_execz .LBB206_469
; %bb.449:
	v_cmp_ne_u16_e32 vcc_lo, 0x80, v3
	s_and_b32 s21, vcc_lo, exec_lo
	s_and_not1_saveexec_b32 s19, s19
	s_cbranch_execnz .LBB206_470
.LBB206_450:
	s_or_b32 exec_lo, exec_lo, s19
	v_mov_b32_e32 v2, 0
	s_and_saveexec_b32 s19, s21
	s_cbranch_execz .LBB206_452
.LBB206_451:
	v_and_b32_e32 v2, 0xffff, v3
	s_delay_alu instid0(VALU_DEP_1) | instskip(SKIP_1) | instid1(VALU_DEP_2)
	v_and_b32_e32 v4, 3, v2
	v_bfe_u32 v8, v2, 2, 5
	v_clz_i32_u32_e32 v5, v4
	s_delay_alu instid0(VALU_DEP_2) | instskip(NEXT) | instid1(VALU_DEP_2)
	v_cmp_eq_u32_e32 vcc_lo, 0, v8
	v_min_u32_e32 v5, 32, v5
	s_delay_alu instid0(VALU_DEP_1) | instskip(NEXT) | instid1(VALU_DEP_1)
	v_subrev_nc_u32_e32 v7, 29, v5
	v_dual_lshlrev_b32 v2, v7, v2 :: v_dual_sub_nc_u32 v5, 30, v5
	s_delay_alu instid0(VALU_DEP_1) | instskip(NEXT) | instid1(VALU_DEP_2)
	v_dual_lshlrev_b32 v3, 24, v3 :: v_dual_bitop2_b32 v2, 3, v2 bitop3:0x40
	v_cndmask_b32_e32 v5, v8, v5, vcc_lo
	s_delay_alu instid0(VALU_DEP_2) | instskip(NEXT) | instid1(VALU_DEP_3)
	v_cndmask_b32_e32 v2, v4, v2, vcc_lo
	v_and_b32_e32 v3, 0x80000000, v3
	s_delay_alu instid0(VALU_DEP_3) | instskip(NEXT) | instid1(VALU_DEP_3)
	v_lshl_add_u32 v4, v5, 23, 0x37800000
	v_lshlrev_b32_e32 v2, 21, v2
	s_delay_alu instid0(VALU_DEP_1) | instskip(NEXT) | instid1(VALU_DEP_1)
	v_or3_b32 v2, v3, v4, v2
	v_cvt_i32_f32_e32 v2, v2
.LBB206_452:
	s_or_b32 exec_lo, exec_lo, s19
	s_mov_b32 s19, 0
	s_branch .LBB206_458
.LBB206_453:
	s_mov_b32 s21, -1
                                        ; implicit-def: $vgpr2
	s_branch .LBB206_464
.LBB206_454:
	s_and_not1_saveexec_b32 s19, s19
	s_cbranch_execz .LBB206_439
.LBB206_455:
	v_cmp_ne_u16_e32 vcc_lo, 0, v3
	s_and_not1_b32 s21, s21, exec_lo
	s_and_b32 s22, vcc_lo, exec_lo
	s_delay_alu instid0(SALU_CYCLE_1)
	s_or_b32 s21, s21, s22
	s_or_b32 exec_lo, exec_lo, s19
	v_mov_b32_e32 v2, 0
	s_and_saveexec_b32 s19, s21
	s_cbranch_execnz .LBB206_440
	s_branch .LBB206_441
.LBB206_456:
	s_mov_b32 s19, -1
                                        ; implicit-def: $vgpr2
	s_branch .LBB206_461
.LBB206_457:
	s_mov_b32 s19, -1
                                        ; implicit-def: $vgpr2
.LBB206_458:
	s_delay_alu instid0(SALU_CYCLE_1)
	s_and_b32 vcc_lo, exec_lo, s19
	s_cbranch_vccz .LBB206_460
; %bb.459:
	s_wait_loadcnt 0x0
	global_load_u8 v2, v[0:1], off
	s_wait_loadcnt 0x0
	v_lshlrev_b32_e32 v2, 24, v2
	s_delay_alu instid0(VALU_DEP_1) | instskip(NEXT) | instid1(VALU_DEP_1)
	v_and_b32_e32 v3, 0x7f000000, v2
	v_clz_i32_u32_e32 v4, v3
	v_add_nc_u32_e32 v7, 0x1000000, v3
	v_cmp_ne_u32_e32 vcc_lo, 0, v3
	s_delay_alu instid0(VALU_DEP_3) | instskip(NEXT) | instid1(VALU_DEP_1)
	v_min_u32_e32 v4, 32, v4
	v_sub_nc_u32_e64 v4, v4, 4 clamp
	s_delay_alu instid0(VALU_DEP_1) | instskip(NEXT) | instid1(VALU_DEP_1)
	v_dual_lshlrev_b32 v5, v4, v3 :: v_dual_lshlrev_b32 v4, 23, v4
	v_lshrrev_b32_e32 v5, 4, v5
	s_delay_alu instid0(VALU_DEP_1) | instskip(NEXT) | instid1(VALU_DEP_1)
	v_dual_sub_nc_u32 v4, v5, v4 :: v_dual_ashrrev_i32 v5, 8, v7
	v_add_nc_u32_e32 v4, 0x3c000000, v4
	s_delay_alu instid0(VALU_DEP_1) | instskip(NEXT) | instid1(VALU_DEP_1)
	v_and_or_b32 v4, 0x7f800000, v5, v4
	v_cndmask_b32_e32 v3, 0, v4, vcc_lo
	s_delay_alu instid0(VALU_DEP_1) | instskip(NEXT) | instid1(VALU_DEP_1)
	v_and_or_b32 v2, 0x80000000, v2, v3
	v_cvt_i32_f32_e32 v2, v2
.LBB206_460:
	s_mov_b32 s19, 0
.LBB206_461:
	s_delay_alu instid0(SALU_CYCLE_1)
	s_and_not1_b32 vcc_lo, exec_lo, s19
	s_cbranch_vccnz .LBB206_463
; %bb.462:
	s_wait_loadcnt 0x0
	global_load_u8 v2, v[0:1], off
	s_wait_loadcnt 0x0
	v_lshlrev_b32_e32 v3, 25, v2
	v_lshlrev_b16 v2, 8, v2
	s_delay_alu instid0(VALU_DEP_1) | instskip(SKIP_1) | instid1(VALU_DEP_2)
	v_and_or_b32 v5, 0x7f00, v2, 0.5
	v_bfe_i32 v2, v2, 0, 16
	v_dual_add_f32 v5, -0.5, v5 :: v_dual_lshrrev_b32 v4, 4, v3
	v_cmp_gt_u32_e32 vcc_lo, 0x8000000, v3
	s_delay_alu instid0(VALU_DEP_2) | instskip(NEXT) | instid1(VALU_DEP_1)
	v_or_b32_e32 v4, 0x70000000, v4
	v_mul_f32_e32 v4, 0x7800000, v4
	s_delay_alu instid0(VALU_DEP_1) | instskip(NEXT) | instid1(VALU_DEP_1)
	v_cndmask_b32_e32 v3, v4, v5, vcc_lo
	v_and_or_b32 v2, 0x80000000, v2, v3
	s_delay_alu instid0(VALU_DEP_1)
	v_cvt_i32_f32_e32 v2, v2
.LBB206_463:
	s_mov_b32 s21, 0
	s_mov_b32 s19, -1
.LBB206_464:
	s_and_not1_b32 vcc_lo, exec_lo, s21
	s_cbranch_vccnz .LBB206_477
; %bb.465:
	s_cmp_gt_i32 s0, 14
	s_cbranch_scc0 .LBB206_468
; %bb.466:
	s_cmp_eq_u32 s0, 15
	s_cbranch_scc0 .LBB206_471
; %bb.467:
	s_wait_loadcnt 0x0
	global_load_u16 v2, v[0:1], off
	s_mov_b32 s19, -1
	s_mov_b32 s18, 0
	s_wait_loadcnt 0x0
	v_lshlrev_b32_e32 v2, 16, v2
	s_delay_alu instid0(VALU_DEP_1)
	v_cvt_i32_f32_e32 v2, v2
	s_branch .LBB206_472
.LBB206_468:
	s_mov_b32 s21, -1
                                        ; implicit-def: $vgpr2
	s_branch .LBB206_473
.LBB206_469:
	s_and_not1_saveexec_b32 s19, s19
	s_cbranch_execz .LBB206_450
.LBB206_470:
	v_cmp_ne_u16_e32 vcc_lo, 0, v3
	s_and_not1_b32 s21, s21, exec_lo
	s_and_b32 s22, vcc_lo, exec_lo
	s_delay_alu instid0(SALU_CYCLE_1)
	s_or_b32 s21, s21, s22
	s_or_b32 exec_lo, exec_lo, s19
	v_mov_b32_e32 v2, 0
	s_and_saveexec_b32 s19, s21
	s_cbranch_execnz .LBB206_451
	s_branch .LBB206_452
.LBB206_471:
	s_mov_b32 s18, -1
                                        ; implicit-def: $vgpr2
.LBB206_472:
	s_mov_b32 s21, 0
.LBB206_473:
	s_delay_alu instid0(SALU_CYCLE_1)
	s_and_b32 vcc_lo, exec_lo, s21
	s_cbranch_vccz .LBB206_477
; %bb.474:
	s_cmp_eq_u32 s0, 11
	s_cbranch_scc0 .LBB206_476
; %bb.475:
	s_wait_loadcnt 0x0
	global_load_u8 v2, v[0:1], off
	s_mov_b32 s18, 0
	s_mov_b32 s19, -1
	s_wait_loadcnt 0x0
	v_cmp_ne_u16_e32 vcc_lo, 0, v2
	v_cndmask_b32_e64 v2, 0, 1, vcc_lo
	s_branch .LBB206_477
.LBB206_476:
	s_mov_b32 s18, -1
                                        ; implicit-def: $vgpr2
.LBB206_477:
	s_branch .LBB206_272
.LBB206_478:
	s_cmp_lt_i32 s0, 5
	s_cbranch_scc1 .LBB206_483
; %bb.479:
	s_cmp_lt_i32 s0, 8
	s_cbranch_scc1 .LBB206_484
; %bb.480:
	;; [unrolled: 3-line block ×3, first 2 shown]
	s_cmp_gt_i32 s0, 9
	s_cbranch_scc0 .LBB206_486
; %bb.482:
	s_wait_loadcnt 0x0
	global_load_b64 v[2:3], v[0:1], off
	s_mov_b32 s19, 0
	s_wait_loadcnt 0x0
	v_cvt_i32_f64_e32 v2, v[2:3]
	s_branch .LBB206_487
.LBB206_483:
	s_mov_b32 s19, -1
                                        ; implicit-def: $vgpr2
	s_branch .LBB206_505
.LBB206_484:
	s_mov_b32 s19, -1
                                        ; implicit-def: $vgpr2
	s_branch .LBB206_493
.LBB206_485:
	s_mov_b32 s19, -1
                                        ; implicit-def: $vgpr2
	s_branch .LBB206_490
.LBB206_486:
	s_mov_b32 s19, -1
                                        ; implicit-def: $vgpr2
.LBB206_487:
	s_delay_alu instid0(SALU_CYCLE_1)
	s_and_not1_b32 vcc_lo, exec_lo, s19
	s_cbranch_vccnz .LBB206_489
; %bb.488:
	s_wait_loadcnt 0x0
	global_load_b32 v2, v[0:1], off
	s_wait_loadcnt 0x0
	v_cvt_i32_f32_e32 v2, v2
.LBB206_489:
	s_mov_b32 s19, 0
.LBB206_490:
	s_delay_alu instid0(SALU_CYCLE_1)
	s_and_not1_b32 vcc_lo, exec_lo, s19
	s_cbranch_vccnz .LBB206_492
; %bb.491:
	s_wait_loadcnt 0x0
	global_load_b32 v2, v[0:1], off
	s_wait_loadcnt 0x0
	v_cvt_i16_f16_e32 v2, v2
.LBB206_492:
	s_mov_b32 s19, 0
.LBB206_493:
	s_delay_alu instid0(SALU_CYCLE_1)
	s_and_not1_b32 vcc_lo, exec_lo, s19
	s_cbranch_vccnz .LBB206_504
; %bb.494:
	s_cmp_lt_i32 s0, 6
	s_cbranch_scc1 .LBB206_497
; %bb.495:
	s_cmp_gt_i32 s0, 6
	s_cbranch_scc0 .LBB206_498
; %bb.496:
	s_wait_loadcnt 0x0
	global_load_b64 v[2:3], v[0:1], off
	s_mov_b32 s19, 0
	s_wait_loadcnt 0x0
	v_cvt_i32_f64_e32 v2, v[2:3]
	s_branch .LBB206_499
.LBB206_497:
	s_mov_b32 s19, -1
                                        ; implicit-def: $vgpr2
	s_branch .LBB206_502
.LBB206_498:
	s_mov_b32 s19, -1
                                        ; implicit-def: $vgpr2
.LBB206_499:
	s_delay_alu instid0(SALU_CYCLE_1)
	s_and_not1_b32 vcc_lo, exec_lo, s19
	s_cbranch_vccnz .LBB206_501
; %bb.500:
	s_wait_loadcnt 0x0
	global_load_b32 v2, v[0:1], off
	s_wait_loadcnt 0x0
	v_cvt_i32_f32_e32 v2, v2
.LBB206_501:
	s_mov_b32 s19, 0
.LBB206_502:
	s_delay_alu instid0(SALU_CYCLE_1)
	s_and_not1_b32 vcc_lo, exec_lo, s19
	s_cbranch_vccnz .LBB206_504
; %bb.503:
	s_wait_loadcnt 0x0
	global_load_u16 v2, v[0:1], off
	s_wait_loadcnt 0x0
	v_cvt_i16_f16_e32 v2, v2
.LBB206_504:
	s_mov_b32 s19, 0
.LBB206_505:
	s_delay_alu instid0(SALU_CYCLE_1)
	s_and_not1_b32 vcc_lo, exec_lo, s19
	s_cbranch_vccnz .LBB206_525
; %bb.506:
	s_cmp_lt_i32 s0, 2
	s_cbranch_scc1 .LBB206_510
; %bb.507:
	s_cmp_lt_i32 s0, 3
	s_cbranch_scc1 .LBB206_511
; %bb.508:
	s_cmp_gt_i32 s0, 3
	s_cbranch_scc0 .LBB206_512
; %bb.509:
	s_wait_loadcnt 0x0
	global_load_b64 v[2:3], v[0:1], off
	s_mov_b32 s19, 0
	s_branch .LBB206_513
.LBB206_510:
	s_mov_b32 s19, -1
                                        ; implicit-def: $vgpr2
	s_branch .LBB206_519
.LBB206_511:
	s_mov_b32 s19, -1
                                        ; implicit-def: $vgpr2
	s_branch .LBB206_516
.LBB206_512:
	s_mov_b32 s19, -1
                                        ; implicit-def: $vgpr2
.LBB206_513:
	s_delay_alu instid0(SALU_CYCLE_1)
	s_and_not1_b32 vcc_lo, exec_lo, s19
	s_cbranch_vccnz .LBB206_515
; %bb.514:
	s_wait_loadcnt 0x0
	global_load_b32 v2, v[0:1], off
.LBB206_515:
	s_mov_b32 s19, 0
.LBB206_516:
	s_delay_alu instid0(SALU_CYCLE_1)
	s_and_not1_b32 vcc_lo, exec_lo, s19
	s_cbranch_vccnz .LBB206_518
; %bb.517:
	s_wait_loadcnt 0x0
	global_load_u16 v2, v[0:1], off
.LBB206_518:
	s_mov_b32 s19, 0
.LBB206_519:
	s_delay_alu instid0(SALU_CYCLE_1)
	s_and_not1_b32 vcc_lo, exec_lo, s19
	s_cbranch_vccnz .LBB206_525
; %bb.520:
	s_cmp_gt_i32 s0, 0
	s_mov_b32 s0, 0
	s_cbranch_scc0 .LBB206_522
; %bb.521:
	s_wait_loadcnt 0x0
	global_load_i8 v2, v[0:1], off
	s_branch .LBB206_523
.LBB206_522:
	s_mov_b32 s0, -1
                                        ; implicit-def: $vgpr2
.LBB206_523:
	s_delay_alu instid0(SALU_CYCLE_1)
	s_and_not1_b32 vcc_lo, exec_lo, s0
	s_cbranch_vccnz .LBB206_525
; %bb.524:
	s_wait_loadcnt 0x0
	global_load_u8 v2, v[0:1], off
.LBB206_525:
	s_branch .LBB206_273
.LBB206_526:
	s_mov_b32 s21, 0
	s_mov_b32 s0, s14
.LBB206_527:
                                        ; implicit-def: $vgpr6
.LBB206_528:
	s_and_not1_b32 s19, s14, exec_lo
	s_and_b32 s0, s0, exec_lo
	s_and_not1_b32 s22, s16, exec_lo
	s_and_b32 s18, s18, exec_lo
	s_or_b32 s19, s19, s0
	s_or_b32 s18, s22, s18
	s_or_not1_b32 s0, s21, exec_lo
.LBB206_529:
	s_wait_xcnt 0x0
	s_or_b32 exec_lo, exec_lo, s20
	s_mov_b32 s21, 0
	s_mov_b32 s22, 0
	;; [unrolled: 1-line block ×3, first 2 shown]
                                        ; implicit-def: $vgpr0_vgpr1
                                        ; implicit-def: $vgpr2
	s_and_saveexec_b32 s20, s0
	s_cbranch_execz .LBB206_880
; %bb.530:
	s_mov_b32 s23, -1
	s_mov_b32 s0, s18
	s_mov_b32 s22, s19
	s_mov_b32 s21, exec_lo
	v_cmpx_gt_i32_e64 s15, v6
	s_cbranch_execz .LBB206_798
; %bb.531:
	v_mul_lo_u32 v0, v6, s9
	s_and_b32 s0, 0xffff, s12
	s_delay_alu instid0(SALU_CYCLE_1) | instskip(NEXT) | instid1(VALU_DEP_1)
	s_cmp_lt_i32 s0, 11
	v_ashrrev_i32_e32 v1, 31, v0
	s_delay_alu instid0(VALU_DEP_1)
	v_add_nc_u64_e32 v[0:1], s[6:7], v[0:1]
	s_cbranch_scc1 .LBB206_538
; %bb.532:
	s_cmp_gt_i32 s0, 25
	s_cbranch_scc0 .LBB206_539
; %bb.533:
	s_cmp_gt_i32 s0, 28
	s_cbranch_scc0 .LBB206_540
	;; [unrolled: 3-line block ×4, first 2 shown]
; %bb.536:
	s_cmp_eq_u32 s0, 46
	s_mov_b32 s24, 0
	s_cbranch_scc0 .LBB206_547
; %bb.537:
	s_wait_loadcnt 0x0
	global_load_b32 v2, v[0:1], off
	s_mov_b32 s22, 0
	s_wait_loadcnt 0x0
	v_lshlrev_b32_e32 v2, 16, v2
	s_delay_alu instid0(VALU_DEP_1)
	v_cvt_i32_f32_e32 v2, v2
	s_branch .LBB206_549
.LBB206_538:
	s_mov_b32 s24, -1
	s_mov_b32 s23, 0
	s_mov_b32 s22, s18
                                        ; implicit-def: $vgpr2
	s_branch .LBB206_610
.LBB206_539:
	s_mov_b32 s24, -1
	s_mov_b32 s23, 0
	s_mov_b32 s22, s18
                                        ; implicit-def: $vgpr2
	s_branch .LBB206_576
.LBB206_540:
	s_mov_b32 s24, -1
	s_mov_b32 s23, 0
	s_mov_b32 s22, s18
                                        ; implicit-def: $vgpr2
	s_branch .LBB206_559
.LBB206_541:
	s_mov_b32 s24, -1
	s_mov_b32 s23, 0
	s_mov_b32 s22, s18
                                        ; implicit-def: $vgpr2
	s_branch .LBB206_554
.LBB206_542:
	s_and_not1_saveexec_b32 s24, s24
	s_cbranch_execz .LBB206_330
.LBB206_543:
	v_add_f32_e64 v3, 0x46000000, |v2|
	s_and_not1_b32 s23, s23, exec_lo
	s_delay_alu instid0(VALU_DEP_1) | instskip(NEXT) | instid1(VALU_DEP_1)
	v_and_b32_e32 v3, 0xff, v3
	v_cmp_ne_u32_e32 vcc_lo, 0, v3
	s_and_b32 s25, vcc_lo, exec_lo
	s_delay_alu instid0(SALU_CYCLE_1)
	s_or_b32 s23, s23, s25
	s_or_b32 exec_lo, exec_lo, s24
	v_mov_b32_e32 v5, 0
	s_and_saveexec_b32 s24, s23
	s_cbranch_execnz .LBB206_331
	s_branch .LBB206_332
.LBB206_544:
	s_mov_b32 s24, -1
	s_mov_b32 s23, 0
	s_mov_b32 s22, s18
	s_branch .LBB206_548
.LBB206_545:
	s_and_not1_saveexec_b32 s24, s24
	s_cbranch_execz .LBB206_343
.LBB206_546:
	v_add_f32_e64 v3, 0x42800000, |v2|
	s_and_not1_b32 s23, s23, exec_lo
	s_delay_alu instid0(VALU_DEP_1) | instskip(NEXT) | instid1(VALU_DEP_1)
	v_and_b32_e32 v3, 0xff, v3
	v_cmp_ne_u32_e32 vcc_lo, 0, v3
	s_and_b32 s25, vcc_lo, exec_lo
	s_delay_alu instid0(SALU_CYCLE_1)
	s_or_b32 s23, s23, s25
	s_or_b32 exec_lo, exec_lo, s24
	v_mov_b32_e32 v5, 0
	s_and_saveexec_b32 s24, s23
	s_cbranch_execnz .LBB206_344
	s_branch .LBB206_345
.LBB206_547:
	s_mov_b32 s22, -1
	s_mov_b32 s23, 0
.LBB206_548:
                                        ; implicit-def: $vgpr2
.LBB206_549:
	s_and_b32 vcc_lo, exec_lo, s24
	s_cbranch_vccz .LBB206_553
; %bb.550:
	s_cmp_eq_u32 s0, 44
	s_cbranch_scc0 .LBB206_552
; %bb.551:
	s_wait_loadcnt 0x0
	global_load_u8 v2, v[0:1], off
	s_mov_b32 s22, 0
	s_mov_b32 s23, -1
	s_wait_loadcnt 0x0
	v_lshlrev_b32_e32 v3, 23, v2
	v_cmp_ne_u32_e32 vcc_lo, 0, v2
	s_delay_alu instid0(VALU_DEP_2) | instskip(NEXT) | instid1(VALU_DEP_1)
	v_cvt_i32_f32_e32 v3, v3
	v_cndmask_b32_e32 v2, 0, v3, vcc_lo
	s_branch .LBB206_553
.LBB206_552:
	s_mov_b32 s22, -1
                                        ; implicit-def: $vgpr2
.LBB206_553:
	s_mov_b32 s24, 0
.LBB206_554:
	s_delay_alu instid0(SALU_CYCLE_1)
	s_and_b32 vcc_lo, exec_lo, s24
	s_cbranch_vccz .LBB206_558
; %bb.555:
	s_cmp_eq_u32 s0, 29
	s_cbranch_scc0 .LBB206_557
; %bb.556:
	s_wait_loadcnt 0x0
	global_load_b64 v[2:3], v[0:1], off
	s_mov_b32 s23, -1
	s_mov_b32 s22, 0
	s_branch .LBB206_558
.LBB206_557:
	s_mov_b32 s22, -1
                                        ; implicit-def: $vgpr2
.LBB206_558:
	s_mov_b32 s24, 0
.LBB206_559:
	s_delay_alu instid0(SALU_CYCLE_1)
	s_and_b32 vcc_lo, exec_lo, s24
	s_cbranch_vccz .LBB206_575
; %bb.560:
	s_cmp_lt_i32 s0, 27
	s_cbranch_scc1 .LBB206_563
; %bb.561:
	s_cmp_gt_i32 s0, 27
	s_cbranch_scc0 .LBB206_564
; %bb.562:
	s_wait_loadcnt 0x0
	global_load_b32 v2, v[0:1], off
	s_mov_b32 s23, 0
	s_branch .LBB206_565
.LBB206_563:
	s_mov_b32 s23, -1
                                        ; implicit-def: $vgpr2
	s_branch .LBB206_568
.LBB206_564:
	s_mov_b32 s23, -1
                                        ; implicit-def: $vgpr2
.LBB206_565:
	s_delay_alu instid0(SALU_CYCLE_1)
	s_and_not1_b32 vcc_lo, exec_lo, s23
	s_cbranch_vccnz .LBB206_567
; %bb.566:
	s_wait_loadcnt 0x0
	global_load_u16 v2, v[0:1], off
.LBB206_567:
	s_mov_b32 s23, 0
.LBB206_568:
	s_delay_alu instid0(SALU_CYCLE_1)
	s_and_not1_b32 vcc_lo, exec_lo, s23
	s_cbranch_vccnz .LBB206_574
; %bb.569:
	s_wait_loadcnt 0x0
	global_load_u8 v3, v[0:1], off
	s_mov_b32 s24, 0
	s_mov_b32 s23, exec_lo
	s_wait_loadcnt 0x0
	v_cmpx_lt_i16_e32 0x7f, v3
	s_xor_b32 s23, exec_lo, s23
	s_cbranch_execz .LBB206_586
; %bb.570:
	v_cmp_ne_u16_e32 vcc_lo, 0x80, v3
	s_and_b32 s24, vcc_lo, exec_lo
	s_and_not1_saveexec_b32 s23, s23
	s_cbranch_execnz .LBB206_587
.LBB206_571:
	s_or_b32 exec_lo, exec_lo, s23
	v_mov_b32_e32 v2, 0
	s_and_saveexec_b32 s23, s24
	s_cbranch_execz .LBB206_573
.LBB206_572:
	v_and_b32_e32 v2, 0xffff, v3
	s_delay_alu instid0(VALU_DEP_1) | instskip(SKIP_1) | instid1(VALU_DEP_2)
	v_and_b32_e32 v4, 7, v2
	v_bfe_u32 v8, v2, 3, 4
	v_clz_i32_u32_e32 v5, v4
	s_delay_alu instid0(VALU_DEP_2) | instskip(NEXT) | instid1(VALU_DEP_2)
	v_cmp_eq_u32_e32 vcc_lo, 0, v8
	v_min_u32_e32 v5, 32, v5
	s_delay_alu instid0(VALU_DEP_1) | instskip(NEXT) | instid1(VALU_DEP_1)
	v_subrev_nc_u32_e32 v7, 28, v5
	v_dual_lshlrev_b32 v2, v7, v2 :: v_dual_sub_nc_u32 v5, 29, v5
	s_delay_alu instid0(VALU_DEP_1) | instskip(NEXT) | instid1(VALU_DEP_2)
	v_dual_lshlrev_b32 v3, 24, v3 :: v_dual_bitop2_b32 v2, 7, v2 bitop3:0x40
	v_cndmask_b32_e32 v5, v8, v5, vcc_lo
	s_delay_alu instid0(VALU_DEP_2) | instskip(NEXT) | instid1(VALU_DEP_3)
	v_cndmask_b32_e32 v2, v4, v2, vcc_lo
	v_and_b32_e32 v3, 0x80000000, v3
	s_delay_alu instid0(VALU_DEP_3) | instskip(NEXT) | instid1(VALU_DEP_3)
	v_lshl_add_u32 v4, v5, 23, 0x3b800000
	v_lshlrev_b32_e32 v2, 20, v2
	s_delay_alu instid0(VALU_DEP_1) | instskip(NEXT) | instid1(VALU_DEP_1)
	v_or3_b32 v2, v3, v4, v2
	v_cvt_i32_f32_e32 v2, v2
.LBB206_573:
	s_or_b32 exec_lo, exec_lo, s23
.LBB206_574:
	s_mov_b32 s23, -1
.LBB206_575:
	s_mov_b32 s24, 0
.LBB206_576:
	s_delay_alu instid0(SALU_CYCLE_1)
	s_and_b32 vcc_lo, exec_lo, s24
	s_cbranch_vccz .LBB206_609
; %bb.577:
	s_cmp_gt_i32 s0, 22
	s_cbranch_scc0 .LBB206_585
; %bb.578:
	s_cmp_lt_i32 s0, 24
	s_cbranch_scc1 .LBB206_588
; %bb.579:
	s_cmp_gt_i32 s0, 24
	s_cbranch_scc0 .LBB206_589
; %bb.580:
	s_wait_loadcnt 0x0
	global_load_u8 v3, v[0:1], off
	s_mov_b32 s24, 0
	s_mov_b32 s23, exec_lo
	s_wait_loadcnt 0x0
	v_cmpx_lt_i16_e32 0x7f, v3
	s_xor_b32 s23, exec_lo, s23
	s_cbranch_execz .LBB206_601
; %bb.581:
	v_cmp_ne_u16_e32 vcc_lo, 0x80, v3
	s_and_b32 s24, vcc_lo, exec_lo
	s_and_not1_saveexec_b32 s23, s23
	s_cbranch_execnz .LBB206_602
.LBB206_582:
	s_or_b32 exec_lo, exec_lo, s23
	v_mov_b32_e32 v2, 0
	s_and_saveexec_b32 s23, s24
	s_cbranch_execz .LBB206_584
.LBB206_583:
	v_and_b32_e32 v2, 0xffff, v3
	s_delay_alu instid0(VALU_DEP_1) | instskip(SKIP_1) | instid1(VALU_DEP_2)
	v_and_b32_e32 v4, 3, v2
	v_bfe_u32 v8, v2, 2, 5
	v_clz_i32_u32_e32 v5, v4
	s_delay_alu instid0(VALU_DEP_2) | instskip(NEXT) | instid1(VALU_DEP_2)
	v_cmp_eq_u32_e32 vcc_lo, 0, v8
	v_min_u32_e32 v5, 32, v5
	s_delay_alu instid0(VALU_DEP_1) | instskip(NEXT) | instid1(VALU_DEP_1)
	v_subrev_nc_u32_e32 v7, 29, v5
	v_dual_lshlrev_b32 v2, v7, v2 :: v_dual_sub_nc_u32 v5, 30, v5
	s_delay_alu instid0(VALU_DEP_1) | instskip(NEXT) | instid1(VALU_DEP_2)
	v_dual_lshlrev_b32 v3, 24, v3 :: v_dual_bitop2_b32 v2, 3, v2 bitop3:0x40
	v_cndmask_b32_e32 v5, v8, v5, vcc_lo
	s_delay_alu instid0(VALU_DEP_2) | instskip(NEXT) | instid1(VALU_DEP_3)
	v_cndmask_b32_e32 v2, v4, v2, vcc_lo
	v_and_b32_e32 v3, 0x80000000, v3
	s_delay_alu instid0(VALU_DEP_3) | instskip(NEXT) | instid1(VALU_DEP_3)
	v_lshl_add_u32 v4, v5, 23, 0x37800000
	v_lshlrev_b32_e32 v2, 21, v2
	s_delay_alu instid0(VALU_DEP_1) | instskip(NEXT) | instid1(VALU_DEP_1)
	v_or3_b32 v2, v3, v4, v2
	v_cvt_i32_f32_e32 v2, v2
.LBB206_584:
	s_or_b32 exec_lo, exec_lo, s23
	s_mov_b32 s23, 0
	s_branch .LBB206_590
.LBB206_585:
	s_mov_b32 s24, -1
                                        ; implicit-def: $vgpr2
	s_branch .LBB206_596
.LBB206_586:
	s_and_not1_saveexec_b32 s23, s23
	s_cbranch_execz .LBB206_571
.LBB206_587:
	v_cmp_ne_u16_e32 vcc_lo, 0, v3
	s_and_not1_b32 s24, s24, exec_lo
	s_and_b32 s25, vcc_lo, exec_lo
	s_delay_alu instid0(SALU_CYCLE_1)
	s_or_b32 s24, s24, s25
	s_or_b32 exec_lo, exec_lo, s23
	v_mov_b32_e32 v2, 0
	s_and_saveexec_b32 s23, s24
	s_cbranch_execnz .LBB206_572
	s_branch .LBB206_573
.LBB206_588:
	s_mov_b32 s23, -1
                                        ; implicit-def: $vgpr2
	s_branch .LBB206_593
.LBB206_589:
	s_mov_b32 s23, -1
                                        ; implicit-def: $vgpr2
.LBB206_590:
	s_delay_alu instid0(SALU_CYCLE_1)
	s_and_b32 vcc_lo, exec_lo, s23
	s_cbranch_vccz .LBB206_592
; %bb.591:
	s_wait_loadcnt 0x0
	global_load_u8 v2, v[0:1], off
	s_wait_loadcnt 0x0
	v_lshlrev_b32_e32 v2, 24, v2
	s_delay_alu instid0(VALU_DEP_1) | instskip(NEXT) | instid1(VALU_DEP_1)
	v_and_b32_e32 v3, 0x7f000000, v2
	v_clz_i32_u32_e32 v4, v3
	v_add_nc_u32_e32 v7, 0x1000000, v3
	v_cmp_ne_u32_e32 vcc_lo, 0, v3
	s_delay_alu instid0(VALU_DEP_3) | instskip(NEXT) | instid1(VALU_DEP_1)
	v_min_u32_e32 v4, 32, v4
	v_sub_nc_u32_e64 v4, v4, 4 clamp
	s_delay_alu instid0(VALU_DEP_1) | instskip(NEXT) | instid1(VALU_DEP_1)
	v_dual_lshlrev_b32 v5, v4, v3 :: v_dual_lshlrev_b32 v4, 23, v4
	v_lshrrev_b32_e32 v5, 4, v5
	s_delay_alu instid0(VALU_DEP_1) | instskip(NEXT) | instid1(VALU_DEP_1)
	v_dual_sub_nc_u32 v4, v5, v4 :: v_dual_ashrrev_i32 v5, 8, v7
	v_add_nc_u32_e32 v4, 0x3c000000, v4
	s_delay_alu instid0(VALU_DEP_1) | instskip(NEXT) | instid1(VALU_DEP_1)
	v_and_or_b32 v4, 0x7f800000, v5, v4
	v_cndmask_b32_e32 v3, 0, v4, vcc_lo
	s_delay_alu instid0(VALU_DEP_1) | instskip(NEXT) | instid1(VALU_DEP_1)
	v_and_or_b32 v2, 0x80000000, v2, v3
	v_cvt_i32_f32_e32 v2, v2
.LBB206_592:
	s_mov_b32 s23, 0
.LBB206_593:
	s_delay_alu instid0(SALU_CYCLE_1)
	s_and_not1_b32 vcc_lo, exec_lo, s23
	s_cbranch_vccnz .LBB206_595
; %bb.594:
	s_wait_loadcnt 0x0
	global_load_u8 v2, v[0:1], off
	s_wait_loadcnt 0x0
	v_lshlrev_b32_e32 v3, 25, v2
	v_lshlrev_b16 v2, 8, v2
	s_delay_alu instid0(VALU_DEP_1) | instskip(SKIP_1) | instid1(VALU_DEP_2)
	v_and_or_b32 v5, 0x7f00, v2, 0.5
	v_bfe_i32 v2, v2, 0, 16
	v_dual_add_f32 v5, -0.5, v5 :: v_dual_lshrrev_b32 v4, 4, v3
	v_cmp_gt_u32_e32 vcc_lo, 0x8000000, v3
	s_delay_alu instid0(VALU_DEP_2) | instskip(NEXT) | instid1(VALU_DEP_1)
	v_or_b32_e32 v4, 0x70000000, v4
	v_mul_f32_e32 v4, 0x7800000, v4
	s_delay_alu instid0(VALU_DEP_1) | instskip(NEXT) | instid1(VALU_DEP_1)
	v_cndmask_b32_e32 v3, v4, v5, vcc_lo
	v_and_or_b32 v2, 0x80000000, v2, v3
	s_delay_alu instid0(VALU_DEP_1)
	v_cvt_i32_f32_e32 v2, v2
.LBB206_595:
	s_mov_b32 s24, 0
	s_mov_b32 s23, -1
.LBB206_596:
	s_and_not1_b32 vcc_lo, exec_lo, s24
	s_cbranch_vccnz .LBB206_609
; %bb.597:
	s_cmp_gt_i32 s0, 14
	s_cbranch_scc0 .LBB206_600
; %bb.598:
	s_cmp_eq_u32 s0, 15
	s_cbranch_scc0 .LBB206_603
; %bb.599:
	s_wait_loadcnt 0x0
	global_load_u16 v2, v[0:1], off
	s_mov_b32 s23, -1
	s_mov_b32 s22, 0
	s_wait_loadcnt 0x0
	v_lshlrev_b32_e32 v2, 16, v2
	s_delay_alu instid0(VALU_DEP_1)
	v_cvt_i32_f32_e32 v2, v2
	s_branch .LBB206_604
.LBB206_600:
	s_mov_b32 s24, -1
                                        ; implicit-def: $vgpr2
	s_branch .LBB206_605
.LBB206_601:
	s_and_not1_saveexec_b32 s23, s23
	s_cbranch_execz .LBB206_582
.LBB206_602:
	v_cmp_ne_u16_e32 vcc_lo, 0, v3
	s_and_not1_b32 s24, s24, exec_lo
	s_and_b32 s25, vcc_lo, exec_lo
	s_delay_alu instid0(SALU_CYCLE_1)
	s_or_b32 s24, s24, s25
	s_or_b32 exec_lo, exec_lo, s23
	v_mov_b32_e32 v2, 0
	s_and_saveexec_b32 s23, s24
	s_cbranch_execnz .LBB206_583
	s_branch .LBB206_584
.LBB206_603:
	s_mov_b32 s22, -1
                                        ; implicit-def: $vgpr2
.LBB206_604:
	s_mov_b32 s24, 0
.LBB206_605:
	s_delay_alu instid0(SALU_CYCLE_1)
	s_and_b32 vcc_lo, exec_lo, s24
	s_cbranch_vccz .LBB206_609
; %bb.606:
	s_cmp_eq_u32 s0, 11
	s_cbranch_scc0 .LBB206_608
; %bb.607:
	s_wait_loadcnt 0x0
	global_load_u8 v2, v[0:1], off
	s_mov_b32 s22, 0
	s_mov_b32 s23, -1
	s_wait_loadcnt 0x0
	v_cmp_ne_u16_e32 vcc_lo, 0, v2
	v_cndmask_b32_e64 v2, 0, 1, vcc_lo
	s_branch .LBB206_609
.LBB206_608:
	s_mov_b32 s22, -1
                                        ; implicit-def: $vgpr2
.LBB206_609:
	s_mov_b32 s24, 0
.LBB206_610:
	s_delay_alu instid0(SALU_CYCLE_1)
	s_and_b32 vcc_lo, exec_lo, s24
	s_cbranch_vccz .LBB206_659
; %bb.611:
	s_cmp_lt_i32 s0, 5
	s_cbranch_scc1 .LBB206_616
; %bb.612:
	s_cmp_lt_i32 s0, 8
	s_cbranch_scc1 .LBB206_617
	;; [unrolled: 3-line block ×3, first 2 shown]
; %bb.614:
	s_cmp_gt_i32 s0, 9
	s_cbranch_scc0 .LBB206_619
; %bb.615:
	s_wait_loadcnt 0x0
	global_load_b64 v[2:3], v[0:1], off
	s_mov_b32 s23, 0
	s_wait_loadcnt 0x0
	v_cvt_i32_f64_e32 v2, v[2:3]
	s_branch .LBB206_620
.LBB206_616:
	s_mov_b32 s23, -1
                                        ; implicit-def: $vgpr2
	s_branch .LBB206_638
.LBB206_617:
	s_mov_b32 s23, -1
                                        ; implicit-def: $vgpr2
	s_branch .LBB206_626
.LBB206_618:
	s_mov_b32 s23, -1
                                        ; implicit-def: $vgpr2
	s_branch .LBB206_623
.LBB206_619:
	s_mov_b32 s23, -1
                                        ; implicit-def: $vgpr2
.LBB206_620:
	s_delay_alu instid0(SALU_CYCLE_1)
	s_and_not1_b32 vcc_lo, exec_lo, s23
	s_cbranch_vccnz .LBB206_622
; %bb.621:
	s_wait_loadcnt 0x0
	global_load_b32 v2, v[0:1], off
	s_wait_loadcnt 0x0
	v_cvt_i32_f32_e32 v2, v2
.LBB206_622:
	s_mov_b32 s23, 0
.LBB206_623:
	s_delay_alu instid0(SALU_CYCLE_1)
	s_and_not1_b32 vcc_lo, exec_lo, s23
	s_cbranch_vccnz .LBB206_625
; %bb.624:
	s_wait_loadcnt 0x0
	global_load_b32 v2, v[0:1], off
	s_wait_loadcnt 0x0
	v_cvt_i16_f16_e32 v2, v2
.LBB206_625:
	s_mov_b32 s23, 0
.LBB206_626:
	s_delay_alu instid0(SALU_CYCLE_1)
	s_and_not1_b32 vcc_lo, exec_lo, s23
	s_cbranch_vccnz .LBB206_637
; %bb.627:
	s_cmp_lt_i32 s0, 6
	s_cbranch_scc1 .LBB206_630
; %bb.628:
	s_cmp_gt_i32 s0, 6
	s_cbranch_scc0 .LBB206_631
; %bb.629:
	s_wait_loadcnt 0x0
	global_load_b64 v[2:3], v[0:1], off
	s_mov_b32 s23, 0
	s_wait_loadcnt 0x0
	v_cvt_i32_f64_e32 v2, v[2:3]
	s_branch .LBB206_632
.LBB206_630:
	s_mov_b32 s23, -1
                                        ; implicit-def: $vgpr2
	s_branch .LBB206_635
.LBB206_631:
	s_mov_b32 s23, -1
                                        ; implicit-def: $vgpr2
.LBB206_632:
	s_delay_alu instid0(SALU_CYCLE_1)
	s_and_not1_b32 vcc_lo, exec_lo, s23
	s_cbranch_vccnz .LBB206_634
; %bb.633:
	s_wait_loadcnt 0x0
	global_load_b32 v2, v[0:1], off
	s_wait_loadcnt 0x0
	v_cvt_i32_f32_e32 v2, v2
.LBB206_634:
	s_mov_b32 s23, 0
.LBB206_635:
	s_delay_alu instid0(SALU_CYCLE_1)
	s_and_not1_b32 vcc_lo, exec_lo, s23
	s_cbranch_vccnz .LBB206_637
; %bb.636:
	s_wait_loadcnt 0x0
	global_load_u16 v2, v[0:1], off
	s_wait_loadcnt 0x0
	v_cvt_i16_f16_e32 v2, v2
.LBB206_637:
	s_mov_b32 s23, 0
.LBB206_638:
	s_delay_alu instid0(SALU_CYCLE_1)
	s_and_not1_b32 vcc_lo, exec_lo, s23
	s_cbranch_vccnz .LBB206_658
; %bb.639:
	s_cmp_lt_i32 s0, 2
	s_cbranch_scc1 .LBB206_643
; %bb.640:
	s_cmp_lt_i32 s0, 3
	s_cbranch_scc1 .LBB206_644
; %bb.641:
	s_cmp_gt_i32 s0, 3
	s_cbranch_scc0 .LBB206_645
; %bb.642:
	s_wait_loadcnt 0x0
	global_load_b64 v[2:3], v[0:1], off
	s_mov_b32 s23, 0
	s_branch .LBB206_646
.LBB206_643:
	s_mov_b32 s23, -1
                                        ; implicit-def: $vgpr2
	s_branch .LBB206_652
.LBB206_644:
	s_mov_b32 s23, -1
                                        ; implicit-def: $vgpr2
	s_branch .LBB206_649
.LBB206_645:
	s_mov_b32 s23, -1
                                        ; implicit-def: $vgpr2
.LBB206_646:
	s_delay_alu instid0(SALU_CYCLE_1)
	s_and_not1_b32 vcc_lo, exec_lo, s23
	s_cbranch_vccnz .LBB206_648
; %bb.647:
	s_wait_loadcnt 0x0
	global_load_b32 v2, v[0:1], off
.LBB206_648:
	s_mov_b32 s23, 0
.LBB206_649:
	s_delay_alu instid0(SALU_CYCLE_1)
	s_and_not1_b32 vcc_lo, exec_lo, s23
	s_cbranch_vccnz .LBB206_651
; %bb.650:
	s_wait_loadcnt 0x0
	global_load_u16 v2, v[0:1], off
.LBB206_651:
	s_mov_b32 s23, 0
.LBB206_652:
	s_delay_alu instid0(SALU_CYCLE_1)
	s_and_not1_b32 vcc_lo, exec_lo, s23
	s_cbranch_vccnz .LBB206_658
; %bb.653:
	s_cmp_gt_i32 s0, 0
	s_mov_b32 s0, 0
	s_cbranch_scc0 .LBB206_655
; %bb.654:
	s_wait_loadcnt 0x0
	global_load_i8 v2, v[0:1], off
	s_branch .LBB206_656
.LBB206_655:
	s_mov_b32 s0, -1
                                        ; implicit-def: $vgpr2
.LBB206_656:
	s_delay_alu instid0(SALU_CYCLE_1)
	s_and_not1_b32 vcc_lo, exec_lo, s0
	s_cbranch_vccnz .LBB206_658
; %bb.657:
	s_wait_loadcnt 0x0
	global_load_u8 v2, v[0:1], off
.LBB206_658:
	s_mov_b32 s23, -1
.LBB206_659:
	s_delay_alu instid0(SALU_CYCLE_1)
	s_and_not1_b32 vcc_lo, exec_lo, s23
	s_cbranch_vccnz .LBB206_663
; %bb.660:
	s_cmp_lt_i32 s10, 1
	s_mov_b32 s0, 0
	s_cbranch_scc1 .LBB206_664
; %bb.661:
	s_cmp_eq_u32 s10, 1
	s_cbranch_scc0 .LBB206_665
; %bb.662:
	s_wait_loadcnt 0x0
	s_delay_alu instid0(VALU_DEP_1)
	v_min_i16 v4, v2, s11
	s_mov_b32 s23, 0
	s_branch .LBB206_666
.LBB206_663:
	s_mov_b32 s23, 0
	s_mov_b32 s0, s19
	s_branch .LBB206_796
.LBB206_664:
	s_mov_b32 s24, -1
	s_mov_b32 s23, 0
                                        ; implicit-def: $vgpr4
	s_branch .LBB206_667
.LBB206_665:
	s_mov_b32 s23, -1
                                        ; implicit-def: $vgpr4
.LBB206_666:
	s_mov_b32 s24, 0
.LBB206_667:
	s_delay_alu instid0(SALU_CYCLE_1)
	s_and_b32 vcc_lo, exec_lo, s24
	s_cbranch_vccz .LBB206_678
; %bb.668:
	s_cmp_lg_u32 s10, 0
	s_mov_b32 s0, -1
	s_cselect_b32 s23, -1, 0
	s_wait_loadcnt 0x0
	s_delay_alu instid0(VALU_DEP_1)
	v_max_i16 v0, v2, s11
	s_and_not1_b32 vcc_lo, exec_lo, s23
	s_cbranch_vccz .LBB206_679
.LBB206_669:
	s_and_not1_b32 vcc_lo, exec_lo, s0
	s_cbranch_vccnz .LBB206_671
.LBB206_670:
	v_mov_b32_e32 v4, v0
.LBB206_671:
	v_mul_lo_u32 v0, v6, s8
	s_and_b32 s23, s2, 0xff
	s_delay_alu instid0(SALU_CYCLE_1) | instskip(NEXT) | instid1(VALU_DEP_1)
	s_cmp_lt_i32 s23, 11
	v_ashrrev_i32_e32 v1, 31, v0
	s_delay_alu instid0(VALU_DEP_1)
	v_add_nc_u64_e32 v[0:1], s[4:5], v[0:1]
	s_cbranch_scc1 .LBB206_680
; %bb.672:
	s_and_b32 s24, 0xffff, s23
	s_delay_alu instid0(SALU_CYCLE_1)
	s_cmp_gt_i32 s24, 25
	s_cbranch_scc0 .LBB206_681
; %bb.673:
	s_cmp_gt_i32 s24, 28
	s_cbranch_scc0 .LBB206_682
; %bb.674:
	;; [unrolled: 3-line block ×4, first 2 shown]
	s_mov_b32 s26, 0
	s_mov_b32 s0, -1
	s_cmp_eq_u32 s24, 46
	s_mov_b32 s25, 0
	s_cbranch_scc0 .LBB206_685
; %bb.677:
	v_bfe_i32 v2, v4, 0, 16
	s_mov_b32 s25, -1
	s_mov_b32 s0, 0
	s_delay_alu instid0(VALU_DEP_1) | instskip(NEXT) | instid1(VALU_DEP_1)
	v_cvt_f32_i32_e32 v2, v2
	v_bfe_u32 v3, v2, 16, 1
	s_delay_alu instid0(VALU_DEP_1) | instskip(NEXT) | instid1(VALU_DEP_1)
	v_add3_u32 v2, v2, v3, 0x7fff
	v_lshrrev_b32_e32 v2, 16, v2
	global_store_b32 v[0:1], v2, off
	s_branch .LBB206_685
.LBB206_678:
	s_wait_loadcnt 0x0
	s_delay_alu instid0(VALU_DEP_1)
	v_max_i16 v0, v2, s11
	s_and_not1_b32 vcc_lo, exec_lo, s23
	s_cbranch_vccnz .LBB206_669
.LBB206_679:
	v_max_i16 v1, v2, s11
	s_delay_alu instid0(VALU_DEP_1)
	v_min_i16 v4, v1, s1
	s_cbranch_execz .LBB206_670
	s_branch .LBB206_671
.LBB206_680:
	s_mov_b32 s24, -1
	s_mov_b32 s25, 0
	s_mov_b32 s0, s19
	s_branch .LBB206_754
.LBB206_681:
	s_mov_b32 s26, -1
	s_mov_b32 s25, 0
	s_mov_b32 s0, s19
	s_branch .LBB206_712
.LBB206_682:
	s_mov_b32 s26, -1
	s_mov_b32 s25, 0
	s_mov_b32 s0, s19
	s_branch .LBB206_695
.LBB206_683:
	s_mov_b32 s26, -1
	s_mov_b32 s25, 0
	s_mov_b32 s0, s19
	s_branch .LBB206_691
.LBB206_684:
	s_mov_b32 s26, -1
	s_mov_b32 s25, 0
	s_mov_b32 s0, s19
.LBB206_685:
	s_and_b32 vcc_lo, exec_lo, s26
	s_cbranch_vccz .LBB206_690
; %bb.686:
	s_cmp_eq_u32 s24, 44
	s_mov_b32 s0, -1
	s_cbranch_scc0 .LBB206_690
; %bb.687:
	s_wait_xcnt 0x0
	v_bfe_i32 v2, v4, 0, 16
	v_mov_b32_e32 v3, 0xff
	s_mov_b32 s25, exec_lo
	s_delay_alu instid0(VALU_DEP_2) | instskip(NEXT) | instid1(VALU_DEP_1)
	v_cvt_f32_i32_e32 v2, v2
	v_bfe_u32 v5, v2, 23, 8
	s_delay_alu instid0(VALU_DEP_1)
	v_cmpx_ne_u32_e32 0xff, v5
	s_cbranch_execz .LBB206_689
; %bb.688:
	v_and_b32_e32 v3, 0x400000, v2
	v_and_or_b32 v5, 0x3fffff, v2, v5
	v_lshrrev_b32_e32 v2, 23, v2
	s_delay_alu instid0(VALU_DEP_3) | instskip(NEXT) | instid1(VALU_DEP_3)
	v_cmp_ne_u32_e32 vcc_lo, 0, v3
	v_cmp_ne_u32_e64 s0, 0, v5
	s_and_b32 s0, vcc_lo, s0
	s_delay_alu instid0(SALU_CYCLE_1) | instskip(NEXT) | instid1(VALU_DEP_1)
	v_cndmask_b32_e64 v3, 0, 1, s0
	v_add_nc_u32_e32 v3, v2, v3
.LBB206_689:
	s_or_b32 exec_lo, exec_lo, s25
	s_mov_b32 s25, -1
	s_mov_b32 s0, 0
	global_store_b8 v[0:1], v3, off
.LBB206_690:
	s_mov_b32 s26, 0
.LBB206_691:
	s_delay_alu instid0(SALU_CYCLE_1)
	s_and_b32 vcc_lo, exec_lo, s26
	s_cbranch_vccz .LBB206_694
; %bb.692:
	s_cmp_eq_u32 s24, 29
	s_mov_b32 s0, -1
	s_cbranch_scc0 .LBB206_694
; %bb.693:
	s_wait_xcnt 0x0
	v_bfe_i32 v2, v4, 0, 16
	s_mov_b32 s0, 0
	s_mov_b32 s25, -1
	s_mov_b32 s26, 0
	s_delay_alu instid0(VALU_DEP_1)
	v_ashrrev_i32_e32 v3, 31, v2
	global_store_b64 v[0:1], v[2:3], off
	s_branch .LBB206_695
.LBB206_694:
	s_mov_b32 s26, 0
.LBB206_695:
	s_delay_alu instid0(SALU_CYCLE_1)
	s_and_b32 vcc_lo, exec_lo, s26
	s_cbranch_vccz .LBB206_711
; %bb.696:
	s_cmp_lt_i32 s24, 27
	s_mov_b32 s25, -1
	s_cbranch_scc1 .LBB206_702
; %bb.697:
	s_cmp_gt_i32 s24, 27
	s_cbranch_scc0 .LBB206_699
; %bb.698:
	s_wait_xcnt 0x0
	v_bfe_i32 v2, v4, 0, 16
	s_mov_b32 s25, 0
	global_store_b32 v[0:1], v2, off
.LBB206_699:
	s_and_not1_b32 vcc_lo, exec_lo, s25
	s_cbranch_vccnz .LBB206_701
; %bb.700:
	global_store_b16 v[0:1], v4, off
.LBB206_701:
	s_mov_b32 s25, 0
.LBB206_702:
	s_delay_alu instid0(SALU_CYCLE_1)
	s_and_not1_b32 vcc_lo, exec_lo, s25
	s_cbranch_vccnz .LBB206_710
; %bb.703:
	s_wait_xcnt 0x0
	v_bfe_i32 v2, v4, 0, 16
	v_mov_b32_e32 v5, 0x80
	s_mov_b32 s25, exec_lo
	s_delay_alu instid0(VALU_DEP_2) | instskip(NEXT) | instid1(VALU_DEP_1)
	v_cvt_f32_i32_e32 v2, v2
	v_and_b32_e32 v3, 0x7fffffff, v2
	s_delay_alu instid0(VALU_DEP_1)
	v_cmpx_gt_u32_e32 0x43800000, v3
	s_cbranch_execz .LBB206_709
; %bb.704:
	v_cmp_lt_u32_e32 vcc_lo, 0x3bffffff, v3
	s_mov_b32 s26, 0
                                        ; implicit-def: $vgpr3
	s_and_saveexec_b32 s27, vcc_lo
	s_delay_alu instid0(SALU_CYCLE_1)
	s_xor_b32 s27, exec_lo, s27
	s_cbranch_execz .LBB206_811
; %bb.705:
	v_bfe_u32 v3, v2, 20, 1
	s_mov_b32 s26, exec_lo
	s_delay_alu instid0(VALU_DEP_1) | instskip(NEXT) | instid1(VALU_DEP_1)
	v_add3_u32 v3, v2, v3, 0x487ffff
	v_lshrrev_b32_e32 v3, 20, v3
	s_and_not1_saveexec_b32 s27, s27
	s_cbranch_execnz .LBB206_812
.LBB206_706:
	s_or_b32 exec_lo, exec_lo, s27
	v_mov_b32_e32 v5, 0
	s_and_saveexec_b32 s27, s26
.LBB206_707:
	v_lshrrev_b32_e32 v2, 24, v2
	s_delay_alu instid0(VALU_DEP_1)
	v_and_or_b32 v5, 0x80, v2, v3
.LBB206_708:
	s_or_b32 exec_lo, exec_lo, s27
.LBB206_709:
	s_delay_alu instid0(SALU_CYCLE_1)
	s_or_b32 exec_lo, exec_lo, s25
	global_store_b8 v[0:1], v5, off
.LBB206_710:
	s_mov_b32 s25, -1
.LBB206_711:
	s_mov_b32 s26, 0
.LBB206_712:
	s_delay_alu instid0(SALU_CYCLE_1)
	s_and_b32 vcc_lo, exec_lo, s26
	s_cbranch_vccz .LBB206_753
; %bb.713:
	s_cmp_gt_i32 s24, 22
	s_mov_b32 s26, -1
	s_cbranch_scc0 .LBB206_745
; %bb.714:
	s_cmp_lt_i32 s24, 24
	s_mov_b32 s25, -1
	s_cbranch_scc1 .LBB206_734
; %bb.715:
	s_cmp_gt_i32 s24, 24
	s_cbranch_scc0 .LBB206_723
; %bb.716:
	s_wait_xcnt 0x0
	v_bfe_i32 v2, v4, 0, 16
	v_mov_b32_e32 v5, 0x80
	s_mov_b32 s25, exec_lo
	s_delay_alu instid0(VALU_DEP_2) | instskip(NEXT) | instid1(VALU_DEP_1)
	v_cvt_f32_i32_e32 v2, v2
	v_and_b32_e32 v3, 0x7fffffff, v2
	s_delay_alu instid0(VALU_DEP_1)
	v_cmpx_gt_u32_e32 0x47800000, v3
	s_cbranch_execz .LBB206_722
; %bb.717:
	v_cmp_lt_u32_e32 vcc_lo, 0x37ffffff, v3
	s_mov_b32 s26, 0
                                        ; implicit-def: $vgpr3
	s_and_saveexec_b32 s27, vcc_lo
	s_delay_alu instid0(SALU_CYCLE_1)
	s_xor_b32 s27, exec_lo, s27
	s_cbranch_execz .LBB206_814
; %bb.718:
	v_bfe_u32 v3, v2, 21, 1
	s_mov_b32 s26, exec_lo
	s_delay_alu instid0(VALU_DEP_1) | instskip(NEXT) | instid1(VALU_DEP_1)
	v_add3_u32 v3, v2, v3, 0x88fffff
	v_lshrrev_b32_e32 v3, 21, v3
	s_and_not1_saveexec_b32 s27, s27
	s_cbranch_execnz .LBB206_815
.LBB206_719:
	s_or_b32 exec_lo, exec_lo, s27
	v_mov_b32_e32 v5, 0
	s_and_saveexec_b32 s27, s26
.LBB206_720:
	v_lshrrev_b32_e32 v2, 24, v2
	s_delay_alu instid0(VALU_DEP_1)
	v_and_or_b32 v5, 0x80, v2, v3
.LBB206_721:
	s_or_b32 exec_lo, exec_lo, s27
.LBB206_722:
	s_delay_alu instid0(SALU_CYCLE_1)
	s_or_b32 exec_lo, exec_lo, s25
	s_mov_b32 s25, 0
	global_store_b8 v[0:1], v5, off
.LBB206_723:
	s_and_b32 vcc_lo, exec_lo, s25
	s_cbranch_vccz .LBB206_733
; %bb.724:
	s_wait_xcnt 0x0
	v_bfe_i32 v2, v4, 0, 16
	s_mov_b32 s25, exec_lo
                                        ; implicit-def: $vgpr3
	s_delay_alu instid0(VALU_DEP_1) | instskip(NEXT) | instid1(VALU_DEP_1)
	v_cvt_f32_i32_e32 v2, v2
	v_and_b32_e32 v5, 0x7fffffff, v2
	s_delay_alu instid0(VALU_DEP_1)
	v_cmpx_gt_u32_e32 0x43f00000, v5
	s_xor_b32 s25, exec_lo, s25
	s_cbranch_execz .LBB206_730
; %bb.725:
	s_mov_b32 s26, exec_lo
                                        ; implicit-def: $vgpr3
	v_cmpx_lt_u32_e32 0x3c7fffff, v5
	s_xor_b32 s26, exec_lo, s26
; %bb.726:
	v_bfe_u32 v3, v2, 20, 1
	s_delay_alu instid0(VALU_DEP_1) | instskip(NEXT) | instid1(VALU_DEP_1)
	v_add3_u32 v3, v2, v3, 0x407ffff
	v_and_b32_e32 v5, 0xff00000, v3
	v_lshrrev_b32_e32 v3, 20, v3
	s_delay_alu instid0(VALU_DEP_2) | instskip(NEXT) | instid1(VALU_DEP_2)
	v_cmp_ne_u32_e32 vcc_lo, 0x7f00000, v5
	v_cndmask_b32_e32 v3, 0x7e, v3, vcc_lo
; %bb.727:
	s_and_not1_saveexec_b32 s26, s26
; %bb.728:
	v_add_f32_e64 v3, 0x46800000, |v2|
; %bb.729:
	s_or_b32 exec_lo, exec_lo, s26
                                        ; implicit-def: $vgpr5
.LBB206_730:
	s_and_not1_saveexec_b32 s25, s25
; %bb.731:
	v_mov_b32_e32 v3, 0x7f
	v_cmp_lt_u32_e32 vcc_lo, 0x7f800000, v5
	s_delay_alu instid0(VALU_DEP_2)
	v_cndmask_b32_e32 v3, 0x7e, v3, vcc_lo
; %bb.732:
	s_or_b32 exec_lo, exec_lo, s25
	v_lshrrev_b32_e32 v2, 24, v2
	s_delay_alu instid0(VALU_DEP_1)
	v_and_or_b32 v2, 0x80, v2, v3
	global_store_b8 v[0:1], v2, off
.LBB206_733:
	s_mov_b32 s25, 0
.LBB206_734:
	s_delay_alu instid0(SALU_CYCLE_1)
	s_and_not1_b32 vcc_lo, exec_lo, s25
	s_cbranch_vccnz .LBB206_744
; %bb.735:
	s_wait_xcnt 0x0
	v_bfe_i32 v2, v4, 0, 16
	s_mov_b32 s25, exec_lo
                                        ; implicit-def: $vgpr3
	s_delay_alu instid0(VALU_DEP_1) | instskip(NEXT) | instid1(VALU_DEP_1)
	v_cvt_f32_i32_e32 v2, v2
	v_and_b32_e32 v5, 0x7fffffff, v2
	s_delay_alu instid0(VALU_DEP_1)
	v_cmpx_gt_u32_e32 0x47800000, v5
	s_xor_b32 s25, exec_lo, s25
	s_cbranch_execz .LBB206_741
; %bb.736:
	s_mov_b32 s26, exec_lo
                                        ; implicit-def: $vgpr3
	v_cmpx_lt_u32_e32 0x387fffff, v5
	s_xor_b32 s26, exec_lo, s26
; %bb.737:
	v_bfe_u32 v3, v2, 21, 1
	s_delay_alu instid0(VALU_DEP_1) | instskip(NEXT) | instid1(VALU_DEP_1)
	v_add3_u32 v3, v2, v3, 0x80fffff
	v_lshrrev_b32_e32 v3, 21, v3
; %bb.738:
	s_and_not1_saveexec_b32 s26, s26
; %bb.739:
	v_add_f32_e64 v3, 0x43000000, |v2|
; %bb.740:
	s_or_b32 exec_lo, exec_lo, s26
                                        ; implicit-def: $vgpr5
.LBB206_741:
	s_and_not1_saveexec_b32 s25, s25
; %bb.742:
	v_mov_b32_e32 v3, 0x7f
	v_cmp_lt_u32_e32 vcc_lo, 0x7f800000, v5
	s_delay_alu instid0(VALU_DEP_2)
	v_cndmask_b32_e32 v3, 0x7c, v3, vcc_lo
; %bb.743:
	s_or_b32 exec_lo, exec_lo, s25
	v_lshrrev_b32_e32 v2, 24, v2
	s_delay_alu instid0(VALU_DEP_1)
	v_and_or_b32 v2, 0x80, v2, v3
	global_store_b8 v[0:1], v2, off
.LBB206_744:
	s_mov_b32 s26, 0
	s_mov_b32 s25, -1
.LBB206_745:
	s_and_not1_b32 vcc_lo, exec_lo, s26
	s_cbranch_vccnz .LBB206_753
; %bb.746:
	s_cmp_gt_i32 s24, 14
	s_mov_b32 s26, -1
	s_cbranch_scc0 .LBB206_750
; %bb.747:
	s_cmp_eq_u32 s24, 15
	s_mov_b32 s0, -1
	s_cbranch_scc0 .LBB206_749
; %bb.748:
	s_wait_xcnt 0x0
	v_bfe_i32 v2, v4, 0, 16
	s_mov_b32 s25, -1
	s_mov_b32 s0, 0
	s_delay_alu instid0(VALU_DEP_1) | instskip(NEXT) | instid1(VALU_DEP_1)
	v_cvt_f32_i32_e32 v2, v2
	v_bfe_u32 v3, v2, 16, 1
	s_delay_alu instid0(VALU_DEP_1)
	v_add3_u32 v2, v2, v3, 0x7fff
	global_store_d16_hi_b16 v[0:1], v2, off
.LBB206_749:
	s_mov_b32 s26, 0
.LBB206_750:
	s_delay_alu instid0(SALU_CYCLE_1)
	s_and_b32 vcc_lo, exec_lo, s26
	s_cbranch_vccz .LBB206_753
; %bb.751:
	s_cmp_eq_u32 s24, 11
	s_mov_b32 s0, -1
	s_cbranch_scc0 .LBB206_753
; %bb.752:
	v_cmp_ne_u16_e32 vcc_lo, 0, v4
	s_mov_b32 s0, 0
	s_mov_b32 s25, -1
	s_wait_xcnt 0x0
	v_cndmask_b32_e64 v2, 0, 1, vcc_lo
	global_store_b8 v[0:1], v2, off
.LBB206_753:
	s_mov_b32 s24, 0
.LBB206_754:
	s_delay_alu instid0(SALU_CYCLE_1)
	s_and_b32 vcc_lo, exec_lo, s24
	s_cbranch_vccz .LBB206_793
; %bb.755:
	s_and_b32 s23, 0xffff, s23
	s_mov_b32 s24, -1
	s_cmp_lt_i32 s23, 5
	s_cbranch_scc1 .LBB206_776
; %bb.756:
	s_cmp_lt_i32 s23, 8
	s_cbranch_scc1 .LBB206_766
; %bb.757:
	;; [unrolled: 3-line block ×3, first 2 shown]
	s_cmp_gt_i32 s23, 9
	s_cbranch_scc0 .LBB206_760
; %bb.759:
	s_wait_xcnt 0x0
	v_bfe_i32 v2, v4, 0, 16
	v_mov_b32_e32 v10, 0
	s_mov_b32 s24, 0
	s_delay_alu instid0(VALU_DEP_2) | instskip(NEXT) | instid1(VALU_DEP_2)
	v_cvt_f64_i32_e32 v[8:9], v2
	v_mov_b32_e32 v11, v10
	global_store_b128 v[0:1], v[8:11], off
.LBB206_760:
	s_and_not1_b32 vcc_lo, exec_lo, s24
	s_cbranch_vccnz .LBB206_762
; %bb.761:
	s_wait_xcnt 0x0
	v_bfe_i32 v2, v4, 0, 16
	v_mov_b32_e32 v3, 0
	s_delay_alu instid0(VALU_DEP_2)
	v_cvt_f32_i32_e32 v2, v2
	global_store_b64 v[0:1], v[2:3], off
.LBB206_762:
	s_mov_b32 s24, 0
.LBB206_763:
	s_delay_alu instid0(SALU_CYCLE_1)
	s_and_not1_b32 vcc_lo, exec_lo, s24
	s_cbranch_vccnz .LBB206_765
; %bb.764:
	s_wait_xcnt 0x0
	v_cvt_f16_i16_e32 v2, v4
	s_delay_alu instid0(VALU_DEP_1)
	v_and_b32_e32 v2, 0xffff, v2
	global_store_b32 v[0:1], v2, off
.LBB206_765:
	s_mov_b32 s24, 0
.LBB206_766:
	s_delay_alu instid0(SALU_CYCLE_1)
	s_and_not1_b32 vcc_lo, exec_lo, s24
	s_cbranch_vccnz .LBB206_775
; %bb.767:
	s_cmp_lt_i32 s23, 6
	s_mov_b32 s24, -1
	s_cbranch_scc1 .LBB206_773
; %bb.768:
	s_cmp_gt_i32 s23, 6
	s_cbranch_scc0 .LBB206_770
; %bb.769:
	s_wait_xcnt 0x0
	v_bfe_i32 v2, v4, 0, 16
	s_mov_b32 s24, 0
	s_delay_alu instid0(VALU_DEP_1)
	v_cvt_f64_i32_e32 v[2:3], v2
	global_store_b64 v[0:1], v[2:3], off
.LBB206_770:
	s_and_not1_b32 vcc_lo, exec_lo, s24
	s_cbranch_vccnz .LBB206_772
; %bb.771:
	s_wait_xcnt 0x0
	v_bfe_i32 v2, v4, 0, 16
	s_delay_alu instid0(VALU_DEP_1)
	v_cvt_f32_i32_e32 v2, v2
	global_store_b32 v[0:1], v2, off
.LBB206_772:
	s_mov_b32 s24, 0
.LBB206_773:
	s_delay_alu instid0(SALU_CYCLE_1)
	s_and_not1_b32 vcc_lo, exec_lo, s24
	s_cbranch_vccnz .LBB206_775
; %bb.774:
	s_wait_xcnt 0x0
	v_cvt_f16_i16_e32 v2, v4
	global_store_b16 v[0:1], v2, off
.LBB206_775:
	s_mov_b32 s24, 0
.LBB206_776:
	s_delay_alu instid0(SALU_CYCLE_1)
	s_and_not1_b32 vcc_lo, exec_lo, s24
	s_cbranch_vccnz .LBB206_792
; %bb.777:
	s_cmp_lt_i32 s23, 2
	s_mov_b32 s24, -1
	s_cbranch_scc1 .LBB206_787
; %bb.778:
	s_cmp_lt_i32 s23, 3
	s_cbranch_scc1 .LBB206_784
; %bb.779:
	s_wait_xcnt 0x0
	v_bfe_i32 v2, v4, 0, 16
	s_cmp_gt_i32 s23, 3
	s_cbranch_scc0 .LBB206_781
; %bb.780:
	s_delay_alu instid0(VALU_DEP_1)
	v_ashrrev_i32_e32 v3, 31, v2
	s_mov_b32 s24, 0
	global_store_b64 v[0:1], v[2:3], off
.LBB206_781:
	s_and_not1_b32 vcc_lo, exec_lo, s24
	s_cbranch_vccnz .LBB206_783
; %bb.782:
	global_store_b32 v[0:1], v2, off
.LBB206_783:
	s_mov_b32 s24, 0
.LBB206_784:
	s_delay_alu instid0(SALU_CYCLE_1)
	s_and_not1_b32 vcc_lo, exec_lo, s24
	s_cbranch_vccnz .LBB206_786
; %bb.785:
	global_store_b16 v[0:1], v4, off
.LBB206_786:
	s_mov_b32 s24, 0
.LBB206_787:
	s_delay_alu instid0(SALU_CYCLE_1)
	s_and_not1_b32 vcc_lo, exec_lo, s24
	s_cbranch_vccnz .LBB206_792
; %bb.788:
	s_cmp_gt_i32 s23, 0
	s_mov_b32 s23, -1
	s_cbranch_scc0 .LBB206_790
; %bb.789:
	s_mov_b32 s23, 0
	global_store_b8 v[0:1], v4, off
.LBB206_790:
	s_and_not1_b32 vcc_lo, exec_lo, s23
	s_cbranch_vccnz .LBB206_792
; %bb.791:
	global_store_b8 v[0:1], v4, off
.LBB206_792:
	s_mov_b32 s25, -1
.LBB206_793:
	s_delay_alu instid0(SALU_CYCLE_1)
	s_and_not1_b32 vcc_lo, exec_lo, s25
	s_cbranch_vccnz .LBB206_795
; %bb.794:
	v_add_nc_u32_e32 v6, 0x80, v6
	s_mov_b32 s23, -1
	s_branch .LBB206_797
.LBB206_795:
	s_mov_b32 s23, 0
.LBB206_796:
                                        ; implicit-def: $vgpr6
.LBB206_797:
	s_and_not1_b32 s24, s19, exec_lo
	s_and_b32 s0, s0, exec_lo
	s_and_not1_b32 s25, s18, exec_lo
	s_and_b32 s26, s22, exec_lo
	s_or_b32 s22, s24, s0
	s_or_b32 s0, s25, s26
	s_or_not1_b32 s23, s23, exec_lo
.LBB206_798:
	s_wait_xcnt 0x0
	s_or_b32 exec_lo, exec_lo, s21
	s_mov_b32 s24, 0
	s_mov_b32 s25, 0
	;; [unrolled: 1-line block ×3, first 2 shown]
                                        ; implicit-def: $vgpr0_vgpr1
                                        ; implicit-def: $vgpr2
	s_and_saveexec_b32 s21, s23
	s_cbranch_execz .LBB206_879
; %bb.799:
	v_cmp_gt_i32_e32 vcc_lo, s15, v6
	s_mov_b32 s23, 0
	s_mov_b32 s24, s0
	;; [unrolled: 1-line block ×3, first 2 shown]
                                        ; implicit-def: $vgpr0_vgpr1
                                        ; implicit-def: $vgpr2
	s_and_saveexec_b32 s15, vcc_lo
	s_cbranch_execz .LBB206_878
; %bb.800:
	v_mul_lo_u32 v0, v6, s9
	s_and_b32 s23, 0xffff, s12
	s_delay_alu instid0(SALU_CYCLE_1) | instskip(NEXT) | instid1(VALU_DEP_1)
	s_cmp_lt_i32 s23, 11
	v_ashrrev_i32_e32 v1, 31, v0
	s_delay_alu instid0(VALU_DEP_1)
	v_add_nc_u64_e32 v[0:1], s[6:7], v[0:1]
	s_cbranch_scc1 .LBB206_807
; %bb.801:
	s_cmp_gt_i32 s23, 25
	s_cbranch_scc0 .LBB206_808
; %bb.802:
	s_cmp_gt_i32 s23, 28
	s_cbranch_scc0 .LBB206_809
	;; [unrolled: 3-line block ×4, first 2 shown]
; %bb.805:
	s_cmp_eq_u32 s23, 46
	s_cbranch_scc0 .LBB206_816
; %bb.806:
	s_wait_loadcnt 0x0
	global_load_b32 v2, v[0:1], off
	s_mov_b32 s24, 0
	s_mov_b32 s26, -1
	s_wait_loadcnt 0x0
	v_lshlrev_b32_e32 v2, 16, v2
	s_delay_alu instid0(VALU_DEP_1)
	v_cvt_i32_f32_e32 v2, v2
	s_branch .LBB206_818
.LBB206_807:
	s_mov_b32 s23, -1
	s_mov_b32 s24, s0
                                        ; implicit-def: $vgpr2
	s_branch .LBB206_877
.LBB206_808:
	s_mov_b32 s27, -1
	s_mov_b32 s24, s0
                                        ; implicit-def: $vgpr2
	s_branch .LBB206_845
.LBB206_809:
	s_mov_b32 s27, -1
	s_mov_b32 s24, s0
                                        ; implicit-def: $vgpr2
	s_branch .LBB206_828
.LBB206_810:
	s_mov_b32 s27, -1
	s_mov_b32 s24, s0
                                        ; implicit-def: $vgpr2
	s_branch .LBB206_823
.LBB206_811:
	s_and_not1_saveexec_b32 s27, s27
	s_cbranch_execz .LBB206_706
.LBB206_812:
	v_add_f32_e64 v3, 0x46000000, |v2|
	s_and_not1_b32 s26, s26, exec_lo
	s_delay_alu instid0(VALU_DEP_1) | instskip(NEXT) | instid1(VALU_DEP_1)
	v_and_b32_e32 v3, 0xff, v3
	v_cmp_ne_u32_e32 vcc_lo, 0, v3
	s_and_b32 s28, vcc_lo, exec_lo
	s_delay_alu instid0(SALU_CYCLE_1)
	s_or_b32 s26, s26, s28
	s_or_b32 exec_lo, exec_lo, s27
	v_mov_b32_e32 v5, 0
	s_and_saveexec_b32 s27, s26
	s_cbranch_execnz .LBB206_707
	s_branch .LBB206_708
.LBB206_813:
	s_mov_b32 s27, -1
	s_mov_b32 s24, s0
	s_branch .LBB206_817
.LBB206_814:
	s_and_not1_saveexec_b32 s27, s27
	s_cbranch_execz .LBB206_719
.LBB206_815:
	v_add_f32_e64 v3, 0x42800000, |v2|
	s_and_not1_b32 s26, s26, exec_lo
	s_delay_alu instid0(VALU_DEP_1) | instskip(NEXT) | instid1(VALU_DEP_1)
	v_and_b32_e32 v3, 0xff, v3
	v_cmp_ne_u32_e32 vcc_lo, 0, v3
	s_and_b32 s28, vcc_lo, exec_lo
	s_delay_alu instid0(SALU_CYCLE_1)
	s_or_b32 s26, s26, s28
	s_or_b32 exec_lo, exec_lo, s27
	v_mov_b32_e32 v5, 0
	s_and_saveexec_b32 s27, s26
	s_cbranch_execnz .LBB206_720
	s_branch .LBB206_721
.LBB206_816:
	s_mov_b32 s24, -1
.LBB206_817:
                                        ; implicit-def: $vgpr2
.LBB206_818:
	s_and_b32 vcc_lo, exec_lo, s27
	s_cbranch_vccz .LBB206_822
; %bb.819:
	s_cmp_eq_u32 s23, 44
	s_cbranch_scc0 .LBB206_821
; %bb.820:
	s_wait_loadcnt 0x0
	global_load_u8 v2, v[0:1], off
	s_mov_b32 s24, 0
	s_mov_b32 s26, -1
	s_wait_loadcnt 0x0
	v_lshlrev_b32_e32 v3, 23, v2
	v_cmp_ne_u32_e32 vcc_lo, 0, v2
	s_delay_alu instid0(VALU_DEP_2) | instskip(NEXT) | instid1(VALU_DEP_1)
	v_cvt_i32_f32_e32 v3, v3
	v_cndmask_b32_e32 v2, 0, v3, vcc_lo
	s_branch .LBB206_822
.LBB206_821:
	s_mov_b32 s24, -1
                                        ; implicit-def: $vgpr2
.LBB206_822:
	s_mov_b32 s27, 0
.LBB206_823:
	s_delay_alu instid0(SALU_CYCLE_1)
	s_and_b32 vcc_lo, exec_lo, s27
	s_cbranch_vccz .LBB206_827
; %bb.824:
	s_cmp_eq_u32 s23, 29
	s_cbranch_scc0 .LBB206_826
; %bb.825:
	s_wait_loadcnt 0x0
	global_load_b64 v[2:3], v[0:1], off
	s_mov_b32 s24, 0
	s_mov_b32 s26, -1
	s_branch .LBB206_827
.LBB206_826:
	s_mov_b32 s24, -1
                                        ; implicit-def: $vgpr2
.LBB206_827:
	s_mov_b32 s27, 0
.LBB206_828:
	s_delay_alu instid0(SALU_CYCLE_1)
	s_and_b32 vcc_lo, exec_lo, s27
	s_cbranch_vccz .LBB206_844
; %bb.829:
	s_cmp_lt_i32 s23, 27
	s_cbranch_scc1 .LBB206_832
; %bb.830:
	s_cmp_gt_i32 s23, 27
	s_cbranch_scc0 .LBB206_833
; %bb.831:
	s_wait_loadcnt 0x0
	global_load_b32 v2, v[0:1], off
	s_mov_b32 s26, 0
	s_branch .LBB206_834
.LBB206_832:
	s_mov_b32 s26, -1
                                        ; implicit-def: $vgpr2
	s_branch .LBB206_837
.LBB206_833:
	s_mov_b32 s26, -1
                                        ; implicit-def: $vgpr2
.LBB206_834:
	s_delay_alu instid0(SALU_CYCLE_1)
	s_and_not1_b32 vcc_lo, exec_lo, s26
	s_cbranch_vccnz .LBB206_836
; %bb.835:
	s_wait_loadcnt 0x0
	global_load_u16 v2, v[0:1], off
.LBB206_836:
	s_mov_b32 s26, 0
.LBB206_837:
	s_delay_alu instid0(SALU_CYCLE_1)
	s_and_not1_b32 vcc_lo, exec_lo, s26
	s_cbranch_vccnz .LBB206_843
; %bb.838:
	s_wait_loadcnt 0x0
	global_load_u8 v3, v[0:1], off
	s_mov_b32 s27, 0
	s_mov_b32 s26, exec_lo
	s_wait_loadcnt 0x0
	v_cmpx_lt_i16_e32 0x7f, v3
	s_xor_b32 s26, exec_lo, s26
	s_cbranch_execz .LBB206_855
; %bb.839:
	v_cmp_ne_u16_e32 vcc_lo, 0x80, v3
	s_and_b32 s27, vcc_lo, exec_lo
	s_and_not1_saveexec_b32 s26, s26
	s_cbranch_execnz .LBB206_856
.LBB206_840:
	s_or_b32 exec_lo, exec_lo, s26
	v_mov_b32_e32 v2, 0
	s_and_saveexec_b32 s26, s27
	s_cbranch_execz .LBB206_842
.LBB206_841:
	v_and_b32_e32 v2, 0xffff, v3
	s_delay_alu instid0(VALU_DEP_1) | instskip(SKIP_1) | instid1(VALU_DEP_2)
	v_and_b32_e32 v4, 7, v2
	v_bfe_u32 v8, v2, 3, 4
	v_clz_i32_u32_e32 v5, v4
	s_delay_alu instid0(VALU_DEP_2) | instskip(NEXT) | instid1(VALU_DEP_2)
	v_cmp_eq_u32_e32 vcc_lo, 0, v8
	v_min_u32_e32 v5, 32, v5
	s_delay_alu instid0(VALU_DEP_1) | instskip(NEXT) | instid1(VALU_DEP_1)
	v_subrev_nc_u32_e32 v7, 28, v5
	v_dual_lshlrev_b32 v2, v7, v2 :: v_dual_sub_nc_u32 v5, 29, v5
	s_delay_alu instid0(VALU_DEP_1) | instskip(NEXT) | instid1(VALU_DEP_2)
	v_dual_lshlrev_b32 v3, 24, v3 :: v_dual_bitop2_b32 v2, 7, v2 bitop3:0x40
	v_cndmask_b32_e32 v5, v8, v5, vcc_lo
	s_delay_alu instid0(VALU_DEP_2) | instskip(NEXT) | instid1(VALU_DEP_3)
	v_cndmask_b32_e32 v2, v4, v2, vcc_lo
	v_and_b32_e32 v3, 0x80000000, v3
	s_delay_alu instid0(VALU_DEP_3) | instskip(NEXT) | instid1(VALU_DEP_3)
	v_lshl_add_u32 v4, v5, 23, 0x3b800000
	v_lshlrev_b32_e32 v2, 20, v2
	s_delay_alu instid0(VALU_DEP_1) | instskip(NEXT) | instid1(VALU_DEP_1)
	v_or3_b32 v2, v3, v4, v2
	v_cvt_i32_f32_e32 v2, v2
.LBB206_842:
	s_or_b32 exec_lo, exec_lo, s26
.LBB206_843:
	s_mov_b32 s26, -1
.LBB206_844:
	s_mov_b32 s27, 0
.LBB206_845:
	s_delay_alu instid0(SALU_CYCLE_1)
	s_and_b32 vcc_lo, exec_lo, s27
	s_cbranch_vccz .LBB206_876
; %bb.846:
	s_cmp_gt_i32 s23, 22
	s_cbranch_scc0 .LBB206_854
; %bb.847:
	s_cmp_lt_i32 s23, 24
	s_cbranch_scc1 .LBB206_857
; %bb.848:
	s_cmp_gt_i32 s23, 24
	s_cbranch_scc0 .LBB206_858
; %bb.849:
	s_wait_loadcnt 0x0
	global_load_u8 v3, v[0:1], off
	s_mov_b32 s26, 0
	s_mov_b32 s25, exec_lo
	s_wait_loadcnt 0x0
	v_cmpx_lt_i16_e32 0x7f, v3
	s_xor_b32 s25, exec_lo, s25
	s_cbranch_execz .LBB206_870
; %bb.850:
	v_cmp_ne_u16_e32 vcc_lo, 0x80, v3
	s_and_b32 s26, vcc_lo, exec_lo
	s_and_not1_saveexec_b32 s25, s25
	s_cbranch_execnz .LBB206_871
.LBB206_851:
	s_or_b32 exec_lo, exec_lo, s25
	v_mov_b32_e32 v2, 0
	s_and_saveexec_b32 s25, s26
	s_cbranch_execz .LBB206_853
.LBB206_852:
	v_and_b32_e32 v2, 0xffff, v3
	s_delay_alu instid0(VALU_DEP_1) | instskip(SKIP_1) | instid1(VALU_DEP_2)
	v_and_b32_e32 v4, 3, v2
	v_bfe_u32 v8, v2, 2, 5
	v_clz_i32_u32_e32 v5, v4
	s_delay_alu instid0(VALU_DEP_2) | instskip(NEXT) | instid1(VALU_DEP_2)
	v_cmp_eq_u32_e32 vcc_lo, 0, v8
	v_min_u32_e32 v5, 32, v5
	s_delay_alu instid0(VALU_DEP_1) | instskip(NEXT) | instid1(VALU_DEP_1)
	v_subrev_nc_u32_e32 v7, 29, v5
	v_dual_lshlrev_b32 v2, v7, v2 :: v_dual_sub_nc_u32 v5, 30, v5
	s_delay_alu instid0(VALU_DEP_1) | instskip(NEXT) | instid1(VALU_DEP_2)
	v_dual_lshlrev_b32 v3, 24, v3 :: v_dual_bitop2_b32 v2, 3, v2 bitop3:0x40
	v_cndmask_b32_e32 v5, v8, v5, vcc_lo
	s_delay_alu instid0(VALU_DEP_2) | instskip(NEXT) | instid1(VALU_DEP_3)
	v_cndmask_b32_e32 v2, v4, v2, vcc_lo
	v_and_b32_e32 v3, 0x80000000, v3
	s_delay_alu instid0(VALU_DEP_3) | instskip(NEXT) | instid1(VALU_DEP_3)
	v_lshl_add_u32 v4, v5, 23, 0x37800000
	v_lshlrev_b32_e32 v2, 21, v2
	s_delay_alu instid0(VALU_DEP_1) | instskip(NEXT) | instid1(VALU_DEP_1)
	v_or3_b32 v2, v3, v4, v2
	v_cvt_i32_f32_e32 v2, v2
.LBB206_853:
	s_or_b32 exec_lo, exec_lo, s25
	s_mov_b32 s25, 0
	s_branch .LBB206_859
.LBB206_854:
	s_mov_b32 s25, -1
                                        ; implicit-def: $vgpr2
	s_branch .LBB206_865
.LBB206_855:
	s_and_not1_saveexec_b32 s26, s26
	s_cbranch_execz .LBB206_840
.LBB206_856:
	v_cmp_ne_u16_e32 vcc_lo, 0, v3
	s_and_not1_b32 s27, s27, exec_lo
	s_and_b32 s28, vcc_lo, exec_lo
	s_delay_alu instid0(SALU_CYCLE_1)
	s_or_b32 s27, s27, s28
	s_or_b32 exec_lo, exec_lo, s26
	v_mov_b32_e32 v2, 0
	s_and_saveexec_b32 s26, s27
	s_cbranch_execnz .LBB206_841
	s_branch .LBB206_842
.LBB206_857:
	s_mov_b32 s25, -1
                                        ; implicit-def: $vgpr2
	s_branch .LBB206_862
.LBB206_858:
	s_mov_b32 s25, -1
                                        ; implicit-def: $vgpr2
.LBB206_859:
	s_delay_alu instid0(SALU_CYCLE_1)
	s_and_b32 vcc_lo, exec_lo, s25
	s_cbranch_vccz .LBB206_861
; %bb.860:
	s_wait_loadcnt 0x0
	global_load_u8 v2, v[0:1], off
	s_wait_loadcnt 0x0
	v_lshlrev_b32_e32 v2, 24, v2
	s_delay_alu instid0(VALU_DEP_1) | instskip(NEXT) | instid1(VALU_DEP_1)
	v_and_b32_e32 v3, 0x7f000000, v2
	v_clz_i32_u32_e32 v4, v3
	v_add_nc_u32_e32 v7, 0x1000000, v3
	v_cmp_ne_u32_e32 vcc_lo, 0, v3
	s_delay_alu instid0(VALU_DEP_3) | instskip(NEXT) | instid1(VALU_DEP_1)
	v_min_u32_e32 v4, 32, v4
	v_sub_nc_u32_e64 v4, v4, 4 clamp
	s_delay_alu instid0(VALU_DEP_1) | instskip(NEXT) | instid1(VALU_DEP_1)
	v_dual_lshlrev_b32 v5, v4, v3 :: v_dual_lshlrev_b32 v4, 23, v4
	v_lshrrev_b32_e32 v5, 4, v5
	s_delay_alu instid0(VALU_DEP_1) | instskip(NEXT) | instid1(VALU_DEP_1)
	v_dual_sub_nc_u32 v4, v5, v4 :: v_dual_ashrrev_i32 v5, 8, v7
	v_add_nc_u32_e32 v4, 0x3c000000, v4
	s_delay_alu instid0(VALU_DEP_1) | instskip(NEXT) | instid1(VALU_DEP_1)
	v_and_or_b32 v4, 0x7f800000, v5, v4
	v_cndmask_b32_e32 v3, 0, v4, vcc_lo
	s_delay_alu instid0(VALU_DEP_1) | instskip(NEXT) | instid1(VALU_DEP_1)
	v_and_or_b32 v2, 0x80000000, v2, v3
	v_cvt_i32_f32_e32 v2, v2
.LBB206_861:
	s_mov_b32 s25, 0
.LBB206_862:
	s_delay_alu instid0(SALU_CYCLE_1)
	s_and_not1_b32 vcc_lo, exec_lo, s25
	s_cbranch_vccnz .LBB206_864
; %bb.863:
	s_wait_loadcnt 0x0
	global_load_u8 v2, v[0:1], off
	s_wait_loadcnt 0x0
	v_lshlrev_b32_e32 v3, 25, v2
	v_lshlrev_b16 v2, 8, v2
	s_delay_alu instid0(VALU_DEP_1) | instskip(SKIP_1) | instid1(VALU_DEP_2)
	v_and_or_b32 v5, 0x7f00, v2, 0.5
	v_bfe_i32 v2, v2, 0, 16
	v_dual_add_f32 v5, -0.5, v5 :: v_dual_lshrrev_b32 v4, 4, v3
	v_cmp_gt_u32_e32 vcc_lo, 0x8000000, v3
	s_delay_alu instid0(VALU_DEP_2) | instskip(NEXT) | instid1(VALU_DEP_1)
	v_or_b32_e32 v4, 0x70000000, v4
	v_mul_f32_e32 v4, 0x7800000, v4
	s_delay_alu instid0(VALU_DEP_1) | instskip(NEXT) | instid1(VALU_DEP_1)
	v_cndmask_b32_e32 v3, v4, v5, vcc_lo
	v_and_or_b32 v2, 0x80000000, v2, v3
	s_delay_alu instid0(VALU_DEP_1)
	v_cvt_i32_f32_e32 v2, v2
.LBB206_864:
	s_mov_b32 s25, 0
	s_mov_b32 s26, -1
.LBB206_865:
	s_and_not1_b32 vcc_lo, exec_lo, s25
	s_mov_b32 s25, 0
	s_cbranch_vccnz .LBB206_876
; %bb.866:
	s_cmp_gt_i32 s23, 14
	s_cbranch_scc0 .LBB206_869
; %bb.867:
	s_cmp_eq_u32 s23, 15
	s_cbranch_scc0 .LBB206_872
; %bb.868:
	s_wait_loadcnt 0x0
	global_load_u16 v2, v[0:1], off
	s_mov_b32 s24, 0
	s_mov_b32 s26, -1
	s_wait_loadcnt 0x0
	v_lshlrev_b32_e32 v2, 16, v2
	s_delay_alu instid0(VALU_DEP_1)
	v_cvt_i32_f32_e32 v2, v2
	s_branch .LBB206_874
.LBB206_869:
	s_mov_b32 s25, -1
	s_branch .LBB206_873
.LBB206_870:
	s_and_not1_saveexec_b32 s25, s25
	s_cbranch_execz .LBB206_851
.LBB206_871:
	v_cmp_ne_u16_e32 vcc_lo, 0, v3
	s_and_not1_b32 s26, s26, exec_lo
	s_and_b32 s27, vcc_lo, exec_lo
	s_delay_alu instid0(SALU_CYCLE_1)
	s_or_b32 s26, s26, s27
	s_or_b32 exec_lo, exec_lo, s25
	v_mov_b32_e32 v2, 0
	s_and_saveexec_b32 s25, s26
	s_cbranch_execnz .LBB206_852
	s_branch .LBB206_853
.LBB206_872:
	s_mov_b32 s24, -1
.LBB206_873:
                                        ; implicit-def: $vgpr2
.LBB206_874:
	s_and_b32 vcc_lo, exec_lo, s25
	s_mov_b32 s25, 0
	s_cbranch_vccz .LBB206_876
; %bb.875:
	s_cmp_lg_u32 s23, 11
	s_mov_b32 s25, -1
	s_cselect_b32 s23, -1, 0
	s_and_not1_b32 s24, s24, exec_lo
	s_and_b32 s23, s23, exec_lo
	s_delay_alu instid0(SALU_CYCLE_1)
	s_or_b32 s24, s24, s23
.LBB206_876:
	s_mov_b32 s23, 0
.LBB206_877:
	s_and_not1_b32 s28, s0, exec_lo
	s_and_b32 s24, s24, exec_lo
	s_and_b32 s26, s26, exec_lo
	;; [unrolled: 1-line block ×4, first 2 shown]
	s_or_b32 s24, s28, s24
.LBB206_878:
	s_wait_xcnt 0x0
	s_or_b32 exec_lo, exec_lo, s15
	s_delay_alu instid0(SALU_CYCLE_1)
	s_and_not1_b32 s0, s0, exec_lo
	s_and_b32 s15, s24, exec_lo
	s_and_b32 s26, s26, exec_lo
	;; [unrolled: 1-line block ×4, first 2 shown]
	s_or_b32 s0, s0, s15
.LBB206_879:
	s_or_b32 exec_lo, exec_lo, s21
	s_delay_alu instid0(SALU_CYCLE_1)
	s_and_not1_b32 s15, s19, exec_lo
	s_and_b32 s19, s22, exec_lo
	s_and_b32 s0, s0, exec_lo
	s_or_b32 s19, s15, s19
	s_and_not1_b32 s15, s18, exec_lo
	s_and_b32 s23, s26, exec_lo
	s_and_b32 s22, s25, exec_lo
	;; [unrolled: 1-line block ×3, first 2 shown]
	s_or_b32 s18, s15, s0
.LBB206_880:
	s_or_b32 exec_lo, exec_lo, s20
	s_delay_alu instid0(SALU_CYCLE_1)
	s_and_not1_b32 s0, s14, exec_lo
	s_and_b32 s14, s19, exec_lo
	s_and_not1_b32 s15, s16, exec_lo
	s_and_b32 s16, s18, exec_lo
	s_or_b32 s14, s0, s14
	s_and_b32 s0, s23, exec_lo
	s_and_b32 s19, s22, exec_lo
	;; [unrolled: 1-line block ×3, first 2 shown]
	s_or_b32 s16, s15, s16
	s_or_b32 exec_lo, exec_lo, s17
	s_mov_b32 s15, 0
	s_and_saveexec_b32 s17, s16
	s_cbranch_execz .LBB206_269
.LBB206_881:
	s_mov_b32 s15, exec_lo
	s_and_not1_b32 s18, s18, exec_lo
	s_trap 2
	s_or_b32 exec_lo, exec_lo, s17
	s_and_saveexec_b32 s16, s18
	s_delay_alu instid0(SALU_CYCLE_1)
	s_xor_b32 s16, exec_lo, s16
	s_cbranch_execnz .LBB206_270
.LBB206_882:
	s_or_b32 exec_lo, exec_lo, s16
	s_and_saveexec_b32 s16, s19
	s_cbranch_execz .LBB206_928
.LBB206_883:
	s_sext_i32_i16 s17, s12
	s_delay_alu instid0(SALU_CYCLE_1)
	s_cmp_lt_i32 s17, 5
	s_cbranch_scc1 .LBB206_888
; %bb.884:
	s_cmp_lt_i32 s17, 8
	s_cbranch_scc1 .LBB206_889
; %bb.885:
	;; [unrolled: 3-line block ×3, first 2 shown]
	s_cmp_gt_i32 s17, 9
	s_cbranch_scc0 .LBB206_891
; %bb.887:
	s_wait_loadcnt 0x0
	global_load_b64 v[2:3], v[0:1], off
	s_mov_b32 s17, 0
	s_wait_loadcnt 0x0
	v_cvt_i32_f64_e32 v2, v[2:3]
	s_branch .LBB206_892
.LBB206_888:
                                        ; implicit-def: $vgpr2
	s_branch .LBB206_909
.LBB206_889:
                                        ; implicit-def: $vgpr2
	s_branch .LBB206_898
.LBB206_890:
	s_mov_b32 s17, -1
                                        ; implicit-def: $vgpr2
	s_branch .LBB206_895
.LBB206_891:
	s_mov_b32 s17, -1
                                        ; implicit-def: $vgpr2
.LBB206_892:
	s_delay_alu instid0(SALU_CYCLE_1)
	s_and_not1_b32 vcc_lo, exec_lo, s17
	s_cbranch_vccnz .LBB206_894
; %bb.893:
	s_wait_loadcnt 0x0
	global_load_b32 v2, v[0:1], off
	s_wait_loadcnt 0x0
	v_cvt_i32_f32_e32 v2, v2
.LBB206_894:
	s_mov_b32 s17, 0
.LBB206_895:
	s_delay_alu instid0(SALU_CYCLE_1)
	s_and_not1_b32 vcc_lo, exec_lo, s17
	s_cbranch_vccnz .LBB206_897
; %bb.896:
	s_wait_loadcnt 0x0
	global_load_b32 v2, v[0:1], off
	s_wait_loadcnt 0x0
	v_cvt_i16_f16_e32 v2, v2
.LBB206_897:
	s_cbranch_execnz .LBB206_908
.LBB206_898:
	s_sext_i32_i16 s17, s12
	s_delay_alu instid0(SALU_CYCLE_1)
	s_cmp_lt_i32 s17, 6
	s_cbranch_scc1 .LBB206_901
; %bb.899:
	s_cmp_gt_i32 s17, 6
	s_cbranch_scc0 .LBB206_902
; %bb.900:
	s_wait_loadcnt 0x0
	global_load_b64 v[2:3], v[0:1], off
	s_mov_b32 s17, 0
	s_wait_loadcnt 0x0
	v_cvt_i32_f64_e32 v2, v[2:3]
	s_branch .LBB206_903
.LBB206_901:
	s_mov_b32 s17, -1
                                        ; implicit-def: $vgpr2
	s_branch .LBB206_906
.LBB206_902:
	s_mov_b32 s17, -1
                                        ; implicit-def: $vgpr2
.LBB206_903:
	s_delay_alu instid0(SALU_CYCLE_1)
	s_and_not1_b32 vcc_lo, exec_lo, s17
	s_cbranch_vccnz .LBB206_905
; %bb.904:
	s_wait_loadcnt 0x0
	global_load_b32 v2, v[0:1], off
	s_wait_loadcnt 0x0
	v_cvt_i32_f32_e32 v2, v2
.LBB206_905:
	s_mov_b32 s17, 0
.LBB206_906:
	s_delay_alu instid0(SALU_CYCLE_1)
	s_and_not1_b32 vcc_lo, exec_lo, s17
	s_cbranch_vccnz .LBB206_908
; %bb.907:
	s_wait_loadcnt 0x0
	global_load_u16 v2, v[0:1], off
	s_wait_loadcnt 0x0
	v_cvt_i16_f16_e32 v2, v2
.LBB206_908:
	s_cbranch_execnz .LBB206_927
.LBB206_909:
	s_sext_i32_i16 s17, s12
	s_delay_alu instid0(SALU_CYCLE_1)
	s_cmp_lt_i32 s17, 2
	s_cbranch_scc1 .LBB206_913
; %bb.910:
	s_cmp_lt_i32 s17, 3
	s_cbranch_scc1 .LBB206_914
; %bb.911:
	s_cmp_gt_i32 s17, 3
	s_cbranch_scc0 .LBB206_915
; %bb.912:
	s_wait_loadcnt 0x0
	global_load_b64 v[2:3], v[0:1], off
	s_mov_b32 s17, 0
	s_branch .LBB206_916
.LBB206_913:
                                        ; implicit-def: $vgpr2
	s_branch .LBB206_922
.LBB206_914:
	s_mov_b32 s17, -1
                                        ; implicit-def: $vgpr2
	s_branch .LBB206_919
.LBB206_915:
	s_mov_b32 s17, -1
                                        ; implicit-def: $vgpr2
.LBB206_916:
	s_delay_alu instid0(SALU_CYCLE_1)
	s_and_not1_b32 vcc_lo, exec_lo, s17
	s_cbranch_vccnz .LBB206_918
; %bb.917:
	s_wait_loadcnt 0x0
	global_load_b32 v2, v[0:1], off
.LBB206_918:
	s_mov_b32 s17, 0
.LBB206_919:
	s_delay_alu instid0(SALU_CYCLE_1)
	s_and_not1_b32 vcc_lo, exec_lo, s17
	s_cbranch_vccnz .LBB206_921
; %bb.920:
	s_wait_loadcnt 0x0
	global_load_u16 v2, v[0:1], off
.LBB206_921:
	s_cbranch_execnz .LBB206_927
.LBB206_922:
	s_sext_i32_i16 s17, s12
	s_delay_alu instid0(SALU_CYCLE_1)
	s_cmp_gt_i32 s17, 0
	s_mov_b32 s17, 0
	s_cbranch_scc0 .LBB206_924
; %bb.923:
	s_wait_loadcnt 0x0
	global_load_i8 v2, v[0:1], off
	s_branch .LBB206_925
.LBB206_924:
	s_mov_b32 s17, -1
                                        ; implicit-def: $vgpr2
.LBB206_925:
	s_delay_alu instid0(SALU_CYCLE_1)
	s_and_not1_b32 vcc_lo, exec_lo, s17
	s_cbranch_vccnz .LBB206_927
; %bb.926:
	s_wait_loadcnt 0x0
	global_load_u8 v2, v[0:1], off
.LBB206_927:
	s_or_b32 s0, s0, exec_lo
.LBB206_928:
	s_wait_xcnt 0x0
	s_or_b32 exec_lo, exec_lo, s16
	s_mov_b32 s19, 0
	s_mov_b32 s18, 0
                                        ; implicit-def: $sgpr16
                                        ; implicit-def: $vgpr0_vgpr1
                                        ; implicit-def: $vgpr4
	s_and_saveexec_b32 s17, s0
	s_cbranch_execz .LBB206_932
; %bb.929:
	s_cmp_lt_i32 s10, 1
	s_mov_b32 s0, 0
	s_cbranch_scc1 .LBB206_935
; %bb.930:
	s_cmp_eq_u32 s10, 1
	s_cbranch_scc0 .LBB206_949
; %bb.931:
	s_wait_loadcnt 0x0
	s_delay_alu instid0(VALU_DEP_1)
	v_min_i16 v4, v2, s11
	s_mov_b32 s16, 0
	s_and_b32 vcc_lo, exec_lo, s18
	s_cbranch_vccnz .LBB206_936
	s_branch .LBB206_937
.LBB206_932:
	s_or_b32 exec_lo, exec_lo, s17
	s_and_saveexec_b32 s0, s14
	s_cbranch_execnz .LBB206_1019
.LBB206_933:
	s_or_b32 exec_lo, exec_lo, s0
	s_and_saveexec_b32 s0, s19
	s_delay_alu instid0(SALU_CYCLE_1)
	s_xor_b32 s0, exec_lo, s0
	s_cbranch_execz .LBB206_1020
.LBB206_934:
	v_cmp_ne_u16_e32 vcc_lo, 0, v4
	s_wait_loadcnt 0x0
	v_cndmask_b32_e64 v2, 0, 1, vcc_lo
	global_store_b8 v[0:1], v2, off
	s_wait_xcnt 0x0
	s_or_b32 exec_lo, exec_lo, s0
	s_and_saveexec_b32 s0, s18
	s_delay_alu instid0(SALU_CYCLE_1)
	s_xor_b32 s0, exec_lo, s0
	s_cbranch_execz .LBB206_1058
	s_branch .LBB206_1021
.LBB206_935:
	s_mov_b32 s16, 0
                                        ; implicit-def: $vgpr4
	s_cbranch_execz .LBB206_937
.LBB206_936:
	s_cmp_lg_u32 s10, 0
	s_mov_b32 s0, -1
	s_cselect_b32 s16, -1, 0
.LBB206_937:
	s_wait_loadcnt 0x0
	s_delay_alu instid0(VALU_DEP_1)
	v_max_i16 v0, v2, s11
	s_and_not1_b32 vcc_lo, exec_lo, s16
	s_cbranch_vccnz .LBB206_939
; %bb.938:
	v_max_i16 v1, v2, s11
	s_delay_alu instid0(VALU_DEP_1)
	v_min_i16 v4, v1, s1
	s_cbranch_execz .LBB206_940
	s_branch .LBB206_941
.LBB206_939:
	s_and_not1_b32 vcc_lo, exec_lo, s0
	s_cbranch_vccnz .LBB206_941
.LBB206_940:
	v_mov_b32_e32 v4, v0
.LBB206_941:
	v_mul_lo_u32 v0, v6, s8
	s_and_b32 s16, s2, 0xff
	s_delay_alu instid0(SALU_CYCLE_1) | instskip(NEXT) | instid1(VALU_DEP_1)
	s_cmp_lt_i32 s16, 11
	v_ashrrev_i32_e32 v1, 31, v0
	s_delay_alu instid0(VALU_DEP_1)
	v_add_nc_u64_e32 v[0:1], s[4:5], v[0:1]
	s_cbranch_scc1 .LBB206_948
; %bb.942:
	s_and_b32 s18, 0xffff, s16
	s_mov_b32 s19, -1
	s_cmp_gt_i32 s18, 25
	s_mov_b32 s0, s14
	s_cbranch_scc0 .LBB206_977
; %bb.943:
	s_cmp_gt_i32 s18, 28
	s_mov_b32 s0, s14
	s_cbranch_scc0 .LBB206_961
; %bb.944:
	;; [unrolled: 4-line block ×4, first 2 shown]
	s_cmp_eq_u32 s18, 46
	s_mov_b32 s0, -1
	s_cbranch_scc0 .LBB206_950
; %bb.947:
	v_bfe_i32 v2, v4, 0, 16
	s_mov_b32 s0, 0
	s_mov_b32 s19, 0
	s_delay_alu instid0(VALU_DEP_1) | instskip(NEXT) | instid1(VALU_DEP_1)
	v_cvt_f32_i32_e32 v2, v2
	v_bfe_u32 v3, v2, 16, 1
	s_delay_alu instid0(VALU_DEP_1) | instskip(NEXT) | instid1(VALU_DEP_1)
	v_add3_u32 v2, v2, v3, 0x7fff
	v_lshrrev_b32_e32 v2, 16, v2
	global_store_b32 v[0:1], v2, off
	s_branch .LBB206_951
.LBB206_948:
	s_mov_b32 s20, 0
	s_mov_b32 s19, -1
	s_mov_b32 s0, s14
	s_branch .LBB206_1018
.LBB206_949:
	s_mov_b32 s16, -1
                                        ; implicit-def: $vgpr4
	s_and_b32 vcc_lo, exec_lo, s18
	s_cbranch_vccnz .LBB206_936
	s_branch .LBB206_937
.LBB206_950:
	s_mov_b32 s19, 0
.LBB206_951:
	s_delay_alu instid0(SALU_CYCLE_1)
	s_and_b32 vcc_lo, exec_lo, s19
	s_cbranch_vccz .LBB206_956
; %bb.952:
	s_cmp_eq_u32 s18, 44
	s_mov_b32 s0, -1
	s_cbranch_scc0 .LBB206_956
; %bb.953:
	s_wait_xcnt 0x0
	v_bfe_i32 v2, v4, 0, 16
	v_mov_b32_e32 v3, 0xff
	s_mov_b32 s19, exec_lo
	s_delay_alu instid0(VALU_DEP_2) | instskip(NEXT) | instid1(VALU_DEP_1)
	v_cvt_f32_i32_e32 v2, v2
	v_bfe_u32 v5, v2, 23, 8
	s_delay_alu instid0(VALU_DEP_1)
	v_cmpx_ne_u32_e32 0xff, v5
	s_cbranch_execz .LBB206_955
; %bb.954:
	v_and_b32_e32 v3, 0x400000, v2
	v_and_or_b32 v5, 0x3fffff, v2, v5
	v_lshrrev_b32_e32 v2, 23, v2
	s_delay_alu instid0(VALU_DEP_3) | instskip(NEXT) | instid1(VALU_DEP_3)
	v_cmp_ne_u32_e32 vcc_lo, 0, v3
	v_cmp_ne_u32_e64 s0, 0, v5
	s_and_b32 s0, vcc_lo, s0
	s_delay_alu instid0(SALU_CYCLE_1) | instskip(NEXT) | instid1(VALU_DEP_1)
	v_cndmask_b32_e64 v3, 0, 1, s0
	v_add_nc_u32_e32 v3, v2, v3
.LBB206_955:
	s_or_b32 exec_lo, exec_lo, s19
	s_mov_b32 s0, 0
	global_store_b8 v[0:1], v3, off
.LBB206_956:
	s_mov_b32 s19, 0
.LBB206_957:
	s_delay_alu instid0(SALU_CYCLE_1)
	s_and_b32 vcc_lo, exec_lo, s19
	s_cbranch_vccz .LBB206_960
; %bb.958:
	s_cmp_eq_u32 s18, 29
	s_mov_b32 s0, -1
	s_cbranch_scc0 .LBB206_960
; %bb.959:
	s_wait_xcnt 0x0
	v_bfe_i32 v2, v4, 0, 16
	s_mov_b32 s0, 0
	s_mov_b32 s19, 0
	s_delay_alu instid0(VALU_DEP_1)
	v_ashrrev_i32_e32 v3, 31, v2
	global_store_b64 v[0:1], v[2:3], off
	s_branch .LBB206_961
.LBB206_960:
	s_mov_b32 s19, 0
.LBB206_961:
	s_delay_alu instid0(SALU_CYCLE_1)
	s_and_b32 vcc_lo, exec_lo, s19
	s_cbranch_vccz .LBB206_976
; %bb.962:
	s_cmp_lt_i32 s18, 27
	s_mov_b32 s19, -1
	s_cbranch_scc1 .LBB206_968
; %bb.963:
	s_cmp_gt_i32 s18, 27
	s_cbranch_scc0 .LBB206_965
; %bb.964:
	s_wait_xcnt 0x0
	v_bfe_i32 v2, v4, 0, 16
	s_mov_b32 s19, 0
	global_store_b32 v[0:1], v2, off
.LBB206_965:
	s_and_not1_b32 vcc_lo, exec_lo, s19
	s_cbranch_vccnz .LBB206_967
; %bb.966:
	global_store_b16 v[0:1], v4, off
.LBB206_967:
	s_mov_b32 s19, 0
.LBB206_968:
	s_delay_alu instid0(SALU_CYCLE_1)
	s_and_not1_b32 vcc_lo, exec_lo, s19
	s_cbranch_vccnz .LBB206_976
; %bb.969:
	s_wait_xcnt 0x0
	v_bfe_i32 v2, v4, 0, 16
	v_mov_b32_e32 v5, 0x80
	s_mov_b32 s19, exec_lo
	s_delay_alu instid0(VALU_DEP_2) | instskip(NEXT) | instid1(VALU_DEP_1)
	v_cvt_f32_i32_e32 v2, v2
	v_and_b32_e32 v3, 0x7fffffff, v2
	s_delay_alu instid0(VALU_DEP_1)
	v_cmpx_gt_u32_e32 0x43800000, v3
	s_cbranch_execz .LBB206_975
; %bb.970:
	v_cmp_lt_u32_e32 vcc_lo, 0x3bffffff, v3
	s_mov_b32 s20, 0
                                        ; implicit-def: $vgpr3
	s_and_saveexec_b32 s21, vcc_lo
	s_delay_alu instid0(SALU_CYCLE_1)
	s_xor_b32 s21, exec_lo, s21
	s_cbranch_execz .LBB206_1073
; %bb.971:
	v_bfe_u32 v3, v2, 20, 1
	s_mov_b32 s20, exec_lo
	s_delay_alu instid0(VALU_DEP_1) | instskip(NEXT) | instid1(VALU_DEP_1)
	v_add3_u32 v3, v2, v3, 0x487ffff
	v_lshrrev_b32_e32 v3, 20, v3
	s_and_not1_saveexec_b32 s21, s21
	s_cbranch_execnz .LBB206_1074
.LBB206_972:
	s_or_b32 exec_lo, exec_lo, s21
	v_mov_b32_e32 v5, 0
	s_and_saveexec_b32 s21, s20
.LBB206_973:
	v_lshrrev_b32_e32 v2, 24, v2
	s_delay_alu instid0(VALU_DEP_1)
	v_and_or_b32 v5, 0x80, v2, v3
.LBB206_974:
	s_or_b32 exec_lo, exec_lo, s21
.LBB206_975:
	s_delay_alu instid0(SALU_CYCLE_1)
	s_or_b32 exec_lo, exec_lo, s19
	global_store_b8 v[0:1], v5, off
.LBB206_976:
	s_mov_b32 s19, 0
.LBB206_977:
	s_delay_alu instid0(SALU_CYCLE_1)
	s_and_b32 vcc_lo, exec_lo, s19
	s_mov_b32 s19, 0
	s_cbranch_vccz .LBB206_1017
; %bb.978:
	s_cmp_gt_i32 s18, 22
	s_mov_b32 s20, -1
	s_cbranch_scc0 .LBB206_1010
; %bb.979:
	s_cmp_lt_i32 s18, 24
	s_cbranch_scc1 .LBB206_999
; %bb.980:
	s_cmp_gt_i32 s18, 24
	s_cbranch_scc0 .LBB206_988
; %bb.981:
	s_wait_xcnt 0x0
	v_bfe_i32 v2, v4, 0, 16
	v_mov_b32_e32 v5, 0x80
	s_mov_b32 s20, exec_lo
	s_delay_alu instid0(VALU_DEP_2) | instskip(NEXT) | instid1(VALU_DEP_1)
	v_cvt_f32_i32_e32 v2, v2
	v_and_b32_e32 v3, 0x7fffffff, v2
	s_delay_alu instid0(VALU_DEP_1)
	v_cmpx_gt_u32_e32 0x47800000, v3
	s_cbranch_execz .LBB206_987
; %bb.982:
	v_cmp_lt_u32_e32 vcc_lo, 0x37ffffff, v3
	s_mov_b32 s21, 0
                                        ; implicit-def: $vgpr3
	s_and_saveexec_b32 s22, vcc_lo
	s_delay_alu instid0(SALU_CYCLE_1)
	s_xor_b32 s22, exec_lo, s22
	s_cbranch_execz .LBB206_1204
; %bb.983:
	v_bfe_u32 v3, v2, 21, 1
	s_mov_b32 s21, exec_lo
	s_delay_alu instid0(VALU_DEP_1) | instskip(NEXT) | instid1(VALU_DEP_1)
	v_add3_u32 v3, v2, v3, 0x88fffff
	v_lshrrev_b32_e32 v3, 21, v3
	s_and_not1_saveexec_b32 s22, s22
	s_cbranch_execnz .LBB206_1205
.LBB206_984:
	s_or_b32 exec_lo, exec_lo, s22
	v_mov_b32_e32 v5, 0
	s_and_saveexec_b32 s22, s21
.LBB206_985:
	v_lshrrev_b32_e32 v2, 24, v2
	s_delay_alu instid0(VALU_DEP_1)
	v_and_or_b32 v5, 0x80, v2, v3
.LBB206_986:
	s_or_b32 exec_lo, exec_lo, s22
.LBB206_987:
	s_delay_alu instid0(SALU_CYCLE_1)
	s_or_b32 exec_lo, exec_lo, s20
	s_mov_b32 s20, 0
	global_store_b8 v[0:1], v5, off
.LBB206_988:
	s_and_b32 vcc_lo, exec_lo, s20
	s_cbranch_vccz .LBB206_998
; %bb.989:
	s_wait_xcnt 0x0
	v_bfe_i32 v2, v4, 0, 16
	s_mov_b32 s20, exec_lo
                                        ; implicit-def: $vgpr3
	s_delay_alu instid0(VALU_DEP_1) | instskip(NEXT) | instid1(VALU_DEP_1)
	v_cvt_f32_i32_e32 v2, v2
	v_and_b32_e32 v5, 0x7fffffff, v2
	s_delay_alu instid0(VALU_DEP_1)
	v_cmpx_gt_u32_e32 0x43f00000, v5
	s_xor_b32 s20, exec_lo, s20
	s_cbranch_execz .LBB206_995
; %bb.990:
	s_mov_b32 s21, exec_lo
                                        ; implicit-def: $vgpr3
	v_cmpx_lt_u32_e32 0x3c7fffff, v5
	s_xor_b32 s21, exec_lo, s21
; %bb.991:
	v_bfe_u32 v3, v2, 20, 1
	s_delay_alu instid0(VALU_DEP_1) | instskip(NEXT) | instid1(VALU_DEP_1)
	v_add3_u32 v3, v2, v3, 0x407ffff
	v_and_b32_e32 v5, 0xff00000, v3
	v_lshrrev_b32_e32 v3, 20, v3
	s_delay_alu instid0(VALU_DEP_2) | instskip(NEXT) | instid1(VALU_DEP_2)
	v_cmp_ne_u32_e32 vcc_lo, 0x7f00000, v5
	v_cndmask_b32_e32 v3, 0x7e, v3, vcc_lo
; %bb.992:
	s_and_not1_saveexec_b32 s21, s21
; %bb.993:
	v_add_f32_e64 v3, 0x46800000, |v2|
; %bb.994:
	s_or_b32 exec_lo, exec_lo, s21
                                        ; implicit-def: $vgpr5
.LBB206_995:
	s_and_not1_saveexec_b32 s20, s20
; %bb.996:
	v_mov_b32_e32 v3, 0x7f
	v_cmp_lt_u32_e32 vcc_lo, 0x7f800000, v5
	s_delay_alu instid0(VALU_DEP_2)
	v_cndmask_b32_e32 v3, 0x7e, v3, vcc_lo
; %bb.997:
	s_or_b32 exec_lo, exec_lo, s20
	v_lshrrev_b32_e32 v2, 24, v2
	s_delay_alu instid0(VALU_DEP_1)
	v_and_or_b32 v2, 0x80, v2, v3
	global_store_b8 v[0:1], v2, off
.LBB206_998:
	s_mov_b32 s20, 0
.LBB206_999:
	s_delay_alu instid0(SALU_CYCLE_1)
	s_and_not1_b32 vcc_lo, exec_lo, s20
	s_cbranch_vccnz .LBB206_1009
; %bb.1000:
	s_wait_xcnt 0x0
	v_bfe_i32 v2, v4, 0, 16
	s_mov_b32 s20, exec_lo
                                        ; implicit-def: $vgpr3
	s_delay_alu instid0(VALU_DEP_1) | instskip(NEXT) | instid1(VALU_DEP_1)
	v_cvt_f32_i32_e32 v2, v2
	v_and_b32_e32 v5, 0x7fffffff, v2
	s_delay_alu instid0(VALU_DEP_1)
	v_cmpx_gt_u32_e32 0x47800000, v5
	s_xor_b32 s20, exec_lo, s20
	s_cbranch_execz .LBB206_1006
; %bb.1001:
	s_mov_b32 s21, exec_lo
                                        ; implicit-def: $vgpr3
	v_cmpx_lt_u32_e32 0x387fffff, v5
	s_xor_b32 s21, exec_lo, s21
; %bb.1002:
	v_bfe_u32 v3, v2, 21, 1
	s_delay_alu instid0(VALU_DEP_1) | instskip(NEXT) | instid1(VALU_DEP_1)
	v_add3_u32 v3, v2, v3, 0x80fffff
	v_lshrrev_b32_e32 v3, 21, v3
; %bb.1003:
	s_and_not1_saveexec_b32 s21, s21
; %bb.1004:
	v_add_f32_e64 v3, 0x43000000, |v2|
; %bb.1005:
	s_or_b32 exec_lo, exec_lo, s21
                                        ; implicit-def: $vgpr5
.LBB206_1006:
	s_and_not1_saveexec_b32 s20, s20
; %bb.1007:
	v_mov_b32_e32 v3, 0x7f
	v_cmp_lt_u32_e32 vcc_lo, 0x7f800000, v5
	s_delay_alu instid0(VALU_DEP_2)
	v_cndmask_b32_e32 v3, 0x7c, v3, vcc_lo
; %bb.1008:
	s_or_b32 exec_lo, exec_lo, s20
	v_lshrrev_b32_e32 v2, 24, v2
	s_delay_alu instid0(VALU_DEP_1)
	v_and_or_b32 v2, 0x80, v2, v3
	global_store_b8 v[0:1], v2, off
.LBB206_1009:
	s_mov_b32 s20, 0
.LBB206_1010:
	s_delay_alu instid0(SALU_CYCLE_1)
	s_and_not1_b32 vcc_lo, exec_lo, s20
	s_mov_b32 s20, 0
	s_cbranch_vccnz .LBB206_1018
; %bb.1011:
	s_cmp_gt_i32 s18, 14
	s_mov_b32 s20, -1
	s_cbranch_scc0 .LBB206_1015
; %bb.1012:
	s_cmp_eq_u32 s18, 15
	s_mov_b32 s0, -1
	s_cbranch_scc0 .LBB206_1014
; %bb.1013:
	s_wait_xcnt 0x0
	v_bfe_i32 v2, v4, 0, 16
	s_mov_b32 s0, 0
	s_delay_alu instid0(VALU_DEP_1) | instskip(NEXT) | instid1(VALU_DEP_1)
	v_cvt_f32_i32_e32 v2, v2
	v_bfe_u32 v3, v2, 16, 1
	s_delay_alu instid0(VALU_DEP_1)
	v_add3_u32 v2, v2, v3, 0x7fff
	global_store_d16_hi_b16 v[0:1], v2, off
.LBB206_1014:
	s_mov_b32 s20, 0
.LBB206_1015:
	s_delay_alu instid0(SALU_CYCLE_1)
	s_and_b32 vcc_lo, exec_lo, s20
	s_mov_b32 s20, 0
	s_cbranch_vccz .LBB206_1018
; %bb.1016:
	s_cmp_lg_u32 s18, 11
	s_mov_b32 s20, -1
	s_cselect_b32 s18, -1, 0
	s_and_not1_b32 s0, s0, exec_lo
	s_and_b32 s18, s18, exec_lo
	s_delay_alu instid0(SALU_CYCLE_1)
	s_or_b32 s0, s0, s18
	s_branch .LBB206_1018
.LBB206_1017:
	s_mov_b32 s20, 0
.LBB206_1018:
	s_and_not1_b32 s14, s14, exec_lo
	s_and_b32 s0, s0, exec_lo
	s_and_b32 s18, s19, exec_lo
	;; [unrolled: 1-line block ×3, first 2 shown]
	s_or_b32 s14, s14, s0
	s_wait_xcnt 0x0
	s_or_b32 exec_lo, exec_lo, s17
	s_and_saveexec_b32 s0, s14
	s_cbranch_execz .LBB206_933
.LBB206_1019:
	s_or_b32 s15, s15, exec_lo
	s_and_not1_b32 s19, s19, exec_lo
	s_trap 2
	s_or_b32 exec_lo, exec_lo, s0
	s_and_saveexec_b32 s0, s19
	s_delay_alu instid0(SALU_CYCLE_1)
	s_xor_b32 s0, exec_lo, s0
	s_cbranch_execnz .LBB206_934
.LBB206_1020:
	s_or_b32 exec_lo, exec_lo, s0
	s_and_saveexec_b32 s0, s18
	s_delay_alu instid0(SALU_CYCLE_1)
	s_xor_b32 s0, exec_lo, s0
	s_cbranch_execz .LBB206_1058
.LBB206_1021:
	s_sext_i32_i16 s17, s16
	s_mov_b32 s14, -1
	s_cmp_lt_i32 s17, 5
	s_cbranch_scc1 .LBB206_1042
; %bb.1022:
	s_cmp_lt_i32 s17, 8
	s_cbranch_scc1 .LBB206_1032
; %bb.1023:
	;; [unrolled: 3-line block ×3, first 2 shown]
	s_cmp_gt_i32 s17, 9
	s_cbranch_scc0 .LBB206_1026
; %bb.1025:
	s_wait_loadcnt 0x0
	v_bfe_i32 v2, v4, 0, 16
	v_mov_b32_e32 v8, 0
	s_mov_b32 s14, 0
	s_delay_alu instid0(VALU_DEP_2) | instskip(NEXT) | instid1(VALU_DEP_2)
	v_cvt_f64_i32_e32 v[6:7], v2
	v_mov_b32_e32 v9, v8
	global_store_b128 v[0:1], v[6:9], off
.LBB206_1026:
	s_and_not1_b32 vcc_lo, exec_lo, s14
	s_cbranch_vccnz .LBB206_1028
; %bb.1027:
	s_wait_loadcnt 0x0
	v_bfe_i32 v2, v4, 0, 16
	v_mov_b32_e32 v3, 0
	s_delay_alu instid0(VALU_DEP_2)
	v_cvt_f32_i32_e32 v2, v2
	global_store_b64 v[0:1], v[2:3], off
.LBB206_1028:
	s_mov_b32 s14, 0
.LBB206_1029:
	s_delay_alu instid0(SALU_CYCLE_1)
	s_and_not1_b32 vcc_lo, exec_lo, s14
	s_cbranch_vccnz .LBB206_1031
; %bb.1030:
	s_wait_loadcnt 0x0
	v_cvt_f16_i16_e32 v2, v4
	s_delay_alu instid0(VALU_DEP_1)
	v_and_b32_e32 v2, 0xffff, v2
	global_store_b32 v[0:1], v2, off
.LBB206_1031:
	s_mov_b32 s14, 0
.LBB206_1032:
	s_delay_alu instid0(SALU_CYCLE_1)
	s_and_not1_b32 vcc_lo, exec_lo, s14
	s_cbranch_vccnz .LBB206_1041
; %bb.1033:
	s_sext_i32_i16 s17, s16
	s_mov_b32 s14, -1
	s_cmp_lt_i32 s17, 6
	s_cbranch_scc1 .LBB206_1039
; %bb.1034:
	s_cmp_gt_i32 s17, 6
	s_cbranch_scc0 .LBB206_1036
; %bb.1035:
	s_wait_loadcnt 0x0
	v_bfe_i32 v2, v4, 0, 16
	s_mov_b32 s14, 0
	s_delay_alu instid0(VALU_DEP_1)
	v_cvt_f64_i32_e32 v[2:3], v2
	global_store_b64 v[0:1], v[2:3], off
.LBB206_1036:
	s_and_not1_b32 vcc_lo, exec_lo, s14
	s_cbranch_vccnz .LBB206_1038
; %bb.1037:
	s_wait_loadcnt 0x0
	v_bfe_i32 v2, v4, 0, 16
	s_delay_alu instid0(VALU_DEP_1)
	v_cvt_f32_i32_e32 v2, v2
	global_store_b32 v[0:1], v2, off
.LBB206_1038:
	s_mov_b32 s14, 0
.LBB206_1039:
	s_delay_alu instid0(SALU_CYCLE_1)
	s_and_not1_b32 vcc_lo, exec_lo, s14
	s_cbranch_vccnz .LBB206_1041
; %bb.1040:
	s_wait_loadcnt 0x0
	v_cvt_f16_i16_e32 v2, v4
	global_store_b16 v[0:1], v2, off
.LBB206_1041:
	s_mov_b32 s14, 0
.LBB206_1042:
	s_delay_alu instid0(SALU_CYCLE_1)
	s_and_not1_b32 vcc_lo, exec_lo, s14
	s_cbranch_vccnz .LBB206_1058
; %bb.1043:
	s_sext_i32_i16 s17, s16
	s_mov_b32 s14, -1
	s_cmp_lt_i32 s17, 2
	s_cbranch_scc1 .LBB206_1053
; %bb.1044:
	s_cmp_lt_i32 s17, 3
	s_cbranch_scc1 .LBB206_1050
; %bb.1045:
	s_wait_loadcnt 0x0
	v_bfe_i32 v2, v4, 0, 16
	s_cmp_gt_i32 s17, 3
	s_cbranch_scc0 .LBB206_1047
; %bb.1046:
	s_delay_alu instid0(VALU_DEP_1)
	v_ashrrev_i32_e32 v3, 31, v2
	s_mov_b32 s14, 0
	global_store_b64 v[0:1], v[2:3], off
.LBB206_1047:
	s_and_not1_b32 vcc_lo, exec_lo, s14
	s_cbranch_vccnz .LBB206_1049
; %bb.1048:
	global_store_b32 v[0:1], v2, off
.LBB206_1049:
	s_mov_b32 s14, 0
.LBB206_1050:
	s_delay_alu instid0(SALU_CYCLE_1)
	s_and_not1_b32 vcc_lo, exec_lo, s14
	s_cbranch_vccnz .LBB206_1052
; %bb.1051:
	global_store_b16 v[0:1], v4, off
.LBB206_1052:
	s_mov_b32 s14, 0
.LBB206_1053:
	s_delay_alu instid0(SALU_CYCLE_1)
	s_and_not1_b32 vcc_lo, exec_lo, s14
	s_cbranch_vccnz .LBB206_1058
; %bb.1054:
	s_sext_i32_i16 s14, s16
	s_delay_alu instid0(SALU_CYCLE_1)
	s_cmp_gt_i32 s14, 0
	s_mov_b32 s14, -1
	s_cbranch_scc0 .LBB206_1056
; %bb.1055:
	s_mov_b32 s14, 0
	global_store_b8 v[0:1], v4, off
.LBB206_1056:
	s_and_not1_b32 vcc_lo, exec_lo, s14
	s_cbranch_vccnz .LBB206_1058
; %bb.1057:
	global_store_b8 v[0:1], v4, off
.LBB206_1058:
	s_wait_xcnt 0x0
	s_or_b32 exec_lo, exec_lo, s0
	s_delay_alu instid0(SALU_CYCLE_1)
	s_and_b32 s14, s15, exec_lo
                                        ; implicit-def: $vgpr6
.LBB206_1059:
	s_or_saveexec_b32 s13, s13
	s_mov_b32 s0, 0
                                        ; implicit-def: $sgpr15
                                        ; implicit-def: $vgpr0_vgpr1
                                        ; implicit-def: $vgpr8
	s_xor_b32 exec_lo, exec_lo, s13
	s_cbranch_execz .LBB206_1596
; %bb.1060:
	v_mul_lo_u32 v0, s9, v6
	s_and_b32 s0, 0xffff, s12
	s_delay_alu instid0(SALU_CYCLE_1) | instskip(NEXT) | instid1(VALU_DEP_1)
	s_cmp_lt_i32 s0, 11
	v_ashrrev_i32_e32 v1, 31, v0
	s_wait_loadcnt 0x0
	s_delay_alu instid0(VALU_DEP_1)
	v_add_nc_u64_e32 v[2:3], s[6:7], v[0:1]
	s_cbranch_scc1 .LBB206_1067
; %bb.1061:
	s_cmp_gt_i32 s0, 25
	s_mov_b32 s12, 0
	s_cbranch_scc0 .LBB206_1069
; %bb.1062:
	s_cmp_gt_i32 s0, 28
	s_cbranch_scc0 .LBB206_1070
; %bb.1063:
	s_cmp_gt_i32 s0, 43
	;; [unrolled: 3-line block ×3, first 2 shown]
	s_cbranch_scc0 .LBB206_1072
; %bb.1065:
	s_cmp_eq_u32 s0, 46
	s_mov_b32 s16, 0
	s_cbranch_scc0 .LBB206_1075
; %bb.1066:
	global_load_b32 v1, v[2:3], off
	s_mov_b32 s15, -1
	s_wait_loadcnt 0x0
	v_lshlrev_b32_e32 v1, 16, v1
	s_delay_alu instid0(VALU_DEP_1)
	v_cvt_i32_f32_e32 v4, v1
	s_branch .LBB206_1077
.LBB206_1067:
	s_mov_b32 s15, 0
	s_mov_b32 s3, s14
                                        ; implicit-def: $vgpr4
	s_cbranch_execnz .LBB206_1135
.LBB206_1068:
	s_and_not1_b32 vcc_lo, exec_lo, s15
	s_cbranch_vccz .LBB206_1180
	s_branch .LBB206_1594
.LBB206_1069:
	s_mov_b32 s15, 0
                                        ; implicit-def: $vgpr4
	s_cbranch_execnz .LBB206_1102
	s_branch .LBB206_1131
.LBB206_1070:
	s_mov_b32 s15, 0
                                        ; implicit-def: $vgpr4
	s_cbranch_execz .LBB206_1101
	s_branch .LBB206_1086
.LBB206_1071:
	s_mov_b32 s15, 0
                                        ; implicit-def: $vgpr4
	s_cbranch_execnz .LBB206_1082
	s_branch .LBB206_1085
.LBB206_1072:
	s_mov_b32 s16, -1
	s_branch .LBB206_1076
.LBB206_1073:
	s_and_not1_saveexec_b32 s21, s21
	s_cbranch_execz .LBB206_972
.LBB206_1074:
	v_add_f32_e64 v3, 0x46000000, |v2|
	s_and_not1_b32 s20, s20, exec_lo
	s_delay_alu instid0(VALU_DEP_1) | instskip(NEXT) | instid1(VALU_DEP_1)
	v_and_b32_e32 v3, 0xff, v3
	v_cmp_ne_u32_e32 vcc_lo, 0, v3
	s_and_b32 s22, vcc_lo, exec_lo
	s_delay_alu instid0(SALU_CYCLE_1)
	s_or_b32 s20, s20, s22
	s_or_b32 exec_lo, exec_lo, s21
	v_mov_b32_e32 v5, 0
	s_and_saveexec_b32 s21, s20
	s_cbranch_execnz .LBB206_973
	s_branch .LBB206_974
.LBB206_1075:
	s_mov_b32 s3, -1
.LBB206_1076:
	s_mov_b32 s15, 0
                                        ; implicit-def: $vgpr4
.LBB206_1077:
	s_and_b32 vcc_lo, exec_lo, s16
	s_cbranch_vccz .LBB206_1080
; %bb.1078:
	s_cmp_eq_u32 s0, 44
	s_cbranch_scc0 .LBB206_1081
; %bb.1079:
	global_load_u8 v1, v[2:3], off
	s_mov_b32 s3, 0
	s_mov_b32 s15, -1
	s_wait_loadcnt 0x0
	v_lshlrev_b32_e32 v4, 23, v1
	v_cmp_ne_u32_e32 vcc_lo, 0, v1
	s_delay_alu instid0(VALU_DEP_2) | instskip(NEXT) | instid1(VALU_DEP_1)
	v_cvt_i32_f32_e32 v4, v4
	v_cndmask_b32_e32 v4, 0, v4, vcc_lo
.LBB206_1080:
	s_branch .LBB206_1085
.LBB206_1081:
	s_mov_b32 s3, -1
                                        ; implicit-def: $vgpr4
	s_branch .LBB206_1085
.LBB206_1082:
	s_cmp_eq_u32 s0, 29
	s_cbranch_scc0 .LBB206_1084
; %bb.1083:
	global_load_b64 v[4:5], v[2:3], off
	s_mov_b32 s3, 0
	s_mov_b32 s15, -1
	s_branch .LBB206_1085
.LBB206_1084:
	s_mov_b32 s3, -1
                                        ; implicit-def: $vgpr4
.LBB206_1085:
	s_branch .LBB206_1101
.LBB206_1086:
	s_cmp_lt_i32 s0, 27
	s_cbranch_scc1 .LBB206_1089
; %bb.1087:
	s_cmp_gt_i32 s0, 27
	s_cbranch_scc0 .LBB206_1090
; %bb.1088:
	s_wait_loadcnt 0x0
	global_load_b32 v4, v[2:3], off
	s_mov_b32 s15, 0
	s_branch .LBB206_1091
.LBB206_1089:
	s_mov_b32 s15, -1
                                        ; implicit-def: $vgpr4
	s_branch .LBB206_1094
.LBB206_1090:
	s_mov_b32 s15, -1
                                        ; implicit-def: $vgpr4
.LBB206_1091:
	s_delay_alu instid0(SALU_CYCLE_1)
	s_and_not1_b32 vcc_lo, exec_lo, s15
	s_cbranch_vccnz .LBB206_1093
; %bb.1092:
	s_wait_loadcnt 0x0
	global_load_u16 v4, v[2:3], off
.LBB206_1093:
	s_mov_b32 s15, 0
.LBB206_1094:
	s_delay_alu instid0(SALU_CYCLE_1)
	s_and_not1_b32 vcc_lo, exec_lo, s15
	s_cbranch_vccnz .LBB206_1100
; %bb.1095:
	global_load_u8 v1, v[2:3], off
	s_mov_b32 s16, 0
	s_mov_b32 s15, exec_lo
	s_wait_loadcnt 0x0
	v_cmpx_lt_i16_e32 0x7f, v1
	s_xor_b32 s15, exec_lo, s15
	s_cbranch_execz .LBB206_1111
; %bb.1096:
	v_cmp_ne_u16_e32 vcc_lo, 0x80, v1
	s_and_b32 s16, vcc_lo, exec_lo
	s_and_not1_saveexec_b32 s15, s15
	s_cbranch_execnz .LBB206_1112
.LBB206_1097:
	s_or_b32 exec_lo, exec_lo, s15
	v_mov_b32_e32 v4, 0
	s_and_saveexec_b32 s15, s16
	s_cbranch_execz .LBB206_1099
.LBB206_1098:
	v_and_b32_e32 v4, 0xffff, v1
	s_delay_alu instid0(VALU_DEP_1) | instskip(SKIP_1) | instid1(VALU_DEP_2)
	v_and_b32_e32 v5, 7, v4
	v_bfe_u32 v9, v4, 3, 4
	v_clz_i32_u32_e32 v7, v5
	s_delay_alu instid0(VALU_DEP_2) | instskip(NEXT) | instid1(VALU_DEP_2)
	v_cmp_eq_u32_e32 vcc_lo, 0, v9
	v_min_u32_e32 v7, 32, v7
	s_delay_alu instid0(VALU_DEP_1) | instskip(NEXT) | instid1(VALU_DEP_1)
	v_subrev_nc_u32_e32 v8, 28, v7
	v_dual_lshlrev_b32 v4, v8, v4 :: v_dual_sub_nc_u32 v7, 29, v7
	s_delay_alu instid0(VALU_DEP_1) | instskip(NEXT) | instid1(VALU_DEP_2)
	v_dual_lshlrev_b32 v1, 24, v1 :: v_dual_bitop2_b32 v4, 7, v4 bitop3:0x40
	v_cndmask_b32_e32 v7, v9, v7, vcc_lo
	s_delay_alu instid0(VALU_DEP_2) | instskip(NEXT) | instid1(VALU_DEP_3)
	v_cndmask_b32_e32 v4, v5, v4, vcc_lo
	v_and_b32_e32 v1, 0x80000000, v1
	s_delay_alu instid0(VALU_DEP_3) | instskip(NEXT) | instid1(VALU_DEP_3)
	v_lshl_add_u32 v5, v7, 23, 0x3b800000
	v_lshlrev_b32_e32 v4, 20, v4
	s_delay_alu instid0(VALU_DEP_1) | instskip(NEXT) | instid1(VALU_DEP_1)
	v_or3_b32 v1, v1, v5, v4
	v_cvt_i32_f32_e32 v4, v1
.LBB206_1099:
	s_or_b32 exec_lo, exec_lo, s15
.LBB206_1100:
	s_mov_b32 s15, -1
.LBB206_1101:
	s_branch .LBB206_1131
.LBB206_1102:
	s_cmp_gt_i32 s0, 22
	s_cbranch_scc0 .LBB206_1110
; %bb.1103:
	s_cmp_lt_i32 s0, 24
	s_cbranch_scc1 .LBB206_1113
; %bb.1104:
	s_cmp_gt_i32 s0, 24
	s_cbranch_scc0 .LBB206_1114
; %bb.1105:
	global_load_u8 v1, v[2:3], off
	s_mov_b32 s15, 0
	s_mov_b32 s12, exec_lo
	s_wait_loadcnt 0x0
	v_cmpx_lt_i16_e32 0x7f, v1
	s_xor_b32 s12, exec_lo, s12
	s_cbranch_execz .LBB206_1125
; %bb.1106:
	v_cmp_ne_u16_e32 vcc_lo, 0x80, v1
	s_and_b32 s15, vcc_lo, exec_lo
	s_and_not1_saveexec_b32 s12, s12
	s_cbranch_execnz .LBB206_1126
.LBB206_1107:
	s_or_b32 exec_lo, exec_lo, s12
	v_mov_b32_e32 v4, 0
	s_and_saveexec_b32 s12, s15
	s_cbranch_execz .LBB206_1109
.LBB206_1108:
	v_and_b32_e32 v4, 0xffff, v1
	s_delay_alu instid0(VALU_DEP_1) | instskip(SKIP_1) | instid1(VALU_DEP_2)
	v_and_b32_e32 v5, 3, v4
	v_bfe_u32 v9, v4, 2, 5
	v_clz_i32_u32_e32 v7, v5
	s_delay_alu instid0(VALU_DEP_2) | instskip(NEXT) | instid1(VALU_DEP_2)
	v_cmp_eq_u32_e32 vcc_lo, 0, v9
	v_min_u32_e32 v7, 32, v7
	s_delay_alu instid0(VALU_DEP_1) | instskip(NEXT) | instid1(VALU_DEP_1)
	v_subrev_nc_u32_e32 v8, 29, v7
	v_dual_lshlrev_b32 v4, v8, v4 :: v_dual_sub_nc_u32 v7, 30, v7
	s_delay_alu instid0(VALU_DEP_1) | instskip(NEXT) | instid1(VALU_DEP_2)
	v_dual_lshlrev_b32 v1, 24, v1 :: v_dual_bitop2_b32 v4, 3, v4 bitop3:0x40
	v_cndmask_b32_e32 v7, v9, v7, vcc_lo
	s_delay_alu instid0(VALU_DEP_2) | instskip(NEXT) | instid1(VALU_DEP_3)
	v_cndmask_b32_e32 v4, v5, v4, vcc_lo
	v_and_b32_e32 v1, 0x80000000, v1
	s_delay_alu instid0(VALU_DEP_3) | instskip(NEXT) | instid1(VALU_DEP_3)
	v_lshl_add_u32 v5, v7, 23, 0x37800000
	v_lshlrev_b32_e32 v4, 21, v4
	s_delay_alu instid0(VALU_DEP_1) | instskip(NEXT) | instid1(VALU_DEP_1)
	v_or3_b32 v1, v1, v5, v4
	v_cvt_i32_f32_e32 v4, v1
.LBB206_1109:
	s_or_b32 exec_lo, exec_lo, s12
	s_mov_b32 s12, 0
	s_branch .LBB206_1115
.LBB206_1110:
                                        ; implicit-def: $vgpr4
	s_mov_b32 s12, 0
	s_branch .LBB206_1121
.LBB206_1111:
	s_and_not1_saveexec_b32 s15, s15
	s_cbranch_execz .LBB206_1097
.LBB206_1112:
	v_cmp_ne_u16_e32 vcc_lo, 0, v1
	s_and_not1_b32 s16, s16, exec_lo
	s_and_b32 s17, vcc_lo, exec_lo
	s_delay_alu instid0(SALU_CYCLE_1)
	s_or_b32 s16, s16, s17
	s_or_b32 exec_lo, exec_lo, s15
	v_mov_b32_e32 v4, 0
	s_and_saveexec_b32 s15, s16
	s_cbranch_execnz .LBB206_1098
	s_branch .LBB206_1099
.LBB206_1113:
	s_mov_b32 s12, -1
                                        ; implicit-def: $vgpr4
	s_branch .LBB206_1118
.LBB206_1114:
	s_mov_b32 s12, -1
                                        ; implicit-def: $vgpr4
.LBB206_1115:
	s_delay_alu instid0(SALU_CYCLE_1)
	s_and_b32 vcc_lo, exec_lo, s12
	s_cbranch_vccz .LBB206_1117
; %bb.1116:
	global_load_u8 v1, v[2:3], off
	s_wait_loadcnt 0x0
	v_lshlrev_b32_e32 v1, 24, v1
	s_delay_alu instid0(VALU_DEP_1) | instskip(NEXT) | instid1(VALU_DEP_1)
	v_and_b32_e32 v4, 0x7f000000, v1
	v_clz_i32_u32_e32 v5, v4
	v_add_nc_u32_e32 v8, 0x1000000, v4
	v_cmp_ne_u32_e32 vcc_lo, 0, v4
	s_delay_alu instid0(VALU_DEP_3) | instskip(NEXT) | instid1(VALU_DEP_1)
	v_min_u32_e32 v5, 32, v5
	v_sub_nc_u32_e64 v5, v5, 4 clamp
	s_delay_alu instid0(VALU_DEP_1) | instskip(NEXT) | instid1(VALU_DEP_1)
	v_dual_lshlrev_b32 v7, v5, v4 :: v_dual_lshlrev_b32 v5, 23, v5
	v_lshrrev_b32_e32 v7, 4, v7
	s_delay_alu instid0(VALU_DEP_1) | instskip(NEXT) | instid1(VALU_DEP_1)
	v_dual_sub_nc_u32 v5, v7, v5 :: v_dual_ashrrev_i32 v7, 8, v8
	v_add_nc_u32_e32 v5, 0x3c000000, v5
	s_delay_alu instid0(VALU_DEP_1) | instskip(NEXT) | instid1(VALU_DEP_1)
	v_and_or_b32 v5, 0x7f800000, v7, v5
	v_cndmask_b32_e32 v4, 0, v5, vcc_lo
	s_delay_alu instid0(VALU_DEP_1) | instskip(NEXT) | instid1(VALU_DEP_1)
	v_and_or_b32 v1, 0x80000000, v1, v4
	v_cvt_i32_f32_e32 v4, v1
.LBB206_1117:
	s_mov_b32 s12, 0
.LBB206_1118:
	s_delay_alu instid0(SALU_CYCLE_1)
	s_and_not1_b32 vcc_lo, exec_lo, s12
	s_cbranch_vccnz .LBB206_1120
; %bb.1119:
	global_load_u8 v1, v[2:3], off
	s_wait_loadcnt 0x0
	v_lshlrev_b32_e32 v4, 25, v1
	v_lshlrev_b16 v1, 8, v1
	s_delay_alu instid0(VALU_DEP_1) | instskip(SKIP_1) | instid1(VALU_DEP_2)
	v_and_or_b32 v7, 0x7f00, v1, 0.5
	v_bfe_i32 v1, v1, 0, 16
	v_dual_add_f32 v7, -0.5, v7 :: v_dual_lshrrev_b32 v5, 4, v4
	v_cmp_gt_u32_e32 vcc_lo, 0x8000000, v4
	s_delay_alu instid0(VALU_DEP_2) | instskip(NEXT) | instid1(VALU_DEP_1)
	v_or_b32_e32 v5, 0x70000000, v5
	v_mul_f32_e32 v5, 0x7800000, v5
	s_delay_alu instid0(VALU_DEP_1) | instskip(NEXT) | instid1(VALU_DEP_1)
	v_cndmask_b32_e32 v4, v5, v7, vcc_lo
	v_and_or_b32 v1, 0x80000000, v1, v4
	s_delay_alu instid0(VALU_DEP_1)
	v_cvt_i32_f32_e32 v4, v1
.LBB206_1120:
	s_mov_b32 s15, -1
	s_mov_b32 s12, 0
	s_cbranch_execnz .LBB206_1131
.LBB206_1121:
	s_cmp_gt_i32 s0, 14
	s_cbranch_scc0 .LBB206_1124
; %bb.1122:
	s_cmp_eq_u32 s0, 15
	s_cbranch_scc0 .LBB206_1127
; %bb.1123:
	global_load_u16 v1, v[2:3], off
	s_mov_b32 s3, 0
	s_mov_b32 s15, -1
	s_wait_loadcnt 0x0
	v_lshlrev_b32_e32 v1, 16, v1
	s_delay_alu instid0(VALU_DEP_1)
	v_cvt_i32_f32_e32 v4, v1
	s_branch .LBB206_1129
.LBB206_1124:
	s_mov_b32 s12, -1
	s_branch .LBB206_1128
.LBB206_1125:
	s_and_not1_saveexec_b32 s12, s12
	s_cbranch_execz .LBB206_1107
.LBB206_1126:
	v_cmp_ne_u16_e32 vcc_lo, 0, v1
	s_and_not1_b32 s15, s15, exec_lo
	s_and_b32 s16, vcc_lo, exec_lo
	s_delay_alu instid0(SALU_CYCLE_1)
	s_or_b32 s15, s15, s16
	s_or_b32 exec_lo, exec_lo, s12
	v_mov_b32_e32 v4, 0
	s_and_saveexec_b32 s12, s15
	s_cbranch_execnz .LBB206_1108
	s_branch .LBB206_1109
.LBB206_1127:
	s_mov_b32 s3, -1
.LBB206_1128:
                                        ; implicit-def: $vgpr4
.LBB206_1129:
	s_and_b32 vcc_lo, exec_lo, s12
	s_mov_b32 s12, 0
	s_cbranch_vccz .LBB206_1131
; %bb.1130:
	s_cmp_lg_u32 s0, 11
	s_mov_b32 s12, -1
	s_cselect_b32 s3, -1, 0
.LBB206_1131:
	s_delay_alu instid0(SALU_CYCLE_1)
	s_and_b32 vcc_lo, exec_lo, s3
	s_mov_b32 s3, s14
	s_cbranch_vccnz .LBB206_1202
; %bb.1132:
	s_and_not1_b32 vcc_lo, exec_lo, s12
	s_cbranch_vccnz .LBB206_1134
.LBB206_1133:
	global_load_u8 v1, v[2:3], off
	s_mov_b32 s15, -1
	s_wait_loadcnt 0x0
	v_cmp_ne_u16_e32 vcc_lo, 0, v1
	v_cndmask_b32_e64 v4, 0, 1, vcc_lo
.LBB206_1134:
	s_branch .LBB206_1068
.LBB206_1135:
	s_cmp_lt_i32 s0, 5
	s_cbranch_scc1 .LBB206_1140
; %bb.1136:
	s_cmp_lt_i32 s0, 8
	s_cbranch_scc1 .LBB206_1141
; %bb.1137:
	;; [unrolled: 3-line block ×3, first 2 shown]
	s_cmp_gt_i32 s0, 9
	s_cbranch_scc0 .LBB206_1143
; %bb.1139:
	s_wait_loadcnt 0x0
	global_load_b64 v[4:5], v[2:3], off
	s_mov_b32 s12, 0
	s_wait_loadcnt 0x0
	v_cvt_i32_f64_e32 v4, v[4:5]
	s_branch .LBB206_1144
.LBB206_1140:
                                        ; implicit-def: $vgpr4
	s_branch .LBB206_1161
.LBB206_1141:
                                        ; implicit-def: $vgpr4
	s_branch .LBB206_1150
.LBB206_1142:
	s_mov_b32 s12, -1
                                        ; implicit-def: $vgpr4
	s_branch .LBB206_1147
.LBB206_1143:
	s_mov_b32 s12, -1
                                        ; implicit-def: $vgpr4
.LBB206_1144:
	s_delay_alu instid0(SALU_CYCLE_1)
	s_and_not1_b32 vcc_lo, exec_lo, s12
	s_cbranch_vccnz .LBB206_1146
; %bb.1145:
	global_load_b32 v1, v[2:3], off
	s_wait_loadcnt 0x0
	v_cvt_i32_f32_e32 v4, v1
.LBB206_1146:
	s_mov_b32 s12, 0
.LBB206_1147:
	s_delay_alu instid0(SALU_CYCLE_1)
	s_and_not1_b32 vcc_lo, exec_lo, s12
	s_cbranch_vccnz .LBB206_1149
; %bb.1148:
	global_load_b32 v1, v[2:3], off
	s_wait_loadcnt 0x0
	v_cvt_i16_f16_e32 v4, v1
.LBB206_1149:
	s_cbranch_execnz .LBB206_1160
.LBB206_1150:
	s_cmp_lt_i32 s0, 6
	s_cbranch_scc1 .LBB206_1153
; %bb.1151:
	s_cmp_gt_i32 s0, 6
	s_cbranch_scc0 .LBB206_1154
; %bb.1152:
	s_wait_loadcnt 0x0
	global_load_b64 v[4:5], v[2:3], off
	s_mov_b32 s12, 0
	s_wait_loadcnt 0x0
	v_cvt_i32_f64_e32 v4, v[4:5]
	s_branch .LBB206_1155
.LBB206_1153:
	s_mov_b32 s12, -1
                                        ; implicit-def: $vgpr4
	s_branch .LBB206_1158
.LBB206_1154:
	s_mov_b32 s12, -1
                                        ; implicit-def: $vgpr4
.LBB206_1155:
	s_delay_alu instid0(SALU_CYCLE_1)
	s_and_not1_b32 vcc_lo, exec_lo, s12
	s_cbranch_vccnz .LBB206_1157
; %bb.1156:
	global_load_b32 v1, v[2:3], off
	s_wait_loadcnt 0x0
	v_cvt_i32_f32_e32 v4, v1
.LBB206_1157:
	s_mov_b32 s12, 0
.LBB206_1158:
	s_delay_alu instid0(SALU_CYCLE_1)
	s_and_not1_b32 vcc_lo, exec_lo, s12
	s_cbranch_vccnz .LBB206_1160
; %bb.1159:
	global_load_u16 v1, v[2:3], off
	s_wait_loadcnt 0x0
	v_cvt_i16_f16_e32 v4, v1
.LBB206_1160:
	s_cbranch_execnz .LBB206_1179
.LBB206_1161:
	s_cmp_lt_i32 s0, 2
	s_cbranch_scc1 .LBB206_1165
; %bb.1162:
	s_cmp_lt_i32 s0, 3
	s_cbranch_scc1 .LBB206_1166
; %bb.1163:
	s_cmp_gt_i32 s0, 3
	s_cbranch_scc0 .LBB206_1167
; %bb.1164:
	s_wait_loadcnt 0x0
	global_load_b64 v[4:5], v[2:3], off
	s_mov_b32 s12, 0
	s_branch .LBB206_1168
.LBB206_1165:
                                        ; implicit-def: $vgpr4
	s_branch .LBB206_1174
.LBB206_1166:
	s_mov_b32 s12, -1
                                        ; implicit-def: $vgpr4
	s_branch .LBB206_1171
.LBB206_1167:
	s_mov_b32 s12, -1
                                        ; implicit-def: $vgpr4
.LBB206_1168:
	s_delay_alu instid0(SALU_CYCLE_1)
	s_and_not1_b32 vcc_lo, exec_lo, s12
	s_cbranch_vccnz .LBB206_1170
; %bb.1169:
	s_wait_loadcnt 0x0
	global_load_b32 v4, v[2:3], off
.LBB206_1170:
	s_mov_b32 s12, 0
.LBB206_1171:
	s_delay_alu instid0(SALU_CYCLE_1)
	s_and_not1_b32 vcc_lo, exec_lo, s12
	s_cbranch_vccnz .LBB206_1173
; %bb.1172:
	s_wait_loadcnt 0x0
	global_load_u16 v4, v[2:3], off
.LBB206_1173:
	s_cbranch_execnz .LBB206_1179
.LBB206_1174:
	s_cmp_gt_i32 s0, 0
	s_mov_b32 s12, 0
	s_cbranch_scc0 .LBB206_1176
; %bb.1175:
	s_wait_loadcnt 0x0
	global_load_i8 v4, v[2:3], off
	s_branch .LBB206_1177
.LBB206_1176:
	s_mov_b32 s12, -1
                                        ; implicit-def: $vgpr4
.LBB206_1177:
	s_delay_alu instid0(SALU_CYCLE_1)
	s_and_not1_b32 vcc_lo, exec_lo, s12
	s_cbranch_vccnz .LBB206_1179
; %bb.1178:
	s_wait_loadcnt 0x0
	global_load_u8 v4, v[2:3], off
.LBB206_1179:
.LBB206_1180:
	s_cmp_lt_i32 s10, 1
	s_mov_b32 s12, 0
	s_cbranch_scc1 .LBB206_1183
; %bb.1181:
	s_cmp_eq_u32 s10, 1
	s_cbranch_scc0 .LBB206_1198
; %bb.1182:
	s_wait_loadcnt 0x0
	s_delay_alu instid0(VALU_DEP_1)
	v_min_i16 v7, v4, s11
	s_mov_b32 s15, 0
	s_branch .LBB206_1185
.LBB206_1183:
	s_mov_b32 s15, 0
                                        ; implicit-def: $vgpr7
	s_cbranch_execz .LBB206_1185
; %bb.1184:
	s_cmp_lg_u32 s10, 0
	s_mov_b32 s12, -1
	s_cselect_b32 s15, -1, 0
.LBB206_1185:
	s_wait_loadcnt 0x0
	s_delay_alu instid0(VALU_DEP_1)
	v_max_i16 v1, v4, s11
	s_and_not1_b32 vcc_lo, exec_lo, s15
	s_cbranch_vccnz .LBB206_1187
; %bb.1186:
	s_wait_xcnt 0x0
	v_max_i16 v2, v4, s11
	s_delay_alu instid0(VALU_DEP_1)
	v_min_i16 v7, v2, s1
	s_cbranch_execz .LBB206_1188
	s_branch .LBB206_1189
.LBB206_1187:
	s_and_not1_b32 vcc_lo, exec_lo, s12
	s_cbranch_vccnz .LBB206_1189
.LBB206_1188:
	v_mov_b32_e32 v7, v1
.LBB206_1189:
	s_lshl_b32 s9, s9, 7
	s_cmp_lt_i32 s0, 11
	v_add_nc_u32_e32 v0, s9, v0
	s_delay_alu instid0(VALU_DEP_1) | instskip(SKIP_1) | instid1(VALU_DEP_1)
	v_ashrrev_i32_e32 v1, 31, v0
	s_wait_xcnt 0x0
	v_add_nc_u64_e32 v[2:3], s[6:7], v[0:1]
	s_cbranch_scc1 .LBB206_1196
; %bb.1190:
	s_cmp_gt_i32 s0, 25
	s_mov_b32 s15, 0
	s_cbranch_scc0 .LBB206_1199
; %bb.1191:
	s_cmp_gt_i32 s0, 28
	s_cbranch_scc0 .LBB206_1200
; %bb.1192:
	s_cmp_gt_i32 s0, 43
	;; [unrolled: 3-line block ×3, first 2 shown]
	s_cbranch_scc0 .LBB206_1203
; %bb.1194:
	s_cmp_eq_u32 s0, 46
	s_mov_b32 s17, 0
	s_cbranch_scc0 .LBB206_1206
; %bb.1195:
	global_load_b32 v1, v[2:3], off
	s_mov_b32 s12, 0
	s_mov_b32 s16, -1
	s_wait_loadcnt 0x0
	v_lshlrev_b32_e32 v1, 16, v1
	s_delay_alu instid0(VALU_DEP_1)
	v_cvt_i32_f32_e32 v4, v1
	s_branch .LBB206_1208
.LBB206_1196:
	s_mov_b32 s16, 0
                                        ; implicit-def: $vgpr4
	s_cbranch_execnz .LBB206_1269
.LBB206_1197:
	s_and_not1_b32 vcc_lo, exec_lo, s16
	s_cbranch_vccnz .LBB206_1594
	s_branch .LBB206_1316
.LBB206_1198:
	s_mov_b32 s15, -1
                                        ; implicit-def: $vgpr7
	s_branch .LBB206_1185
.LBB206_1199:
	s_mov_b32 s16, 0
	s_mov_b32 s12, 0
                                        ; implicit-def: $vgpr4
	s_cbranch_execnz .LBB206_1235
	s_branch .LBB206_1265
.LBB206_1200:
	s_mov_b32 s17, -1
	s_mov_b32 s16, 0
	s_mov_b32 s12, 0
                                        ; implicit-def: $vgpr4
	s_branch .LBB206_1218
.LBB206_1201:
	s_mov_b32 s17, -1
	s_mov_b32 s16, 0
	s_mov_b32 s12, 0
                                        ; implicit-def: $vgpr4
	s_branch .LBB206_1213
.LBB206_1202:
	s_or_b32 s3, s14, exec_lo
	s_trap 2
	s_cbranch_execz .LBB206_1133
	s_branch .LBB206_1134
.LBB206_1203:
	s_mov_b32 s17, -1
	s_mov_b32 s16, 0
	s_mov_b32 s12, 0
	s_branch .LBB206_1207
.LBB206_1204:
	s_and_not1_saveexec_b32 s22, s22
	s_cbranch_execz .LBB206_984
.LBB206_1205:
	v_add_f32_e64 v3, 0x42800000, |v2|
	s_and_not1_b32 s21, s21, exec_lo
	s_delay_alu instid0(VALU_DEP_1) | instskip(NEXT) | instid1(VALU_DEP_1)
	v_and_b32_e32 v3, 0xff, v3
	v_cmp_ne_u32_e32 vcc_lo, 0, v3
	s_and_b32 s23, vcc_lo, exec_lo
	s_delay_alu instid0(SALU_CYCLE_1)
	s_or_b32 s21, s21, s23
	s_or_b32 exec_lo, exec_lo, s22
	v_mov_b32_e32 v5, 0
	s_and_saveexec_b32 s22, s21
	s_cbranch_execnz .LBB206_985
	s_branch .LBB206_986
.LBB206_1206:
	s_mov_b32 s12, -1
	s_mov_b32 s16, 0
.LBB206_1207:
                                        ; implicit-def: $vgpr4
.LBB206_1208:
	s_and_b32 vcc_lo, exec_lo, s17
	s_cbranch_vccz .LBB206_1212
; %bb.1209:
	s_cmp_eq_u32 s0, 44
	s_cbranch_scc0 .LBB206_1211
; %bb.1210:
	global_load_u8 v1, v[2:3], off
	s_mov_b32 s12, 0
	s_mov_b32 s16, -1
	s_wait_loadcnt 0x0
	v_lshlrev_b32_e32 v4, 23, v1
	v_cmp_ne_u32_e32 vcc_lo, 0, v1
	s_delay_alu instid0(VALU_DEP_2) | instskip(NEXT) | instid1(VALU_DEP_1)
	v_cvt_i32_f32_e32 v4, v4
	v_cndmask_b32_e32 v4, 0, v4, vcc_lo
	s_branch .LBB206_1212
.LBB206_1211:
	s_mov_b32 s12, -1
                                        ; implicit-def: $vgpr4
.LBB206_1212:
	s_mov_b32 s17, 0
.LBB206_1213:
	s_delay_alu instid0(SALU_CYCLE_1)
	s_and_b32 vcc_lo, exec_lo, s17
	s_cbranch_vccz .LBB206_1217
; %bb.1214:
	s_cmp_eq_u32 s0, 29
	s_cbranch_scc0 .LBB206_1216
; %bb.1215:
	global_load_b64 v[4:5], v[2:3], off
	s_mov_b32 s12, 0
	s_mov_b32 s16, -1
	s_branch .LBB206_1217
.LBB206_1216:
	s_mov_b32 s12, -1
                                        ; implicit-def: $vgpr4
.LBB206_1217:
	s_mov_b32 s17, 0
.LBB206_1218:
	s_delay_alu instid0(SALU_CYCLE_1)
	s_and_b32 vcc_lo, exec_lo, s17
	s_cbranch_vccz .LBB206_1234
; %bb.1219:
	s_cmp_lt_i32 s0, 27
	s_cbranch_scc1 .LBB206_1222
; %bb.1220:
	s_cmp_gt_i32 s0, 27
	s_cbranch_scc0 .LBB206_1223
; %bb.1221:
	s_wait_loadcnt 0x0
	global_load_b32 v4, v[2:3], off
	s_mov_b32 s16, 0
	s_branch .LBB206_1224
.LBB206_1222:
	s_mov_b32 s16, -1
                                        ; implicit-def: $vgpr4
	s_branch .LBB206_1227
.LBB206_1223:
	s_mov_b32 s16, -1
                                        ; implicit-def: $vgpr4
.LBB206_1224:
	s_delay_alu instid0(SALU_CYCLE_1)
	s_and_not1_b32 vcc_lo, exec_lo, s16
	s_cbranch_vccnz .LBB206_1226
; %bb.1225:
	s_wait_loadcnt 0x0
	global_load_u16 v4, v[2:3], off
.LBB206_1226:
	s_mov_b32 s16, 0
.LBB206_1227:
	s_delay_alu instid0(SALU_CYCLE_1)
	s_and_not1_b32 vcc_lo, exec_lo, s16
	s_cbranch_vccnz .LBB206_1233
; %bb.1228:
	global_load_u8 v1, v[2:3], off
	s_mov_b32 s17, 0
	s_mov_b32 s16, exec_lo
	s_wait_loadcnt 0x0
	v_cmpx_lt_i16_e32 0x7f, v1
	s_xor_b32 s16, exec_lo, s16
	s_cbranch_execz .LBB206_1244
; %bb.1229:
	v_cmp_ne_u16_e32 vcc_lo, 0x80, v1
	s_and_b32 s17, vcc_lo, exec_lo
	s_and_not1_saveexec_b32 s16, s16
	s_cbranch_execnz .LBB206_1245
.LBB206_1230:
	s_or_b32 exec_lo, exec_lo, s16
	v_mov_b32_e32 v4, 0
	s_and_saveexec_b32 s16, s17
	s_cbranch_execz .LBB206_1232
.LBB206_1231:
	v_and_b32_e32 v4, 0xffff, v1
	s_delay_alu instid0(VALU_DEP_1) | instskip(SKIP_1) | instid1(VALU_DEP_2)
	v_dual_lshlrev_b32 v1, 24, v1 :: v_dual_bitop2_b32 v5, 7, v4 bitop3:0x40
	v_bfe_u32 v10, v4, 3, 4
	v_and_b32_e32 v1, 0x80000000, v1
	s_delay_alu instid0(VALU_DEP_3) | instskip(NEXT) | instid1(VALU_DEP_3)
	v_clz_i32_u32_e32 v8, v5
	v_cmp_eq_u32_e32 vcc_lo, 0, v10
	s_delay_alu instid0(VALU_DEP_2) | instskip(NEXT) | instid1(VALU_DEP_1)
	v_min_u32_e32 v8, 32, v8
	v_subrev_nc_u32_e32 v9, 28, v8
	v_sub_nc_u32_e32 v8, 29, v8
	s_delay_alu instid0(VALU_DEP_2) | instskip(NEXT) | instid1(VALU_DEP_2)
	v_lshlrev_b32_e32 v4, v9, v4
	v_cndmask_b32_e32 v8, v10, v8, vcc_lo
	s_delay_alu instid0(VALU_DEP_2) | instskip(NEXT) | instid1(VALU_DEP_1)
	v_and_b32_e32 v4, 7, v4
	v_cndmask_b32_e32 v4, v5, v4, vcc_lo
	s_delay_alu instid0(VALU_DEP_3) | instskip(NEXT) | instid1(VALU_DEP_2)
	v_lshl_add_u32 v5, v8, 23, 0x3b800000
	v_lshlrev_b32_e32 v4, 20, v4
	s_delay_alu instid0(VALU_DEP_1) | instskip(NEXT) | instid1(VALU_DEP_1)
	v_or3_b32 v1, v1, v5, v4
	v_cvt_i32_f32_e32 v4, v1
.LBB206_1232:
	s_or_b32 exec_lo, exec_lo, s16
.LBB206_1233:
	s_mov_b32 s16, -1
.LBB206_1234:
	s_branch .LBB206_1265
.LBB206_1235:
	s_cmp_gt_i32 s0, 22
	s_cbranch_scc0 .LBB206_1243
; %bb.1236:
	s_cmp_lt_i32 s0, 24
	s_cbranch_scc1 .LBB206_1246
; %bb.1237:
	s_cmp_gt_i32 s0, 24
	s_cbranch_scc0 .LBB206_1247
; %bb.1238:
	global_load_u8 v1, v[2:3], off
	s_mov_b32 s16, 0
	s_mov_b32 s15, exec_lo
	s_wait_loadcnt 0x0
	v_cmpx_lt_i16_e32 0x7f, v1
	s_xor_b32 s15, exec_lo, s15
	s_cbranch_execz .LBB206_1259
; %bb.1239:
	v_cmp_ne_u16_e32 vcc_lo, 0x80, v1
	s_and_b32 s16, vcc_lo, exec_lo
	s_and_not1_saveexec_b32 s15, s15
	s_cbranch_execnz .LBB206_1260
.LBB206_1240:
	s_or_b32 exec_lo, exec_lo, s15
	v_mov_b32_e32 v4, 0
	s_and_saveexec_b32 s15, s16
	s_cbranch_execz .LBB206_1242
.LBB206_1241:
	v_and_b32_e32 v4, 0xffff, v1
	s_delay_alu instid0(VALU_DEP_1) | instskip(SKIP_1) | instid1(VALU_DEP_2)
	v_dual_lshlrev_b32 v1, 24, v1 :: v_dual_bitop2_b32 v5, 3, v4 bitop3:0x40
	v_bfe_u32 v10, v4, 2, 5
	v_and_b32_e32 v1, 0x80000000, v1
	s_delay_alu instid0(VALU_DEP_3) | instskip(NEXT) | instid1(VALU_DEP_3)
	v_clz_i32_u32_e32 v8, v5
	v_cmp_eq_u32_e32 vcc_lo, 0, v10
	s_delay_alu instid0(VALU_DEP_2) | instskip(NEXT) | instid1(VALU_DEP_1)
	v_min_u32_e32 v8, 32, v8
	v_subrev_nc_u32_e32 v9, 29, v8
	v_sub_nc_u32_e32 v8, 30, v8
	s_delay_alu instid0(VALU_DEP_2) | instskip(NEXT) | instid1(VALU_DEP_2)
	v_lshlrev_b32_e32 v4, v9, v4
	v_cndmask_b32_e32 v8, v10, v8, vcc_lo
	s_delay_alu instid0(VALU_DEP_2) | instskip(NEXT) | instid1(VALU_DEP_1)
	v_and_b32_e32 v4, 3, v4
	v_cndmask_b32_e32 v4, v5, v4, vcc_lo
	s_delay_alu instid0(VALU_DEP_3) | instskip(NEXT) | instid1(VALU_DEP_2)
	v_lshl_add_u32 v5, v8, 23, 0x37800000
	v_lshlrev_b32_e32 v4, 21, v4
	s_delay_alu instid0(VALU_DEP_1) | instskip(NEXT) | instid1(VALU_DEP_1)
	v_or3_b32 v1, v1, v5, v4
	v_cvt_i32_f32_e32 v4, v1
.LBB206_1242:
	s_or_b32 exec_lo, exec_lo, s15
	s_mov_b32 s15, 0
	s_branch .LBB206_1248
.LBB206_1243:
	s_mov_b32 s15, -1
                                        ; implicit-def: $vgpr4
	s_branch .LBB206_1254
.LBB206_1244:
	s_and_not1_saveexec_b32 s16, s16
	s_cbranch_execz .LBB206_1230
.LBB206_1245:
	v_cmp_ne_u16_e32 vcc_lo, 0, v1
	s_and_not1_b32 s17, s17, exec_lo
	s_and_b32 s18, vcc_lo, exec_lo
	s_delay_alu instid0(SALU_CYCLE_1)
	s_or_b32 s17, s17, s18
	s_or_b32 exec_lo, exec_lo, s16
	v_mov_b32_e32 v4, 0
	s_and_saveexec_b32 s16, s17
	s_cbranch_execnz .LBB206_1231
	s_branch .LBB206_1232
.LBB206_1246:
	s_mov_b32 s15, -1
                                        ; implicit-def: $vgpr4
	s_branch .LBB206_1251
.LBB206_1247:
	s_mov_b32 s15, -1
                                        ; implicit-def: $vgpr4
.LBB206_1248:
	s_delay_alu instid0(SALU_CYCLE_1)
	s_and_b32 vcc_lo, exec_lo, s15
	s_cbranch_vccz .LBB206_1250
; %bb.1249:
	global_load_u8 v1, v[2:3], off
	s_wait_loadcnt 0x0
	v_lshlrev_b32_e32 v1, 24, v1
	s_delay_alu instid0(VALU_DEP_1) | instskip(NEXT) | instid1(VALU_DEP_1)
	v_and_b32_e32 v4, 0x7f000000, v1
	v_clz_i32_u32_e32 v5, v4
	v_cmp_ne_u32_e32 vcc_lo, 0, v4
	v_add_nc_u32_e32 v9, 0x1000000, v4
	s_delay_alu instid0(VALU_DEP_3) | instskip(NEXT) | instid1(VALU_DEP_1)
	v_min_u32_e32 v5, 32, v5
	v_sub_nc_u32_e64 v5, v5, 4 clamp
	s_delay_alu instid0(VALU_DEP_1) | instskip(NEXT) | instid1(VALU_DEP_1)
	v_dual_lshlrev_b32 v8, v5, v4 :: v_dual_lshlrev_b32 v5, 23, v5
	v_lshrrev_b32_e32 v8, 4, v8
	s_delay_alu instid0(VALU_DEP_1) | instskip(SKIP_1) | instid1(VALU_DEP_2)
	v_sub_nc_u32_e32 v5, v8, v5
	v_ashrrev_i32_e32 v8, 8, v9
	v_add_nc_u32_e32 v5, 0x3c000000, v5
	s_delay_alu instid0(VALU_DEP_1) | instskip(NEXT) | instid1(VALU_DEP_1)
	v_and_or_b32 v5, 0x7f800000, v8, v5
	v_cndmask_b32_e32 v4, 0, v5, vcc_lo
	s_delay_alu instid0(VALU_DEP_1) | instskip(NEXT) | instid1(VALU_DEP_1)
	v_and_or_b32 v1, 0x80000000, v1, v4
	v_cvt_i32_f32_e32 v4, v1
.LBB206_1250:
	s_mov_b32 s15, 0
.LBB206_1251:
	s_delay_alu instid0(SALU_CYCLE_1)
	s_and_not1_b32 vcc_lo, exec_lo, s15
	s_cbranch_vccnz .LBB206_1253
; %bb.1252:
	global_load_u8 v1, v[2:3], off
	s_wait_loadcnt 0x0
	v_lshlrev_b32_e32 v4, 25, v1
	v_lshlrev_b16 v1, 8, v1
	s_delay_alu instid0(VALU_DEP_1) | instskip(SKIP_1) | instid1(VALU_DEP_2)
	v_and_or_b32 v8, 0x7f00, v1, 0.5
	v_bfe_i32 v1, v1, 0, 16
	v_add_f32_e32 v8, -0.5, v8
	v_lshrrev_b32_e32 v5, 4, v4
	v_cmp_gt_u32_e32 vcc_lo, 0x8000000, v4
	s_delay_alu instid0(VALU_DEP_2) | instskip(NEXT) | instid1(VALU_DEP_1)
	v_or_b32_e32 v5, 0x70000000, v5
	v_mul_f32_e32 v5, 0x7800000, v5
	s_delay_alu instid0(VALU_DEP_1) | instskip(NEXT) | instid1(VALU_DEP_1)
	v_cndmask_b32_e32 v4, v5, v8, vcc_lo
	v_and_or_b32 v1, 0x80000000, v1, v4
	s_delay_alu instid0(VALU_DEP_1)
	v_cvt_i32_f32_e32 v4, v1
.LBB206_1253:
	s_mov_b32 s15, 0
	s_mov_b32 s16, -1
.LBB206_1254:
	s_and_not1_b32 vcc_lo, exec_lo, s15
	s_mov_b32 s15, 0
	s_cbranch_vccnz .LBB206_1265
; %bb.1255:
	s_cmp_gt_i32 s0, 14
	s_cbranch_scc0 .LBB206_1258
; %bb.1256:
	s_cmp_eq_u32 s0, 15
	s_cbranch_scc0 .LBB206_1261
; %bb.1257:
	global_load_u16 v1, v[2:3], off
	s_mov_b32 s12, 0
	s_mov_b32 s16, -1
	s_wait_loadcnt 0x0
	v_lshlrev_b32_e32 v1, 16, v1
	s_delay_alu instid0(VALU_DEP_1)
	v_cvt_i32_f32_e32 v4, v1
	s_branch .LBB206_1263
.LBB206_1258:
	s_mov_b32 s15, -1
	s_branch .LBB206_1262
.LBB206_1259:
	s_and_not1_saveexec_b32 s15, s15
	s_cbranch_execz .LBB206_1240
.LBB206_1260:
	v_cmp_ne_u16_e32 vcc_lo, 0, v1
	s_and_not1_b32 s16, s16, exec_lo
	s_and_b32 s17, vcc_lo, exec_lo
	s_delay_alu instid0(SALU_CYCLE_1)
	s_or_b32 s16, s16, s17
	s_or_b32 exec_lo, exec_lo, s15
	v_mov_b32_e32 v4, 0
	s_and_saveexec_b32 s15, s16
	s_cbranch_execnz .LBB206_1241
	s_branch .LBB206_1242
.LBB206_1261:
	s_mov_b32 s12, -1
.LBB206_1262:
                                        ; implicit-def: $vgpr4
.LBB206_1263:
	s_and_b32 vcc_lo, exec_lo, s15
	s_mov_b32 s15, 0
	s_cbranch_vccz .LBB206_1265
; %bb.1264:
	s_cmp_lg_u32 s0, 11
	s_mov_b32 s15, -1
	s_cselect_b32 s12, -1, 0
.LBB206_1265:
	s_delay_alu instid0(SALU_CYCLE_1)
	s_and_b32 vcc_lo, exec_lo, s12
	s_cbranch_vccnz .LBB206_1339
; %bb.1266:
	s_and_not1_b32 vcc_lo, exec_lo, s15
	s_cbranch_vccnz .LBB206_1268
.LBB206_1267:
	global_load_u8 v1, v[2:3], off
	s_mov_b32 s16, -1
	s_wait_loadcnt 0x0
	v_cmp_ne_u16_e32 vcc_lo, 0, v1
	v_cndmask_b32_e64 v4, 0, 1, vcc_lo
.LBB206_1268:
	s_branch .LBB206_1197
.LBB206_1269:
	s_cmp_lt_i32 s0, 5
	s_cbranch_scc1 .LBB206_1274
; %bb.1270:
	s_cmp_lt_i32 s0, 8
	s_cbranch_scc1 .LBB206_1275
; %bb.1271:
	;; [unrolled: 3-line block ×3, first 2 shown]
	s_cmp_gt_i32 s0, 9
	s_cbranch_scc0 .LBB206_1277
; %bb.1273:
	s_wait_loadcnt 0x0
	global_load_b64 v[4:5], v[2:3], off
	s_mov_b32 s12, 0
	s_wait_loadcnt 0x0
	v_cvt_i32_f64_e32 v4, v[4:5]
	s_branch .LBB206_1278
.LBB206_1274:
                                        ; implicit-def: $vgpr4
	s_branch .LBB206_1296
.LBB206_1275:
	s_mov_b32 s12, -1
                                        ; implicit-def: $vgpr4
	s_branch .LBB206_1284
.LBB206_1276:
	s_mov_b32 s12, -1
                                        ; implicit-def: $vgpr4
	s_branch .LBB206_1281
.LBB206_1277:
	s_mov_b32 s12, -1
                                        ; implicit-def: $vgpr4
.LBB206_1278:
	s_delay_alu instid0(SALU_CYCLE_1)
	s_and_not1_b32 vcc_lo, exec_lo, s12
	s_cbranch_vccnz .LBB206_1280
; %bb.1279:
	global_load_b32 v1, v[2:3], off
	s_wait_loadcnt 0x0
	v_cvt_i32_f32_e32 v4, v1
.LBB206_1280:
	s_mov_b32 s12, 0
.LBB206_1281:
	s_delay_alu instid0(SALU_CYCLE_1)
	s_and_not1_b32 vcc_lo, exec_lo, s12
	s_cbranch_vccnz .LBB206_1283
; %bb.1282:
	global_load_b32 v1, v[2:3], off
	s_wait_loadcnt 0x0
	v_cvt_i16_f16_e32 v4, v1
.LBB206_1283:
	s_mov_b32 s12, 0
.LBB206_1284:
	s_delay_alu instid0(SALU_CYCLE_1)
	s_and_not1_b32 vcc_lo, exec_lo, s12
	s_cbranch_vccnz .LBB206_1295
; %bb.1285:
	s_cmp_lt_i32 s0, 6
	s_cbranch_scc1 .LBB206_1288
; %bb.1286:
	s_cmp_gt_i32 s0, 6
	s_cbranch_scc0 .LBB206_1289
; %bb.1287:
	s_wait_loadcnt 0x0
	global_load_b64 v[4:5], v[2:3], off
	s_mov_b32 s12, 0
	s_wait_loadcnt 0x0
	v_cvt_i32_f64_e32 v4, v[4:5]
	s_branch .LBB206_1290
.LBB206_1288:
	s_mov_b32 s12, -1
                                        ; implicit-def: $vgpr4
	s_branch .LBB206_1293
.LBB206_1289:
	s_mov_b32 s12, -1
                                        ; implicit-def: $vgpr4
.LBB206_1290:
	s_delay_alu instid0(SALU_CYCLE_1)
	s_and_not1_b32 vcc_lo, exec_lo, s12
	s_cbranch_vccnz .LBB206_1292
; %bb.1291:
	global_load_b32 v1, v[2:3], off
	s_wait_loadcnt 0x0
	v_cvt_i32_f32_e32 v4, v1
.LBB206_1292:
	s_mov_b32 s12, 0
.LBB206_1293:
	s_delay_alu instid0(SALU_CYCLE_1)
	s_and_not1_b32 vcc_lo, exec_lo, s12
	s_cbranch_vccnz .LBB206_1295
; %bb.1294:
	global_load_u16 v1, v[2:3], off
	s_wait_loadcnt 0x0
	v_cvt_i16_f16_e32 v4, v1
.LBB206_1295:
	s_cbranch_execnz .LBB206_1315
.LBB206_1296:
	s_cmp_lt_i32 s0, 2
	s_cbranch_scc1 .LBB206_1300
; %bb.1297:
	s_cmp_lt_i32 s0, 3
	s_cbranch_scc1 .LBB206_1301
; %bb.1298:
	s_cmp_gt_i32 s0, 3
	s_cbranch_scc0 .LBB206_1302
; %bb.1299:
	s_wait_loadcnt 0x0
	global_load_b64 v[4:5], v[2:3], off
	s_mov_b32 s12, 0
	s_branch .LBB206_1303
.LBB206_1300:
	s_mov_b32 s12, -1
                                        ; implicit-def: $vgpr4
	s_branch .LBB206_1309
.LBB206_1301:
	s_mov_b32 s12, -1
                                        ; implicit-def: $vgpr4
	s_branch .LBB206_1306
.LBB206_1302:
	s_mov_b32 s12, -1
                                        ; implicit-def: $vgpr4
.LBB206_1303:
	s_delay_alu instid0(SALU_CYCLE_1)
	s_and_not1_b32 vcc_lo, exec_lo, s12
	s_cbranch_vccnz .LBB206_1305
; %bb.1304:
	s_wait_loadcnt 0x0
	global_load_b32 v4, v[2:3], off
.LBB206_1305:
	s_mov_b32 s12, 0
.LBB206_1306:
	s_delay_alu instid0(SALU_CYCLE_1)
	s_and_not1_b32 vcc_lo, exec_lo, s12
	s_cbranch_vccnz .LBB206_1308
; %bb.1307:
	s_wait_loadcnt 0x0
	global_load_u16 v4, v[2:3], off
.LBB206_1308:
	s_mov_b32 s12, 0
.LBB206_1309:
	s_delay_alu instid0(SALU_CYCLE_1)
	s_and_not1_b32 vcc_lo, exec_lo, s12
	s_cbranch_vccnz .LBB206_1315
; %bb.1310:
	s_cmp_gt_i32 s0, 0
	s_mov_b32 s12, 0
	s_cbranch_scc0 .LBB206_1312
; %bb.1311:
	s_wait_loadcnt 0x0
	global_load_i8 v4, v[2:3], off
	s_branch .LBB206_1313
.LBB206_1312:
	s_mov_b32 s12, -1
                                        ; implicit-def: $vgpr4
.LBB206_1313:
	s_delay_alu instid0(SALU_CYCLE_1)
	s_and_not1_b32 vcc_lo, exec_lo, s12
	s_cbranch_vccnz .LBB206_1315
; %bb.1314:
	s_wait_loadcnt 0x0
	global_load_u8 v4, v[2:3], off
.LBB206_1315:
.LBB206_1316:
	s_cmp_lt_i32 s10, 1
	s_mov_b32 s12, 0
	s_cbranch_scc1 .LBB206_1319
; %bb.1317:
	s_cmp_eq_u32 s10, 1
	s_cbranch_scc0 .LBB206_1320
; %bb.1318:
	s_wait_loadcnt 0x0
	s_delay_alu instid0(VALU_DEP_1)
	v_min_i16 v9, v4, s11
	s_mov_b32 s15, 0
	s_branch .LBB206_1321
.LBB206_1319:
	s_mov_b32 s15, 0
                                        ; implicit-def: $vgpr9
	s_cbranch_execnz .LBB206_1322
	s_branch .LBB206_1323
.LBB206_1320:
	s_mov_b32 s15, -1
                                        ; implicit-def: $vgpr9
.LBB206_1321:
	s_branch .LBB206_1323
.LBB206_1322:
	s_cmp_lg_u32 s10, 0
	s_mov_b32 s12, -1
	s_cselect_b32 s15, -1, 0
.LBB206_1323:
	s_wait_loadcnt 0x0
	s_delay_alu instid0(VALU_DEP_1)
	v_max_i16 v1, v4, s11
	s_and_not1_b32 vcc_lo, exec_lo, s15
	s_cbranch_vccnz .LBB206_1325
; %bb.1324:
	s_wait_xcnt 0x0
	v_max_i16 v2, v4, s11
	s_delay_alu instid0(VALU_DEP_1)
	v_min_i16 v9, v2, s1
	s_cbranch_execz .LBB206_1326
	s_branch .LBB206_1327
.LBB206_1325:
	s_and_not1_b32 vcc_lo, exec_lo, s12
	s_cbranch_vccnz .LBB206_1327
.LBB206_1326:
	v_mov_b32_e32 v9, v1
.LBB206_1327:
	v_add_nc_u32_e32 v0, s9, v0
	s_cmp_lt_i32 s0, 11
	s_delay_alu instid0(VALU_DEP_1) | instskip(SKIP_1) | instid1(VALU_DEP_1)
	v_ashrrev_i32_e32 v1, 31, v0
	s_wait_xcnt 0x0
	v_add_nc_u64_e32 v[2:3], s[6:7], v[0:1]
	s_cbranch_scc1 .LBB206_1334
; %bb.1328:
	s_cmp_gt_i32 s0, 25
	s_mov_b32 s15, 0
	s_cbranch_scc0 .LBB206_1336
; %bb.1329:
	s_cmp_gt_i32 s0, 28
	s_cbranch_scc0 .LBB206_1337
; %bb.1330:
	s_cmp_gt_i32 s0, 43
	;; [unrolled: 3-line block ×3, first 2 shown]
	s_cbranch_scc0 .LBB206_1340
; %bb.1332:
	s_cmp_eq_u32 s0, 46
	s_mov_b32 s17, 0
	s_cbranch_scc0 .LBB206_1341
; %bb.1333:
	global_load_b32 v1, v[2:3], off
	s_mov_b32 s12, 0
	s_mov_b32 s16, -1
	s_wait_loadcnt 0x0
	v_lshlrev_b32_e32 v1, 16, v1
	s_delay_alu instid0(VALU_DEP_1)
	v_cvt_i32_f32_e32 v4, v1
	s_branch .LBB206_1343
.LBB206_1334:
	s_mov_b32 s16, 0
                                        ; implicit-def: $vgpr4
	s_cbranch_execnz .LBB206_1405
.LBB206_1335:
	s_and_not1_b32 vcc_lo, exec_lo, s16
	s_cbranch_vccnz .LBB206_1594
	s_branch .LBB206_1453
.LBB206_1336:
	s_mov_b32 s17, -1
	s_mov_b32 s16, 0
	s_mov_b32 s12, 0
                                        ; implicit-def: $vgpr4
	s_branch .LBB206_1370
.LBB206_1337:
	s_mov_b32 s17, -1
	s_mov_b32 s16, 0
	s_mov_b32 s12, 0
                                        ; implicit-def: $vgpr4
	s_branch .LBB206_1353
.LBB206_1338:
	s_mov_b32 s17, -1
	s_mov_b32 s16, 0
	s_mov_b32 s12, 0
                                        ; implicit-def: $vgpr4
	s_branch .LBB206_1348
.LBB206_1339:
	s_or_b32 s3, s3, exec_lo
	s_trap 2
	s_cbranch_execz .LBB206_1267
	s_branch .LBB206_1268
.LBB206_1340:
	s_mov_b32 s17, -1
	s_mov_b32 s16, 0
	s_mov_b32 s12, 0
	s_branch .LBB206_1342
.LBB206_1341:
	s_mov_b32 s12, -1
	s_mov_b32 s16, 0
.LBB206_1342:
                                        ; implicit-def: $vgpr4
.LBB206_1343:
	s_and_b32 vcc_lo, exec_lo, s17
	s_cbranch_vccz .LBB206_1347
; %bb.1344:
	s_cmp_eq_u32 s0, 44
	s_cbranch_scc0 .LBB206_1346
; %bb.1345:
	global_load_u8 v1, v[2:3], off
	s_mov_b32 s12, 0
	s_mov_b32 s16, -1
	s_wait_loadcnt 0x0
	v_lshlrev_b32_e32 v4, 23, v1
	v_cmp_ne_u32_e32 vcc_lo, 0, v1
	s_delay_alu instid0(VALU_DEP_2) | instskip(NEXT) | instid1(VALU_DEP_1)
	v_cvt_i32_f32_e32 v4, v4
	v_cndmask_b32_e32 v4, 0, v4, vcc_lo
	s_branch .LBB206_1347
.LBB206_1346:
	s_mov_b32 s12, -1
                                        ; implicit-def: $vgpr4
.LBB206_1347:
	s_mov_b32 s17, 0
.LBB206_1348:
	s_delay_alu instid0(SALU_CYCLE_1)
	s_and_b32 vcc_lo, exec_lo, s17
	s_cbranch_vccz .LBB206_1352
; %bb.1349:
	s_cmp_eq_u32 s0, 29
	s_cbranch_scc0 .LBB206_1351
; %bb.1350:
	global_load_b64 v[4:5], v[2:3], off
	s_mov_b32 s12, 0
	s_mov_b32 s16, -1
	s_branch .LBB206_1352
.LBB206_1351:
	s_mov_b32 s12, -1
                                        ; implicit-def: $vgpr4
.LBB206_1352:
	s_mov_b32 s17, 0
.LBB206_1353:
	s_delay_alu instid0(SALU_CYCLE_1)
	s_and_b32 vcc_lo, exec_lo, s17
	s_cbranch_vccz .LBB206_1369
; %bb.1354:
	s_cmp_lt_i32 s0, 27
	s_cbranch_scc1 .LBB206_1357
; %bb.1355:
	s_cmp_gt_i32 s0, 27
	s_cbranch_scc0 .LBB206_1358
; %bb.1356:
	s_wait_loadcnt 0x0
	global_load_b32 v4, v[2:3], off
	s_mov_b32 s16, 0
	s_branch .LBB206_1359
.LBB206_1357:
	s_mov_b32 s16, -1
                                        ; implicit-def: $vgpr4
	s_branch .LBB206_1362
.LBB206_1358:
	s_mov_b32 s16, -1
                                        ; implicit-def: $vgpr4
.LBB206_1359:
	s_delay_alu instid0(SALU_CYCLE_1)
	s_and_not1_b32 vcc_lo, exec_lo, s16
	s_cbranch_vccnz .LBB206_1361
; %bb.1360:
	s_wait_loadcnt 0x0
	global_load_u16 v4, v[2:3], off
.LBB206_1361:
	s_mov_b32 s16, 0
.LBB206_1362:
	s_delay_alu instid0(SALU_CYCLE_1)
	s_and_not1_b32 vcc_lo, exec_lo, s16
	s_cbranch_vccnz .LBB206_1368
; %bb.1363:
	global_load_u8 v1, v[2:3], off
	s_mov_b32 s17, 0
	s_mov_b32 s16, exec_lo
	s_wait_loadcnt 0x0
	v_cmpx_lt_i16_e32 0x7f, v1
	s_xor_b32 s16, exec_lo, s16
	s_cbranch_execz .LBB206_1380
; %bb.1364:
	v_cmp_ne_u16_e32 vcc_lo, 0x80, v1
	s_and_b32 s17, vcc_lo, exec_lo
	s_and_not1_saveexec_b32 s16, s16
	s_cbranch_execnz .LBB206_1381
.LBB206_1365:
	s_or_b32 exec_lo, exec_lo, s16
	v_mov_b32_e32 v4, 0
	s_and_saveexec_b32 s16, s17
	s_cbranch_execz .LBB206_1367
.LBB206_1366:
	v_and_b32_e32 v4, 0xffff, v1
	s_delay_alu instid0(VALU_DEP_1) | instskip(SKIP_1) | instid1(VALU_DEP_2)
	v_dual_lshlrev_b32 v1, 24, v1 :: v_dual_bitop2_b32 v5, 7, v4 bitop3:0x40
	v_bfe_u32 v11, v4, 3, 4
	v_and_b32_e32 v1, 0x80000000, v1
	s_delay_alu instid0(VALU_DEP_3) | instskip(NEXT) | instid1(VALU_DEP_3)
	v_clz_i32_u32_e32 v8, v5
	v_cmp_eq_u32_e32 vcc_lo, 0, v11
	s_delay_alu instid0(VALU_DEP_2) | instskip(NEXT) | instid1(VALU_DEP_1)
	v_min_u32_e32 v8, 32, v8
	v_subrev_nc_u32_e32 v10, 28, v8
	v_sub_nc_u32_e32 v8, 29, v8
	s_delay_alu instid0(VALU_DEP_2) | instskip(NEXT) | instid1(VALU_DEP_2)
	v_lshlrev_b32_e32 v4, v10, v4
	v_cndmask_b32_e32 v8, v11, v8, vcc_lo
	s_delay_alu instid0(VALU_DEP_2) | instskip(NEXT) | instid1(VALU_DEP_1)
	v_and_b32_e32 v4, 7, v4
	v_cndmask_b32_e32 v4, v5, v4, vcc_lo
	s_delay_alu instid0(VALU_DEP_3) | instskip(NEXT) | instid1(VALU_DEP_2)
	v_lshl_add_u32 v5, v8, 23, 0x3b800000
	v_lshlrev_b32_e32 v4, 20, v4
	s_delay_alu instid0(VALU_DEP_1) | instskip(NEXT) | instid1(VALU_DEP_1)
	v_or3_b32 v1, v1, v5, v4
	v_cvt_i32_f32_e32 v4, v1
.LBB206_1367:
	s_or_b32 exec_lo, exec_lo, s16
.LBB206_1368:
	s_mov_b32 s16, -1
.LBB206_1369:
	s_mov_b32 s17, 0
.LBB206_1370:
	s_delay_alu instid0(SALU_CYCLE_1)
	s_and_b32 vcc_lo, exec_lo, s17
	s_cbranch_vccz .LBB206_1401
; %bb.1371:
	s_cmp_gt_i32 s0, 22
	s_cbranch_scc0 .LBB206_1379
; %bb.1372:
	s_cmp_lt_i32 s0, 24
	s_cbranch_scc1 .LBB206_1382
; %bb.1373:
	s_cmp_gt_i32 s0, 24
	s_cbranch_scc0 .LBB206_1383
; %bb.1374:
	global_load_u8 v1, v[2:3], off
	s_mov_b32 s16, 0
	s_mov_b32 s15, exec_lo
	s_wait_loadcnt 0x0
	v_cmpx_lt_i16_e32 0x7f, v1
	s_xor_b32 s15, exec_lo, s15
	s_cbranch_execz .LBB206_1395
; %bb.1375:
	v_cmp_ne_u16_e32 vcc_lo, 0x80, v1
	s_and_b32 s16, vcc_lo, exec_lo
	s_and_not1_saveexec_b32 s15, s15
	s_cbranch_execnz .LBB206_1396
.LBB206_1376:
	s_or_b32 exec_lo, exec_lo, s15
	v_mov_b32_e32 v4, 0
	s_and_saveexec_b32 s15, s16
	s_cbranch_execz .LBB206_1378
.LBB206_1377:
	v_and_b32_e32 v4, 0xffff, v1
	s_delay_alu instid0(VALU_DEP_1) | instskip(SKIP_1) | instid1(VALU_DEP_2)
	v_dual_lshlrev_b32 v1, 24, v1 :: v_dual_bitop2_b32 v5, 3, v4 bitop3:0x40
	v_bfe_u32 v11, v4, 2, 5
	v_and_b32_e32 v1, 0x80000000, v1
	s_delay_alu instid0(VALU_DEP_3) | instskip(NEXT) | instid1(VALU_DEP_3)
	v_clz_i32_u32_e32 v8, v5
	v_cmp_eq_u32_e32 vcc_lo, 0, v11
	s_delay_alu instid0(VALU_DEP_2) | instskip(NEXT) | instid1(VALU_DEP_1)
	v_min_u32_e32 v8, 32, v8
	v_subrev_nc_u32_e32 v10, 29, v8
	v_sub_nc_u32_e32 v8, 30, v8
	s_delay_alu instid0(VALU_DEP_2) | instskip(NEXT) | instid1(VALU_DEP_2)
	v_lshlrev_b32_e32 v4, v10, v4
	v_cndmask_b32_e32 v8, v11, v8, vcc_lo
	s_delay_alu instid0(VALU_DEP_2) | instskip(NEXT) | instid1(VALU_DEP_1)
	v_and_b32_e32 v4, 3, v4
	v_cndmask_b32_e32 v4, v5, v4, vcc_lo
	s_delay_alu instid0(VALU_DEP_3) | instskip(NEXT) | instid1(VALU_DEP_2)
	v_lshl_add_u32 v5, v8, 23, 0x37800000
	v_lshlrev_b32_e32 v4, 21, v4
	s_delay_alu instid0(VALU_DEP_1) | instskip(NEXT) | instid1(VALU_DEP_1)
	v_or3_b32 v1, v1, v5, v4
	v_cvt_i32_f32_e32 v4, v1
.LBB206_1378:
	s_or_b32 exec_lo, exec_lo, s15
	s_mov_b32 s15, 0
	s_branch .LBB206_1384
.LBB206_1379:
	s_mov_b32 s15, -1
                                        ; implicit-def: $vgpr4
	s_branch .LBB206_1390
.LBB206_1380:
	s_and_not1_saveexec_b32 s16, s16
	s_cbranch_execz .LBB206_1365
.LBB206_1381:
	v_cmp_ne_u16_e32 vcc_lo, 0, v1
	s_and_not1_b32 s17, s17, exec_lo
	s_and_b32 s18, vcc_lo, exec_lo
	s_delay_alu instid0(SALU_CYCLE_1)
	s_or_b32 s17, s17, s18
	s_or_b32 exec_lo, exec_lo, s16
	v_mov_b32_e32 v4, 0
	s_and_saveexec_b32 s16, s17
	s_cbranch_execnz .LBB206_1366
	s_branch .LBB206_1367
.LBB206_1382:
	s_mov_b32 s15, -1
                                        ; implicit-def: $vgpr4
	s_branch .LBB206_1387
.LBB206_1383:
	s_mov_b32 s15, -1
                                        ; implicit-def: $vgpr4
.LBB206_1384:
	s_delay_alu instid0(SALU_CYCLE_1)
	s_and_b32 vcc_lo, exec_lo, s15
	s_cbranch_vccz .LBB206_1386
; %bb.1385:
	global_load_u8 v1, v[2:3], off
	s_wait_loadcnt 0x0
	v_lshlrev_b32_e32 v1, 24, v1
	s_delay_alu instid0(VALU_DEP_1) | instskip(NEXT) | instid1(VALU_DEP_1)
	v_and_b32_e32 v4, 0x7f000000, v1
	v_clz_i32_u32_e32 v5, v4
	v_add_nc_u32_e32 v10, 0x1000000, v4
	v_cmp_ne_u32_e32 vcc_lo, 0, v4
	s_delay_alu instid0(VALU_DEP_3) | instskip(NEXT) | instid1(VALU_DEP_1)
	v_min_u32_e32 v5, 32, v5
	v_sub_nc_u32_e64 v5, v5, 4 clamp
	s_delay_alu instid0(VALU_DEP_1) | instskip(NEXT) | instid1(VALU_DEP_1)
	v_dual_lshlrev_b32 v8, v5, v4 :: v_dual_lshlrev_b32 v5, 23, v5
	v_lshrrev_b32_e32 v8, 4, v8
	s_delay_alu instid0(VALU_DEP_1) | instskip(NEXT) | instid1(VALU_DEP_1)
	v_dual_sub_nc_u32 v5, v8, v5 :: v_dual_ashrrev_i32 v8, 8, v10
	v_add_nc_u32_e32 v5, 0x3c000000, v5
	s_delay_alu instid0(VALU_DEP_1) | instskip(NEXT) | instid1(VALU_DEP_1)
	v_and_or_b32 v5, 0x7f800000, v8, v5
	v_cndmask_b32_e32 v4, 0, v5, vcc_lo
	s_delay_alu instid0(VALU_DEP_1) | instskip(NEXT) | instid1(VALU_DEP_1)
	v_and_or_b32 v1, 0x80000000, v1, v4
	v_cvt_i32_f32_e32 v4, v1
.LBB206_1386:
	s_mov_b32 s15, 0
.LBB206_1387:
	s_delay_alu instid0(SALU_CYCLE_1)
	s_and_not1_b32 vcc_lo, exec_lo, s15
	s_cbranch_vccnz .LBB206_1389
; %bb.1388:
	global_load_u8 v1, v[2:3], off
	s_wait_loadcnt 0x0
	v_lshlrev_b32_e32 v4, 25, v1
	v_lshlrev_b16 v1, 8, v1
	s_delay_alu instid0(VALU_DEP_1) | instskip(SKIP_1) | instid1(VALU_DEP_2)
	v_and_or_b32 v8, 0x7f00, v1, 0.5
	v_bfe_i32 v1, v1, 0, 16
	v_add_f32_e32 v8, -0.5, v8
	v_lshrrev_b32_e32 v5, 4, v4
	v_cmp_gt_u32_e32 vcc_lo, 0x8000000, v4
	s_delay_alu instid0(VALU_DEP_2) | instskip(NEXT) | instid1(VALU_DEP_1)
	v_or_b32_e32 v5, 0x70000000, v5
	v_mul_f32_e32 v5, 0x7800000, v5
	s_delay_alu instid0(VALU_DEP_1) | instskip(NEXT) | instid1(VALU_DEP_1)
	v_cndmask_b32_e32 v4, v5, v8, vcc_lo
	v_and_or_b32 v1, 0x80000000, v1, v4
	s_delay_alu instid0(VALU_DEP_1)
	v_cvt_i32_f32_e32 v4, v1
.LBB206_1389:
	s_mov_b32 s15, 0
	s_mov_b32 s16, -1
.LBB206_1390:
	s_and_not1_b32 vcc_lo, exec_lo, s15
	s_mov_b32 s15, 0
	s_cbranch_vccnz .LBB206_1401
; %bb.1391:
	s_cmp_gt_i32 s0, 14
	s_cbranch_scc0 .LBB206_1394
; %bb.1392:
	s_cmp_eq_u32 s0, 15
	s_cbranch_scc0 .LBB206_1397
; %bb.1393:
	global_load_u16 v1, v[2:3], off
	s_mov_b32 s12, 0
	s_mov_b32 s16, -1
	s_wait_loadcnt 0x0
	v_lshlrev_b32_e32 v1, 16, v1
	s_delay_alu instid0(VALU_DEP_1)
	v_cvt_i32_f32_e32 v4, v1
	s_branch .LBB206_1399
.LBB206_1394:
	s_mov_b32 s15, -1
	s_branch .LBB206_1398
.LBB206_1395:
	s_and_not1_saveexec_b32 s15, s15
	s_cbranch_execz .LBB206_1376
.LBB206_1396:
	v_cmp_ne_u16_e32 vcc_lo, 0, v1
	s_and_not1_b32 s16, s16, exec_lo
	s_and_b32 s17, vcc_lo, exec_lo
	s_delay_alu instid0(SALU_CYCLE_1)
	s_or_b32 s16, s16, s17
	s_or_b32 exec_lo, exec_lo, s15
	v_mov_b32_e32 v4, 0
	s_and_saveexec_b32 s15, s16
	s_cbranch_execnz .LBB206_1377
	s_branch .LBB206_1378
.LBB206_1397:
	s_mov_b32 s12, -1
.LBB206_1398:
                                        ; implicit-def: $vgpr4
.LBB206_1399:
	s_and_b32 vcc_lo, exec_lo, s15
	s_mov_b32 s15, 0
	s_cbranch_vccz .LBB206_1401
; %bb.1400:
	s_cmp_lg_u32 s0, 11
	s_mov_b32 s15, -1
	s_cselect_b32 s12, -1, 0
.LBB206_1401:
	s_delay_alu instid0(SALU_CYCLE_1)
	s_and_b32 vcc_lo, exec_lo, s12
	s_cbranch_vccnz .LBB206_1475
; %bb.1402:
	s_and_not1_b32 vcc_lo, exec_lo, s15
	s_cbranch_vccnz .LBB206_1404
.LBB206_1403:
	global_load_u8 v1, v[2:3], off
	s_mov_b32 s16, -1
	s_wait_loadcnt 0x0
	v_cmp_ne_u16_e32 vcc_lo, 0, v1
	v_cndmask_b32_e64 v4, 0, 1, vcc_lo
.LBB206_1404:
	s_branch .LBB206_1335
.LBB206_1405:
	s_cmp_lt_i32 s0, 5
	s_cbranch_scc1 .LBB206_1410
; %bb.1406:
	s_cmp_lt_i32 s0, 8
	s_cbranch_scc1 .LBB206_1411
; %bb.1407:
	;; [unrolled: 3-line block ×3, first 2 shown]
	s_cmp_gt_i32 s0, 9
	s_cbranch_scc0 .LBB206_1413
; %bb.1409:
	s_wait_loadcnt 0x0
	global_load_b64 v[4:5], v[2:3], off
	s_mov_b32 s12, 0
	s_wait_loadcnt 0x0
	v_cvt_i32_f64_e32 v4, v[4:5]
	s_branch .LBB206_1414
.LBB206_1410:
	s_mov_b32 s12, -1
                                        ; implicit-def: $vgpr4
	s_branch .LBB206_1432
.LBB206_1411:
	s_mov_b32 s12, -1
                                        ; implicit-def: $vgpr4
	s_branch .LBB206_1420
.LBB206_1412:
	s_mov_b32 s12, -1
                                        ; implicit-def: $vgpr4
	s_branch .LBB206_1417
.LBB206_1413:
	s_mov_b32 s12, -1
                                        ; implicit-def: $vgpr4
.LBB206_1414:
	s_delay_alu instid0(SALU_CYCLE_1)
	s_and_not1_b32 vcc_lo, exec_lo, s12
	s_cbranch_vccnz .LBB206_1416
; %bb.1415:
	global_load_b32 v1, v[2:3], off
	s_wait_loadcnt 0x0
	v_cvt_i32_f32_e32 v4, v1
.LBB206_1416:
	s_mov_b32 s12, 0
.LBB206_1417:
	s_delay_alu instid0(SALU_CYCLE_1)
	s_and_not1_b32 vcc_lo, exec_lo, s12
	s_cbranch_vccnz .LBB206_1419
; %bb.1418:
	global_load_b32 v1, v[2:3], off
	s_wait_loadcnt 0x0
	v_cvt_i16_f16_e32 v4, v1
.LBB206_1419:
	s_mov_b32 s12, 0
.LBB206_1420:
	s_delay_alu instid0(SALU_CYCLE_1)
	s_and_not1_b32 vcc_lo, exec_lo, s12
	s_cbranch_vccnz .LBB206_1431
; %bb.1421:
	s_cmp_lt_i32 s0, 6
	s_cbranch_scc1 .LBB206_1424
; %bb.1422:
	s_cmp_gt_i32 s0, 6
	s_cbranch_scc0 .LBB206_1425
; %bb.1423:
	s_wait_loadcnt 0x0
	global_load_b64 v[4:5], v[2:3], off
	s_mov_b32 s12, 0
	s_wait_loadcnt 0x0
	v_cvt_i32_f64_e32 v4, v[4:5]
	s_branch .LBB206_1426
.LBB206_1424:
	s_mov_b32 s12, -1
                                        ; implicit-def: $vgpr4
	s_branch .LBB206_1429
.LBB206_1425:
	s_mov_b32 s12, -1
                                        ; implicit-def: $vgpr4
.LBB206_1426:
	s_delay_alu instid0(SALU_CYCLE_1)
	s_and_not1_b32 vcc_lo, exec_lo, s12
	s_cbranch_vccnz .LBB206_1428
; %bb.1427:
	global_load_b32 v1, v[2:3], off
	s_wait_loadcnt 0x0
	v_cvt_i32_f32_e32 v4, v1
.LBB206_1428:
	s_mov_b32 s12, 0
.LBB206_1429:
	s_delay_alu instid0(SALU_CYCLE_1)
	s_and_not1_b32 vcc_lo, exec_lo, s12
	s_cbranch_vccnz .LBB206_1431
; %bb.1430:
	global_load_u16 v1, v[2:3], off
	s_wait_loadcnt 0x0
	v_cvt_i16_f16_e32 v4, v1
.LBB206_1431:
	s_mov_b32 s12, 0
.LBB206_1432:
	s_delay_alu instid0(SALU_CYCLE_1)
	s_and_not1_b32 vcc_lo, exec_lo, s12
	s_cbranch_vccnz .LBB206_1452
; %bb.1433:
	s_cmp_lt_i32 s0, 2
	s_cbranch_scc1 .LBB206_1437
; %bb.1434:
	s_cmp_lt_i32 s0, 3
	s_cbranch_scc1 .LBB206_1438
; %bb.1435:
	s_cmp_gt_i32 s0, 3
	s_cbranch_scc0 .LBB206_1439
; %bb.1436:
	s_wait_loadcnt 0x0
	global_load_b64 v[4:5], v[2:3], off
	s_mov_b32 s12, 0
	s_branch .LBB206_1440
.LBB206_1437:
	s_mov_b32 s12, -1
                                        ; implicit-def: $vgpr4
	s_branch .LBB206_1446
.LBB206_1438:
	s_mov_b32 s12, -1
                                        ; implicit-def: $vgpr4
	s_branch .LBB206_1443
.LBB206_1439:
	s_mov_b32 s12, -1
                                        ; implicit-def: $vgpr4
.LBB206_1440:
	s_delay_alu instid0(SALU_CYCLE_1)
	s_and_not1_b32 vcc_lo, exec_lo, s12
	s_cbranch_vccnz .LBB206_1442
; %bb.1441:
	s_wait_loadcnt 0x0
	global_load_b32 v4, v[2:3], off
.LBB206_1442:
	s_mov_b32 s12, 0
.LBB206_1443:
	s_delay_alu instid0(SALU_CYCLE_1)
	s_and_not1_b32 vcc_lo, exec_lo, s12
	s_cbranch_vccnz .LBB206_1445
; %bb.1444:
	s_wait_loadcnt 0x0
	global_load_u16 v4, v[2:3], off
.LBB206_1445:
	s_mov_b32 s12, 0
.LBB206_1446:
	s_delay_alu instid0(SALU_CYCLE_1)
	s_and_not1_b32 vcc_lo, exec_lo, s12
	s_cbranch_vccnz .LBB206_1452
; %bb.1447:
	s_cmp_gt_i32 s0, 0
	s_mov_b32 s12, 0
	s_cbranch_scc0 .LBB206_1449
; %bb.1448:
	s_wait_loadcnt 0x0
	global_load_i8 v4, v[2:3], off
	s_branch .LBB206_1450
.LBB206_1449:
	s_mov_b32 s12, -1
                                        ; implicit-def: $vgpr4
.LBB206_1450:
	s_delay_alu instid0(SALU_CYCLE_1)
	s_and_not1_b32 vcc_lo, exec_lo, s12
	s_cbranch_vccnz .LBB206_1452
; %bb.1451:
	s_wait_loadcnt 0x0
	global_load_u8 v4, v[2:3], off
.LBB206_1452:
.LBB206_1453:
	s_cmp_lt_i32 s10, 1
	s_mov_b32 s12, 0
	s_cbranch_scc1 .LBB206_1456
; %bb.1454:
	s_cmp_eq_u32 s10, 1
	s_cbranch_scc0 .LBB206_1459
; %bb.1455:
	s_wait_loadcnt 0x0
	s_delay_alu instid0(VALU_DEP_1)
	v_min_i16 v10, v4, s11
	s_mov_b32 s15, 0
	s_branch .LBB206_1460
.LBB206_1456:
	s_mov_b32 s15, 0
                                        ; implicit-def: $vgpr10
	s_cbranch_execnz .LBB206_1461
.LBB206_1457:
	s_wait_loadcnt 0x0
	s_delay_alu instid0(VALU_DEP_1)
	v_max_i16 v1, v4, s11
	s_and_not1_b32 vcc_lo, exec_lo, s15
	s_cbranch_vccnz .LBB206_1462
.LBB206_1458:
	s_wait_xcnt 0x0
	v_max_i16 v2, v4, s11
	s_delay_alu instid0(VALU_DEP_1)
	v_min_i16 v10, v2, s1
	s_cbranch_execz .LBB206_1463
	s_branch .LBB206_1464
.LBB206_1459:
	s_mov_b32 s15, -1
                                        ; implicit-def: $vgpr10
.LBB206_1460:
	s_branch .LBB206_1457
.LBB206_1461:
	s_cmp_lg_u32 s10, 0
	s_mov_b32 s12, -1
	s_cselect_b32 s15, -1, 0
	s_wait_loadcnt 0x0
	s_delay_alu instid0(VALU_DEP_1)
	v_max_i16 v1, v4, s11
	s_and_not1_b32 vcc_lo, exec_lo, s15
	s_cbranch_vccz .LBB206_1458
.LBB206_1462:
	s_and_not1_b32 vcc_lo, exec_lo, s12
	s_cbranch_vccnz .LBB206_1464
.LBB206_1463:
	v_mov_b32_e32 v10, v1
.LBB206_1464:
	v_add_nc_u32_e32 v0, s9, v0
	s_cmp_lt_i32 s0, 11
	s_delay_alu instid0(VALU_DEP_1) | instskip(NEXT) | instid1(VALU_DEP_1)
	v_ashrrev_i32_e32 v1, 31, v0
	v_add_nc_u64_e32 v[0:1], s[6:7], v[0:1]
	s_cbranch_scc1 .LBB206_1471
; %bb.1465:
	s_cmp_gt_i32 s0, 25
	s_mov_b32 s7, 0
	s_cbranch_scc0 .LBB206_1472
; %bb.1466:
	s_cmp_gt_i32 s0, 28
	s_cbranch_scc0 .LBB206_1473
; %bb.1467:
	s_cmp_gt_i32 s0, 43
	;; [unrolled: 3-line block ×3, first 2 shown]
	s_cbranch_scc0 .LBB206_1476
; %bb.1469:
	s_cmp_eq_u32 s0, 46
	s_mov_b32 s12, 0
	s_cbranch_scc0 .LBB206_1477
; %bb.1470:
	global_load_b32 v2, v[0:1], off
	s_mov_b32 s6, 0
	s_mov_b32 s9, -1
	s_wait_loadcnt 0x0
	v_lshlrev_b32_e32 v2, 16, v2
	s_delay_alu instid0(VALU_DEP_1)
	v_cvt_i32_f32_e32 v2, v2
	s_branch .LBB206_1479
.LBB206_1471:
	s_mov_b32 s6, -1
	s_mov_b32 s9, 0
                                        ; implicit-def: $vgpr2
	s_branch .LBB206_1541
.LBB206_1472:
	s_mov_b32 s12, -1
	s_mov_b32 s9, 0
	s_mov_b32 s6, 0
                                        ; implicit-def: $vgpr2
	s_branch .LBB206_1506
.LBB206_1473:
	s_mov_b32 s12, -1
	s_mov_b32 s9, 0
	s_mov_b32 s6, 0
                                        ; implicit-def: $vgpr2
	s_branch .LBB206_1489
.LBB206_1474:
	s_mov_b32 s12, -1
	s_mov_b32 s9, 0
	s_mov_b32 s6, 0
                                        ; implicit-def: $vgpr2
	s_branch .LBB206_1484
.LBB206_1475:
	s_or_b32 s3, s3, exec_lo
	s_trap 2
	s_cbranch_execz .LBB206_1403
	s_branch .LBB206_1404
.LBB206_1476:
	s_mov_b32 s12, -1
	s_mov_b32 s9, 0
	s_mov_b32 s6, 0
	s_branch .LBB206_1478
.LBB206_1477:
	s_mov_b32 s6, -1
	s_mov_b32 s9, 0
.LBB206_1478:
                                        ; implicit-def: $vgpr2
.LBB206_1479:
	s_and_b32 vcc_lo, exec_lo, s12
	s_cbranch_vccz .LBB206_1483
; %bb.1480:
	s_cmp_eq_u32 s0, 44
	s_cbranch_scc0 .LBB206_1482
; %bb.1481:
	global_load_u8 v2, v[0:1], off
	s_mov_b32 s6, 0
	s_mov_b32 s9, -1
	s_wait_loadcnt 0x0
	v_lshlrev_b32_e32 v3, 23, v2
	v_cmp_ne_u32_e32 vcc_lo, 0, v2
	s_delay_alu instid0(VALU_DEP_2) | instskip(NEXT) | instid1(VALU_DEP_1)
	v_cvt_i32_f32_e32 v3, v3
	v_cndmask_b32_e32 v2, 0, v3, vcc_lo
	s_branch .LBB206_1483
.LBB206_1482:
	s_mov_b32 s6, -1
                                        ; implicit-def: $vgpr2
.LBB206_1483:
	s_mov_b32 s12, 0
.LBB206_1484:
	s_delay_alu instid0(SALU_CYCLE_1)
	s_and_b32 vcc_lo, exec_lo, s12
	s_cbranch_vccz .LBB206_1488
; %bb.1485:
	s_cmp_eq_u32 s0, 29
	s_cbranch_scc0 .LBB206_1487
; %bb.1486:
	global_load_b64 v[2:3], v[0:1], off
	s_mov_b32 s6, 0
	s_mov_b32 s9, -1
	s_branch .LBB206_1488
.LBB206_1487:
	s_mov_b32 s6, -1
                                        ; implicit-def: $vgpr2
.LBB206_1488:
	s_mov_b32 s12, 0
.LBB206_1489:
	s_delay_alu instid0(SALU_CYCLE_1)
	s_and_b32 vcc_lo, exec_lo, s12
	s_cbranch_vccz .LBB206_1505
; %bb.1490:
	s_cmp_lt_i32 s0, 27
	s_cbranch_scc1 .LBB206_1493
; %bb.1491:
	s_cmp_gt_i32 s0, 27
	s_cbranch_scc0 .LBB206_1494
; %bb.1492:
	s_wait_loadcnt 0x0
	global_load_b32 v2, v[0:1], off
	s_mov_b32 s9, 0
	s_branch .LBB206_1495
.LBB206_1493:
	s_mov_b32 s9, -1
                                        ; implicit-def: $vgpr2
	s_branch .LBB206_1498
.LBB206_1494:
	s_mov_b32 s9, -1
                                        ; implicit-def: $vgpr2
.LBB206_1495:
	s_delay_alu instid0(SALU_CYCLE_1)
	s_and_not1_b32 vcc_lo, exec_lo, s9
	s_cbranch_vccnz .LBB206_1497
; %bb.1496:
	s_wait_loadcnt 0x0
	global_load_u16 v2, v[0:1], off
.LBB206_1497:
	s_mov_b32 s9, 0
.LBB206_1498:
	s_delay_alu instid0(SALU_CYCLE_1)
	s_and_not1_b32 vcc_lo, exec_lo, s9
	s_cbranch_vccnz .LBB206_1504
; %bb.1499:
	s_wait_loadcnt 0x0
	global_load_u8 v3, v[0:1], off
	s_mov_b32 s12, 0
	s_mov_b32 s9, exec_lo
	s_wait_loadcnt 0x0
	v_cmpx_lt_i16_e32 0x7f, v3
	s_xor_b32 s9, exec_lo, s9
	s_cbranch_execz .LBB206_1516
; %bb.1500:
	v_cmp_ne_u16_e32 vcc_lo, 0x80, v3
	s_and_b32 s12, vcc_lo, exec_lo
	s_and_not1_saveexec_b32 s9, s9
	s_cbranch_execnz .LBB206_1517
.LBB206_1501:
	s_or_b32 exec_lo, exec_lo, s9
	v_mov_b32_e32 v2, 0
	s_and_saveexec_b32 s9, s12
	s_cbranch_execz .LBB206_1503
.LBB206_1502:
	v_and_b32_e32 v2, 0xffff, v3
	s_delay_alu instid0(VALU_DEP_1) | instskip(SKIP_1) | instid1(VALU_DEP_2)
	v_and_b32_e32 v4, 7, v2
	v_bfe_u32 v11, v2, 3, 4
	v_clz_i32_u32_e32 v5, v4
	s_delay_alu instid0(VALU_DEP_2) | instskip(NEXT) | instid1(VALU_DEP_2)
	v_cmp_eq_u32_e32 vcc_lo, 0, v11
	v_min_u32_e32 v5, 32, v5
	s_delay_alu instid0(VALU_DEP_1) | instskip(NEXT) | instid1(VALU_DEP_1)
	v_subrev_nc_u32_e32 v8, 28, v5
	v_dual_lshlrev_b32 v2, v8, v2 :: v_dual_sub_nc_u32 v5, 29, v5
	s_delay_alu instid0(VALU_DEP_1) | instskip(NEXT) | instid1(VALU_DEP_1)
	v_dual_lshlrev_b32 v3, 24, v3 :: v_dual_bitop2_b32 v2, 7, v2 bitop3:0x40
	v_dual_cndmask_b32 v5, v11, v5 :: v_dual_cndmask_b32 v2, v4, v2
	s_delay_alu instid0(VALU_DEP_2) | instskip(NEXT) | instid1(VALU_DEP_2)
	v_and_b32_e32 v3, 0x80000000, v3
	v_lshl_add_u32 v4, v5, 23, 0x3b800000
	s_delay_alu instid0(VALU_DEP_3) | instskip(NEXT) | instid1(VALU_DEP_1)
	v_lshlrev_b32_e32 v2, 20, v2
	v_or3_b32 v2, v3, v4, v2
	s_delay_alu instid0(VALU_DEP_1)
	v_cvt_i32_f32_e32 v2, v2
.LBB206_1503:
	s_or_b32 exec_lo, exec_lo, s9
.LBB206_1504:
	s_mov_b32 s9, -1
.LBB206_1505:
	s_mov_b32 s12, 0
.LBB206_1506:
	s_delay_alu instid0(SALU_CYCLE_1)
	s_and_b32 vcc_lo, exec_lo, s12
	s_cbranch_vccz .LBB206_1537
; %bb.1507:
	s_cmp_gt_i32 s0, 22
	s_cbranch_scc0 .LBB206_1515
; %bb.1508:
	s_cmp_lt_i32 s0, 24
	s_cbranch_scc1 .LBB206_1518
; %bb.1509:
	s_cmp_gt_i32 s0, 24
	s_cbranch_scc0 .LBB206_1519
; %bb.1510:
	s_wait_loadcnt 0x0
	global_load_u8 v3, v[0:1], off
	s_mov_b32 s9, 0
	s_mov_b32 s7, exec_lo
	s_wait_loadcnt 0x0
	v_cmpx_lt_i16_e32 0x7f, v3
	s_xor_b32 s7, exec_lo, s7
	s_cbranch_execz .LBB206_1531
; %bb.1511:
	v_cmp_ne_u16_e32 vcc_lo, 0x80, v3
	s_and_b32 s9, vcc_lo, exec_lo
	s_and_not1_saveexec_b32 s7, s7
	s_cbranch_execnz .LBB206_1532
.LBB206_1512:
	s_or_b32 exec_lo, exec_lo, s7
	v_mov_b32_e32 v2, 0
	s_and_saveexec_b32 s7, s9
	s_cbranch_execz .LBB206_1514
.LBB206_1513:
	v_and_b32_e32 v2, 0xffff, v3
	s_delay_alu instid0(VALU_DEP_1) | instskip(SKIP_1) | instid1(VALU_DEP_2)
	v_and_b32_e32 v4, 3, v2
	v_bfe_u32 v11, v2, 2, 5
	v_clz_i32_u32_e32 v5, v4
	s_delay_alu instid0(VALU_DEP_2) | instskip(NEXT) | instid1(VALU_DEP_2)
	v_cmp_eq_u32_e32 vcc_lo, 0, v11
	v_min_u32_e32 v5, 32, v5
	s_delay_alu instid0(VALU_DEP_1) | instskip(NEXT) | instid1(VALU_DEP_1)
	v_subrev_nc_u32_e32 v8, 29, v5
	v_dual_lshlrev_b32 v2, v8, v2 :: v_dual_sub_nc_u32 v5, 30, v5
	s_delay_alu instid0(VALU_DEP_1) | instskip(NEXT) | instid1(VALU_DEP_1)
	v_dual_lshlrev_b32 v3, 24, v3 :: v_dual_bitop2_b32 v2, 3, v2 bitop3:0x40
	v_dual_cndmask_b32 v5, v11, v5 :: v_dual_cndmask_b32 v2, v4, v2
	s_delay_alu instid0(VALU_DEP_2) | instskip(NEXT) | instid1(VALU_DEP_2)
	v_and_b32_e32 v3, 0x80000000, v3
	v_lshl_add_u32 v4, v5, 23, 0x37800000
	s_delay_alu instid0(VALU_DEP_3) | instskip(NEXT) | instid1(VALU_DEP_1)
	v_lshlrev_b32_e32 v2, 21, v2
	v_or3_b32 v2, v3, v4, v2
	s_delay_alu instid0(VALU_DEP_1)
	v_cvt_i32_f32_e32 v2, v2
.LBB206_1514:
	s_or_b32 exec_lo, exec_lo, s7
	s_mov_b32 s7, 0
	s_branch .LBB206_1520
.LBB206_1515:
	s_mov_b32 s7, -1
                                        ; implicit-def: $vgpr2
	s_branch .LBB206_1526
.LBB206_1516:
	s_and_not1_saveexec_b32 s9, s9
	s_cbranch_execz .LBB206_1501
.LBB206_1517:
	v_cmp_ne_u16_e32 vcc_lo, 0, v3
	s_and_not1_b32 s12, s12, exec_lo
	s_and_b32 s15, vcc_lo, exec_lo
	s_delay_alu instid0(SALU_CYCLE_1)
	s_or_b32 s12, s12, s15
	s_or_b32 exec_lo, exec_lo, s9
	v_mov_b32_e32 v2, 0
	s_and_saveexec_b32 s9, s12
	s_cbranch_execnz .LBB206_1502
	s_branch .LBB206_1503
.LBB206_1518:
	s_mov_b32 s7, -1
                                        ; implicit-def: $vgpr2
	s_branch .LBB206_1523
.LBB206_1519:
	s_mov_b32 s7, -1
                                        ; implicit-def: $vgpr2
.LBB206_1520:
	s_delay_alu instid0(SALU_CYCLE_1)
	s_and_b32 vcc_lo, exec_lo, s7
	s_cbranch_vccz .LBB206_1522
; %bb.1521:
	s_wait_loadcnt 0x0
	global_load_u8 v2, v[0:1], off
	s_wait_loadcnt 0x0
	v_lshlrev_b32_e32 v2, 24, v2
	s_delay_alu instid0(VALU_DEP_1) | instskip(NEXT) | instid1(VALU_DEP_1)
	v_and_b32_e32 v3, 0x7f000000, v2
	v_clz_i32_u32_e32 v4, v3
	v_cmp_ne_u32_e32 vcc_lo, 0, v3
	v_add_nc_u32_e32 v8, 0x1000000, v3
	s_delay_alu instid0(VALU_DEP_3) | instskip(NEXT) | instid1(VALU_DEP_1)
	v_min_u32_e32 v4, 32, v4
	v_sub_nc_u32_e64 v4, v4, 4 clamp
	s_delay_alu instid0(VALU_DEP_1) | instskip(NEXT) | instid1(VALU_DEP_1)
	v_dual_lshlrev_b32 v5, v4, v3 :: v_dual_lshlrev_b32 v4, 23, v4
	v_lshrrev_b32_e32 v5, 4, v5
	s_delay_alu instid0(VALU_DEP_1) | instskip(SKIP_1) | instid1(VALU_DEP_2)
	v_sub_nc_u32_e32 v4, v5, v4
	v_ashrrev_i32_e32 v5, 8, v8
	v_add_nc_u32_e32 v4, 0x3c000000, v4
	s_delay_alu instid0(VALU_DEP_1) | instskip(NEXT) | instid1(VALU_DEP_1)
	v_and_or_b32 v4, 0x7f800000, v5, v4
	v_cndmask_b32_e32 v3, 0, v4, vcc_lo
	s_delay_alu instid0(VALU_DEP_1) | instskip(NEXT) | instid1(VALU_DEP_1)
	v_and_or_b32 v2, 0x80000000, v2, v3
	v_cvt_i32_f32_e32 v2, v2
.LBB206_1522:
	s_mov_b32 s7, 0
.LBB206_1523:
	s_delay_alu instid0(SALU_CYCLE_1)
	s_and_not1_b32 vcc_lo, exec_lo, s7
	s_cbranch_vccnz .LBB206_1525
; %bb.1524:
	s_wait_loadcnt 0x0
	global_load_u8 v2, v[0:1], off
	s_wait_loadcnt 0x0
	v_lshlrev_b32_e32 v3, 25, v2
	v_lshlrev_b16 v2, 8, v2
	s_delay_alu instid0(VALU_DEP_1) | instskip(SKIP_1) | instid1(VALU_DEP_2)
	v_and_or_b32 v5, 0x7f00, v2, 0.5
	v_bfe_i32 v2, v2, 0, 16
	v_dual_add_f32 v5, -0.5, v5 :: v_dual_lshrrev_b32 v4, 4, v3
	v_cmp_gt_u32_e32 vcc_lo, 0x8000000, v3
	s_delay_alu instid0(VALU_DEP_2) | instskip(NEXT) | instid1(VALU_DEP_1)
	v_or_b32_e32 v4, 0x70000000, v4
	v_mul_f32_e32 v4, 0x7800000, v4
	s_delay_alu instid0(VALU_DEP_1) | instskip(NEXT) | instid1(VALU_DEP_1)
	v_cndmask_b32_e32 v3, v4, v5, vcc_lo
	v_and_or_b32 v2, 0x80000000, v2, v3
	s_delay_alu instid0(VALU_DEP_1)
	v_cvt_i32_f32_e32 v2, v2
.LBB206_1525:
	s_mov_b32 s7, 0
	s_mov_b32 s9, -1
.LBB206_1526:
	s_and_not1_b32 vcc_lo, exec_lo, s7
	s_mov_b32 s7, 0
	s_cbranch_vccnz .LBB206_1537
; %bb.1527:
	s_cmp_gt_i32 s0, 14
	s_cbranch_scc0 .LBB206_1530
; %bb.1528:
	s_cmp_eq_u32 s0, 15
	s_cbranch_scc0 .LBB206_1533
; %bb.1529:
	s_wait_loadcnt 0x0
	global_load_u16 v2, v[0:1], off
	s_mov_b32 s6, 0
	s_mov_b32 s9, -1
	s_wait_loadcnt 0x0
	v_lshlrev_b32_e32 v2, 16, v2
	s_delay_alu instid0(VALU_DEP_1)
	v_cvt_i32_f32_e32 v2, v2
	s_branch .LBB206_1535
.LBB206_1530:
	s_mov_b32 s7, -1
	s_branch .LBB206_1534
.LBB206_1531:
	s_and_not1_saveexec_b32 s7, s7
	s_cbranch_execz .LBB206_1512
.LBB206_1532:
	v_cmp_ne_u16_e32 vcc_lo, 0, v3
	s_and_not1_b32 s9, s9, exec_lo
	s_and_b32 s12, vcc_lo, exec_lo
	s_delay_alu instid0(SALU_CYCLE_1)
	s_or_b32 s9, s9, s12
	s_or_b32 exec_lo, exec_lo, s7
	v_mov_b32_e32 v2, 0
	s_and_saveexec_b32 s7, s9
	s_cbranch_execnz .LBB206_1513
	s_branch .LBB206_1514
.LBB206_1533:
	s_mov_b32 s6, -1
.LBB206_1534:
                                        ; implicit-def: $vgpr2
.LBB206_1535:
	s_and_b32 vcc_lo, exec_lo, s7
	s_mov_b32 s7, 0
	s_cbranch_vccz .LBB206_1537
; %bb.1536:
	s_cmp_lg_u32 s0, 11
	s_mov_b32 s7, -1
	s_cselect_b32 s6, -1, 0
.LBB206_1537:
	s_delay_alu instid0(SALU_CYCLE_1)
	s_and_b32 vcc_lo, exec_lo, s6
	s_cbranch_vccnz .LBB206_2083
; %bb.1538:
	s_and_not1_b32 vcc_lo, exec_lo, s7
	s_cbranch_vccnz .LBB206_1540
.LBB206_1539:
	s_wait_loadcnt 0x0
	global_load_u8 v2, v[0:1], off
	s_mov_b32 s9, -1
	s_wait_loadcnt 0x0
	v_cmp_ne_u16_e32 vcc_lo, 0, v2
	v_cndmask_b32_e64 v2, 0, 1, vcc_lo
.LBB206_1540:
	s_mov_b32 s6, 0
.LBB206_1541:
	s_delay_alu instid0(SALU_CYCLE_1)
	s_and_b32 vcc_lo, exec_lo, s6
	s_cbranch_vccz .LBB206_1590
; %bb.1542:
	s_cmp_lt_i32 s0, 5
	s_cbranch_scc1 .LBB206_1547
; %bb.1543:
	s_cmp_lt_i32 s0, 8
	s_cbranch_scc1 .LBB206_1548
	;; [unrolled: 3-line block ×3, first 2 shown]
; %bb.1545:
	s_cmp_gt_i32 s0, 9
	s_cbranch_scc0 .LBB206_1550
; %bb.1546:
	s_wait_loadcnt 0x0
	global_load_b64 v[2:3], v[0:1], off
	s_mov_b32 s6, 0
	s_wait_loadcnt 0x0
	v_cvt_i32_f64_e32 v2, v[2:3]
	s_branch .LBB206_1551
.LBB206_1547:
	s_mov_b32 s6, -1
                                        ; implicit-def: $vgpr2
	s_branch .LBB206_1569
.LBB206_1548:
	s_mov_b32 s6, -1
                                        ; implicit-def: $vgpr2
	s_branch .LBB206_1557
.LBB206_1549:
	s_mov_b32 s6, -1
                                        ; implicit-def: $vgpr2
	s_branch .LBB206_1554
.LBB206_1550:
	s_mov_b32 s6, -1
                                        ; implicit-def: $vgpr2
.LBB206_1551:
	s_delay_alu instid0(SALU_CYCLE_1)
	s_and_not1_b32 vcc_lo, exec_lo, s6
	s_cbranch_vccnz .LBB206_1553
; %bb.1552:
	s_wait_loadcnt 0x0
	global_load_b32 v2, v[0:1], off
	s_wait_loadcnt 0x0
	v_cvt_i32_f32_e32 v2, v2
.LBB206_1553:
	s_mov_b32 s6, 0
.LBB206_1554:
	s_delay_alu instid0(SALU_CYCLE_1)
	s_and_not1_b32 vcc_lo, exec_lo, s6
	s_cbranch_vccnz .LBB206_1556
; %bb.1555:
	s_wait_loadcnt 0x0
	global_load_b32 v2, v[0:1], off
	s_wait_loadcnt 0x0
	v_cvt_i16_f16_e32 v2, v2
.LBB206_1556:
	s_mov_b32 s6, 0
.LBB206_1557:
	s_delay_alu instid0(SALU_CYCLE_1)
	s_and_not1_b32 vcc_lo, exec_lo, s6
	s_cbranch_vccnz .LBB206_1568
; %bb.1558:
	s_cmp_lt_i32 s0, 6
	s_cbranch_scc1 .LBB206_1561
; %bb.1559:
	s_cmp_gt_i32 s0, 6
	s_cbranch_scc0 .LBB206_1562
; %bb.1560:
	s_wait_loadcnt 0x0
	global_load_b64 v[2:3], v[0:1], off
	s_mov_b32 s6, 0
	s_wait_loadcnt 0x0
	v_cvt_i32_f64_e32 v2, v[2:3]
	s_branch .LBB206_1563
.LBB206_1561:
	s_mov_b32 s6, -1
                                        ; implicit-def: $vgpr2
	s_branch .LBB206_1566
.LBB206_1562:
	s_mov_b32 s6, -1
                                        ; implicit-def: $vgpr2
.LBB206_1563:
	s_delay_alu instid0(SALU_CYCLE_1)
	s_and_not1_b32 vcc_lo, exec_lo, s6
	s_cbranch_vccnz .LBB206_1565
; %bb.1564:
	s_wait_loadcnt 0x0
	global_load_b32 v2, v[0:1], off
	s_wait_loadcnt 0x0
	v_cvt_i32_f32_e32 v2, v2
.LBB206_1565:
	s_mov_b32 s6, 0
.LBB206_1566:
	s_delay_alu instid0(SALU_CYCLE_1)
	s_and_not1_b32 vcc_lo, exec_lo, s6
	s_cbranch_vccnz .LBB206_1568
; %bb.1567:
	s_wait_loadcnt 0x0
	global_load_u16 v2, v[0:1], off
	s_wait_loadcnt 0x0
	v_cvt_i16_f16_e32 v2, v2
.LBB206_1568:
	s_mov_b32 s6, 0
.LBB206_1569:
	s_delay_alu instid0(SALU_CYCLE_1)
	s_and_not1_b32 vcc_lo, exec_lo, s6
	s_cbranch_vccnz .LBB206_1589
; %bb.1570:
	s_cmp_lt_i32 s0, 2
	s_cbranch_scc1 .LBB206_1574
; %bb.1571:
	s_cmp_lt_i32 s0, 3
	s_cbranch_scc1 .LBB206_1575
; %bb.1572:
	s_cmp_gt_i32 s0, 3
	s_cbranch_scc0 .LBB206_1576
; %bb.1573:
	s_wait_loadcnt 0x0
	global_load_b64 v[2:3], v[0:1], off
	s_mov_b32 s6, 0
	s_branch .LBB206_1577
.LBB206_1574:
	s_mov_b32 s6, -1
                                        ; implicit-def: $vgpr2
	s_branch .LBB206_1583
.LBB206_1575:
	s_mov_b32 s6, -1
                                        ; implicit-def: $vgpr2
	s_branch .LBB206_1580
.LBB206_1576:
	s_mov_b32 s6, -1
                                        ; implicit-def: $vgpr2
.LBB206_1577:
	s_delay_alu instid0(SALU_CYCLE_1)
	s_and_not1_b32 vcc_lo, exec_lo, s6
	s_cbranch_vccnz .LBB206_1579
; %bb.1578:
	s_wait_loadcnt 0x0
	global_load_b32 v2, v[0:1], off
.LBB206_1579:
	s_mov_b32 s6, 0
.LBB206_1580:
	s_delay_alu instid0(SALU_CYCLE_1)
	s_and_not1_b32 vcc_lo, exec_lo, s6
	s_cbranch_vccnz .LBB206_1582
; %bb.1581:
	s_wait_loadcnt 0x0
	global_load_u16 v2, v[0:1], off
.LBB206_1582:
	s_mov_b32 s6, 0
.LBB206_1583:
	s_delay_alu instid0(SALU_CYCLE_1)
	s_and_not1_b32 vcc_lo, exec_lo, s6
	s_cbranch_vccnz .LBB206_1589
; %bb.1584:
	s_cmp_gt_i32 s0, 0
	s_mov_b32 s0, 0
	s_cbranch_scc0 .LBB206_1586
; %bb.1585:
	s_wait_loadcnt 0x0
	global_load_i8 v2, v[0:1], off
	s_branch .LBB206_1587
.LBB206_1586:
	s_mov_b32 s0, -1
                                        ; implicit-def: $vgpr2
.LBB206_1587:
	s_delay_alu instid0(SALU_CYCLE_1)
	s_and_not1_b32 vcc_lo, exec_lo, s0
	s_cbranch_vccnz .LBB206_1589
; %bb.1588:
	s_wait_loadcnt 0x0
	global_load_u8 v2, v[0:1], off
.LBB206_1589:
	s_mov_b32 s9, -1
.LBB206_1590:
	s_delay_alu instid0(SALU_CYCLE_1)
	s_and_not1_b32 vcc_lo, exec_lo, s9
	s_cbranch_vccnz .LBB206_1594
; %bb.1591:
	s_cmp_lt_i32 s10, 1
	s_mov_b32 s0, 0
	s_cbranch_scc1 .LBB206_1639
; %bb.1592:
	s_cmp_eq_u32 s10, 1
	s_cbranch_scc0 .LBB206_1640
; %bb.1593:
	s_wait_loadcnt 0x0
	s_delay_alu instid0(VALU_DEP_1)
	v_min_i16 v8, v2, s11
	s_mov_b32 s6, 0
	s_branch .LBB206_1641
.LBB206_1594:
	s_mov_b32 s0, 0
	s_mov_b32 s2, 0
                                        ; implicit-def: $sgpr15
                                        ; implicit-def: $vgpr0_vgpr1
                                        ; implicit-def: $vgpr8
.LBB206_1595:
	s_and_not1_b32 s1, s14, exec_lo
	s_and_b32 s4, s3, exec_lo
	s_and_b32 s0, s0, exec_lo
	;; [unrolled: 1-line block ×3, first 2 shown]
	s_or_b32 s14, s1, s4
.LBB206_1596:
	s_wait_xcnt 0x0
	s_or_b32 exec_lo, exec_lo, s13
	s_and_saveexec_b32 s1, s14
	s_cbranch_execz .LBB206_1599
; %bb.1597:
	; divergent unreachable
	s_or_b32 exec_lo, exec_lo, s1
	s_and_saveexec_b32 s1, s3
	s_delay_alu instid0(SALU_CYCLE_1)
	s_xor_b32 s1, exec_lo, s1
	s_cbranch_execnz .LBB206_1600
.LBB206_1598:
	s_or_b32 exec_lo, exec_lo, s1
	s_and_saveexec_b32 s1, s0
	s_cbranch_execnz .LBB206_1601
	s_branch .LBB206_1638
.LBB206_1599:
	s_or_b32 exec_lo, exec_lo, s1
	s_and_saveexec_b32 s1, s3
	s_delay_alu instid0(SALU_CYCLE_1)
	s_xor_b32 s1, exec_lo, s1
	s_cbranch_execz .LBB206_1598
.LBB206_1600:
	v_cmp_ne_u16_e32 vcc_lo, 0, v8
	s_wait_loadcnt 0x0
	v_cndmask_b32_e64 v2, 0, 1, vcc_lo
	global_store_b8 v[0:1], v2, off
	s_wait_xcnt 0x0
	s_or_b32 exec_lo, exec_lo, s1
	s_and_saveexec_b32 s1, s0
	s_cbranch_execz .LBB206_1638
.LBB206_1601:
	s_sext_i32_i16 s1, s15
	s_mov_b32 s0, -1
	s_cmp_lt_i32 s1, 5
	s_cbranch_scc1 .LBB206_1622
; %bb.1602:
	s_cmp_lt_i32 s1, 8
	s_cbranch_scc1 .LBB206_1612
; %bb.1603:
	s_cmp_lt_i32 s1, 9
	s_cbranch_scc1 .LBB206_1609
; %bb.1604:
	s_cmp_gt_i32 s1, 9
	s_cbranch_scc0 .LBB206_1606
; %bb.1605:
	s_wait_loadcnt 0x0
	v_bfe_i32 v2, v8, 0, 16
	v_mov_b32_e32 v4, 0
	s_mov_b32 s0, 0
	s_delay_alu instid0(VALU_DEP_2) | instskip(NEXT) | instid1(VALU_DEP_2)
	v_cvt_f64_i32_e32 v[2:3], v2
	v_mov_b32_e32 v5, v4
	global_store_b128 v[0:1], v[2:5], off
.LBB206_1606:
	s_and_not1_b32 vcc_lo, exec_lo, s0
	s_cbranch_vccnz .LBB206_1608
; %bb.1607:
	s_wait_loadcnt 0x0
	v_bfe_i32 v2, v8, 0, 16
	v_mov_b32_e32 v3, 0
	s_delay_alu instid0(VALU_DEP_2)
	v_cvt_f32_i32_e32 v2, v2
	global_store_b64 v[0:1], v[2:3], off
.LBB206_1608:
	s_mov_b32 s0, 0
.LBB206_1609:
	s_delay_alu instid0(SALU_CYCLE_1)
	s_and_not1_b32 vcc_lo, exec_lo, s0
	s_cbranch_vccnz .LBB206_1611
; %bb.1610:
	s_wait_loadcnt 0x0
	v_cvt_f16_i16_e32 v2, v8
	s_delay_alu instid0(VALU_DEP_1)
	v_and_b32_e32 v2, 0xffff, v2
	global_store_b32 v[0:1], v2, off
.LBB206_1611:
	s_mov_b32 s0, 0
.LBB206_1612:
	s_delay_alu instid0(SALU_CYCLE_1)
	s_and_not1_b32 vcc_lo, exec_lo, s0
	s_cbranch_vccnz .LBB206_1621
; %bb.1613:
	s_sext_i32_i16 s1, s15
	s_mov_b32 s0, -1
	s_cmp_lt_i32 s1, 6
	s_cbranch_scc1 .LBB206_1619
; %bb.1614:
	s_cmp_gt_i32 s1, 6
	s_cbranch_scc0 .LBB206_1616
; %bb.1615:
	s_wait_loadcnt 0x0
	v_bfe_i32 v2, v8, 0, 16
	s_mov_b32 s0, 0
	s_delay_alu instid0(VALU_DEP_1)
	v_cvt_f64_i32_e32 v[2:3], v2
	global_store_b64 v[0:1], v[2:3], off
.LBB206_1616:
	s_and_not1_b32 vcc_lo, exec_lo, s0
	s_cbranch_vccnz .LBB206_1618
; %bb.1617:
	s_wait_loadcnt 0x0
	v_bfe_i32 v2, v8, 0, 16
	s_delay_alu instid0(VALU_DEP_1)
	v_cvt_f32_i32_e32 v2, v2
	global_store_b32 v[0:1], v2, off
.LBB206_1618:
	s_mov_b32 s0, 0
.LBB206_1619:
	s_delay_alu instid0(SALU_CYCLE_1)
	s_and_not1_b32 vcc_lo, exec_lo, s0
	s_cbranch_vccnz .LBB206_1621
; %bb.1620:
	s_wait_loadcnt 0x0
	v_cvt_f16_i16_e32 v2, v8
	global_store_b16 v[0:1], v2, off
.LBB206_1621:
	s_mov_b32 s0, 0
.LBB206_1622:
	s_delay_alu instid0(SALU_CYCLE_1)
	s_and_not1_b32 vcc_lo, exec_lo, s0
	s_cbranch_vccnz .LBB206_1638
; %bb.1623:
	s_sext_i32_i16 s1, s15
	s_mov_b32 s0, -1
	s_cmp_lt_i32 s1, 2
	s_cbranch_scc1 .LBB206_1633
; %bb.1624:
	s_cmp_lt_i32 s1, 3
	s_cbranch_scc1 .LBB206_1630
; %bb.1625:
	s_wait_loadcnt 0x0
	v_bfe_i32 v2, v8, 0, 16
	s_cmp_gt_i32 s1, 3
	s_cbranch_scc0 .LBB206_1627
; %bb.1626:
	s_delay_alu instid0(VALU_DEP_1)
	v_ashrrev_i32_e32 v3, 31, v2
	s_mov_b32 s0, 0
	global_store_b64 v[0:1], v[2:3], off
.LBB206_1627:
	s_and_not1_b32 vcc_lo, exec_lo, s0
	s_cbranch_vccnz .LBB206_1629
; %bb.1628:
	global_store_b32 v[0:1], v2, off
.LBB206_1629:
	s_mov_b32 s0, 0
.LBB206_1630:
	s_delay_alu instid0(SALU_CYCLE_1)
	s_and_not1_b32 vcc_lo, exec_lo, s0
	s_cbranch_vccnz .LBB206_1632
; %bb.1631:
	global_store_b16 v[0:1], v8, off
.LBB206_1632:
	s_mov_b32 s0, 0
.LBB206_1633:
	s_delay_alu instid0(SALU_CYCLE_1)
	s_and_not1_b32 vcc_lo, exec_lo, s0
	s_cbranch_vccnz .LBB206_1638
; %bb.1634:
	s_sext_i32_i16 s0, s15
	s_delay_alu instid0(SALU_CYCLE_1)
	s_cmp_gt_i32 s0, 0
	s_mov_b32 s0, -1
	s_cbranch_scc0 .LBB206_1636
; %bb.1635:
	s_mov_b32 s0, 0
	global_store_b8 v[0:1], v8, off
.LBB206_1636:
	s_and_not1_b32 vcc_lo, exec_lo, s0
	s_cbranch_vccnz .LBB206_1638
; %bb.1637:
	global_store_b8 v[0:1], v8, off
	s_endpgm
.LBB206_1638:
	s_endpgm
.LBB206_1639:
	s_mov_b32 s7, -1
	s_mov_b32 s6, 0
                                        ; implicit-def: $vgpr8
	s_branch .LBB206_1642
.LBB206_1640:
	s_mov_b32 s6, -1
                                        ; implicit-def: $vgpr8
.LBB206_1641:
	s_mov_b32 s7, 0
.LBB206_1642:
	s_delay_alu instid0(SALU_CYCLE_1)
	s_and_b32 vcc_lo, exec_lo, s7
	s_cbranch_vccz .LBB206_1724
; %bb.1643:
	s_cmp_lg_u32 s10, 0
	s_mov_b32 s0, -1
	s_cselect_b32 s6, -1, 0
	s_wait_loadcnt 0x0
	s_delay_alu instid0(VALU_DEP_1)
	v_max_i16 v0, v2, s11
	s_and_not1_b32 vcc_lo, exec_lo, s6
	s_cbranch_vccz .LBB206_1725
.LBB206_1644:
	s_and_not1_b32 vcc_lo, exec_lo, s0
	s_cbranch_vccnz .LBB206_1646
.LBB206_1645:
	v_mov_b32_e32 v8, v0
.LBB206_1646:
	v_mul_lo_u32 v0, s8, v6
	s_and_b32 s15, s2, 0xff
	s_delay_alu instid0(SALU_CYCLE_1) | instskip(NEXT) | instid1(VALU_DEP_1)
	s_cmp_lt_i32 s15, 11
	v_ashrrev_i32_e32 v1, 31, v0
	s_delay_alu instid0(VALU_DEP_1)
	v_add_nc_u64_e32 v[2:3], s[4:5], v[0:1]
	s_cbranch_scc1 .LBB206_1726
; %bb.1647:
	s_and_b32 s1, 0xffff, s15
	s_mov_b32 s7, -1
	s_mov_b32 s2, 0
	s_cmp_gt_i32 s1, 25
	s_mov_b32 s6, 0
	s_mov_b32 s0, 0
	s_cbranch_scc0 .LBB206_1680
; %bb.1648:
	s_cmp_gt_i32 s1, 28
	s_cbranch_scc0 .LBB206_1663
; %bb.1649:
	s_cmp_gt_i32 s1, 43
	;; [unrolled: 3-line block ×3, first 2 shown]
	s_cbranch_scc0 .LBB206_1653
; %bb.1651:
	s_mov_b32 s0, -1
	s_mov_b32 s7, 0
	s_cmp_eq_u32 s1, 46
	s_cbranch_scc0 .LBB206_1653
; %bb.1652:
	v_bfe_i32 v1, v7, 0, 16
	s_mov_b32 s0, 0
	s_mov_b32 s6, -1
	s_delay_alu instid0(VALU_DEP_1) | instskip(NEXT) | instid1(VALU_DEP_1)
	v_cvt_f32_i32_e32 v1, v1
	v_bfe_u32 v4, v1, 16, 1
	s_delay_alu instid0(VALU_DEP_1) | instskip(NEXT) | instid1(VALU_DEP_1)
	v_add3_u32 v1, v1, v4, 0x7fff
	v_lshrrev_b32_e32 v1, 16, v1
	global_store_b32 v[2:3], v1, off
.LBB206_1653:
	s_and_b32 vcc_lo, exec_lo, s7
	s_cbranch_vccz .LBB206_1658
; %bb.1654:
	s_cmp_eq_u32 s1, 44
	s_mov_b32 s0, -1
	s_cbranch_scc0 .LBB206_1658
; %bb.1655:
	s_wait_xcnt 0x0
	v_bfe_i32 v1, v7, 0, 16
	v_mov_b32_e32 v4, 0xff
	s_mov_b32 s6, exec_lo
	s_delay_alu instid0(VALU_DEP_2) | instskip(NEXT) | instid1(VALU_DEP_1)
	v_cvt_f32_i32_e32 v1, v1
	v_bfe_u32 v5, v1, 23, 8
	s_delay_alu instid0(VALU_DEP_1)
	v_cmpx_ne_u32_e32 0xff, v5
	s_cbranch_execz .LBB206_1657
; %bb.1656:
	v_and_b32_e32 v4, 0x400000, v1
	v_and_or_b32 v5, 0x3fffff, v1, v5
	v_lshrrev_b32_e32 v1, 23, v1
	s_delay_alu instid0(VALU_DEP_3) | instskip(NEXT) | instid1(VALU_DEP_3)
	v_cmp_ne_u32_e32 vcc_lo, 0, v4
	v_cmp_ne_u32_e64 s0, 0, v5
	s_and_b32 s0, vcc_lo, s0
	s_delay_alu instid0(SALU_CYCLE_1) | instskip(NEXT) | instid1(VALU_DEP_1)
	v_cndmask_b32_e64 v4, 0, 1, s0
	v_add_nc_u32_e32 v4, v1, v4
.LBB206_1657:
	s_or_b32 exec_lo, exec_lo, s6
	s_mov_b32 s0, 0
	s_mov_b32 s6, -1
	global_store_b8 v[2:3], v4, off
.LBB206_1658:
	s_mov_b32 s7, 0
.LBB206_1659:
	s_delay_alu instid0(SALU_CYCLE_1)
	s_and_b32 vcc_lo, exec_lo, s7
	s_cbranch_vccz .LBB206_1662
; %bb.1660:
	s_cmp_eq_u32 s1, 29
	s_mov_b32 s0, -1
	s_cbranch_scc0 .LBB206_1662
; %bb.1661:
	s_wait_xcnt 0x0
	v_bfe_i32 v4, v7, 0, 16
	s_mov_b32 s0, 0
	s_mov_b32 s6, -1
	s_delay_alu instid0(VALU_DEP_1)
	v_ashrrev_i32_e32 v5, 31, v4
	global_store_b64 v[2:3], v[4:5], off
.LBB206_1662:
	s_mov_b32 s7, 0
.LBB206_1663:
	s_delay_alu instid0(SALU_CYCLE_1)
	s_and_b32 vcc_lo, exec_lo, s7
	s_cbranch_vccz .LBB206_1679
; %bb.1664:
	s_cmp_lt_i32 s1, 27
	s_mov_b32 s6, -1
	s_cbranch_scc1 .LBB206_1670
; %bb.1665:
	s_cmp_gt_i32 s1, 27
	s_cbranch_scc0 .LBB206_1667
; %bb.1666:
	s_wait_xcnt 0x0
	v_bfe_i32 v1, v7, 0, 16
	s_mov_b32 s6, 0
	global_store_b32 v[2:3], v1, off
.LBB206_1667:
	s_and_not1_b32 vcc_lo, exec_lo, s6
	s_cbranch_vccnz .LBB206_1669
; %bb.1668:
	global_store_b16 v[2:3], v7, off
.LBB206_1669:
	s_mov_b32 s6, 0
.LBB206_1670:
	s_delay_alu instid0(SALU_CYCLE_1)
	s_and_not1_b32 vcc_lo, exec_lo, s6
	s_cbranch_vccnz .LBB206_1678
; %bb.1671:
	s_wait_xcnt 0x0
	v_bfe_i32 v1, v7, 0, 16
	v_mov_b32_e32 v5, 0x80
	s_mov_b32 s6, exec_lo
	s_delay_alu instid0(VALU_DEP_2) | instskip(NEXT) | instid1(VALU_DEP_1)
	v_cvt_f32_i32_e32 v1, v1
	v_and_b32_e32 v4, 0x7fffffff, v1
	s_delay_alu instid0(VALU_DEP_1)
	v_cmpx_gt_u32_e32 0x43800000, v4
	s_cbranch_execz .LBB206_1677
; %bb.1672:
	v_cmp_lt_u32_e32 vcc_lo, 0x3bffffff, v4
	s_mov_b32 s7, 0
                                        ; implicit-def: $vgpr4
	s_and_saveexec_b32 s9, vcc_lo
	s_delay_alu instid0(SALU_CYCLE_1)
	s_xor_b32 s9, exec_lo, s9
	s_cbranch_execz .LBB206_2084
; %bb.1673:
	v_bfe_u32 v4, v1, 20, 1
	s_mov_b32 s7, exec_lo
	s_delay_alu instid0(VALU_DEP_1) | instskip(NEXT) | instid1(VALU_DEP_1)
	v_add3_u32 v4, v1, v4, 0x487ffff
	v_lshrrev_b32_e32 v4, 20, v4
	s_and_not1_saveexec_b32 s9, s9
	s_cbranch_execnz .LBB206_2085
.LBB206_1674:
	s_or_b32 exec_lo, exec_lo, s9
	v_mov_b32_e32 v5, 0
	s_and_saveexec_b32 s9, s7
.LBB206_1675:
	v_lshrrev_b32_e32 v1, 24, v1
	s_delay_alu instid0(VALU_DEP_1)
	v_and_or_b32 v5, 0x80, v1, v4
.LBB206_1676:
	s_or_b32 exec_lo, exec_lo, s9
.LBB206_1677:
	s_delay_alu instid0(SALU_CYCLE_1)
	s_or_b32 exec_lo, exec_lo, s6
	global_store_b8 v[2:3], v5, off
.LBB206_1678:
	s_mov_b32 s6, -1
.LBB206_1679:
	s_mov_b32 s7, 0
.LBB206_1680:
	s_delay_alu instid0(SALU_CYCLE_1)
	s_and_b32 vcc_lo, exec_lo, s7
	s_cbranch_vccz .LBB206_1720
; %bb.1681:
	s_cmp_gt_i32 s1, 22
	s_mov_b32 s2, -1
	s_cbranch_scc0 .LBB206_1713
; %bb.1682:
	s_cmp_lt_i32 s1, 24
	s_cbranch_scc1 .LBB206_1702
; %bb.1683:
	s_cmp_gt_i32 s1, 24
	s_cbranch_scc0 .LBB206_1691
; %bb.1684:
	s_wait_xcnt 0x0
	v_bfe_i32 v1, v7, 0, 16
	v_mov_b32_e32 v5, 0x80
	s_mov_b32 s2, exec_lo
	s_delay_alu instid0(VALU_DEP_2) | instskip(NEXT) | instid1(VALU_DEP_1)
	v_cvt_f32_i32_e32 v1, v1
	v_and_b32_e32 v4, 0x7fffffff, v1
	s_delay_alu instid0(VALU_DEP_1)
	v_cmpx_gt_u32_e32 0x47800000, v4
	s_cbranch_execz .LBB206_1690
; %bb.1685:
	v_cmp_lt_u32_e32 vcc_lo, 0x37ffffff, v4
	s_mov_b32 s6, 0
                                        ; implicit-def: $vgpr4
	s_and_saveexec_b32 s7, vcc_lo
	s_delay_alu instid0(SALU_CYCLE_1)
	s_xor_b32 s7, exec_lo, s7
	s_cbranch_execz .LBB206_2087
; %bb.1686:
	v_bfe_u32 v4, v1, 21, 1
	s_mov_b32 s6, exec_lo
	s_delay_alu instid0(VALU_DEP_1) | instskip(NEXT) | instid1(VALU_DEP_1)
	v_add3_u32 v4, v1, v4, 0x88fffff
	v_lshrrev_b32_e32 v4, 21, v4
	s_and_not1_saveexec_b32 s7, s7
	s_cbranch_execnz .LBB206_2088
.LBB206_1687:
	s_or_b32 exec_lo, exec_lo, s7
	v_mov_b32_e32 v5, 0
	s_and_saveexec_b32 s7, s6
.LBB206_1688:
	v_lshrrev_b32_e32 v1, 24, v1
	s_delay_alu instid0(VALU_DEP_1)
	v_and_or_b32 v5, 0x80, v1, v4
.LBB206_1689:
	s_or_b32 exec_lo, exec_lo, s7
.LBB206_1690:
	s_delay_alu instid0(SALU_CYCLE_1)
	s_or_b32 exec_lo, exec_lo, s2
	s_mov_b32 s2, 0
	global_store_b8 v[2:3], v5, off
.LBB206_1691:
	s_and_b32 vcc_lo, exec_lo, s2
	s_cbranch_vccz .LBB206_1701
; %bb.1692:
	s_wait_xcnt 0x0
	v_bfe_i32 v1, v7, 0, 16
	s_mov_b32 s2, exec_lo
                                        ; implicit-def: $vgpr4
	s_delay_alu instid0(VALU_DEP_1) | instskip(NEXT) | instid1(VALU_DEP_1)
	v_cvt_f32_i32_e32 v1, v1
	v_and_b32_e32 v5, 0x7fffffff, v1
	s_delay_alu instid0(VALU_DEP_1)
	v_cmpx_gt_u32_e32 0x43f00000, v5
	s_xor_b32 s2, exec_lo, s2
	s_cbranch_execz .LBB206_1698
; %bb.1693:
	s_mov_b32 s6, exec_lo
                                        ; implicit-def: $vgpr4
	v_cmpx_lt_u32_e32 0x3c7fffff, v5
	s_xor_b32 s6, exec_lo, s6
; %bb.1694:
	v_bfe_u32 v4, v1, 20, 1
	s_delay_alu instid0(VALU_DEP_1) | instskip(NEXT) | instid1(VALU_DEP_1)
	v_add3_u32 v4, v1, v4, 0x407ffff
	v_and_b32_e32 v5, 0xff00000, v4
	v_lshrrev_b32_e32 v4, 20, v4
	s_delay_alu instid0(VALU_DEP_2) | instskip(NEXT) | instid1(VALU_DEP_2)
	v_cmp_ne_u32_e32 vcc_lo, 0x7f00000, v5
	v_cndmask_b32_e32 v4, 0x7e, v4, vcc_lo
; %bb.1695:
	s_and_not1_saveexec_b32 s6, s6
; %bb.1696:
	v_add_f32_e64 v4, 0x46800000, |v1|
; %bb.1697:
	s_or_b32 exec_lo, exec_lo, s6
                                        ; implicit-def: $vgpr5
.LBB206_1698:
	s_and_not1_saveexec_b32 s2, s2
; %bb.1699:
	v_mov_b32_e32 v4, 0x7f
	v_cmp_lt_u32_e32 vcc_lo, 0x7f800000, v5
	s_delay_alu instid0(VALU_DEP_2)
	v_cndmask_b32_e32 v4, 0x7e, v4, vcc_lo
; %bb.1700:
	s_or_b32 exec_lo, exec_lo, s2
	v_lshrrev_b32_e32 v1, 24, v1
	s_delay_alu instid0(VALU_DEP_1)
	v_and_or_b32 v1, 0x80, v1, v4
	global_store_b8 v[2:3], v1, off
.LBB206_1701:
	s_mov_b32 s2, 0
.LBB206_1702:
	s_delay_alu instid0(SALU_CYCLE_1)
	s_and_not1_b32 vcc_lo, exec_lo, s2
	s_cbranch_vccnz .LBB206_1712
; %bb.1703:
	s_wait_xcnt 0x0
	v_bfe_i32 v1, v7, 0, 16
	s_mov_b32 s2, exec_lo
                                        ; implicit-def: $vgpr4
	s_delay_alu instid0(VALU_DEP_1) | instskip(NEXT) | instid1(VALU_DEP_1)
	v_cvt_f32_i32_e32 v1, v1
	v_and_b32_e32 v5, 0x7fffffff, v1
	s_delay_alu instid0(VALU_DEP_1)
	v_cmpx_gt_u32_e32 0x47800000, v5
	s_xor_b32 s2, exec_lo, s2
	s_cbranch_execz .LBB206_1709
; %bb.1704:
	s_mov_b32 s6, exec_lo
                                        ; implicit-def: $vgpr4
	v_cmpx_lt_u32_e32 0x387fffff, v5
	s_xor_b32 s6, exec_lo, s6
; %bb.1705:
	v_bfe_u32 v4, v1, 21, 1
	s_delay_alu instid0(VALU_DEP_1) | instskip(NEXT) | instid1(VALU_DEP_1)
	v_add3_u32 v4, v1, v4, 0x80fffff
	v_lshrrev_b32_e32 v4, 21, v4
; %bb.1706:
	s_and_not1_saveexec_b32 s6, s6
; %bb.1707:
	v_add_f32_e64 v4, 0x43000000, |v1|
; %bb.1708:
	s_or_b32 exec_lo, exec_lo, s6
                                        ; implicit-def: $vgpr5
.LBB206_1709:
	s_and_not1_saveexec_b32 s2, s2
; %bb.1710:
	v_mov_b32_e32 v4, 0x7f
	v_cmp_lt_u32_e32 vcc_lo, 0x7f800000, v5
	s_delay_alu instid0(VALU_DEP_2)
	v_cndmask_b32_e32 v4, 0x7c, v4, vcc_lo
; %bb.1711:
	s_or_b32 exec_lo, exec_lo, s2
	v_lshrrev_b32_e32 v1, 24, v1
	s_delay_alu instid0(VALU_DEP_1)
	v_and_or_b32 v1, 0x80, v1, v4
	global_store_b8 v[2:3], v1, off
.LBB206_1712:
	s_mov_b32 s2, 0
	s_mov_b32 s6, -1
.LBB206_1713:
	s_and_not1_b32 vcc_lo, exec_lo, s2
	s_mov_b32 s2, 0
	s_cbranch_vccnz .LBB206_1720
; %bb.1714:
	s_cmp_gt_i32 s1, 14
	s_mov_b32 s2, -1
	s_cbranch_scc0 .LBB206_1718
; %bb.1715:
	s_cmp_eq_u32 s1, 15
	s_mov_b32 s0, -1
	s_cbranch_scc0 .LBB206_1717
; %bb.1716:
	s_wait_xcnt 0x0
	v_bfe_i32 v1, v7, 0, 16
	s_mov_b32 s0, 0
	s_mov_b32 s6, -1
	s_delay_alu instid0(VALU_DEP_1) | instskip(NEXT) | instid1(VALU_DEP_1)
	v_cvt_f32_i32_e32 v1, v1
	v_bfe_u32 v4, v1, 16, 1
	s_delay_alu instid0(VALU_DEP_1)
	v_add3_u32 v1, v1, v4, 0x7fff
	global_store_d16_hi_b16 v[2:3], v1, off
.LBB206_1717:
	s_mov_b32 s2, 0
.LBB206_1718:
	s_delay_alu instid0(SALU_CYCLE_1)
	s_and_b32 vcc_lo, exec_lo, s2
	s_mov_b32 s2, 0
	s_cbranch_vccz .LBB206_1720
; %bb.1719:
	s_cmp_lg_u32 s1, 11
	s_mov_b32 s2, -1
	s_cselect_b32 s0, -1, 0
.LBB206_1720:
	s_delay_alu instid0(SALU_CYCLE_1)
	s_and_b32 vcc_lo, exec_lo, s0
	s_cbranch_vccnz .LBB206_2086
; %bb.1721:
	s_and_not1_b32 vcc_lo, exec_lo, s2
	s_cbranch_vccnz .LBB206_1723
.LBB206_1722:
	v_cmp_ne_u16_e32 vcc_lo, 0, v7
	s_mov_b32 s6, -1
	s_wait_xcnt 0x0
	v_cndmask_b32_e64 v1, 0, 1, vcc_lo
	global_store_b8 v[2:3], v1, off
.LBB206_1723:
	s_mov_b32 s0, 0
	s_branch .LBB206_1727
.LBB206_1724:
	s_wait_loadcnt 0x0
	s_delay_alu instid0(VALU_DEP_1)
	v_max_i16 v0, v2, s11
	s_and_not1_b32 vcc_lo, exec_lo, s6
	s_cbranch_vccnz .LBB206_1644
.LBB206_1725:
	v_max_i16 v1, v2, s11
	s_delay_alu instid0(VALU_DEP_1)
	v_min_i16 v8, v1, s1
	s_cbranch_execz .LBB206_1645
	s_branch .LBB206_1646
.LBB206_1726:
	s_mov_b32 s0, -1
	s_mov_b32 s6, 0
.LBB206_1727:
	s_and_b32 vcc_lo, exec_lo, s0
	s_cbranch_vccz .LBB206_1766
; %bb.1728:
	s_and_b32 s0, 0xffff, s15
	s_mov_b32 s1, -1
	s_cmp_lt_i32 s0, 5
	s_cbranch_scc1 .LBB206_1749
; %bb.1729:
	s_cmp_lt_i32 s0, 8
	s_cbranch_scc1 .LBB206_1739
; %bb.1730:
	;; [unrolled: 3-line block ×3, first 2 shown]
	s_cmp_gt_i32 s0, 9
	s_cbranch_scc0 .LBB206_1733
; %bb.1732:
	s_wait_xcnt 0x0
	v_bfe_i32 v1, v7, 0, 16
	v_mov_b32_e32 v14, 0
	s_mov_b32 s1, 0
	s_delay_alu instid0(VALU_DEP_2) | instskip(NEXT) | instid1(VALU_DEP_2)
	v_cvt_f64_i32_e32 v[12:13], v1
	v_mov_b32_e32 v15, v14
	global_store_b128 v[2:3], v[12:15], off
.LBB206_1733:
	s_and_not1_b32 vcc_lo, exec_lo, s1
	s_cbranch_vccnz .LBB206_1735
; %bb.1734:
	s_wait_xcnt 0x0
	v_bfe_i32 v1, v7, 0, 16
	v_mov_b32_e32 v5, 0
	s_delay_alu instid0(VALU_DEP_2)
	v_cvt_f32_i32_e32 v4, v1
	global_store_b64 v[2:3], v[4:5], off
.LBB206_1735:
	s_mov_b32 s1, 0
.LBB206_1736:
	s_delay_alu instid0(SALU_CYCLE_1)
	s_and_not1_b32 vcc_lo, exec_lo, s1
	s_cbranch_vccnz .LBB206_1738
; %bb.1737:
	s_wait_xcnt 0x0
	v_cvt_f16_i16_e32 v1, v7
	s_delay_alu instid0(VALU_DEP_1)
	v_and_b32_e32 v1, 0xffff, v1
	global_store_b32 v[2:3], v1, off
.LBB206_1738:
	s_mov_b32 s1, 0
.LBB206_1739:
	s_delay_alu instid0(SALU_CYCLE_1)
	s_and_not1_b32 vcc_lo, exec_lo, s1
	s_cbranch_vccnz .LBB206_1748
; %bb.1740:
	s_cmp_lt_i32 s0, 6
	s_mov_b32 s1, -1
	s_cbranch_scc1 .LBB206_1746
; %bb.1741:
	s_cmp_gt_i32 s0, 6
	s_cbranch_scc0 .LBB206_1743
; %bb.1742:
	s_wait_xcnt 0x0
	v_bfe_i32 v1, v7, 0, 16
	s_mov_b32 s1, 0
	s_delay_alu instid0(VALU_DEP_1)
	v_cvt_f64_i32_e32 v[4:5], v1
	global_store_b64 v[2:3], v[4:5], off
.LBB206_1743:
	s_and_not1_b32 vcc_lo, exec_lo, s1
	s_cbranch_vccnz .LBB206_1745
; %bb.1744:
	s_wait_xcnt 0x0
	v_bfe_i32 v1, v7, 0, 16
	s_delay_alu instid0(VALU_DEP_1)
	v_cvt_f32_i32_e32 v1, v1
	global_store_b32 v[2:3], v1, off
.LBB206_1745:
	s_mov_b32 s1, 0
.LBB206_1746:
	s_delay_alu instid0(SALU_CYCLE_1)
	s_and_not1_b32 vcc_lo, exec_lo, s1
	s_cbranch_vccnz .LBB206_1748
; %bb.1747:
	s_wait_xcnt 0x0
	v_cvt_f16_i16_e32 v1, v7
	global_store_b16 v[2:3], v1, off
.LBB206_1748:
	s_mov_b32 s1, 0
.LBB206_1749:
	s_delay_alu instid0(SALU_CYCLE_1)
	s_and_not1_b32 vcc_lo, exec_lo, s1
	s_cbranch_vccnz .LBB206_1765
; %bb.1750:
	s_cmp_lt_i32 s0, 2
	s_mov_b32 s1, -1
	s_cbranch_scc1 .LBB206_1760
; %bb.1751:
	s_cmp_lt_i32 s0, 3
	s_cbranch_scc1 .LBB206_1757
; %bb.1752:
	s_wait_xcnt 0x0
	v_bfe_i32 v4, v7, 0, 16
	s_cmp_gt_i32 s0, 3
	s_cbranch_scc0 .LBB206_1754
; %bb.1753:
	s_delay_alu instid0(VALU_DEP_1)
	v_ashrrev_i32_e32 v5, 31, v4
	s_mov_b32 s1, 0
	global_store_b64 v[2:3], v[4:5], off
.LBB206_1754:
	s_and_not1_b32 vcc_lo, exec_lo, s1
	s_cbranch_vccnz .LBB206_1756
; %bb.1755:
	global_store_b32 v[2:3], v4, off
.LBB206_1756:
	s_mov_b32 s1, 0
.LBB206_1757:
	s_delay_alu instid0(SALU_CYCLE_1)
	s_and_not1_b32 vcc_lo, exec_lo, s1
	s_cbranch_vccnz .LBB206_1759
; %bb.1758:
	global_store_b16 v[2:3], v7, off
.LBB206_1759:
	s_mov_b32 s1, 0
.LBB206_1760:
	s_delay_alu instid0(SALU_CYCLE_1)
	s_and_not1_b32 vcc_lo, exec_lo, s1
	s_cbranch_vccnz .LBB206_1765
; %bb.1761:
	s_cmp_gt_i32 s0, 0
	s_mov_b32 s0, -1
	s_cbranch_scc0 .LBB206_1763
; %bb.1762:
	s_mov_b32 s0, 0
	global_store_b8 v[2:3], v7, off
.LBB206_1763:
	s_and_not1_b32 vcc_lo, exec_lo, s0
	s_cbranch_vccnz .LBB206_1765
; %bb.1764:
	global_store_b8 v[2:3], v7, off
.LBB206_1765:
	s_mov_b32 s6, -1
.LBB206_1766:
	s_delay_alu instid0(SALU_CYCLE_1)
	s_and_not1_b32 vcc_lo, exec_lo, s6
	s_cbranch_vccnz .LBB206_2081
; %bb.1767:
	s_lshl_b32 s1, s8, 7
	s_cmp_lt_i32 s15, 11
	v_add_nc_u32_e32 v0, s1, v0
	s_wait_xcnt 0x0
	s_delay_alu instid0(VALU_DEP_1) | instskip(NEXT) | instid1(VALU_DEP_1)
	v_ashrrev_i32_e32 v1, 31, v0
	v_add_nc_u64_e32 v[2:3], s[4:5], v[0:1]
	s_cbranch_scc1 .LBB206_1845
; %bb.1768:
	s_and_b32 s2, 0xffff, s15
	s_mov_b32 s8, -1
	s_mov_b32 s6, 0
	s_cmp_gt_i32 s2, 25
	s_mov_b32 s7, 0
	s_mov_b32 s0, 0
	s_cbranch_scc0 .LBB206_1801
; %bb.1769:
	s_cmp_gt_i32 s2, 28
	s_cbranch_scc0 .LBB206_1784
; %bb.1770:
	s_cmp_gt_i32 s2, 43
	;; [unrolled: 3-line block ×3, first 2 shown]
	s_cbranch_scc0 .LBB206_1774
; %bb.1772:
	s_mov_b32 s0, -1
	s_mov_b32 s8, 0
	s_cmp_eq_u32 s2, 46
	s_cbranch_scc0 .LBB206_1774
; %bb.1773:
	v_bfe_i32 v1, v9, 0, 16
	s_mov_b32 s0, 0
	s_mov_b32 s7, -1
	s_delay_alu instid0(VALU_DEP_1) | instskip(NEXT) | instid1(VALU_DEP_1)
	v_cvt_f32_i32_e32 v1, v1
	v_bfe_u32 v4, v1, 16, 1
	s_delay_alu instid0(VALU_DEP_1) | instskip(NEXT) | instid1(VALU_DEP_1)
	v_add3_u32 v1, v1, v4, 0x7fff
	v_lshrrev_b32_e32 v1, 16, v1
	global_store_b32 v[2:3], v1, off
.LBB206_1774:
	s_and_b32 vcc_lo, exec_lo, s8
	s_cbranch_vccz .LBB206_1779
; %bb.1775:
	s_cmp_eq_u32 s2, 44
	s_mov_b32 s0, -1
	s_cbranch_scc0 .LBB206_1779
; %bb.1776:
	s_wait_xcnt 0x0
	v_bfe_i32 v1, v9, 0, 16
	v_mov_b32_e32 v4, 0xff
	s_mov_b32 s7, exec_lo
	s_delay_alu instid0(VALU_DEP_2) | instskip(NEXT) | instid1(VALU_DEP_1)
	v_cvt_f32_i32_e32 v1, v1
	v_bfe_u32 v5, v1, 23, 8
	s_delay_alu instid0(VALU_DEP_1)
	v_cmpx_ne_u32_e32 0xff, v5
	s_cbranch_execz .LBB206_1778
; %bb.1777:
	v_and_b32_e32 v4, 0x400000, v1
	v_and_or_b32 v5, 0x3fffff, v1, v5
	v_lshrrev_b32_e32 v1, 23, v1
	s_delay_alu instid0(VALU_DEP_3) | instskip(NEXT) | instid1(VALU_DEP_3)
	v_cmp_ne_u32_e32 vcc_lo, 0, v4
	v_cmp_ne_u32_e64 s0, 0, v5
	s_and_b32 s0, vcc_lo, s0
	s_delay_alu instid0(SALU_CYCLE_1) | instskip(NEXT) | instid1(VALU_DEP_1)
	v_cndmask_b32_e64 v4, 0, 1, s0
	v_add_nc_u32_e32 v4, v1, v4
.LBB206_1778:
	s_or_b32 exec_lo, exec_lo, s7
	s_mov_b32 s0, 0
	s_mov_b32 s7, -1
	global_store_b8 v[2:3], v4, off
.LBB206_1779:
	s_mov_b32 s8, 0
.LBB206_1780:
	s_delay_alu instid0(SALU_CYCLE_1)
	s_and_b32 vcc_lo, exec_lo, s8
	s_cbranch_vccz .LBB206_1783
; %bb.1781:
	s_cmp_eq_u32 s2, 29
	s_mov_b32 s0, -1
	s_cbranch_scc0 .LBB206_1783
; %bb.1782:
	s_wait_xcnt 0x0
	v_bfe_i32 v4, v9, 0, 16
	s_mov_b32 s0, 0
	s_mov_b32 s7, -1
	s_delay_alu instid0(VALU_DEP_1)
	v_ashrrev_i32_e32 v5, 31, v4
	global_store_b64 v[2:3], v[4:5], off
.LBB206_1783:
	s_mov_b32 s8, 0
.LBB206_1784:
	s_delay_alu instid0(SALU_CYCLE_1)
	s_and_b32 vcc_lo, exec_lo, s8
	s_cbranch_vccz .LBB206_1800
; %bb.1785:
	s_cmp_lt_i32 s2, 27
	s_mov_b32 s7, -1
	s_cbranch_scc1 .LBB206_1791
; %bb.1786:
	s_cmp_gt_i32 s2, 27
	s_cbranch_scc0 .LBB206_1788
; %bb.1787:
	s_wait_xcnt 0x0
	v_bfe_i32 v1, v9, 0, 16
	s_mov_b32 s7, 0
	global_store_b32 v[2:3], v1, off
.LBB206_1788:
	s_and_not1_b32 vcc_lo, exec_lo, s7
	s_cbranch_vccnz .LBB206_1790
; %bb.1789:
	global_store_b16 v[2:3], v9, off
.LBB206_1790:
	s_mov_b32 s7, 0
.LBB206_1791:
	s_delay_alu instid0(SALU_CYCLE_1)
	s_and_not1_b32 vcc_lo, exec_lo, s7
	s_cbranch_vccnz .LBB206_1799
; %bb.1792:
	s_wait_xcnt 0x0
	v_bfe_i32 v1, v9, 0, 16
	v_mov_b32_e32 v5, 0x80
	s_mov_b32 s7, exec_lo
	s_delay_alu instid0(VALU_DEP_2) | instskip(NEXT) | instid1(VALU_DEP_1)
	v_cvt_f32_i32_e32 v1, v1
	v_and_b32_e32 v4, 0x7fffffff, v1
	s_delay_alu instid0(VALU_DEP_1)
	v_cmpx_gt_u32_e32 0x43800000, v4
	s_cbranch_execz .LBB206_1798
; %bb.1793:
	v_cmp_lt_u32_e32 vcc_lo, 0x3bffffff, v4
	s_mov_b32 s8, 0
                                        ; implicit-def: $vgpr4
	s_and_saveexec_b32 s9, vcc_lo
	s_delay_alu instid0(SALU_CYCLE_1)
	s_xor_b32 s9, exec_lo, s9
	s_cbranch_execz .LBB206_2089
; %bb.1794:
	v_bfe_u32 v4, v1, 20, 1
	s_mov_b32 s8, exec_lo
	s_delay_alu instid0(VALU_DEP_1) | instskip(NEXT) | instid1(VALU_DEP_1)
	v_add3_u32 v4, v1, v4, 0x487ffff
	v_lshrrev_b32_e32 v4, 20, v4
	s_and_not1_saveexec_b32 s9, s9
	s_cbranch_execnz .LBB206_2090
.LBB206_1795:
	s_or_b32 exec_lo, exec_lo, s9
	v_mov_b32_e32 v5, 0
	s_and_saveexec_b32 s9, s8
.LBB206_1796:
	v_lshrrev_b32_e32 v1, 24, v1
	s_delay_alu instid0(VALU_DEP_1)
	v_and_or_b32 v5, 0x80, v1, v4
.LBB206_1797:
	s_or_b32 exec_lo, exec_lo, s9
.LBB206_1798:
	s_delay_alu instid0(SALU_CYCLE_1)
	s_or_b32 exec_lo, exec_lo, s7
	global_store_b8 v[2:3], v5, off
.LBB206_1799:
	s_mov_b32 s7, -1
.LBB206_1800:
	s_mov_b32 s8, 0
.LBB206_1801:
	s_delay_alu instid0(SALU_CYCLE_1)
	s_and_b32 vcc_lo, exec_lo, s8
	s_cbranch_vccz .LBB206_1841
; %bb.1802:
	s_cmp_gt_i32 s2, 22
	s_mov_b32 s6, -1
	s_cbranch_scc0 .LBB206_1834
; %bb.1803:
	s_cmp_lt_i32 s2, 24
	s_cbranch_scc1 .LBB206_1823
; %bb.1804:
	s_cmp_gt_i32 s2, 24
	s_cbranch_scc0 .LBB206_1812
; %bb.1805:
	s_wait_xcnt 0x0
	v_bfe_i32 v1, v9, 0, 16
	v_mov_b32_e32 v5, 0x80
	s_mov_b32 s6, exec_lo
	s_delay_alu instid0(VALU_DEP_2) | instskip(NEXT) | instid1(VALU_DEP_1)
	v_cvt_f32_i32_e32 v1, v1
	v_and_b32_e32 v4, 0x7fffffff, v1
	s_delay_alu instid0(VALU_DEP_1)
	v_cmpx_gt_u32_e32 0x47800000, v4
	s_cbranch_execz .LBB206_1811
; %bb.1806:
	v_cmp_lt_u32_e32 vcc_lo, 0x37ffffff, v4
	s_mov_b32 s7, 0
                                        ; implicit-def: $vgpr4
	s_and_saveexec_b32 s8, vcc_lo
	s_delay_alu instid0(SALU_CYCLE_1)
	s_xor_b32 s8, exec_lo, s8
	s_cbranch_execz .LBB206_2092
; %bb.1807:
	v_bfe_u32 v4, v1, 21, 1
	s_mov_b32 s7, exec_lo
	s_delay_alu instid0(VALU_DEP_1) | instskip(NEXT) | instid1(VALU_DEP_1)
	v_add3_u32 v4, v1, v4, 0x88fffff
	v_lshrrev_b32_e32 v4, 21, v4
	s_and_not1_saveexec_b32 s8, s8
	s_cbranch_execnz .LBB206_2093
.LBB206_1808:
	s_or_b32 exec_lo, exec_lo, s8
	v_mov_b32_e32 v5, 0
	s_and_saveexec_b32 s8, s7
.LBB206_1809:
	v_lshrrev_b32_e32 v1, 24, v1
	s_delay_alu instid0(VALU_DEP_1)
	v_and_or_b32 v5, 0x80, v1, v4
.LBB206_1810:
	s_or_b32 exec_lo, exec_lo, s8
.LBB206_1811:
	s_delay_alu instid0(SALU_CYCLE_1)
	s_or_b32 exec_lo, exec_lo, s6
	s_mov_b32 s6, 0
	global_store_b8 v[2:3], v5, off
.LBB206_1812:
	s_and_b32 vcc_lo, exec_lo, s6
	s_cbranch_vccz .LBB206_1822
; %bb.1813:
	s_wait_xcnt 0x0
	v_bfe_i32 v1, v9, 0, 16
	s_mov_b32 s6, exec_lo
                                        ; implicit-def: $vgpr4
	s_delay_alu instid0(VALU_DEP_1) | instskip(NEXT) | instid1(VALU_DEP_1)
	v_cvt_f32_i32_e32 v1, v1
	v_and_b32_e32 v5, 0x7fffffff, v1
	s_delay_alu instid0(VALU_DEP_1)
	v_cmpx_gt_u32_e32 0x43f00000, v5
	s_xor_b32 s6, exec_lo, s6
	s_cbranch_execz .LBB206_1819
; %bb.1814:
	s_mov_b32 s7, exec_lo
                                        ; implicit-def: $vgpr4
	v_cmpx_lt_u32_e32 0x3c7fffff, v5
	s_xor_b32 s7, exec_lo, s7
; %bb.1815:
	v_bfe_u32 v4, v1, 20, 1
	s_delay_alu instid0(VALU_DEP_1) | instskip(NEXT) | instid1(VALU_DEP_1)
	v_add3_u32 v4, v1, v4, 0x407ffff
	v_and_b32_e32 v5, 0xff00000, v4
	v_lshrrev_b32_e32 v4, 20, v4
	s_delay_alu instid0(VALU_DEP_2) | instskip(NEXT) | instid1(VALU_DEP_2)
	v_cmp_ne_u32_e32 vcc_lo, 0x7f00000, v5
	v_cndmask_b32_e32 v4, 0x7e, v4, vcc_lo
; %bb.1816:
	s_and_not1_saveexec_b32 s7, s7
; %bb.1817:
	v_add_f32_e64 v4, 0x46800000, |v1|
; %bb.1818:
	s_or_b32 exec_lo, exec_lo, s7
                                        ; implicit-def: $vgpr5
.LBB206_1819:
	s_and_not1_saveexec_b32 s6, s6
; %bb.1820:
	v_mov_b32_e32 v4, 0x7f
	v_cmp_lt_u32_e32 vcc_lo, 0x7f800000, v5
	s_delay_alu instid0(VALU_DEP_2)
	v_cndmask_b32_e32 v4, 0x7e, v4, vcc_lo
; %bb.1821:
	s_or_b32 exec_lo, exec_lo, s6
	v_lshrrev_b32_e32 v1, 24, v1
	s_delay_alu instid0(VALU_DEP_1)
	v_and_or_b32 v1, 0x80, v1, v4
	global_store_b8 v[2:3], v1, off
.LBB206_1822:
	s_mov_b32 s6, 0
.LBB206_1823:
	s_delay_alu instid0(SALU_CYCLE_1)
	s_and_not1_b32 vcc_lo, exec_lo, s6
	s_cbranch_vccnz .LBB206_1833
; %bb.1824:
	s_wait_xcnt 0x0
	v_bfe_i32 v1, v9, 0, 16
	s_mov_b32 s6, exec_lo
                                        ; implicit-def: $vgpr4
	s_delay_alu instid0(VALU_DEP_1) | instskip(NEXT) | instid1(VALU_DEP_1)
	v_cvt_f32_i32_e32 v1, v1
	v_and_b32_e32 v5, 0x7fffffff, v1
	s_delay_alu instid0(VALU_DEP_1)
	v_cmpx_gt_u32_e32 0x47800000, v5
	s_xor_b32 s6, exec_lo, s6
	s_cbranch_execz .LBB206_1830
; %bb.1825:
	s_mov_b32 s7, exec_lo
                                        ; implicit-def: $vgpr4
	v_cmpx_lt_u32_e32 0x387fffff, v5
	s_xor_b32 s7, exec_lo, s7
; %bb.1826:
	v_bfe_u32 v4, v1, 21, 1
	s_delay_alu instid0(VALU_DEP_1) | instskip(NEXT) | instid1(VALU_DEP_1)
	v_add3_u32 v4, v1, v4, 0x80fffff
	v_lshrrev_b32_e32 v4, 21, v4
; %bb.1827:
	s_and_not1_saveexec_b32 s7, s7
; %bb.1828:
	v_add_f32_e64 v4, 0x43000000, |v1|
; %bb.1829:
	s_or_b32 exec_lo, exec_lo, s7
                                        ; implicit-def: $vgpr5
.LBB206_1830:
	s_and_not1_saveexec_b32 s6, s6
; %bb.1831:
	v_mov_b32_e32 v4, 0x7f
	v_cmp_lt_u32_e32 vcc_lo, 0x7f800000, v5
	s_delay_alu instid0(VALU_DEP_2)
	v_cndmask_b32_e32 v4, 0x7c, v4, vcc_lo
; %bb.1832:
	s_or_b32 exec_lo, exec_lo, s6
	v_lshrrev_b32_e32 v1, 24, v1
	s_delay_alu instid0(VALU_DEP_1)
	v_and_or_b32 v1, 0x80, v1, v4
	global_store_b8 v[2:3], v1, off
.LBB206_1833:
	s_mov_b32 s6, 0
	s_mov_b32 s7, -1
.LBB206_1834:
	s_and_not1_b32 vcc_lo, exec_lo, s6
	s_mov_b32 s6, 0
	s_cbranch_vccnz .LBB206_1841
; %bb.1835:
	s_cmp_gt_i32 s2, 14
	s_mov_b32 s6, -1
	s_cbranch_scc0 .LBB206_1839
; %bb.1836:
	s_cmp_eq_u32 s2, 15
	s_mov_b32 s0, -1
	s_cbranch_scc0 .LBB206_1838
; %bb.1837:
	s_wait_xcnt 0x0
	v_bfe_i32 v1, v9, 0, 16
	s_mov_b32 s0, 0
	s_mov_b32 s7, -1
	s_delay_alu instid0(VALU_DEP_1) | instskip(NEXT) | instid1(VALU_DEP_1)
	v_cvt_f32_i32_e32 v1, v1
	v_bfe_u32 v4, v1, 16, 1
	s_delay_alu instid0(VALU_DEP_1)
	v_add3_u32 v1, v1, v4, 0x7fff
	global_store_d16_hi_b16 v[2:3], v1, off
.LBB206_1838:
	s_mov_b32 s6, 0
.LBB206_1839:
	s_delay_alu instid0(SALU_CYCLE_1)
	s_and_b32 vcc_lo, exec_lo, s6
	s_mov_b32 s6, 0
	s_cbranch_vccz .LBB206_1841
; %bb.1840:
	s_cmp_lg_u32 s2, 11
	s_mov_b32 s6, -1
	s_cselect_b32 s0, -1, 0
.LBB206_1841:
	s_delay_alu instid0(SALU_CYCLE_1)
	s_and_b32 vcc_lo, exec_lo, s0
	s_cbranch_vccnz .LBB206_2091
; %bb.1842:
	s_and_not1_b32 vcc_lo, exec_lo, s6
	s_cbranch_vccnz .LBB206_1844
.LBB206_1843:
	v_cmp_ne_u16_e32 vcc_lo, 0, v9
	s_mov_b32 s7, -1
	s_wait_xcnt 0x0
	v_cndmask_b32_e64 v1, 0, 1, vcc_lo
	global_store_b8 v[2:3], v1, off
.LBB206_1844:
	s_mov_b32 s0, 0
	s_branch .LBB206_1846
.LBB206_1845:
	s_mov_b32 s0, -1
	s_mov_b32 s7, 0
.LBB206_1846:
	s_and_b32 vcc_lo, exec_lo, s0
	s_cbranch_vccz .LBB206_1885
; %bb.1847:
	s_and_b32 s0, 0xffff, s15
	s_mov_b32 s2, -1
	s_cmp_lt_i32 s0, 5
	s_cbranch_scc1 .LBB206_1868
; %bb.1848:
	s_cmp_lt_i32 s0, 8
	s_cbranch_scc1 .LBB206_1858
; %bb.1849:
	;; [unrolled: 3-line block ×3, first 2 shown]
	s_cmp_gt_i32 s0, 9
	s_cbranch_scc0 .LBB206_1852
; %bb.1851:
	s_wait_xcnt 0x0
	v_bfe_i32 v1, v9, 0, 16
	v_mov_b32_e32 v6, 0
	s_mov_b32 s2, 0
	s_delay_alu instid0(VALU_DEP_2) | instskip(NEXT) | instid1(VALU_DEP_2)
	v_cvt_f64_i32_e32 v[4:5], v1
	v_mov_b32_e32 v7, v6
	global_store_b128 v[2:3], v[4:7], off
.LBB206_1852:
	s_and_not1_b32 vcc_lo, exec_lo, s2
	s_cbranch_vccnz .LBB206_1854
; %bb.1853:
	s_wait_xcnt 0x0
	v_bfe_i32 v1, v9, 0, 16
	v_mov_b32_e32 v5, 0
	s_delay_alu instid0(VALU_DEP_2)
	v_cvt_f32_i32_e32 v4, v1
	global_store_b64 v[2:3], v[4:5], off
.LBB206_1854:
	s_mov_b32 s2, 0
.LBB206_1855:
	s_delay_alu instid0(SALU_CYCLE_1)
	s_and_not1_b32 vcc_lo, exec_lo, s2
	s_cbranch_vccnz .LBB206_1857
; %bb.1856:
	s_wait_xcnt 0x0
	v_cvt_f16_i16_e32 v1, v9
	s_delay_alu instid0(VALU_DEP_1)
	v_and_b32_e32 v1, 0xffff, v1
	global_store_b32 v[2:3], v1, off
.LBB206_1857:
	s_mov_b32 s2, 0
.LBB206_1858:
	s_delay_alu instid0(SALU_CYCLE_1)
	s_and_not1_b32 vcc_lo, exec_lo, s2
	s_cbranch_vccnz .LBB206_1867
; %bb.1859:
	s_cmp_lt_i32 s0, 6
	s_mov_b32 s2, -1
	s_cbranch_scc1 .LBB206_1865
; %bb.1860:
	s_cmp_gt_i32 s0, 6
	s_cbranch_scc0 .LBB206_1862
; %bb.1861:
	s_wait_xcnt 0x0
	v_bfe_i32 v1, v9, 0, 16
	s_mov_b32 s2, 0
	s_delay_alu instid0(VALU_DEP_1)
	v_cvt_f64_i32_e32 v[4:5], v1
	global_store_b64 v[2:3], v[4:5], off
.LBB206_1862:
	s_and_not1_b32 vcc_lo, exec_lo, s2
	s_cbranch_vccnz .LBB206_1864
; %bb.1863:
	s_wait_xcnt 0x0
	v_bfe_i32 v1, v9, 0, 16
	s_delay_alu instid0(VALU_DEP_1)
	v_cvt_f32_i32_e32 v1, v1
	global_store_b32 v[2:3], v1, off
.LBB206_1864:
	s_mov_b32 s2, 0
.LBB206_1865:
	s_delay_alu instid0(SALU_CYCLE_1)
	s_and_not1_b32 vcc_lo, exec_lo, s2
	s_cbranch_vccnz .LBB206_1867
; %bb.1866:
	s_wait_xcnt 0x0
	v_cvt_f16_i16_e32 v1, v9
	global_store_b16 v[2:3], v1, off
.LBB206_1867:
	s_mov_b32 s2, 0
.LBB206_1868:
	s_delay_alu instid0(SALU_CYCLE_1)
	s_and_not1_b32 vcc_lo, exec_lo, s2
	s_cbranch_vccnz .LBB206_1884
; %bb.1869:
	s_cmp_lt_i32 s0, 2
	s_mov_b32 s2, -1
	s_cbranch_scc1 .LBB206_1879
; %bb.1870:
	s_cmp_lt_i32 s0, 3
	s_cbranch_scc1 .LBB206_1876
; %bb.1871:
	s_wait_xcnt 0x0
	v_bfe_i32 v4, v9, 0, 16
	s_cmp_gt_i32 s0, 3
	s_cbranch_scc0 .LBB206_1873
; %bb.1872:
	s_delay_alu instid0(VALU_DEP_1)
	v_ashrrev_i32_e32 v5, 31, v4
	s_mov_b32 s2, 0
	global_store_b64 v[2:3], v[4:5], off
.LBB206_1873:
	s_and_not1_b32 vcc_lo, exec_lo, s2
	s_cbranch_vccnz .LBB206_1875
; %bb.1874:
	global_store_b32 v[2:3], v4, off
.LBB206_1875:
	s_mov_b32 s2, 0
.LBB206_1876:
	s_delay_alu instid0(SALU_CYCLE_1)
	s_and_not1_b32 vcc_lo, exec_lo, s2
	s_cbranch_vccnz .LBB206_1878
; %bb.1877:
	global_store_b16 v[2:3], v9, off
.LBB206_1878:
	s_mov_b32 s2, 0
.LBB206_1879:
	s_delay_alu instid0(SALU_CYCLE_1)
	s_and_not1_b32 vcc_lo, exec_lo, s2
	s_cbranch_vccnz .LBB206_1884
; %bb.1880:
	s_cmp_gt_i32 s0, 0
	s_mov_b32 s0, -1
	s_cbranch_scc0 .LBB206_1882
; %bb.1881:
	s_mov_b32 s0, 0
	global_store_b8 v[2:3], v9, off
.LBB206_1882:
	s_and_not1_b32 vcc_lo, exec_lo, s0
	s_cbranch_vccnz .LBB206_1884
; %bb.1883:
	global_store_b8 v[2:3], v9, off
.LBB206_1884:
	s_mov_b32 s7, -1
.LBB206_1885:
	s_delay_alu instid0(SALU_CYCLE_1)
	s_and_not1_b32 vcc_lo, exec_lo, s7
	s_cbranch_vccnz .LBB206_2081
; %bb.1886:
	v_add_nc_u32_e32 v0, s1, v0
	s_cmp_lt_i32 s15, 11
	s_wait_xcnt 0x0
	s_delay_alu instid0(VALU_DEP_1) | instskip(NEXT) | instid1(VALU_DEP_1)
	v_ashrrev_i32_e32 v1, 31, v0
	v_add_nc_u64_e32 v[2:3], s[4:5], v[0:1]
	s_cbranch_scc1 .LBB206_1964
; %bb.1887:
	s_and_b32 s2, 0xffff, s15
	s_mov_b32 s8, -1
	s_mov_b32 s6, 0
	s_cmp_gt_i32 s2, 25
	s_mov_b32 s7, 0
	s_mov_b32 s0, 0
	s_cbranch_scc0 .LBB206_1920
; %bb.1888:
	s_cmp_gt_i32 s2, 28
	s_cbranch_scc0 .LBB206_1903
; %bb.1889:
	s_cmp_gt_i32 s2, 43
	;; [unrolled: 3-line block ×3, first 2 shown]
	s_cbranch_scc0 .LBB206_1893
; %bb.1891:
	s_mov_b32 s0, -1
	s_mov_b32 s8, 0
	s_cmp_eq_u32 s2, 46
	s_cbranch_scc0 .LBB206_1893
; %bb.1892:
	v_bfe_i32 v1, v10, 0, 16
	s_mov_b32 s0, 0
	s_mov_b32 s7, -1
	s_delay_alu instid0(VALU_DEP_1) | instskip(NEXT) | instid1(VALU_DEP_1)
	v_cvt_f32_i32_e32 v1, v1
	v_bfe_u32 v4, v1, 16, 1
	s_delay_alu instid0(VALU_DEP_1) | instskip(NEXT) | instid1(VALU_DEP_1)
	v_add3_u32 v1, v1, v4, 0x7fff
	v_lshrrev_b32_e32 v1, 16, v1
	global_store_b32 v[2:3], v1, off
.LBB206_1893:
	s_and_b32 vcc_lo, exec_lo, s8
	s_cbranch_vccz .LBB206_1898
; %bb.1894:
	s_cmp_eq_u32 s2, 44
	s_mov_b32 s0, -1
	s_cbranch_scc0 .LBB206_1898
; %bb.1895:
	s_wait_xcnt 0x0
	v_bfe_i32 v1, v10, 0, 16
	v_mov_b32_e32 v4, 0xff
	s_mov_b32 s7, exec_lo
	s_delay_alu instid0(VALU_DEP_2) | instskip(NEXT) | instid1(VALU_DEP_1)
	v_cvt_f32_i32_e32 v1, v1
	v_bfe_u32 v5, v1, 23, 8
	s_delay_alu instid0(VALU_DEP_1)
	v_cmpx_ne_u32_e32 0xff, v5
	s_cbranch_execz .LBB206_1897
; %bb.1896:
	v_and_b32_e32 v4, 0x400000, v1
	v_and_or_b32 v5, 0x3fffff, v1, v5
	v_lshrrev_b32_e32 v1, 23, v1
	s_delay_alu instid0(VALU_DEP_3) | instskip(NEXT) | instid1(VALU_DEP_3)
	v_cmp_ne_u32_e32 vcc_lo, 0, v4
	v_cmp_ne_u32_e64 s0, 0, v5
	s_and_b32 s0, vcc_lo, s0
	s_delay_alu instid0(SALU_CYCLE_1) | instskip(NEXT) | instid1(VALU_DEP_1)
	v_cndmask_b32_e64 v4, 0, 1, s0
	v_add_nc_u32_e32 v4, v1, v4
.LBB206_1897:
	s_or_b32 exec_lo, exec_lo, s7
	s_mov_b32 s0, 0
	s_mov_b32 s7, -1
	global_store_b8 v[2:3], v4, off
.LBB206_1898:
	s_mov_b32 s8, 0
.LBB206_1899:
	s_delay_alu instid0(SALU_CYCLE_1)
	s_and_b32 vcc_lo, exec_lo, s8
	s_cbranch_vccz .LBB206_1902
; %bb.1900:
	s_cmp_eq_u32 s2, 29
	s_mov_b32 s0, -1
	s_cbranch_scc0 .LBB206_1902
; %bb.1901:
	s_wait_xcnt 0x0
	v_bfe_i32 v4, v10, 0, 16
	s_mov_b32 s0, 0
	s_mov_b32 s7, -1
	s_delay_alu instid0(VALU_DEP_1)
	v_ashrrev_i32_e32 v5, 31, v4
	global_store_b64 v[2:3], v[4:5], off
.LBB206_1902:
	s_mov_b32 s8, 0
.LBB206_1903:
	s_delay_alu instid0(SALU_CYCLE_1)
	s_and_b32 vcc_lo, exec_lo, s8
	s_cbranch_vccz .LBB206_1919
; %bb.1904:
	s_cmp_lt_i32 s2, 27
	s_mov_b32 s7, -1
	s_cbranch_scc1 .LBB206_1910
; %bb.1905:
	s_cmp_gt_i32 s2, 27
	s_cbranch_scc0 .LBB206_1907
; %bb.1906:
	s_wait_xcnt 0x0
	v_bfe_i32 v1, v10, 0, 16
	s_mov_b32 s7, 0
	global_store_b32 v[2:3], v1, off
.LBB206_1907:
	s_and_not1_b32 vcc_lo, exec_lo, s7
	s_cbranch_vccnz .LBB206_1909
; %bb.1908:
	global_store_b16 v[2:3], v10, off
.LBB206_1909:
	s_mov_b32 s7, 0
.LBB206_1910:
	s_delay_alu instid0(SALU_CYCLE_1)
	s_and_not1_b32 vcc_lo, exec_lo, s7
	s_cbranch_vccnz .LBB206_1918
; %bb.1911:
	s_wait_xcnt 0x0
	v_bfe_i32 v1, v10, 0, 16
	v_mov_b32_e32 v5, 0x80
	s_mov_b32 s7, exec_lo
	s_delay_alu instid0(VALU_DEP_2) | instskip(NEXT) | instid1(VALU_DEP_1)
	v_cvt_f32_i32_e32 v1, v1
	v_and_b32_e32 v4, 0x7fffffff, v1
	s_delay_alu instid0(VALU_DEP_1)
	v_cmpx_gt_u32_e32 0x43800000, v4
	s_cbranch_execz .LBB206_1917
; %bb.1912:
	v_cmp_lt_u32_e32 vcc_lo, 0x3bffffff, v4
	s_mov_b32 s8, 0
                                        ; implicit-def: $vgpr4
	s_and_saveexec_b32 s9, vcc_lo
	s_delay_alu instid0(SALU_CYCLE_1)
	s_xor_b32 s9, exec_lo, s9
	s_cbranch_execz .LBB206_2094
; %bb.1913:
	v_bfe_u32 v4, v1, 20, 1
	s_mov_b32 s8, exec_lo
	s_delay_alu instid0(VALU_DEP_1) | instskip(NEXT) | instid1(VALU_DEP_1)
	v_add3_u32 v4, v1, v4, 0x487ffff
	v_lshrrev_b32_e32 v4, 20, v4
	s_and_not1_saveexec_b32 s9, s9
	s_cbranch_execnz .LBB206_2095
.LBB206_1914:
	s_or_b32 exec_lo, exec_lo, s9
	v_mov_b32_e32 v5, 0
	s_and_saveexec_b32 s9, s8
.LBB206_1915:
	v_lshrrev_b32_e32 v1, 24, v1
	s_delay_alu instid0(VALU_DEP_1)
	v_and_or_b32 v5, 0x80, v1, v4
.LBB206_1916:
	s_or_b32 exec_lo, exec_lo, s9
.LBB206_1917:
	s_delay_alu instid0(SALU_CYCLE_1)
	s_or_b32 exec_lo, exec_lo, s7
	global_store_b8 v[2:3], v5, off
.LBB206_1918:
	s_mov_b32 s7, -1
.LBB206_1919:
	s_mov_b32 s8, 0
.LBB206_1920:
	s_delay_alu instid0(SALU_CYCLE_1)
	s_and_b32 vcc_lo, exec_lo, s8
	s_cbranch_vccz .LBB206_1960
; %bb.1921:
	s_cmp_gt_i32 s2, 22
	s_mov_b32 s6, -1
	s_cbranch_scc0 .LBB206_1953
; %bb.1922:
	s_cmp_lt_i32 s2, 24
	s_cbranch_scc1 .LBB206_1942
; %bb.1923:
	s_cmp_gt_i32 s2, 24
	s_cbranch_scc0 .LBB206_1931
; %bb.1924:
	s_wait_xcnt 0x0
	v_bfe_i32 v1, v10, 0, 16
	v_mov_b32_e32 v5, 0x80
	s_mov_b32 s6, exec_lo
	s_delay_alu instid0(VALU_DEP_2) | instskip(NEXT) | instid1(VALU_DEP_1)
	v_cvt_f32_i32_e32 v1, v1
	v_and_b32_e32 v4, 0x7fffffff, v1
	s_delay_alu instid0(VALU_DEP_1)
	v_cmpx_gt_u32_e32 0x47800000, v4
	s_cbranch_execz .LBB206_1930
; %bb.1925:
	v_cmp_lt_u32_e32 vcc_lo, 0x37ffffff, v4
	s_mov_b32 s7, 0
                                        ; implicit-def: $vgpr4
	s_and_saveexec_b32 s8, vcc_lo
	s_delay_alu instid0(SALU_CYCLE_1)
	s_xor_b32 s8, exec_lo, s8
	s_cbranch_execz .LBB206_2097
; %bb.1926:
	v_bfe_u32 v4, v1, 21, 1
	s_mov_b32 s7, exec_lo
	s_delay_alu instid0(VALU_DEP_1) | instskip(NEXT) | instid1(VALU_DEP_1)
	v_add3_u32 v4, v1, v4, 0x88fffff
	v_lshrrev_b32_e32 v4, 21, v4
	s_and_not1_saveexec_b32 s8, s8
	s_cbranch_execnz .LBB206_2098
.LBB206_1927:
	s_or_b32 exec_lo, exec_lo, s8
	v_mov_b32_e32 v5, 0
	s_and_saveexec_b32 s8, s7
.LBB206_1928:
	v_lshrrev_b32_e32 v1, 24, v1
	s_delay_alu instid0(VALU_DEP_1)
	v_and_or_b32 v5, 0x80, v1, v4
.LBB206_1929:
	s_or_b32 exec_lo, exec_lo, s8
.LBB206_1930:
	s_delay_alu instid0(SALU_CYCLE_1)
	s_or_b32 exec_lo, exec_lo, s6
	s_mov_b32 s6, 0
	global_store_b8 v[2:3], v5, off
.LBB206_1931:
	s_and_b32 vcc_lo, exec_lo, s6
	s_cbranch_vccz .LBB206_1941
; %bb.1932:
	s_wait_xcnt 0x0
	v_bfe_i32 v1, v10, 0, 16
	s_mov_b32 s6, exec_lo
                                        ; implicit-def: $vgpr4
	s_delay_alu instid0(VALU_DEP_1) | instskip(NEXT) | instid1(VALU_DEP_1)
	v_cvt_f32_i32_e32 v1, v1
	v_and_b32_e32 v5, 0x7fffffff, v1
	s_delay_alu instid0(VALU_DEP_1)
	v_cmpx_gt_u32_e32 0x43f00000, v5
	s_xor_b32 s6, exec_lo, s6
	s_cbranch_execz .LBB206_1938
; %bb.1933:
	s_mov_b32 s7, exec_lo
                                        ; implicit-def: $vgpr4
	v_cmpx_lt_u32_e32 0x3c7fffff, v5
	s_xor_b32 s7, exec_lo, s7
; %bb.1934:
	v_bfe_u32 v4, v1, 20, 1
	s_delay_alu instid0(VALU_DEP_1) | instskip(NEXT) | instid1(VALU_DEP_1)
	v_add3_u32 v4, v1, v4, 0x407ffff
	v_and_b32_e32 v5, 0xff00000, v4
	v_lshrrev_b32_e32 v4, 20, v4
	s_delay_alu instid0(VALU_DEP_2) | instskip(NEXT) | instid1(VALU_DEP_2)
	v_cmp_ne_u32_e32 vcc_lo, 0x7f00000, v5
	v_cndmask_b32_e32 v4, 0x7e, v4, vcc_lo
; %bb.1935:
	s_and_not1_saveexec_b32 s7, s7
; %bb.1936:
	v_add_f32_e64 v4, 0x46800000, |v1|
; %bb.1937:
	s_or_b32 exec_lo, exec_lo, s7
                                        ; implicit-def: $vgpr5
.LBB206_1938:
	s_and_not1_saveexec_b32 s6, s6
; %bb.1939:
	v_mov_b32_e32 v4, 0x7f
	v_cmp_lt_u32_e32 vcc_lo, 0x7f800000, v5
	s_delay_alu instid0(VALU_DEP_2)
	v_cndmask_b32_e32 v4, 0x7e, v4, vcc_lo
; %bb.1940:
	s_or_b32 exec_lo, exec_lo, s6
	v_lshrrev_b32_e32 v1, 24, v1
	s_delay_alu instid0(VALU_DEP_1)
	v_and_or_b32 v1, 0x80, v1, v4
	global_store_b8 v[2:3], v1, off
.LBB206_1941:
	s_mov_b32 s6, 0
.LBB206_1942:
	s_delay_alu instid0(SALU_CYCLE_1)
	s_and_not1_b32 vcc_lo, exec_lo, s6
	s_cbranch_vccnz .LBB206_1952
; %bb.1943:
	s_wait_xcnt 0x0
	v_bfe_i32 v1, v10, 0, 16
	s_mov_b32 s6, exec_lo
                                        ; implicit-def: $vgpr4
	s_delay_alu instid0(VALU_DEP_1) | instskip(NEXT) | instid1(VALU_DEP_1)
	v_cvt_f32_i32_e32 v1, v1
	v_and_b32_e32 v5, 0x7fffffff, v1
	s_delay_alu instid0(VALU_DEP_1)
	v_cmpx_gt_u32_e32 0x47800000, v5
	s_xor_b32 s6, exec_lo, s6
	s_cbranch_execz .LBB206_1949
; %bb.1944:
	s_mov_b32 s7, exec_lo
                                        ; implicit-def: $vgpr4
	v_cmpx_lt_u32_e32 0x387fffff, v5
	s_xor_b32 s7, exec_lo, s7
; %bb.1945:
	v_bfe_u32 v4, v1, 21, 1
	s_delay_alu instid0(VALU_DEP_1) | instskip(NEXT) | instid1(VALU_DEP_1)
	v_add3_u32 v4, v1, v4, 0x80fffff
	v_lshrrev_b32_e32 v4, 21, v4
; %bb.1946:
	s_and_not1_saveexec_b32 s7, s7
; %bb.1947:
	v_add_f32_e64 v4, 0x43000000, |v1|
; %bb.1948:
	s_or_b32 exec_lo, exec_lo, s7
                                        ; implicit-def: $vgpr5
.LBB206_1949:
	s_and_not1_saveexec_b32 s6, s6
; %bb.1950:
	v_mov_b32_e32 v4, 0x7f
	v_cmp_lt_u32_e32 vcc_lo, 0x7f800000, v5
	s_delay_alu instid0(VALU_DEP_2)
	v_cndmask_b32_e32 v4, 0x7c, v4, vcc_lo
; %bb.1951:
	s_or_b32 exec_lo, exec_lo, s6
	v_lshrrev_b32_e32 v1, 24, v1
	s_delay_alu instid0(VALU_DEP_1)
	v_and_or_b32 v1, 0x80, v1, v4
	global_store_b8 v[2:3], v1, off
.LBB206_1952:
	s_mov_b32 s6, 0
	s_mov_b32 s7, -1
.LBB206_1953:
	s_and_not1_b32 vcc_lo, exec_lo, s6
	s_mov_b32 s6, 0
	s_cbranch_vccnz .LBB206_1960
; %bb.1954:
	s_cmp_gt_i32 s2, 14
	s_mov_b32 s6, -1
	s_cbranch_scc0 .LBB206_1958
; %bb.1955:
	s_cmp_eq_u32 s2, 15
	s_mov_b32 s0, -1
	s_cbranch_scc0 .LBB206_1957
; %bb.1956:
	s_wait_xcnt 0x0
	v_bfe_i32 v1, v10, 0, 16
	s_mov_b32 s0, 0
	s_mov_b32 s7, -1
	s_delay_alu instid0(VALU_DEP_1) | instskip(NEXT) | instid1(VALU_DEP_1)
	v_cvt_f32_i32_e32 v1, v1
	v_bfe_u32 v4, v1, 16, 1
	s_delay_alu instid0(VALU_DEP_1)
	v_add3_u32 v1, v1, v4, 0x7fff
	global_store_d16_hi_b16 v[2:3], v1, off
.LBB206_1957:
	s_mov_b32 s6, 0
.LBB206_1958:
	s_delay_alu instid0(SALU_CYCLE_1)
	s_and_b32 vcc_lo, exec_lo, s6
	s_mov_b32 s6, 0
	s_cbranch_vccz .LBB206_1960
; %bb.1959:
	s_cmp_lg_u32 s2, 11
	s_mov_b32 s6, -1
	s_cselect_b32 s0, -1, 0
.LBB206_1960:
	s_delay_alu instid0(SALU_CYCLE_1)
	s_and_b32 vcc_lo, exec_lo, s0
	s_cbranch_vccnz .LBB206_2096
; %bb.1961:
	s_and_not1_b32 vcc_lo, exec_lo, s6
	s_cbranch_vccnz .LBB206_1963
.LBB206_1962:
	v_cmp_ne_u16_e32 vcc_lo, 0, v10
	s_mov_b32 s7, -1
	s_wait_xcnt 0x0
	v_cndmask_b32_e64 v1, 0, 1, vcc_lo
	global_store_b8 v[2:3], v1, off
.LBB206_1963:
	s_mov_b32 s0, 0
	s_branch .LBB206_1965
.LBB206_1964:
	s_mov_b32 s0, -1
	s_mov_b32 s7, 0
.LBB206_1965:
	s_and_b32 vcc_lo, exec_lo, s0
	s_cbranch_vccz .LBB206_2004
; %bb.1966:
	s_and_b32 s0, 0xffff, s15
	s_mov_b32 s2, -1
	s_cmp_lt_i32 s0, 5
	s_cbranch_scc1 .LBB206_1987
; %bb.1967:
	s_cmp_lt_i32 s0, 8
	s_cbranch_scc1 .LBB206_1977
; %bb.1968:
	;; [unrolled: 3-line block ×3, first 2 shown]
	s_cmp_gt_i32 s0, 9
	s_cbranch_scc0 .LBB206_1971
; %bb.1970:
	s_wait_xcnt 0x0
	v_bfe_i32 v1, v10, 0, 16
	v_mov_b32_e32 v6, 0
	s_mov_b32 s2, 0
	s_delay_alu instid0(VALU_DEP_2) | instskip(NEXT) | instid1(VALU_DEP_2)
	v_cvt_f64_i32_e32 v[4:5], v1
	v_mov_b32_e32 v7, v6
	global_store_b128 v[2:3], v[4:7], off
.LBB206_1971:
	s_and_not1_b32 vcc_lo, exec_lo, s2
	s_cbranch_vccnz .LBB206_1973
; %bb.1972:
	s_wait_xcnt 0x0
	v_bfe_i32 v1, v10, 0, 16
	v_mov_b32_e32 v5, 0
	s_delay_alu instid0(VALU_DEP_2)
	v_cvt_f32_i32_e32 v4, v1
	global_store_b64 v[2:3], v[4:5], off
.LBB206_1973:
	s_mov_b32 s2, 0
.LBB206_1974:
	s_delay_alu instid0(SALU_CYCLE_1)
	s_and_not1_b32 vcc_lo, exec_lo, s2
	s_cbranch_vccnz .LBB206_1976
; %bb.1975:
	s_wait_xcnt 0x0
	v_cvt_f16_i16_e32 v1, v10
	s_delay_alu instid0(VALU_DEP_1)
	v_and_b32_e32 v1, 0xffff, v1
	global_store_b32 v[2:3], v1, off
.LBB206_1976:
	s_mov_b32 s2, 0
.LBB206_1977:
	s_delay_alu instid0(SALU_CYCLE_1)
	s_and_not1_b32 vcc_lo, exec_lo, s2
	s_cbranch_vccnz .LBB206_1986
; %bb.1978:
	s_cmp_lt_i32 s0, 6
	s_mov_b32 s2, -1
	s_cbranch_scc1 .LBB206_1984
; %bb.1979:
	s_cmp_gt_i32 s0, 6
	s_cbranch_scc0 .LBB206_1981
; %bb.1980:
	s_wait_xcnt 0x0
	v_bfe_i32 v1, v10, 0, 16
	s_mov_b32 s2, 0
	s_delay_alu instid0(VALU_DEP_1)
	v_cvt_f64_i32_e32 v[4:5], v1
	global_store_b64 v[2:3], v[4:5], off
.LBB206_1981:
	s_and_not1_b32 vcc_lo, exec_lo, s2
	s_cbranch_vccnz .LBB206_1983
; %bb.1982:
	s_wait_xcnt 0x0
	v_bfe_i32 v1, v10, 0, 16
	s_delay_alu instid0(VALU_DEP_1)
	v_cvt_f32_i32_e32 v1, v1
	global_store_b32 v[2:3], v1, off
.LBB206_1983:
	s_mov_b32 s2, 0
.LBB206_1984:
	s_delay_alu instid0(SALU_CYCLE_1)
	s_and_not1_b32 vcc_lo, exec_lo, s2
	s_cbranch_vccnz .LBB206_1986
; %bb.1985:
	s_wait_xcnt 0x0
	v_cvt_f16_i16_e32 v1, v10
	global_store_b16 v[2:3], v1, off
.LBB206_1986:
	s_mov_b32 s2, 0
.LBB206_1987:
	s_delay_alu instid0(SALU_CYCLE_1)
	s_and_not1_b32 vcc_lo, exec_lo, s2
	s_cbranch_vccnz .LBB206_2003
; %bb.1988:
	s_cmp_lt_i32 s0, 2
	s_mov_b32 s2, -1
	s_cbranch_scc1 .LBB206_1998
; %bb.1989:
	s_cmp_lt_i32 s0, 3
	s_cbranch_scc1 .LBB206_1995
; %bb.1990:
	s_wait_xcnt 0x0
	v_bfe_i32 v4, v10, 0, 16
	s_cmp_gt_i32 s0, 3
	s_cbranch_scc0 .LBB206_1992
; %bb.1991:
	s_delay_alu instid0(VALU_DEP_1)
	v_ashrrev_i32_e32 v5, 31, v4
	s_mov_b32 s2, 0
	global_store_b64 v[2:3], v[4:5], off
.LBB206_1992:
	s_and_not1_b32 vcc_lo, exec_lo, s2
	s_cbranch_vccnz .LBB206_1994
; %bb.1993:
	global_store_b32 v[2:3], v4, off
.LBB206_1994:
	s_mov_b32 s2, 0
.LBB206_1995:
	s_delay_alu instid0(SALU_CYCLE_1)
	s_and_not1_b32 vcc_lo, exec_lo, s2
	s_cbranch_vccnz .LBB206_1997
; %bb.1996:
	global_store_b16 v[2:3], v10, off
.LBB206_1997:
	s_mov_b32 s2, 0
.LBB206_1998:
	s_delay_alu instid0(SALU_CYCLE_1)
	s_and_not1_b32 vcc_lo, exec_lo, s2
	s_cbranch_vccnz .LBB206_2003
; %bb.1999:
	s_cmp_gt_i32 s0, 0
	s_mov_b32 s0, -1
	s_cbranch_scc0 .LBB206_2001
; %bb.2000:
	s_mov_b32 s0, 0
	global_store_b8 v[2:3], v10, off
.LBB206_2001:
	s_and_not1_b32 vcc_lo, exec_lo, s0
	s_cbranch_vccnz .LBB206_2003
; %bb.2002:
	global_store_b8 v[2:3], v10, off
.LBB206_2003:
	s_mov_b32 s7, -1
.LBB206_2004:
	s_delay_alu instid0(SALU_CYCLE_1)
	s_and_not1_b32 vcc_lo, exec_lo, s7
	s_cbranch_vccnz .LBB206_2081
; %bb.2005:
	v_add_nc_u32_e32 v0, s1, v0
	s_cmp_lt_i32 s15, 11
	s_wait_xcnt 0x0
	s_delay_alu instid0(VALU_DEP_1) | instskip(NEXT) | instid1(VALU_DEP_1)
	v_ashrrev_i32_e32 v1, 31, v0
	v_add_nc_u64_e32 v[0:1], s[4:5], v[0:1]
	s_cbranch_scc1 .LBB206_2082
; %bb.2006:
	s_and_b32 s1, 0xffff, s15
	s_mov_b32 s4, -1
	s_mov_b32 s2, 0
	s_cmp_gt_i32 s1, 25
	s_mov_b32 s0, 0
	s_cbranch_scc0 .LBB206_2039
; %bb.2007:
	s_cmp_gt_i32 s1, 28
	s_cbranch_scc0 .LBB206_2023
; %bb.2008:
	s_cmp_gt_i32 s1, 43
	;; [unrolled: 3-line block ×3, first 2 shown]
	s_cbranch_scc0 .LBB206_2013
; %bb.2010:
	s_cmp_eq_u32 s1, 46
	s_mov_b32 s0, -1
	s_cbranch_scc0 .LBB206_2012
; %bb.2011:
	v_bfe_i32 v2, v8, 0, 16
	s_mov_b32 s0, 0
	s_delay_alu instid0(VALU_DEP_1) | instskip(NEXT) | instid1(VALU_DEP_1)
	v_cvt_f32_i32_e32 v2, v2
	v_bfe_u32 v3, v2, 16, 1
	s_delay_alu instid0(VALU_DEP_1) | instskip(NEXT) | instid1(VALU_DEP_1)
	v_add3_u32 v2, v2, v3, 0x7fff
	v_lshrrev_b32_e32 v2, 16, v2
	global_store_b32 v[0:1], v2, off
.LBB206_2012:
	s_mov_b32 s4, 0
.LBB206_2013:
	s_delay_alu instid0(SALU_CYCLE_1)
	s_and_b32 vcc_lo, exec_lo, s4
	s_cbranch_vccz .LBB206_2018
; %bb.2014:
	s_cmp_eq_u32 s1, 44
	s_mov_b32 s0, -1
	s_cbranch_scc0 .LBB206_2018
; %bb.2015:
	s_wait_xcnt 0x0
	v_bfe_i32 v2, v8, 0, 16
	v_mov_b32_e32 v3, 0xff
	s_mov_b32 s4, exec_lo
	s_delay_alu instid0(VALU_DEP_2) | instskip(NEXT) | instid1(VALU_DEP_1)
	v_cvt_f32_i32_e32 v2, v2
	v_bfe_u32 v4, v2, 23, 8
	s_delay_alu instid0(VALU_DEP_1)
	v_cmpx_ne_u32_e32 0xff, v4
	s_cbranch_execz .LBB206_2017
; %bb.2016:
	v_and_b32_e32 v3, 0x400000, v2
	v_and_or_b32 v4, 0x3fffff, v2, v4
	v_lshrrev_b32_e32 v2, 23, v2
	s_delay_alu instid0(VALU_DEP_3) | instskip(NEXT) | instid1(VALU_DEP_3)
	v_cmp_ne_u32_e32 vcc_lo, 0, v3
	v_cmp_ne_u32_e64 s0, 0, v4
	s_and_b32 s0, vcc_lo, s0
	s_delay_alu instid0(SALU_CYCLE_1) | instskip(NEXT) | instid1(VALU_DEP_1)
	v_cndmask_b32_e64 v3, 0, 1, s0
	v_add_nc_u32_e32 v3, v2, v3
.LBB206_2017:
	s_or_b32 exec_lo, exec_lo, s4
	s_mov_b32 s0, 0
	global_store_b8 v[0:1], v3, off
.LBB206_2018:
	s_mov_b32 s4, 0
.LBB206_2019:
	s_delay_alu instid0(SALU_CYCLE_1)
	s_and_b32 vcc_lo, exec_lo, s4
	s_cbranch_vccz .LBB206_2022
; %bb.2020:
	s_cmp_eq_u32 s1, 29
	s_mov_b32 s0, -1
	s_cbranch_scc0 .LBB206_2022
; %bb.2021:
	s_wait_xcnt 0x0
	v_bfe_i32 v2, v8, 0, 16
	s_mov_b32 s0, 0
	s_delay_alu instid0(VALU_DEP_1)
	v_ashrrev_i32_e32 v3, 31, v2
	global_store_b64 v[0:1], v[2:3], off
.LBB206_2022:
	s_mov_b32 s4, 0
.LBB206_2023:
	s_delay_alu instid0(SALU_CYCLE_1)
	s_and_b32 vcc_lo, exec_lo, s4
	s_cbranch_vccz .LBB206_2038
; %bb.2024:
	s_cmp_lt_i32 s1, 27
	s_mov_b32 s4, -1
	s_cbranch_scc1 .LBB206_2030
; %bb.2025:
	s_cmp_gt_i32 s1, 27
	s_cbranch_scc0 .LBB206_2027
; %bb.2026:
	s_wait_xcnt 0x0
	v_bfe_i32 v2, v8, 0, 16
	s_mov_b32 s4, 0
	global_store_b32 v[0:1], v2, off
.LBB206_2027:
	s_and_not1_b32 vcc_lo, exec_lo, s4
	s_cbranch_vccnz .LBB206_2029
; %bb.2028:
	global_store_b16 v[0:1], v8, off
.LBB206_2029:
	s_mov_b32 s4, 0
.LBB206_2030:
	s_delay_alu instid0(SALU_CYCLE_1)
	s_and_not1_b32 vcc_lo, exec_lo, s4
	s_cbranch_vccnz .LBB206_2038
; %bb.2031:
	s_wait_xcnt 0x0
	v_bfe_i32 v2, v8, 0, 16
	v_mov_b32_e32 v4, 0x80
	s_mov_b32 s4, exec_lo
	s_delay_alu instid0(VALU_DEP_2) | instskip(NEXT) | instid1(VALU_DEP_1)
	v_cvt_f32_i32_e32 v2, v2
	v_and_b32_e32 v3, 0x7fffffff, v2
	s_delay_alu instid0(VALU_DEP_1)
	v_cmpx_gt_u32_e32 0x43800000, v3
	s_cbranch_execz .LBB206_2037
; %bb.2032:
	v_cmp_lt_u32_e32 vcc_lo, 0x3bffffff, v3
	s_mov_b32 s5, 0
                                        ; implicit-def: $vgpr3
	s_and_saveexec_b32 s6, vcc_lo
	s_delay_alu instid0(SALU_CYCLE_1)
	s_xor_b32 s6, exec_lo, s6
	s_cbranch_execz .LBB206_2099
; %bb.2033:
	v_bfe_u32 v3, v2, 20, 1
	s_mov_b32 s5, exec_lo
	s_delay_alu instid0(VALU_DEP_1) | instskip(NEXT) | instid1(VALU_DEP_1)
	v_add3_u32 v3, v2, v3, 0x487ffff
	v_lshrrev_b32_e32 v3, 20, v3
	s_and_not1_saveexec_b32 s6, s6
	s_cbranch_execnz .LBB206_2100
.LBB206_2034:
	s_or_b32 exec_lo, exec_lo, s6
	v_mov_b32_e32 v4, 0
	s_and_saveexec_b32 s6, s5
.LBB206_2035:
	v_lshrrev_b32_e32 v2, 24, v2
	s_delay_alu instid0(VALU_DEP_1)
	v_and_or_b32 v4, 0x80, v2, v3
.LBB206_2036:
	s_or_b32 exec_lo, exec_lo, s6
.LBB206_2037:
	s_delay_alu instid0(SALU_CYCLE_1)
	s_or_b32 exec_lo, exec_lo, s4
	global_store_b8 v[0:1], v4, off
.LBB206_2038:
	s_mov_b32 s4, 0
.LBB206_2039:
	s_delay_alu instid0(SALU_CYCLE_1)
	s_and_b32 vcc_lo, exec_lo, s4
	s_cbranch_vccz .LBB206_2079
; %bb.2040:
	s_cmp_gt_i32 s1, 22
	s_mov_b32 s2, -1
	s_cbranch_scc0 .LBB206_2072
; %bb.2041:
	s_cmp_lt_i32 s1, 24
	s_cbranch_scc1 .LBB206_2061
; %bb.2042:
	s_cmp_gt_i32 s1, 24
	s_cbranch_scc0 .LBB206_2050
; %bb.2043:
	s_wait_xcnt 0x0
	v_bfe_i32 v2, v8, 0, 16
	v_mov_b32_e32 v4, 0x80
	s_mov_b32 s2, exec_lo
	s_delay_alu instid0(VALU_DEP_2) | instskip(NEXT) | instid1(VALU_DEP_1)
	v_cvt_f32_i32_e32 v2, v2
	v_and_b32_e32 v3, 0x7fffffff, v2
	s_delay_alu instid0(VALU_DEP_1)
	v_cmpx_gt_u32_e32 0x47800000, v3
	s_cbranch_execz .LBB206_2049
; %bb.2044:
	v_cmp_lt_u32_e32 vcc_lo, 0x37ffffff, v3
	s_mov_b32 s4, 0
                                        ; implicit-def: $vgpr3
	s_and_saveexec_b32 s5, vcc_lo
	s_delay_alu instid0(SALU_CYCLE_1)
	s_xor_b32 s5, exec_lo, s5
	s_cbranch_execz .LBB206_2102
; %bb.2045:
	v_bfe_u32 v3, v2, 21, 1
	s_mov_b32 s4, exec_lo
	s_delay_alu instid0(VALU_DEP_1) | instskip(NEXT) | instid1(VALU_DEP_1)
	v_add3_u32 v3, v2, v3, 0x88fffff
	v_lshrrev_b32_e32 v3, 21, v3
	s_and_not1_saveexec_b32 s5, s5
	s_cbranch_execnz .LBB206_2103
.LBB206_2046:
	s_or_b32 exec_lo, exec_lo, s5
	v_mov_b32_e32 v4, 0
	s_and_saveexec_b32 s5, s4
.LBB206_2047:
	v_lshrrev_b32_e32 v2, 24, v2
	s_delay_alu instid0(VALU_DEP_1)
	v_and_or_b32 v4, 0x80, v2, v3
.LBB206_2048:
	s_or_b32 exec_lo, exec_lo, s5
.LBB206_2049:
	s_delay_alu instid0(SALU_CYCLE_1)
	s_or_b32 exec_lo, exec_lo, s2
	s_mov_b32 s2, 0
	global_store_b8 v[0:1], v4, off
.LBB206_2050:
	s_and_b32 vcc_lo, exec_lo, s2
	s_cbranch_vccz .LBB206_2060
; %bb.2051:
	s_wait_xcnt 0x0
	v_bfe_i32 v2, v8, 0, 16
	s_mov_b32 s2, exec_lo
                                        ; implicit-def: $vgpr3
	s_delay_alu instid0(VALU_DEP_1) | instskip(NEXT) | instid1(VALU_DEP_1)
	v_cvt_f32_i32_e32 v2, v2
	v_and_b32_e32 v4, 0x7fffffff, v2
	s_delay_alu instid0(VALU_DEP_1)
	v_cmpx_gt_u32_e32 0x43f00000, v4
	s_xor_b32 s2, exec_lo, s2
	s_cbranch_execz .LBB206_2057
; %bb.2052:
	s_mov_b32 s4, exec_lo
                                        ; implicit-def: $vgpr3
	v_cmpx_lt_u32_e32 0x3c7fffff, v4
	s_xor_b32 s4, exec_lo, s4
; %bb.2053:
	v_bfe_u32 v3, v2, 20, 1
	s_delay_alu instid0(VALU_DEP_1) | instskip(NEXT) | instid1(VALU_DEP_1)
	v_add3_u32 v3, v2, v3, 0x407ffff
	v_and_b32_e32 v4, 0xff00000, v3
	v_lshrrev_b32_e32 v3, 20, v3
	s_delay_alu instid0(VALU_DEP_2) | instskip(NEXT) | instid1(VALU_DEP_2)
	v_cmp_ne_u32_e32 vcc_lo, 0x7f00000, v4
	v_cndmask_b32_e32 v3, 0x7e, v3, vcc_lo
; %bb.2054:
	s_and_not1_saveexec_b32 s4, s4
; %bb.2055:
	v_add_f32_e64 v3, 0x46800000, |v2|
; %bb.2056:
	s_or_b32 exec_lo, exec_lo, s4
                                        ; implicit-def: $vgpr4
.LBB206_2057:
	s_and_not1_saveexec_b32 s2, s2
; %bb.2058:
	v_mov_b32_e32 v3, 0x7f
	v_cmp_lt_u32_e32 vcc_lo, 0x7f800000, v4
	s_delay_alu instid0(VALU_DEP_2)
	v_cndmask_b32_e32 v3, 0x7e, v3, vcc_lo
; %bb.2059:
	s_or_b32 exec_lo, exec_lo, s2
	v_lshrrev_b32_e32 v2, 24, v2
	s_delay_alu instid0(VALU_DEP_1)
	v_and_or_b32 v2, 0x80, v2, v3
	global_store_b8 v[0:1], v2, off
.LBB206_2060:
	s_mov_b32 s2, 0
.LBB206_2061:
	s_delay_alu instid0(SALU_CYCLE_1)
	s_and_not1_b32 vcc_lo, exec_lo, s2
	s_cbranch_vccnz .LBB206_2071
; %bb.2062:
	s_wait_xcnt 0x0
	v_bfe_i32 v2, v8, 0, 16
	s_mov_b32 s2, exec_lo
                                        ; implicit-def: $vgpr3
	s_delay_alu instid0(VALU_DEP_1) | instskip(NEXT) | instid1(VALU_DEP_1)
	v_cvt_f32_i32_e32 v2, v2
	v_and_b32_e32 v4, 0x7fffffff, v2
	s_delay_alu instid0(VALU_DEP_1)
	v_cmpx_gt_u32_e32 0x47800000, v4
	s_xor_b32 s2, exec_lo, s2
	s_cbranch_execz .LBB206_2068
; %bb.2063:
	s_mov_b32 s4, exec_lo
                                        ; implicit-def: $vgpr3
	v_cmpx_lt_u32_e32 0x387fffff, v4
	s_xor_b32 s4, exec_lo, s4
; %bb.2064:
	v_bfe_u32 v3, v2, 21, 1
	s_delay_alu instid0(VALU_DEP_1) | instskip(NEXT) | instid1(VALU_DEP_1)
	v_add3_u32 v3, v2, v3, 0x80fffff
	v_lshrrev_b32_e32 v3, 21, v3
; %bb.2065:
	s_and_not1_saveexec_b32 s4, s4
; %bb.2066:
	v_add_f32_e64 v3, 0x43000000, |v2|
; %bb.2067:
	s_or_b32 exec_lo, exec_lo, s4
                                        ; implicit-def: $vgpr4
.LBB206_2068:
	s_and_not1_saveexec_b32 s2, s2
; %bb.2069:
	v_mov_b32_e32 v3, 0x7f
	v_cmp_lt_u32_e32 vcc_lo, 0x7f800000, v4
	s_delay_alu instid0(VALU_DEP_2)
	v_cndmask_b32_e32 v3, 0x7c, v3, vcc_lo
; %bb.2070:
	s_or_b32 exec_lo, exec_lo, s2
	v_lshrrev_b32_e32 v2, 24, v2
	s_delay_alu instid0(VALU_DEP_1)
	v_and_or_b32 v2, 0x80, v2, v3
	global_store_b8 v[0:1], v2, off
.LBB206_2071:
	s_mov_b32 s2, 0
.LBB206_2072:
	s_delay_alu instid0(SALU_CYCLE_1)
	s_and_not1_b32 vcc_lo, exec_lo, s2
	s_mov_b32 s2, 0
	s_cbranch_vccnz .LBB206_2079
; %bb.2073:
	s_cmp_gt_i32 s1, 14
	s_mov_b32 s2, -1
	s_cbranch_scc0 .LBB206_2077
; %bb.2074:
	s_cmp_eq_u32 s1, 15
	s_mov_b32 s0, -1
	s_cbranch_scc0 .LBB206_2076
; %bb.2075:
	s_wait_xcnt 0x0
	v_bfe_i32 v2, v8, 0, 16
	s_mov_b32 s0, 0
	s_delay_alu instid0(VALU_DEP_1) | instskip(NEXT) | instid1(VALU_DEP_1)
	v_cvt_f32_i32_e32 v2, v2
	v_bfe_u32 v3, v2, 16, 1
	s_delay_alu instid0(VALU_DEP_1)
	v_add3_u32 v2, v2, v3, 0x7fff
	global_store_d16_hi_b16 v[0:1], v2, off
.LBB206_2076:
	s_mov_b32 s2, 0
.LBB206_2077:
	s_delay_alu instid0(SALU_CYCLE_1)
	s_and_b32 vcc_lo, exec_lo, s2
	s_mov_b32 s2, 0
	s_cbranch_vccz .LBB206_2079
; %bb.2078:
	s_cmp_lg_u32 s1, 11
	s_mov_b32 s2, -1
	s_cselect_b32 s0, -1, 0
.LBB206_2079:
	s_delay_alu instid0(SALU_CYCLE_1)
	s_and_b32 vcc_lo, exec_lo, s0
	s_cbranch_vccnz .LBB206_2101
.LBB206_2080:
	s_mov_b32 s0, 0
	s_branch .LBB206_1595
.LBB206_2081:
	s_mov_b32 s0, 0
	s_mov_b32 s2, 0
                                        ; implicit-def: $sgpr15
                                        ; implicit-def: $vgpr0_vgpr1
	s_branch .LBB206_1595
.LBB206_2082:
	s_mov_b32 s2, 0
	s_mov_b32 s0, -1
	s_branch .LBB206_1595
.LBB206_2083:
	s_or_b32 s3, s3, exec_lo
	s_trap 2
	s_cbranch_execz .LBB206_1539
	s_branch .LBB206_1540
.LBB206_2084:
	s_and_not1_saveexec_b32 s9, s9
	s_cbranch_execz .LBB206_1674
.LBB206_2085:
	v_add_f32_e64 v4, 0x46000000, |v1|
	s_and_not1_b32 s7, s7, exec_lo
	s_delay_alu instid0(VALU_DEP_1) | instskip(NEXT) | instid1(VALU_DEP_1)
	v_and_b32_e32 v4, 0xff, v4
	v_cmp_ne_u32_e32 vcc_lo, 0, v4
	s_and_b32 s10, vcc_lo, exec_lo
	s_delay_alu instid0(SALU_CYCLE_1)
	s_or_b32 s7, s7, s10
	s_or_b32 exec_lo, exec_lo, s9
	v_mov_b32_e32 v5, 0
	s_and_saveexec_b32 s9, s7
	s_cbranch_execnz .LBB206_1675
	s_branch .LBB206_1676
.LBB206_2086:
	s_or_b32 s3, s3, exec_lo
	s_trap 2
	s_cbranch_execz .LBB206_1722
	s_branch .LBB206_1723
.LBB206_2087:
	s_and_not1_saveexec_b32 s7, s7
	s_cbranch_execz .LBB206_1687
.LBB206_2088:
	v_add_f32_e64 v4, 0x42800000, |v1|
	s_and_not1_b32 s6, s6, exec_lo
	s_delay_alu instid0(VALU_DEP_1) | instskip(NEXT) | instid1(VALU_DEP_1)
	v_and_b32_e32 v4, 0xff, v4
	v_cmp_ne_u32_e32 vcc_lo, 0, v4
	s_and_b32 s9, vcc_lo, exec_lo
	s_delay_alu instid0(SALU_CYCLE_1)
	s_or_b32 s6, s6, s9
	s_or_b32 exec_lo, exec_lo, s7
	v_mov_b32_e32 v5, 0
	s_and_saveexec_b32 s7, s6
	s_cbranch_execnz .LBB206_1688
	s_branch .LBB206_1689
.LBB206_2089:
	s_and_not1_saveexec_b32 s9, s9
	s_cbranch_execz .LBB206_1795
.LBB206_2090:
	v_add_f32_e64 v4, 0x46000000, |v1|
	s_and_not1_b32 s8, s8, exec_lo
	s_delay_alu instid0(VALU_DEP_1) | instskip(NEXT) | instid1(VALU_DEP_1)
	v_and_b32_e32 v4, 0xff, v4
	v_cmp_ne_u32_e32 vcc_lo, 0, v4
	s_and_b32 s10, vcc_lo, exec_lo
	s_delay_alu instid0(SALU_CYCLE_1)
	s_or_b32 s8, s8, s10
	s_or_b32 exec_lo, exec_lo, s9
	v_mov_b32_e32 v5, 0
	s_and_saveexec_b32 s9, s8
	s_cbranch_execnz .LBB206_1796
	s_branch .LBB206_1797
.LBB206_2091:
	s_or_b32 s3, s3, exec_lo
	s_trap 2
	s_cbranch_execz .LBB206_1843
	s_branch .LBB206_1844
.LBB206_2092:
	s_and_not1_saveexec_b32 s8, s8
	s_cbranch_execz .LBB206_1808
.LBB206_2093:
	v_add_f32_e64 v4, 0x42800000, |v1|
	s_and_not1_b32 s7, s7, exec_lo
	s_delay_alu instid0(VALU_DEP_1) | instskip(NEXT) | instid1(VALU_DEP_1)
	v_and_b32_e32 v4, 0xff, v4
	v_cmp_ne_u32_e32 vcc_lo, 0, v4
	s_and_b32 s9, vcc_lo, exec_lo
	s_delay_alu instid0(SALU_CYCLE_1)
	s_or_b32 s7, s7, s9
	s_or_b32 exec_lo, exec_lo, s8
	v_mov_b32_e32 v5, 0
	s_and_saveexec_b32 s8, s7
	s_cbranch_execnz .LBB206_1809
	s_branch .LBB206_1810
.LBB206_2094:
	s_and_not1_saveexec_b32 s9, s9
	s_cbranch_execz .LBB206_1914
.LBB206_2095:
	v_add_f32_e64 v4, 0x46000000, |v1|
	s_and_not1_b32 s8, s8, exec_lo
	s_delay_alu instid0(VALU_DEP_1) | instskip(NEXT) | instid1(VALU_DEP_1)
	v_and_b32_e32 v4, 0xff, v4
	v_cmp_ne_u32_e32 vcc_lo, 0, v4
	s_and_b32 s10, vcc_lo, exec_lo
	s_delay_alu instid0(SALU_CYCLE_1)
	s_or_b32 s8, s8, s10
	s_or_b32 exec_lo, exec_lo, s9
	v_mov_b32_e32 v5, 0
	s_and_saveexec_b32 s9, s8
	s_cbranch_execnz .LBB206_1915
	s_branch .LBB206_1916
.LBB206_2096:
	s_or_b32 s3, s3, exec_lo
	s_trap 2
	s_cbranch_execz .LBB206_1962
	s_branch .LBB206_1963
.LBB206_2097:
	s_and_not1_saveexec_b32 s8, s8
	s_cbranch_execz .LBB206_1927
.LBB206_2098:
	v_add_f32_e64 v4, 0x42800000, |v1|
	s_and_not1_b32 s7, s7, exec_lo
	s_delay_alu instid0(VALU_DEP_1) | instskip(NEXT) | instid1(VALU_DEP_1)
	v_and_b32_e32 v4, 0xff, v4
	v_cmp_ne_u32_e32 vcc_lo, 0, v4
	s_and_b32 s9, vcc_lo, exec_lo
	s_delay_alu instid0(SALU_CYCLE_1)
	s_or_b32 s7, s7, s9
	s_or_b32 exec_lo, exec_lo, s8
	v_mov_b32_e32 v5, 0
	s_and_saveexec_b32 s8, s7
	s_cbranch_execnz .LBB206_1928
	s_branch .LBB206_1929
.LBB206_2099:
	s_and_not1_saveexec_b32 s6, s6
	s_cbranch_execz .LBB206_2034
.LBB206_2100:
	v_add_f32_e64 v3, 0x46000000, |v2|
	s_and_not1_b32 s5, s5, exec_lo
	s_delay_alu instid0(VALU_DEP_1) | instskip(NEXT) | instid1(VALU_DEP_1)
	v_and_b32_e32 v3, 0xff, v3
	v_cmp_ne_u32_e32 vcc_lo, 0, v3
	s_and_b32 s7, vcc_lo, exec_lo
	s_delay_alu instid0(SALU_CYCLE_1)
	s_or_b32 s5, s5, s7
	s_or_b32 exec_lo, exec_lo, s6
	v_mov_b32_e32 v4, 0
	s_and_saveexec_b32 s6, s5
	s_cbranch_execnz .LBB206_2035
	s_branch .LBB206_2036
.LBB206_2101:
	s_mov_b32 s2, 0
	s_or_b32 s3, s3, exec_lo
	s_trap 2
	s_branch .LBB206_2080
.LBB206_2102:
	s_and_not1_saveexec_b32 s5, s5
	s_cbranch_execz .LBB206_2046
.LBB206_2103:
	v_add_f32_e64 v3, 0x42800000, |v2|
	s_and_not1_b32 s4, s4, exec_lo
	s_delay_alu instid0(VALU_DEP_1) | instskip(NEXT) | instid1(VALU_DEP_1)
	v_and_b32_e32 v3, 0xff, v3
	v_cmp_ne_u32_e32 vcc_lo, 0, v3
	s_and_b32 s6, vcc_lo, exec_lo
	s_delay_alu instid0(SALU_CYCLE_1)
	s_or_b32 s4, s4, s6
	s_or_b32 exec_lo, exec_lo, s5
	v_mov_b32_e32 v4, 0
	s_and_saveexec_b32 s5, s4
	s_cbranch_execnz .LBB206_2047
	s_branch .LBB206_2048
	.section	.rodata,"a",@progbits
	.p2align	6, 0x0
	.amdhsa_kernel _ZN2at6native32elementwise_kernel_manual_unrollILi128ELi4EZNS0_15gpu_kernel_implIZZZNS0_12_GLOBAL__N_119launch_clamp_scalarERNS_18TensorIteratorBaseEN3c106ScalarES7_NS0_6detail11ClampLimitsEENKUlvE_clEvENKUlvE3_clEvEUlsE_EEvS5_RKT_EUlibE_EEviT1_
		.amdhsa_group_segment_fixed_size 0
		.amdhsa_private_segment_fixed_size 0
		.amdhsa_kernarg_size 48
		.amdhsa_user_sgpr_count 2
		.amdhsa_user_sgpr_dispatch_ptr 0
		.amdhsa_user_sgpr_queue_ptr 0
		.amdhsa_user_sgpr_kernarg_segment_ptr 1
		.amdhsa_user_sgpr_dispatch_id 0
		.amdhsa_user_sgpr_kernarg_preload_length 0
		.amdhsa_user_sgpr_kernarg_preload_offset 0
		.amdhsa_user_sgpr_private_segment_size 0
		.amdhsa_wavefront_size32 1
		.amdhsa_uses_dynamic_stack 0
		.amdhsa_enable_private_segment 0
		.amdhsa_system_sgpr_workgroup_id_x 1
		.amdhsa_system_sgpr_workgroup_id_y 0
		.amdhsa_system_sgpr_workgroup_id_z 0
		.amdhsa_system_sgpr_workgroup_info 0
		.amdhsa_system_vgpr_workitem_id 0
		.amdhsa_next_free_vgpr 16
		.amdhsa_next_free_sgpr 29
		.amdhsa_named_barrier_count 0
		.amdhsa_reserve_vcc 1
		.amdhsa_float_round_mode_32 0
		.amdhsa_float_round_mode_16_64 0
		.amdhsa_float_denorm_mode_32 3
		.amdhsa_float_denorm_mode_16_64 3
		.amdhsa_fp16_overflow 0
		.amdhsa_memory_ordered 1
		.amdhsa_forward_progress 1
		.amdhsa_inst_pref_size 255
		.amdhsa_round_robin_scheduling 0
		.amdhsa_exception_fp_ieee_invalid_op 0
		.amdhsa_exception_fp_denorm_src 0
		.amdhsa_exception_fp_ieee_div_zero 0
		.amdhsa_exception_fp_ieee_overflow 0
		.amdhsa_exception_fp_ieee_underflow 0
		.amdhsa_exception_fp_ieee_inexact 0
		.amdhsa_exception_int_div_zero 0
	.end_amdhsa_kernel
	.section	.text._ZN2at6native32elementwise_kernel_manual_unrollILi128ELi4EZNS0_15gpu_kernel_implIZZZNS0_12_GLOBAL__N_119launch_clamp_scalarERNS_18TensorIteratorBaseEN3c106ScalarES7_NS0_6detail11ClampLimitsEENKUlvE_clEvENKUlvE3_clEvEUlsE_EEvS5_RKT_EUlibE_EEviT1_,"axG",@progbits,_ZN2at6native32elementwise_kernel_manual_unrollILi128ELi4EZNS0_15gpu_kernel_implIZZZNS0_12_GLOBAL__N_119launch_clamp_scalarERNS_18TensorIteratorBaseEN3c106ScalarES7_NS0_6detail11ClampLimitsEENKUlvE_clEvENKUlvE3_clEvEUlsE_EEvS5_RKT_EUlibE_EEviT1_,comdat
.Lfunc_end206:
	.size	_ZN2at6native32elementwise_kernel_manual_unrollILi128ELi4EZNS0_15gpu_kernel_implIZZZNS0_12_GLOBAL__N_119launch_clamp_scalarERNS_18TensorIteratorBaseEN3c106ScalarES7_NS0_6detail11ClampLimitsEENKUlvE_clEvENKUlvE3_clEvEUlsE_EEvS5_RKT_EUlibE_EEviT1_, .Lfunc_end206-_ZN2at6native32elementwise_kernel_manual_unrollILi128ELi4EZNS0_15gpu_kernel_implIZZZNS0_12_GLOBAL__N_119launch_clamp_scalarERNS_18TensorIteratorBaseEN3c106ScalarES7_NS0_6detail11ClampLimitsEENKUlvE_clEvENKUlvE3_clEvEUlsE_EEvS5_RKT_EUlibE_EEviT1_
                                        ; -- End function
	.set _ZN2at6native32elementwise_kernel_manual_unrollILi128ELi4EZNS0_15gpu_kernel_implIZZZNS0_12_GLOBAL__N_119launch_clamp_scalarERNS_18TensorIteratorBaseEN3c106ScalarES7_NS0_6detail11ClampLimitsEENKUlvE_clEvENKUlvE3_clEvEUlsE_EEvS5_RKT_EUlibE_EEviT1_.num_vgpr, 16
	.set _ZN2at6native32elementwise_kernel_manual_unrollILi128ELi4EZNS0_15gpu_kernel_implIZZZNS0_12_GLOBAL__N_119launch_clamp_scalarERNS_18TensorIteratorBaseEN3c106ScalarES7_NS0_6detail11ClampLimitsEENKUlvE_clEvENKUlvE3_clEvEUlsE_EEvS5_RKT_EUlibE_EEviT1_.num_agpr, 0
	.set _ZN2at6native32elementwise_kernel_manual_unrollILi128ELi4EZNS0_15gpu_kernel_implIZZZNS0_12_GLOBAL__N_119launch_clamp_scalarERNS_18TensorIteratorBaseEN3c106ScalarES7_NS0_6detail11ClampLimitsEENKUlvE_clEvENKUlvE3_clEvEUlsE_EEvS5_RKT_EUlibE_EEviT1_.numbered_sgpr, 29
	.set _ZN2at6native32elementwise_kernel_manual_unrollILi128ELi4EZNS0_15gpu_kernel_implIZZZNS0_12_GLOBAL__N_119launch_clamp_scalarERNS_18TensorIteratorBaseEN3c106ScalarES7_NS0_6detail11ClampLimitsEENKUlvE_clEvENKUlvE3_clEvEUlsE_EEvS5_RKT_EUlibE_EEviT1_.num_named_barrier, 0
	.set _ZN2at6native32elementwise_kernel_manual_unrollILi128ELi4EZNS0_15gpu_kernel_implIZZZNS0_12_GLOBAL__N_119launch_clamp_scalarERNS_18TensorIteratorBaseEN3c106ScalarES7_NS0_6detail11ClampLimitsEENKUlvE_clEvENKUlvE3_clEvEUlsE_EEvS5_RKT_EUlibE_EEviT1_.private_seg_size, 0
	.set _ZN2at6native32elementwise_kernel_manual_unrollILi128ELi4EZNS0_15gpu_kernel_implIZZZNS0_12_GLOBAL__N_119launch_clamp_scalarERNS_18TensorIteratorBaseEN3c106ScalarES7_NS0_6detail11ClampLimitsEENKUlvE_clEvENKUlvE3_clEvEUlsE_EEvS5_RKT_EUlibE_EEviT1_.uses_vcc, 1
	.set _ZN2at6native32elementwise_kernel_manual_unrollILi128ELi4EZNS0_15gpu_kernel_implIZZZNS0_12_GLOBAL__N_119launch_clamp_scalarERNS_18TensorIteratorBaseEN3c106ScalarES7_NS0_6detail11ClampLimitsEENKUlvE_clEvENKUlvE3_clEvEUlsE_EEvS5_RKT_EUlibE_EEviT1_.uses_flat_scratch, 0
	.set _ZN2at6native32elementwise_kernel_manual_unrollILi128ELi4EZNS0_15gpu_kernel_implIZZZNS0_12_GLOBAL__N_119launch_clamp_scalarERNS_18TensorIteratorBaseEN3c106ScalarES7_NS0_6detail11ClampLimitsEENKUlvE_clEvENKUlvE3_clEvEUlsE_EEvS5_RKT_EUlibE_EEviT1_.has_dyn_sized_stack, 0
	.set _ZN2at6native32elementwise_kernel_manual_unrollILi128ELi4EZNS0_15gpu_kernel_implIZZZNS0_12_GLOBAL__N_119launch_clamp_scalarERNS_18TensorIteratorBaseEN3c106ScalarES7_NS0_6detail11ClampLimitsEENKUlvE_clEvENKUlvE3_clEvEUlsE_EEvS5_RKT_EUlibE_EEviT1_.has_recursion, 0
	.set _ZN2at6native32elementwise_kernel_manual_unrollILi128ELi4EZNS0_15gpu_kernel_implIZZZNS0_12_GLOBAL__N_119launch_clamp_scalarERNS_18TensorIteratorBaseEN3c106ScalarES7_NS0_6detail11ClampLimitsEENKUlvE_clEvENKUlvE3_clEvEUlsE_EEvS5_RKT_EUlibE_EEviT1_.has_indirect_call, 0
	.section	.AMDGPU.csdata,"",@progbits
; Kernel info:
; codeLenInByte = 36552
; TotalNumSgprs: 31
; NumVgprs: 16
; ScratchSize: 0
; MemoryBound: 1
; FloatMode: 240
; IeeeMode: 1
; LDSByteSize: 0 bytes/workgroup (compile time only)
; SGPRBlocks: 0
; VGPRBlocks: 0
; NumSGPRsForWavesPerEU: 31
; NumVGPRsForWavesPerEU: 16
; NamedBarCnt: 0
; Occupancy: 16
; WaveLimiterHint : 0
; COMPUTE_PGM_RSRC2:SCRATCH_EN: 0
; COMPUTE_PGM_RSRC2:USER_SGPR: 2
; COMPUTE_PGM_RSRC2:TRAP_HANDLER: 0
; COMPUTE_PGM_RSRC2:TGID_X_EN: 1
; COMPUTE_PGM_RSRC2:TGID_Y_EN: 0
; COMPUTE_PGM_RSRC2:TGID_Z_EN: 0
; COMPUTE_PGM_RSRC2:TIDIG_COMP_CNT: 0
	.section	.text._ZN2at6native32elementwise_kernel_manual_unrollILi128ELi4EZNS0_15gpu_kernel_implIZZZNS0_12_GLOBAL__N_119launch_clamp_scalarERNS_18TensorIteratorBaseEN3c106ScalarES7_NS0_6detail11ClampLimitsEENKUlvE_clEvENKUlvE3_clEvEUlsE_EEvS5_RKT_EUlibE0_EEviT1_,"axG",@progbits,_ZN2at6native32elementwise_kernel_manual_unrollILi128ELi4EZNS0_15gpu_kernel_implIZZZNS0_12_GLOBAL__N_119launch_clamp_scalarERNS_18TensorIteratorBaseEN3c106ScalarES7_NS0_6detail11ClampLimitsEENKUlvE_clEvENKUlvE3_clEvEUlsE_EEvS5_RKT_EUlibE0_EEviT1_,comdat
	.globl	_ZN2at6native32elementwise_kernel_manual_unrollILi128ELi4EZNS0_15gpu_kernel_implIZZZNS0_12_GLOBAL__N_119launch_clamp_scalarERNS_18TensorIteratorBaseEN3c106ScalarES7_NS0_6detail11ClampLimitsEENKUlvE_clEvENKUlvE3_clEvEUlsE_EEvS5_RKT_EUlibE0_EEviT1_ ; -- Begin function _ZN2at6native32elementwise_kernel_manual_unrollILi128ELi4EZNS0_15gpu_kernel_implIZZZNS0_12_GLOBAL__N_119launch_clamp_scalarERNS_18TensorIteratorBaseEN3c106ScalarES7_NS0_6detail11ClampLimitsEENKUlvE_clEvENKUlvE3_clEvEUlsE_EEvS5_RKT_EUlibE0_EEviT1_
	.p2align	8
	.type	_ZN2at6native32elementwise_kernel_manual_unrollILi128ELi4EZNS0_15gpu_kernel_implIZZZNS0_12_GLOBAL__N_119launch_clamp_scalarERNS_18TensorIteratorBaseEN3c106ScalarES7_NS0_6detail11ClampLimitsEENKUlvE_clEvENKUlvE3_clEvEUlsE_EEvS5_RKT_EUlibE0_EEviT1_,@function
_ZN2at6native32elementwise_kernel_manual_unrollILi128ELi4EZNS0_15gpu_kernel_implIZZZNS0_12_GLOBAL__N_119launch_clamp_scalarERNS_18TensorIteratorBaseEN3c106ScalarES7_NS0_6detail11ClampLimitsEENKUlvE_clEvENKUlvE3_clEvEUlsE_EEvS5_RKT_EUlibE0_EEviT1_: ; @_ZN2at6native32elementwise_kernel_manual_unrollILi128ELi4EZNS0_15gpu_kernel_implIZZZNS0_12_GLOBAL__N_119launch_clamp_scalarERNS_18TensorIteratorBaseEN3c106ScalarES7_NS0_6detail11ClampLimitsEENKUlvE_clEvENKUlvE3_clEvEUlsE_EEvS5_RKT_EUlibE0_EEviT1_
; %bb.0:
	s_clause 0x1
	s_load_b32 s19, s[0:1], 0x8
	s_load_b32 s39, s[0:1], 0x0
	s_bfe_u32 s2, ttmp6, 0x4000c
	s_and_b32 s3, ttmp6, 15
	s_add_co_i32 s2, s2, 1
	s_getreg_b32 s4, hwreg(HW_REG_IB_STS2, 6, 4)
	s_mul_i32 s2, ttmp9, s2
	s_mov_b32 s34, 0
	s_add_co_i32 s3, s3, s2
	s_cmp_eq_u32 s4, 0
	s_mov_b32 s27, -1
	s_cselect_b32 s2, ttmp9, s3
	s_mov_b32 s8, 0
	v_lshl_or_b32 v0, s2, 9, v0
	s_add_nc_u64 s[2:3], s[0:1], 8
	s_wait_xcnt 0x0
	s_mov_b32 s0, exec_lo
	s_delay_alu instid0(VALU_DEP_1) | instskip(SKIP_2) | instid1(SALU_CYCLE_1)
	v_or_b32_e32 v9, 0x180, v0
	s_wait_kmcnt 0x0
	s_add_co_i32 s33, s19, -1
	s_cmp_gt_u32 s33, 1
	s_cselect_b32 s35, -1, 0
	v_cmpx_le_i32_e64 s39, v9
	s_xor_b32 s36, exec_lo, s0
	s_cbranch_execz .LBB207_1124
; %bb.1:
	s_clause 0x4
	s_load_b128 s[8:11], s[2:3], 0x4
	s_load_b64 s[0:1], s[2:3], 0x14
	s_load_b96 s[16:18], s[2:3], 0x158
	s_load_b128 s[12:15], s[2:3], 0xc4
	s_load_b128 s[4:7], s[2:3], 0x148
	s_cmp_lg_u32 s19, 0
	s_mov_b32 s21, 0
	s_cselect_b32 s41, -1, 0
	s_min_u32 s40, s33, 15
	s_cmp_gt_u32 s19, 1
	s_add_nc_u64 s[24:25], s[2:3], 0xc4
	s_mov_b32 s23, s21
	s_mov_b32 s43, s21
	s_cselect_b32 s38, -1, 0
	s_mov_b32 s42, s21
	s_mov_b32 s44, exec_lo
	s_wait_kmcnt 0x0
	s_mov_b32 s20, s9
	s_mov_b32 s22, s0
	s_bfe_u32 s37, s18, 0x80008
	s_lshr_b32 s9, s17, 16
	v_cmpx_gt_i32_e64 s39, v0
	s_cbranch_execz .LBB207_274
; %bb.2:
	s_and_not1_b32 vcc_lo, exec_lo, s35
	s_cbranch_vccnz .LBB207_8
; %bb.3:
	s_and_not1_b32 vcc_lo, exec_lo, s41
	s_cbranch_vccnz .LBB207_9
; %bb.4:
	s_add_co_i32 s0, s40, 1
	s_cmp_eq_u32 s33, 2
	s_cbranch_scc1 .LBB207_10
; %bb.5:
	v_dual_mov_b32 v2, 0 :: v_dual_mov_b32 v4, 0
	v_mov_b32_e32 v1, v0
	s_and_b32 s26, s0, 28
	s_mov_b32 s27, 0
	s_mov_b64 s[28:29], s[2:3]
	s_mov_b64 s[30:31], s[24:25]
.LBB207_6:                              ; =>This Inner Loop Header: Depth=1
	s_clause 0x1
	s_load_b256 s[48:55], s[28:29], 0x4
	s_load_b128 s[64:67], s[28:29], 0x24
	s_load_b256 s[56:63], s[30:31], 0x0
	s_add_co_i32 s27, s27, 4
	s_wait_xcnt 0x0
	s_add_nc_u64 s[28:29], s[28:29], 48
	s_cmp_lg_u32 s26, s27
	s_add_nc_u64 s[30:31], s[30:31], 32
	s_wait_kmcnt 0x0
	v_mul_hi_u32 v3, s49, v1
	s_delay_alu instid0(VALU_DEP_1) | instskip(NEXT) | instid1(VALU_DEP_1)
	v_add_nc_u32_e32 v3, v1, v3
	v_lshrrev_b32_e32 v3, s50, v3
	s_delay_alu instid0(VALU_DEP_1) | instskip(NEXT) | instid1(VALU_DEP_1)
	v_mul_hi_u32 v5, s52, v3
	v_add_nc_u32_e32 v5, v3, v5
	s_delay_alu instid0(VALU_DEP_1) | instskip(NEXT) | instid1(VALU_DEP_1)
	v_lshrrev_b32_e32 v5, s53, v5
	v_mul_hi_u32 v6, s55, v5
	s_delay_alu instid0(VALU_DEP_1) | instskip(SKIP_1) | instid1(VALU_DEP_1)
	v_add_nc_u32_e32 v6, v5, v6
	v_mul_lo_u32 v7, v3, s48
	v_sub_nc_u32_e32 v1, v1, v7
	v_mul_lo_u32 v7, v5, s51
	s_delay_alu instid0(VALU_DEP_4) | instskip(NEXT) | instid1(VALU_DEP_3)
	v_lshrrev_b32_e32 v6, s64, v6
	v_mad_u32 v4, v1, s57, v4
	v_mad_u32 v1, v1, s56, v2
	s_delay_alu instid0(VALU_DEP_4) | instskip(NEXT) | instid1(VALU_DEP_4)
	v_sub_nc_u32_e32 v2, v3, v7
	v_mul_hi_u32 v8, s66, v6
	v_mul_lo_u32 v3, v6, s54
	s_delay_alu instid0(VALU_DEP_3) | instskip(SKIP_1) | instid1(VALU_DEP_3)
	v_mad_u32 v4, v2, s59, v4
	v_mad_u32 v2, v2, s58, v1
	v_dual_add_nc_u32 v7, v6, v8 :: v_dual_sub_nc_u32 v3, v5, v3
	s_delay_alu instid0(VALU_DEP_1) | instskip(NEXT) | instid1(VALU_DEP_2)
	v_lshrrev_b32_e32 v1, s67, v7
	v_mad_u32 v4, v3, s61, v4
	s_delay_alu instid0(VALU_DEP_4) | instskip(NEXT) | instid1(VALU_DEP_3)
	v_mad_u32 v2, v3, s60, v2
	v_mul_lo_u32 v5, v1, s65
	s_delay_alu instid0(VALU_DEP_1) | instskip(NEXT) | instid1(VALU_DEP_1)
	v_sub_nc_u32_e32 v3, v6, v5
	v_mad_u32 v4, v3, s63, v4
	s_delay_alu instid0(VALU_DEP_4)
	v_mad_u32 v2, v3, s62, v2
	s_cbranch_scc1 .LBB207_6
; %bb.7:
	s_delay_alu instid0(VALU_DEP_2)
	v_mov_b32_e32 v3, v4
	s_and_b32 s0, s0, 3
	s_mov_b32 s27, 0
	s_cmp_eq_u32 s0, 0
	s_cbranch_scc0 .LBB207_11
	s_branch .LBB207_14
.LBB207_8:
                                        ; implicit-def: $vgpr4
                                        ; implicit-def: $vgpr2
	s_branch .LBB207_15
.LBB207_9:
	v_dual_mov_b32 v4, 0 :: v_dual_mov_b32 v2, 0
	s_branch .LBB207_14
.LBB207_10:
	v_mov_b64_e32 v[2:3], 0
	v_mov_b32_e32 v1, v0
	s_mov_b32 s26, 0
                                        ; implicit-def: $vgpr4
	s_and_b32 s0, s0, 3
	s_mov_b32 s27, 0
	s_cmp_eq_u32 s0, 0
	s_cbranch_scc1 .LBB207_14
.LBB207_11:
	s_lshl_b32 s28, s26, 3
	s_mov_b32 s29, s27
	s_mul_u64 s[30:31], s[26:27], 12
	s_add_nc_u64 s[28:29], s[2:3], s[28:29]
	s_delay_alu instid0(SALU_CYCLE_1)
	s_add_nc_u64 s[26:27], s[28:29], 0xc4
	s_add_nc_u64 s[28:29], s[2:3], s[30:31]
.LBB207_12:                             ; =>This Inner Loop Header: Depth=1
	s_load_b96 s[48:50], s[28:29], 0x4
	s_load_b64 s[30:31], s[26:27], 0x0
	s_add_co_i32 s0, s0, -1
	s_wait_xcnt 0x0
	s_add_nc_u64 s[28:29], s[28:29], 12
	s_cmp_lg_u32 s0, 0
	s_add_nc_u64 s[26:27], s[26:27], 8
	s_wait_kmcnt 0x0
	v_mul_hi_u32 v4, s49, v1
	s_delay_alu instid0(VALU_DEP_1) | instskip(NEXT) | instid1(VALU_DEP_1)
	v_add_nc_u32_e32 v4, v1, v4
	v_lshrrev_b32_e32 v4, s50, v4
	s_delay_alu instid0(VALU_DEP_1) | instskip(NEXT) | instid1(VALU_DEP_1)
	v_mul_lo_u32 v5, v4, s48
	v_sub_nc_u32_e32 v1, v1, v5
	s_delay_alu instid0(VALU_DEP_1)
	v_mad_u32 v3, v1, s31, v3
	v_mad_u32 v2, v1, s30, v2
	v_mov_b32_e32 v1, v4
	s_cbranch_scc1 .LBB207_12
; %bb.13:
	s_delay_alu instid0(VALU_DEP_3)
	v_mov_b32_e32 v4, v3
.LBB207_14:
	s_cbranch_execnz .LBB207_17
.LBB207_15:
	v_mov_b32_e32 v1, 0
	s_and_not1_b32 vcc_lo, exec_lo, s38
	s_delay_alu instid0(VALU_DEP_1) | instskip(NEXT) | instid1(VALU_DEP_1)
	v_mul_u64_e32 v[2:3], s[20:21], v[0:1]
	v_add_nc_u32_e32 v2, v0, v3
	s_delay_alu instid0(VALU_DEP_1) | instskip(NEXT) | instid1(VALU_DEP_1)
	v_lshrrev_b32_e32 v6, s10, v2
	v_mul_lo_u32 v2, v6, s8
	s_delay_alu instid0(VALU_DEP_1) | instskip(NEXT) | instid1(VALU_DEP_1)
	v_sub_nc_u32_e32 v2, v0, v2
	v_mul_lo_u32 v4, v2, s13
	v_mul_lo_u32 v2, v2, s12
	s_cbranch_vccnz .LBB207_17
; %bb.16:
	v_mov_b32_e32 v7, v1
	s_delay_alu instid0(VALU_DEP_1) | instskip(NEXT) | instid1(VALU_DEP_1)
	v_mul_u64_e32 v[8:9], s[22:23], v[6:7]
	v_add_nc_u32_e32 v1, v6, v9
	s_delay_alu instid0(VALU_DEP_1) | instskip(NEXT) | instid1(VALU_DEP_1)
	v_lshrrev_b32_e32 v1, s1, v1
	v_mul_lo_u32 v1, v1, s11
	s_delay_alu instid0(VALU_DEP_1) | instskip(NEXT) | instid1(VALU_DEP_1)
	v_sub_nc_u32_e32 v1, v6, v1
	v_mad_u32 v2, v1, s14, v2
	v_mad_u32 v4, v1, s15, v4
.LBB207_17:
	v_mov_b32_e32 v5, 0
	s_and_b32 s0, 0xffff, s37
	s_delay_alu instid0(SALU_CYCLE_1) | instskip(NEXT) | instid1(VALU_DEP_1)
	s_cmp_lt_i32 s0, 11
	v_add_nc_u64_e32 v[4:5], s[6:7], v[4:5]
	s_cbranch_scc1 .LBB207_24
; %bb.18:
	s_cmp_gt_i32 s0, 25
	s_cbranch_scc0 .LBB207_29
; %bb.19:
	s_cmp_gt_i32 s0, 28
	s_cbranch_scc0 .LBB207_31
	;; [unrolled: 3-line block ×4, first 2 shown]
; %bb.22:
	s_cmp_eq_u32 s0, 46
	s_mov_b32 s28, 0
	s_cbranch_scc0 .LBB207_53
; %bb.23:
	global_load_b32 v1, v[4:5], off
	s_mov_b32 s27, -1
	s_mov_b32 s26, 0
	s_wait_loadcnt 0x0
	v_lshlrev_b32_e32 v1, 16, v1
	s_delay_alu instid0(VALU_DEP_1)
	v_cvt_i32_f32_e32 v6, v1
	s_branch .LBB207_55
.LBB207_24:
	s_mov_b32 s26, 0
	s_mov_b32 s27, 0
                                        ; implicit-def: $vgpr6
	s_cbranch_execnz .LBB207_224
.LBB207_25:
	s_and_not1_b32 vcc_lo, exec_lo, s27
	s_cbranch_vccnz .LBB207_271
.LBB207_26:
	s_cmp_lt_i32 s16, 1
	s_mov_b32 s0, 0
	s_cbranch_scc1 .LBB207_30
; %bb.27:
	s_cmp_eq_u32 s16, 1
	s_cbranch_scc0 .LBB207_32
; %bb.28:
	s_wait_loadcnt 0x0
	s_delay_alu instid0(VALU_DEP_1)
	v_min_i16 v1, v6, s17
	s_mov_b32 s27, 0
	s_branch .LBB207_33
.LBB207_29:
	s_mov_b32 s26, 0
	s_mov_b32 s27, 0
                                        ; implicit-def: $vgpr6
	s_cbranch_execnz .LBB207_191
	s_branch .LBB207_223
.LBB207_30:
	s_mov_b32 s27, 0
                                        ; implicit-def: $vgpr1
	s_cbranch_execnz .LBB207_34
	s_branch .LBB207_35
.LBB207_31:
	s_mov_b32 s28, -1
	s_mov_b32 s26, 0
	s_mov_b32 s27, 0
                                        ; implicit-def: $vgpr6
	s_branch .LBB207_174
.LBB207_32:
	s_mov_b32 s27, -1
                                        ; implicit-def: $vgpr1
.LBB207_33:
	s_branch .LBB207_35
.LBB207_34:
	s_cmp_lg_u32 s16, 0
	s_mov_b32 s0, -1
	s_cselect_b32 s27, -1, 0
.LBB207_35:
	s_delay_alu instid0(SALU_CYCLE_1)
	s_and_not1_b32 vcc_lo, exec_lo, s27
	s_cbranch_vccnz .LBB207_37
; %bb.36:
	s_wait_loadcnt 0x0
	s_delay_alu instid0(VALU_DEP_1) | instskip(NEXT) | instid1(VALU_DEP_1)
	v_max_i16 v1, v6, s17
	v_min_i16 v1, v1, s9
	s_cbranch_execz .LBB207_38
	s_branch .LBB207_39
.LBB207_37:
	s_and_not1_b32 vcc_lo, exec_lo, s0
	s_cbranch_vccnz .LBB207_39
.LBB207_38:
	s_wait_loadcnt 0x0
	s_delay_alu instid0(VALU_DEP_1)
	v_max_i16 v1, v6, s17
.LBB207_39:
	v_mov_b32_e32 v3, 0
	s_and_b32 s27, s18, 0xff
	s_delay_alu instid0(SALU_CYCLE_1) | instskip(NEXT) | instid1(VALU_DEP_1)
	s_cmp_lt_i32 s27, 11
	v_add_nc_u64_e32 v[2:3], s[4:5], v[2:3]
	s_cbranch_scc1 .LBB207_46
; %bb.40:
	s_and_b32 s28, 0xffff, s27
	s_delay_alu instid0(SALU_CYCLE_1)
	s_cmp_gt_i32 s28, 25
	s_cbranch_scc0 .LBB207_48
; %bb.41:
	s_cmp_gt_i32 s28, 28
	s_cbranch_scc0 .LBB207_50
; %bb.42:
	;; [unrolled: 3-line block ×4, first 2 shown]
	s_mov_b32 s30, 0
	s_mov_b32 s0, -1
	s_cmp_eq_u32 s28, 46
	s_mov_b32 s29, 0
	s_cbranch_scc0 .LBB207_59
; %bb.45:
	s_wait_xcnt 0x0
	v_bfe_i32 v4, v1, 0, 16
	s_mov_b32 s29, -1
	s_mov_b32 s0, 0
	s_delay_alu instid0(VALU_DEP_1) | instskip(NEXT) | instid1(VALU_DEP_1)
	v_cvt_f32_i32_e32 v4, v4
	v_bfe_u32 v5, v4, 16, 1
	s_delay_alu instid0(VALU_DEP_1) | instskip(NEXT) | instid1(VALU_DEP_1)
	v_add3_u32 v4, v4, v5, 0x7fff
	v_lshrrev_b32_e32 v4, 16, v4
	global_store_b32 v[2:3], v4, off
	s_branch .LBB207_59
.LBB207_46:
	s_mov_b32 s0, 0
	s_mov_b32 s29, 0
	s_cbranch_execnz .LBB207_128
.LBB207_47:
	s_and_not1_b32 vcc_lo, exec_lo, s29
	s_cbranch_vccz .LBB207_166
	s_branch .LBB207_272
.LBB207_48:
	s_mov_b32 s30, -1
	s_mov_b32 s0, 0
	s_mov_b32 s29, 0
	s_branch .LBB207_86
.LBB207_49:
	s_mov_b32 s28, -1
	s_mov_b32 s26, 0
	s_mov_b32 s27, 0
                                        ; implicit-def: $vgpr6
	s_branch .LBB207_169
.LBB207_50:
	s_mov_b32 s30, -1
	s_mov_b32 s0, 0
	s_mov_b32 s29, 0
	s_branch .LBB207_69
.LBB207_51:
	s_mov_b32 s28, -1
	s_mov_b32 s26, 0
	s_branch .LBB207_54
.LBB207_52:
	s_mov_b32 s30, -1
	s_mov_b32 s0, 0
	s_mov_b32 s29, 0
	s_branch .LBB207_65
.LBB207_53:
	s_mov_b32 s26, -1
.LBB207_54:
	s_mov_b32 s27, 0
                                        ; implicit-def: $vgpr6
.LBB207_55:
	s_and_b32 vcc_lo, exec_lo, s28
	s_cbranch_vccz .LBB207_168
; %bb.56:
	s_cmp_eq_u32 s0, 44
	s_cbranch_scc0 .LBB207_167
; %bb.57:
	global_load_u8 v1, v[4:5], off
	s_mov_b32 s26, 0
	s_mov_b32 s27, -1
	s_wait_loadcnt 0x0
	v_lshlrev_b32_e32 v3, 23, v1
	v_cmp_ne_u32_e32 vcc_lo, 0, v1
	s_delay_alu instid0(VALU_DEP_2) | instskip(NEXT) | instid1(VALU_DEP_1)
	v_cvt_i32_f32_e32 v3, v3
	v_cndmask_b32_e32 v6, 0, v3, vcc_lo
	s_branch .LBB207_168
.LBB207_58:
	s_mov_b32 s30, -1
	s_mov_b32 s0, 0
	s_mov_b32 s29, 0
.LBB207_59:
	s_and_b32 vcc_lo, exec_lo, s30
	s_cbranch_vccz .LBB207_64
; %bb.60:
	s_cmp_eq_u32 s28, 44
	s_mov_b32 s0, -1
	s_cbranch_scc0 .LBB207_64
; %bb.61:
	s_wait_xcnt 0x0
	v_bfe_i32 v4, v1, 0, 16
	v_mov_b32_e32 v5, 0xff
	s_mov_b32 s29, exec_lo
	s_delay_alu instid0(VALU_DEP_2) | instskip(SKIP_1) | instid1(VALU_DEP_1)
	v_cvt_f32_i32_e32 v4, v4
	s_wait_loadcnt 0x0
	v_bfe_u32 v6, v4, 23, 8
	s_delay_alu instid0(VALU_DEP_1)
	v_cmpx_ne_u32_e32 0xff, v6
	s_cbranch_execz .LBB207_63
; %bb.62:
	v_and_b32_e32 v5, 0x400000, v4
	v_and_or_b32 v6, 0x3fffff, v4, v6
	v_lshrrev_b32_e32 v4, 23, v4
	s_delay_alu instid0(VALU_DEP_3) | instskip(NEXT) | instid1(VALU_DEP_3)
	v_cmp_ne_u32_e32 vcc_lo, 0, v5
	v_cmp_ne_u32_e64 s0, 0, v6
	s_and_b32 s0, vcc_lo, s0
	s_delay_alu instid0(SALU_CYCLE_1) | instskip(NEXT) | instid1(VALU_DEP_1)
	v_cndmask_b32_e64 v5, 0, 1, s0
	v_add_nc_u32_e32 v5, v4, v5
.LBB207_63:
	s_or_b32 exec_lo, exec_lo, s29
	s_mov_b32 s29, -1
	s_mov_b32 s0, 0
	global_store_b8 v[2:3], v5, off
.LBB207_64:
	s_mov_b32 s30, 0
.LBB207_65:
	s_delay_alu instid0(SALU_CYCLE_1)
	s_and_b32 vcc_lo, exec_lo, s30
	s_cbranch_vccz .LBB207_68
; %bb.66:
	s_cmp_eq_u32 s28, 29
	s_mov_b32 s0, -1
	s_cbranch_scc0 .LBB207_68
; %bb.67:
	s_wait_xcnt 0x0
	v_bfe_i32 v4, v1, 0, 16
	s_mov_b32 s0, 0
	s_mov_b32 s29, -1
	s_mov_b32 s30, 0
	s_delay_alu instid0(VALU_DEP_1)
	v_ashrrev_i32_e32 v5, 31, v4
	global_store_b64 v[2:3], v[4:5], off
	s_branch .LBB207_69
.LBB207_68:
	s_mov_b32 s30, 0
.LBB207_69:
	s_delay_alu instid0(SALU_CYCLE_1)
	s_and_b32 vcc_lo, exec_lo, s30
	s_cbranch_vccz .LBB207_85
; %bb.70:
	s_cmp_lt_i32 s28, 27
	s_mov_b32 s29, -1
	s_cbranch_scc1 .LBB207_76
; %bb.71:
	s_cmp_gt_i32 s28, 27
	s_cbranch_scc0 .LBB207_73
; %bb.72:
	s_wait_xcnt 0x0
	v_bfe_i32 v4, v1, 0, 16
	s_mov_b32 s29, 0
	global_store_b32 v[2:3], v4, off
.LBB207_73:
	s_and_not1_b32 vcc_lo, exec_lo, s29
	s_cbranch_vccnz .LBB207_75
; %bb.74:
	global_store_b16 v[2:3], v1, off
.LBB207_75:
	s_mov_b32 s29, 0
.LBB207_76:
	s_delay_alu instid0(SALU_CYCLE_1)
	s_and_not1_b32 vcc_lo, exec_lo, s29
	s_cbranch_vccnz .LBB207_84
; %bb.77:
	s_wait_xcnt 0x0
	v_bfe_i32 v4, v1, 0, 16
	s_wait_loadcnt 0x0
	v_mov_b32_e32 v6, 0x80
	s_mov_b32 s29, exec_lo
	s_delay_alu instid0(VALU_DEP_2) | instskip(NEXT) | instid1(VALU_DEP_1)
	v_cvt_f32_i32_e32 v4, v4
	v_and_b32_e32 v5, 0x7fffffff, v4
	s_delay_alu instid0(VALU_DEP_1)
	v_cmpx_gt_u32_e32 0x43800000, v5
	s_cbranch_execz .LBB207_83
; %bb.78:
	v_cmp_lt_u32_e32 vcc_lo, 0x3bffffff, v5
	s_mov_b32 s30, 0
                                        ; implicit-def: $vgpr5
	s_and_saveexec_b32 s31, vcc_lo
	s_delay_alu instid0(SALU_CYCLE_1)
	s_xor_b32 s31, exec_lo, s31
	s_cbranch_execz .LBB207_328
; %bb.79:
	v_bfe_u32 v5, v4, 20, 1
	s_mov_b32 s30, exec_lo
	s_delay_alu instid0(VALU_DEP_1) | instskip(NEXT) | instid1(VALU_DEP_1)
	v_add3_u32 v5, v4, v5, 0x487ffff
	v_lshrrev_b32_e32 v5, 20, v5
	s_and_not1_saveexec_b32 s31, s31
	s_cbranch_execnz .LBB207_329
.LBB207_80:
	s_or_b32 exec_lo, exec_lo, s31
	v_mov_b32_e32 v6, 0
	s_and_saveexec_b32 s31, s30
.LBB207_81:
	v_lshrrev_b32_e32 v4, 24, v4
	s_delay_alu instid0(VALU_DEP_1)
	v_and_or_b32 v6, 0x80, v4, v5
.LBB207_82:
	s_or_b32 exec_lo, exec_lo, s31
.LBB207_83:
	s_delay_alu instid0(SALU_CYCLE_1)
	s_or_b32 exec_lo, exec_lo, s29
	global_store_b8 v[2:3], v6, off
.LBB207_84:
	s_mov_b32 s29, -1
.LBB207_85:
	s_mov_b32 s30, 0
.LBB207_86:
	s_delay_alu instid0(SALU_CYCLE_1)
	s_and_b32 vcc_lo, exec_lo, s30
	s_cbranch_vccz .LBB207_127
; %bb.87:
	s_cmp_gt_i32 s28, 22
	s_mov_b32 s30, -1
	s_cbranch_scc0 .LBB207_119
; %bb.88:
	s_cmp_lt_i32 s28, 24
	s_mov_b32 s29, -1
	s_cbranch_scc1 .LBB207_108
; %bb.89:
	s_cmp_gt_i32 s28, 24
	s_cbranch_scc0 .LBB207_97
; %bb.90:
	s_wait_xcnt 0x0
	v_bfe_i32 v4, v1, 0, 16
	s_wait_loadcnt 0x0
	v_mov_b32_e32 v6, 0x80
	s_mov_b32 s29, exec_lo
	s_delay_alu instid0(VALU_DEP_2) | instskip(NEXT) | instid1(VALU_DEP_1)
	v_cvt_f32_i32_e32 v4, v4
	v_and_b32_e32 v5, 0x7fffffff, v4
	s_delay_alu instid0(VALU_DEP_1)
	v_cmpx_gt_u32_e32 0x47800000, v5
	s_cbranch_execz .LBB207_96
; %bb.91:
	v_cmp_lt_u32_e32 vcc_lo, 0x37ffffff, v5
	s_mov_b32 s30, 0
                                        ; implicit-def: $vgpr5
	s_and_saveexec_b32 s31, vcc_lo
	s_delay_alu instid0(SALU_CYCLE_1)
	s_xor_b32 s31, exec_lo, s31
	s_cbranch_execz .LBB207_332
; %bb.92:
	v_bfe_u32 v5, v4, 21, 1
	s_mov_b32 s30, exec_lo
	s_delay_alu instid0(VALU_DEP_1) | instskip(NEXT) | instid1(VALU_DEP_1)
	v_add3_u32 v5, v4, v5, 0x88fffff
	v_lshrrev_b32_e32 v5, 21, v5
	s_and_not1_saveexec_b32 s31, s31
	s_cbranch_execnz .LBB207_333
.LBB207_93:
	s_or_b32 exec_lo, exec_lo, s31
	v_mov_b32_e32 v6, 0
	s_and_saveexec_b32 s31, s30
.LBB207_94:
	v_lshrrev_b32_e32 v4, 24, v4
	s_delay_alu instid0(VALU_DEP_1)
	v_and_or_b32 v6, 0x80, v4, v5
.LBB207_95:
	s_or_b32 exec_lo, exec_lo, s31
.LBB207_96:
	s_delay_alu instid0(SALU_CYCLE_1)
	s_or_b32 exec_lo, exec_lo, s29
	s_mov_b32 s29, 0
	global_store_b8 v[2:3], v6, off
.LBB207_97:
	s_and_b32 vcc_lo, exec_lo, s29
	s_cbranch_vccz .LBB207_107
; %bb.98:
	s_wait_xcnt 0x0
	v_bfe_i32 v4, v1, 0, 16
	s_mov_b32 s29, exec_lo
                                        ; implicit-def: $vgpr5
	s_delay_alu instid0(VALU_DEP_1) | instskip(SKIP_1) | instid1(VALU_DEP_1)
	v_cvt_f32_i32_e32 v4, v4
	s_wait_loadcnt 0x0
	v_and_b32_e32 v6, 0x7fffffff, v4
	s_delay_alu instid0(VALU_DEP_1)
	v_cmpx_gt_u32_e32 0x43f00000, v6
	s_xor_b32 s29, exec_lo, s29
	s_cbranch_execz .LBB207_104
; %bb.99:
	s_mov_b32 s30, exec_lo
                                        ; implicit-def: $vgpr5
	v_cmpx_lt_u32_e32 0x3c7fffff, v6
	s_xor_b32 s30, exec_lo, s30
; %bb.100:
	v_bfe_u32 v5, v4, 20, 1
	s_delay_alu instid0(VALU_DEP_1) | instskip(NEXT) | instid1(VALU_DEP_1)
	v_add3_u32 v5, v4, v5, 0x407ffff
	v_and_b32_e32 v6, 0xff00000, v5
	v_lshrrev_b32_e32 v5, 20, v5
	s_delay_alu instid0(VALU_DEP_2) | instskip(NEXT) | instid1(VALU_DEP_2)
	v_cmp_ne_u32_e32 vcc_lo, 0x7f00000, v6
	v_cndmask_b32_e32 v5, 0x7e, v5, vcc_lo
; %bb.101:
	s_and_not1_saveexec_b32 s30, s30
; %bb.102:
	v_add_f32_e64 v5, 0x46800000, |v4|
; %bb.103:
	s_or_b32 exec_lo, exec_lo, s30
                                        ; implicit-def: $vgpr6
.LBB207_104:
	s_and_not1_saveexec_b32 s29, s29
; %bb.105:
	v_mov_b32_e32 v5, 0x7f
	v_cmp_lt_u32_e32 vcc_lo, 0x7f800000, v6
	s_delay_alu instid0(VALU_DEP_2)
	v_cndmask_b32_e32 v5, 0x7e, v5, vcc_lo
; %bb.106:
	s_or_b32 exec_lo, exec_lo, s29
	v_lshrrev_b32_e32 v4, 24, v4
	s_delay_alu instid0(VALU_DEP_1)
	v_and_or_b32 v4, 0x80, v4, v5
	global_store_b8 v[2:3], v4, off
.LBB207_107:
	s_mov_b32 s29, 0
.LBB207_108:
	s_delay_alu instid0(SALU_CYCLE_1)
	s_and_not1_b32 vcc_lo, exec_lo, s29
	s_cbranch_vccnz .LBB207_118
; %bb.109:
	s_wait_xcnt 0x0
	v_bfe_i32 v4, v1, 0, 16
	s_mov_b32 s29, exec_lo
                                        ; implicit-def: $vgpr5
	s_delay_alu instid0(VALU_DEP_1) | instskip(SKIP_1) | instid1(VALU_DEP_1)
	v_cvt_f32_i32_e32 v4, v4
	s_wait_loadcnt 0x0
	v_and_b32_e32 v6, 0x7fffffff, v4
	s_delay_alu instid0(VALU_DEP_1)
	v_cmpx_gt_u32_e32 0x47800000, v6
	s_xor_b32 s29, exec_lo, s29
	s_cbranch_execz .LBB207_115
; %bb.110:
	s_mov_b32 s30, exec_lo
                                        ; implicit-def: $vgpr5
	v_cmpx_lt_u32_e32 0x387fffff, v6
	s_xor_b32 s30, exec_lo, s30
; %bb.111:
	v_bfe_u32 v5, v4, 21, 1
	s_delay_alu instid0(VALU_DEP_1) | instskip(NEXT) | instid1(VALU_DEP_1)
	v_add3_u32 v5, v4, v5, 0x80fffff
	v_lshrrev_b32_e32 v5, 21, v5
; %bb.112:
	s_and_not1_saveexec_b32 s30, s30
; %bb.113:
	v_add_f32_e64 v5, 0x43000000, |v4|
; %bb.114:
	s_or_b32 exec_lo, exec_lo, s30
                                        ; implicit-def: $vgpr6
.LBB207_115:
	s_and_not1_saveexec_b32 s29, s29
; %bb.116:
	v_mov_b32_e32 v5, 0x7f
	v_cmp_lt_u32_e32 vcc_lo, 0x7f800000, v6
	s_delay_alu instid0(VALU_DEP_2)
	v_cndmask_b32_e32 v5, 0x7c, v5, vcc_lo
; %bb.117:
	s_or_b32 exec_lo, exec_lo, s29
	v_lshrrev_b32_e32 v4, 24, v4
	s_delay_alu instid0(VALU_DEP_1)
	v_and_or_b32 v4, 0x80, v4, v5
	global_store_b8 v[2:3], v4, off
.LBB207_118:
	s_mov_b32 s30, 0
	s_mov_b32 s29, -1
.LBB207_119:
	s_and_not1_b32 vcc_lo, exec_lo, s30
	s_cbranch_vccnz .LBB207_127
; %bb.120:
	s_cmp_gt_i32 s28, 14
	s_mov_b32 s30, -1
	s_cbranch_scc0 .LBB207_124
; %bb.121:
	s_cmp_eq_u32 s28, 15
	s_mov_b32 s0, -1
	s_cbranch_scc0 .LBB207_123
; %bb.122:
	s_wait_xcnt 0x0
	v_bfe_i32 v4, v1, 0, 16
	s_mov_b32 s29, -1
	s_mov_b32 s0, 0
	s_delay_alu instid0(VALU_DEP_1) | instskip(NEXT) | instid1(VALU_DEP_1)
	v_cvt_f32_i32_e32 v4, v4
	v_bfe_u32 v5, v4, 16, 1
	s_delay_alu instid0(VALU_DEP_1)
	v_add3_u32 v4, v4, v5, 0x7fff
	global_store_d16_hi_b16 v[2:3], v4, off
.LBB207_123:
	s_mov_b32 s30, 0
.LBB207_124:
	s_delay_alu instid0(SALU_CYCLE_1)
	s_and_b32 vcc_lo, exec_lo, s30
	s_cbranch_vccz .LBB207_127
; %bb.125:
	s_cmp_eq_u32 s28, 11
	s_mov_b32 s0, -1
	s_cbranch_scc0 .LBB207_127
; %bb.126:
	v_cmp_ne_u16_e32 vcc_lo, 0, v1
	s_mov_b32 s0, 0
	s_mov_b32 s29, -1
	s_wait_xcnt 0x0
	v_cndmask_b32_e64 v4, 0, 1, vcc_lo
	global_store_b8 v[2:3], v4, off
.LBB207_127:
	s_branch .LBB207_47
.LBB207_128:
	s_and_b32 s27, 0xffff, s27
	s_mov_b32 s28, -1
	s_cmp_lt_i32 s27, 5
	s_cbranch_scc1 .LBB207_149
; %bb.129:
	s_cmp_lt_i32 s27, 8
	s_cbranch_scc1 .LBB207_139
; %bb.130:
	;; [unrolled: 3-line block ×3, first 2 shown]
	s_cmp_gt_i32 s27, 9
	s_cbranch_scc0 .LBB207_133
; %bb.132:
	s_wait_xcnt 0x0
	v_bfe_i32 v4, v1, 0, 16
	s_wait_loadcnt 0x0
	v_mov_b32_e32 v6, 0
	s_mov_b32 s28, 0
	s_delay_alu instid0(VALU_DEP_2) | instskip(NEXT) | instid1(VALU_DEP_2)
	v_cvt_f64_i32_e32 v[4:5], v4
	v_mov_b32_e32 v7, v6
	global_store_b128 v[2:3], v[4:7], off
.LBB207_133:
	s_and_not1_b32 vcc_lo, exec_lo, s28
	s_cbranch_vccnz .LBB207_135
; %bb.134:
	s_wait_xcnt 0x0
	v_bfe_i32 v4, v1, 0, 16
	v_mov_b32_e32 v5, 0
	s_delay_alu instid0(VALU_DEP_2)
	v_cvt_f32_i32_e32 v4, v4
	global_store_b64 v[2:3], v[4:5], off
.LBB207_135:
	s_mov_b32 s28, 0
.LBB207_136:
	s_delay_alu instid0(SALU_CYCLE_1)
	s_and_not1_b32 vcc_lo, exec_lo, s28
	s_cbranch_vccnz .LBB207_138
; %bb.137:
	s_wait_xcnt 0x0
	v_cvt_f16_i16_e32 v4, v1
	s_delay_alu instid0(VALU_DEP_1)
	v_and_b32_e32 v4, 0xffff, v4
	global_store_b32 v[2:3], v4, off
.LBB207_138:
	s_mov_b32 s28, 0
.LBB207_139:
	s_delay_alu instid0(SALU_CYCLE_1)
	s_and_not1_b32 vcc_lo, exec_lo, s28
	s_cbranch_vccnz .LBB207_148
; %bb.140:
	s_cmp_lt_i32 s27, 6
	s_mov_b32 s28, -1
	s_cbranch_scc1 .LBB207_146
; %bb.141:
	s_cmp_gt_i32 s27, 6
	s_cbranch_scc0 .LBB207_143
; %bb.142:
	s_wait_xcnt 0x0
	v_bfe_i32 v4, v1, 0, 16
	s_mov_b32 s28, 0
	s_delay_alu instid0(VALU_DEP_1)
	v_cvt_f64_i32_e32 v[4:5], v4
	global_store_b64 v[2:3], v[4:5], off
.LBB207_143:
	s_and_not1_b32 vcc_lo, exec_lo, s28
	s_cbranch_vccnz .LBB207_145
; %bb.144:
	s_wait_xcnt 0x0
	v_bfe_i32 v4, v1, 0, 16
	s_delay_alu instid0(VALU_DEP_1)
	v_cvt_f32_i32_e32 v4, v4
	global_store_b32 v[2:3], v4, off
.LBB207_145:
	s_mov_b32 s28, 0
.LBB207_146:
	s_delay_alu instid0(SALU_CYCLE_1)
	s_and_not1_b32 vcc_lo, exec_lo, s28
	s_cbranch_vccnz .LBB207_148
; %bb.147:
	s_wait_xcnt 0x0
	v_cvt_f16_i16_e32 v4, v1
	global_store_b16 v[2:3], v4, off
.LBB207_148:
	s_mov_b32 s28, 0
.LBB207_149:
	s_delay_alu instid0(SALU_CYCLE_1)
	s_and_not1_b32 vcc_lo, exec_lo, s28
	s_cbranch_vccnz .LBB207_165
; %bb.150:
	s_cmp_lt_i32 s27, 2
	s_mov_b32 s28, -1
	s_cbranch_scc1 .LBB207_160
; %bb.151:
	s_cmp_lt_i32 s27, 3
	s_cbranch_scc1 .LBB207_157
; %bb.152:
	s_wait_xcnt 0x0
	v_bfe_i32 v4, v1, 0, 16
	s_cmp_gt_i32 s27, 3
	s_cbranch_scc0 .LBB207_154
; %bb.153:
	s_delay_alu instid0(VALU_DEP_1)
	v_ashrrev_i32_e32 v5, 31, v4
	s_mov_b32 s28, 0
	global_store_b64 v[2:3], v[4:5], off
.LBB207_154:
	s_and_not1_b32 vcc_lo, exec_lo, s28
	s_cbranch_vccnz .LBB207_156
; %bb.155:
	global_store_b32 v[2:3], v4, off
.LBB207_156:
	s_mov_b32 s28, 0
.LBB207_157:
	s_delay_alu instid0(SALU_CYCLE_1)
	s_and_not1_b32 vcc_lo, exec_lo, s28
	s_cbranch_vccnz .LBB207_159
; %bb.158:
	global_store_b16 v[2:3], v1, off
.LBB207_159:
	s_mov_b32 s28, 0
.LBB207_160:
	s_delay_alu instid0(SALU_CYCLE_1)
	s_and_not1_b32 vcc_lo, exec_lo, s28
	s_cbranch_vccnz .LBB207_165
; %bb.161:
	s_cmp_gt_i32 s27, 0
	s_mov_b32 s27, -1
	s_cbranch_scc0 .LBB207_163
; %bb.162:
	s_mov_b32 s27, 0
	global_store_b8 v[2:3], v1, off
.LBB207_163:
	s_and_not1_b32 vcc_lo, exec_lo, s27
	s_cbranch_vccnz .LBB207_165
; %bb.164:
	global_store_b8 v[2:3], v1, off
.LBB207_165:
.LBB207_166:
	v_add_nc_u32_e32 v0, 0x80, v0
	s_mov_b32 s27, -1
	s_branch .LBB207_273
.LBB207_167:
	s_mov_b32 s26, -1
                                        ; implicit-def: $vgpr6
.LBB207_168:
	s_mov_b32 s28, 0
.LBB207_169:
	s_delay_alu instid0(SALU_CYCLE_1)
	s_and_b32 vcc_lo, exec_lo, s28
	s_cbranch_vccz .LBB207_173
; %bb.170:
	s_cmp_eq_u32 s0, 29
	s_cbranch_scc0 .LBB207_172
; %bb.171:
	global_load_b64 v[6:7], v[4:5], off
	s_mov_b32 s27, -1
	s_mov_b32 s26, 0
	s_branch .LBB207_173
.LBB207_172:
	s_mov_b32 s26, -1
                                        ; implicit-def: $vgpr6
.LBB207_173:
	s_mov_b32 s28, 0
.LBB207_174:
	s_delay_alu instid0(SALU_CYCLE_1)
	s_and_b32 vcc_lo, exec_lo, s28
	s_cbranch_vccz .LBB207_190
; %bb.175:
	s_cmp_lt_i32 s0, 27
	s_cbranch_scc1 .LBB207_178
; %bb.176:
	s_cmp_gt_i32 s0, 27
	s_cbranch_scc0 .LBB207_179
; %bb.177:
	s_wait_loadcnt 0x0
	global_load_b32 v6, v[4:5], off
	s_mov_b32 s27, 0
	s_branch .LBB207_180
.LBB207_178:
	s_mov_b32 s27, -1
                                        ; implicit-def: $vgpr6
	s_branch .LBB207_183
.LBB207_179:
	s_mov_b32 s27, -1
                                        ; implicit-def: $vgpr6
.LBB207_180:
	s_delay_alu instid0(SALU_CYCLE_1)
	s_and_not1_b32 vcc_lo, exec_lo, s27
	s_cbranch_vccnz .LBB207_182
; %bb.181:
	s_wait_loadcnt 0x0
	global_load_u16 v6, v[4:5], off
.LBB207_182:
	s_mov_b32 s27, 0
.LBB207_183:
	s_delay_alu instid0(SALU_CYCLE_1)
	s_and_not1_b32 vcc_lo, exec_lo, s27
	s_cbranch_vccnz .LBB207_189
; %bb.184:
	global_load_u8 v1, v[4:5], off
	s_mov_b32 s28, 0
	s_mov_b32 s27, exec_lo
	s_wait_loadcnt 0x0
	v_cmpx_lt_i16_e32 0x7f, v1
	s_xor_b32 s27, exec_lo, s27
	s_cbranch_execz .LBB207_200
; %bb.185:
	v_cmp_ne_u16_e32 vcc_lo, 0x80, v1
	s_and_b32 s28, vcc_lo, exec_lo
	s_and_not1_saveexec_b32 s27, s27
	s_cbranch_execnz .LBB207_201
.LBB207_186:
	s_or_b32 exec_lo, exec_lo, s27
	v_mov_b32_e32 v6, 0
	s_and_saveexec_b32 s27, s28
	s_cbranch_execz .LBB207_188
.LBB207_187:
	v_and_b32_e32 v3, 0xffff, v1
	s_delay_alu instid0(VALU_DEP_1) | instskip(SKIP_1) | instid1(VALU_DEP_2)
	v_dual_lshlrev_b32 v1, 24, v1 :: v_dual_bitop2_b32 v6, 7, v3 bitop3:0x40
	v_bfe_u32 v9, v3, 3, 4
	v_and_b32_e32 v1, 0x80000000, v1
	s_delay_alu instid0(VALU_DEP_3) | instskip(NEXT) | instid1(VALU_DEP_3)
	v_clz_i32_u32_e32 v7, v6
	v_cmp_eq_u32_e32 vcc_lo, 0, v9
	s_delay_alu instid0(VALU_DEP_2) | instskip(NEXT) | instid1(VALU_DEP_1)
	v_min_u32_e32 v7, 32, v7
	v_subrev_nc_u32_e32 v8, 28, v7
	v_sub_nc_u32_e32 v7, 29, v7
	s_delay_alu instid0(VALU_DEP_2) | instskip(NEXT) | instid1(VALU_DEP_2)
	v_lshlrev_b32_e32 v3, v8, v3
	v_cndmask_b32_e32 v7, v9, v7, vcc_lo
	s_delay_alu instid0(VALU_DEP_2) | instskip(NEXT) | instid1(VALU_DEP_1)
	v_and_b32_e32 v3, 7, v3
	v_cndmask_b32_e32 v3, v6, v3, vcc_lo
	s_delay_alu instid0(VALU_DEP_3) | instskip(NEXT) | instid1(VALU_DEP_2)
	v_lshl_add_u32 v6, v7, 23, 0x3b800000
	v_lshlrev_b32_e32 v3, 20, v3
	s_delay_alu instid0(VALU_DEP_1) | instskip(NEXT) | instid1(VALU_DEP_1)
	v_or3_b32 v1, v1, v6, v3
	v_cvt_i32_f32_e32 v6, v1
.LBB207_188:
	s_or_b32 exec_lo, exec_lo, s27
.LBB207_189:
	s_mov_b32 s27, -1
.LBB207_190:
	s_branch .LBB207_223
.LBB207_191:
	s_cmp_gt_i32 s0, 22
	s_cbranch_scc0 .LBB207_199
; %bb.192:
	s_cmp_lt_i32 s0, 24
	s_cbranch_scc1 .LBB207_202
; %bb.193:
	s_cmp_gt_i32 s0, 24
	s_cbranch_scc0 .LBB207_203
; %bb.194:
	global_load_u8 v1, v[4:5], off
	s_mov_b32 s28, 0
	s_mov_b32 s27, exec_lo
	s_wait_loadcnt 0x0
	v_cmpx_lt_i16_e32 0x7f, v1
	s_xor_b32 s27, exec_lo, s27
	s_cbranch_execz .LBB207_215
; %bb.195:
	v_cmp_ne_u16_e32 vcc_lo, 0x80, v1
	s_and_b32 s28, vcc_lo, exec_lo
	s_and_not1_saveexec_b32 s27, s27
	s_cbranch_execnz .LBB207_216
.LBB207_196:
	s_or_b32 exec_lo, exec_lo, s27
	v_mov_b32_e32 v6, 0
	s_and_saveexec_b32 s27, s28
	s_cbranch_execz .LBB207_198
.LBB207_197:
	v_and_b32_e32 v3, 0xffff, v1
	s_delay_alu instid0(VALU_DEP_1) | instskip(SKIP_1) | instid1(VALU_DEP_2)
	v_dual_lshlrev_b32 v1, 24, v1 :: v_dual_bitop2_b32 v6, 3, v3 bitop3:0x40
	v_bfe_u32 v9, v3, 2, 5
	v_and_b32_e32 v1, 0x80000000, v1
	s_delay_alu instid0(VALU_DEP_3) | instskip(NEXT) | instid1(VALU_DEP_3)
	v_clz_i32_u32_e32 v7, v6
	v_cmp_eq_u32_e32 vcc_lo, 0, v9
	s_delay_alu instid0(VALU_DEP_2) | instskip(NEXT) | instid1(VALU_DEP_1)
	v_min_u32_e32 v7, 32, v7
	v_subrev_nc_u32_e32 v8, 29, v7
	v_sub_nc_u32_e32 v7, 30, v7
	s_delay_alu instid0(VALU_DEP_2) | instskip(NEXT) | instid1(VALU_DEP_2)
	v_lshlrev_b32_e32 v3, v8, v3
	v_cndmask_b32_e32 v7, v9, v7, vcc_lo
	s_delay_alu instid0(VALU_DEP_2) | instskip(NEXT) | instid1(VALU_DEP_1)
	v_and_b32_e32 v3, 3, v3
	v_cndmask_b32_e32 v3, v6, v3, vcc_lo
	s_delay_alu instid0(VALU_DEP_3) | instskip(NEXT) | instid1(VALU_DEP_2)
	v_lshl_add_u32 v6, v7, 23, 0x37800000
	v_lshlrev_b32_e32 v3, 21, v3
	s_delay_alu instid0(VALU_DEP_1) | instskip(NEXT) | instid1(VALU_DEP_1)
	v_or3_b32 v1, v1, v6, v3
	v_cvt_i32_f32_e32 v6, v1
.LBB207_198:
	s_or_b32 exec_lo, exec_lo, s27
	s_mov_b32 s27, 0
	s_branch .LBB207_204
.LBB207_199:
	s_mov_b32 s28, -1
                                        ; implicit-def: $vgpr6
	s_branch .LBB207_210
.LBB207_200:
	s_and_not1_saveexec_b32 s27, s27
	s_cbranch_execz .LBB207_186
.LBB207_201:
	v_cmp_ne_u16_e32 vcc_lo, 0, v1
	s_and_not1_b32 s28, s28, exec_lo
	s_and_b32 s29, vcc_lo, exec_lo
	s_delay_alu instid0(SALU_CYCLE_1)
	s_or_b32 s28, s28, s29
	s_or_b32 exec_lo, exec_lo, s27
	v_mov_b32_e32 v6, 0
	s_and_saveexec_b32 s27, s28
	s_cbranch_execnz .LBB207_187
	s_branch .LBB207_188
.LBB207_202:
	s_mov_b32 s27, -1
                                        ; implicit-def: $vgpr6
	s_branch .LBB207_207
.LBB207_203:
	s_mov_b32 s27, -1
                                        ; implicit-def: $vgpr6
.LBB207_204:
	s_delay_alu instid0(SALU_CYCLE_1)
	s_and_b32 vcc_lo, exec_lo, s27
	s_cbranch_vccz .LBB207_206
; %bb.205:
	global_load_u8 v1, v[4:5], off
	s_wait_loadcnt 0x0
	v_lshlrev_b32_e32 v1, 24, v1
	s_delay_alu instid0(VALU_DEP_1) | instskip(NEXT) | instid1(VALU_DEP_1)
	v_and_b32_e32 v3, 0x7f000000, v1
	v_clz_i32_u32_e32 v6, v3
	v_cmp_ne_u32_e32 vcc_lo, 0, v3
	v_add_nc_u32_e32 v8, 0x1000000, v3
	s_delay_alu instid0(VALU_DEP_3) | instskip(NEXT) | instid1(VALU_DEP_1)
	v_min_u32_e32 v6, 32, v6
	v_sub_nc_u32_e64 v6, v6, 4 clamp
	s_delay_alu instid0(VALU_DEP_1) | instskip(NEXT) | instid1(VALU_DEP_1)
	v_dual_lshlrev_b32 v7, v6, v3 :: v_dual_lshlrev_b32 v6, 23, v6
	v_lshrrev_b32_e32 v7, 4, v7
	s_delay_alu instid0(VALU_DEP_1) | instskip(NEXT) | instid1(VALU_DEP_1)
	v_dual_sub_nc_u32 v6, v7, v6 :: v_dual_ashrrev_i32 v7, 8, v8
	v_add_nc_u32_e32 v6, 0x3c000000, v6
	s_delay_alu instid0(VALU_DEP_1) | instskip(NEXT) | instid1(VALU_DEP_1)
	v_and_or_b32 v6, 0x7f800000, v7, v6
	v_cndmask_b32_e32 v3, 0, v6, vcc_lo
	s_delay_alu instid0(VALU_DEP_1) | instskip(NEXT) | instid1(VALU_DEP_1)
	v_and_or_b32 v1, 0x80000000, v1, v3
	v_cvt_i32_f32_e32 v6, v1
.LBB207_206:
	s_mov_b32 s27, 0
.LBB207_207:
	s_delay_alu instid0(SALU_CYCLE_1)
	s_and_not1_b32 vcc_lo, exec_lo, s27
	s_cbranch_vccnz .LBB207_209
; %bb.208:
	global_load_u8 v1, v[4:5], off
	s_wait_loadcnt 0x0
	v_lshlrev_b32_e32 v3, 25, v1
	v_lshlrev_b16 v1, 8, v1
	s_delay_alu instid0(VALU_DEP_1) | instskip(SKIP_1) | instid1(VALU_DEP_2)
	v_and_or_b32 v7, 0x7f00, v1, 0.5
	v_bfe_i32 v1, v1, 0, 16
	v_add_f32_e32 v7, -0.5, v7
	v_lshrrev_b32_e32 v6, 4, v3
	v_cmp_gt_u32_e32 vcc_lo, 0x8000000, v3
	s_delay_alu instid0(VALU_DEP_2) | instskip(NEXT) | instid1(VALU_DEP_1)
	v_or_b32_e32 v6, 0x70000000, v6
	v_mul_f32_e32 v6, 0x7800000, v6
	s_delay_alu instid0(VALU_DEP_1) | instskip(NEXT) | instid1(VALU_DEP_1)
	v_cndmask_b32_e32 v3, v6, v7, vcc_lo
	v_and_or_b32 v1, 0x80000000, v1, v3
	s_delay_alu instid0(VALU_DEP_1)
	v_cvt_i32_f32_e32 v6, v1
.LBB207_209:
	s_mov_b32 s28, 0
	s_mov_b32 s27, -1
.LBB207_210:
	s_and_not1_b32 vcc_lo, exec_lo, s28
	s_cbranch_vccnz .LBB207_223
; %bb.211:
	s_cmp_gt_i32 s0, 14
	s_cbranch_scc0 .LBB207_214
; %bb.212:
	s_cmp_eq_u32 s0, 15
	s_cbranch_scc0 .LBB207_217
; %bb.213:
	global_load_u16 v1, v[4:5], off
	s_mov_b32 s27, -1
	s_mov_b32 s26, 0
	s_wait_loadcnt 0x0
	v_lshlrev_b32_e32 v1, 16, v1
	s_delay_alu instid0(VALU_DEP_1)
	v_cvt_i32_f32_e32 v6, v1
	s_branch .LBB207_218
.LBB207_214:
	s_mov_b32 s28, -1
                                        ; implicit-def: $vgpr6
	s_branch .LBB207_219
.LBB207_215:
	s_and_not1_saveexec_b32 s27, s27
	s_cbranch_execz .LBB207_196
.LBB207_216:
	v_cmp_ne_u16_e32 vcc_lo, 0, v1
	s_and_not1_b32 s28, s28, exec_lo
	s_and_b32 s29, vcc_lo, exec_lo
	s_delay_alu instid0(SALU_CYCLE_1)
	s_or_b32 s28, s28, s29
	s_or_b32 exec_lo, exec_lo, s27
	v_mov_b32_e32 v6, 0
	s_and_saveexec_b32 s27, s28
	s_cbranch_execnz .LBB207_197
	s_branch .LBB207_198
.LBB207_217:
	s_mov_b32 s26, -1
                                        ; implicit-def: $vgpr6
.LBB207_218:
	s_mov_b32 s28, 0
.LBB207_219:
	s_delay_alu instid0(SALU_CYCLE_1)
	s_and_b32 vcc_lo, exec_lo, s28
	s_cbranch_vccz .LBB207_223
; %bb.220:
	s_cmp_eq_u32 s0, 11
	s_cbranch_scc0 .LBB207_222
; %bb.221:
	global_load_u8 v1, v[4:5], off
	s_mov_b32 s26, 0
	s_mov_b32 s27, -1
	s_wait_loadcnt 0x0
	v_cmp_ne_u16_e32 vcc_lo, 0, v1
	v_cndmask_b32_e64 v6, 0, 1, vcc_lo
	s_branch .LBB207_223
.LBB207_222:
	s_mov_b32 s26, -1
                                        ; implicit-def: $vgpr6
.LBB207_223:
	s_branch .LBB207_25
.LBB207_224:
	s_cmp_lt_i32 s0, 5
	s_cbranch_scc1 .LBB207_229
; %bb.225:
	s_cmp_lt_i32 s0, 8
	s_cbranch_scc1 .LBB207_230
; %bb.226:
	;; [unrolled: 3-line block ×3, first 2 shown]
	s_cmp_gt_i32 s0, 9
	s_cbranch_scc0 .LBB207_232
; %bb.228:
	s_wait_loadcnt 0x0
	global_load_b64 v[6:7], v[4:5], off
	s_mov_b32 s27, 0
	s_wait_loadcnt 0x0
	v_cvt_i32_f64_e32 v6, v[6:7]
	s_branch .LBB207_233
.LBB207_229:
                                        ; implicit-def: $vgpr6
	s_branch .LBB207_251
.LBB207_230:
	s_mov_b32 s27, -1
                                        ; implicit-def: $vgpr6
	s_branch .LBB207_239
.LBB207_231:
	s_mov_b32 s27, -1
                                        ; implicit-def: $vgpr6
	s_branch .LBB207_236
.LBB207_232:
	s_mov_b32 s27, -1
                                        ; implicit-def: $vgpr6
.LBB207_233:
	s_delay_alu instid0(SALU_CYCLE_1)
	s_and_not1_b32 vcc_lo, exec_lo, s27
	s_cbranch_vccnz .LBB207_235
; %bb.234:
	global_load_b32 v1, v[4:5], off
	s_wait_loadcnt 0x0
	v_cvt_i32_f32_e32 v6, v1
.LBB207_235:
	s_mov_b32 s27, 0
.LBB207_236:
	s_delay_alu instid0(SALU_CYCLE_1)
	s_and_not1_b32 vcc_lo, exec_lo, s27
	s_cbranch_vccnz .LBB207_238
; %bb.237:
	global_load_b32 v1, v[4:5], off
	s_wait_loadcnt 0x0
	v_cvt_i16_f16_e32 v6, v1
.LBB207_238:
	s_mov_b32 s27, 0
.LBB207_239:
	s_delay_alu instid0(SALU_CYCLE_1)
	s_and_not1_b32 vcc_lo, exec_lo, s27
	s_cbranch_vccnz .LBB207_250
; %bb.240:
	s_cmp_lt_i32 s0, 6
	s_cbranch_scc1 .LBB207_243
; %bb.241:
	s_cmp_gt_i32 s0, 6
	s_cbranch_scc0 .LBB207_244
; %bb.242:
	s_wait_loadcnt 0x0
	global_load_b64 v[6:7], v[4:5], off
	s_mov_b32 s27, 0
	s_wait_loadcnt 0x0
	v_cvt_i32_f64_e32 v6, v[6:7]
	s_branch .LBB207_245
.LBB207_243:
	s_mov_b32 s27, -1
                                        ; implicit-def: $vgpr6
	s_branch .LBB207_248
.LBB207_244:
	s_mov_b32 s27, -1
                                        ; implicit-def: $vgpr6
.LBB207_245:
	s_delay_alu instid0(SALU_CYCLE_1)
	s_and_not1_b32 vcc_lo, exec_lo, s27
	s_cbranch_vccnz .LBB207_247
; %bb.246:
	global_load_b32 v1, v[4:5], off
	s_wait_loadcnt 0x0
	v_cvt_i32_f32_e32 v6, v1
.LBB207_247:
	s_mov_b32 s27, 0
.LBB207_248:
	s_delay_alu instid0(SALU_CYCLE_1)
	s_and_not1_b32 vcc_lo, exec_lo, s27
	s_cbranch_vccnz .LBB207_250
; %bb.249:
	global_load_u16 v1, v[4:5], off
	s_wait_loadcnt 0x0
	v_cvt_i16_f16_e32 v6, v1
.LBB207_250:
	s_cbranch_execnz .LBB207_270
.LBB207_251:
	s_cmp_lt_i32 s0, 2
	s_cbranch_scc1 .LBB207_255
; %bb.252:
	s_cmp_lt_i32 s0, 3
	s_cbranch_scc1 .LBB207_256
; %bb.253:
	s_cmp_gt_i32 s0, 3
	s_cbranch_scc0 .LBB207_257
; %bb.254:
	s_wait_loadcnt 0x0
	global_load_b64 v[6:7], v[4:5], off
	s_mov_b32 s27, 0
	s_branch .LBB207_258
.LBB207_255:
	s_mov_b32 s27, -1
                                        ; implicit-def: $vgpr6
	s_branch .LBB207_264
.LBB207_256:
	s_mov_b32 s27, -1
                                        ; implicit-def: $vgpr6
	s_branch .LBB207_261
.LBB207_257:
	s_mov_b32 s27, -1
                                        ; implicit-def: $vgpr6
.LBB207_258:
	s_delay_alu instid0(SALU_CYCLE_1)
	s_and_not1_b32 vcc_lo, exec_lo, s27
	s_cbranch_vccnz .LBB207_260
; %bb.259:
	s_wait_loadcnt 0x0
	global_load_b32 v6, v[4:5], off
.LBB207_260:
	s_mov_b32 s27, 0
.LBB207_261:
	s_delay_alu instid0(SALU_CYCLE_1)
	s_and_not1_b32 vcc_lo, exec_lo, s27
	s_cbranch_vccnz .LBB207_263
; %bb.262:
	s_wait_loadcnt 0x0
	global_load_u16 v6, v[4:5], off
.LBB207_263:
	s_mov_b32 s27, 0
.LBB207_264:
	s_delay_alu instid0(SALU_CYCLE_1)
	s_and_not1_b32 vcc_lo, exec_lo, s27
	s_cbranch_vccnz .LBB207_270
; %bb.265:
	s_cmp_gt_i32 s0, 0
	s_mov_b32 s0, 0
	s_cbranch_scc0 .LBB207_267
; %bb.266:
	s_wait_loadcnt 0x0
	global_load_i8 v6, v[4:5], off
	s_branch .LBB207_268
.LBB207_267:
	s_mov_b32 s0, -1
                                        ; implicit-def: $vgpr6
.LBB207_268:
	s_delay_alu instid0(SALU_CYCLE_1)
	s_and_not1_b32 vcc_lo, exec_lo, s0
	s_cbranch_vccnz .LBB207_270
; %bb.269:
	s_wait_loadcnt 0x0
	global_load_u8 v6, v[4:5], off
.LBB207_270:
	s_branch .LBB207_26
.LBB207_271:
	s_mov_b32 s0, 0
.LBB207_272:
	s_mov_b32 s27, 0
                                        ; implicit-def: $vgpr0
.LBB207_273:
	s_and_b32 s42, s0, exec_lo
	s_and_b32 s43, s26, exec_lo
	s_or_not1_b32 s27, s27, exec_lo
.LBB207_274:
	s_wait_xcnt 0x0
	s_or_b32 exec_lo, exec_lo, s44
	s_mov_b32 s26, 0
	s_mov_b32 s0, 0
                                        ; implicit-def: $vgpr4_vgpr5
                                        ; implicit-def: $vgpr2
                                        ; implicit-def: $vgpr6
	s_and_saveexec_b32 s44, s27
	s_cbranch_execz .LBB207_282
; %bb.275:
	s_mov_b32 s0, -1
	s_mov_b32 s45, s43
	s_mov_b32 s46, s42
	s_mov_b32 s47, exec_lo
	v_cmpx_gt_i32_e64 s39, v0
	s_cbranch_execz .LBB207_560
; %bb.276:
	s_and_not1_b32 vcc_lo, exec_lo, s35
	s_cbranch_vccnz .LBB207_285
; %bb.277:
	s_and_not1_b32 vcc_lo, exec_lo, s41
	s_cbranch_vccnz .LBB207_286
; %bb.278:
	s_add_co_i32 s0, s40, 1
	s_cmp_eq_u32 s33, 2
	s_cbranch_scc1 .LBB207_287
; %bb.279:
	v_dual_mov_b32 v2, 0 :: v_dual_mov_b32 v4, 0
	v_mov_b32_e32 v1, v0
	s_and_b32 s26, s0, 28
	s_mov_b32 s27, 0
	s_mov_b64 s[28:29], s[2:3]
	s_mov_b64 s[30:31], s[24:25]
.LBB207_280:                            ; =>This Inner Loop Header: Depth=1
	s_clause 0x1
	s_load_b256 s[48:55], s[28:29], 0x4
	s_load_b128 s[64:67], s[28:29], 0x24
	s_load_b256 s[56:63], s[30:31], 0x0
	s_add_co_i32 s27, s27, 4
	s_wait_xcnt 0x0
	s_add_nc_u64 s[28:29], s[28:29], 48
	s_cmp_eq_u32 s26, s27
	s_add_nc_u64 s[30:31], s[30:31], 32
	s_wait_kmcnt 0x0
	v_mul_hi_u32 v3, s49, v1
	s_delay_alu instid0(VALU_DEP_1) | instskip(NEXT) | instid1(VALU_DEP_1)
	v_add_nc_u32_e32 v3, v1, v3
	v_lshrrev_b32_e32 v3, s50, v3
	s_delay_alu instid0(VALU_DEP_1) | instskip(NEXT) | instid1(VALU_DEP_1)
	v_mul_hi_u32 v5, s52, v3
	v_add_nc_u32_e32 v5, v3, v5
	s_delay_alu instid0(VALU_DEP_1) | instskip(SKIP_1) | instid1(VALU_DEP_1)
	v_lshrrev_b32_e32 v5, s53, v5
	s_wait_loadcnt 0x0
	v_mul_hi_u32 v6, s55, v5
	s_delay_alu instid0(VALU_DEP_1) | instskip(SKIP_1) | instid1(VALU_DEP_1)
	v_add_nc_u32_e32 v6, v5, v6
	v_mul_lo_u32 v7, v3, s48
	v_sub_nc_u32_e32 v1, v1, v7
	v_mul_lo_u32 v7, v5, s51
	s_delay_alu instid0(VALU_DEP_4) | instskip(NEXT) | instid1(VALU_DEP_3)
	v_lshrrev_b32_e32 v6, s64, v6
	v_mad_u32 v4, v1, s57, v4
	v_mad_u32 v1, v1, s56, v2
	s_delay_alu instid0(VALU_DEP_4) | instskip(NEXT) | instid1(VALU_DEP_4)
	v_sub_nc_u32_e32 v2, v3, v7
	v_mul_hi_u32 v8, s66, v6
	v_mul_lo_u32 v3, v6, s54
	s_delay_alu instid0(VALU_DEP_3) | instskip(SKIP_1) | instid1(VALU_DEP_3)
	v_mad_u32 v4, v2, s59, v4
	v_mad_u32 v2, v2, s58, v1
	v_dual_add_nc_u32 v7, v6, v8 :: v_dual_sub_nc_u32 v3, v5, v3
	s_delay_alu instid0(VALU_DEP_1) | instskip(NEXT) | instid1(VALU_DEP_2)
	v_lshrrev_b32_e32 v1, s67, v7
	v_mad_u32 v4, v3, s61, v4
	s_delay_alu instid0(VALU_DEP_4) | instskip(NEXT) | instid1(VALU_DEP_3)
	v_mad_u32 v2, v3, s60, v2
	v_mul_lo_u32 v5, v1, s65
	s_delay_alu instid0(VALU_DEP_1) | instskip(NEXT) | instid1(VALU_DEP_1)
	v_sub_nc_u32_e32 v3, v6, v5
	v_mad_u32 v4, v3, s63, v4
	s_delay_alu instid0(VALU_DEP_4)
	v_mad_u32 v2, v3, s62, v2
	s_cbranch_scc0 .LBB207_280
; %bb.281:
	s_delay_alu instid0(VALU_DEP_2)
	v_mov_b32_e32 v3, v4
	s_branch .LBB207_288
.LBB207_282:
	s_or_b32 exec_lo, exec_lo, s44
	s_mov_b32 s1, 0
	s_and_saveexec_b32 s6, s43
	s_cbranch_execnz .LBB207_946
.LBB207_283:
	s_or_b32 exec_lo, exec_lo, s6
	s_and_saveexec_b32 s6, s21
	s_delay_alu instid0(SALU_CYCLE_1)
	s_xor_b32 s6, exec_lo, s6
	s_cbranch_execz .LBB207_947
.LBB207_284:
	global_load_u8 v0, v[4:5], off
	s_or_b32 s0, s0, exec_lo
	s_wait_loadcnt 0x0
	v_cmp_ne_u16_e32 vcc_lo, 0, v0
	v_cndmask_b32_e64 v6, 0, 1, vcc_lo
	s_wait_xcnt 0x0
	s_or_b32 exec_lo, exec_lo, s6
	s_and_saveexec_b32 s6, s26
	s_cbranch_execz .LBB207_993
	s_branch .LBB207_948
.LBB207_285:
                                        ; implicit-def: $vgpr4
                                        ; implicit-def: $vgpr2
	s_and_not1_b32 vcc_lo, exec_lo, s0
	s_cbranch_vccnz .LBB207_295
	s_branch .LBB207_293
.LBB207_286:
	v_dual_mov_b32 v4, 0 :: v_dual_mov_b32 v2, 0
	s_branch .LBB207_292
.LBB207_287:
	v_mov_b64_e32 v[2:3], 0
	v_mov_b32_e32 v1, v0
                                        ; implicit-def: $vgpr4
.LBB207_288:
	s_and_b32 s0, s0, 3
	s_mov_b32 s27, 0
	s_cmp_eq_u32 s0, 0
	s_cbranch_scc1 .LBB207_292
; %bb.289:
	s_lshl_b32 s28, s26, 3
	s_mov_b32 s29, s27
	s_mul_u64 s[30:31], s[26:27], 12
	s_add_nc_u64 s[28:29], s[2:3], s[28:29]
	s_delay_alu instid0(SALU_CYCLE_1)
	s_add_nc_u64 s[26:27], s[28:29], 0xc4
	s_add_nc_u64 s[28:29], s[2:3], s[30:31]
.LBB207_290:                            ; =>This Inner Loop Header: Depth=1
	s_load_b96 s[48:50], s[28:29], 0x4
	s_load_b64 s[30:31], s[26:27], 0x0
	s_add_co_i32 s0, s0, -1
	s_wait_xcnt 0x0
	s_add_nc_u64 s[28:29], s[28:29], 12
	s_cmp_lg_u32 s0, 0
	s_add_nc_u64 s[26:27], s[26:27], 8
	s_wait_kmcnt 0x0
	v_mul_hi_u32 v4, s49, v1
	s_delay_alu instid0(VALU_DEP_1) | instskip(NEXT) | instid1(VALU_DEP_1)
	v_add_nc_u32_e32 v4, v1, v4
	v_lshrrev_b32_e32 v4, s50, v4
	s_delay_alu instid0(VALU_DEP_1) | instskip(NEXT) | instid1(VALU_DEP_1)
	v_mul_lo_u32 v5, v4, s48
	v_sub_nc_u32_e32 v1, v1, v5
	s_delay_alu instid0(VALU_DEP_1)
	v_mad_u32 v3, v1, s31, v3
	v_mad_u32 v2, v1, s30, v2
	v_mov_b32_e32 v1, v4
	s_cbranch_scc1 .LBB207_290
; %bb.291:
	s_delay_alu instid0(VALU_DEP_3)
	v_mov_b32_e32 v4, v3
.LBB207_292:
	s_cbranch_execnz .LBB207_295
.LBB207_293:
	v_mov_b32_e32 v1, 0
	s_and_not1_b32 vcc_lo, exec_lo, s38
	s_delay_alu instid0(VALU_DEP_1) | instskip(NEXT) | instid1(VALU_DEP_1)
	v_mul_u64_e32 v[2:3], s[20:21], v[0:1]
	v_add_nc_u32_e32 v2, v0, v3
	s_wait_loadcnt 0x0
	s_delay_alu instid0(VALU_DEP_1) | instskip(NEXT) | instid1(VALU_DEP_1)
	v_lshrrev_b32_e32 v6, s10, v2
	v_mul_lo_u32 v2, v6, s8
	s_delay_alu instid0(VALU_DEP_1) | instskip(NEXT) | instid1(VALU_DEP_1)
	v_sub_nc_u32_e32 v2, v0, v2
	v_mul_lo_u32 v4, v2, s13
	v_mul_lo_u32 v2, v2, s12
	s_cbranch_vccnz .LBB207_295
; %bb.294:
	v_mov_b32_e32 v7, v1
	s_delay_alu instid0(VALU_DEP_1) | instskip(NEXT) | instid1(VALU_DEP_1)
	v_mul_u64_e32 v[8:9], s[22:23], v[6:7]
	v_add_nc_u32_e32 v1, v6, v9
	s_delay_alu instid0(VALU_DEP_1) | instskip(NEXT) | instid1(VALU_DEP_1)
	v_lshrrev_b32_e32 v1, s1, v1
	v_mul_lo_u32 v1, v1, s11
	s_delay_alu instid0(VALU_DEP_1) | instskip(NEXT) | instid1(VALU_DEP_1)
	v_sub_nc_u32_e32 v1, v6, v1
	v_mad_u32 v2, v1, s14, v2
	v_mad_u32 v4, v1, s15, v4
.LBB207_295:
	v_mov_b32_e32 v5, 0
	s_and_b32 s0, 0xffff, s37
	s_delay_alu instid0(SALU_CYCLE_1) | instskip(NEXT) | instid1(VALU_DEP_1)
	s_cmp_lt_i32 s0, 11
	v_add_nc_u64_e32 v[4:5], s[6:7], v[4:5]
	s_cbranch_scc1 .LBB207_302
; %bb.296:
	s_cmp_gt_i32 s0, 25
	s_cbranch_scc0 .LBB207_307
; %bb.297:
	s_cmp_gt_i32 s0, 28
	s_cbranch_scc0 .LBB207_311
; %bb.298:
	s_cmp_gt_i32 s0, 43
	s_cbranch_scc0 .LBB207_326
; %bb.299:
	s_cmp_gt_i32 s0, 45
	s_cbranch_scc0 .LBB207_330
; %bb.300:
	s_cmp_eq_u32 s0, 46
	s_mov_b32 s28, 0
	s_cbranch_scc0 .LBB207_334
; %bb.301:
	global_load_b32 v1, v[4:5], off
	s_mov_b32 s27, -1
	s_mov_b32 s26, 0
	s_wait_loadcnt 0x0
	v_lshlrev_b32_e32 v1, 16, v1
	s_delay_alu instid0(VALU_DEP_1)
	v_cvt_i32_f32_e32 v6, v1
	s_branch .LBB207_336
.LBB207_302:
	s_mov_b32 s27, 0
	s_mov_b32 s26, s43
                                        ; implicit-def: $vgpr6
	s_cbranch_execnz .LBB207_509
.LBB207_303:
	s_and_not1_b32 vcc_lo, exec_lo, s27
	s_cbranch_vccnz .LBB207_557
.LBB207_304:
	s_cmp_lt_i32 s16, 1
	s_mov_b32 s0, 0
	s_cbranch_scc1 .LBB207_308
; %bb.305:
	s_cmp_eq_u32 s16, 1
	s_cbranch_scc0 .LBB207_312
; %bb.306:
	s_wait_loadcnt 0x0
	s_delay_alu instid0(VALU_DEP_1)
	v_min_i16 v1, v6, s17
	s_mov_b32 s27, 0
	s_branch .LBB207_313
.LBB207_307:
	s_mov_b32 s28, -1
	s_mov_b32 s27, 0
	s_mov_b32 s26, s43
                                        ; implicit-def: $vgpr6
	s_branch .LBB207_475
.LBB207_308:
	s_mov_b32 s27, 0
                                        ; implicit-def: $vgpr1
	s_cbranch_execnz .LBB207_314
.LBB207_309:
	s_and_not1_b32 vcc_lo, exec_lo, s27
	s_cbranch_vccnz .LBB207_315
.LBB207_310:
	s_wait_loadcnt 0x0
	s_delay_alu instid0(VALU_DEP_1) | instskip(NEXT) | instid1(VALU_DEP_1)
	v_max_i16 v1, v6, s17
	v_min_i16 v1, v1, s9
	s_cbranch_execz .LBB207_316
	s_branch .LBB207_317
.LBB207_311:
	s_mov_b32 s28, -1
	s_mov_b32 s27, 0
	s_mov_b32 s26, s43
                                        ; implicit-def: $vgpr6
	s_branch .LBB207_458
.LBB207_312:
	s_mov_b32 s27, -1
                                        ; implicit-def: $vgpr1
.LBB207_313:
	s_branch .LBB207_309
.LBB207_314:
	s_cmp_lg_u32 s16, 0
	s_mov_b32 s0, -1
	s_cselect_b32 s27, -1, 0
	s_delay_alu instid0(SALU_CYCLE_1)
	s_and_not1_b32 vcc_lo, exec_lo, s27
	s_cbranch_vccz .LBB207_310
.LBB207_315:
	s_and_not1_b32 vcc_lo, exec_lo, s0
	s_cbranch_vccnz .LBB207_317
.LBB207_316:
	s_wait_loadcnt 0x0
	s_delay_alu instid0(VALU_DEP_1)
	v_max_i16 v1, v6, s17
.LBB207_317:
	v_mov_b32_e32 v3, 0
	s_and_b32 s27, s18, 0xff
	s_delay_alu instid0(SALU_CYCLE_1) | instskip(NEXT) | instid1(VALU_DEP_1)
	s_cmp_lt_i32 s27, 11
	v_add_nc_u64_e32 v[2:3], s[4:5], v[2:3]
	s_cbranch_scc1 .LBB207_324
; %bb.318:
	s_and_b32 s28, 0xffff, s27
	s_delay_alu instid0(SALU_CYCLE_1)
	s_cmp_gt_i32 s28, 25
	s_cbranch_scc0 .LBB207_325
; %bb.319:
	s_cmp_gt_i32 s28, 28
	s_cbranch_scc0 .LBB207_327
; %bb.320:
	;; [unrolled: 3-line block ×4, first 2 shown]
	s_mov_b32 s30, 0
	s_mov_b32 s0, -1
	s_cmp_eq_u32 s28, 46
	s_mov_b32 s29, 0
	s_cbranch_scc0 .LBB207_340
; %bb.323:
	s_wait_xcnt 0x0
	v_bfe_i32 v4, v1, 0, 16
	s_mov_b32 s29, -1
	s_mov_b32 s0, 0
	s_delay_alu instid0(VALU_DEP_1) | instskip(NEXT) | instid1(VALU_DEP_1)
	v_cvt_f32_i32_e32 v4, v4
	v_bfe_u32 v5, v4, 16, 1
	s_delay_alu instid0(VALU_DEP_1) | instskip(NEXT) | instid1(VALU_DEP_1)
	v_add3_u32 v4, v4, v5, 0x7fff
	v_lshrrev_b32_e32 v4, 16, v4
	global_store_b32 v[2:3], v4, off
	s_branch .LBB207_340
.LBB207_324:
	s_mov_b32 s28, -1
	s_mov_b32 s29, 0
	s_mov_b32 s0, s42
	s_branch .LBB207_409
.LBB207_325:
	s_mov_b32 s30, -1
	s_mov_b32 s29, 0
	s_mov_b32 s0, s42
	s_branch .LBB207_367
.LBB207_326:
	s_mov_b32 s28, -1
	s_mov_b32 s27, 0
	s_mov_b32 s26, s43
                                        ; implicit-def: $vgpr6
	s_branch .LBB207_453
.LBB207_327:
	s_mov_b32 s30, -1
	s_mov_b32 s29, 0
	s_mov_b32 s0, s42
	s_branch .LBB207_350
.LBB207_328:
	s_and_not1_saveexec_b32 s31, s31
	s_cbranch_execz .LBB207_80
.LBB207_329:
	v_add_f32_e64 v5, 0x46000000, |v4|
	s_and_not1_b32 s30, s30, exec_lo
	s_delay_alu instid0(VALU_DEP_1) | instskip(NEXT) | instid1(VALU_DEP_1)
	v_and_b32_e32 v5, 0xff, v5
	v_cmp_ne_u32_e32 vcc_lo, 0, v5
	s_and_b32 s42, vcc_lo, exec_lo
	s_delay_alu instid0(SALU_CYCLE_1)
	s_or_b32 s30, s30, s42
	s_or_b32 exec_lo, exec_lo, s31
	v_mov_b32_e32 v6, 0
	s_and_saveexec_b32 s31, s30
	s_cbranch_execnz .LBB207_81
	s_branch .LBB207_82
.LBB207_330:
	s_mov_b32 s28, -1
	s_mov_b32 s27, 0
	s_mov_b32 s26, s43
	s_branch .LBB207_335
.LBB207_331:
	s_mov_b32 s30, -1
	s_mov_b32 s29, 0
	s_mov_b32 s0, s42
	s_branch .LBB207_346
.LBB207_332:
	s_and_not1_saveexec_b32 s31, s31
	s_cbranch_execz .LBB207_93
.LBB207_333:
	v_add_f32_e64 v5, 0x42800000, |v4|
	s_and_not1_b32 s30, s30, exec_lo
	s_delay_alu instid0(VALU_DEP_1) | instskip(NEXT) | instid1(VALU_DEP_1)
	v_and_b32_e32 v5, 0xff, v5
	v_cmp_ne_u32_e32 vcc_lo, 0, v5
	s_and_b32 s42, vcc_lo, exec_lo
	s_delay_alu instid0(SALU_CYCLE_1)
	s_or_b32 s30, s30, s42
	s_or_b32 exec_lo, exec_lo, s31
	v_mov_b32_e32 v6, 0
	s_and_saveexec_b32 s31, s30
	s_cbranch_execnz .LBB207_94
	s_branch .LBB207_95
.LBB207_334:
	s_mov_b32 s26, -1
	s_mov_b32 s27, 0
.LBB207_335:
                                        ; implicit-def: $vgpr6
.LBB207_336:
	s_and_b32 vcc_lo, exec_lo, s28
	s_cbranch_vccz .LBB207_452
; %bb.337:
	s_cmp_eq_u32 s0, 44
	s_cbranch_scc0 .LBB207_451
; %bb.338:
	global_load_u8 v1, v[4:5], off
	s_mov_b32 s26, 0
	s_mov_b32 s27, -1
	s_wait_loadcnt 0x0
	v_lshlrev_b32_e32 v3, 23, v1
	v_cmp_ne_u32_e32 vcc_lo, 0, v1
	s_delay_alu instid0(VALU_DEP_2) | instskip(NEXT) | instid1(VALU_DEP_1)
	v_cvt_i32_f32_e32 v3, v3
	v_cndmask_b32_e32 v6, 0, v3, vcc_lo
	s_branch .LBB207_452
.LBB207_339:
	s_mov_b32 s30, -1
	s_mov_b32 s29, 0
	s_mov_b32 s0, s42
.LBB207_340:
	s_and_b32 vcc_lo, exec_lo, s30
	s_cbranch_vccz .LBB207_345
; %bb.341:
	s_cmp_eq_u32 s28, 44
	s_mov_b32 s0, -1
	s_cbranch_scc0 .LBB207_345
; %bb.342:
	s_wait_xcnt 0x0
	v_bfe_i32 v4, v1, 0, 16
	v_mov_b32_e32 v5, 0xff
	s_mov_b32 s29, exec_lo
	s_delay_alu instid0(VALU_DEP_2) | instskip(SKIP_1) | instid1(VALU_DEP_1)
	v_cvt_f32_i32_e32 v4, v4
	s_wait_loadcnt 0x0
	v_bfe_u32 v6, v4, 23, 8
	s_delay_alu instid0(VALU_DEP_1)
	v_cmpx_ne_u32_e32 0xff, v6
	s_cbranch_execz .LBB207_344
; %bb.343:
	v_and_b32_e32 v5, 0x400000, v4
	v_and_or_b32 v6, 0x3fffff, v4, v6
	v_lshrrev_b32_e32 v4, 23, v4
	s_delay_alu instid0(VALU_DEP_3) | instskip(NEXT) | instid1(VALU_DEP_3)
	v_cmp_ne_u32_e32 vcc_lo, 0, v5
	v_cmp_ne_u32_e64 s0, 0, v6
	s_and_b32 s0, vcc_lo, s0
	s_delay_alu instid0(SALU_CYCLE_1) | instskip(NEXT) | instid1(VALU_DEP_1)
	v_cndmask_b32_e64 v5, 0, 1, s0
	v_add_nc_u32_e32 v5, v4, v5
.LBB207_344:
	s_or_b32 exec_lo, exec_lo, s29
	s_mov_b32 s29, -1
	s_mov_b32 s0, 0
	global_store_b8 v[2:3], v5, off
.LBB207_345:
	s_mov_b32 s30, 0
.LBB207_346:
	s_delay_alu instid0(SALU_CYCLE_1)
	s_and_b32 vcc_lo, exec_lo, s30
	s_cbranch_vccz .LBB207_349
; %bb.347:
	s_cmp_eq_u32 s28, 29
	s_mov_b32 s0, -1
	s_cbranch_scc0 .LBB207_349
; %bb.348:
	s_wait_xcnt 0x0
	v_bfe_i32 v4, v1, 0, 16
	s_mov_b32 s0, 0
	s_mov_b32 s29, -1
	s_mov_b32 s30, 0
	s_delay_alu instid0(VALU_DEP_1)
	v_ashrrev_i32_e32 v5, 31, v4
	global_store_b64 v[2:3], v[4:5], off
	s_branch .LBB207_350
.LBB207_349:
	s_mov_b32 s30, 0
.LBB207_350:
	s_delay_alu instid0(SALU_CYCLE_1)
	s_and_b32 vcc_lo, exec_lo, s30
	s_cbranch_vccz .LBB207_366
; %bb.351:
	s_cmp_lt_i32 s28, 27
	s_mov_b32 s29, -1
	s_cbranch_scc1 .LBB207_357
; %bb.352:
	s_cmp_gt_i32 s28, 27
	s_cbranch_scc0 .LBB207_354
; %bb.353:
	s_wait_xcnt 0x0
	v_bfe_i32 v4, v1, 0, 16
	s_mov_b32 s29, 0
	global_store_b32 v[2:3], v4, off
.LBB207_354:
	s_and_not1_b32 vcc_lo, exec_lo, s29
	s_cbranch_vccnz .LBB207_356
; %bb.355:
	global_store_b16 v[2:3], v1, off
.LBB207_356:
	s_mov_b32 s29, 0
.LBB207_357:
	s_delay_alu instid0(SALU_CYCLE_1)
	s_and_not1_b32 vcc_lo, exec_lo, s29
	s_cbranch_vccnz .LBB207_365
; %bb.358:
	s_wait_xcnt 0x0
	v_bfe_i32 v4, v1, 0, 16
	s_wait_loadcnt 0x0
	v_mov_b32_e32 v6, 0x80
	s_mov_b32 s29, exec_lo
	s_delay_alu instid0(VALU_DEP_2) | instskip(NEXT) | instid1(VALU_DEP_1)
	v_cvt_f32_i32_e32 v4, v4
	v_and_b32_e32 v5, 0x7fffffff, v4
	s_delay_alu instid0(VALU_DEP_1)
	v_cmpx_gt_u32_e32 0x43800000, v5
	s_cbranch_execz .LBB207_364
; %bb.359:
	v_cmp_lt_u32_e32 vcc_lo, 0x3bffffff, v5
	s_mov_b32 s30, 0
                                        ; implicit-def: $vgpr5
	s_and_saveexec_b32 s31, vcc_lo
	s_delay_alu instid0(SALU_CYCLE_1)
	s_xor_b32 s31, exec_lo, s31
	s_cbranch_execz .LBB207_590
; %bb.360:
	v_bfe_u32 v5, v4, 20, 1
	s_mov_b32 s30, exec_lo
	s_delay_alu instid0(VALU_DEP_1) | instskip(NEXT) | instid1(VALU_DEP_1)
	v_add3_u32 v5, v4, v5, 0x487ffff
	v_lshrrev_b32_e32 v5, 20, v5
	s_and_not1_saveexec_b32 s31, s31
	s_cbranch_execnz .LBB207_591
.LBB207_361:
	s_or_b32 exec_lo, exec_lo, s31
	v_mov_b32_e32 v6, 0
	s_and_saveexec_b32 s31, s30
.LBB207_362:
	v_lshrrev_b32_e32 v4, 24, v4
	s_delay_alu instid0(VALU_DEP_1)
	v_and_or_b32 v6, 0x80, v4, v5
.LBB207_363:
	s_or_b32 exec_lo, exec_lo, s31
.LBB207_364:
	s_delay_alu instid0(SALU_CYCLE_1)
	s_or_b32 exec_lo, exec_lo, s29
	global_store_b8 v[2:3], v6, off
.LBB207_365:
	s_mov_b32 s29, -1
.LBB207_366:
	s_mov_b32 s30, 0
.LBB207_367:
	s_delay_alu instid0(SALU_CYCLE_1)
	s_and_b32 vcc_lo, exec_lo, s30
	s_cbranch_vccz .LBB207_408
; %bb.368:
	s_cmp_gt_i32 s28, 22
	s_mov_b32 s30, -1
	s_cbranch_scc0 .LBB207_400
; %bb.369:
	s_cmp_lt_i32 s28, 24
	s_mov_b32 s29, -1
	s_cbranch_scc1 .LBB207_389
; %bb.370:
	s_cmp_gt_i32 s28, 24
	s_cbranch_scc0 .LBB207_378
; %bb.371:
	s_wait_xcnt 0x0
	v_bfe_i32 v4, v1, 0, 16
	s_wait_loadcnt 0x0
	v_mov_b32_e32 v6, 0x80
	s_mov_b32 s29, exec_lo
	s_delay_alu instid0(VALU_DEP_2) | instskip(NEXT) | instid1(VALU_DEP_1)
	v_cvt_f32_i32_e32 v4, v4
	v_and_b32_e32 v5, 0x7fffffff, v4
	s_delay_alu instid0(VALU_DEP_1)
	v_cmpx_gt_u32_e32 0x47800000, v5
	s_cbranch_execz .LBB207_377
; %bb.372:
	v_cmp_lt_u32_e32 vcc_lo, 0x37ffffff, v5
	s_mov_b32 s30, 0
                                        ; implicit-def: $vgpr5
	s_and_saveexec_b32 s31, vcc_lo
	s_delay_alu instid0(SALU_CYCLE_1)
	s_xor_b32 s31, exec_lo, s31
	s_cbranch_execz .LBB207_593
; %bb.373:
	v_bfe_u32 v5, v4, 21, 1
	s_mov_b32 s30, exec_lo
	s_delay_alu instid0(VALU_DEP_1) | instskip(NEXT) | instid1(VALU_DEP_1)
	v_add3_u32 v5, v4, v5, 0x88fffff
	v_lshrrev_b32_e32 v5, 21, v5
	s_and_not1_saveexec_b32 s31, s31
	s_cbranch_execnz .LBB207_594
.LBB207_374:
	s_or_b32 exec_lo, exec_lo, s31
	v_mov_b32_e32 v6, 0
	s_and_saveexec_b32 s31, s30
.LBB207_375:
	v_lshrrev_b32_e32 v4, 24, v4
	s_delay_alu instid0(VALU_DEP_1)
	v_and_or_b32 v6, 0x80, v4, v5
.LBB207_376:
	s_or_b32 exec_lo, exec_lo, s31
.LBB207_377:
	s_delay_alu instid0(SALU_CYCLE_1)
	s_or_b32 exec_lo, exec_lo, s29
	s_mov_b32 s29, 0
	global_store_b8 v[2:3], v6, off
.LBB207_378:
	s_and_b32 vcc_lo, exec_lo, s29
	s_cbranch_vccz .LBB207_388
; %bb.379:
	s_wait_xcnt 0x0
	v_bfe_i32 v4, v1, 0, 16
	s_mov_b32 s29, exec_lo
                                        ; implicit-def: $vgpr5
	s_delay_alu instid0(VALU_DEP_1) | instskip(SKIP_1) | instid1(VALU_DEP_1)
	v_cvt_f32_i32_e32 v4, v4
	s_wait_loadcnt 0x0
	v_and_b32_e32 v6, 0x7fffffff, v4
	s_delay_alu instid0(VALU_DEP_1)
	v_cmpx_gt_u32_e32 0x43f00000, v6
	s_xor_b32 s29, exec_lo, s29
	s_cbranch_execz .LBB207_385
; %bb.380:
	s_mov_b32 s30, exec_lo
                                        ; implicit-def: $vgpr5
	v_cmpx_lt_u32_e32 0x3c7fffff, v6
	s_xor_b32 s30, exec_lo, s30
; %bb.381:
	v_bfe_u32 v5, v4, 20, 1
	s_delay_alu instid0(VALU_DEP_1) | instskip(NEXT) | instid1(VALU_DEP_1)
	v_add3_u32 v5, v4, v5, 0x407ffff
	v_and_b32_e32 v6, 0xff00000, v5
	v_lshrrev_b32_e32 v5, 20, v5
	s_delay_alu instid0(VALU_DEP_2) | instskip(NEXT) | instid1(VALU_DEP_2)
	v_cmp_ne_u32_e32 vcc_lo, 0x7f00000, v6
	v_cndmask_b32_e32 v5, 0x7e, v5, vcc_lo
; %bb.382:
	s_and_not1_saveexec_b32 s30, s30
; %bb.383:
	v_add_f32_e64 v5, 0x46800000, |v4|
; %bb.384:
	s_or_b32 exec_lo, exec_lo, s30
                                        ; implicit-def: $vgpr6
.LBB207_385:
	s_and_not1_saveexec_b32 s29, s29
; %bb.386:
	v_mov_b32_e32 v5, 0x7f
	v_cmp_lt_u32_e32 vcc_lo, 0x7f800000, v6
	s_delay_alu instid0(VALU_DEP_2)
	v_cndmask_b32_e32 v5, 0x7e, v5, vcc_lo
; %bb.387:
	s_or_b32 exec_lo, exec_lo, s29
	v_lshrrev_b32_e32 v4, 24, v4
	s_delay_alu instid0(VALU_DEP_1)
	v_and_or_b32 v4, 0x80, v4, v5
	global_store_b8 v[2:3], v4, off
.LBB207_388:
	s_mov_b32 s29, 0
.LBB207_389:
	s_delay_alu instid0(SALU_CYCLE_1)
	s_and_not1_b32 vcc_lo, exec_lo, s29
	s_cbranch_vccnz .LBB207_399
; %bb.390:
	s_wait_xcnt 0x0
	v_bfe_i32 v4, v1, 0, 16
	s_mov_b32 s29, exec_lo
                                        ; implicit-def: $vgpr5
	s_delay_alu instid0(VALU_DEP_1) | instskip(SKIP_1) | instid1(VALU_DEP_1)
	v_cvt_f32_i32_e32 v4, v4
	s_wait_loadcnt 0x0
	v_and_b32_e32 v6, 0x7fffffff, v4
	s_delay_alu instid0(VALU_DEP_1)
	v_cmpx_gt_u32_e32 0x47800000, v6
	s_xor_b32 s29, exec_lo, s29
	s_cbranch_execz .LBB207_396
; %bb.391:
	s_mov_b32 s30, exec_lo
                                        ; implicit-def: $vgpr5
	v_cmpx_lt_u32_e32 0x387fffff, v6
	s_xor_b32 s30, exec_lo, s30
; %bb.392:
	v_bfe_u32 v5, v4, 21, 1
	s_delay_alu instid0(VALU_DEP_1) | instskip(NEXT) | instid1(VALU_DEP_1)
	v_add3_u32 v5, v4, v5, 0x80fffff
	v_lshrrev_b32_e32 v5, 21, v5
; %bb.393:
	s_and_not1_saveexec_b32 s30, s30
; %bb.394:
	v_add_f32_e64 v5, 0x43000000, |v4|
; %bb.395:
	s_or_b32 exec_lo, exec_lo, s30
                                        ; implicit-def: $vgpr6
.LBB207_396:
	s_and_not1_saveexec_b32 s29, s29
; %bb.397:
	v_mov_b32_e32 v5, 0x7f
	v_cmp_lt_u32_e32 vcc_lo, 0x7f800000, v6
	s_delay_alu instid0(VALU_DEP_2)
	v_cndmask_b32_e32 v5, 0x7c, v5, vcc_lo
; %bb.398:
	s_or_b32 exec_lo, exec_lo, s29
	v_lshrrev_b32_e32 v4, 24, v4
	s_delay_alu instid0(VALU_DEP_1)
	v_and_or_b32 v4, 0x80, v4, v5
	global_store_b8 v[2:3], v4, off
.LBB207_399:
	s_mov_b32 s30, 0
	s_mov_b32 s29, -1
.LBB207_400:
	s_and_not1_b32 vcc_lo, exec_lo, s30
	s_cbranch_vccnz .LBB207_408
; %bb.401:
	s_cmp_gt_i32 s28, 14
	s_mov_b32 s30, -1
	s_cbranch_scc0 .LBB207_405
; %bb.402:
	s_cmp_eq_u32 s28, 15
	s_mov_b32 s0, -1
	s_cbranch_scc0 .LBB207_404
; %bb.403:
	s_wait_xcnt 0x0
	v_bfe_i32 v4, v1, 0, 16
	s_mov_b32 s29, -1
	s_mov_b32 s0, 0
	s_delay_alu instid0(VALU_DEP_1) | instskip(NEXT) | instid1(VALU_DEP_1)
	v_cvt_f32_i32_e32 v4, v4
	v_bfe_u32 v5, v4, 16, 1
	s_delay_alu instid0(VALU_DEP_1)
	v_add3_u32 v4, v4, v5, 0x7fff
	global_store_d16_hi_b16 v[2:3], v4, off
.LBB207_404:
	s_mov_b32 s30, 0
.LBB207_405:
	s_delay_alu instid0(SALU_CYCLE_1)
	s_and_b32 vcc_lo, exec_lo, s30
	s_cbranch_vccz .LBB207_408
; %bb.406:
	s_cmp_eq_u32 s28, 11
	s_mov_b32 s0, -1
	s_cbranch_scc0 .LBB207_408
; %bb.407:
	v_cmp_ne_u16_e32 vcc_lo, 0, v1
	s_mov_b32 s0, 0
	s_mov_b32 s29, -1
	s_wait_xcnt 0x0
	v_cndmask_b32_e64 v4, 0, 1, vcc_lo
	global_store_b8 v[2:3], v4, off
.LBB207_408:
	s_mov_b32 s28, 0
.LBB207_409:
	s_delay_alu instid0(SALU_CYCLE_1)
	s_and_b32 vcc_lo, exec_lo, s28
	s_cbranch_vccz .LBB207_448
; %bb.410:
	s_and_b32 s27, 0xffff, s27
	s_mov_b32 s28, -1
	s_cmp_lt_i32 s27, 5
	s_cbranch_scc1 .LBB207_431
; %bb.411:
	s_cmp_lt_i32 s27, 8
	s_cbranch_scc1 .LBB207_421
; %bb.412:
	;; [unrolled: 3-line block ×3, first 2 shown]
	s_cmp_gt_i32 s27, 9
	s_cbranch_scc0 .LBB207_415
; %bb.414:
	s_wait_xcnt 0x0
	v_bfe_i32 v4, v1, 0, 16
	s_wait_loadcnt 0x0
	v_mov_b32_e32 v6, 0
	s_mov_b32 s28, 0
	s_delay_alu instid0(VALU_DEP_2) | instskip(NEXT) | instid1(VALU_DEP_2)
	v_cvt_f64_i32_e32 v[4:5], v4
	v_mov_b32_e32 v7, v6
	global_store_b128 v[2:3], v[4:7], off
.LBB207_415:
	s_and_not1_b32 vcc_lo, exec_lo, s28
	s_cbranch_vccnz .LBB207_417
; %bb.416:
	s_wait_xcnt 0x0
	v_bfe_i32 v4, v1, 0, 16
	v_mov_b32_e32 v5, 0
	s_delay_alu instid0(VALU_DEP_2)
	v_cvt_f32_i32_e32 v4, v4
	global_store_b64 v[2:3], v[4:5], off
.LBB207_417:
	s_mov_b32 s28, 0
.LBB207_418:
	s_delay_alu instid0(SALU_CYCLE_1)
	s_and_not1_b32 vcc_lo, exec_lo, s28
	s_cbranch_vccnz .LBB207_420
; %bb.419:
	s_wait_xcnt 0x0
	v_cvt_f16_i16_e32 v4, v1
	s_delay_alu instid0(VALU_DEP_1)
	v_and_b32_e32 v4, 0xffff, v4
	global_store_b32 v[2:3], v4, off
.LBB207_420:
	s_mov_b32 s28, 0
.LBB207_421:
	s_delay_alu instid0(SALU_CYCLE_1)
	s_and_not1_b32 vcc_lo, exec_lo, s28
	s_cbranch_vccnz .LBB207_430
; %bb.422:
	s_cmp_lt_i32 s27, 6
	s_mov_b32 s28, -1
	s_cbranch_scc1 .LBB207_428
; %bb.423:
	s_cmp_gt_i32 s27, 6
	s_cbranch_scc0 .LBB207_425
; %bb.424:
	s_wait_xcnt 0x0
	v_bfe_i32 v4, v1, 0, 16
	s_mov_b32 s28, 0
	s_delay_alu instid0(VALU_DEP_1)
	v_cvt_f64_i32_e32 v[4:5], v4
	global_store_b64 v[2:3], v[4:5], off
.LBB207_425:
	s_and_not1_b32 vcc_lo, exec_lo, s28
	s_cbranch_vccnz .LBB207_427
; %bb.426:
	s_wait_xcnt 0x0
	v_bfe_i32 v4, v1, 0, 16
	s_delay_alu instid0(VALU_DEP_1)
	v_cvt_f32_i32_e32 v4, v4
	global_store_b32 v[2:3], v4, off
.LBB207_427:
	s_mov_b32 s28, 0
.LBB207_428:
	s_delay_alu instid0(SALU_CYCLE_1)
	s_and_not1_b32 vcc_lo, exec_lo, s28
	s_cbranch_vccnz .LBB207_430
; %bb.429:
	s_wait_xcnt 0x0
	v_cvt_f16_i16_e32 v4, v1
	global_store_b16 v[2:3], v4, off
.LBB207_430:
	s_mov_b32 s28, 0
.LBB207_431:
	s_delay_alu instid0(SALU_CYCLE_1)
	s_and_not1_b32 vcc_lo, exec_lo, s28
	s_cbranch_vccnz .LBB207_447
; %bb.432:
	s_cmp_lt_i32 s27, 2
	s_mov_b32 s28, -1
	s_cbranch_scc1 .LBB207_442
; %bb.433:
	s_cmp_lt_i32 s27, 3
	s_cbranch_scc1 .LBB207_439
; %bb.434:
	s_wait_xcnt 0x0
	v_bfe_i32 v4, v1, 0, 16
	s_cmp_gt_i32 s27, 3
	s_cbranch_scc0 .LBB207_436
; %bb.435:
	s_delay_alu instid0(VALU_DEP_1)
	v_ashrrev_i32_e32 v5, 31, v4
	s_mov_b32 s28, 0
	global_store_b64 v[2:3], v[4:5], off
.LBB207_436:
	s_and_not1_b32 vcc_lo, exec_lo, s28
	s_cbranch_vccnz .LBB207_438
; %bb.437:
	global_store_b32 v[2:3], v4, off
.LBB207_438:
	s_mov_b32 s28, 0
.LBB207_439:
	s_delay_alu instid0(SALU_CYCLE_1)
	s_and_not1_b32 vcc_lo, exec_lo, s28
	s_cbranch_vccnz .LBB207_441
; %bb.440:
	global_store_b16 v[2:3], v1, off
.LBB207_441:
	s_mov_b32 s28, 0
.LBB207_442:
	s_delay_alu instid0(SALU_CYCLE_1)
	s_and_not1_b32 vcc_lo, exec_lo, s28
	s_cbranch_vccnz .LBB207_447
; %bb.443:
	s_cmp_gt_i32 s27, 0
	s_mov_b32 s27, -1
	s_cbranch_scc0 .LBB207_445
; %bb.444:
	s_mov_b32 s27, 0
	global_store_b8 v[2:3], v1, off
.LBB207_445:
	s_and_not1_b32 vcc_lo, exec_lo, s27
	s_cbranch_vccnz .LBB207_447
; %bb.446:
	global_store_b8 v[2:3], v1, off
.LBB207_447:
	s_mov_b32 s29, -1
.LBB207_448:
	s_delay_alu instid0(SALU_CYCLE_1)
	s_and_not1_b32 vcc_lo, exec_lo, s29
	s_cbranch_vccnz .LBB207_450
; %bb.449:
	v_add_nc_u32_e32 v0, 0x80, v0
	s_mov_b32 s27, -1
	s_branch .LBB207_559
.LBB207_450:
	s_mov_b32 s27, 0
	s_branch .LBB207_558
.LBB207_451:
	s_mov_b32 s26, -1
                                        ; implicit-def: $vgpr6
.LBB207_452:
	s_mov_b32 s28, 0
.LBB207_453:
	s_delay_alu instid0(SALU_CYCLE_1)
	s_and_b32 vcc_lo, exec_lo, s28
	s_cbranch_vccz .LBB207_457
; %bb.454:
	s_cmp_eq_u32 s0, 29
	s_cbranch_scc0 .LBB207_456
; %bb.455:
	s_wait_loadcnt 0x0
	global_load_b64 v[6:7], v[4:5], off
	s_mov_b32 s27, -1
	s_mov_b32 s26, 0
	s_branch .LBB207_457
.LBB207_456:
	s_mov_b32 s26, -1
                                        ; implicit-def: $vgpr6
.LBB207_457:
	s_mov_b32 s28, 0
.LBB207_458:
	s_delay_alu instid0(SALU_CYCLE_1)
	s_and_b32 vcc_lo, exec_lo, s28
	s_cbranch_vccz .LBB207_474
; %bb.459:
	s_cmp_lt_i32 s0, 27
	s_cbranch_scc1 .LBB207_462
; %bb.460:
	s_cmp_gt_i32 s0, 27
	s_cbranch_scc0 .LBB207_463
; %bb.461:
	s_wait_loadcnt 0x0
	global_load_b32 v6, v[4:5], off
	s_mov_b32 s27, 0
	s_branch .LBB207_464
.LBB207_462:
	s_mov_b32 s27, -1
                                        ; implicit-def: $vgpr6
	s_branch .LBB207_467
.LBB207_463:
	s_mov_b32 s27, -1
                                        ; implicit-def: $vgpr6
.LBB207_464:
	s_delay_alu instid0(SALU_CYCLE_1)
	s_and_not1_b32 vcc_lo, exec_lo, s27
	s_cbranch_vccnz .LBB207_466
; %bb.465:
	s_wait_loadcnt 0x0
	global_load_u16 v6, v[4:5], off
.LBB207_466:
	s_mov_b32 s27, 0
.LBB207_467:
	s_delay_alu instid0(SALU_CYCLE_1)
	s_and_not1_b32 vcc_lo, exec_lo, s27
	s_cbranch_vccnz .LBB207_473
; %bb.468:
	global_load_u8 v1, v[4:5], off
	s_mov_b32 s28, 0
	s_mov_b32 s27, exec_lo
	s_wait_loadcnt 0x0
	v_cmpx_lt_i16_e32 0x7f, v1
	s_xor_b32 s27, exec_lo, s27
	s_cbranch_execz .LBB207_485
; %bb.469:
	v_cmp_ne_u16_e32 vcc_lo, 0x80, v1
	s_and_b32 s28, vcc_lo, exec_lo
	s_and_not1_saveexec_b32 s27, s27
	s_cbranch_execnz .LBB207_486
.LBB207_470:
	s_or_b32 exec_lo, exec_lo, s27
	v_mov_b32_e32 v6, 0
	s_and_saveexec_b32 s27, s28
	s_cbranch_execz .LBB207_472
.LBB207_471:
	v_and_b32_e32 v3, 0xffff, v1
	s_delay_alu instid0(VALU_DEP_1) | instskip(SKIP_1) | instid1(VALU_DEP_2)
	v_dual_lshlrev_b32 v1, 24, v1 :: v_dual_bitop2_b32 v6, 7, v3 bitop3:0x40
	v_bfe_u32 v9, v3, 3, 4
	v_and_b32_e32 v1, 0x80000000, v1
	s_delay_alu instid0(VALU_DEP_3) | instskip(NEXT) | instid1(VALU_DEP_3)
	v_clz_i32_u32_e32 v7, v6
	v_cmp_eq_u32_e32 vcc_lo, 0, v9
	s_delay_alu instid0(VALU_DEP_2) | instskip(NEXT) | instid1(VALU_DEP_1)
	v_min_u32_e32 v7, 32, v7
	v_subrev_nc_u32_e32 v8, 28, v7
	v_sub_nc_u32_e32 v7, 29, v7
	s_delay_alu instid0(VALU_DEP_2) | instskip(NEXT) | instid1(VALU_DEP_2)
	v_lshlrev_b32_e32 v3, v8, v3
	v_cndmask_b32_e32 v7, v9, v7, vcc_lo
	s_delay_alu instid0(VALU_DEP_2) | instskip(NEXT) | instid1(VALU_DEP_1)
	v_and_b32_e32 v3, 7, v3
	v_cndmask_b32_e32 v3, v6, v3, vcc_lo
	s_delay_alu instid0(VALU_DEP_3) | instskip(NEXT) | instid1(VALU_DEP_2)
	v_lshl_add_u32 v6, v7, 23, 0x3b800000
	v_lshlrev_b32_e32 v3, 20, v3
	s_delay_alu instid0(VALU_DEP_1) | instskip(NEXT) | instid1(VALU_DEP_1)
	v_or3_b32 v1, v1, v6, v3
	v_cvt_i32_f32_e32 v6, v1
.LBB207_472:
	s_or_b32 exec_lo, exec_lo, s27
.LBB207_473:
	s_mov_b32 s27, -1
.LBB207_474:
	s_mov_b32 s28, 0
.LBB207_475:
	s_delay_alu instid0(SALU_CYCLE_1)
	s_and_b32 vcc_lo, exec_lo, s28
	s_cbranch_vccz .LBB207_508
; %bb.476:
	s_cmp_gt_i32 s0, 22
	s_cbranch_scc0 .LBB207_484
; %bb.477:
	s_cmp_lt_i32 s0, 24
	s_cbranch_scc1 .LBB207_487
; %bb.478:
	s_cmp_gt_i32 s0, 24
	s_cbranch_scc0 .LBB207_488
; %bb.479:
	global_load_u8 v1, v[4:5], off
	s_mov_b32 s28, 0
	s_mov_b32 s27, exec_lo
	s_wait_loadcnt 0x0
	v_cmpx_lt_i16_e32 0x7f, v1
	s_xor_b32 s27, exec_lo, s27
	s_cbranch_execz .LBB207_500
; %bb.480:
	v_cmp_ne_u16_e32 vcc_lo, 0x80, v1
	s_and_b32 s28, vcc_lo, exec_lo
	s_and_not1_saveexec_b32 s27, s27
	s_cbranch_execnz .LBB207_501
.LBB207_481:
	s_or_b32 exec_lo, exec_lo, s27
	v_mov_b32_e32 v6, 0
	s_and_saveexec_b32 s27, s28
	s_cbranch_execz .LBB207_483
.LBB207_482:
	v_and_b32_e32 v3, 0xffff, v1
	s_delay_alu instid0(VALU_DEP_1) | instskip(SKIP_1) | instid1(VALU_DEP_2)
	v_dual_lshlrev_b32 v1, 24, v1 :: v_dual_bitop2_b32 v6, 3, v3 bitop3:0x40
	v_bfe_u32 v9, v3, 2, 5
	v_and_b32_e32 v1, 0x80000000, v1
	s_delay_alu instid0(VALU_DEP_3) | instskip(NEXT) | instid1(VALU_DEP_3)
	v_clz_i32_u32_e32 v7, v6
	v_cmp_eq_u32_e32 vcc_lo, 0, v9
	s_delay_alu instid0(VALU_DEP_2) | instskip(NEXT) | instid1(VALU_DEP_1)
	v_min_u32_e32 v7, 32, v7
	v_subrev_nc_u32_e32 v8, 29, v7
	v_sub_nc_u32_e32 v7, 30, v7
	s_delay_alu instid0(VALU_DEP_2) | instskip(NEXT) | instid1(VALU_DEP_2)
	v_lshlrev_b32_e32 v3, v8, v3
	v_cndmask_b32_e32 v7, v9, v7, vcc_lo
	s_delay_alu instid0(VALU_DEP_2) | instskip(NEXT) | instid1(VALU_DEP_1)
	v_and_b32_e32 v3, 3, v3
	v_cndmask_b32_e32 v3, v6, v3, vcc_lo
	s_delay_alu instid0(VALU_DEP_3) | instskip(NEXT) | instid1(VALU_DEP_2)
	v_lshl_add_u32 v6, v7, 23, 0x37800000
	v_lshlrev_b32_e32 v3, 21, v3
	s_delay_alu instid0(VALU_DEP_1) | instskip(NEXT) | instid1(VALU_DEP_1)
	v_or3_b32 v1, v1, v6, v3
	v_cvt_i32_f32_e32 v6, v1
.LBB207_483:
	s_or_b32 exec_lo, exec_lo, s27
	s_mov_b32 s27, 0
	s_branch .LBB207_489
.LBB207_484:
	s_mov_b32 s28, -1
                                        ; implicit-def: $vgpr6
	s_branch .LBB207_495
.LBB207_485:
	s_and_not1_saveexec_b32 s27, s27
	s_cbranch_execz .LBB207_470
.LBB207_486:
	v_cmp_ne_u16_e32 vcc_lo, 0, v1
	s_and_not1_b32 s28, s28, exec_lo
	s_and_b32 s29, vcc_lo, exec_lo
	s_delay_alu instid0(SALU_CYCLE_1)
	s_or_b32 s28, s28, s29
	s_or_b32 exec_lo, exec_lo, s27
	v_mov_b32_e32 v6, 0
	s_and_saveexec_b32 s27, s28
	s_cbranch_execnz .LBB207_471
	s_branch .LBB207_472
.LBB207_487:
	s_mov_b32 s27, -1
                                        ; implicit-def: $vgpr6
	s_branch .LBB207_492
.LBB207_488:
	s_mov_b32 s27, -1
                                        ; implicit-def: $vgpr6
.LBB207_489:
	s_delay_alu instid0(SALU_CYCLE_1)
	s_and_b32 vcc_lo, exec_lo, s27
	s_cbranch_vccz .LBB207_491
; %bb.490:
	global_load_u8 v1, v[4:5], off
	s_wait_loadcnt 0x0
	v_lshlrev_b32_e32 v1, 24, v1
	s_delay_alu instid0(VALU_DEP_1) | instskip(NEXT) | instid1(VALU_DEP_1)
	v_and_b32_e32 v3, 0x7f000000, v1
	v_clz_i32_u32_e32 v6, v3
	v_cmp_ne_u32_e32 vcc_lo, 0, v3
	v_add_nc_u32_e32 v8, 0x1000000, v3
	s_delay_alu instid0(VALU_DEP_3) | instskip(NEXT) | instid1(VALU_DEP_1)
	v_min_u32_e32 v6, 32, v6
	v_sub_nc_u32_e64 v6, v6, 4 clamp
	s_delay_alu instid0(VALU_DEP_1) | instskip(NEXT) | instid1(VALU_DEP_1)
	v_dual_lshlrev_b32 v7, v6, v3 :: v_dual_lshlrev_b32 v6, 23, v6
	v_lshrrev_b32_e32 v7, 4, v7
	s_delay_alu instid0(VALU_DEP_1) | instskip(NEXT) | instid1(VALU_DEP_1)
	v_dual_sub_nc_u32 v6, v7, v6 :: v_dual_ashrrev_i32 v7, 8, v8
	v_add_nc_u32_e32 v6, 0x3c000000, v6
	s_delay_alu instid0(VALU_DEP_1) | instskip(NEXT) | instid1(VALU_DEP_1)
	v_and_or_b32 v6, 0x7f800000, v7, v6
	v_cndmask_b32_e32 v3, 0, v6, vcc_lo
	s_delay_alu instid0(VALU_DEP_1) | instskip(NEXT) | instid1(VALU_DEP_1)
	v_and_or_b32 v1, 0x80000000, v1, v3
	v_cvt_i32_f32_e32 v6, v1
.LBB207_491:
	s_mov_b32 s27, 0
.LBB207_492:
	s_delay_alu instid0(SALU_CYCLE_1)
	s_and_not1_b32 vcc_lo, exec_lo, s27
	s_cbranch_vccnz .LBB207_494
; %bb.493:
	global_load_u8 v1, v[4:5], off
	s_wait_loadcnt 0x0
	v_lshlrev_b32_e32 v3, 25, v1
	v_lshlrev_b16 v1, 8, v1
	s_delay_alu instid0(VALU_DEP_1) | instskip(SKIP_1) | instid1(VALU_DEP_2)
	v_and_or_b32 v7, 0x7f00, v1, 0.5
	v_bfe_i32 v1, v1, 0, 16
	v_add_f32_e32 v7, -0.5, v7
	v_lshrrev_b32_e32 v6, 4, v3
	v_cmp_gt_u32_e32 vcc_lo, 0x8000000, v3
	s_delay_alu instid0(VALU_DEP_2) | instskip(NEXT) | instid1(VALU_DEP_1)
	v_or_b32_e32 v6, 0x70000000, v6
	v_mul_f32_e32 v6, 0x7800000, v6
	s_delay_alu instid0(VALU_DEP_1) | instskip(NEXT) | instid1(VALU_DEP_1)
	v_cndmask_b32_e32 v3, v6, v7, vcc_lo
	v_and_or_b32 v1, 0x80000000, v1, v3
	s_delay_alu instid0(VALU_DEP_1)
	v_cvt_i32_f32_e32 v6, v1
.LBB207_494:
	s_mov_b32 s28, 0
	s_mov_b32 s27, -1
.LBB207_495:
	s_and_not1_b32 vcc_lo, exec_lo, s28
	s_cbranch_vccnz .LBB207_508
; %bb.496:
	s_cmp_gt_i32 s0, 14
	s_cbranch_scc0 .LBB207_499
; %bb.497:
	s_cmp_eq_u32 s0, 15
	s_cbranch_scc0 .LBB207_502
; %bb.498:
	global_load_u16 v1, v[4:5], off
	s_mov_b32 s27, -1
	s_mov_b32 s26, 0
	s_wait_loadcnt 0x0
	v_lshlrev_b32_e32 v1, 16, v1
	s_delay_alu instid0(VALU_DEP_1)
	v_cvt_i32_f32_e32 v6, v1
	s_branch .LBB207_503
.LBB207_499:
	s_mov_b32 s28, -1
                                        ; implicit-def: $vgpr6
	s_branch .LBB207_504
.LBB207_500:
	s_and_not1_saveexec_b32 s27, s27
	s_cbranch_execz .LBB207_481
.LBB207_501:
	v_cmp_ne_u16_e32 vcc_lo, 0, v1
	s_and_not1_b32 s28, s28, exec_lo
	s_and_b32 s29, vcc_lo, exec_lo
	s_delay_alu instid0(SALU_CYCLE_1)
	s_or_b32 s28, s28, s29
	s_or_b32 exec_lo, exec_lo, s27
	v_mov_b32_e32 v6, 0
	s_and_saveexec_b32 s27, s28
	s_cbranch_execnz .LBB207_482
	s_branch .LBB207_483
.LBB207_502:
	s_mov_b32 s26, -1
                                        ; implicit-def: $vgpr6
.LBB207_503:
	s_mov_b32 s28, 0
.LBB207_504:
	s_delay_alu instid0(SALU_CYCLE_1)
	s_and_b32 vcc_lo, exec_lo, s28
	s_cbranch_vccz .LBB207_508
; %bb.505:
	s_cmp_eq_u32 s0, 11
	s_cbranch_scc0 .LBB207_507
; %bb.506:
	global_load_u8 v1, v[4:5], off
	s_mov_b32 s26, 0
	s_mov_b32 s27, -1
	s_wait_loadcnt 0x0
	v_cmp_ne_u16_e32 vcc_lo, 0, v1
	v_cndmask_b32_e64 v6, 0, 1, vcc_lo
	s_branch .LBB207_508
.LBB207_507:
	s_mov_b32 s26, -1
                                        ; implicit-def: $vgpr6
.LBB207_508:
	s_branch .LBB207_303
.LBB207_509:
	s_cmp_lt_i32 s0, 5
	s_cbranch_scc1 .LBB207_514
; %bb.510:
	s_cmp_lt_i32 s0, 8
	s_cbranch_scc1 .LBB207_515
; %bb.511:
	;; [unrolled: 3-line block ×3, first 2 shown]
	s_cmp_gt_i32 s0, 9
	s_cbranch_scc0 .LBB207_517
; %bb.513:
	s_wait_loadcnt 0x0
	global_load_b64 v[6:7], v[4:5], off
	s_mov_b32 s27, 0
	s_wait_loadcnt 0x0
	v_cvt_i32_f64_e32 v6, v[6:7]
	s_branch .LBB207_518
.LBB207_514:
	s_mov_b32 s27, -1
                                        ; implicit-def: $vgpr6
	s_branch .LBB207_536
.LBB207_515:
	s_mov_b32 s27, -1
                                        ; implicit-def: $vgpr6
	s_branch .LBB207_524
.LBB207_516:
	s_mov_b32 s27, -1
                                        ; implicit-def: $vgpr6
	s_branch .LBB207_521
.LBB207_517:
	s_mov_b32 s27, -1
                                        ; implicit-def: $vgpr6
.LBB207_518:
	s_delay_alu instid0(SALU_CYCLE_1)
	s_and_not1_b32 vcc_lo, exec_lo, s27
	s_cbranch_vccnz .LBB207_520
; %bb.519:
	global_load_b32 v1, v[4:5], off
	s_wait_loadcnt 0x0
	v_cvt_i32_f32_e32 v6, v1
.LBB207_520:
	s_mov_b32 s27, 0
.LBB207_521:
	s_delay_alu instid0(SALU_CYCLE_1)
	s_and_not1_b32 vcc_lo, exec_lo, s27
	s_cbranch_vccnz .LBB207_523
; %bb.522:
	global_load_b32 v1, v[4:5], off
	s_wait_loadcnt 0x0
	v_cvt_i16_f16_e32 v6, v1
.LBB207_523:
	s_mov_b32 s27, 0
.LBB207_524:
	s_delay_alu instid0(SALU_CYCLE_1)
	s_and_not1_b32 vcc_lo, exec_lo, s27
	s_cbranch_vccnz .LBB207_535
; %bb.525:
	s_cmp_lt_i32 s0, 6
	s_cbranch_scc1 .LBB207_528
; %bb.526:
	s_cmp_gt_i32 s0, 6
	s_cbranch_scc0 .LBB207_529
; %bb.527:
	s_wait_loadcnt 0x0
	global_load_b64 v[6:7], v[4:5], off
	s_mov_b32 s27, 0
	s_wait_loadcnt 0x0
	v_cvt_i32_f64_e32 v6, v[6:7]
	s_branch .LBB207_530
.LBB207_528:
	s_mov_b32 s27, -1
                                        ; implicit-def: $vgpr6
	s_branch .LBB207_533
.LBB207_529:
	s_mov_b32 s27, -1
                                        ; implicit-def: $vgpr6
.LBB207_530:
	s_delay_alu instid0(SALU_CYCLE_1)
	s_and_not1_b32 vcc_lo, exec_lo, s27
	s_cbranch_vccnz .LBB207_532
; %bb.531:
	global_load_b32 v1, v[4:5], off
	s_wait_loadcnt 0x0
	v_cvt_i32_f32_e32 v6, v1
.LBB207_532:
	s_mov_b32 s27, 0
.LBB207_533:
	s_delay_alu instid0(SALU_CYCLE_1)
	s_and_not1_b32 vcc_lo, exec_lo, s27
	s_cbranch_vccnz .LBB207_535
; %bb.534:
	global_load_u16 v1, v[4:5], off
	s_wait_loadcnt 0x0
	v_cvt_i16_f16_e32 v6, v1
.LBB207_535:
	s_mov_b32 s27, 0
.LBB207_536:
	s_delay_alu instid0(SALU_CYCLE_1)
	s_and_not1_b32 vcc_lo, exec_lo, s27
	s_cbranch_vccnz .LBB207_556
; %bb.537:
	s_cmp_lt_i32 s0, 2
	s_cbranch_scc1 .LBB207_541
; %bb.538:
	s_cmp_lt_i32 s0, 3
	s_cbranch_scc1 .LBB207_542
; %bb.539:
	s_cmp_gt_i32 s0, 3
	s_cbranch_scc0 .LBB207_543
; %bb.540:
	s_wait_loadcnt 0x0
	global_load_b64 v[6:7], v[4:5], off
	s_mov_b32 s27, 0
	s_branch .LBB207_544
.LBB207_541:
	s_mov_b32 s27, -1
                                        ; implicit-def: $vgpr6
	s_branch .LBB207_550
.LBB207_542:
	s_mov_b32 s27, -1
                                        ; implicit-def: $vgpr6
	s_branch .LBB207_547
.LBB207_543:
	s_mov_b32 s27, -1
                                        ; implicit-def: $vgpr6
.LBB207_544:
	s_delay_alu instid0(SALU_CYCLE_1)
	s_and_not1_b32 vcc_lo, exec_lo, s27
	s_cbranch_vccnz .LBB207_546
; %bb.545:
	s_wait_loadcnt 0x0
	global_load_b32 v6, v[4:5], off
.LBB207_546:
	s_mov_b32 s27, 0
.LBB207_547:
	s_delay_alu instid0(SALU_CYCLE_1)
	s_and_not1_b32 vcc_lo, exec_lo, s27
	s_cbranch_vccnz .LBB207_549
; %bb.548:
	s_wait_loadcnt 0x0
	global_load_u16 v6, v[4:5], off
.LBB207_549:
	s_mov_b32 s27, 0
.LBB207_550:
	s_delay_alu instid0(SALU_CYCLE_1)
	s_and_not1_b32 vcc_lo, exec_lo, s27
	s_cbranch_vccnz .LBB207_556
; %bb.551:
	s_cmp_gt_i32 s0, 0
	s_mov_b32 s0, 0
	s_cbranch_scc0 .LBB207_553
; %bb.552:
	s_wait_loadcnt 0x0
	global_load_i8 v6, v[4:5], off
	s_branch .LBB207_554
.LBB207_553:
	s_mov_b32 s0, -1
                                        ; implicit-def: $vgpr6
.LBB207_554:
	s_delay_alu instid0(SALU_CYCLE_1)
	s_and_not1_b32 vcc_lo, exec_lo, s0
	s_cbranch_vccnz .LBB207_556
; %bb.555:
	s_wait_loadcnt 0x0
	global_load_u8 v6, v[4:5], off
.LBB207_556:
	s_branch .LBB207_304
.LBB207_557:
	s_mov_b32 s27, 0
	s_mov_b32 s0, s42
.LBB207_558:
                                        ; implicit-def: $vgpr0
.LBB207_559:
	s_and_not1_b32 s28, s42, exec_lo
	s_and_b32 s0, s0, exec_lo
	s_and_not1_b32 s29, s43, exec_lo
	s_and_b32 s26, s26, exec_lo
	s_or_b32 s46, s28, s0
	s_or_b32 s45, s29, s26
	s_or_not1_b32 s0, s27, exec_lo
.LBB207_560:
	s_wait_xcnt 0x0
	s_or_b32 exec_lo, exec_lo, s47
	s_mov_b32 s27, 0
	s_mov_b32 s26, 0
	;; [unrolled: 1-line block ×3, first 2 shown]
                                        ; implicit-def: $vgpr4_vgpr5
                                        ; implicit-def: $vgpr2
                                        ; implicit-def: $vgpr6
	s_and_saveexec_b32 s47, s0
	s_cbranch_execz .LBB207_945
; %bb.561:
	s_mov_b32 s29, -1
	s_mov_b32 s0, s45
	s_mov_b32 s30, s46
	s_mov_b32 s48, exec_lo
	v_cmpx_gt_i32_e64 s39, v0
	s_cbranch_execz .LBB207_846
; %bb.562:
	s_and_not1_b32 vcc_lo, exec_lo, s35
	s_cbranch_vccnz .LBB207_568
; %bb.563:
	s_and_not1_b32 vcc_lo, exec_lo, s41
	s_cbranch_vccnz .LBB207_569
; %bb.564:
	s_add_co_i32 s0, s40, 1
	s_cmp_eq_u32 s33, 2
	s_cbranch_scc1 .LBB207_570
; %bb.565:
	v_dual_mov_b32 v2, 0 :: v_dual_mov_b32 v4, 0
	v_mov_b32_e32 v1, v0
	s_and_b32 s26, s0, 28
	s_mov_b64 s[28:29], s[2:3]
	s_mov_b64 s[30:31], s[24:25]
.LBB207_566:                            ; =>This Inner Loop Header: Depth=1
	s_clause 0x1
	s_load_b256 s[52:59], s[28:29], 0x4
	s_load_b128 s[68:71], s[28:29], 0x24
	s_load_b256 s[60:67], s[30:31], 0x0
	s_add_co_i32 s27, s27, 4
	s_wait_xcnt 0x0
	s_add_nc_u64 s[28:29], s[28:29], 48
	s_cmp_eq_u32 s26, s27
	s_add_nc_u64 s[30:31], s[30:31], 32
	s_wait_kmcnt 0x0
	v_mul_hi_u32 v3, s53, v1
	s_delay_alu instid0(VALU_DEP_1) | instskip(NEXT) | instid1(VALU_DEP_1)
	v_add_nc_u32_e32 v3, v1, v3
	v_lshrrev_b32_e32 v3, s54, v3
	s_delay_alu instid0(VALU_DEP_1) | instskip(NEXT) | instid1(VALU_DEP_1)
	v_mul_hi_u32 v5, s56, v3
	v_add_nc_u32_e32 v5, v3, v5
	s_delay_alu instid0(VALU_DEP_1) | instskip(SKIP_1) | instid1(VALU_DEP_1)
	v_lshrrev_b32_e32 v5, s57, v5
	s_wait_loadcnt 0x0
	v_mul_hi_u32 v6, s59, v5
	s_delay_alu instid0(VALU_DEP_1) | instskip(SKIP_1) | instid1(VALU_DEP_1)
	v_add_nc_u32_e32 v6, v5, v6
	v_mul_lo_u32 v7, v3, s52
	v_sub_nc_u32_e32 v1, v1, v7
	v_mul_lo_u32 v7, v5, s55
	s_delay_alu instid0(VALU_DEP_4) | instskip(NEXT) | instid1(VALU_DEP_3)
	v_lshrrev_b32_e32 v6, s68, v6
	v_mad_u32 v4, v1, s61, v4
	v_mad_u32 v1, v1, s60, v2
	s_delay_alu instid0(VALU_DEP_4) | instskip(NEXT) | instid1(VALU_DEP_4)
	v_sub_nc_u32_e32 v2, v3, v7
	v_mul_hi_u32 v8, s70, v6
	v_mul_lo_u32 v3, v6, s58
	s_delay_alu instid0(VALU_DEP_3) | instskip(SKIP_1) | instid1(VALU_DEP_3)
	v_mad_u32 v4, v2, s63, v4
	v_mad_u32 v2, v2, s62, v1
	v_dual_add_nc_u32 v7, v6, v8 :: v_dual_sub_nc_u32 v3, v5, v3
	s_delay_alu instid0(VALU_DEP_1) | instskip(NEXT) | instid1(VALU_DEP_2)
	v_lshrrev_b32_e32 v1, s71, v7
	v_mad_u32 v4, v3, s65, v4
	s_delay_alu instid0(VALU_DEP_4) | instskip(NEXT) | instid1(VALU_DEP_3)
	v_mad_u32 v2, v3, s64, v2
	v_mul_lo_u32 v5, v1, s69
	s_delay_alu instid0(VALU_DEP_1) | instskip(NEXT) | instid1(VALU_DEP_1)
	v_sub_nc_u32_e32 v3, v6, v5
	v_mad_u32 v4, v3, s67, v4
	s_delay_alu instid0(VALU_DEP_4)
	v_mad_u32 v2, v3, s66, v2
	s_cbranch_scc0 .LBB207_566
; %bb.567:
	s_delay_alu instid0(VALU_DEP_2)
	v_mov_b32_e32 v3, v4
	s_branch .LBB207_571
.LBB207_568:
	s_mov_b32 s0, -1
                                        ; implicit-def: $vgpr4
                                        ; implicit-def: $vgpr2
	s_branch .LBB207_576
.LBB207_569:
	v_dual_mov_b32 v4, 0 :: v_dual_mov_b32 v2, 0
	s_branch .LBB207_575
.LBB207_570:
	v_mov_b64_e32 v[2:3], 0
	v_mov_b32_e32 v1, v0
                                        ; implicit-def: $vgpr4
.LBB207_571:
	s_and_b32 s0, s0, 3
	s_mov_b32 s27, 0
	s_cmp_eq_u32 s0, 0
	s_cbranch_scc1 .LBB207_575
; %bb.572:
	s_lshl_b32 s28, s26, 3
	s_mov_b32 s29, s27
	s_mul_u64 s[30:31], s[26:27], 12
	s_add_nc_u64 s[28:29], s[2:3], s[28:29]
	s_delay_alu instid0(SALU_CYCLE_1)
	s_add_nc_u64 s[26:27], s[28:29], 0xc4
	s_add_nc_u64 s[28:29], s[2:3], s[30:31]
.LBB207_573:                            ; =>This Inner Loop Header: Depth=1
	s_load_b96 s[52:54], s[28:29], 0x4
	s_load_b64 s[30:31], s[26:27], 0x0
	s_add_co_i32 s0, s0, -1
	s_wait_xcnt 0x0
	s_add_nc_u64 s[28:29], s[28:29], 12
	s_cmp_lg_u32 s0, 0
	s_add_nc_u64 s[26:27], s[26:27], 8
	s_wait_kmcnt 0x0
	v_mul_hi_u32 v4, s53, v1
	s_delay_alu instid0(VALU_DEP_1) | instskip(NEXT) | instid1(VALU_DEP_1)
	v_add_nc_u32_e32 v4, v1, v4
	v_lshrrev_b32_e32 v4, s54, v4
	s_delay_alu instid0(VALU_DEP_1) | instskip(NEXT) | instid1(VALU_DEP_1)
	v_mul_lo_u32 v5, v4, s52
	v_sub_nc_u32_e32 v1, v1, v5
	s_delay_alu instid0(VALU_DEP_1)
	v_mad_u32 v3, v1, s31, v3
	v_mad_u32 v2, v1, s30, v2
	v_mov_b32_e32 v1, v4
	s_cbranch_scc1 .LBB207_573
; %bb.574:
	s_delay_alu instid0(VALU_DEP_3)
	v_mov_b32_e32 v4, v3
.LBB207_575:
	s_mov_b32 s0, 0
.LBB207_576:
	s_delay_alu instid0(SALU_CYCLE_1)
	s_and_not1_b32 vcc_lo, exec_lo, s0
	s_cbranch_vccnz .LBB207_579
; %bb.577:
	v_mov_b32_e32 v1, 0
	s_and_not1_b32 vcc_lo, exec_lo, s38
	s_delay_alu instid0(VALU_DEP_1) | instskip(NEXT) | instid1(VALU_DEP_1)
	v_mul_u64_e32 v[2:3], s[20:21], v[0:1]
	v_add_nc_u32_e32 v2, v0, v3
	s_wait_loadcnt 0x0
	s_delay_alu instid0(VALU_DEP_1) | instskip(NEXT) | instid1(VALU_DEP_1)
	v_lshrrev_b32_e32 v6, s10, v2
	v_mul_lo_u32 v2, v6, s8
	s_delay_alu instid0(VALU_DEP_1) | instskip(NEXT) | instid1(VALU_DEP_1)
	v_sub_nc_u32_e32 v2, v0, v2
	v_mul_lo_u32 v4, v2, s13
	v_mul_lo_u32 v2, v2, s12
	s_cbranch_vccnz .LBB207_579
; %bb.578:
	v_mov_b32_e32 v7, v1
	s_delay_alu instid0(VALU_DEP_1) | instskip(NEXT) | instid1(VALU_DEP_1)
	v_mul_u64_e32 v[8:9], s[22:23], v[6:7]
	v_add_nc_u32_e32 v1, v6, v9
	s_delay_alu instid0(VALU_DEP_1) | instskip(NEXT) | instid1(VALU_DEP_1)
	v_lshrrev_b32_e32 v1, s1, v1
	v_mul_lo_u32 v1, v1, s11
	s_delay_alu instid0(VALU_DEP_1) | instskip(NEXT) | instid1(VALU_DEP_1)
	v_sub_nc_u32_e32 v1, v6, v1
	v_mad_u32 v2, v1, s14, v2
	v_mad_u32 v4, v1, s15, v4
.LBB207_579:
	v_mov_b32_e32 v5, 0
	s_and_b32 s0, 0xffff, s37
	s_delay_alu instid0(SALU_CYCLE_1) | instskip(NEXT) | instid1(VALU_DEP_1)
	s_cmp_lt_i32 s0, 11
	v_add_nc_u64_e32 v[4:5], s[6:7], v[4:5]
	s_cbranch_scc1 .LBB207_586
; %bb.580:
	s_cmp_gt_i32 s0, 25
	s_cbranch_scc0 .LBB207_587
; %bb.581:
	s_cmp_gt_i32 s0, 28
	s_cbranch_scc0 .LBB207_588
	;; [unrolled: 3-line block ×4, first 2 shown]
; %bb.584:
	s_cmp_eq_u32 s0, 46
	s_mov_b32 s28, 0
	s_cbranch_scc0 .LBB207_595
; %bb.585:
	global_load_b32 v1, v[4:5], off
	s_mov_b32 s27, -1
	s_mov_b32 s26, 0
	s_wait_loadcnt 0x0
	v_lshlrev_b32_e32 v1, 16, v1
	s_delay_alu instid0(VALU_DEP_1)
	v_cvt_i32_f32_e32 v6, v1
	s_branch .LBB207_597
.LBB207_586:
	s_mov_b32 s28, -1
	s_mov_b32 s27, 0
	s_mov_b32 s26, s45
                                        ; implicit-def: $vgpr6
	s_branch .LBB207_658
.LBB207_587:
	s_mov_b32 s28, -1
	s_mov_b32 s27, 0
	s_mov_b32 s26, s45
                                        ; implicit-def: $vgpr6
	s_branch .LBB207_624
.LBB207_588:
	s_mov_b32 s28, -1
	s_mov_b32 s27, 0
	s_mov_b32 s26, s45
                                        ; implicit-def: $vgpr6
	s_branch .LBB207_607
.LBB207_589:
	s_mov_b32 s28, -1
	s_mov_b32 s27, 0
	s_mov_b32 s26, s45
                                        ; implicit-def: $vgpr6
	s_branch .LBB207_602
.LBB207_590:
	s_and_not1_saveexec_b32 s31, s31
	s_cbranch_execz .LBB207_361
.LBB207_591:
	v_add_f32_e64 v5, 0x46000000, |v4|
	s_and_not1_b32 s30, s30, exec_lo
	s_delay_alu instid0(VALU_DEP_1) | instskip(NEXT) | instid1(VALU_DEP_1)
	v_and_b32_e32 v5, 0xff, v5
	v_cmp_ne_u32_e32 vcc_lo, 0, v5
	s_and_b32 s45, vcc_lo, exec_lo
	s_delay_alu instid0(SALU_CYCLE_1)
	s_or_b32 s30, s30, s45
	s_or_b32 exec_lo, exec_lo, s31
	v_mov_b32_e32 v6, 0
	s_and_saveexec_b32 s31, s30
	s_cbranch_execnz .LBB207_362
	s_branch .LBB207_363
.LBB207_592:
	s_mov_b32 s28, -1
	s_mov_b32 s27, 0
	s_mov_b32 s26, s45
	s_branch .LBB207_596
.LBB207_593:
	s_and_not1_saveexec_b32 s31, s31
	s_cbranch_execz .LBB207_374
.LBB207_594:
	v_add_f32_e64 v5, 0x42800000, |v4|
	s_and_not1_b32 s30, s30, exec_lo
	s_delay_alu instid0(VALU_DEP_1) | instskip(NEXT) | instid1(VALU_DEP_1)
	v_and_b32_e32 v5, 0xff, v5
	v_cmp_ne_u32_e32 vcc_lo, 0, v5
	s_and_b32 s45, vcc_lo, exec_lo
	s_delay_alu instid0(SALU_CYCLE_1)
	s_or_b32 s30, s30, s45
	s_or_b32 exec_lo, exec_lo, s31
	v_mov_b32_e32 v6, 0
	s_and_saveexec_b32 s31, s30
	s_cbranch_execnz .LBB207_375
	s_branch .LBB207_376
.LBB207_595:
	s_mov_b32 s26, -1
	s_mov_b32 s27, 0
.LBB207_596:
                                        ; implicit-def: $vgpr6
.LBB207_597:
	s_and_b32 vcc_lo, exec_lo, s28
	s_cbranch_vccz .LBB207_601
; %bb.598:
	s_cmp_eq_u32 s0, 44
	s_cbranch_scc0 .LBB207_600
; %bb.599:
	global_load_u8 v1, v[4:5], off
	s_mov_b32 s26, 0
	s_mov_b32 s27, -1
	s_wait_loadcnt 0x0
	v_lshlrev_b32_e32 v3, 23, v1
	v_cmp_ne_u32_e32 vcc_lo, 0, v1
	s_delay_alu instid0(VALU_DEP_2) | instskip(NEXT) | instid1(VALU_DEP_1)
	v_cvt_i32_f32_e32 v3, v3
	v_cndmask_b32_e32 v6, 0, v3, vcc_lo
	s_branch .LBB207_601
.LBB207_600:
	s_mov_b32 s26, -1
                                        ; implicit-def: $vgpr6
.LBB207_601:
	s_mov_b32 s28, 0
.LBB207_602:
	s_delay_alu instid0(SALU_CYCLE_1)
	s_and_b32 vcc_lo, exec_lo, s28
	s_cbranch_vccz .LBB207_606
; %bb.603:
	s_cmp_eq_u32 s0, 29
	s_cbranch_scc0 .LBB207_605
; %bb.604:
	s_wait_loadcnt 0x0
	global_load_b64 v[6:7], v[4:5], off
	s_mov_b32 s27, -1
	s_mov_b32 s26, 0
	s_branch .LBB207_606
.LBB207_605:
	s_mov_b32 s26, -1
                                        ; implicit-def: $vgpr6
.LBB207_606:
	s_mov_b32 s28, 0
.LBB207_607:
	s_delay_alu instid0(SALU_CYCLE_1)
	s_and_b32 vcc_lo, exec_lo, s28
	s_cbranch_vccz .LBB207_623
; %bb.608:
	s_cmp_lt_i32 s0, 27
	s_cbranch_scc1 .LBB207_611
; %bb.609:
	s_cmp_gt_i32 s0, 27
	s_cbranch_scc0 .LBB207_612
; %bb.610:
	s_wait_loadcnt 0x0
	global_load_b32 v6, v[4:5], off
	s_mov_b32 s27, 0
	s_branch .LBB207_613
.LBB207_611:
	s_mov_b32 s27, -1
                                        ; implicit-def: $vgpr6
	s_branch .LBB207_616
.LBB207_612:
	s_mov_b32 s27, -1
                                        ; implicit-def: $vgpr6
.LBB207_613:
	s_delay_alu instid0(SALU_CYCLE_1)
	s_and_not1_b32 vcc_lo, exec_lo, s27
	s_cbranch_vccnz .LBB207_615
; %bb.614:
	s_wait_loadcnt 0x0
	global_load_u16 v6, v[4:5], off
.LBB207_615:
	s_mov_b32 s27, 0
.LBB207_616:
	s_delay_alu instid0(SALU_CYCLE_1)
	s_and_not1_b32 vcc_lo, exec_lo, s27
	s_cbranch_vccnz .LBB207_622
; %bb.617:
	global_load_u8 v1, v[4:5], off
	s_mov_b32 s28, 0
	s_mov_b32 s27, exec_lo
	s_wait_loadcnt 0x0
	v_cmpx_lt_i16_e32 0x7f, v1
	s_xor_b32 s27, exec_lo, s27
	s_cbranch_execz .LBB207_634
; %bb.618:
	v_cmp_ne_u16_e32 vcc_lo, 0x80, v1
	s_and_b32 s28, vcc_lo, exec_lo
	s_and_not1_saveexec_b32 s27, s27
	s_cbranch_execnz .LBB207_635
.LBB207_619:
	s_or_b32 exec_lo, exec_lo, s27
	v_mov_b32_e32 v6, 0
	s_and_saveexec_b32 s27, s28
	s_cbranch_execz .LBB207_621
.LBB207_620:
	v_and_b32_e32 v3, 0xffff, v1
	s_delay_alu instid0(VALU_DEP_1) | instskip(SKIP_1) | instid1(VALU_DEP_2)
	v_dual_lshlrev_b32 v1, 24, v1 :: v_dual_bitop2_b32 v6, 7, v3 bitop3:0x40
	v_bfe_u32 v9, v3, 3, 4
	v_and_b32_e32 v1, 0x80000000, v1
	s_delay_alu instid0(VALU_DEP_3) | instskip(NEXT) | instid1(VALU_DEP_3)
	v_clz_i32_u32_e32 v7, v6
	v_cmp_eq_u32_e32 vcc_lo, 0, v9
	s_delay_alu instid0(VALU_DEP_2) | instskip(NEXT) | instid1(VALU_DEP_1)
	v_min_u32_e32 v7, 32, v7
	v_subrev_nc_u32_e32 v8, 28, v7
	v_sub_nc_u32_e32 v7, 29, v7
	s_delay_alu instid0(VALU_DEP_2) | instskip(NEXT) | instid1(VALU_DEP_2)
	v_lshlrev_b32_e32 v3, v8, v3
	v_cndmask_b32_e32 v7, v9, v7, vcc_lo
	s_delay_alu instid0(VALU_DEP_2) | instskip(NEXT) | instid1(VALU_DEP_1)
	v_and_b32_e32 v3, 7, v3
	v_cndmask_b32_e32 v3, v6, v3, vcc_lo
	s_delay_alu instid0(VALU_DEP_3) | instskip(NEXT) | instid1(VALU_DEP_2)
	v_lshl_add_u32 v6, v7, 23, 0x3b800000
	v_lshlrev_b32_e32 v3, 20, v3
	s_delay_alu instid0(VALU_DEP_1) | instskip(NEXT) | instid1(VALU_DEP_1)
	v_or3_b32 v1, v1, v6, v3
	v_cvt_i32_f32_e32 v6, v1
.LBB207_621:
	s_or_b32 exec_lo, exec_lo, s27
.LBB207_622:
	s_mov_b32 s27, -1
.LBB207_623:
	s_mov_b32 s28, 0
.LBB207_624:
	s_delay_alu instid0(SALU_CYCLE_1)
	s_and_b32 vcc_lo, exec_lo, s28
	s_cbranch_vccz .LBB207_657
; %bb.625:
	s_cmp_gt_i32 s0, 22
	s_cbranch_scc0 .LBB207_633
; %bb.626:
	s_cmp_lt_i32 s0, 24
	s_cbranch_scc1 .LBB207_636
; %bb.627:
	s_cmp_gt_i32 s0, 24
	s_cbranch_scc0 .LBB207_637
; %bb.628:
	global_load_u8 v1, v[4:5], off
	s_mov_b32 s28, 0
	s_mov_b32 s27, exec_lo
	s_wait_loadcnt 0x0
	v_cmpx_lt_i16_e32 0x7f, v1
	s_xor_b32 s27, exec_lo, s27
	s_cbranch_execz .LBB207_649
; %bb.629:
	v_cmp_ne_u16_e32 vcc_lo, 0x80, v1
	s_and_b32 s28, vcc_lo, exec_lo
	s_and_not1_saveexec_b32 s27, s27
	s_cbranch_execnz .LBB207_650
.LBB207_630:
	s_or_b32 exec_lo, exec_lo, s27
	v_mov_b32_e32 v6, 0
	s_and_saveexec_b32 s27, s28
	s_cbranch_execz .LBB207_632
.LBB207_631:
	v_and_b32_e32 v3, 0xffff, v1
	s_delay_alu instid0(VALU_DEP_1) | instskip(SKIP_1) | instid1(VALU_DEP_2)
	v_dual_lshlrev_b32 v1, 24, v1 :: v_dual_bitop2_b32 v6, 3, v3 bitop3:0x40
	v_bfe_u32 v9, v3, 2, 5
	v_and_b32_e32 v1, 0x80000000, v1
	s_delay_alu instid0(VALU_DEP_3) | instskip(NEXT) | instid1(VALU_DEP_3)
	v_clz_i32_u32_e32 v7, v6
	v_cmp_eq_u32_e32 vcc_lo, 0, v9
	s_delay_alu instid0(VALU_DEP_2) | instskip(NEXT) | instid1(VALU_DEP_1)
	v_min_u32_e32 v7, 32, v7
	v_subrev_nc_u32_e32 v8, 29, v7
	v_sub_nc_u32_e32 v7, 30, v7
	s_delay_alu instid0(VALU_DEP_2) | instskip(NEXT) | instid1(VALU_DEP_2)
	v_lshlrev_b32_e32 v3, v8, v3
	v_cndmask_b32_e32 v7, v9, v7, vcc_lo
	s_delay_alu instid0(VALU_DEP_2) | instskip(NEXT) | instid1(VALU_DEP_1)
	v_and_b32_e32 v3, 3, v3
	v_cndmask_b32_e32 v3, v6, v3, vcc_lo
	s_delay_alu instid0(VALU_DEP_3) | instskip(NEXT) | instid1(VALU_DEP_2)
	v_lshl_add_u32 v6, v7, 23, 0x37800000
	v_lshlrev_b32_e32 v3, 21, v3
	s_delay_alu instid0(VALU_DEP_1) | instskip(NEXT) | instid1(VALU_DEP_1)
	v_or3_b32 v1, v1, v6, v3
	v_cvt_i32_f32_e32 v6, v1
.LBB207_632:
	s_or_b32 exec_lo, exec_lo, s27
	s_mov_b32 s27, 0
	s_branch .LBB207_638
.LBB207_633:
	s_mov_b32 s28, -1
                                        ; implicit-def: $vgpr6
	s_branch .LBB207_644
.LBB207_634:
	s_and_not1_saveexec_b32 s27, s27
	s_cbranch_execz .LBB207_619
.LBB207_635:
	v_cmp_ne_u16_e32 vcc_lo, 0, v1
	s_and_not1_b32 s28, s28, exec_lo
	s_and_b32 s29, vcc_lo, exec_lo
	s_delay_alu instid0(SALU_CYCLE_1)
	s_or_b32 s28, s28, s29
	s_or_b32 exec_lo, exec_lo, s27
	v_mov_b32_e32 v6, 0
	s_and_saveexec_b32 s27, s28
	s_cbranch_execnz .LBB207_620
	s_branch .LBB207_621
.LBB207_636:
	s_mov_b32 s27, -1
                                        ; implicit-def: $vgpr6
	s_branch .LBB207_641
.LBB207_637:
	s_mov_b32 s27, -1
                                        ; implicit-def: $vgpr6
.LBB207_638:
	s_delay_alu instid0(SALU_CYCLE_1)
	s_and_b32 vcc_lo, exec_lo, s27
	s_cbranch_vccz .LBB207_640
; %bb.639:
	global_load_u8 v1, v[4:5], off
	s_wait_loadcnt 0x0
	v_lshlrev_b32_e32 v1, 24, v1
	s_delay_alu instid0(VALU_DEP_1) | instskip(NEXT) | instid1(VALU_DEP_1)
	v_and_b32_e32 v3, 0x7f000000, v1
	v_clz_i32_u32_e32 v6, v3
	v_cmp_ne_u32_e32 vcc_lo, 0, v3
	v_add_nc_u32_e32 v8, 0x1000000, v3
	s_delay_alu instid0(VALU_DEP_3) | instskip(NEXT) | instid1(VALU_DEP_1)
	v_min_u32_e32 v6, 32, v6
	v_sub_nc_u32_e64 v6, v6, 4 clamp
	s_delay_alu instid0(VALU_DEP_1) | instskip(NEXT) | instid1(VALU_DEP_1)
	v_dual_lshlrev_b32 v7, v6, v3 :: v_dual_lshlrev_b32 v6, 23, v6
	v_lshrrev_b32_e32 v7, 4, v7
	s_delay_alu instid0(VALU_DEP_1) | instskip(NEXT) | instid1(VALU_DEP_1)
	v_dual_sub_nc_u32 v6, v7, v6 :: v_dual_ashrrev_i32 v7, 8, v8
	v_add_nc_u32_e32 v6, 0x3c000000, v6
	s_delay_alu instid0(VALU_DEP_1) | instskip(NEXT) | instid1(VALU_DEP_1)
	v_and_or_b32 v6, 0x7f800000, v7, v6
	v_cndmask_b32_e32 v3, 0, v6, vcc_lo
	s_delay_alu instid0(VALU_DEP_1) | instskip(NEXT) | instid1(VALU_DEP_1)
	v_and_or_b32 v1, 0x80000000, v1, v3
	v_cvt_i32_f32_e32 v6, v1
.LBB207_640:
	s_mov_b32 s27, 0
.LBB207_641:
	s_delay_alu instid0(SALU_CYCLE_1)
	s_and_not1_b32 vcc_lo, exec_lo, s27
	s_cbranch_vccnz .LBB207_643
; %bb.642:
	global_load_u8 v1, v[4:5], off
	s_wait_loadcnt 0x0
	v_lshlrev_b32_e32 v3, 25, v1
	v_lshlrev_b16 v1, 8, v1
	s_delay_alu instid0(VALU_DEP_1) | instskip(SKIP_1) | instid1(VALU_DEP_2)
	v_and_or_b32 v7, 0x7f00, v1, 0.5
	v_bfe_i32 v1, v1, 0, 16
	v_add_f32_e32 v7, -0.5, v7
	v_lshrrev_b32_e32 v6, 4, v3
	v_cmp_gt_u32_e32 vcc_lo, 0x8000000, v3
	s_delay_alu instid0(VALU_DEP_2) | instskip(NEXT) | instid1(VALU_DEP_1)
	v_or_b32_e32 v6, 0x70000000, v6
	v_mul_f32_e32 v6, 0x7800000, v6
	s_delay_alu instid0(VALU_DEP_1) | instskip(NEXT) | instid1(VALU_DEP_1)
	v_cndmask_b32_e32 v3, v6, v7, vcc_lo
	v_and_or_b32 v1, 0x80000000, v1, v3
	s_delay_alu instid0(VALU_DEP_1)
	v_cvt_i32_f32_e32 v6, v1
.LBB207_643:
	s_mov_b32 s28, 0
	s_mov_b32 s27, -1
.LBB207_644:
	s_and_not1_b32 vcc_lo, exec_lo, s28
	s_cbranch_vccnz .LBB207_657
; %bb.645:
	s_cmp_gt_i32 s0, 14
	s_cbranch_scc0 .LBB207_648
; %bb.646:
	s_cmp_eq_u32 s0, 15
	s_cbranch_scc0 .LBB207_651
; %bb.647:
	global_load_u16 v1, v[4:5], off
	s_mov_b32 s27, -1
	s_mov_b32 s26, 0
	s_wait_loadcnt 0x0
	v_lshlrev_b32_e32 v1, 16, v1
	s_delay_alu instid0(VALU_DEP_1)
	v_cvt_i32_f32_e32 v6, v1
	s_branch .LBB207_652
.LBB207_648:
	s_mov_b32 s28, -1
                                        ; implicit-def: $vgpr6
	s_branch .LBB207_653
.LBB207_649:
	s_and_not1_saveexec_b32 s27, s27
	s_cbranch_execz .LBB207_630
.LBB207_650:
	v_cmp_ne_u16_e32 vcc_lo, 0, v1
	s_and_not1_b32 s28, s28, exec_lo
	s_and_b32 s29, vcc_lo, exec_lo
	s_delay_alu instid0(SALU_CYCLE_1)
	s_or_b32 s28, s28, s29
	s_or_b32 exec_lo, exec_lo, s27
	v_mov_b32_e32 v6, 0
	s_and_saveexec_b32 s27, s28
	s_cbranch_execnz .LBB207_631
	s_branch .LBB207_632
.LBB207_651:
	s_mov_b32 s26, -1
                                        ; implicit-def: $vgpr6
.LBB207_652:
	s_mov_b32 s28, 0
.LBB207_653:
	s_delay_alu instid0(SALU_CYCLE_1)
	s_and_b32 vcc_lo, exec_lo, s28
	s_cbranch_vccz .LBB207_657
; %bb.654:
	s_cmp_eq_u32 s0, 11
	s_cbranch_scc0 .LBB207_656
; %bb.655:
	global_load_u8 v1, v[4:5], off
	s_mov_b32 s26, 0
	s_mov_b32 s27, -1
	s_wait_loadcnt 0x0
	v_cmp_ne_u16_e32 vcc_lo, 0, v1
	v_cndmask_b32_e64 v6, 0, 1, vcc_lo
	s_branch .LBB207_657
.LBB207_656:
	s_mov_b32 s26, -1
                                        ; implicit-def: $vgpr6
.LBB207_657:
	s_mov_b32 s28, 0
.LBB207_658:
	s_delay_alu instid0(SALU_CYCLE_1)
	s_and_b32 vcc_lo, exec_lo, s28
	s_cbranch_vccz .LBB207_707
; %bb.659:
	s_cmp_lt_i32 s0, 5
	s_cbranch_scc1 .LBB207_664
; %bb.660:
	s_cmp_lt_i32 s0, 8
	s_cbranch_scc1 .LBB207_665
	;; [unrolled: 3-line block ×3, first 2 shown]
; %bb.662:
	s_cmp_gt_i32 s0, 9
	s_cbranch_scc0 .LBB207_667
; %bb.663:
	s_wait_loadcnt 0x0
	global_load_b64 v[6:7], v[4:5], off
	s_mov_b32 s27, 0
	s_wait_loadcnt 0x0
	v_cvt_i32_f64_e32 v6, v[6:7]
	s_branch .LBB207_668
.LBB207_664:
	s_mov_b32 s27, -1
                                        ; implicit-def: $vgpr6
	s_branch .LBB207_686
.LBB207_665:
	s_mov_b32 s27, -1
                                        ; implicit-def: $vgpr6
	s_branch .LBB207_674
.LBB207_666:
	s_mov_b32 s27, -1
                                        ; implicit-def: $vgpr6
	s_branch .LBB207_671
.LBB207_667:
	s_mov_b32 s27, -1
                                        ; implicit-def: $vgpr6
.LBB207_668:
	s_delay_alu instid0(SALU_CYCLE_1)
	s_and_not1_b32 vcc_lo, exec_lo, s27
	s_cbranch_vccnz .LBB207_670
; %bb.669:
	global_load_b32 v1, v[4:5], off
	s_wait_loadcnt 0x0
	v_cvt_i32_f32_e32 v6, v1
.LBB207_670:
	s_mov_b32 s27, 0
.LBB207_671:
	s_delay_alu instid0(SALU_CYCLE_1)
	s_and_not1_b32 vcc_lo, exec_lo, s27
	s_cbranch_vccnz .LBB207_673
; %bb.672:
	global_load_b32 v1, v[4:5], off
	s_wait_loadcnt 0x0
	v_cvt_i16_f16_e32 v6, v1
.LBB207_673:
	s_mov_b32 s27, 0
.LBB207_674:
	s_delay_alu instid0(SALU_CYCLE_1)
	s_and_not1_b32 vcc_lo, exec_lo, s27
	s_cbranch_vccnz .LBB207_685
; %bb.675:
	s_cmp_lt_i32 s0, 6
	s_cbranch_scc1 .LBB207_678
; %bb.676:
	s_cmp_gt_i32 s0, 6
	s_cbranch_scc0 .LBB207_679
; %bb.677:
	s_wait_loadcnt 0x0
	global_load_b64 v[6:7], v[4:5], off
	s_mov_b32 s27, 0
	s_wait_loadcnt 0x0
	v_cvt_i32_f64_e32 v6, v[6:7]
	s_branch .LBB207_680
.LBB207_678:
	s_mov_b32 s27, -1
                                        ; implicit-def: $vgpr6
	s_branch .LBB207_683
.LBB207_679:
	s_mov_b32 s27, -1
                                        ; implicit-def: $vgpr6
.LBB207_680:
	s_delay_alu instid0(SALU_CYCLE_1)
	s_and_not1_b32 vcc_lo, exec_lo, s27
	s_cbranch_vccnz .LBB207_682
; %bb.681:
	global_load_b32 v1, v[4:5], off
	s_wait_loadcnt 0x0
	v_cvt_i32_f32_e32 v6, v1
.LBB207_682:
	s_mov_b32 s27, 0
.LBB207_683:
	s_delay_alu instid0(SALU_CYCLE_1)
	s_and_not1_b32 vcc_lo, exec_lo, s27
	s_cbranch_vccnz .LBB207_685
; %bb.684:
	global_load_u16 v1, v[4:5], off
	s_wait_loadcnt 0x0
	v_cvt_i16_f16_e32 v6, v1
.LBB207_685:
	s_mov_b32 s27, 0
.LBB207_686:
	s_delay_alu instid0(SALU_CYCLE_1)
	s_and_not1_b32 vcc_lo, exec_lo, s27
	s_cbranch_vccnz .LBB207_706
; %bb.687:
	s_cmp_lt_i32 s0, 2
	s_cbranch_scc1 .LBB207_691
; %bb.688:
	s_cmp_lt_i32 s0, 3
	s_cbranch_scc1 .LBB207_692
; %bb.689:
	s_cmp_gt_i32 s0, 3
	s_cbranch_scc0 .LBB207_693
; %bb.690:
	s_wait_loadcnt 0x0
	global_load_b64 v[6:7], v[4:5], off
	s_mov_b32 s27, 0
	s_branch .LBB207_694
.LBB207_691:
	s_mov_b32 s27, -1
                                        ; implicit-def: $vgpr6
	s_branch .LBB207_700
.LBB207_692:
	s_mov_b32 s27, -1
                                        ; implicit-def: $vgpr6
	s_branch .LBB207_697
.LBB207_693:
	s_mov_b32 s27, -1
                                        ; implicit-def: $vgpr6
.LBB207_694:
	s_delay_alu instid0(SALU_CYCLE_1)
	s_and_not1_b32 vcc_lo, exec_lo, s27
	s_cbranch_vccnz .LBB207_696
; %bb.695:
	s_wait_loadcnt 0x0
	global_load_b32 v6, v[4:5], off
.LBB207_696:
	s_mov_b32 s27, 0
.LBB207_697:
	s_delay_alu instid0(SALU_CYCLE_1)
	s_and_not1_b32 vcc_lo, exec_lo, s27
	s_cbranch_vccnz .LBB207_699
; %bb.698:
	s_wait_loadcnt 0x0
	global_load_u16 v6, v[4:5], off
.LBB207_699:
	s_mov_b32 s27, 0
.LBB207_700:
	s_delay_alu instid0(SALU_CYCLE_1)
	s_and_not1_b32 vcc_lo, exec_lo, s27
	s_cbranch_vccnz .LBB207_706
; %bb.701:
	s_cmp_gt_i32 s0, 0
	s_mov_b32 s0, 0
	s_cbranch_scc0 .LBB207_703
; %bb.702:
	s_wait_loadcnt 0x0
	global_load_i8 v6, v[4:5], off
	s_branch .LBB207_704
.LBB207_703:
	s_mov_b32 s0, -1
                                        ; implicit-def: $vgpr6
.LBB207_704:
	s_delay_alu instid0(SALU_CYCLE_1)
	s_and_not1_b32 vcc_lo, exec_lo, s0
	s_cbranch_vccnz .LBB207_706
; %bb.705:
	s_wait_loadcnt 0x0
	global_load_u8 v6, v[4:5], off
.LBB207_706:
	s_mov_b32 s27, -1
.LBB207_707:
	s_delay_alu instid0(SALU_CYCLE_1)
	s_and_not1_b32 vcc_lo, exec_lo, s27
	s_cbranch_vccnz .LBB207_711
; %bb.708:
	s_cmp_lt_i32 s16, 1
	s_mov_b32 s0, 0
	s_cbranch_scc1 .LBB207_712
; %bb.709:
	s_cmp_eq_u32 s16, 1
	s_cbranch_scc0 .LBB207_713
; %bb.710:
	s_wait_loadcnt 0x0
	s_delay_alu instid0(VALU_DEP_1)
	v_min_i16 v1, v6, s17
	s_mov_b32 s27, 0
	s_branch .LBB207_714
.LBB207_711:
	s_mov_b32 s27, 0
	s_mov_b32 s0, s46
	s_branch .LBB207_844
.LBB207_712:
	s_mov_b32 s28, -1
	s_mov_b32 s27, 0
                                        ; implicit-def: $vgpr1
	s_branch .LBB207_715
.LBB207_713:
	s_mov_b32 s27, -1
                                        ; implicit-def: $vgpr1
.LBB207_714:
	s_mov_b32 s28, 0
.LBB207_715:
	s_delay_alu instid0(SALU_CYCLE_1)
	s_and_b32 vcc_lo, exec_lo, s28
	s_cbranch_vccz .LBB207_726
; %bb.716:
	s_cmp_lg_u32 s16, 0
	s_mov_b32 s0, -1
	s_cselect_b32 s27, -1, 0
	s_delay_alu instid0(SALU_CYCLE_1)
	s_and_not1_b32 vcc_lo, exec_lo, s27
	s_cbranch_vccz .LBB207_727
.LBB207_717:
	s_and_not1_b32 vcc_lo, exec_lo, s0
	s_cbranch_vccnz .LBB207_719
.LBB207_718:
	s_wait_loadcnt 0x0
	s_delay_alu instid0(VALU_DEP_1)
	v_max_i16 v1, v6, s17
.LBB207_719:
	v_mov_b32_e32 v3, 0
	s_and_b32 s27, s18, 0xff
	s_delay_alu instid0(SALU_CYCLE_1) | instskip(NEXT) | instid1(VALU_DEP_1)
	s_cmp_lt_i32 s27, 11
	v_add_nc_u64_e32 v[2:3], s[4:5], v[2:3]
	s_cbranch_scc1 .LBB207_728
; %bb.720:
	s_and_b32 s28, 0xffff, s27
	s_delay_alu instid0(SALU_CYCLE_1)
	s_cmp_gt_i32 s28, 25
	s_cbranch_scc0 .LBB207_729
; %bb.721:
	s_cmp_gt_i32 s28, 28
	s_cbranch_scc0 .LBB207_730
; %bb.722:
	s_cmp_gt_i32 s28, 43
	s_cbranch_scc0 .LBB207_731
; %bb.723:
	s_cmp_gt_i32 s28, 45
	s_cbranch_scc0 .LBB207_732
; %bb.724:
	s_mov_b32 s30, 0
	s_mov_b32 s0, -1
	s_cmp_eq_u32 s28, 46
	s_mov_b32 s29, 0
	s_cbranch_scc0 .LBB207_733
; %bb.725:
	s_wait_xcnt 0x0
	v_bfe_i32 v4, v1, 0, 16
	s_mov_b32 s29, -1
	s_mov_b32 s0, 0
	s_delay_alu instid0(VALU_DEP_1) | instskip(NEXT) | instid1(VALU_DEP_1)
	v_cvt_f32_i32_e32 v4, v4
	v_bfe_u32 v5, v4, 16, 1
	s_delay_alu instid0(VALU_DEP_1) | instskip(NEXT) | instid1(VALU_DEP_1)
	v_add3_u32 v4, v4, v5, 0x7fff
	v_lshrrev_b32_e32 v4, 16, v4
	global_store_b32 v[2:3], v4, off
	s_branch .LBB207_733
.LBB207_726:
	s_and_not1_b32 vcc_lo, exec_lo, s27
	s_cbranch_vccnz .LBB207_717
.LBB207_727:
	s_wait_loadcnt 0x0
	s_delay_alu instid0(VALU_DEP_1) | instskip(NEXT) | instid1(VALU_DEP_1)
	v_max_i16 v1, v6, s17
	v_min_i16 v1, v1, s9
	s_cbranch_execz .LBB207_718
	s_branch .LBB207_719
.LBB207_728:
	s_mov_b32 s28, -1
	s_mov_b32 s29, 0
	s_mov_b32 s0, s46
	s_branch .LBB207_802
.LBB207_729:
	s_mov_b32 s30, -1
	s_mov_b32 s29, 0
	s_mov_b32 s0, s46
	s_branch .LBB207_760
.LBB207_730:
	s_mov_b32 s30, -1
	s_mov_b32 s29, 0
	s_mov_b32 s0, s46
	s_branch .LBB207_743
.LBB207_731:
	s_mov_b32 s30, -1
	s_mov_b32 s29, 0
	s_mov_b32 s0, s46
	s_branch .LBB207_739
.LBB207_732:
	s_mov_b32 s30, -1
	s_mov_b32 s29, 0
	s_mov_b32 s0, s46
.LBB207_733:
	s_and_b32 vcc_lo, exec_lo, s30
	s_cbranch_vccz .LBB207_738
; %bb.734:
	s_cmp_eq_u32 s28, 44
	s_mov_b32 s0, -1
	s_cbranch_scc0 .LBB207_738
; %bb.735:
	s_wait_xcnt 0x0
	v_bfe_i32 v4, v1, 0, 16
	v_mov_b32_e32 v5, 0xff
	s_mov_b32 s29, exec_lo
	s_delay_alu instid0(VALU_DEP_2) | instskip(SKIP_1) | instid1(VALU_DEP_1)
	v_cvt_f32_i32_e32 v4, v4
	s_wait_loadcnt 0x0
	v_bfe_u32 v6, v4, 23, 8
	s_delay_alu instid0(VALU_DEP_1)
	v_cmpx_ne_u32_e32 0xff, v6
	s_cbranch_execz .LBB207_737
; %bb.736:
	v_and_b32_e32 v5, 0x400000, v4
	v_and_or_b32 v6, 0x3fffff, v4, v6
	v_lshrrev_b32_e32 v4, 23, v4
	s_delay_alu instid0(VALU_DEP_3) | instskip(NEXT) | instid1(VALU_DEP_3)
	v_cmp_ne_u32_e32 vcc_lo, 0, v5
	v_cmp_ne_u32_e64 s0, 0, v6
	s_and_b32 s0, vcc_lo, s0
	s_delay_alu instid0(SALU_CYCLE_1) | instskip(NEXT) | instid1(VALU_DEP_1)
	v_cndmask_b32_e64 v5, 0, 1, s0
	v_add_nc_u32_e32 v5, v4, v5
.LBB207_737:
	s_or_b32 exec_lo, exec_lo, s29
	s_mov_b32 s29, -1
	s_mov_b32 s0, 0
	global_store_b8 v[2:3], v5, off
.LBB207_738:
	s_mov_b32 s30, 0
.LBB207_739:
	s_delay_alu instid0(SALU_CYCLE_1)
	s_and_b32 vcc_lo, exec_lo, s30
	s_cbranch_vccz .LBB207_742
; %bb.740:
	s_cmp_eq_u32 s28, 29
	s_mov_b32 s0, -1
	s_cbranch_scc0 .LBB207_742
; %bb.741:
	s_wait_xcnt 0x0
	v_bfe_i32 v4, v1, 0, 16
	s_mov_b32 s0, 0
	s_mov_b32 s29, -1
	s_mov_b32 s30, 0
	s_delay_alu instid0(VALU_DEP_1)
	v_ashrrev_i32_e32 v5, 31, v4
	global_store_b64 v[2:3], v[4:5], off
	s_branch .LBB207_743
.LBB207_742:
	s_mov_b32 s30, 0
.LBB207_743:
	s_delay_alu instid0(SALU_CYCLE_1)
	s_and_b32 vcc_lo, exec_lo, s30
	s_cbranch_vccz .LBB207_759
; %bb.744:
	s_cmp_lt_i32 s28, 27
	s_mov_b32 s29, -1
	s_cbranch_scc1 .LBB207_750
; %bb.745:
	s_cmp_gt_i32 s28, 27
	s_cbranch_scc0 .LBB207_747
; %bb.746:
	s_wait_xcnt 0x0
	v_bfe_i32 v4, v1, 0, 16
	s_mov_b32 s29, 0
	global_store_b32 v[2:3], v4, off
.LBB207_747:
	s_and_not1_b32 vcc_lo, exec_lo, s29
	s_cbranch_vccnz .LBB207_749
; %bb.748:
	global_store_b16 v[2:3], v1, off
.LBB207_749:
	s_mov_b32 s29, 0
.LBB207_750:
	s_delay_alu instid0(SALU_CYCLE_1)
	s_and_not1_b32 vcc_lo, exec_lo, s29
	s_cbranch_vccnz .LBB207_758
; %bb.751:
	s_wait_xcnt 0x0
	v_bfe_i32 v4, v1, 0, 16
	s_wait_loadcnt 0x0
	v_mov_b32_e32 v6, 0x80
	s_mov_b32 s29, exec_lo
	s_delay_alu instid0(VALU_DEP_2) | instskip(NEXT) | instid1(VALU_DEP_1)
	v_cvt_f32_i32_e32 v4, v4
	v_and_b32_e32 v5, 0x7fffffff, v4
	s_delay_alu instid0(VALU_DEP_1)
	v_cmpx_gt_u32_e32 0x43800000, v5
	s_cbranch_execz .LBB207_757
; %bb.752:
	v_cmp_lt_u32_e32 vcc_lo, 0x3bffffff, v5
	s_mov_b32 s30, 0
                                        ; implicit-def: $vgpr5
	s_and_saveexec_b32 s31, vcc_lo
	s_delay_alu instid0(SALU_CYCLE_1)
	s_xor_b32 s31, exec_lo, s31
	s_cbranch_execz .LBB207_876
; %bb.753:
	v_bfe_u32 v5, v4, 20, 1
	s_mov_b32 s30, exec_lo
	s_delay_alu instid0(VALU_DEP_1) | instskip(NEXT) | instid1(VALU_DEP_1)
	v_add3_u32 v5, v4, v5, 0x487ffff
	v_lshrrev_b32_e32 v5, 20, v5
	s_and_not1_saveexec_b32 s31, s31
	s_cbranch_execnz .LBB207_877
.LBB207_754:
	s_or_b32 exec_lo, exec_lo, s31
	v_mov_b32_e32 v6, 0
	s_and_saveexec_b32 s31, s30
.LBB207_755:
	v_lshrrev_b32_e32 v4, 24, v4
	s_delay_alu instid0(VALU_DEP_1)
	v_and_or_b32 v6, 0x80, v4, v5
.LBB207_756:
	s_or_b32 exec_lo, exec_lo, s31
.LBB207_757:
	s_delay_alu instid0(SALU_CYCLE_1)
	s_or_b32 exec_lo, exec_lo, s29
	global_store_b8 v[2:3], v6, off
.LBB207_758:
	s_mov_b32 s29, -1
.LBB207_759:
	s_mov_b32 s30, 0
.LBB207_760:
	s_delay_alu instid0(SALU_CYCLE_1)
	s_and_b32 vcc_lo, exec_lo, s30
	s_cbranch_vccz .LBB207_801
; %bb.761:
	s_cmp_gt_i32 s28, 22
	s_mov_b32 s30, -1
	s_cbranch_scc0 .LBB207_793
; %bb.762:
	s_cmp_lt_i32 s28, 24
	s_mov_b32 s29, -1
	s_cbranch_scc1 .LBB207_782
; %bb.763:
	s_cmp_gt_i32 s28, 24
	s_cbranch_scc0 .LBB207_771
; %bb.764:
	s_wait_xcnt 0x0
	v_bfe_i32 v4, v1, 0, 16
	s_wait_loadcnt 0x0
	v_mov_b32_e32 v6, 0x80
	s_mov_b32 s29, exec_lo
	s_delay_alu instid0(VALU_DEP_2) | instskip(NEXT) | instid1(VALU_DEP_1)
	v_cvt_f32_i32_e32 v4, v4
	v_and_b32_e32 v5, 0x7fffffff, v4
	s_delay_alu instid0(VALU_DEP_1)
	v_cmpx_gt_u32_e32 0x47800000, v5
	s_cbranch_execz .LBB207_770
; %bb.765:
	v_cmp_lt_u32_e32 vcc_lo, 0x37ffffff, v5
	s_mov_b32 s30, 0
                                        ; implicit-def: $vgpr5
	s_and_saveexec_b32 s31, vcc_lo
	s_delay_alu instid0(SALU_CYCLE_1)
	s_xor_b32 s31, exec_lo, s31
	s_cbranch_execz .LBB207_879
; %bb.766:
	v_bfe_u32 v5, v4, 21, 1
	s_mov_b32 s30, exec_lo
	s_delay_alu instid0(VALU_DEP_1) | instskip(NEXT) | instid1(VALU_DEP_1)
	v_add3_u32 v5, v4, v5, 0x88fffff
	v_lshrrev_b32_e32 v5, 21, v5
	s_and_not1_saveexec_b32 s31, s31
	s_cbranch_execnz .LBB207_880
.LBB207_767:
	s_or_b32 exec_lo, exec_lo, s31
	v_mov_b32_e32 v6, 0
	s_and_saveexec_b32 s31, s30
.LBB207_768:
	v_lshrrev_b32_e32 v4, 24, v4
	s_delay_alu instid0(VALU_DEP_1)
	v_and_or_b32 v6, 0x80, v4, v5
.LBB207_769:
	s_or_b32 exec_lo, exec_lo, s31
.LBB207_770:
	s_delay_alu instid0(SALU_CYCLE_1)
	s_or_b32 exec_lo, exec_lo, s29
	s_mov_b32 s29, 0
	global_store_b8 v[2:3], v6, off
.LBB207_771:
	s_and_b32 vcc_lo, exec_lo, s29
	s_cbranch_vccz .LBB207_781
; %bb.772:
	s_wait_xcnt 0x0
	v_bfe_i32 v4, v1, 0, 16
	s_mov_b32 s29, exec_lo
                                        ; implicit-def: $vgpr5
	s_delay_alu instid0(VALU_DEP_1) | instskip(SKIP_1) | instid1(VALU_DEP_1)
	v_cvt_f32_i32_e32 v4, v4
	s_wait_loadcnt 0x0
	v_and_b32_e32 v6, 0x7fffffff, v4
	s_delay_alu instid0(VALU_DEP_1)
	v_cmpx_gt_u32_e32 0x43f00000, v6
	s_xor_b32 s29, exec_lo, s29
	s_cbranch_execz .LBB207_778
; %bb.773:
	s_mov_b32 s30, exec_lo
                                        ; implicit-def: $vgpr5
	v_cmpx_lt_u32_e32 0x3c7fffff, v6
	s_xor_b32 s30, exec_lo, s30
; %bb.774:
	v_bfe_u32 v5, v4, 20, 1
	s_delay_alu instid0(VALU_DEP_1) | instskip(NEXT) | instid1(VALU_DEP_1)
	v_add3_u32 v5, v4, v5, 0x407ffff
	v_and_b32_e32 v6, 0xff00000, v5
	v_lshrrev_b32_e32 v5, 20, v5
	s_delay_alu instid0(VALU_DEP_2) | instskip(NEXT) | instid1(VALU_DEP_2)
	v_cmp_ne_u32_e32 vcc_lo, 0x7f00000, v6
	v_cndmask_b32_e32 v5, 0x7e, v5, vcc_lo
; %bb.775:
	s_and_not1_saveexec_b32 s30, s30
; %bb.776:
	v_add_f32_e64 v5, 0x46800000, |v4|
; %bb.777:
	s_or_b32 exec_lo, exec_lo, s30
                                        ; implicit-def: $vgpr6
.LBB207_778:
	s_and_not1_saveexec_b32 s29, s29
; %bb.779:
	v_mov_b32_e32 v5, 0x7f
	v_cmp_lt_u32_e32 vcc_lo, 0x7f800000, v6
	s_delay_alu instid0(VALU_DEP_2)
	v_cndmask_b32_e32 v5, 0x7e, v5, vcc_lo
; %bb.780:
	s_or_b32 exec_lo, exec_lo, s29
	v_lshrrev_b32_e32 v4, 24, v4
	s_delay_alu instid0(VALU_DEP_1)
	v_and_or_b32 v4, 0x80, v4, v5
	global_store_b8 v[2:3], v4, off
.LBB207_781:
	s_mov_b32 s29, 0
.LBB207_782:
	s_delay_alu instid0(SALU_CYCLE_1)
	s_and_not1_b32 vcc_lo, exec_lo, s29
	s_cbranch_vccnz .LBB207_792
; %bb.783:
	s_wait_xcnt 0x0
	v_bfe_i32 v4, v1, 0, 16
	s_mov_b32 s29, exec_lo
                                        ; implicit-def: $vgpr5
	s_delay_alu instid0(VALU_DEP_1) | instskip(SKIP_1) | instid1(VALU_DEP_1)
	v_cvt_f32_i32_e32 v4, v4
	s_wait_loadcnt 0x0
	v_and_b32_e32 v6, 0x7fffffff, v4
	s_delay_alu instid0(VALU_DEP_1)
	v_cmpx_gt_u32_e32 0x47800000, v6
	s_xor_b32 s29, exec_lo, s29
	s_cbranch_execz .LBB207_789
; %bb.784:
	s_mov_b32 s30, exec_lo
                                        ; implicit-def: $vgpr5
	v_cmpx_lt_u32_e32 0x387fffff, v6
	s_xor_b32 s30, exec_lo, s30
; %bb.785:
	v_bfe_u32 v5, v4, 21, 1
	s_delay_alu instid0(VALU_DEP_1) | instskip(NEXT) | instid1(VALU_DEP_1)
	v_add3_u32 v5, v4, v5, 0x80fffff
	v_lshrrev_b32_e32 v5, 21, v5
; %bb.786:
	s_and_not1_saveexec_b32 s30, s30
; %bb.787:
	v_add_f32_e64 v5, 0x43000000, |v4|
; %bb.788:
	s_or_b32 exec_lo, exec_lo, s30
                                        ; implicit-def: $vgpr6
.LBB207_789:
	s_and_not1_saveexec_b32 s29, s29
; %bb.790:
	v_mov_b32_e32 v5, 0x7f
	v_cmp_lt_u32_e32 vcc_lo, 0x7f800000, v6
	s_delay_alu instid0(VALU_DEP_2)
	v_cndmask_b32_e32 v5, 0x7c, v5, vcc_lo
; %bb.791:
	s_or_b32 exec_lo, exec_lo, s29
	v_lshrrev_b32_e32 v4, 24, v4
	s_delay_alu instid0(VALU_DEP_1)
	v_and_or_b32 v4, 0x80, v4, v5
	global_store_b8 v[2:3], v4, off
.LBB207_792:
	s_mov_b32 s30, 0
	s_mov_b32 s29, -1
.LBB207_793:
	s_and_not1_b32 vcc_lo, exec_lo, s30
	s_cbranch_vccnz .LBB207_801
; %bb.794:
	s_cmp_gt_i32 s28, 14
	s_mov_b32 s30, -1
	s_cbranch_scc0 .LBB207_798
; %bb.795:
	s_cmp_eq_u32 s28, 15
	s_mov_b32 s0, -1
	s_cbranch_scc0 .LBB207_797
; %bb.796:
	s_wait_xcnt 0x0
	v_bfe_i32 v4, v1, 0, 16
	s_mov_b32 s29, -1
	s_mov_b32 s0, 0
	s_delay_alu instid0(VALU_DEP_1) | instskip(NEXT) | instid1(VALU_DEP_1)
	v_cvt_f32_i32_e32 v4, v4
	v_bfe_u32 v5, v4, 16, 1
	s_delay_alu instid0(VALU_DEP_1)
	v_add3_u32 v4, v4, v5, 0x7fff
	global_store_d16_hi_b16 v[2:3], v4, off
.LBB207_797:
	s_mov_b32 s30, 0
.LBB207_798:
	s_delay_alu instid0(SALU_CYCLE_1)
	s_and_b32 vcc_lo, exec_lo, s30
	s_cbranch_vccz .LBB207_801
; %bb.799:
	s_cmp_eq_u32 s28, 11
	s_mov_b32 s0, -1
	s_cbranch_scc0 .LBB207_801
; %bb.800:
	v_cmp_ne_u16_e32 vcc_lo, 0, v1
	s_mov_b32 s0, 0
	s_mov_b32 s29, -1
	s_wait_xcnt 0x0
	v_cndmask_b32_e64 v4, 0, 1, vcc_lo
	global_store_b8 v[2:3], v4, off
.LBB207_801:
	s_mov_b32 s28, 0
.LBB207_802:
	s_delay_alu instid0(SALU_CYCLE_1)
	s_and_b32 vcc_lo, exec_lo, s28
	s_cbranch_vccz .LBB207_841
; %bb.803:
	s_and_b32 s27, 0xffff, s27
	s_mov_b32 s28, -1
	s_cmp_lt_i32 s27, 5
	s_cbranch_scc1 .LBB207_824
; %bb.804:
	s_cmp_lt_i32 s27, 8
	s_cbranch_scc1 .LBB207_814
; %bb.805:
	;; [unrolled: 3-line block ×3, first 2 shown]
	s_cmp_gt_i32 s27, 9
	s_cbranch_scc0 .LBB207_808
; %bb.807:
	s_wait_xcnt 0x0
	v_bfe_i32 v4, v1, 0, 16
	s_wait_loadcnt 0x0
	v_mov_b32_e32 v6, 0
	s_mov_b32 s28, 0
	s_delay_alu instid0(VALU_DEP_2) | instskip(NEXT) | instid1(VALU_DEP_2)
	v_cvt_f64_i32_e32 v[4:5], v4
	v_mov_b32_e32 v7, v6
	global_store_b128 v[2:3], v[4:7], off
.LBB207_808:
	s_and_not1_b32 vcc_lo, exec_lo, s28
	s_cbranch_vccnz .LBB207_810
; %bb.809:
	s_wait_xcnt 0x0
	v_bfe_i32 v4, v1, 0, 16
	v_mov_b32_e32 v5, 0
	s_delay_alu instid0(VALU_DEP_2)
	v_cvt_f32_i32_e32 v4, v4
	global_store_b64 v[2:3], v[4:5], off
.LBB207_810:
	s_mov_b32 s28, 0
.LBB207_811:
	s_delay_alu instid0(SALU_CYCLE_1)
	s_and_not1_b32 vcc_lo, exec_lo, s28
	s_cbranch_vccnz .LBB207_813
; %bb.812:
	s_wait_xcnt 0x0
	v_cvt_f16_i16_e32 v4, v1
	s_delay_alu instid0(VALU_DEP_1)
	v_and_b32_e32 v4, 0xffff, v4
	global_store_b32 v[2:3], v4, off
.LBB207_813:
	s_mov_b32 s28, 0
.LBB207_814:
	s_delay_alu instid0(SALU_CYCLE_1)
	s_and_not1_b32 vcc_lo, exec_lo, s28
	s_cbranch_vccnz .LBB207_823
; %bb.815:
	s_cmp_lt_i32 s27, 6
	s_mov_b32 s28, -1
	s_cbranch_scc1 .LBB207_821
; %bb.816:
	s_cmp_gt_i32 s27, 6
	s_cbranch_scc0 .LBB207_818
; %bb.817:
	s_wait_xcnt 0x0
	v_bfe_i32 v4, v1, 0, 16
	s_mov_b32 s28, 0
	s_delay_alu instid0(VALU_DEP_1)
	v_cvt_f64_i32_e32 v[4:5], v4
	global_store_b64 v[2:3], v[4:5], off
.LBB207_818:
	s_and_not1_b32 vcc_lo, exec_lo, s28
	s_cbranch_vccnz .LBB207_820
; %bb.819:
	s_wait_xcnt 0x0
	v_bfe_i32 v4, v1, 0, 16
	s_delay_alu instid0(VALU_DEP_1)
	v_cvt_f32_i32_e32 v4, v4
	global_store_b32 v[2:3], v4, off
.LBB207_820:
	s_mov_b32 s28, 0
.LBB207_821:
	s_delay_alu instid0(SALU_CYCLE_1)
	s_and_not1_b32 vcc_lo, exec_lo, s28
	s_cbranch_vccnz .LBB207_823
; %bb.822:
	s_wait_xcnt 0x0
	v_cvt_f16_i16_e32 v4, v1
	global_store_b16 v[2:3], v4, off
.LBB207_823:
	s_mov_b32 s28, 0
.LBB207_824:
	s_delay_alu instid0(SALU_CYCLE_1)
	s_and_not1_b32 vcc_lo, exec_lo, s28
	s_cbranch_vccnz .LBB207_840
; %bb.825:
	s_cmp_lt_i32 s27, 2
	s_mov_b32 s28, -1
	s_cbranch_scc1 .LBB207_835
; %bb.826:
	s_cmp_lt_i32 s27, 3
	s_cbranch_scc1 .LBB207_832
; %bb.827:
	s_wait_xcnt 0x0
	v_bfe_i32 v4, v1, 0, 16
	s_cmp_gt_i32 s27, 3
	s_cbranch_scc0 .LBB207_829
; %bb.828:
	s_delay_alu instid0(VALU_DEP_1)
	v_ashrrev_i32_e32 v5, 31, v4
	s_mov_b32 s28, 0
	global_store_b64 v[2:3], v[4:5], off
.LBB207_829:
	s_and_not1_b32 vcc_lo, exec_lo, s28
	s_cbranch_vccnz .LBB207_831
; %bb.830:
	global_store_b32 v[2:3], v4, off
.LBB207_831:
	s_mov_b32 s28, 0
.LBB207_832:
	s_delay_alu instid0(SALU_CYCLE_1)
	s_and_not1_b32 vcc_lo, exec_lo, s28
	s_cbranch_vccnz .LBB207_834
; %bb.833:
	global_store_b16 v[2:3], v1, off
.LBB207_834:
	s_mov_b32 s28, 0
.LBB207_835:
	s_delay_alu instid0(SALU_CYCLE_1)
	s_and_not1_b32 vcc_lo, exec_lo, s28
	s_cbranch_vccnz .LBB207_840
; %bb.836:
	s_cmp_gt_i32 s27, 0
	s_mov_b32 s27, -1
	s_cbranch_scc0 .LBB207_838
; %bb.837:
	s_mov_b32 s27, 0
	global_store_b8 v[2:3], v1, off
.LBB207_838:
	s_and_not1_b32 vcc_lo, exec_lo, s27
	s_cbranch_vccnz .LBB207_840
; %bb.839:
	global_store_b8 v[2:3], v1, off
.LBB207_840:
	s_mov_b32 s29, -1
.LBB207_841:
	s_delay_alu instid0(SALU_CYCLE_1)
	s_and_not1_b32 vcc_lo, exec_lo, s29
	s_cbranch_vccnz .LBB207_843
; %bb.842:
	v_add_nc_u32_e32 v0, 0x80, v0
	s_mov_b32 s27, -1
	s_branch .LBB207_845
.LBB207_843:
	s_mov_b32 s27, 0
.LBB207_844:
                                        ; implicit-def: $vgpr0
.LBB207_845:
	s_and_not1_b32 s28, s46, exec_lo
	s_and_b32 s0, s0, exec_lo
	s_and_not1_b32 s29, s45, exec_lo
	s_and_b32 s26, s26, exec_lo
	s_or_b32 s30, s28, s0
	s_or_b32 s0, s29, s26
	s_or_not1_b32 s29, s27, exec_lo
.LBB207_846:
	s_wait_xcnt 0x0
	s_or_b32 exec_lo, exec_lo, s48
	s_mov_b32 s27, 0
	s_mov_b32 s26, 0
	;; [unrolled: 1-line block ×3, first 2 shown]
                                        ; implicit-def: $vgpr4_vgpr5
                                        ; implicit-def: $vgpr2
                                        ; implicit-def: $vgpr6
	s_and_saveexec_b32 s31, s29
	s_cbranch_execz .LBB207_944
; %bb.847:
	v_cmp_gt_i32_e32 vcc_lo, s39, v0
	s_mov_b32 s29, s0
                                        ; implicit-def: $vgpr4_vgpr5
                                        ; implicit-def: $vgpr2
                                        ; implicit-def: $vgpr6
	s_and_saveexec_b32 s39, vcc_lo
	s_cbranch_execz .LBB207_943
; %bb.848:
	s_and_not1_b32 vcc_lo, exec_lo, s35
	s_cbranch_vccnz .LBB207_854
; %bb.849:
	s_and_not1_b32 vcc_lo, exec_lo, s41
	s_cbranch_vccnz .LBB207_855
; %bb.850:
	s_add_co_i32 s40, s40, 1
	s_cmp_eq_u32 s33, 2
	s_cbranch_scc1 .LBB207_856
; %bb.851:
	v_dual_mov_b32 v2, 0 :: v_dual_mov_b32 v4, 0
	v_mov_b32_e32 v1, v0
	s_and_b32 s26, s40, 28
	s_mov_b64 s[28:29], s[2:3]
.LBB207_852:                            ; =>This Inner Loop Header: Depth=1
	s_clause 0x1
	s_load_b256 s[48:55], s[28:29], 0x4
	s_load_b128 s[64:67], s[28:29], 0x24
	s_load_b256 s[56:63], s[24:25], 0x0
	s_add_co_i32 s27, s27, 4
	s_wait_xcnt 0x0
	s_add_nc_u64 s[28:29], s[28:29], 48
	s_cmp_eq_u32 s26, s27
	s_add_nc_u64 s[24:25], s[24:25], 32
	s_wait_kmcnt 0x0
	v_mul_hi_u32 v3, s49, v1
	s_delay_alu instid0(VALU_DEP_1) | instskip(NEXT) | instid1(VALU_DEP_1)
	v_add_nc_u32_e32 v3, v1, v3
	v_lshrrev_b32_e32 v3, s50, v3
	s_delay_alu instid0(VALU_DEP_1) | instskip(NEXT) | instid1(VALU_DEP_1)
	v_mul_hi_u32 v5, s52, v3
	v_add_nc_u32_e32 v5, v3, v5
	s_delay_alu instid0(VALU_DEP_1) | instskip(SKIP_1) | instid1(VALU_DEP_1)
	v_lshrrev_b32_e32 v5, s53, v5
	s_wait_loadcnt 0x0
	v_mul_hi_u32 v6, s55, v5
	s_delay_alu instid0(VALU_DEP_1) | instskip(SKIP_1) | instid1(VALU_DEP_1)
	v_add_nc_u32_e32 v6, v5, v6
	v_mul_lo_u32 v7, v3, s48
	v_sub_nc_u32_e32 v1, v1, v7
	v_mul_lo_u32 v7, v5, s51
	s_delay_alu instid0(VALU_DEP_4) | instskip(NEXT) | instid1(VALU_DEP_3)
	v_lshrrev_b32_e32 v6, s64, v6
	v_mad_u32 v4, v1, s57, v4
	v_mad_u32 v1, v1, s56, v2
	s_delay_alu instid0(VALU_DEP_4) | instskip(NEXT) | instid1(VALU_DEP_4)
	v_sub_nc_u32_e32 v2, v3, v7
	v_mul_hi_u32 v8, s66, v6
	v_mul_lo_u32 v3, v6, s54
	s_delay_alu instid0(VALU_DEP_3) | instskip(SKIP_1) | instid1(VALU_DEP_3)
	v_mad_u32 v4, v2, s59, v4
	v_mad_u32 v2, v2, s58, v1
	v_dual_add_nc_u32 v7, v6, v8 :: v_dual_sub_nc_u32 v3, v5, v3
	s_delay_alu instid0(VALU_DEP_1) | instskip(NEXT) | instid1(VALU_DEP_2)
	v_lshrrev_b32_e32 v1, s67, v7
	v_mad_u32 v4, v3, s61, v4
	s_delay_alu instid0(VALU_DEP_4) | instskip(NEXT) | instid1(VALU_DEP_3)
	v_mad_u32 v2, v3, s60, v2
	v_mul_lo_u32 v5, v1, s65
	s_delay_alu instid0(VALU_DEP_1) | instskip(NEXT) | instid1(VALU_DEP_1)
	v_sub_nc_u32_e32 v3, v6, v5
	v_mad_u32 v4, v3, s63, v4
	s_delay_alu instid0(VALU_DEP_4)
	v_mad_u32 v2, v3, s62, v2
	s_cbranch_scc0 .LBB207_852
; %bb.853:
	s_delay_alu instid0(VALU_DEP_2)
	v_mov_b32_e32 v3, v4
	s_branch .LBB207_857
.LBB207_854:
	s_mov_b32 s24, -1
                                        ; implicit-def: $vgpr4
                                        ; implicit-def: $vgpr2
	s_branch .LBB207_862
.LBB207_855:
	v_dual_mov_b32 v4, 0 :: v_dual_mov_b32 v2, 0
	s_branch .LBB207_861
.LBB207_856:
	v_mov_b64_e32 v[2:3], 0
	v_mov_b32_e32 v1, v0
                                        ; implicit-def: $vgpr4
.LBB207_857:
	s_and_b32 s28, s40, 3
	s_mov_b32 s27, 0
	s_cmp_eq_u32 s28, 0
	s_cbranch_scc1 .LBB207_861
; %bb.858:
	s_lshl_b32 s24, s26, 3
	s_mov_b32 s25, s27
	s_mul_u64 s[26:27], s[26:27], 12
	s_add_nc_u64 s[24:25], s[2:3], s[24:25]
	s_add_nc_u64 s[26:27], s[2:3], s[26:27]
	;; [unrolled: 1-line block ×3, first 2 shown]
.LBB207_859:                            ; =>This Inner Loop Header: Depth=1
	s_load_b96 s[48:50], s[26:27], 0x4
	s_load_b64 s[40:41], s[24:25], 0x0
	s_add_co_i32 s28, s28, -1
	s_wait_xcnt 0x0
	s_add_nc_u64 s[26:27], s[26:27], 12
	s_cmp_lg_u32 s28, 0
	s_add_nc_u64 s[24:25], s[24:25], 8
	s_wait_kmcnt 0x0
	v_mul_hi_u32 v4, s49, v1
	s_delay_alu instid0(VALU_DEP_1) | instskip(NEXT) | instid1(VALU_DEP_1)
	v_add_nc_u32_e32 v4, v1, v4
	v_lshrrev_b32_e32 v4, s50, v4
	s_delay_alu instid0(VALU_DEP_1) | instskip(NEXT) | instid1(VALU_DEP_1)
	v_mul_lo_u32 v5, v4, s48
	v_sub_nc_u32_e32 v1, v1, v5
	s_delay_alu instid0(VALU_DEP_1)
	v_mad_u32 v3, v1, s41, v3
	v_mad_u32 v2, v1, s40, v2
	v_mov_b32_e32 v1, v4
	s_cbranch_scc1 .LBB207_859
; %bb.860:
	s_delay_alu instid0(VALU_DEP_3)
	v_mov_b32_e32 v4, v3
.LBB207_861:
	s_mov_b32 s24, 0
.LBB207_862:
	s_delay_alu instid0(SALU_CYCLE_1)
	s_and_not1_b32 vcc_lo, exec_lo, s24
	s_cbranch_vccnz .LBB207_865
; %bb.863:
	v_mov_b32_e32 v1, 0
	s_and_not1_b32 vcc_lo, exec_lo, s38
	s_delay_alu instid0(VALU_DEP_1) | instskip(NEXT) | instid1(VALU_DEP_1)
	v_mul_u64_e32 v[2:3], s[20:21], v[0:1]
	v_add_nc_u32_e32 v2, v0, v3
	s_wait_loadcnt 0x0
	s_delay_alu instid0(VALU_DEP_1) | instskip(NEXT) | instid1(VALU_DEP_1)
	v_lshrrev_b32_e32 v6, s10, v2
	v_mul_lo_u32 v2, v6, s8
	s_delay_alu instid0(VALU_DEP_1) | instskip(NEXT) | instid1(VALU_DEP_1)
	v_sub_nc_u32_e32 v0, v0, v2
	v_mul_lo_u32 v4, v0, s13
	v_mul_lo_u32 v2, v0, s12
	s_cbranch_vccnz .LBB207_865
; %bb.864:
	v_mov_b32_e32 v7, v1
	s_delay_alu instid0(VALU_DEP_1) | instskip(NEXT) | instid1(VALU_DEP_1)
	v_mul_u64_e32 v[0:1], s[22:23], v[6:7]
	v_add_nc_u32_e32 v0, v6, v1
	s_delay_alu instid0(VALU_DEP_1) | instskip(NEXT) | instid1(VALU_DEP_1)
	v_lshrrev_b32_e32 v0, s1, v0
	v_mul_lo_u32 v0, v0, s11
	s_delay_alu instid0(VALU_DEP_1) | instskip(NEXT) | instid1(VALU_DEP_1)
	v_sub_nc_u32_e32 v0, v6, v0
	v_mad_u32 v2, v0, s14, v2
	v_mad_u32 v4, v0, s15, v4
.LBB207_865:
	v_mov_b32_e32 v5, 0
	s_and_b32 s1, 0xffff, s37
	s_delay_alu instid0(SALU_CYCLE_1) | instskip(NEXT) | instid1(VALU_DEP_1)
	s_cmp_lt_i32 s1, 11
	v_add_nc_u64_e32 v[4:5], s[6:7], v[4:5]
	s_cbranch_scc1 .LBB207_872
; %bb.866:
	s_cmp_gt_i32 s1, 25
	s_mov_b32 s7, 0
	s_cbranch_scc0 .LBB207_873
; %bb.867:
	s_cmp_gt_i32 s1, 28
	s_cbranch_scc0 .LBB207_874
; %bb.868:
	s_cmp_gt_i32 s1, 43
	;; [unrolled: 3-line block ×3, first 2 shown]
	s_cbranch_scc0 .LBB207_878
; %bb.870:
	s_cmp_eq_u32 s1, 46
	s_mov_b32 s10, 0
	s_cbranch_scc0 .LBB207_881
; %bb.871:
	global_load_b32 v0, v[4:5], off
	s_mov_b32 s6, 0
	s_mov_b32 s8, -1
	s_wait_loadcnt 0x0
	v_lshlrev_b32_e32 v0, 16, v0
	s_delay_alu instid0(VALU_DEP_1)
	v_cvt_i32_f32_e32 v6, v0
	s_branch .LBB207_883
.LBB207_872:
	s_mov_b32 s1, -1
	s_mov_b32 s8, 0
	s_mov_b32 s7, 0
	;; [unrolled: 1-line block ×3, first 2 shown]
                                        ; implicit-def: $vgpr6
	s_branch .LBB207_942
.LBB207_873:
	s_mov_b32 s10, -1
	s_mov_b32 s8, 0
	s_mov_b32 s6, s0
                                        ; implicit-def: $vgpr6
	s_branch .LBB207_910
.LBB207_874:
	s_mov_b32 s10, -1
	s_mov_b32 s8, 0
	s_mov_b32 s6, s0
                                        ; implicit-def: $vgpr6
	s_branch .LBB207_893
.LBB207_875:
	s_mov_b32 s10, -1
	s_mov_b32 s8, 0
	s_mov_b32 s6, s0
                                        ; implicit-def: $vgpr6
	s_branch .LBB207_888
.LBB207_876:
	s_and_not1_saveexec_b32 s31, s31
	s_cbranch_execz .LBB207_754
.LBB207_877:
	v_add_f32_e64 v5, 0x46000000, |v4|
	s_and_not1_b32 s30, s30, exec_lo
	s_delay_alu instid0(VALU_DEP_1) | instskip(NEXT) | instid1(VALU_DEP_1)
	v_and_b32_e32 v5, 0xff, v5
	v_cmp_ne_u32_e32 vcc_lo, 0, v5
	s_and_b32 s49, vcc_lo, exec_lo
	s_delay_alu instid0(SALU_CYCLE_1)
	s_or_b32 s30, s30, s49
	s_or_b32 exec_lo, exec_lo, s31
	v_mov_b32_e32 v6, 0
	s_and_saveexec_b32 s31, s30
	s_cbranch_execnz .LBB207_755
	s_branch .LBB207_756
.LBB207_878:
	s_mov_b32 s10, -1
	s_mov_b32 s8, 0
	s_mov_b32 s6, s0
	s_branch .LBB207_882
.LBB207_879:
	s_and_not1_saveexec_b32 s31, s31
	s_cbranch_execz .LBB207_767
.LBB207_880:
	v_add_f32_e64 v5, 0x42800000, |v4|
	s_and_not1_b32 s30, s30, exec_lo
	s_delay_alu instid0(VALU_DEP_1) | instskip(NEXT) | instid1(VALU_DEP_1)
	v_and_b32_e32 v5, 0xff, v5
	v_cmp_ne_u32_e32 vcc_lo, 0, v5
	s_and_b32 s49, vcc_lo, exec_lo
	s_delay_alu instid0(SALU_CYCLE_1)
	s_or_b32 s30, s30, s49
	s_or_b32 exec_lo, exec_lo, s31
	v_mov_b32_e32 v6, 0
	s_and_saveexec_b32 s31, s30
	s_cbranch_execnz .LBB207_768
	s_branch .LBB207_769
.LBB207_881:
	s_mov_b32 s6, -1
	s_mov_b32 s8, 0
.LBB207_882:
                                        ; implicit-def: $vgpr6
.LBB207_883:
	s_and_b32 vcc_lo, exec_lo, s10
	s_cbranch_vccz .LBB207_887
; %bb.884:
	s_cmp_eq_u32 s1, 44
	s_cbranch_scc0 .LBB207_886
; %bb.885:
	global_load_u8 v0, v[4:5], off
	s_mov_b32 s6, 0
	s_mov_b32 s8, -1
	s_wait_loadcnt 0x0
	v_lshlrev_b32_e32 v1, 23, v0
	v_cmp_ne_u32_e32 vcc_lo, 0, v0
	s_delay_alu instid0(VALU_DEP_2) | instskip(NEXT) | instid1(VALU_DEP_1)
	v_cvt_i32_f32_e32 v1, v1
	v_cndmask_b32_e32 v6, 0, v1, vcc_lo
	s_branch .LBB207_887
.LBB207_886:
	s_mov_b32 s6, -1
                                        ; implicit-def: $vgpr6
.LBB207_887:
	s_mov_b32 s10, 0
.LBB207_888:
	s_delay_alu instid0(SALU_CYCLE_1)
	s_and_b32 vcc_lo, exec_lo, s10
	s_cbranch_vccz .LBB207_892
; %bb.889:
	s_cmp_eq_u32 s1, 29
	s_cbranch_scc0 .LBB207_891
; %bb.890:
	s_wait_loadcnt 0x0
	global_load_b64 v[6:7], v[4:5], off
	s_mov_b32 s6, 0
	s_mov_b32 s8, -1
	s_branch .LBB207_892
.LBB207_891:
	s_mov_b32 s6, -1
                                        ; implicit-def: $vgpr6
.LBB207_892:
	s_mov_b32 s10, 0
.LBB207_893:
	s_delay_alu instid0(SALU_CYCLE_1)
	s_and_b32 vcc_lo, exec_lo, s10
	s_cbranch_vccz .LBB207_909
; %bb.894:
	s_cmp_lt_i32 s1, 27
	s_cbranch_scc1 .LBB207_897
; %bb.895:
	s_cmp_gt_i32 s1, 27
	s_cbranch_scc0 .LBB207_898
; %bb.896:
	s_wait_loadcnt 0x0
	global_load_b32 v6, v[4:5], off
	s_mov_b32 s8, 0
	s_branch .LBB207_899
.LBB207_897:
	s_mov_b32 s8, -1
                                        ; implicit-def: $vgpr6
	s_branch .LBB207_902
.LBB207_898:
	s_mov_b32 s8, -1
                                        ; implicit-def: $vgpr6
.LBB207_899:
	s_delay_alu instid0(SALU_CYCLE_1)
	s_and_not1_b32 vcc_lo, exec_lo, s8
	s_cbranch_vccnz .LBB207_901
; %bb.900:
	s_wait_loadcnt 0x0
	global_load_u16 v6, v[4:5], off
.LBB207_901:
	s_mov_b32 s8, 0
.LBB207_902:
	s_delay_alu instid0(SALU_CYCLE_1)
	s_and_not1_b32 vcc_lo, exec_lo, s8
	s_cbranch_vccnz .LBB207_908
; %bb.903:
	global_load_u8 v0, v[4:5], off
	s_mov_b32 s10, 0
	s_mov_b32 s8, exec_lo
	s_wait_loadcnt 0x0
	v_cmpx_lt_i16_e32 0x7f, v0
	s_xor_b32 s8, exec_lo, s8
	s_cbranch_execz .LBB207_920
; %bb.904:
	v_cmp_ne_u16_e32 vcc_lo, 0x80, v0
	s_and_b32 s10, vcc_lo, exec_lo
	s_and_not1_saveexec_b32 s8, s8
	s_cbranch_execnz .LBB207_921
.LBB207_905:
	s_or_b32 exec_lo, exec_lo, s8
	v_mov_b32_e32 v6, 0
	s_and_saveexec_b32 s8, s10
	s_cbranch_execz .LBB207_907
.LBB207_906:
	v_and_b32_e32 v1, 0xffff, v0
	s_delay_alu instid0(VALU_DEP_1) | instskip(SKIP_1) | instid1(VALU_DEP_2)
	v_and_b32_e32 v3, 7, v1
	v_bfe_u32 v8, v1, 3, 4
	v_clz_i32_u32_e32 v6, v3
	s_delay_alu instid0(VALU_DEP_2) | instskip(NEXT) | instid1(VALU_DEP_2)
	v_cmp_eq_u32_e32 vcc_lo, 0, v8
	v_min_u32_e32 v6, 32, v6
	s_delay_alu instid0(VALU_DEP_1) | instskip(NEXT) | instid1(VALU_DEP_1)
	v_subrev_nc_u32_e32 v7, 28, v6
	v_dual_lshlrev_b32 v1, v7, v1 :: v_dual_sub_nc_u32 v6, 29, v6
	s_delay_alu instid0(VALU_DEP_1) | instskip(NEXT) | instid1(VALU_DEP_1)
	v_dual_lshlrev_b32 v0, 24, v0 :: v_dual_bitop2_b32 v1, 7, v1 bitop3:0x40
	v_dual_cndmask_b32 v6, v8, v6 :: v_dual_cndmask_b32 v1, v3, v1
	s_delay_alu instid0(VALU_DEP_2) | instskip(NEXT) | instid1(VALU_DEP_2)
	v_and_b32_e32 v0, 0x80000000, v0
	v_lshl_add_u32 v3, v6, 23, 0x3b800000
	s_delay_alu instid0(VALU_DEP_3) | instskip(NEXT) | instid1(VALU_DEP_1)
	v_lshlrev_b32_e32 v1, 20, v1
	v_or3_b32 v0, v0, v3, v1
	s_delay_alu instid0(VALU_DEP_1)
	v_cvt_i32_f32_e32 v6, v0
.LBB207_907:
	s_or_b32 exec_lo, exec_lo, s8
.LBB207_908:
	s_mov_b32 s8, -1
.LBB207_909:
	s_mov_b32 s10, 0
.LBB207_910:
	s_delay_alu instid0(SALU_CYCLE_1)
	s_and_b32 vcc_lo, exec_lo, s10
	s_cbranch_vccz .LBB207_941
; %bb.911:
	s_cmp_gt_i32 s1, 22
	s_cbranch_scc0 .LBB207_919
; %bb.912:
	s_cmp_lt_i32 s1, 24
	s_cbranch_scc1 .LBB207_922
; %bb.913:
	s_cmp_gt_i32 s1, 24
	s_cbranch_scc0 .LBB207_923
; %bb.914:
	global_load_u8 v0, v[4:5], off
	s_mov_b32 s8, 0
	s_mov_b32 s7, exec_lo
	s_wait_loadcnt 0x0
	v_cmpx_lt_i16_e32 0x7f, v0
	s_xor_b32 s7, exec_lo, s7
	s_cbranch_execz .LBB207_935
; %bb.915:
	v_cmp_ne_u16_e32 vcc_lo, 0x80, v0
	s_and_b32 s8, vcc_lo, exec_lo
	s_and_not1_saveexec_b32 s7, s7
	s_cbranch_execnz .LBB207_936
.LBB207_916:
	s_or_b32 exec_lo, exec_lo, s7
	v_mov_b32_e32 v6, 0
	s_and_saveexec_b32 s7, s8
	s_cbranch_execz .LBB207_918
.LBB207_917:
	v_and_b32_e32 v1, 0xffff, v0
	s_delay_alu instid0(VALU_DEP_1) | instskip(SKIP_1) | instid1(VALU_DEP_2)
	v_and_b32_e32 v3, 3, v1
	v_bfe_u32 v8, v1, 2, 5
	v_clz_i32_u32_e32 v6, v3
	s_delay_alu instid0(VALU_DEP_2) | instskip(NEXT) | instid1(VALU_DEP_2)
	v_cmp_eq_u32_e32 vcc_lo, 0, v8
	v_min_u32_e32 v6, 32, v6
	s_delay_alu instid0(VALU_DEP_1) | instskip(NEXT) | instid1(VALU_DEP_1)
	v_subrev_nc_u32_e32 v7, 29, v6
	v_dual_lshlrev_b32 v1, v7, v1 :: v_dual_sub_nc_u32 v6, 30, v6
	s_delay_alu instid0(VALU_DEP_1) | instskip(NEXT) | instid1(VALU_DEP_1)
	v_dual_lshlrev_b32 v0, 24, v0 :: v_dual_bitop2_b32 v1, 3, v1 bitop3:0x40
	v_dual_cndmask_b32 v6, v8, v6 :: v_dual_cndmask_b32 v1, v3, v1
	s_delay_alu instid0(VALU_DEP_2) | instskip(NEXT) | instid1(VALU_DEP_2)
	v_and_b32_e32 v0, 0x80000000, v0
	v_lshl_add_u32 v3, v6, 23, 0x37800000
	s_delay_alu instid0(VALU_DEP_3) | instskip(NEXT) | instid1(VALU_DEP_1)
	v_lshlrev_b32_e32 v1, 21, v1
	v_or3_b32 v0, v0, v3, v1
	s_delay_alu instid0(VALU_DEP_1)
	v_cvt_i32_f32_e32 v6, v0
.LBB207_918:
	s_or_b32 exec_lo, exec_lo, s7
	s_mov_b32 s7, 0
	s_branch .LBB207_924
.LBB207_919:
	s_mov_b32 s7, -1
                                        ; implicit-def: $vgpr6
	s_branch .LBB207_930
.LBB207_920:
	s_and_not1_saveexec_b32 s8, s8
	s_cbranch_execz .LBB207_905
.LBB207_921:
	v_cmp_ne_u16_e32 vcc_lo, 0, v0
	s_and_not1_b32 s10, s10, exec_lo
	s_and_b32 s11, vcc_lo, exec_lo
	s_delay_alu instid0(SALU_CYCLE_1)
	s_or_b32 s10, s10, s11
	s_or_b32 exec_lo, exec_lo, s8
	v_mov_b32_e32 v6, 0
	s_and_saveexec_b32 s8, s10
	s_cbranch_execnz .LBB207_906
	s_branch .LBB207_907
.LBB207_922:
	s_mov_b32 s7, -1
                                        ; implicit-def: $vgpr6
	s_branch .LBB207_927
.LBB207_923:
	s_mov_b32 s7, -1
                                        ; implicit-def: $vgpr6
.LBB207_924:
	s_delay_alu instid0(SALU_CYCLE_1)
	s_and_b32 vcc_lo, exec_lo, s7
	s_cbranch_vccz .LBB207_926
; %bb.925:
	global_load_u8 v0, v[4:5], off
	s_wait_loadcnt 0x0
	v_lshlrev_b32_e32 v0, 24, v0
	s_delay_alu instid0(VALU_DEP_1) | instskip(NEXT) | instid1(VALU_DEP_1)
	v_and_b32_e32 v1, 0x7f000000, v0
	v_clz_i32_u32_e32 v3, v1
	v_add_nc_u32_e32 v7, 0x1000000, v1
	v_cmp_ne_u32_e32 vcc_lo, 0, v1
	s_delay_alu instid0(VALU_DEP_3) | instskip(NEXT) | instid1(VALU_DEP_1)
	v_min_u32_e32 v3, 32, v3
	v_sub_nc_u32_e64 v3, v3, 4 clamp
	s_delay_alu instid0(VALU_DEP_1) | instskip(NEXT) | instid1(VALU_DEP_1)
	v_dual_lshlrev_b32 v6, v3, v1 :: v_dual_lshlrev_b32 v3, 23, v3
	v_lshrrev_b32_e32 v6, 4, v6
	s_delay_alu instid0(VALU_DEP_1) | instskip(SKIP_1) | instid1(VALU_DEP_2)
	v_sub_nc_u32_e32 v3, v6, v3
	v_ashrrev_i32_e32 v6, 8, v7
	v_add_nc_u32_e32 v3, 0x3c000000, v3
	s_delay_alu instid0(VALU_DEP_1) | instskip(NEXT) | instid1(VALU_DEP_1)
	v_and_or_b32 v3, 0x7f800000, v6, v3
	v_cndmask_b32_e32 v1, 0, v3, vcc_lo
	s_delay_alu instid0(VALU_DEP_1) | instskip(NEXT) | instid1(VALU_DEP_1)
	v_and_or_b32 v0, 0x80000000, v0, v1
	v_cvt_i32_f32_e32 v6, v0
.LBB207_926:
	s_mov_b32 s7, 0
.LBB207_927:
	s_delay_alu instid0(SALU_CYCLE_1)
	s_and_not1_b32 vcc_lo, exec_lo, s7
	s_cbranch_vccnz .LBB207_929
; %bb.928:
	global_load_u8 v0, v[4:5], off
	s_wait_loadcnt 0x0
	v_lshlrev_b32_e32 v1, 25, v0
	v_lshlrev_b16 v0, 8, v0
	s_delay_alu instid0(VALU_DEP_1) | instskip(SKIP_1) | instid1(VALU_DEP_2)
	v_and_or_b32 v6, 0x7f00, v0, 0.5
	v_bfe_i32 v0, v0, 0, 16
	v_dual_add_f32 v6, -0.5, v6 :: v_dual_lshrrev_b32 v3, 4, v1
	v_cmp_gt_u32_e32 vcc_lo, 0x8000000, v1
	s_delay_alu instid0(VALU_DEP_2) | instskip(NEXT) | instid1(VALU_DEP_1)
	v_or_b32_e32 v3, 0x70000000, v3
	v_mul_f32_e32 v3, 0x7800000, v3
	s_delay_alu instid0(VALU_DEP_1) | instskip(NEXT) | instid1(VALU_DEP_1)
	v_cndmask_b32_e32 v1, v3, v6, vcc_lo
	v_and_or_b32 v0, 0x80000000, v0, v1
	s_delay_alu instid0(VALU_DEP_1)
	v_cvt_i32_f32_e32 v6, v0
.LBB207_929:
	s_mov_b32 s7, 0
	s_mov_b32 s8, -1
.LBB207_930:
	s_and_not1_b32 vcc_lo, exec_lo, s7
	s_mov_b32 s7, 0
	s_cbranch_vccnz .LBB207_941
; %bb.931:
	s_cmp_gt_i32 s1, 14
	s_cbranch_scc0 .LBB207_934
; %bb.932:
	s_cmp_eq_u32 s1, 15
	s_cbranch_scc0 .LBB207_937
; %bb.933:
	global_load_u16 v0, v[4:5], off
	s_mov_b32 s6, 0
	s_mov_b32 s8, -1
	s_wait_loadcnt 0x0
	v_lshlrev_b32_e32 v0, 16, v0
	s_delay_alu instid0(VALU_DEP_1)
	v_cvt_i32_f32_e32 v6, v0
	s_branch .LBB207_939
.LBB207_934:
	s_mov_b32 s7, -1
	s_branch .LBB207_938
.LBB207_935:
	s_and_not1_saveexec_b32 s7, s7
	s_cbranch_execz .LBB207_916
.LBB207_936:
	v_cmp_ne_u16_e32 vcc_lo, 0, v0
	s_and_not1_b32 s8, s8, exec_lo
	s_and_b32 s10, vcc_lo, exec_lo
	s_delay_alu instid0(SALU_CYCLE_1)
	s_or_b32 s8, s8, s10
	s_or_b32 exec_lo, exec_lo, s7
	v_mov_b32_e32 v6, 0
	s_and_saveexec_b32 s7, s8
	s_cbranch_execnz .LBB207_917
	s_branch .LBB207_918
.LBB207_937:
	s_mov_b32 s6, -1
.LBB207_938:
                                        ; implicit-def: $vgpr6
.LBB207_939:
	s_and_b32 vcc_lo, exec_lo, s7
	s_mov_b32 s7, 0
	s_cbranch_vccz .LBB207_941
; %bb.940:
	s_cmp_lg_u32 s1, 11
	s_mov_b32 s7, -1
	s_cselect_b32 s1, -1, 0
	s_and_not1_b32 s6, s6, exec_lo
	s_and_b32 s1, s1, exec_lo
	s_delay_alu instid0(SALU_CYCLE_1)
	s_or_b32 s6, s6, s1
.LBB207_941:
	s_mov_b32 s1, 0
.LBB207_942:
	s_delay_alu instid0(SALU_CYCLE_1)
	s_and_b32 s26, s1, exec_lo
	s_and_not1_b32 s1, s0, exec_lo
	s_and_b32 s6, s6, exec_lo
	s_and_b32 s28, s8, exec_lo
	;; [unrolled: 1-line block ×3, first 2 shown]
	s_or_b32 s29, s1, s6
.LBB207_943:
	s_wait_xcnt 0x0
	s_or_b32 exec_lo, exec_lo, s39
	s_delay_alu instid0(SALU_CYCLE_1)
	s_and_not1_b32 s0, s0, exec_lo
	s_and_b32 s1, s29, exec_lo
	s_and_b32 s28, s28, exec_lo
	s_and_b32 s26, s26, exec_lo
	s_and_b32 s27, s27, exec_lo
	s_or_b32 s0, s0, s1
.LBB207_944:
	s_or_b32 exec_lo, exec_lo, s31
	s_delay_alu instid0(SALU_CYCLE_1)
	s_and_not1_b32 s1, s46, exec_lo
	s_and_b32 s6, s30, exec_lo
	s_and_b32 s0, s0, exec_lo
	s_or_b32 s46, s1, s6
	s_and_not1_b32 s1, s45, exec_lo
	s_and_b32 s28, s28, exec_lo
	s_and_b32 s26, s26, exec_lo
	;; [unrolled: 1-line block ×3, first 2 shown]
	s_or_b32 s45, s1, s0
.LBB207_945:
	s_or_b32 exec_lo, exec_lo, s47
	s_delay_alu instid0(SALU_CYCLE_1)
	s_and_not1_b32 s0, s42, exec_lo
	s_and_b32 s1, s46, exec_lo
	s_and_b32 s6, s45, exec_lo
	s_or_b32 s42, s0, s1
	s_and_not1_b32 s1, s43, exec_lo
	s_and_b32 s0, s28, exec_lo
	s_and_b32 s26, s26, exec_lo
	;; [unrolled: 1-line block ×3, first 2 shown]
	s_or_b32 s43, s1, s6
	s_or_b32 exec_lo, exec_lo, s44
	s_mov_b32 s1, 0
	s_and_saveexec_b32 s6, s43
	s_cbranch_execz .LBB207_283
.LBB207_946:
	s_mov_b32 s1, exec_lo
	s_and_not1_b32 s21, s21, exec_lo
	s_trap 2
	s_or_b32 exec_lo, exec_lo, s6
	s_and_saveexec_b32 s6, s21
	s_delay_alu instid0(SALU_CYCLE_1)
	s_xor_b32 s6, exec_lo, s6
	s_cbranch_execnz .LBB207_284
.LBB207_947:
	s_or_b32 exec_lo, exec_lo, s6
	s_and_saveexec_b32 s6, s26
	s_cbranch_execz .LBB207_993
.LBB207_948:
	s_sext_i32_i16 s7, s37
	s_delay_alu instid0(SALU_CYCLE_1)
	s_cmp_lt_i32 s7, 5
	s_cbranch_scc1 .LBB207_953
; %bb.949:
	s_cmp_lt_i32 s7, 8
	s_cbranch_scc1 .LBB207_954
; %bb.950:
	;; [unrolled: 3-line block ×3, first 2 shown]
	s_cmp_gt_i32 s7, 9
	s_cbranch_scc0 .LBB207_956
; %bb.952:
	global_load_b64 v[0:1], v[4:5], off
	s_mov_b32 s7, 0
	s_wait_loadcnt 0x0
	v_cvt_i32_f64_e32 v6, v[0:1]
	s_branch .LBB207_957
.LBB207_953:
                                        ; implicit-def: $vgpr6
	s_branch .LBB207_974
.LBB207_954:
                                        ; implicit-def: $vgpr6
	s_branch .LBB207_963
.LBB207_955:
	s_mov_b32 s7, -1
                                        ; implicit-def: $vgpr6
	s_branch .LBB207_960
.LBB207_956:
	s_mov_b32 s7, -1
                                        ; implicit-def: $vgpr6
.LBB207_957:
	s_delay_alu instid0(SALU_CYCLE_1)
	s_and_not1_b32 vcc_lo, exec_lo, s7
	s_cbranch_vccnz .LBB207_959
; %bb.958:
	global_load_b32 v0, v[4:5], off
	s_wait_loadcnt 0x0
	v_cvt_i32_f32_e32 v6, v0
.LBB207_959:
	s_mov_b32 s7, 0
.LBB207_960:
	s_delay_alu instid0(SALU_CYCLE_1)
	s_and_not1_b32 vcc_lo, exec_lo, s7
	s_cbranch_vccnz .LBB207_962
; %bb.961:
	global_load_b32 v0, v[4:5], off
	s_wait_loadcnt 0x0
	v_cvt_i16_f16_e32 v6, v0
.LBB207_962:
	s_cbranch_execnz .LBB207_973
.LBB207_963:
	s_sext_i32_i16 s7, s37
	s_delay_alu instid0(SALU_CYCLE_1)
	s_cmp_lt_i32 s7, 6
	s_cbranch_scc1 .LBB207_966
; %bb.964:
	s_cmp_gt_i32 s7, 6
	s_cbranch_scc0 .LBB207_967
; %bb.965:
	global_load_b64 v[0:1], v[4:5], off
	s_mov_b32 s7, 0
	s_wait_loadcnt 0x0
	v_cvt_i32_f64_e32 v6, v[0:1]
	s_branch .LBB207_968
.LBB207_966:
	s_mov_b32 s7, -1
                                        ; implicit-def: $vgpr6
	s_branch .LBB207_971
.LBB207_967:
	s_mov_b32 s7, -1
                                        ; implicit-def: $vgpr6
.LBB207_968:
	s_delay_alu instid0(SALU_CYCLE_1)
	s_and_not1_b32 vcc_lo, exec_lo, s7
	s_cbranch_vccnz .LBB207_970
; %bb.969:
	global_load_b32 v0, v[4:5], off
	s_wait_loadcnt 0x0
	v_cvt_i32_f32_e32 v6, v0
.LBB207_970:
	s_mov_b32 s7, 0
.LBB207_971:
	s_delay_alu instid0(SALU_CYCLE_1)
	s_and_not1_b32 vcc_lo, exec_lo, s7
	s_cbranch_vccnz .LBB207_973
; %bb.972:
	global_load_u16 v0, v[4:5], off
	s_wait_loadcnt 0x0
	v_cvt_i16_f16_e32 v6, v0
.LBB207_973:
	s_cbranch_execnz .LBB207_992
.LBB207_974:
	s_sext_i32_i16 s7, s37
	s_delay_alu instid0(SALU_CYCLE_1)
	s_cmp_lt_i32 s7, 2
	s_cbranch_scc1 .LBB207_978
; %bb.975:
	s_cmp_lt_i32 s7, 3
	s_cbranch_scc1 .LBB207_979
; %bb.976:
	s_cmp_gt_i32 s7, 3
	s_cbranch_scc0 .LBB207_980
; %bb.977:
	s_wait_loadcnt 0x0
	global_load_b64 v[6:7], v[4:5], off
	s_mov_b32 s7, 0
	s_branch .LBB207_981
.LBB207_978:
                                        ; implicit-def: $vgpr6
	s_branch .LBB207_987
.LBB207_979:
	s_mov_b32 s7, -1
                                        ; implicit-def: $vgpr6
	s_branch .LBB207_984
.LBB207_980:
	s_mov_b32 s7, -1
                                        ; implicit-def: $vgpr6
.LBB207_981:
	s_delay_alu instid0(SALU_CYCLE_1)
	s_and_not1_b32 vcc_lo, exec_lo, s7
	s_cbranch_vccnz .LBB207_983
; %bb.982:
	s_wait_loadcnt 0x0
	global_load_b32 v6, v[4:5], off
.LBB207_983:
	s_mov_b32 s7, 0
.LBB207_984:
	s_delay_alu instid0(SALU_CYCLE_1)
	s_and_not1_b32 vcc_lo, exec_lo, s7
	s_cbranch_vccnz .LBB207_986
; %bb.985:
	s_wait_loadcnt 0x0
	global_load_u16 v6, v[4:5], off
.LBB207_986:
	s_cbranch_execnz .LBB207_992
.LBB207_987:
	s_sext_i32_i16 s7, s37
	s_delay_alu instid0(SALU_CYCLE_1)
	s_cmp_gt_i32 s7, 0
	s_mov_b32 s7, 0
	s_cbranch_scc0 .LBB207_989
; %bb.988:
	s_wait_loadcnt 0x0
	global_load_i8 v6, v[4:5], off
	s_branch .LBB207_990
.LBB207_989:
	s_mov_b32 s7, -1
                                        ; implicit-def: $vgpr6
.LBB207_990:
	s_delay_alu instid0(SALU_CYCLE_1)
	s_and_not1_b32 vcc_lo, exec_lo, s7
	s_cbranch_vccnz .LBB207_992
; %bb.991:
	s_wait_loadcnt 0x0
	global_load_u8 v6, v[4:5], off
.LBB207_992:
	s_or_b32 s0, s0, exec_lo
.LBB207_993:
	s_wait_xcnt 0x0
	s_or_b32 exec_lo, exec_lo, s6
	s_mov_b32 s10, 0
	s_mov_b32 s8, 0
                                        ; implicit-def: $sgpr6
                                        ; implicit-def: $vgpr0_vgpr1
                                        ; implicit-def: $vgpr4
	s_and_saveexec_b32 s7, s0
	s_cbranch_execz .LBB207_997
; %bb.994:
	s_cmp_lt_i32 s16, 1
	s_mov_b32 s0, 0
	s_cbranch_scc1 .LBB207_1000
; %bb.995:
	s_cmp_eq_u32 s16, 1
	s_cbranch_scc0 .LBB207_1014
; %bb.996:
	s_wait_loadcnt 0x0
	s_delay_alu instid0(VALU_DEP_1)
	v_min_i16 v4, v6, s17
	s_mov_b32 s6, 0
	s_and_b32 vcc_lo, exec_lo, s8
	s_cbranch_vccnz .LBB207_1001
	s_branch .LBB207_1002
.LBB207_997:
	s_or_b32 exec_lo, exec_lo, s7
	s_and_saveexec_b32 s0, s42
	s_cbranch_execnz .LBB207_1084
.LBB207_998:
	s_or_b32 exec_lo, exec_lo, s0
	s_and_saveexec_b32 s0, s10
	s_delay_alu instid0(SALU_CYCLE_1)
	s_xor_b32 s0, exec_lo, s0
	s_cbranch_execz .LBB207_1085
.LBB207_999:
	v_cmp_ne_u16_e32 vcc_lo, 0, v4
	v_cndmask_b32_e64 v2, 0, 1, vcc_lo
	global_store_b8 v[0:1], v2, off
	s_wait_xcnt 0x0
	s_or_b32 exec_lo, exec_lo, s0
	s_and_saveexec_b32 s0, s8
	s_delay_alu instid0(SALU_CYCLE_1)
	s_xor_b32 s0, exec_lo, s0
	s_cbranch_execz .LBB207_1123
	s_branch .LBB207_1086
.LBB207_1000:
	s_mov_b32 s6, 0
                                        ; implicit-def: $vgpr4
	s_cbranch_execz .LBB207_1002
.LBB207_1001:
	s_cmp_lg_u32 s16, 0
	s_mov_b32 s0, -1
	s_cselect_b32 s6, -1, 0
.LBB207_1002:
	s_wait_loadcnt 0x0
	s_delay_alu instid0(VALU_DEP_1)
	v_max_i16 v0, v6, s17
	s_and_not1_b32 vcc_lo, exec_lo, s6
	s_cbranch_vccnz .LBB207_1004
; %bb.1003:
	v_max_i16 v1, v6, s17
	s_delay_alu instid0(VALU_DEP_1)
	v_min_i16 v4, v1, s9
	s_cbranch_execz .LBB207_1005
	s_branch .LBB207_1006
.LBB207_1004:
	s_and_not1_b32 vcc_lo, exec_lo, s0
	s_cbranch_vccnz .LBB207_1006
.LBB207_1005:
	v_mov_b32_e32 v4, v0
.LBB207_1006:
	v_mov_b32_e32 v3, 0
	s_and_b32 s6, s18, 0xff
	s_delay_alu instid0(SALU_CYCLE_1) | instskip(NEXT) | instid1(VALU_DEP_1)
	s_cmp_lt_i32 s6, 11
	v_add_nc_u64_e32 v[0:1], s[4:5], v[2:3]
	s_cbranch_scc1 .LBB207_1013
; %bb.1007:
	s_and_b32 s4, 0xffff, s6
	s_mov_b32 s5, -1
	s_cmp_gt_i32 s4, 25
	s_mov_b32 s0, s42
	s_cbranch_scc0 .LBB207_1042
; %bb.1008:
	s_cmp_gt_i32 s4, 28
	s_mov_b32 s0, s42
	s_cbranch_scc0 .LBB207_1026
; %bb.1009:
	;; [unrolled: 4-line block ×4, first 2 shown]
	s_cmp_eq_u32 s4, 46
	s_mov_b32 s0, -1
	s_cbranch_scc0 .LBB207_1015
; %bb.1012:
	v_bfe_i32 v2, v4, 0, 16
	s_mov_b32 s0, 0
	s_mov_b32 s5, 0
	s_delay_alu instid0(VALU_DEP_1) | instskip(NEXT) | instid1(VALU_DEP_1)
	v_cvt_f32_i32_e32 v2, v2
	v_bfe_u32 v3, v2, 16, 1
	s_delay_alu instid0(VALU_DEP_1) | instskip(NEXT) | instid1(VALU_DEP_1)
	v_add3_u32 v2, v2, v3, 0x7fff
	v_lshrrev_b32_e32 v2, 16, v2
	global_store_b32 v[0:1], v2, off
	s_branch .LBB207_1016
.LBB207_1013:
	s_mov_b32 s9, 0
	s_mov_b32 s5, -1
	s_mov_b32 s0, s42
	s_branch .LBB207_1083
.LBB207_1014:
	s_mov_b32 s6, -1
                                        ; implicit-def: $vgpr4
	s_and_b32 vcc_lo, exec_lo, s8
	s_cbranch_vccnz .LBB207_1001
	s_branch .LBB207_1002
.LBB207_1015:
	s_mov_b32 s5, 0
.LBB207_1016:
	s_delay_alu instid0(SALU_CYCLE_1)
	s_and_b32 vcc_lo, exec_lo, s5
	s_cbranch_vccz .LBB207_1021
; %bb.1017:
	s_cmp_eq_u32 s4, 44
	s_mov_b32 s0, -1
	s_cbranch_scc0 .LBB207_1021
; %bb.1018:
	s_wait_xcnt 0x0
	v_bfe_i32 v2, v4, 0, 16
	v_mov_b32_e32 v3, 0xff
	s_mov_b32 s5, exec_lo
	s_delay_alu instid0(VALU_DEP_2) | instskip(NEXT) | instid1(VALU_DEP_1)
	v_cvt_f32_i32_e32 v2, v2
	v_bfe_u32 v5, v2, 23, 8
	s_delay_alu instid0(VALU_DEP_1)
	v_cmpx_ne_u32_e32 0xff, v5
	s_cbranch_execz .LBB207_1020
; %bb.1019:
	v_and_b32_e32 v3, 0x400000, v2
	v_and_or_b32 v5, 0x3fffff, v2, v5
	v_lshrrev_b32_e32 v2, 23, v2
	s_delay_alu instid0(VALU_DEP_3) | instskip(NEXT) | instid1(VALU_DEP_3)
	v_cmp_ne_u32_e32 vcc_lo, 0, v3
	v_cmp_ne_u32_e64 s0, 0, v5
	s_and_b32 s0, vcc_lo, s0
	s_delay_alu instid0(SALU_CYCLE_1) | instskip(NEXT) | instid1(VALU_DEP_1)
	v_cndmask_b32_e64 v3, 0, 1, s0
	v_add_nc_u32_e32 v3, v2, v3
.LBB207_1020:
	s_or_b32 exec_lo, exec_lo, s5
	s_mov_b32 s0, 0
	global_store_b8 v[0:1], v3, off
.LBB207_1021:
	s_mov_b32 s5, 0
.LBB207_1022:
	s_delay_alu instid0(SALU_CYCLE_1)
	s_and_b32 vcc_lo, exec_lo, s5
	s_cbranch_vccz .LBB207_1025
; %bb.1023:
	s_cmp_eq_u32 s4, 29
	s_mov_b32 s0, -1
	s_cbranch_scc0 .LBB207_1025
; %bb.1024:
	s_wait_xcnt 0x0
	v_bfe_i32 v2, v4, 0, 16
	s_mov_b32 s0, 0
	s_mov_b32 s5, 0
	s_delay_alu instid0(VALU_DEP_1)
	v_ashrrev_i32_e32 v3, 31, v2
	global_store_b64 v[0:1], v[2:3], off
	s_branch .LBB207_1026
.LBB207_1025:
	s_mov_b32 s5, 0
.LBB207_1026:
	s_delay_alu instid0(SALU_CYCLE_1)
	s_and_b32 vcc_lo, exec_lo, s5
	s_cbranch_vccz .LBB207_1041
; %bb.1027:
	s_cmp_lt_i32 s4, 27
	s_mov_b32 s5, -1
	s_cbranch_scc1 .LBB207_1033
; %bb.1028:
	s_cmp_gt_i32 s4, 27
	s_cbranch_scc0 .LBB207_1030
; %bb.1029:
	s_wait_xcnt 0x0
	v_bfe_i32 v2, v4, 0, 16
	s_mov_b32 s5, 0
	global_store_b32 v[0:1], v2, off
.LBB207_1030:
	s_and_not1_b32 vcc_lo, exec_lo, s5
	s_cbranch_vccnz .LBB207_1032
; %bb.1031:
	global_store_b16 v[0:1], v4, off
.LBB207_1032:
	s_mov_b32 s5, 0
.LBB207_1033:
	s_delay_alu instid0(SALU_CYCLE_1)
	s_and_not1_b32 vcc_lo, exec_lo, s5
	s_cbranch_vccnz .LBB207_1041
; %bb.1034:
	s_wait_xcnt 0x0
	v_bfe_i32 v2, v4, 0, 16
	v_mov_b32_e32 v5, 0x80
	s_mov_b32 s5, exec_lo
	s_delay_alu instid0(VALU_DEP_2) | instskip(NEXT) | instid1(VALU_DEP_1)
	v_cvt_f32_i32_e32 v2, v2
	v_and_b32_e32 v3, 0x7fffffff, v2
	s_delay_alu instid0(VALU_DEP_1)
	v_cmpx_gt_u32_e32 0x43800000, v3
	s_cbranch_execz .LBB207_1040
; %bb.1035:
	v_cmp_lt_u32_e32 vcc_lo, 0x3bffffff, v3
	s_mov_b32 s8, 0
                                        ; implicit-def: $vgpr3
	s_and_saveexec_b32 s9, vcc_lo
	s_delay_alu instid0(SALU_CYCLE_1)
	s_xor_b32 s9, exec_lo, s9
	s_cbranch_execz .LBB207_1198
; %bb.1036:
	v_bfe_u32 v3, v2, 20, 1
	s_mov_b32 s8, exec_lo
	s_delay_alu instid0(VALU_DEP_1) | instskip(NEXT) | instid1(VALU_DEP_1)
	v_add3_u32 v3, v2, v3, 0x487ffff
	v_lshrrev_b32_e32 v3, 20, v3
	s_and_not1_saveexec_b32 s9, s9
	s_cbranch_execnz .LBB207_1199
.LBB207_1037:
	s_or_b32 exec_lo, exec_lo, s9
	v_mov_b32_e32 v5, 0
	s_and_saveexec_b32 s9, s8
.LBB207_1038:
	v_lshrrev_b32_e32 v2, 24, v2
	s_delay_alu instid0(VALU_DEP_1)
	v_and_or_b32 v5, 0x80, v2, v3
.LBB207_1039:
	s_or_b32 exec_lo, exec_lo, s9
.LBB207_1040:
	s_delay_alu instid0(SALU_CYCLE_1)
	s_or_b32 exec_lo, exec_lo, s5
	global_store_b8 v[0:1], v5, off
.LBB207_1041:
	s_mov_b32 s5, 0
.LBB207_1042:
	s_delay_alu instid0(SALU_CYCLE_1)
	s_and_b32 vcc_lo, exec_lo, s5
	s_mov_b32 s5, 0
	s_cbranch_vccz .LBB207_1082
; %bb.1043:
	s_cmp_gt_i32 s4, 22
	s_mov_b32 s8, -1
	s_cbranch_scc0 .LBB207_1075
; %bb.1044:
	s_cmp_lt_i32 s4, 24
	s_cbranch_scc1 .LBB207_1064
; %bb.1045:
	s_cmp_gt_i32 s4, 24
	s_cbranch_scc0 .LBB207_1053
; %bb.1046:
	s_wait_xcnt 0x0
	v_bfe_i32 v2, v4, 0, 16
	v_mov_b32_e32 v5, 0x80
	s_mov_b32 s8, exec_lo
	s_delay_alu instid0(VALU_DEP_2) | instskip(NEXT) | instid1(VALU_DEP_1)
	v_cvt_f32_i32_e32 v2, v2
	v_and_b32_e32 v3, 0x7fffffff, v2
	s_delay_alu instid0(VALU_DEP_1)
	v_cmpx_gt_u32_e32 0x47800000, v3
	s_cbranch_execz .LBB207_1052
; %bb.1047:
	v_cmp_lt_u32_e32 vcc_lo, 0x37ffffff, v3
	s_mov_b32 s9, 0
                                        ; implicit-def: $vgpr3
	s_and_saveexec_b32 s10, vcc_lo
	s_delay_alu instid0(SALU_CYCLE_1)
	s_xor_b32 s10, exec_lo, s10
	s_cbranch_execz .LBB207_1329
; %bb.1048:
	v_bfe_u32 v3, v2, 21, 1
	s_mov_b32 s9, exec_lo
	s_delay_alu instid0(VALU_DEP_1) | instskip(NEXT) | instid1(VALU_DEP_1)
	v_add3_u32 v3, v2, v3, 0x88fffff
	v_lshrrev_b32_e32 v3, 21, v3
	s_and_not1_saveexec_b32 s10, s10
	s_cbranch_execnz .LBB207_1330
.LBB207_1049:
	s_or_b32 exec_lo, exec_lo, s10
	v_mov_b32_e32 v5, 0
	s_and_saveexec_b32 s10, s9
.LBB207_1050:
	v_lshrrev_b32_e32 v2, 24, v2
	s_delay_alu instid0(VALU_DEP_1)
	v_and_or_b32 v5, 0x80, v2, v3
.LBB207_1051:
	s_or_b32 exec_lo, exec_lo, s10
.LBB207_1052:
	s_delay_alu instid0(SALU_CYCLE_1)
	s_or_b32 exec_lo, exec_lo, s8
	s_mov_b32 s8, 0
	global_store_b8 v[0:1], v5, off
.LBB207_1053:
	s_and_b32 vcc_lo, exec_lo, s8
	s_cbranch_vccz .LBB207_1063
; %bb.1054:
	s_wait_xcnt 0x0
	v_bfe_i32 v2, v4, 0, 16
	s_mov_b32 s8, exec_lo
                                        ; implicit-def: $vgpr3
	s_delay_alu instid0(VALU_DEP_1) | instskip(NEXT) | instid1(VALU_DEP_1)
	v_cvt_f32_i32_e32 v2, v2
	v_and_b32_e32 v5, 0x7fffffff, v2
	s_delay_alu instid0(VALU_DEP_1)
	v_cmpx_gt_u32_e32 0x43f00000, v5
	s_xor_b32 s8, exec_lo, s8
	s_cbranch_execz .LBB207_1060
; %bb.1055:
	s_mov_b32 s9, exec_lo
                                        ; implicit-def: $vgpr3
	v_cmpx_lt_u32_e32 0x3c7fffff, v5
	s_xor_b32 s9, exec_lo, s9
; %bb.1056:
	v_bfe_u32 v3, v2, 20, 1
	s_delay_alu instid0(VALU_DEP_1) | instskip(NEXT) | instid1(VALU_DEP_1)
	v_add3_u32 v3, v2, v3, 0x407ffff
	v_and_b32_e32 v5, 0xff00000, v3
	v_lshrrev_b32_e32 v3, 20, v3
	s_delay_alu instid0(VALU_DEP_2) | instskip(NEXT) | instid1(VALU_DEP_2)
	v_cmp_ne_u32_e32 vcc_lo, 0x7f00000, v5
	v_cndmask_b32_e32 v3, 0x7e, v3, vcc_lo
; %bb.1057:
	s_and_not1_saveexec_b32 s9, s9
; %bb.1058:
	v_add_f32_e64 v3, 0x46800000, |v2|
; %bb.1059:
	s_or_b32 exec_lo, exec_lo, s9
                                        ; implicit-def: $vgpr5
.LBB207_1060:
	s_and_not1_saveexec_b32 s8, s8
; %bb.1061:
	v_mov_b32_e32 v3, 0x7f
	v_cmp_lt_u32_e32 vcc_lo, 0x7f800000, v5
	s_delay_alu instid0(VALU_DEP_2)
	v_cndmask_b32_e32 v3, 0x7e, v3, vcc_lo
; %bb.1062:
	s_or_b32 exec_lo, exec_lo, s8
	v_lshrrev_b32_e32 v2, 24, v2
	s_delay_alu instid0(VALU_DEP_1)
	v_and_or_b32 v2, 0x80, v2, v3
	global_store_b8 v[0:1], v2, off
.LBB207_1063:
	s_mov_b32 s8, 0
.LBB207_1064:
	s_delay_alu instid0(SALU_CYCLE_1)
	s_and_not1_b32 vcc_lo, exec_lo, s8
	s_cbranch_vccnz .LBB207_1074
; %bb.1065:
	s_wait_xcnt 0x0
	v_bfe_i32 v2, v4, 0, 16
	s_mov_b32 s8, exec_lo
                                        ; implicit-def: $vgpr3
	s_delay_alu instid0(VALU_DEP_1) | instskip(NEXT) | instid1(VALU_DEP_1)
	v_cvt_f32_i32_e32 v2, v2
	v_and_b32_e32 v5, 0x7fffffff, v2
	s_delay_alu instid0(VALU_DEP_1)
	v_cmpx_gt_u32_e32 0x47800000, v5
	s_xor_b32 s8, exec_lo, s8
	s_cbranch_execz .LBB207_1071
; %bb.1066:
	s_mov_b32 s9, exec_lo
                                        ; implicit-def: $vgpr3
	v_cmpx_lt_u32_e32 0x387fffff, v5
	s_xor_b32 s9, exec_lo, s9
; %bb.1067:
	v_bfe_u32 v3, v2, 21, 1
	s_delay_alu instid0(VALU_DEP_1) | instskip(NEXT) | instid1(VALU_DEP_1)
	v_add3_u32 v3, v2, v3, 0x80fffff
	v_lshrrev_b32_e32 v3, 21, v3
; %bb.1068:
	s_and_not1_saveexec_b32 s9, s9
; %bb.1069:
	v_add_f32_e64 v3, 0x43000000, |v2|
; %bb.1070:
	s_or_b32 exec_lo, exec_lo, s9
                                        ; implicit-def: $vgpr5
.LBB207_1071:
	s_and_not1_saveexec_b32 s8, s8
; %bb.1072:
	v_mov_b32_e32 v3, 0x7f
	v_cmp_lt_u32_e32 vcc_lo, 0x7f800000, v5
	s_delay_alu instid0(VALU_DEP_2)
	v_cndmask_b32_e32 v3, 0x7c, v3, vcc_lo
; %bb.1073:
	s_or_b32 exec_lo, exec_lo, s8
	v_lshrrev_b32_e32 v2, 24, v2
	s_delay_alu instid0(VALU_DEP_1)
	v_and_or_b32 v2, 0x80, v2, v3
	global_store_b8 v[0:1], v2, off
.LBB207_1074:
	s_mov_b32 s8, 0
.LBB207_1075:
	s_delay_alu instid0(SALU_CYCLE_1)
	s_and_not1_b32 vcc_lo, exec_lo, s8
	s_mov_b32 s9, 0
	s_cbranch_vccnz .LBB207_1083
; %bb.1076:
	s_cmp_gt_i32 s4, 14
	s_mov_b32 s8, -1
	s_cbranch_scc0 .LBB207_1080
; %bb.1077:
	s_cmp_eq_u32 s4, 15
	s_mov_b32 s0, -1
	s_cbranch_scc0 .LBB207_1079
; %bb.1078:
	s_wait_xcnt 0x0
	v_bfe_i32 v2, v4, 0, 16
	s_mov_b32 s0, 0
	s_delay_alu instid0(VALU_DEP_1) | instskip(NEXT) | instid1(VALU_DEP_1)
	v_cvt_f32_i32_e32 v2, v2
	v_bfe_u32 v3, v2, 16, 1
	s_delay_alu instid0(VALU_DEP_1)
	v_add3_u32 v2, v2, v3, 0x7fff
	global_store_d16_hi_b16 v[0:1], v2, off
.LBB207_1079:
	s_mov_b32 s8, 0
.LBB207_1080:
	s_delay_alu instid0(SALU_CYCLE_1)
	s_and_b32 vcc_lo, exec_lo, s8
	s_cbranch_vccz .LBB207_1083
; %bb.1081:
	s_cmp_lg_u32 s4, 11
	s_mov_b32 s9, -1
	s_cselect_b32 s4, -1, 0
	s_and_not1_b32 s0, s0, exec_lo
	s_and_b32 s4, s4, exec_lo
	s_delay_alu instid0(SALU_CYCLE_1)
	s_or_b32 s0, s0, s4
	s_branch .LBB207_1083
.LBB207_1082:
	s_mov_b32 s9, 0
.LBB207_1083:
	s_and_not1_b32 s4, s42, exec_lo
	s_and_b32 s0, s0, exec_lo
	s_and_b32 s8, s5, exec_lo
	;; [unrolled: 1-line block ×3, first 2 shown]
	s_or_b32 s42, s4, s0
	s_wait_xcnt 0x0
	s_or_b32 exec_lo, exec_lo, s7
	s_and_saveexec_b32 s0, s42
	s_cbranch_execz .LBB207_998
.LBB207_1084:
	s_or_b32 s1, s1, exec_lo
	s_and_not1_b32 s10, s10, exec_lo
	s_trap 2
	s_or_b32 exec_lo, exec_lo, s0
	s_and_saveexec_b32 s0, s10
	s_delay_alu instid0(SALU_CYCLE_1)
	s_xor_b32 s0, exec_lo, s0
	s_cbranch_execnz .LBB207_999
.LBB207_1085:
	s_or_b32 exec_lo, exec_lo, s0
	s_and_saveexec_b32 s0, s8
	s_delay_alu instid0(SALU_CYCLE_1)
	s_xor_b32 s0, exec_lo, s0
	s_cbranch_execz .LBB207_1123
.LBB207_1086:
	s_sext_i32_i16 s5, s6
	s_mov_b32 s4, -1
	s_cmp_lt_i32 s5, 5
	s_cbranch_scc1 .LBB207_1107
; %bb.1087:
	s_cmp_lt_i32 s5, 8
	s_cbranch_scc1 .LBB207_1097
; %bb.1088:
	;; [unrolled: 3-line block ×3, first 2 shown]
	s_cmp_gt_i32 s5, 9
	s_cbranch_scc0 .LBB207_1091
; %bb.1090:
	v_bfe_i32 v2, v4, 0, 16
	v_mov_b32_e32 v8, 0
	s_mov_b32 s4, 0
	s_wait_loadcnt 0x0
	s_delay_alu instid0(VALU_DEP_2) | instskip(NEXT) | instid1(VALU_DEP_2)
	v_cvt_f64_i32_e32 v[6:7], v2
	v_mov_b32_e32 v9, v8
	global_store_b128 v[0:1], v[6:9], off
.LBB207_1091:
	s_and_not1_b32 vcc_lo, exec_lo, s4
	s_cbranch_vccnz .LBB207_1093
; %bb.1092:
	v_bfe_i32 v2, v4, 0, 16
	v_mov_b32_e32 v3, 0
	s_delay_alu instid0(VALU_DEP_2)
	v_cvt_f32_i32_e32 v2, v2
	global_store_b64 v[0:1], v[2:3], off
.LBB207_1093:
	s_mov_b32 s4, 0
.LBB207_1094:
	s_delay_alu instid0(SALU_CYCLE_1)
	s_and_not1_b32 vcc_lo, exec_lo, s4
	s_cbranch_vccnz .LBB207_1096
; %bb.1095:
	s_wait_xcnt 0x0
	v_cvt_f16_i16_e32 v2, v4
	s_delay_alu instid0(VALU_DEP_1)
	v_and_b32_e32 v2, 0xffff, v2
	global_store_b32 v[0:1], v2, off
.LBB207_1096:
	s_mov_b32 s4, 0
.LBB207_1097:
	s_delay_alu instid0(SALU_CYCLE_1)
	s_and_not1_b32 vcc_lo, exec_lo, s4
	s_cbranch_vccnz .LBB207_1106
; %bb.1098:
	s_sext_i32_i16 s5, s6
	s_mov_b32 s4, -1
	s_cmp_lt_i32 s5, 6
	s_cbranch_scc1 .LBB207_1104
; %bb.1099:
	s_cmp_gt_i32 s5, 6
	s_cbranch_scc0 .LBB207_1101
; %bb.1100:
	s_wait_xcnt 0x0
	v_bfe_i32 v2, v4, 0, 16
	s_mov_b32 s4, 0
	s_delay_alu instid0(VALU_DEP_1)
	v_cvt_f64_i32_e32 v[2:3], v2
	global_store_b64 v[0:1], v[2:3], off
.LBB207_1101:
	s_and_not1_b32 vcc_lo, exec_lo, s4
	s_cbranch_vccnz .LBB207_1103
; %bb.1102:
	s_wait_xcnt 0x0
	v_bfe_i32 v2, v4, 0, 16
	s_delay_alu instid0(VALU_DEP_1)
	v_cvt_f32_i32_e32 v2, v2
	global_store_b32 v[0:1], v2, off
.LBB207_1103:
	s_mov_b32 s4, 0
.LBB207_1104:
	s_delay_alu instid0(SALU_CYCLE_1)
	s_and_not1_b32 vcc_lo, exec_lo, s4
	s_cbranch_vccnz .LBB207_1106
; %bb.1105:
	s_wait_xcnt 0x0
	v_cvt_f16_i16_e32 v2, v4
	global_store_b16 v[0:1], v2, off
.LBB207_1106:
	s_mov_b32 s4, 0
.LBB207_1107:
	s_delay_alu instid0(SALU_CYCLE_1)
	s_and_not1_b32 vcc_lo, exec_lo, s4
	s_cbranch_vccnz .LBB207_1123
; %bb.1108:
	s_sext_i32_i16 s5, s6
	s_mov_b32 s4, -1
	s_cmp_lt_i32 s5, 2
	s_cbranch_scc1 .LBB207_1118
; %bb.1109:
	s_cmp_lt_i32 s5, 3
	s_cbranch_scc1 .LBB207_1115
; %bb.1110:
	s_cmp_gt_i32 s5, 3
	s_cbranch_scc0 .LBB207_1112
; %bb.1111:
	s_wait_xcnt 0x0
	v_bfe_i32 v2, v4, 0, 16
	s_mov_b32 s4, 0
	s_delay_alu instid0(VALU_DEP_1)
	v_ashrrev_i32_e32 v3, 31, v2
	global_store_b64 v[0:1], v[2:3], off
.LBB207_1112:
	s_and_not1_b32 vcc_lo, exec_lo, s4
	s_cbranch_vccnz .LBB207_1114
; %bb.1113:
	s_wait_xcnt 0x0
	v_bfe_i32 v2, v4, 0, 16
	global_store_b32 v[0:1], v2, off
.LBB207_1114:
	s_mov_b32 s4, 0
.LBB207_1115:
	s_delay_alu instid0(SALU_CYCLE_1)
	s_and_not1_b32 vcc_lo, exec_lo, s4
	s_cbranch_vccnz .LBB207_1117
; %bb.1116:
	global_store_b16 v[0:1], v4, off
.LBB207_1117:
	s_mov_b32 s4, 0
.LBB207_1118:
	s_delay_alu instid0(SALU_CYCLE_1)
	s_and_not1_b32 vcc_lo, exec_lo, s4
	s_cbranch_vccnz .LBB207_1123
; %bb.1119:
	s_sext_i32_i16 s4, s6
	s_delay_alu instid0(SALU_CYCLE_1)
	s_cmp_gt_i32 s4, 0
	s_mov_b32 s4, -1
	s_cbranch_scc0 .LBB207_1121
; %bb.1120:
	s_mov_b32 s4, 0
	global_store_b8 v[0:1], v4, off
.LBB207_1121:
	s_and_not1_b32 vcc_lo, exec_lo, s4
	s_cbranch_vccnz .LBB207_1123
; %bb.1122:
	global_store_b8 v[0:1], v4, off
.LBB207_1123:
	s_wait_xcnt 0x0
	s_or_b32 exec_lo, exec_lo, s0
	s_delay_alu instid0(SALU_CYCLE_1)
	s_and_b32 s8, s1, exec_lo
                                        ; implicit-def: $vgpr9
                                        ; implicit-def: $vgpr0
.LBB207_1124:
	s_or_saveexec_b32 s9, s36
	s_mov_b32 s0, 0
                                        ; implicit-def: $vgpr2_vgpr3
                                        ; implicit-def: $sgpr1
                                        ; implicit-def: $vgpr11
	s_xor_b32 exec_lo, exec_lo, s9
	s_cbranch_execz .LBB207_1721
; %bb.1125:
	v_cndmask_b32_e64 v1, 0, 1, s35
	s_and_not1_b32 vcc_lo, exec_lo, s35
	s_cbranch_vccnz .LBB207_1131
; %bb.1126:
	s_cmp_lg_u32 s19, 0
	s_mov_b32 s10, 0
	s_cbranch_scc0 .LBB207_1132
; %bb.1127:
	s_min_u32 s1, s33, 15
	s_delay_alu instid0(SALU_CYCLE_1)
	s_add_co_i32 s1, s1, 1
	s_cmp_eq_u32 s33, 2
	s_cbranch_scc1 .LBB207_1133
; %bb.1128:
	s_wait_loadcnt 0x0
	v_dual_mov_b32 v6, 0 :: v_dual_mov_b32 v14, 0
	v_mov_b32_e32 v2, v0
	s_and_b32 s0, s1, 28
	s_add_nc_u64 s[4:5], s[2:3], 0xc4
	s_mov_b32 s11, 0
	s_mov_b64 s[6:7], s[2:3]
.LBB207_1129:                           ; =>This Inner Loop Header: Depth=1
	s_clause 0x1
	s_load_b256 s[20:27], s[6:7], 0x4
	s_load_b128 s[12:15], s[6:7], 0x24
	s_load_b256 s[36:43], s[4:5], 0x0
	s_add_co_i32 s11, s11, 4
	s_wait_xcnt 0x0
	s_add_nc_u64 s[6:7], s[6:7], 48
	s_cmp_lg_u32 s0, s11
	s_add_nc_u64 s[4:5], s[4:5], 32
	s_wait_kmcnt 0x0
	v_mul_hi_u32 v3, s21, v2
	s_delay_alu instid0(VALU_DEP_1) | instskip(NEXT) | instid1(VALU_DEP_1)
	v_add_nc_u32_e32 v3, v2, v3
	v_lshrrev_b32_e32 v3, s22, v3
	s_delay_alu instid0(VALU_DEP_1) | instskip(NEXT) | instid1(VALU_DEP_1)
	v_mul_hi_u32 v4, s24, v3
	v_add_nc_u32_e32 v4, v3, v4
	s_delay_alu instid0(VALU_DEP_1) | instskip(NEXT) | instid1(VALU_DEP_1)
	v_lshrrev_b32_e32 v4, s25, v4
	v_mul_hi_u32 v5, s27, v4
	s_delay_alu instid0(VALU_DEP_1) | instskip(SKIP_1) | instid1(VALU_DEP_1)
	v_add_nc_u32_e32 v5, v4, v5
	v_mul_lo_u32 v7, v3, s20
	v_sub_nc_u32_e32 v2, v2, v7
	v_mul_lo_u32 v7, v4, s23
	s_delay_alu instid0(VALU_DEP_4) | instskip(NEXT) | instid1(VALU_DEP_3)
	v_lshrrev_b32_e32 v5, s12, v5
	v_mad_u32 v10, v2, s37, v14
	v_mad_u32 v2, v2, s36, v6
	s_delay_alu instid0(VALU_DEP_4) | instskip(NEXT) | instid1(VALU_DEP_4)
	v_sub_nc_u32_e32 v3, v3, v7
	v_mul_hi_u32 v8, s14, v5
	v_mul_lo_u32 v6, v5, s26
	s_delay_alu instid0(VALU_DEP_1) | instskip(NEXT) | instid1(VALU_DEP_4)
	v_dual_add_nc_u32 v7, v5, v8 :: v_dual_sub_nc_u32 v4, v4, v6
	v_mad_u32 v8, v3, s39, v10
	v_mad_u32 v3, v3, s38, v2
	s_delay_alu instid0(VALU_DEP_3) | instskip(NEXT) | instid1(VALU_DEP_1)
	v_lshrrev_b32_e32 v2, s15, v7
	v_mul_lo_u32 v6, v2, s13
	s_delay_alu instid0(VALU_DEP_4) | instskip(NEXT) | instid1(VALU_DEP_4)
	v_mad_u32 v7, v4, s41, v8
	v_mad_u32 v3, v4, s40, v3
	s_delay_alu instid0(VALU_DEP_3) | instskip(NEXT) | instid1(VALU_DEP_1)
	v_sub_nc_u32_e32 v4, v5, v6
	v_mad_u32 v14, v4, s43, v7
	s_delay_alu instid0(VALU_DEP_3)
	v_mad_u32 v6, v4, s42, v3
	s_cbranch_scc1 .LBB207_1129
; %bb.1130:
	s_delay_alu instid0(VALU_DEP_2)
	v_mov_b32_e32 v7, v14
	s_and_b32 s6, s1, 3
	s_mov_b32 s1, 0
	s_cmp_eq_u32 s6, 0
	s_cbranch_scc0 .LBB207_1134
	s_branch .LBB207_1137
.LBB207_1131:
	s_mov_b32 s10, -1
                                        ; implicit-def: $vgpr14
                                        ; implicit-def: $vgpr6
	s_branch .LBB207_1137
.LBB207_1132:
	s_wait_loadcnt 0x0
	v_dual_mov_b32 v14, 0 :: v_dual_mov_b32 v6, 0
	s_branch .LBB207_1137
.LBB207_1133:
	s_wait_loadcnt 0x0
	v_mov_b64_e32 v[6:7], 0
	v_mov_b32_e32 v2, v0
                                        ; implicit-def: $vgpr14
	s_and_b32 s6, s1, 3
	s_mov_b32 s1, 0
	s_cmp_eq_u32 s6, 0
	s_cbranch_scc1 .LBB207_1137
.LBB207_1134:
	s_lshl_b32 s4, s0, 3
	s_mov_b32 s5, s1
	s_mul_u64 s[12:13], s[0:1], 12
	s_add_nc_u64 s[4:5], s[2:3], s[4:5]
	s_delay_alu instid0(SALU_CYCLE_1)
	s_add_nc_u64 s[0:1], s[4:5], 0xc4
	s_add_nc_u64 s[4:5], s[2:3], s[12:13]
.LBB207_1135:                           ; =>This Inner Loop Header: Depth=1
	s_load_b96 s[12:14], s[4:5], 0x4
	s_add_co_i32 s6, s6, -1
	s_wait_xcnt 0x0
	s_add_nc_u64 s[4:5], s[4:5], 12
	s_cmp_lg_u32 s6, 0
	s_wait_kmcnt 0x0
	v_mul_hi_u32 v3, s13, v2
	s_delay_alu instid0(VALU_DEP_1) | instskip(NEXT) | instid1(VALU_DEP_1)
	v_add_nc_u32_e32 v3, v2, v3
	v_lshrrev_b32_e32 v3, s14, v3
	s_load_b64 s[14:15], s[0:1], 0x0
	s_wait_xcnt 0x0
	s_add_nc_u64 s[0:1], s[0:1], 8
	s_delay_alu instid0(VALU_DEP_1) | instskip(NEXT) | instid1(VALU_DEP_1)
	v_mul_lo_u32 v4, v3, s12
	v_sub_nc_u32_e32 v2, v2, v4
	s_wait_kmcnt 0x0
	s_delay_alu instid0(VALU_DEP_1)
	v_mad_u32 v7, v2, s15, v7
	v_mad_u32 v6, v2, s14, v6
	v_mov_b32_e32 v2, v3
	s_cbranch_scc1 .LBB207_1135
; %bb.1136:
	s_delay_alu instid0(VALU_DEP_3)
	v_mov_b32_e32 v14, v7
.LBB207_1137:
	s_and_not1_b32 vcc_lo, exec_lo, s10
	s_cbranch_vccnz .LBB207_1140
; %bb.1138:
	s_clause 0x1
	s_load_b96 s[4:6], s[2:3], 0x4
	s_load_b64 s[0:1], s[2:3], 0xc4
	s_cmp_lt_u32 s19, 2
	s_wait_kmcnt 0x0
	v_mul_hi_u32 v2, s5, v0
	s_delay_alu instid0(VALU_DEP_1) | instskip(NEXT) | instid1(VALU_DEP_1)
	v_add_nc_u32_e32 v2, v0, v2
	v_lshrrev_b32_e32 v2, s6, v2
	s_delay_alu instid0(VALU_DEP_1) | instskip(NEXT) | instid1(VALU_DEP_1)
	v_mul_lo_u32 v3, v2, s4
	v_sub_nc_u32_e32 v3, v0, v3
	s_delay_alu instid0(VALU_DEP_1)
	v_mul_lo_u32 v14, v3, s1
	s_wait_loadcnt 0x0
	v_mul_lo_u32 v6, v3, s0
	s_cbranch_scc1 .LBB207_1140
; %bb.1139:
	s_clause 0x1
	s_load_b96 s[4:6], s[2:3], 0x10
	s_load_b64 s[0:1], s[2:3], 0xcc
	s_wait_kmcnt 0x0
	v_mul_hi_u32 v3, s5, v2
	s_delay_alu instid0(VALU_DEP_1) | instskip(NEXT) | instid1(VALU_DEP_1)
	v_add_nc_u32_e32 v3, v2, v3
	v_lshrrev_b32_e32 v3, s6, v3
	s_delay_alu instid0(VALU_DEP_1) | instskip(NEXT) | instid1(VALU_DEP_1)
	v_mul_lo_u32 v3, v3, s4
	v_sub_nc_u32_e32 v2, v2, v3
	s_delay_alu instid0(VALU_DEP_1)
	v_mad_u32 v6, v2, s0, v6
	v_mad_u32 v14, v2, s1, v14
.LBB207_1140:
	v_cmp_ne_u32_e32 vcc_lo, 1, v1
	v_add_nc_u32_e32 v2, 0x80, v0
	s_cbranch_vccnz .LBB207_1146
; %bb.1141:
	s_cmp_lg_u32 s19, 0
	s_mov_b32 s10, 0
	s_cbranch_scc0 .LBB207_1147
; %bb.1142:
	s_min_u32 s1, s33, 15
	s_delay_alu instid0(SALU_CYCLE_1)
	s_add_co_i32 s1, s1, 1
	s_cmp_eq_u32 s33, 2
	s_cbranch_scc1 .LBB207_1148
; %bb.1143:
	v_dual_mov_b32 v4, 0 :: v_dual_mov_b32 v12, 0
	v_mov_b32_e32 v3, v2
	s_and_b32 s0, s1, 28
	s_add_nc_u64 s[4:5], s[2:3], 0xc4
	s_mov_b32 s11, 0
	s_mov_b64 s[6:7], s[2:3]
.LBB207_1144:                           ; =>This Inner Loop Header: Depth=1
	s_clause 0x1
	s_load_b256 s[20:27], s[6:7], 0x4
	s_load_b128 s[12:15], s[6:7], 0x24
	s_load_b256 s[36:43], s[4:5], 0x0
	s_add_co_i32 s11, s11, 4
	s_wait_xcnt 0x0
	s_add_nc_u64 s[6:7], s[6:7], 48
	s_cmp_lg_u32 s0, s11
	s_add_nc_u64 s[4:5], s[4:5], 32
	s_wait_kmcnt 0x0
	v_mul_hi_u32 v5, s21, v3
	s_delay_alu instid0(VALU_DEP_1) | instskip(NEXT) | instid1(VALU_DEP_1)
	v_add_nc_u32_e32 v5, v3, v5
	v_lshrrev_b32_e32 v5, s22, v5
	s_wait_loadcnt 0x0
	s_delay_alu instid0(VALU_DEP_1) | instskip(NEXT) | instid1(VALU_DEP_1)
	v_mul_hi_u32 v7, s24, v5
	v_add_nc_u32_e32 v7, v5, v7
	s_delay_alu instid0(VALU_DEP_1) | instskip(NEXT) | instid1(VALU_DEP_1)
	v_lshrrev_b32_e32 v7, s25, v7
	v_mul_hi_u32 v8, s27, v7
	s_delay_alu instid0(VALU_DEP_1) | instskip(SKIP_1) | instid1(VALU_DEP_1)
	v_add_nc_u32_e32 v8, v7, v8
	v_mul_lo_u32 v10, v5, s20
	v_sub_nc_u32_e32 v3, v3, v10
	v_mul_lo_u32 v10, v7, s23
	s_delay_alu instid0(VALU_DEP_4) | instskip(NEXT) | instid1(VALU_DEP_3)
	v_lshrrev_b32_e32 v8, s12, v8
	v_mad_u32 v12, v3, s37, v12
	v_mad_u32 v3, v3, s36, v4
	s_delay_alu instid0(VALU_DEP_4) | instskip(NEXT) | instid1(VALU_DEP_4)
	v_sub_nc_u32_e32 v4, v5, v10
	v_mul_hi_u32 v11, s14, v8
	v_mul_lo_u32 v5, v8, s26
	s_delay_alu instid0(VALU_DEP_1) | instskip(NEXT) | instid1(VALU_DEP_4)
	v_dual_add_nc_u32 v10, v8, v11 :: v_dual_sub_nc_u32 v5, v7, v5
	v_mad_u32 v11, v4, s39, v12
	v_mad_u32 v4, v4, s38, v3
	s_delay_alu instid0(VALU_DEP_3) | instskip(NEXT) | instid1(VALU_DEP_1)
	v_lshrrev_b32_e32 v3, s15, v10
	v_mul_lo_u32 v7, v3, s13
	s_delay_alu instid0(VALU_DEP_4) | instskip(NEXT) | instid1(VALU_DEP_4)
	v_mad_u32 v10, v5, s41, v11
	v_mad_u32 v4, v5, s40, v4
	s_delay_alu instid0(VALU_DEP_3) | instskip(NEXT) | instid1(VALU_DEP_1)
	v_sub_nc_u32_e32 v5, v8, v7
	v_mad_u32 v12, v5, s43, v10
	s_delay_alu instid0(VALU_DEP_3)
	v_mad_u32 v4, v5, s42, v4
	s_cbranch_scc1 .LBB207_1144
; %bb.1145:
	s_delay_alu instid0(VALU_DEP_2)
	v_mov_b32_e32 v5, v12
	s_and_b32 s6, s1, 3
	s_mov_b32 s1, 0
	s_cmp_eq_u32 s6, 0
	s_cbranch_scc0 .LBB207_1149
	s_branch .LBB207_1152
.LBB207_1146:
	s_mov_b32 s10, -1
                                        ; implicit-def: $vgpr12
                                        ; implicit-def: $vgpr4
	s_branch .LBB207_1152
.LBB207_1147:
	v_dual_mov_b32 v12, 0 :: v_dual_mov_b32 v4, 0
	s_branch .LBB207_1152
.LBB207_1148:
	v_mov_b64_e32 v[4:5], 0
	v_mov_b32_e32 v3, v2
	s_mov_b32 s0, 0
                                        ; implicit-def: $vgpr12
	s_and_b32 s6, s1, 3
	s_mov_b32 s1, 0
	s_cmp_eq_u32 s6, 0
	s_cbranch_scc1 .LBB207_1152
.LBB207_1149:
	s_lshl_b32 s4, s0, 3
	s_mov_b32 s5, s1
	s_mul_u64 s[12:13], s[0:1], 12
	s_add_nc_u64 s[4:5], s[2:3], s[4:5]
	s_delay_alu instid0(SALU_CYCLE_1)
	s_add_nc_u64 s[0:1], s[4:5], 0xc4
	s_add_nc_u64 s[4:5], s[2:3], s[12:13]
.LBB207_1150:                           ; =>This Inner Loop Header: Depth=1
	s_load_b96 s[12:14], s[4:5], 0x4
	s_add_co_i32 s6, s6, -1
	s_wait_xcnt 0x0
	s_add_nc_u64 s[4:5], s[4:5], 12
	s_cmp_lg_u32 s6, 0
	s_wait_loadcnt 0x0
	s_wait_kmcnt 0x0
	v_mul_hi_u32 v7, s13, v3
	s_delay_alu instid0(VALU_DEP_1) | instskip(NEXT) | instid1(VALU_DEP_1)
	v_add_nc_u32_e32 v7, v3, v7
	v_lshrrev_b32_e32 v7, s14, v7
	s_load_b64 s[14:15], s[0:1], 0x0
	s_wait_xcnt 0x0
	s_add_nc_u64 s[0:1], s[0:1], 8
	s_delay_alu instid0(VALU_DEP_1) | instskip(NEXT) | instid1(VALU_DEP_1)
	v_mul_lo_u32 v8, v7, s12
	v_sub_nc_u32_e32 v3, v3, v8
	s_wait_kmcnt 0x0
	s_delay_alu instid0(VALU_DEP_1)
	v_mad_u32 v5, v3, s15, v5
	v_mad_u32 v4, v3, s14, v4
	v_mov_b32_e32 v3, v7
	s_cbranch_scc1 .LBB207_1150
; %bb.1151:
	s_delay_alu instid0(VALU_DEP_3)
	v_mov_b32_e32 v12, v5
.LBB207_1152:
	s_and_not1_b32 vcc_lo, exec_lo, s10
	s_cbranch_vccnz .LBB207_1155
; %bb.1153:
	s_clause 0x1
	s_load_b96 s[4:6], s[2:3], 0x4
	s_load_b64 s[0:1], s[2:3], 0xc4
	s_cmp_lt_u32 s19, 2
	s_wait_kmcnt 0x0
	v_mul_hi_u32 v3, s5, v2
	s_delay_alu instid0(VALU_DEP_1) | instskip(NEXT) | instid1(VALU_DEP_1)
	v_add_nc_u32_e32 v3, v2, v3
	v_lshrrev_b32_e32 v3, s6, v3
	s_delay_alu instid0(VALU_DEP_1) | instskip(NEXT) | instid1(VALU_DEP_1)
	v_mul_lo_u32 v4, v3, s4
	v_sub_nc_u32_e32 v2, v2, v4
	s_delay_alu instid0(VALU_DEP_1)
	v_mul_lo_u32 v12, v2, s1
	v_mul_lo_u32 v4, v2, s0
	s_cbranch_scc1 .LBB207_1155
; %bb.1154:
	s_clause 0x1
	s_load_b96 s[4:6], s[2:3], 0x10
	s_load_b64 s[0:1], s[2:3], 0xcc
	s_wait_kmcnt 0x0
	v_mul_hi_u32 v2, s5, v3
	s_delay_alu instid0(VALU_DEP_1) | instskip(NEXT) | instid1(VALU_DEP_1)
	v_add_nc_u32_e32 v2, v3, v2
	v_lshrrev_b32_e32 v2, s6, v2
	s_delay_alu instid0(VALU_DEP_1) | instskip(NEXT) | instid1(VALU_DEP_1)
	v_mul_lo_u32 v2, v2, s4
	v_sub_nc_u32_e32 v2, v3, v2
	s_delay_alu instid0(VALU_DEP_1)
	v_mad_u32 v4, v2, s0, v4
	v_mad_u32 v12, v2, s1, v12
.LBB207_1155:
	v_cmp_ne_u32_e32 vcc_lo, 1, v1
	v_add_nc_u32_e32 v0, 0x100, v0
	s_cbranch_vccnz .LBB207_1161
; %bb.1156:
	s_cmp_lg_u32 s19, 0
	s_mov_b32 s10, 0
	s_cbranch_scc0 .LBB207_1162
; %bb.1157:
	s_min_u32 s1, s33, 15
	s_delay_alu instid0(SALU_CYCLE_1)
	s_add_co_i32 s1, s1, 1
	s_cmp_eq_u32 s33, 2
	s_cbranch_scc1 .LBB207_1163
; %bb.1158:
	v_dual_mov_b32 v2, 0 :: v_dual_mov_b32 v10, 0
	v_mov_b32_e32 v5, v0
	s_and_b32 s0, s1, 28
	s_add_nc_u64 s[4:5], s[2:3], 0xc4
	s_mov_b32 s11, 0
	s_mov_b64 s[6:7], s[2:3]
.LBB207_1159:                           ; =>This Inner Loop Header: Depth=1
	s_clause 0x1
	s_load_b256 s[20:27], s[6:7], 0x4
	s_load_b128 s[12:15], s[6:7], 0x24
	s_load_b256 s[36:43], s[4:5], 0x0
	s_add_co_i32 s11, s11, 4
	s_wait_xcnt 0x0
	s_add_nc_u64 s[6:7], s[6:7], 48
	s_cmp_lg_u32 s0, s11
	s_add_nc_u64 s[4:5], s[4:5], 32
	s_wait_kmcnt 0x0
	v_mul_hi_u32 v3, s21, v5
	s_delay_alu instid0(VALU_DEP_1) | instskip(NEXT) | instid1(VALU_DEP_1)
	v_add_nc_u32_e32 v3, v5, v3
	v_lshrrev_b32_e32 v3, s22, v3
	s_wait_loadcnt 0x0
	s_delay_alu instid0(VALU_DEP_1) | instskip(NEXT) | instid1(VALU_DEP_1)
	v_mul_hi_u32 v7, s24, v3
	v_add_nc_u32_e32 v7, v3, v7
	s_delay_alu instid0(VALU_DEP_1) | instskip(NEXT) | instid1(VALU_DEP_1)
	v_lshrrev_b32_e32 v7, s25, v7
	v_mul_hi_u32 v8, s27, v7
	s_delay_alu instid0(VALU_DEP_1) | instskip(NEXT) | instid1(VALU_DEP_1)
	v_add_nc_u32_e32 v8, v7, v8
	v_lshrrev_b32_e32 v8, s12, v8
	v_mul_lo_u32 v11, v3, s20
	s_delay_alu instid0(VALU_DEP_2) | instskip(NEXT) | instid1(VALU_DEP_2)
	v_mul_hi_u32 v13, s14, v8
	v_sub_nc_u32_e32 v5, v5, v11
	s_delay_alu instid0(VALU_DEP_1) | instskip(SKIP_1) | instid1(VALU_DEP_4)
	v_mad_u32 v10, v5, s37, v10
	v_mad_u32 v2, v5, s36, v2
	v_add_nc_u32_e32 v5, v8, v13
	s_delay_alu instid0(VALU_DEP_1) | instskip(SKIP_1) | instid1(VALU_DEP_1)
	v_lshrrev_b32_e32 v5, s15, v5
	v_mul_lo_u32 v11, v7, s23
	v_sub_nc_u32_e32 v3, v3, v11
	v_mul_lo_u32 v11, v8, s26
	s_delay_alu instid0(VALU_DEP_2) | instskip(SKIP_1) | instid1(VALU_DEP_3)
	v_mad_u32 v10, v3, s39, v10
	v_mad_u32 v2, v3, s38, v2
	v_sub_nc_u32_e32 v3, v7, v11
	v_mul_lo_u32 v7, v5, s13
	s_delay_alu instid0(VALU_DEP_2) | instskip(NEXT) | instid1(VALU_DEP_4)
	v_mad_u32 v10, v3, s41, v10
	v_mad_u32 v2, v3, s40, v2
	s_delay_alu instid0(VALU_DEP_3) | instskip(NEXT) | instid1(VALU_DEP_1)
	v_sub_nc_u32_e32 v3, v8, v7
	v_mad_u32 v10, v3, s43, v10
	s_delay_alu instid0(VALU_DEP_3)
	v_mad_u32 v2, v3, s42, v2
	s_cbranch_scc1 .LBB207_1159
; %bb.1160:
	s_delay_alu instid0(VALU_DEP_2)
	v_mov_b32_e32 v3, v10
	s_and_b32 s6, s1, 3
	s_mov_b32 s1, 0
	s_cmp_eq_u32 s6, 0
	s_cbranch_scc0 .LBB207_1164
	s_branch .LBB207_1167
.LBB207_1161:
	s_mov_b32 s10, -1
                                        ; implicit-def: $vgpr10
                                        ; implicit-def: $vgpr2
	s_branch .LBB207_1167
.LBB207_1162:
	v_dual_mov_b32 v10, 0 :: v_dual_mov_b32 v2, 0
	s_branch .LBB207_1167
.LBB207_1163:
	v_mov_b64_e32 v[2:3], 0
	v_mov_b32_e32 v5, v0
	s_mov_b32 s0, 0
                                        ; implicit-def: $vgpr10
	s_and_b32 s6, s1, 3
	s_mov_b32 s1, 0
	s_cmp_eq_u32 s6, 0
	s_cbranch_scc1 .LBB207_1167
.LBB207_1164:
	s_lshl_b32 s4, s0, 3
	s_mov_b32 s5, s1
	s_mul_u64 s[12:13], s[0:1], 12
	s_add_nc_u64 s[4:5], s[2:3], s[4:5]
	s_delay_alu instid0(SALU_CYCLE_1)
	s_add_nc_u64 s[0:1], s[4:5], 0xc4
	s_add_nc_u64 s[4:5], s[2:3], s[12:13]
.LBB207_1165:                           ; =>This Inner Loop Header: Depth=1
	s_load_b96 s[12:14], s[4:5], 0x4
	s_add_co_i32 s6, s6, -1
	s_wait_xcnt 0x0
	s_add_nc_u64 s[4:5], s[4:5], 12
	s_cmp_lg_u32 s6, 0
	s_wait_loadcnt 0x0
	s_wait_kmcnt 0x0
	v_mul_hi_u32 v7, s13, v5
	s_delay_alu instid0(VALU_DEP_1) | instskip(NEXT) | instid1(VALU_DEP_1)
	v_add_nc_u32_e32 v7, v5, v7
	v_lshrrev_b32_e32 v7, s14, v7
	s_load_b64 s[14:15], s[0:1], 0x0
	s_wait_xcnt 0x0
	s_add_nc_u64 s[0:1], s[0:1], 8
	s_delay_alu instid0(VALU_DEP_1) | instskip(NEXT) | instid1(VALU_DEP_1)
	v_mul_lo_u32 v8, v7, s12
	v_sub_nc_u32_e32 v5, v5, v8
	s_wait_kmcnt 0x0
	s_delay_alu instid0(VALU_DEP_1)
	v_mad_u32 v3, v5, s15, v3
	v_mad_u32 v2, v5, s14, v2
	v_mov_b32_e32 v5, v7
	s_cbranch_scc1 .LBB207_1165
; %bb.1166:
	s_delay_alu instid0(VALU_DEP_3)
	v_mov_b32_e32 v10, v3
.LBB207_1167:
	s_and_not1_b32 vcc_lo, exec_lo, s10
	s_cbranch_vccnz .LBB207_1170
; %bb.1168:
	s_clause 0x1
	s_load_b96 s[4:6], s[2:3], 0x4
	s_load_b64 s[0:1], s[2:3], 0xc4
	s_cmp_lt_u32 s19, 2
	s_wait_kmcnt 0x0
	v_mul_hi_u32 v2, s5, v0
	s_delay_alu instid0(VALU_DEP_1) | instskip(NEXT) | instid1(VALU_DEP_1)
	v_add_nc_u32_e32 v2, v0, v2
	v_lshrrev_b32_e32 v3, s6, v2
	s_delay_alu instid0(VALU_DEP_1) | instskip(NEXT) | instid1(VALU_DEP_1)
	v_mul_lo_u32 v2, v3, s4
	v_sub_nc_u32_e32 v0, v0, v2
	s_delay_alu instid0(VALU_DEP_1)
	v_mul_lo_u32 v10, v0, s1
	v_mul_lo_u32 v2, v0, s0
	s_cbranch_scc1 .LBB207_1170
; %bb.1169:
	s_clause 0x1
	s_load_b96 s[4:6], s[2:3], 0x10
	s_load_b64 s[0:1], s[2:3], 0xcc
	s_wait_kmcnt 0x0
	v_mul_hi_u32 v0, s5, v3
	s_delay_alu instid0(VALU_DEP_1) | instskip(NEXT) | instid1(VALU_DEP_1)
	v_add_nc_u32_e32 v0, v3, v0
	v_lshrrev_b32_e32 v0, s6, v0
	s_delay_alu instid0(VALU_DEP_1) | instskip(NEXT) | instid1(VALU_DEP_1)
	v_mul_lo_u32 v0, v0, s4
	v_sub_nc_u32_e32 v0, v3, v0
	s_delay_alu instid0(VALU_DEP_1)
	v_mad_u32 v2, v0, s0, v2
	v_mad_u32 v10, v0, s1, v10
.LBB207_1170:
	v_cmp_ne_u32_e32 vcc_lo, 1, v1
	s_cbranch_vccnz .LBB207_1176
; %bb.1171:
	s_cmp_lg_u32 s19, 0
	s_mov_b32 s10, 0
	s_cbranch_scc0 .LBB207_1177
; %bb.1172:
	s_min_u32 s1, s33, 15
	s_delay_alu instid0(SALU_CYCLE_1)
	s_add_co_i32 s1, s1, 1
	s_cmp_eq_u32 s33, 2
	s_cbranch_scc1 .LBB207_1178
; %bb.1173:
	v_dual_mov_b32 v0, 0 :: v_dual_mov_b32 v8, 0
	v_mov_b32_e32 v3, v9
	s_and_b32 s0, s1, 28
	s_add_nc_u64 s[4:5], s[2:3], 0xc4
	s_mov_b32 s11, 0
	s_mov_b64 s[6:7], s[2:3]
.LBB207_1174:                           ; =>This Inner Loop Header: Depth=1
	s_clause 0x1
	s_load_b256 s[20:27], s[6:7], 0x4
	s_load_b128 s[12:15], s[6:7], 0x24
	s_load_b256 s[36:43], s[4:5], 0x0
	s_add_co_i32 s11, s11, 4
	s_wait_xcnt 0x0
	s_add_nc_u64 s[6:7], s[6:7], 48
	s_cmp_lg_u32 s0, s11
	s_add_nc_u64 s[4:5], s[4:5], 32
	s_wait_kmcnt 0x0
	v_mul_hi_u32 v1, s21, v3
	s_delay_alu instid0(VALU_DEP_1) | instskip(NEXT) | instid1(VALU_DEP_1)
	v_add_nc_u32_e32 v1, v3, v1
	v_lshrrev_b32_e32 v1, s22, v1
	s_delay_alu instid0(VALU_DEP_1) | instskip(NEXT) | instid1(VALU_DEP_1)
	v_mul_lo_u32 v11, v1, s20
	v_sub_nc_u32_e32 v3, v3, v11
	v_mul_hi_u32 v5, s24, v1
	s_delay_alu instid0(VALU_DEP_2) | instskip(SKIP_1) | instid1(VALU_DEP_3)
	v_mad_u32 v8, v3, s37, v8
	v_mad_u32 v0, v3, s36, v0
	v_add_nc_u32_e32 v5, v1, v5
	s_delay_alu instid0(VALU_DEP_1) | instskip(NEXT) | instid1(VALU_DEP_1)
	v_lshrrev_b32_e32 v5, s25, v5
	v_mul_lo_u32 v11, v5, s23
	s_delay_alu instid0(VALU_DEP_1) | instskip(SKIP_2) | instid1(VALU_DEP_2)
	v_sub_nc_u32_e32 v1, v1, v11
	s_wait_loadcnt 0x0
	v_mul_hi_u32 v7, s27, v5
	v_mad_u32 v8, v1, s39, v8
	v_mad_u32 v0, v1, s38, v0
	s_delay_alu instid0(VALU_DEP_3) | instskip(NEXT) | instid1(VALU_DEP_1)
	v_add_nc_u32_e32 v7, v5, v7
	v_lshrrev_b32_e32 v7, s12, v7
	s_delay_alu instid0(VALU_DEP_1) | instskip(SKIP_1) | instid1(VALU_DEP_1)
	v_mul_hi_u32 v13, s14, v7
	v_mul_lo_u32 v11, v7, s26
	v_dual_add_nc_u32 v3, v7, v13 :: v_dual_sub_nc_u32 v1, v5, v11
	s_delay_alu instid0(VALU_DEP_1) | instskip(NEXT) | instid1(VALU_DEP_2)
	v_lshrrev_b32_e32 v3, s15, v3
	v_mad_u32 v8, v1, s41, v8
	v_mad_u32 v0, v1, s40, v0
	s_delay_alu instid0(VALU_DEP_3) | instskip(NEXT) | instid1(VALU_DEP_1)
	v_mul_lo_u32 v5, v3, s13
	v_sub_nc_u32_e32 v1, v7, v5
	s_delay_alu instid0(VALU_DEP_1) | instskip(NEXT) | instid1(VALU_DEP_4)
	v_mad_u32 v8, v1, s43, v8
	v_mad_u32 v0, v1, s42, v0
	s_cbranch_scc1 .LBB207_1174
; %bb.1175:
	s_delay_alu instid0(VALU_DEP_2)
	v_mov_b32_e32 v1, v8
	s_and_b32 s6, s1, 3
	s_mov_b32 s1, 0
	s_cmp_eq_u32 s6, 0
	s_cbranch_scc0 .LBB207_1179
	s_branch .LBB207_1182
.LBB207_1176:
	s_mov_b32 s10, -1
                                        ; implicit-def: $vgpr8
                                        ; implicit-def: $vgpr0
	s_branch .LBB207_1182
.LBB207_1177:
	v_dual_mov_b32 v8, 0 :: v_dual_mov_b32 v0, 0
	s_branch .LBB207_1182
.LBB207_1178:
	v_mov_b64_e32 v[0:1], 0
	v_mov_b32_e32 v3, v9
	s_mov_b32 s0, 0
                                        ; implicit-def: $vgpr8
	s_and_b32 s6, s1, 3
	s_mov_b32 s1, 0
	s_cmp_eq_u32 s6, 0
	s_cbranch_scc1 .LBB207_1182
.LBB207_1179:
	s_lshl_b32 s4, s0, 3
	s_mov_b32 s5, s1
	s_mul_u64 s[12:13], s[0:1], 12
	s_add_nc_u64 s[4:5], s[2:3], s[4:5]
	s_delay_alu instid0(SALU_CYCLE_1)
	s_add_nc_u64 s[0:1], s[4:5], 0xc4
	s_add_nc_u64 s[4:5], s[2:3], s[12:13]
.LBB207_1180:                           ; =>This Inner Loop Header: Depth=1
	s_load_b96 s[12:14], s[4:5], 0x4
	s_add_co_i32 s6, s6, -1
	s_wait_xcnt 0x0
	s_add_nc_u64 s[4:5], s[4:5], 12
	s_cmp_lg_u32 s6, 0
	s_wait_kmcnt 0x0
	v_mul_hi_u32 v5, s13, v3
	s_delay_alu instid0(VALU_DEP_1) | instskip(NEXT) | instid1(VALU_DEP_1)
	v_add_nc_u32_e32 v5, v3, v5
	v_lshrrev_b32_e32 v5, s14, v5
	s_load_b64 s[14:15], s[0:1], 0x0
	s_wait_xcnt 0x0
	s_add_nc_u64 s[0:1], s[0:1], 8
	s_wait_loadcnt 0x0
	v_mul_lo_u32 v7, v5, s12
	s_delay_alu instid0(VALU_DEP_1) | instskip(SKIP_1) | instid1(VALU_DEP_1)
	v_sub_nc_u32_e32 v3, v3, v7
	s_wait_kmcnt 0x0
	v_mad_u32 v1, v3, s15, v1
	v_mad_u32 v0, v3, s14, v0
	v_mov_b32_e32 v3, v5
	s_cbranch_scc1 .LBB207_1180
; %bb.1181:
	s_delay_alu instid0(VALU_DEP_3)
	v_mov_b32_e32 v8, v1
.LBB207_1182:
	s_and_not1_b32 vcc_lo, exec_lo, s10
	s_cbranch_vccnz .LBB207_1185
; %bb.1183:
	s_clause 0x1
	s_load_b96 s[4:6], s[2:3], 0x4
	s_load_b64 s[0:1], s[2:3], 0xc4
	s_cmp_lt_u32 s19, 2
	s_wait_kmcnt 0x0
	v_mul_hi_u32 v0, s5, v9
	s_delay_alu instid0(VALU_DEP_1) | instskip(NEXT) | instid1(VALU_DEP_1)
	v_add_nc_u32_e32 v0, v9, v0
	v_lshrrev_b32_e32 v1, s6, v0
	s_delay_alu instid0(VALU_DEP_1) | instskip(NEXT) | instid1(VALU_DEP_1)
	v_mul_lo_u32 v0, v1, s4
	v_sub_nc_u32_e32 v0, v9, v0
	s_delay_alu instid0(VALU_DEP_1)
	v_mul_lo_u32 v8, v0, s1
	v_mul_lo_u32 v0, v0, s0
	s_cbranch_scc1 .LBB207_1185
; %bb.1184:
	s_clause 0x1
	s_load_b96 s[4:6], s[2:3], 0x10
	s_load_b64 s[0:1], s[2:3], 0xcc
	s_wait_kmcnt 0x0
	v_mul_hi_u32 v3, s5, v1
	s_delay_alu instid0(VALU_DEP_1) | instskip(NEXT) | instid1(VALU_DEP_1)
	v_add_nc_u32_e32 v3, v1, v3
	v_lshrrev_b32_e32 v3, s6, v3
	s_delay_alu instid0(VALU_DEP_1) | instskip(NEXT) | instid1(VALU_DEP_1)
	v_mul_lo_u32 v3, v3, s4
	v_sub_nc_u32_e32 v1, v1, v3
	s_delay_alu instid0(VALU_DEP_1)
	v_mad_u32 v0, v1, s0, v0
	v_mad_u32 v8, v1, s1, v8
.LBB207_1185:
	v_mov_b32_e32 v15, 0
	s_load_b128 s[4:7], s[2:3], 0x148
	global_load_u8 v1, v15, s[2:3] offset:353
	s_wait_kmcnt 0x0
	v_add_nc_u64_e32 v[14:15], s[6:7], v[14:15]
	s_wait_loadcnt 0x0
	v_and_b32_e32 v3, 0xffff, v1
	v_readfirstlane_b32 s11, v1
	s_delay_alu instid0(VALU_DEP_2)
	v_cmp_gt_i32_e32 vcc_lo, 11, v3
	s_cbranch_vccnz .LBB207_1192
; %bb.1186:
	s_and_b32 s0, 0xffff, s11
	s_mov_b32 s12, 0
	s_cmp_gt_i32 s0, 25
	s_cbranch_scc0 .LBB207_1194
; %bb.1187:
	s_cmp_gt_i32 s0, 28
	s_cbranch_scc0 .LBB207_1195
; %bb.1188:
	;; [unrolled: 3-line block ×4, first 2 shown]
	s_cmp_eq_u32 s0, 46
	s_mov_b32 s10, 0
	s_cbranch_scc0 .LBB207_1200
; %bb.1191:
	global_load_b32 v1, v[14:15], off
	s_mov_b32 s1, 0
	s_mov_b32 s13, -1
	s_wait_loadcnt 0x0
	v_lshlrev_b32_e32 v1, 16, v1
	s_delay_alu instid0(VALU_DEP_1)
	v_cvt_i32_f32_e32 v16, v1
	s_branch .LBB207_1202
.LBB207_1192:
	s_mov_b32 s13, 0
	s_mov_b32 s10, s8
                                        ; implicit-def: $vgpr16
	s_cbranch_execnz .LBB207_1260
.LBB207_1193:
	s_and_not1_b32 vcc_lo, exec_lo, s13
	s_cbranch_vccz .LBB207_1305
	s_branch .LBB207_1719
.LBB207_1194:
	s_mov_b32 s13, 0
	s_mov_b32 s1, 0
                                        ; implicit-def: $vgpr16
	s_cbranch_execnz .LBB207_1227
	s_branch .LBB207_1256
.LBB207_1195:
	s_mov_b32 s13, 0
	s_mov_b32 s1, 0
                                        ; implicit-def: $vgpr16
	s_cbranch_execz .LBB207_1226
	s_branch .LBB207_1211
.LBB207_1196:
	s_mov_b32 s13, 0
	s_mov_b32 s1, 0
                                        ; implicit-def: $vgpr16
	s_cbranch_execnz .LBB207_1207
	s_branch .LBB207_1210
.LBB207_1197:
	s_mov_b32 s10, -1
	s_mov_b32 s13, 0
	s_mov_b32 s1, 0
	s_branch .LBB207_1201
.LBB207_1198:
	s_and_not1_saveexec_b32 s9, s9
	s_cbranch_execz .LBB207_1037
.LBB207_1199:
	v_add_f32_e64 v3, 0x46000000, |v2|
	s_and_not1_b32 s8, s8, exec_lo
	s_delay_alu instid0(VALU_DEP_1) | instskip(NEXT) | instid1(VALU_DEP_1)
	v_and_b32_e32 v3, 0xff, v3
	v_cmp_ne_u32_e32 vcc_lo, 0, v3
	s_and_b32 s10, vcc_lo, exec_lo
	s_delay_alu instid0(SALU_CYCLE_1)
	s_or_b32 s8, s8, s10
	s_or_b32 exec_lo, exec_lo, s9
	v_mov_b32_e32 v5, 0
	s_and_saveexec_b32 s9, s8
	s_cbranch_execnz .LBB207_1038
	s_branch .LBB207_1039
.LBB207_1200:
	s_mov_b32 s1, -1
	s_mov_b32 s13, 0
.LBB207_1201:
                                        ; implicit-def: $vgpr16
.LBB207_1202:
	s_and_b32 vcc_lo, exec_lo, s10
	s_cbranch_vccz .LBB207_1205
; %bb.1203:
	s_cmp_eq_u32 s0, 44
	s_cbranch_scc0 .LBB207_1206
; %bb.1204:
	global_load_u8 v1, v[14:15], off
	s_mov_b32 s1, 0
	s_mov_b32 s13, -1
	s_wait_loadcnt 0x0
	v_lshlrev_b32_e32 v3, 23, v1
	v_cmp_ne_u32_e32 vcc_lo, 0, v1
	s_delay_alu instid0(VALU_DEP_2) | instskip(NEXT) | instid1(VALU_DEP_1)
	v_cvt_i32_f32_e32 v3, v3
	v_cndmask_b32_e32 v16, 0, v3, vcc_lo
.LBB207_1205:
	s_branch .LBB207_1210
.LBB207_1206:
	s_mov_b32 s1, -1
                                        ; implicit-def: $vgpr16
	s_branch .LBB207_1210
.LBB207_1207:
	s_cmp_eq_u32 s0, 29
	s_cbranch_scc0 .LBB207_1209
; %bb.1208:
	global_load_b64 v[16:17], v[14:15], off
	s_mov_b32 s1, 0
	s_mov_b32 s13, -1
	s_branch .LBB207_1210
.LBB207_1209:
	s_mov_b32 s1, -1
                                        ; implicit-def: $vgpr16
.LBB207_1210:
	s_branch .LBB207_1226
.LBB207_1211:
	s_cmp_lt_i32 s0, 27
	s_cbranch_scc1 .LBB207_1214
; %bb.1212:
	s_cmp_gt_i32 s0, 27
	s_cbranch_scc0 .LBB207_1215
; %bb.1213:
	s_wait_loadcnt 0x0
	global_load_b32 v16, v[14:15], off
	s_mov_b32 s10, 0
	s_branch .LBB207_1216
.LBB207_1214:
	s_mov_b32 s10, -1
                                        ; implicit-def: $vgpr16
	s_branch .LBB207_1219
.LBB207_1215:
	s_mov_b32 s10, -1
                                        ; implicit-def: $vgpr16
.LBB207_1216:
	s_delay_alu instid0(SALU_CYCLE_1)
	s_and_not1_b32 vcc_lo, exec_lo, s10
	s_cbranch_vccnz .LBB207_1218
; %bb.1217:
	s_wait_loadcnt 0x0
	global_load_u16 v16, v[14:15], off
.LBB207_1218:
	s_mov_b32 s10, 0
.LBB207_1219:
	s_delay_alu instid0(SALU_CYCLE_1)
	s_and_not1_b32 vcc_lo, exec_lo, s10
	s_cbranch_vccnz .LBB207_1225
; %bb.1220:
	global_load_u8 v1, v[14:15], off
	s_mov_b32 s13, 0
	s_mov_b32 s10, exec_lo
	s_wait_loadcnt 0x0
	v_cmpx_lt_i16_e32 0x7f, v1
	s_xor_b32 s10, exec_lo, s10
	s_cbranch_execz .LBB207_1236
; %bb.1221:
	v_cmp_ne_u16_e32 vcc_lo, 0x80, v1
	s_and_b32 s13, vcc_lo, exec_lo
	s_and_not1_saveexec_b32 s10, s10
	s_cbranch_execnz .LBB207_1237
.LBB207_1222:
	s_or_b32 exec_lo, exec_lo, s10
	v_mov_b32_e32 v16, 0
	s_and_saveexec_b32 s10, s13
	s_cbranch_execz .LBB207_1224
.LBB207_1223:
	v_and_b32_e32 v3, 0xffff, v1
	s_delay_alu instid0(VALU_DEP_1) | instskip(SKIP_1) | instid1(VALU_DEP_2)
	v_dual_lshlrev_b32 v1, 24, v1 :: v_dual_bitop2_b32 v5, 7, v3 bitop3:0x40
	v_bfe_u32 v11, v3, 3, 4
	v_and_b32_e32 v1, 0x80000000, v1
	s_delay_alu instid0(VALU_DEP_3) | instskip(NEXT) | instid1(VALU_DEP_3)
	v_clz_i32_u32_e32 v7, v5
	v_cmp_eq_u32_e32 vcc_lo, 0, v11
	s_delay_alu instid0(VALU_DEP_2) | instskip(NEXT) | instid1(VALU_DEP_1)
	v_min_u32_e32 v7, 32, v7
	v_subrev_nc_u32_e32 v9, 28, v7
	v_sub_nc_u32_e32 v7, 29, v7
	s_delay_alu instid0(VALU_DEP_2) | instskip(NEXT) | instid1(VALU_DEP_2)
	v_lshlrev_b32_e32 v3, v9, v3
	v_cndmask_b32_e32 v7, v11, v7, vcc_lo
	s_delay_alu instid0(VALU_DEP_2) | instskip(NEXT) | instid1(VALU_DEP_1)
	v_and_b32_e32 v3, 7, v3
	v_cndmask_b32_e32 v3, v5, v3, vcc_lo
	s_delay_alu instid0(VALU_DEP_3) | instskip(NEXT) | instid1(VALU_DEP_2)
	v_lshl_add_u32 v5, v7, 23, 0x3b800000
	v_lshlrev_b32_e32 v3, 20, v3
	s_delay_alu instid0(VALU_DEP_1) | instskip(NEXT) | instid1(VALU_DEP_1)
	v_or3_b32 v1, v1, v5, v3
	v_cvt_i32_f32_e32 v16, v1
.LBB207_1224:
	s_or_b32 exec_lo, exec_lo, s10
.LBB207_1225:
	s_mov_b32 s13, -1
.LBB207_1226:
	s_branch .LBB207_1256
.LBB207_1227:
	s_cmp_gt_i32 s0, 22
	s_cbranch_scc0 .LBB207_1235
; %bb.1228:
	s_cmp_lt_i32 s0, 24
	s_cbranch_scc1 .LBB207_1238
; %bb.1229:
	s_cmp_gt_i32 s0, 24
	s_cbranch_scc0 .LBB207_1239
; %bb.1230:
	global_load_u8 v1, v[14:15], off
	s_mov_b32 s10, exec_lo
	s_wait_loadcnt 0x0
	v_cmpx_lt_i16_e32 0x7f, v1
	s_xor_b32 s10, exec_lo, s10
	s_cbranch_execz .LBB207_1250
; %bb.1231:
	v_cmp_ne_u16_e32 vcc_lo, 0x80, v1
	s_and_b32 s12, vcc_lo, exec_lo
	s_and_not1_saveexec_b32 s10, s10
	s_cbranch_execnz .LBB207_1251
.LBB207_1232:
	s_or_b32 exec_lo, exec_lo, s10
	v_mov_b32_e32 v16, 0
	s_and_saveexec_b32 s10, s12
	s_cbranch_execz .LBB207_1234
.LBB207_1233:
	v_and_b32_e32 v3, 0xffff, v1
	s_delay_alu instid0(VALU_DEP_1) | instskip(SKIP_1) | instid1(VALU_DEP_2)
	v_dual_lshlrev_b32 v1, 24, v1 :: v_dual_bitop2_b32 v5, 3, v3 bitop3:0x40
	v_bfe_u32 v11, v3, 2, 5
	v_and_b32_e32 v1, 0x80000000, v1
	s_delay_alu instid0(VALU_DEP_3) | instskip(NEXT) | instid1(VALU_DEP_3)
	v_clz_i32_u32_e32 v7, v5
	v_cmp_eq_u32_e32 vcc_lo, 0, v11
	s_delay_alu instid0(VALU_DEP_2) | instskip(NEXT) | instid1(VALU_DEP_1)
	v_min_u32_e32 v7, 32, v7
	v_subrev_nc_u32_e32 v9, 29, v7
	v_sub_nc_u32_e32 v7, 30, v7
	s_delay_alu instid0(VALU_DEP_2) | instskip(NEXT) | instid1(VALU_DEP_2)
	v_lshlrev_b32_e32 v3, v9, v3
	v_cndmask_b32_e32 v7, v11, v7, vcc_lo
	s_delay_alu instid0(VALU_DEP_2) | instskip(NEXT) | instid1(VALU_DEP_1)
	v_and_b32_e32 v3, 3, v3
	v_cndmask_b32_e32 v3, v5, v3, vcc_lo
	s_delay_alu instid0(VALU_DEP_3) | instskip(NEXT) | instid1(VALU_DEP_2)
	v_lshl_add_u32 v5, v7, 23, 0x37800000
	v_lshlrev_b32_e32 v3, 21, v3
	s_delay_alu instid0(VALU_DEP_1) | instskip(NEXT) | instid1(VALU_DEP_1)
	v_or3_b32 v1, v1, v5, v3
	v_cvt_i32_f32_e32 v16, v1
.LBB207_1234:
	s_or_b32 exec_lo, exec_lo, s10
	s_mov_b32 s10, 0
	s_branch .LBB207_1240
.LBB207_1235:
                                        ; implicit-def: $vgpr16
	s_mov_b32 s12, 0
	s_branch .LBB207_1246
.LBB207_1236:
	s_and_not1_saveexec_b32 s10, s10
	s_cbranch_execz .LBB207_1222
.LBB207_1237:
	v_cmp_ne_u16_e32 vcc_lo, 0, v1
	s_and_not1_b32 s13, s13, exec_lo
	s_and_b32 s14, vcc_lo, exec_lo
	s_delay_alu instid0(SALU_CYCLE_1)
	s_or_b32 s13, s13, s14
	s_or_b32 exec_lo, exec_lo, s10
	v_mov_b32_e32 v16, 0
	s_and_saveexec_b32 s10, s13
	s_cbranch_execnz .LBB207_1223
	s_branch .LBB207_1224
.LBB207_1238:
	s_mov_b32 s10, -1
                                        ; implicit-def: $vgpr16
	s_branch .LBB207_1243
.LBB207_1239:
	s_mov_b32 s10, -1
                                        ; implicit-def: $vgpr16
.LBB207_1240:
	s_delay_alu instid0(SALU_CYCLE_1)
	s_and_b32 vcc_lo, exec_lo, s10
	s_cbranch_vccz .LBB207_1242
; %bb.1241:
	global_load_u8 v1, v[14:15], off
	s_wait_loadcnt 0x0
	v_lshlrev_b32_e32 v1, 24, v1
	s_delay_alu instid0(VALU_DEP_1) | instskip(NEXT) | instid1(VALU_DEP_1)
	v_and_b32_e32 v3, 0x7f000000, v1
	v_clz_i32_u32_e32 v5, v3
	v_add_nc_u32_e32 v9, 0x1000000, v3
	v_cmp_ne_u32_e32 vcc_lo, 0, v3
	s_delay_alu instid0(VALU_DEP_3) | instskip(NEXT) | instid1(VALU_DEP_1)
	v_min_u32_e32 v5, 32, v5
	v_sub_nc_u32_e64 v5, v5, 4 clamp
	s_delay_alu instid0(VALU_DEP_1) | instskip(NEXT) | instid1(VALU_DEP_1)
	v_dual_lshlrev_b32 v7, v5, v3 :: v_dual_lshlrev_b32 v5, 23, v5
	v_lshrrev_b32_e32 v7, 4, v7
	s_delay_alu instid0(VALU_DEP_1) | instskip(SKIP_1) | instid1(VALU_DEP_2)
	v_sub_nc_u32_e32 v5, v7, v5
	v_ashrrev_i32_e32 v7, 8, v9
	v_add_nc_u32_e32 v5, 0x3c000000, v5
	s_delay_alu instid0(VALU_DEP_1) | instskip(NEXT) | instid1(VALU_DEP_1)
	v_and_or_b32 v5, 0x7f800000, v7, v5
	v_cndmask_b32_e32 v3, 0, v5, vcc_lo
	s_delay_alu instid0(VALU_DEP_1) | instskip(NEXT) | instid1(VALU_DEP_1)
	v_and_or_b32 v1, 0x80000000, v1, v3
	v_cvt_i32_f32_e32 v16, v1
.LBB207_1242:
	s_mov_b32 s10, 0
.LBB207_1243:
	s_delay_alu instid0(SALU_CYCLE_1)
	s_and_not1_b32 vcc_lo, exec_lo, s10
	s_cbranch_vccnz .LBB207_1245
; %bb.1244:
	global_load_u8 v1, v[14:15], off
	s_wait_loadcnt 0x0
	v_lshlrev_b32_e32 v3, 25, v1
	v_lshlrev_b16 v1, 8, v1
	s_delay_alu instid0(VALU_DEP_1) | instskip(SKIP_1) | instid1(VALU_DEP_2)
	v_and_or_b32 v7, 0x7f00, v1, 0.5
	v_bfe_i32 v1, v1, 0, 16
	v_add_f32_e32 v7, -0.5, v7
	v_lshrrev_b32_e32 v5, 4, v3
	v_cmp_gt_u32_e32 vcc_lo, 0x8000000, v3
	s_delay_alu instid0(VALU_DEP_2) | instskip(NEXT) | instid1(VALU_DEP_1)
	v_or_b32_e32 v5, 0x70000000, v5
	v_mul_f32_e32 v5, 0x7800000, v5
	s_delay_alu instid0(VALU_DEP_1) | instskip(NEXT) | instid1(VALU_DEP_1)
	v_cndmask_b32_e32 v3, v5, v7, vcc_lo
	v_and_or_b32 v1, 0x80000000, v1, v3
	s_delay_alu instid0(VALU_DEP_1)
	v_cvt_i32_f32_e32 v16, v1
.LBB207_1245:
	s_mov_b32 s13, -1
	s_mov_b32 s12, 0
	s_cbranch_execnz .LBB207_1256
.LBB207_1246:
	s_cmp_gt_i32 s0, 14
	s_cbranch_scc0 .LBB207_1249
; %bb.1247:
	s_cmp_eq_u32 s0, 15
	s_cbranch_scc0 .LBB207_1252
; %bb.1248:
	global_load_u16 v1, v[14:15], off
	s_mov_b32 s1, 0
	s_mov_b32 s13, -1
	s_wait_loadcnt 0x0
	v_lshlrev_b32_e32 v1, 16, v1
	s_delay_alu instid0(VALU_DEP_1)
	v_cvt_i32_f32_e32 v16, v1
	s_branch .LBB207_1253
.LBB207_1249:
	s_mov_b32 s10, -1
                                        ; implicit-def: $vgpr16
	s_branch .LBB207_1254
.LBB207_1250:
	s_and_not1_saveexec_b32 s10, s10
	s_cbranch_execz .LBB207_1232
.LBB207_1251:
	v_cmp_ne_u16_e32 vcc_lo, 0, v1
	s_and_not1_b32 s12, s12, exec_lo
	s_and_b32 s13, vcc_lo, exec_lo
	s_delay_alu instid0(SALU_CYCLE_1)
	s_or_b32 s12, s12, s13
	s_or_b32 exec_lo, exec_lo, s10
	v_mov_b32_e32 v16, 0
	s_and_saveexec_b32 s10, s12
	s_cbranch_execnz .LBB207_1233
	s_branch .LBB207_1234
.LBB207_1252:
	s_mov_b32 s1, -1
                                        ; implicit-def: $vgpr16
.LBB207_1253:
	s_mov_b32 s10, 0
.LBB207_1254:
	s_delay_alu instid0(SALU_CYCLE_1)
	s_and_b32 vcc_lo, exec_lo, s10
	s_cbranch_vccz .LBB207_1256
; %bb.1255:
	s_cmp_lg_u32 s0, 11
	s_mov_b32 s12, -1
	s_cselect_b32 s1, -1, 0
.LBB207_1256:
	s_delay_alu instid0(SALU_CYCLE_1)
	s_and_b32 vcc_lo, exec_lo, s1
	s_mov_b32 s10, s8
	s_cbranch_vccnz .LBB207_1327
; %bb.1257:
	s_and_not1_b32 vcc_lo, exec_lo, s12
	s_cbranch_vccnz .LBB207_1259
.LBB207_1258:
	global_load_u8 v1, v[14:15], off
	s_mov_b32 s13, -1
	s_wait_loadcnt 0x0
	v_cmp_ne_u16_e32 vcc_lo, 0, v1
	v_cndmask_b32_e64 v16, 0, 1, vcc_lo
.LBB207_1259:
	s_branch .LBB207_1193
.LBB207_1260:
	s_and_b32 s0, 0xffff, s11
	s_delay_alu instid0(SALU_CYCLE_1)
	s_cmp_lt_i32 s0, 5
	s_cbranch_scc1 .LBB207_1265
; %bb.1261:
	s_cmp_lt_i32 s0, 8
	s_cbranch_scc1 .LBB207_1266
; %bb.1262:
	;; [unrolled: 3-line block ×3, first 2 shown]
	s_cmp_gt_i32 s0, 9
	s_cbranch_scc0 .LBB207_1268
; %bb.1264:
	s_wait_loadcnt 0x0
	global_load_b64 v[16:17], v[14:15], off
	s_mov_b32 s1, 0
	s_wait_loadcnt 0x0
	v_cvt_i32_f64_e32 v16, v[16:17]
	s_branch .LBB207_1269
.LBB207_1265:
                                        ; implicit-def: $vgpr16
	s_branch .LBB207_1286
.LBB207_1266:
                                        ; implicit-def: $vgpr16
	s_branch .LBB207_1275
.LBB207_1267:
	s_mov_b32 s1, -1
                                        ; implicit-def: $vgpr16
	s_branch .LBB207_1272
.LBB207_1268:
	s_mov_b32 s1, -1
                                        ; implicit-def: $vgpr16
.LBB207_1269:
	s_delay_alu instid0(SALU_CYCLE_1)
	s_and_not1_b32 vcc_lo, exec_lo, s1
	s_cbranch_vccnz .LBB207_1271
; %bb.1270:
	global_load_b32 v1, v[14:15], off
	s_wait_loadcnt 0x0
	v_cvt_i32_f32_e32 v16, v1
.LBB207_1271:
	s_mov_b32 s1, 0
.LBB207_1272:
	s_delay_alu instid0(SALU_CYCLE_1)
	s_and_not1_b32 vcc_lo, exec_lo, s1
	s_cbranch_vccnz .LBB207_1274
; %bb.1273:
	global_load_b32 v1, v[14:15], off
	s_wait_loadcnt 0x0
	v_cvt_i16_f16_e32 v16, v1
.LBB207_1274:
	s_cbranch_execnz .LBB207_1285
.LBB207_1275:
	s_cmp_lt_i32 s0, 6
	s_cbranch_scc1 .LBB207_1278
; %bb.1276:
	s_cmp_gt_i32 s0, 6
	s_cbranch_scc0 .LBB207_1279
; %bb.1277:
	s_wait_loadcnt 0x0
	global_load_b64 v[16:17], v[14:15], off
	s_mov_b32 s1, 0
	s_wait_loadcnt 0x0
	v_cvt_i32_f64_e32 v16, v[16:17]
	s_branch .LBB207_1280
.LBB207_1278:
	s_mov_b32 s1, -1
                                        ; implicit-def: $vgpr16
	s_branch .LBB207_1283
.LBB207_1279:
	s_mov_b32 s1, -1
                                        ; implicit-def: $vgpr16
.LBB207_1280:
	s_delay_alu instid0(SALU_CYCLE_1)
	s_and_not1_b32 vcc_lo, exec_lo, s1
	s_cbranch_vccnz .LBB207_1282
; %bb.1281:
	global_load_b32 v1, v[14:15], off
	s_wait_loadcnt 0x0
	v_cvt_i32_f32_e32 v16, v1
.LBB207_1282:
	s_mov_b32 s1, 0
.LBB207_1283:
	s_delay_alu instid0(SALU_CYCLE_1)
	s_and_not1_b32 vcc_lo, exec_lo, s1
	s_cbranch_vccnz .LBB207_1285
; %bb.1284:
	global_load_u16 v1, v[14:15], off
	s_wait_loadcnt 0x0
	v_cvt_i16_f16_e32 v16, v1
.LBB207_1285:
	s_cbranch_execnz .LBB207_1304
.LBB207_1286:
	s_cmp_lt_i32 s0, 2
	s_cbranch_scc1 .LBB207_1290
; %bb.1287:
	s_cmp_lt_i32 s0, 3
	s_cbranch_scc1 .LBB207_1291
; %bb.1288:
	s_cmp_gt_i32 s0, 3
	s_cbranch_scc0 .LBB207_1292
; %bb.1289:
	s_wait_loadcnt 0x0
	global_load_b64 v[16:17], v[14:15], off
	s_mov_b32 s1, 0
	s_branch .LBB207_1293
.LBB207_1290:
                                        ; implicit-def: $vgpr16
	s_branch .LBB207_1299
.LBB207_1291:
	s_mov_b32 s1, -1
                                        ; implicit-def: $vgpr16
	s_branch .LBB207_1296
.LBB207_1292:
	s_mov_b32 s1, -1
                                        ; implicit-def: $vgpr16
.LBB207_1293:
	s_delay_alu instid0(SALU_CYCLE_1)
	s_and_not1_b32 vcc_lo, exec_lo, s1
	s_cbranch_vccnz .LBB207_1295
; %bb.1294:
	s_wait_loadcnt 0x0
	global_load_b32 v16, v[14:15], off
.LBB207_1295:
	s_mov_b32 s1, 0
.LBB207_1296:
	s_delay_alu instid0(SALU_CYCLE_1)
	s_and_not1_b32 vcc_lo, exec_lo, s1
	s_cbranch_vccnz .LBB207_1298
; %bb.1297:
	s_wait_loadcnt 0x0
	global_load_u16 v16, v[14:15], off
.LBB207_1298:
	s_cbranch_execnz .LBB207_1304
.LBB207_1299:
	s_cmp_gt_i32 s0, 0
	s_mov_b32 s0, 0
	s_cbranch_scc0 .LBB207_1301
; %bb.1300:
	s_wait_loadcnt 0x0
	global_load_i8 v16, v[14:15], off
	s_branch .LBB207_1302
.LBB207_1301:
	s_mov_b32 s0, -1
                                        ; implicit-def: $vgpr16
.LBB207_1302:
	s_delay_alu instid0(SALU_CYCLE_1)
	s_and_not1_b32 vcc_lo, exec_lo, s0
	s_cbranch_vccnz .LBB207_1304
; %bb.1303:
	s_wait_loadcnt 0x0
	global_load_u8 v16, v[14:15], off
.LBB207_1304:
.LBB207_1305:
	s_load_b64 s[0:1], s[2:3], 0x158
	s_mov_b32 s12, 0
	s_wait_kmcnt 0x0
	s_cmp_lt_i32 s0, 1
	s_cbranch_scc1 .LBB207_1308
; %bb.1306:
	s_cmp_eq_u32 s0, 1
	s_cbranch_scc0 .LBB207_1323
; %bb.1307:
	s_wait_loadcnt 0x0
	s_delay_alu instid0(VALU_DEP_1)
	v_min_i16 v1, v16, s1
	s_mov_b32 s13, 0
	s_branch .LBB207_1310
.LBB207_1308:
	s_mov_b32 s13, 0
                                        ; implicit-def: $vgpr1
	s_cbranch_execz .LBB207_1310
; %bb.1309:
	s_cmp_lg_u32 s0, 0
	s_mov_b32 s12, -1
	s_cselect_b32 s13, -1, 0
.LBB207_1310:
	s_wait_loadcnt 0x0
	s_delay_alu instid0(VALU_DEP_1)
	v_max_i16 v3, v16, s1
	s_and_not1_b32 vcc_lo, exec_lo, s13
	s_cbranch_vccnz .LBB207_1312
; %bb.1311:
	v_mov_b32_e32 v1, 0
	v_max_i16 v5, v16, s1
	global_load_u16 v1, v1, s[2:3] offset:350
	s_wait_loadcnt 0x0
	v_min_i16 v1, v5, v1
	s_cbranch_execz .LBB207_1313
	s_branch .LBB207_1314
.LBB207_1312:
	s_and_not1_b32 vcc_lo, exec_lo, s12
	s_cbranch_vccnz .LBB207_1314
.LBB207_1313:
	v_mov_b32_e32 v1, v3
.LBB207_1314:
	v_mov_b32_e32 v13, 0
	s_and_b32 s11, 0xffff, s11
	s_delay_alu instid0(SALU_CYCLE_1) | instskip(NEXT) | instid1(VALU_DEP_1)
	s_cmp_lt_i32 s11, 11
	v_add_nc_u64_e32 v[12:13], s[6:7], v[12:13]
	s_cbranch_scc1 .LBB207_1321
; %bb.1315:
	s_cmp_gt_i32 s11, 25
	s_mov_b32 s13, 0
	s_cbranch_scc0 .LBB207_1324
; %bb.1316:
	s_cmp_gt_i32 s11, 28
	s_cbranch_scc0 .LBB207_1325
; %bb.1317:
	s_cmp_gt_i32 s11, 43
	;; [unrolled: 3-line block ×3, first 2 shown]
	s_cbranch_scc0 .LBB207_1328
; %bb.1319:
	s_cmp_eq_u32 s11, 46
	s_mov_b32 s15, 0
	s_cbranch_scc0 .LBB207_1331
; %bb.1320:
	global_load_b32 v3, v[12:13], off
	s_mov_b32 s12, 0
	s_mov_b32 s14, -1
	s_wait_loadcnt 0x0
	v_lshlrev_b32_e32 v3, 16, v3
	s_delay_alu instid0(VALU_DEP_1)
	v_cvt_i32_f32_e32 v14, v3
	s_branch .LBB207_1333
.LBB207_1321:
	s_mov_b32 s14, 0
                                        ; implicit-def: $vgpr14
	s_cbranch_execnz .LBB207_1394
.LBB207_1322:
	s_and_not1_b32 vcc_lo, exec_lo, s14
	s_cbranch_vccnz .LBB207_1719
	s_branch .LBB207_1441
.LBB207_1323:
	s_mov_b32 s13, -1
                                        ; implicit-def: $vgpr1
	s_branch .LBB207_1310
.LBB207_1324:
	s_mov_b32 s14, 0
	s_mov_b32 s12, 0
                                        ; implicit-def: $vgpr14
	s_cbranch_execnz .LBB207_1360
	s_branch .LBB207_1390
.LBB207_1325:
	s_mov_b32 s15, -1
	s_mov_b32 s14, 0
	s_mov_b32 s12, 0
                                        ; implicit-def: $vgpr14
	s_branch .LBB207_1343
.LBB207_1326:
	s_mov_b32 s15, -1
	s_mov_b32 s14, 0
	s_mov_b32 s12, 0
                                        ; implicit-def: $vgpr14
	s_branch .LBB207_1338
.LBB207_1327:
	s_or_b32 s10, s8, exec_lo
	s_trap 2
	s_cbranch_execz .LBB207_1258
	s_branch .LBB207_1259
.LBB207_1328:
	s_mov_b32 s15, -1
	s_mov_b32 s14, 0
	s_mov_b32 s12, 0
	s_branch .LBB207_1332
.LBB207_1329:
	s_and_not1_saveexec_b32 s10, s10
	s_cbranch_execz .LBB207_1049
.LBB207_1330:
	v_add_f32_e64 v3, 0x42800000, |v2|
	s_and_not1_b32 s9, s9, exec_lo
	s_delay_alu instid0(VALU_DEP_1) | instskip(NEXT) | instid1(VALU_DEP_1)
	v_and_b32_e32 v3, 0xff, v3
	v_cmp_ne_u32_e32 vcc_lo, 0, v3
	s_and_b32 s11, vcc_lo, exec_lo
	s_delay_alu instid0(SALU_CYCLE_1)
	s_or_b32 s9, s9, s11
	s_or_b32 exec_lo, exec_lo, s10
	v_mov_b32_e32 v5, 0
	s_and_saveexec_b32 s10, s9
	s_cbranch_execnz .LBB207_1050
	s_branch .LBB207_1051
.LBB207_1331:
	s_mov_b32 s12, -1
	s_mov_b32 s14, 0
.LBB207_1332:
                                        ; implicit-def: $vgpr14
.LBB207_1333:
	s_and_b32 vcc_lo, exec_lo, s15
	s_cbranch_vccz .LBB207_1337
; %bb.1334:
	s_cmp_eq_u32 s11, 44
	s_cbranch_scc0 .LBB207_1336
; %bb.1335:
	global_load_u8 v3, v[12:13], off
	s_mov_b32 s12, 0
	s_mov_b32 s14, -1
	s_wait_loadcnt 0x0
	v_lshlrev_b32_e32 v5, 23, v3
	v_cmp_ne_u32_e32 vcc_lo, 0, v3
	s_delay_alu instid0(VALU_DEP_2) | instskip(NEXT) | instid1(VALU_DEP_1)
	v_cvt_i32_f32_e32 v5, v5
	v_cndmask_b32_e32 v14, 0, v5, vcc_lo
	s_branch .LBB207_1337
.LBB207_1336:
	s_mov_b32 s12, -1
                                        ; implicit-def: $vgpr14
.LBB207_1337:
	s_mov_b32 s15, 0
.LBB207_1338:
	s_delay_alu instid0(SALU_CYCLE_1)
	s_and_b32 vcc_lo, exec_lo, s15
	s_cbranch_vccz .LBB207_1342
; %bb.1339:
	s_cmp_eq_u32 s11, 29
	s_cbranch_scc0 .LBB207_1341
; %bb.1340:
	global_load_b64 v[14:15], v[12:13], off
	s_mov_b32 s12, 0
	s_mov_b32 s14, -1
	s_branch .LBB207_1342
.LBB207_1341:
	s_mov_b32 s12, -1
                                        ; implicit-def: $vgpr14
.LBB207_1342:
	s_mov_b32 s15, 0
.LBB207_1343:
	s_delay_alu instid0(SALU_CYCLE_1)
	s_and_b32 vcc_lo, exec_lo, s15
	s_cbranch_vccz .LBB207_1359
; %bb.1344:
	s_cmp_lt_i32 s11, 27
	s_cbranch_scc1 .LBB207_1347
; %bb.1345:
	s_cmp_gt_i32 s11, 27
	s_cbranch_scc0 .LBB207_1348
; %bb.1346:
	s_wait_loadcnt 0x0
	global_load_b32 v14, v[12:13], off
	s_mov_b32 s14, 0
	s_branch .LBB207_1349
.LBB207_1347:
	s_mov_b32 s14, -1
                                        ; implicit-def: $vgpr14
	s_branch .LBB207_1352
.LBB207_1348:
	s_mov_b32 s14, -1
                                        ; implicit-def: $vgpr14
.LBB207_1349:
	s_delay_alu instid0(SALU_CYCLE_1)
	s_and_not1_b32 vcc_lo, exec_lo, s14
	s_cbranch_vccnz .LBB207_1351
; %bb.1350:
	s_wait_loadcnt 0x0
	global_load_u16 v14, v[12:13], off
.LBB207_1351:
	s_mov_b32 s14, 0
.LBB207_1352:
	s_delay_alu instid0(SALU_CYCLE_1)
	s_and_not1_b32 vcc_lo, exec_lo, s14
	s_cbranch_vccnz .LBB207_1358
; %bb.1353:
	global_load_u8 v3, v[12:13], off
	s_mov_b32 s15, 0
	s_mov_b32 s14, exec_lo
	s_wait_loadcnt 0x0
	v_cmpx_lt_i16_e32 0x7f, v3
	s_xor_b32 s14, exec_lo, s14
	s_cbranch_execz .LBB207_1369
; %bb.1354:
	v_cmp_ne_u16_e32 vcc_lo, 0x80, v3
	s_and_b32 s15, vcc_lo, exec_lo
	s_and_not1_saveexec_b32 s14, s14
	s_cbranch_execnz .LBB207_1370
.LBB207_1355:
	s_or_b32 exec_lo, exec_lo, s14
	v_mov_b32_e32 v14, 0
	s_and_saveexec_b32 s14, s15
	s_cbranch_execz .LBB207_1357
.LBB207_1356:
	v_and_b32_e32 v5, 0xffff, v3
	s_delay_alu instid0(VALU_DEP_1) | instskip(SKIP_1) | instid1(VALU_DEP_2)
	v_dual_lshlrev_b32 v3, 24, v3 :: v_dual_bitop2_b32 v7, 7, v5 bitop3:0x40
	v_bfe_u32 v14, v5, 3, 4
	v_and_b32_e32 v3, 0x80000000, v3
	s_delay_alu instid0(VALU_DEP_3) | instskip(NEXT) | instid1(VALU_DEP_3)
	v_clz_i32_u32_e32 v9, v7
	v_cmp_eq_u32_e32 vcc_lo, 0, v14
	s_delay_alu instid0(VALU_DEP_2) | instskip(NEXT) | instid1(VALU_DEP_1)
	v_min_u32_e32 v9, 32, v9
	v_subrev_nc_u32_e32 v11, 28, v9
	v_sub_nc_u32_e32 v9, 29, v9
	s_delay_alu instid0(VALU_DEP_2) | instskip(NEXT) | instid1(VALU_DEP_2)
	v_lshlrev_b32_e32 v5, v11, v5
	v_cndmask_b32_e32 v9, v14, v9, vcc_lo
	s_delay_alu instid0(VALU_DEP_2) | instskip(NEXT) | instid1(VALU_DEP_1)
	v_and_b32_e32 v5, 7, v5
	v_cndmask_b32_e32 v5, v7, v5, vcc_lo
	s_delay_alu instid0(VALU_DEP_3) | instskip(NEXT) | instid1(VALU_DEP_2)
	v_lshl_add_u32 v7, v9, 23, 0x3b800000
	v_lshlrev_b32_e32 v5, 20, v5
	s_delay_alu instid0(VALU_DEP_1) | instskip(NEXT) | instid1(VALU_DEP_1)
	v_or3_b32 v3, v3, v7, v5
	v_cvt_i32_f32_e32 v14, v3
.LBB207_1357:
	s_or_b32 exec_lo, exec_lo, s14
.LBB207_1358:
	s_mov_b32 s14, -1
.LBB207_1359:
	s_branch .LBB207_1390
.LBB207_1360:
	s_cmp_gt_i32 s11, 22
	s_cbranch_scc0 .LBB207_1368
; %bb.1361:
	s_cmp_lt_i32 s11, 24
	s_cbranch_scc1 .LBB207_1371
; %bb.1362:
	s_cmp_gt_i32 s11, 24
	s_cbranch_scc0 .LBB207_1372
; %bb.1363:
	global_load_u8 v3, v[12:13], off
	s_mov_b32 s14, 0
	s_mov_b32 s13, exec_lo
	s_wait_loadcnt 0x0
	v_cmpx_lt_i16_e32 0x7f, v3
	s_xor_b32 s13, exec_lo, s13
	s_cbranch_execz .LBB207_1384
; %bb.1364:
	v_cmp_ne_u16_e32 vcc_lo, 0x80, v3
	s_and_b32 s14, vcc_lo, exec_lo
	s_and_not1_saveexec_b32 s13, s13
	s_cbranch_execnz .LBB207_1385
.LBB207_1365:
	s_or_b32 exec_lo, exec_lo, s13
	v_mov_b32_e32 v14, 0
	s_and_saveexec_b32 s13, s14
	s_cbranch_execz .LBB207_1367
.LBB207_1366:
	v_and_b32_e32 v5, 0xffff, v3
	s_delay_alu instid0(VALU_DEP_1) | instskip(SKIP_1) | instid1(VALU_DEP_2)
	v_dual_lshlrev_b32 v3, 24, v3 :: v_dual_bitop2_b32 v7, 3, v5 bitop3:0x40
	v_bfe_u32 v14, v5, 2, 5
	v_and_b32_e32 v3, 0x80000000, v3
	s_delay_alu instid0(VALU_DEP_3) | instskip(NEXT) | instid1(VALU_DEP_3)
	v_clz_i32_u32_e32 v9, v7
	v_cmp_eq_u32_e32 vcc_lo, 0, v14
	s_delay_alu instid0(VALU_DEP_2) | instskip(NEXT) | instid1(VALU_DEP_1)
	v_min_u32_e32 v9, 32, v9
	v_subrev_nc_u32_e32 v11, 29, v9
	v_sub_nc_u32_e32 v9, 30, v9
	s_delay_alu instid0(VALU_DEP_2) | instskip(NEXT) | instid1(VALU_DEP_2)
	v_lshlrev_b32_e32 v5, v11, v5
	v_cndmask_b32_e32 v9, v14, v9, vcc_lo
	s_delay_alu instid0(VALU_DEP_2) | instskip(NEXT) | instid1(VALU_DEP_1)
	v_and_b32_e32 v5, 3, v5
	v_cndmask_b32_e32 v5, v7, v5, vcc_lo
	s_delay_alu instid0(VALU_DEP_3) | instskip(NEXT) | instid1(VALU_DEP_2)
	v_lshl_add_u32 v7, v9, 23, 0x37800000
	v_lshlrev_b32_e32 v5, 21, v5
	s_delay_alu instid0(VALU_DEP_1) | instskip(NEXT) | instid1(VALU_DEP_1)
	v_or3_b32 v3, v3, v7, v5
	v_cvt_i32_f32_e32 v14, v3
.LBB207_1367:
	s_or_b32 exec_lo, exec_lo, s13
	s_mov_b32 s13, 0
	s_branch .LBB207_1373
.LBB207_1368:
	s_mov_b32 s13, -1
                                        ; implicit-def: $vgpr14
	s_branch .LBB207_1379
.LBB207_1369:
	s_and_not1_saveexec_b32 s14, s14
	s_cbranch_execz .LBB207_1355
.LBB207_1370:
	v_cmp_ne_u16_e32 vcc_lo, 0, v3
	s_and_not1_b32 s15, s15, exec_lo
	s_and_b32 s16, vcc_lo, exec_lo
	s_delay_alu instid0(SALU_CYCLE_1)
	s_or_b32 s15, s15, s16
	s_or_b32 exec_lo, exec_lo, s14
	v_mov_b32_e32 v14, 0
	s_and_saveexec_b32 s14, s15
	s_cbranch_execnz .LBB207_1356
	s_branch .LBB207_1357
.LBB207_1371:
	s_mov_b32 s13, -1
                                        ; implicit-def: $vgpr14
	s_branch .LBB207_1376
.LBB207_1372:
	s_mov_b32 s13, -1
                                        ; implicit-def: $vgpr14
.LBB207_1373:
	s_delay_alu instid0(SALU_CYCLE_1)
	s_and_b32 vcc_lo, exec_lo, s13
	s_cbranch_vccz .LBB207_1375
; %bb.1374:
	global_load_u8 v3, v[12:13], off
	s_wait_loadcnt 0x0
	v_lshlrev_b32_e32 v3, 24, v3
	s_delay_alu instid0(VALU_DEP_1) | instskip(NEXT) | instid1(VALU_DEP_1)
	v_and_b32_e32 v5, 0x7f000000, v3
	v_clz_i32_u32_e32 v7, v5
	v_add_nc_u32_e32 v11, 0x1000000, v5
	v_cmp_ne_u32_e32 vcc_lo, 0, v5
	s_delay_alu instid0(VALU_DEP_3) | instskip(NEXT) | instid1(VALU_DEP_1)
	v_min_u32_e32 v7, 32, v7
	v_sub_nc_u32_e64 v7, v7, 4 clamp
	s_delay_alu instid0(VALU_DEP_1) | instskip(NEXT) | instid1(VALU_DEP_1)
	v_dual_lshlrev_b32 v9, v7, v5 :: v_dual_lshlrev_b32 v7, 23, v7
	v_lshrrev_b32_e32 v9, 4, v9
	s_delay_alu instid0(VALU_DEP_1) | instskip(SKIP_1) | instid1(VALU_DEP_2)
	v_sub_nc_u32_e32 v7, v9, v7
	v_ashrrev_i32_e32 v9, 8, v11
	v_add_nc_u32_e32 v7, 0x3c000000, v7
	s_delay_alu instid0(VALU_DEP_1) | instskip(NEXT) | instid1(VALU_DEP_1)
	v_and_or_b32 v7, 0x7f800000, v9, v7
	v_cndmask_b32_e32 v5, 0, v7, vcc_lo
	s_delay_alu instid0(VALU_DEP_1) | instskip(NEXT) | instid1(VALU_DEP_1)
	v_and_or_b32 v3, 0x80000000, v3, v5
	v_cvt_i32_f32_e32 v14, v3
.LBB207_1375:
	s_mov_b32 s13, 0
.LBB207_1376:
	s_delay_alu instid0(SALU_CYCLE_1)
	s_and_not1_b32 vcc_lo, exec_lo, s13
	s_cbranch_vccnz .LBB207_1378
; %bb.1377:
	global_load_u8 v3, v[12:13], off
	s_wait_loadcnt 0x0
	v_lshlrev_b32_e32 v5, 25, v3
	v_lshlrev_b16 v3, 8, v3
	s_delay_alu instid0(VALU_DEP_1) | instskip(SKIP_1) | instid1(VALU_DEP_2)
	v_and_or_b32 v9, 0x7f00, v3, 0.5
	v_bfe_i32 v3, v3, 0, 16
	v_add_f32_e32 v9, -0.5, v9
	v_lshrrev_b32_e32 v7, 4, v5
	v_cmp_gt_u32_e32 vcc_lo, 0x8000000, v5
	s_delay_alu instid0(VALU_DEP_2) | instskip(NEXT) | instid1(VALU_DEP_1)
	v_or_b32_e32 v7, 0x70000000, v7
	v_mul_f32_e32 v7, 0x7800000, v7
	s_delay_alu instid0(VALU_DEP_1) | instskip(NEXT) | instid1(VALU_DEP_1)
	v_cndmask_b32_e32 v5, v7, v9, vcc_lo
	v_and_or_b32 v3, 0x80000000, v3, v5
	s_delay_alu instid0(VALU_DEP_1)
	v_cvt_i32_f32_e32 v14, v3
.LBB207_1378:
	s_mov_b32 s13, 0
	s_mov_b32 s14, -1
.LBB207_1379:
	s_and_not1_b32 vcc_lo, exec_lo, s13
	s_mov_b32 s13, 0
	s_cbranch_vccnz .LBB207_1390
; %bb.1380:
	s_cmp_gt_i32 s11, 14
	s_cbranch_scc0 .LBB207_1383
; %bb.1381:
	s_cmp_eq_u32 s11, 15
	s_cbranch_scc0 .LBB207_1386
; %bb.1382:
	global_load_u16 v3, v[12:13], off
	s_mov_b32 s12, 0
	s_mov_b32 s14, -1
	s_wait_loadcnt 0x0
	v_lshlrev_b32_e32 v3, 16, v3
	s_delay_alu instid0(VALU_DEP_1)
	v_cvt_i32_f32_e32 v14, v3
	s_branch .LBB207_1388
.LBB207_1383:
	s_mov_b32 s13, -1
	s_branch .LBB207_1387
.LBB207_1384:
	s_and_not1_saveexec_b32 s13, s13
	s_cbranch_execz .LBB207_1365
.LBB207_1385:
	v_cmp_ne_u16_e32 vcc_lo, 0, v3
	s_and_not1_b32 s14, s14, exec_lo
	s_and_b32 s15, vcc_lo, exec_lo
	s_delay_alu instid0(SALU_CYCLE_1)
	s_or_b32 s14, s14, s15
	s_or_b32 exec_lo, exec_lo, s13
	v_mov_b32_e32 v14, 0
	s_and_saveexec_b32 s13, s14
	s_cbranch_execnz .LBB207_1366
	s_branch .LBB207_1367
.LBB207_1386:
	s_mov_b32 s12, -1
.LBB207_1387:
                                        ; implicit-def: $vgpr14
.LBB207_1388:
	s_and_b32 vcc_lo, exec_lo, s13
	s_mov_b32 s13, 0
	s_cbranch_vccz .LBB207_1390
; %bb.1389:
	s_cmp_lg_u32 s11, 11
	s_mov_b32 s13, -1
	s_cselect_b32 s12, -1, 0
.LBB207_1390:
	s_delay_alu instid0(SALU_CYCLE_1)
	s_and_b32 vcc_lo, exec_lo, s12
	s_cbranch_vccnz .LBB207_1464
; %bb.1391:
	s_and_not1_b32 vcc_lo, exec_lo, s13
	s_cbranch_vccnz .LBB207_1393
.LBB207_1392:
	global_load_u8 v3, v[12:13], off
	s_mov_b32 s14, -1
	s_wait_loadcnt 0x0
	v_cmp_ne_u16_e32 vcc_lo, 0, v3
	v_cndmask_b32_e64 v14, 0, 1, vcc_lo
.LBB207_1393:
	s_branch .LBB207_1322
.LBB207_1394:
	s_cmp_lt_i32 s11, 5
	s_cbranch_scc1 .LBB207_1399
; %bb.1395:
	s_cmp_lt_i32 s11, 8
	s_cbranch_scc1 .LBB207_1400
; %bb.1396:
	;; [unrolled: 3-line block ×3, first 2 shown]
	s_cmp_gt_i32 s11, 9
	s_cbranch_scc0 .LBB207_1402
; %bb.1398:
	s_wait_loadcnt 0x0
	global_load_b64 v[14:15], v[12:13], off
	s_mov_b32 s12, 0
	s_wait_loadcnt 0x0
	v_cvt_i32_f64_e32 v14, v[14:15]
	s_branch .LBB207_1403
.LBB207_1399:
                                        ; implicit-def: $vgpr14
	s_branch .LBB207_1421
.LBB207_1400:
	s_mov_b32 s12, -1
                                        ; implicit-def: $vgpr14
	s_branch .LBB207_1409
.LBB207_1401:
	s_mov_b32 s12, -1
                                        ; implicit-def: $vgpr14
	s_branch .LBB207_1406
.LBB207_1402:
	s_mov_b32 s12, -1
                                        ; implicit-def: $vgpr14
.LBB207_1403:
	s_delay_alu instid0(SALU_CYCLE_1)
	s_and_not1_b32 vcc_lo, exec_lo, s12
	s_cbranch_vccnz .LBB207_1405
; %bb.1404:
	global_load_b32 v3, v[12:13], off
	s_wait_loadcnt 0x0
	v_cvt_i32_f32_e32 v14, v3
.LBB207_1405:
	s_mov_b32 s12, 0
.LBB207_1406:
	s_delay_alu instid0(SALU_CYCLE_1)
	s_and_not1_b32 vcc_lo, exec_lo, s12
	s_cbranch_vccnz .LBB207_1408
; %bb.1407:
	global_load_b32 v3, v[12:13], off
	s_wait_loadcnt 0x0
	v_cvt_i16_f16_e32 v14, v3
.LBB207_1408:
	s_mov_b32 s12, 0
.LBB207_1409:
	s_delay_alu instid0(SALU_CYCLE_1)
	s_and_not1_b32 vcc_lo, exec_lo, s12
	s_cbranch_vccnz .LBB207_1420
; %bb.1410:
	s_cmp_lt_i32 s11, 6
	s_cbranch_scc1 .LBB207_1413
; %bb.1411:
	s_cmp_gt_i32 s11, 6
	s_cbranch_scc0 .LBB207_1414
; %bb.1412:
	s_wait_loadcnt 0x0
	global_load_b64 v[14:15], v[12:13], off
	s_mov_b32 s12, 0
	s_wait_loadcnt 0x0
	v_cvt_i32_f64_e32 v14, v[14:15]
	s_branch .LBB207_1415
.LBB207_1413:
	s_mov_b32 s12, -1
                                        ; implicit-def: $vgpr14
	s_branch .LBB207_1418
.LBB207_1414:
	s_mov_b32 s12, -1
                                        ; implicit-def: $vgpr14
.LBB207_1415:
	s_delay_alu instid0(SALU_CYCLE_1)
	s_and_not1_b32 vcc_lo, exec_lo, s12
	s_cbranch_vccnz .LBB207_1417
; %bb.1416:
	global_load_b32 v3, v[12:13], off
	s_wait_loadcnt 0x0
	v_cvt_i32_f32_e32 v14, v3
.LBB207_1417:
	s_mov_b32 s12, 0
.LBB207_1418:
	s_delay_alu instid0(SALU_CYCLE_1)
	s_and_not1_b32 vcc_lo, exec_lo, s12
	s_cbranch_vccnz .LBB207_1420
; %bb.1419:
	global_load_u16 v3, v[12:13], off
	s_wait_loadcnt 0x0
	v_cvt_i16_f16_e32 v14, v3
.LBB207_1420:
	s_cbranch_execnz .LBB207_1440
.LBB207_1421:
	s_cmp_lt_i32 s11, 2
	s_cbranch_scc1 .LBB207_1425
; %bb.1422:
	s_cmp_lt_i32 s11, 3
	s_cbranch_scc1 .LBB207_1426
; %bb.1423:
	s_cmp_gt_i32 s11, 3
	s_cbranch_scc0 .LBB207_1427
; %bb.1424:
	s_wait_loadcnt 0x0
	global_load_b64 v[14:15], v[12:13], off
	s_mov_b32 s12, 0
	s_branch .LBB207_1428
.LBB207_1425:
	s_mov_b32 s12, -1
                                        ; implicit-def: $vgpr14
	s_branch .LBB207_1434
.LBB207_1426:
	s_mov_b32 s12, -1
                                        ; implicit-def: $vgpr14
	s_branch .LBB207_1431
.LBB207_1427:
	s_mov_b32 s12, -1
                                        ; implicit-def: $vgpr14
.LBB207_1428:
	s_delay_alu instid0(SALU_CYCLE_1)
	s_and_not1_b32 vcc_lo, exec_lo, s12
	s_cbranch_vccnz .LBB207_1430
; %bb.1429:
	s_wait_loadcnt 0x0
	global_load_b32 v14, v[12:13], off
.LBB207_1430:
	s_mov_b32 s12, 0
.LBB207_1431:
	s_delay_alu instid0(SALU_CYCLE_1)
	s_and_not1_b32 vcc_lo, exec_lo, s12
	s_cbranch_vccnz .LBB207_1433
; %bb.1432:
	s_wait_loadcnt 0x0
	global_load_u16 v14, v[12:13], off
.LBB207_1433:
	s_mov_b32 s12, 0
.LBB207_1434:
	s_delay_alu instid0(SALU_CYCLE_1)
	s_and_not1_b32 vcc_lo, exec_lo, s12
	s_cbranch_vccnz .LBB207_1440
; %bb.1435:
	s_cmp_gt_i32 s11, 0
	s_mov_b32 s12, 0
	s_cbranch_scc0 .LBB207_1437
; %bb.1436:
	s_wait_loadcnt 0x0
	global_load_i8 v14, v[12:13], off
	s_branch .LBB207_1438
.LBB207_1437:
	s_mov_b32 s12, -1
                                        ; implicit-def: $vgpr14
.LBB207_1438:
	s_delay_alu instid0(SALU_CYCLE_1)
	s_and_not1_b32 vcc_lo, exec_lo, s12
	s_cbranch_vccnz .LBB207_1440
; %bb.1439:
	s_wait_loadcnt 0x0
	global_load_u8 v14, v[12:13], off
.LBB207_1440:
.LBB207_1441:
	s_cmp_lt_i32 s0, 1
	s_mov_b32 s12, 0
	s_cbranch_scc1 .LBB207_1444
; %bb.1442:
	s_cmp_eq_u32 s0, 1
	s_cbranch_scc0 .LBB207_1445
; %bb.1443:
	s_wait_loadcnt 0x0
	s_delay_alu instid0(VALU_DEP_1)
	v_min_i16 v3, v14, s1
	s_mov_b32 s13, 0
	s_branch .LBB207_1446
.LBB207_1444:
	s_mov_b32 s13, 0
                                        ; implicit-def: $vgpr3
	s_cbranch_execnz .LBB207_1447
	s_branch .LBB207_1448
.LBB207_1445:
	s_mov_b32 s13, -1
                                        ; implicit-def: $vgpr3
.LBB207_1446:
	s_branch .LBB207_1448
.LBB207_1447:
	s_cmp_lg_u32 s0, 0
	s_mov_b32 s12, -1
	s_cselect_b32 s13, -1, 0
.LBB207_1448:
	s_delay_alu instid0(SALU_CYCLE_1)
	s_and_not1_b32 vcc_lo, exec_lo, s13
	s_cbranch_vccnz .LBB207_1457
; %bb.1449:
	v_mov_b32_e32 v3, 0
	s_wait_loadcnt 0x0
	s_delay_alu instid0(VALU_DEP_2)
	v_max_i16 v5, v14, s1
	global_load_u16 v3, v3, s[2:3] offset:350
	s_wait_loadcnt 0x0
	v_min_i16 v3, v5, v3
	s_cbranch_execz .LBB207_1458
.LBB207_1450:
	v_mov_b32_e32 v11, 0
	s_cmp_lt_i32 s11, 11
	s_delay_alu instid0(VALU_DEP_1)
	v_add_nc_u64_e32 v[10:11], s[6:7], v[10:11]
	s_cbranch_scc1 .LBB207_1459
.LBB207_1451:
	s_cmp_gt_i32 s11, 25
	s_mov_b32 s13, 0
	s_cbranch_scc0 .LBB207_1461
; %bb.1452:
	s_cmp_gt_i32 s11, 28
	s_cbranch_scc0 .LBB207_1462
; %bb.1453:
	s_cmp_gt_i32 s11, 43
	;; [unrolled: 3-line block ×3, first 2 shown]
	s_cbranch_scc0 .LBB207_1465
; %bb.1455:
	s_cmp_eq_u32 s11, 46
	s_mov_b32 s15, 0
	s_cbranch_scc0 .LBB207_1466
; %bb.1456:
	global_load_b32 v5, v[10:11], off
	s_mov_b32 s12, 0
	s_mov_b32 s14, -1
	s_wait_loadcnt 0x0
	v_lshlrev_b32_e32 v5, 16, v5
	s_wait_xcnt 0x1
	s_delay_alu instid0(VALU_DEP_1)
	v_cvt_i32_f32_e32 v12, v5
	s_branch .LBB207_1468
.LBB207_1457:
	s_and_not1_b32 vcc_lo, exec_lo, s12
	s_cbranch_vccnz .LBB207_1450
.LBB207_1458:
	s_wait_loadcnt 0x0
	s_delay_alu instid0(VALU_DEP_1) | instskip(SKIP_2) | instid1(VALU_DEP_1)
	v_max_i16 v3, v14, s1
	v_mov_b32_e32 v11, 0
	s_cmp_lt_i32 s11, 11
	v_add_nc_u64_e32 v[10:11], s[6:7], v[10:11]
	s_cbranch_scc0 .LBB207_1451
.LBB207_1459:
	s_mov_b32 s14, 0
                                        ; implicit-def: $vgpr12
	s_cbranch_execnz .LBB207_1530
.LBB207_1460:
	s_and_not1_b32 vcc_lo, exec_lo, s14
	s_cbranch_vccnz .LBB207_1719
	s_branch .LBB207_1578
.LBB207_1461:
	s_mov_b32 s15, -1
	s_mov_b32 s14, 0
	s_mov_b32 s12, 0
                                        ; implicit-def: $vgpr12
	s_branch .LBB207_1495
.LBB207_1462:
	s_mov_b32 s15, -1
	s_mov_b32 s14, 0
	s_mov_b32 s12, 0
                                        ; implicit-def: $vgpr12
	s_branch .LBB207_1478
.LBB207_1463:
	s_mov_b32 s15, -1
	s_mov_b32 s14, 0
	s_mov_b32 s12, 0
                                        ; implicit-def: $vgpr12
	s_branch .LBB207_1473
.LBB207_1464:
	s_or_b32 s10, s10, exec_lo
	s_trap 2
	s_cbranch_execz .LBB207_1392
	s_branch .LBB207_1393
.LBB207_1465:
	s_mov_b32 s15, -1
	s_mov_b32 s14, 0
	s_mov_b32 s12, 0
	s_branch .LBB207_1467
.LBB207_1466:
	s_mov_b32 s12, -1
	s_mov_b32 s14, 0
.LBB207_1467:
                                        ; implicit-def: $vgpr12
.LBB207_1468:
	s_and_b32 vcc_lo, exec_lo, s15
	s_cbranch_vccz .LBB207_1472
; %bb.1469:
	s_cmp_eq_u32 s11, 44
	s_cbranch_scc0 .LBB207_1471
; %bb.1470:
	global_load_u8 v5, v[10:11], off
	s_mov_b32 s12, 0
	s_mov_b32 s14, -1
	s_wait_loadcnt 0x0
	v_lshlrev_b32_e32 v7, 23, v5
	v_cmp_ne_u32_e32 vcc_lo, 0, v5
	s_delay_alu instid0(VALU_DEP_2) | instskip(SKIP_1) | instid1(VALU_DEP_1)
	v_cvt_i32_f32_e32 v7, v7
	s_wait_xcnt 0x1
	v_cndmask_b32_e32 v12, 0, v7, vcc_lo
	s_branch .LBB207_1472
.LBB207_1471:
	s_mov_b32 s12, -1
                                        ; implicit-def: $vgpr12
.LBB207_1472:
	s_mov_b32 s15, 0
.LBB207_1473:
	s_delay_alu instid0(SALU_CYCLE_1)
	s_and_b32 vcc_lo, exec_lo, s15
	s_cbranch_vccz .LBB207_1477
; %bb.1474:
	s_cmp_eq_u32 s11, 29
	s_cbranch_scc0 .LBB207_1476
; %bb.1475:
	global_load_b64 v[12:13], v[10:11], off
	s_mov_b32 s12, 0
	s_mov_b32 s14, -1
	s_branch .LBB207_1477
.LBB207_1476:
	s_mov_b32 s12, -1
                                        ; implicit-def: $vgpr12
.LBB207_1477:
	s_mov_b32 s15, 0
.LBB207_1478:
	s_delay_alu instid0(SALU_CYCLE_1)
	s_and_b32 vcc_lo, exec_lo, s15
	s_cbranch_vccz .LBB207_1494
; %bb.1479:
	s_cmp_lt_i32 s11, 27
	s_cbranch_scc1 .LBB207_1482
; %bb.1480:
	s_cmp_gt_i32 s11, 27
	s_cbranch_scc0 .LBB207_1483
; %bb.1481:
	s_wait_loadcnt 0x0
	global_load_b32 v12, v[10:11], off
	s_mov_b32 s14, 0
	s_branch .LBB207_1484
.LBB207_1482:
	s_mov_b32 s14, -1
                                        ; implicit-def: $vgpr12
	s_branch .LBB207_1487
.LBB207_1483:
	s_mov_b32 s14, -1
                                        ; implicit-def: $vgpr12
.LBB207_1484:
	s_delay_alu instid0(SALU_CYCLE_1)
	s_and_not1_b32 vcc_lo, exec_lo, s14
	s_cbranch_vccnz .LBB207_1486
; %bb.1485:
	s_wait_loadcnt 0x0
	global_load_u16 v12, v[10:11], off
.LBB207_1486:
	s_mov_b32 s14, 0
.LBB207_1487:
	s_delay_alu instid0(SALU_CYCLE_1)
	s_and_not1_b32 vcc_lo, exec_lo, s14
	s_cbranch_vccnz .LBB207_1493
; %bb.1488:
	global_load_u8 v5, v[10:11], off
	s_mov_b32 s15, 0
	s_mov_b32 s14, exec_lo
	s_wait_loadcnt 0x0
	v_cmpx_lt_i16_e32 0x7f, v5
	s_xor_b32 s14, exec_lo, s14
	s_cbranch_execz .LBB207_1505
; %bb.1489:
	v_cmp_ne_u16_e32 vcc_lo, 0x80, v5
	s_and_b32 s15, vcc_lo, exec_lo
	s_and_not1_saveexec_b32 s14, s14
	s_cbranch_execnz .LBB207_1506
.LBB207_1490:
	s_or_b32 exec_lo, exec_lo, s14
	v_mov_b32_e32 v12, 0
	s_and_saveexec_b32 s14, s15
	s_cbranch_execz .LBB207_1492
.LBB207_1491:
	v_and_b32_e32 v7, 0xffff, v5
	s_delay_alu instid0(VALU_DEP_1) | instskip(SKIP_1) | instid1(VALU_DEP_2)
	v_and_b32_e32 v9, 7, v7
	v_bfe_u32 v14, v7, 3, 4
	v_clz_i32_u32_e32 v12, v9
	s_delay_alu instid0(VALU_DEP_2) | instskip(NEXT) | instid1(VALU_DEP_2)
	v_cmp_eq_u32_e32 vcc_lo, 0, v14
	v_min_u32_e32 v12, 32, v12
	s_delay_alu instid0(VALU_DEP_1) | instskip(NEXT) | instid1(VALU_DEP_1)
	v_subrev_nc_u32_e32 v13, 28, v12
	v_dual_lshlrev_b32 v7, v13, v7 :: v_dual_sub_nc_u32 v12, 29, v12
	s_delay_alu instid0(VALU_DEP_1) | instskip(NEXT) | instid1(VALU_DEP_1)
	v_dual_lshlrev_b32 v5, 24, v5 :: v_dual_bitop2_b32 v7, 7, v7 bitop3:0x40
	v_dual_cndmask_b32 v12, v14, v12 :: v_dual_cndmask_b32 v7, v9, v7
	s_delay_alu instid0(VALU_DEP_2) | instskip(NEXT) | instid1(VALU_DEP_2)
	v_and_b32_e32 v5, 0x80000000, v5
	v_lshl_add_u32 v9, v12, 23, 0x3b800000
	s_delay_alu instid0(VALU_DEP_3) | instskip(NEXT) | instid1(VALU_DEP_1)
	v_lshlrev_b32_e32 v7, 20, v7
	v_or3_b32 v5, v5, v9, v7
	s_delay_alu instid0(VALU_DEP_1)
	v_cvt_i32_f32_e32 v12, v5
.LBB207_1492:
	s_or_b32 exec_lo, exec_lo, s14
.LBB207_1493:
	s_mov_b32 s14, -1
.LBB207_1494:
	s_mov_b32 s15, 0
.LBB207_1495:
	s_delay_alu instid0(SALU_CYCLE_1)
	s_and_b32 vcc_lo, exec_lo, s15
	s_cbranch_vccz .LBB207_1526
; %bb.1496:
	s_cmp_gt_i32 s11, 22
	s_cbranch_scc0 .LBB207_1504
; %bb.1497:
	s_cmp_lt_i32 s11, 24
	s_cbranch_scc1 .LBB207_1507
; %bb.1498:
	s_cmp_gt_i32 s11, 24
	s_cbranch_scc0 .LBB207_1508
; %bb.1499:
	global_load_u8 v5, v[10:11], off
	s_mov_b32 s14, 0
	s_mov_b32 s13, exec_lo
	s_wait_loadcnt 0x0
	v_cmpx_lt_i16_e32 0x7f, v5
	s_xor_b32 s13, exec_lo, s13
	s_cbranch_execz .LBB207_1520
; %bb.1500:
	v_cmp_ne_u16_e32 vcc_lo, 0x80, v5
	s_and_b32 s14, vcc_lo, exec_lo
	s_and_not1_saveexec_b32 s13, s13
	s_cbranch_execnz .LBB207_1521
.LBB207_1501:
	s_or_b32 exec_lo, exec_lo, s13
	v_mov_b32_e32 v12, 0
	s_and_saveexec_b32 s13, s14
	s_cbranch_execz .LBB207_1503
.LBB207_1502:
	v_and_b32_e32 v7, 0xffff, v5
	s_delay_alu instid0(VALU_DEP_1) | instskip(SKIP_1) | instid1(VALU_DEP_2)
	v_and_b32_e32 v9, 3, v7
	v_bfe_u32 v14, v7, 2, 5
	v_clz_i32_u32_e32 v12, v9
	s_delay_alu instid0(VALU_DEP_2) | instskip(NEXT) | instid1(VALU_DEP_2)
	v_cmp_eq_u32_e32 vcc_lo, 0, v14
	v_min_u32_e32 v12, 32, v12
	s_delay_alu instid0(VALU_DEP_1) | instskip(NEXT) | instid1(VALU_DEP_1)
	v_subrev_nc_u32_e32 v13, 29, v12
	v_dual_lshlrev_b32 v7, v13, v7 :: v_dual_sub_nc_u32 v12, 30, v12
	s_delay_alu instid0(VALU_DEP_1) | instskip(NEXT) | instid1(VALU_DEP_1)
	v_dual_lshlrev_b32 v5, 24, v5 :: v_dual_bitop2_b32 v7, 3, v7 bitop3:0x40
	v_dual_cndmask_b32 v12, v14, v12 :: v_dual_cndmask_b32 v7, v9, v7
	s_delay_alu instid0(VALU_DEP_2) | instskip(NEXT) | instid1(VALU_DEP_2)
	v_and_b32_e32 v5, 0x80000000, v5
	v_lshl_add_u32 v9, v12, 23, 0x37800000
	s_delay_alu instid0(VALU_DEP_3) | instskip(NEXT) | instid1(VALU_DEP_1)
	v_lshlrev_b32_e32 v7, 21, v7
	v_or3_b32 v5, v5, v9, v7
	s_delay_alu instid0(VALU_DEP_1)
	v_cvt_i32_f32_e32 v12, v5
.LBB207_1503:
	s_or_b32 exec_lo, exec_lo, s13
	s_mov_b32 s13, 0
	s_branch .LBB207_1509
.LBB207_1504:
	s_mov_b32 s13, -1
                                        ; implicit-def: $vgpr12
	s_branch .LBB207_1515
.LBB207_1505:
	s_and_not1_saveexec_b32 s14, s14
	s_cbranch_execz .LBB207_1490
.LBB207_1506:
	v_cmp_ne_u16_e32 vcc_lo, 0, v5
	s_and_not1_b32 s15, s15, exec_lo
	s_and_b32 s16, vcc_lo, exec_lo
	s_delay_alu instid0(SALU_CYCLE_1)
	s_or_b32 s15, s15, s16
	s_or_b32 exec_lo, exec_lo, s14
	v_mov_b32_e32 v12, 0
	s_and_saveexec_b32 s14, s15
	s_cbranch_execnz .LBB207_1491
	s_branch .LBB207_1492
.LBB207_1507:
	s_mov_b32 s13, -1
                                        ; implicit-def: $vgpr12
	s_branch .LBB207_1512
.LBB207_1508:
	s_mov_b32 s13, -1
                                        ; implicit-def: $vgpr12
.LBB207_1509:
	s_delay_alu instid0(SALU_CYCLE_1)
	s_and_b32 vcc_lo, exec_lo, s13
	s_cbranch_vccz .LBB207_1511
; %bb.1510:
	global_load_u8 v5, v[10:11], off
	s_wait_loadcnt 0x0
	v_lshlrev_b32_e32 v5, 24, v5
	s_delay_alu instid0(VALU_DEP_1) | instskip(NEXT) | instid1(VALU_DEP_1)
	v_and_b32_e32 v7, 0x7f000000, v5
	v_clz_i32_u32_e32 v9, v7
	s_wait_xcnt 0x1
	v_add_nc_u32_e32 v13, 0x1000000, v7
	v_cmp_ne_u32_e32 vcc_lo, 0, v7
	s_delay_alu instid0(VALU_DEP_3) | instskip(NEXT) | instid1(VALU_DEP_1)
	v_min_u32_e32 v9, 32, v9
	v_sub_nc_u32_e64 v9, v9, 4 clamp
	s_delay_alu instid0(VALU_DEP_1) | instskip(NEXT) | instid1(VALU_DEP_1)
	v_dual_lshlrev_b32 v12, v9, v7 :: v_dual_lshlrev_b32 v9, 23, v9
	v_lshrrev_b32_e32 v12, 4, v12
	s_delay_alu instid0(VALU_DEP_1) | instskip(SKIP_1) | instid1(VALU_DEP_2)
	v_sub_nc_u32_e32 v9, v12, v9
	v_ashrrev_i32_e32 v12, 8, v13
	v_add_nc_u32_e32 v9, 0x3c000000, v9
	s_delay_alu instid0(VALU_DEP_1) | instskip(NEXT) | instid1(VALU_DEP_1)
	v_and_or_b32 v9, 0x7f800000, v12, v9
	v_cndmask_b32_e32 v7, 0, v9, vcc_lo
	s_delay_alu instid0(VALU_DEP_1) | instskip(NEXT) | instid1(VALU_DEP_1)
	v_and_or_b32 v5, 0x80000000, v5, v7
	v_cvt_i32_f32_e32 v12, v5
.LBB207_1511:
	s_mov_b32 s13, 0
.LBB207_1512:
	s_delay_alu instid0(SALU_CYCLE_1)
	s_and_not1_b32 vcc_lo, exec_lo, s13
	s_cbranch_vccnz .LBB207_1514
; %bb.1513:
	global_load_u8 v5, v[10:11], off
	s_wait_loadcnt 0x0
	v_lshlrev_b32_e32 v7, 25, v5
	v_lshlrev_b16 v5, 8, v5
	s_wait_xcnt 0x1
	s_delay_alu instid0(VALU_DEP_1) | instskip(SKIP_1) | instid1(VALU_DEP_2)
	v_and_or_b32 v12, 0x7f00, v5, 0.5
	v_bfe_i32 v5, v5, 0, 16
	v_dual_add_f32 v12, -0.5, v12 :: v_dual_lshrrev_b32 v9, 4, v7
	v_cmp_gt_u32_e32 vcc_lo, 0x8000000, v7
	s_delay_alu instid0(VALU_DEP_2) | instskip(NEXT) | instid1(VALU_DEP_1)
	v_or_b32_e32 v9, 0x70000000, v9
	v_mul_f32_e32 v9, 0x7800000, v9
	s_delay_alu instid0(VALU_DEP_1) | instskip(NEXT) | instid1(VALU_DEP_1)
	v_cndmask_b32_e32 v7, v9, v12, vcc_lo
	v_and_or_b32 v5, 0x80000000, v5, v7
	s_delay_alu instid0(VALU_DEP_1)
	v_cvt_i32_f32_e32 v12, v5
.LBB207_1514:
	s_mov_b32 s13, 0
	s_mov_b32 s14, -1
.LBB207_1515:
	s_and_not1_b32 vcc_lo, exec_lo, s13
	s_mov_b32 s13, 0
	s_cbranch_vccnz .LBB207_1526
; %bb.1516:
	s_cmp_gt_i32 s11, 14
	s_cbranch_scc0 .LBB207_1519
; %bb.1517:
	s_cmp_eq_u32 s11, 15
	s_cbranch_scc0 .LBB207_1522
; %bb.1518:
	global_load_u16 v5, v[10:11], off
	s_mov_b32 s12, 0
	s_mov_b32 s14, -1
	s_wait_loadcnt 0x0
	v_lshlrev_b32_e32 v5, 16, v5
	s_wait_xcnt 0x1
	s_delay_alu instid0(VALU_DEP_1)
	v_cvt_i32_f32_e32 v12, v5
	s_branch .LBB207_1524
.LBB207_1519:
	s_mov_b32 s13, -1
	s_branch .LBB207_1523
.LBB207_1520:
	s_and_not1_saveexec_b32 s13, s13
	s_cbranch_execz .LBB207_1501
.LBB207_1521:
	v_cmp_ne_u16_e32 vcc_lo, 0, v5
	s_and_not1_b32 s14, s14, exec_lo
	s_and_b32 s15, vcc_lo, exec_lo
	s_delay_alu instid0(SALU_CYCLE_1)
	s_or_b32 s14, s14, s15
	s_or_b32 exec_lo, exec_lo, s13
	v_mov_b32_e32 v12, 0
	s_and_saveexec_b32 s13, s14
	s_cbranch_execnz .LBB207_1502
	s_branch .LBB207_1503
.LBB207_1522:
	s_mov_b32 s12, -1
.LBB207_1523:
                                        ; implicit-def: $vgpr12
.LBB207_1524:
	s_and_b32 vcc_lo, exec_lo, s13
	s_mov_b32 s13, 0
	s_cbranch_vccz .LBB207_1526
; %bb.1525:
	s_cmp_lg_u32 s11, 11
	s_mov_b32 s13, -1
	s_cselect_b32 s12, -1, 0
.LBB207_1526:
	s_delay_alu instid0(SALU_CYCLE_1)
	s_and_b32 vcc_lo, exec_lo, s12
	s_cbranch_vccnz .LBB207_1600
; %bb.1527:
	s_and_not1_b32 vcc_lo, exec_lo, s13
	s_cbranch_vccnz .LBB207_1529
.LBB207_1528:
	global_load_u8 v5, v[10:11], off
	s_mov_b32 s14, -1
	s_wait_loadcnt 0x0
	v_cmp_ne_u16_e32 vcc_lo, 0, v5
	s_wait_xcnt 0x1
	v_cndmask_b32_e64 v12, 0, 1, vcc_lo
.LBB207_1529:
	s_branch .LBB207_1460
.LBB207_1530:
	s_cmp_lt_i32 s11, 5
	s_cbranch_scc1 .LBB207_1535
; %bb.1531:
	s_cmp_lt_i32 s11, 8
	s_cbranch_scc1 .LBB207_1536
; %bb.1532:
	s_cmp_lt_i32 s11, 9
	s_cbranch_scc1 .LBB207_1537
; %bb.1533:
	s_cmp_gt_i32 s11, 9
	s_cbranch_scc0 .LBB207_1538
; %bb.1534:
	s_wait_loadcnt 0x0
	global_load_b64 v[12:13], v[10:11], off
	s_mov_b32 s12, 0
	s_wait_loadcnt 0x0
	v_cvt_i32_f64_e32 v12, v[12:13]
	s_branch .LBB207_1539
.LBB207_1535:
	s_mov_b32 s12, -1
                                        ; implicit-def: $vgpr12
	s_branch .LBB207_1557
.LBB207_1536:
	s_mov_b32 s12, -1
                                        ; implicit-def: $vgpr12
	s_branch .LBB207_1545
.LBB207_1537:
	s_mov_b32 s12, -1
                                        ; implicit-def: $vgpr12
	s_branch .LBB207_1542
.LBB207_1538:
	s_mov_b32 s12, -1
                                        ; implicit-def: $vgpr12
.LBB207_1539:
	s_delay_alu instid0(SALU_CYCLE_1)
	s_and_not1_b32 vcc_lo, exec_lo, s12
	s_cbranch_vccnz .LBB207_1541
; %bb.1540:
	global_load_b32 v5, v[10:11], off
	s_wait_loadcnt 0x0
	s_wait_xcnt 0x1
	v_cvt_i32_f32_e32 v12, v5
.LBB207_1541:
	s_mov_b32 s12, 0
.LBB207_1542:
	s_delay_alu instid0(SALU_CYCLE_1)
	s_and_not1_b32 vcc_lo, exec_lo, s12
	s_cbranch_vccnz .LBB207_1544
; %bb.1543:
	global_load_b32 v5, v[10:11], off
	s_wait_loadcnt 0x0
	s_wait_xcnt 0x1
	v_cvt_i16_f16_e32 v12, v5
.LBB207_1544:
	s_mov_b32 s12, 0
.LBB207_1545:
	s_delay_alu instid0(SALU_CYCLE_1)
	s_and_not1_b32 vcc_lo, exec_lo, s12
	s_cbranch_vccnz .LBB207_1556
; %bb.1546:
	s_cmp_lt_i32 s11, 6
	s_cbranch_scc1 .LBB207_1549
; %bb.1547:
	s_cmp_gt_i32 s11, 6
	s_cbranch_scc0 .LBB207_1550
; %bb.1548:
	s_wait_loadcnt 0x0
	global_load_b64 v[12:13], v[10:11], off
	s_mov_b32 s12, 0
	s_wait_loadcnt 0x0
	v_cvt_i32_f64_e32 v12, v[12:13]
	s_branch .LBB207_1551
.LBB207_1549:
	s_mov_b32 s12, -1
                                        ; implicit-def: $vgpr12
	s_branch .LBB207_1554
.LBB207_1550:
	s_mov_b32 s12, -1
                                        ; implicit-def: $vgpr12
.LBB207_1551:
	s_delay_alu instid0(SALU_CYCLE_1)
	s_and_not1_b32 vcc_lo, exec_lo, s12
	s_cbranch_vccnz .LBB207_1553
; %bb.1552:
	global_load_b32 v5, v[10:11], off
	s_wait_loadcnt 0x0
	s_wait_xcnt 0x1
	v_cvt_i32_f32_e32 v12, v5
.LBB207_1553:
	s_mov_b32 s12, 0
.LBB207_1554:
	s_delay_alu instid0(SALU_CYCLE_1)
	s_and_not1_b32 vcc_lo, exec_lo, s12
	s_cbranch_vccnz .LBB207_1556
; %bb.1555:
	global_load_u16 v5, v[10:11], off
	s_wait_loadcnt 0x0
	s_wait_xcnt 0x1
	v_cvt_i16_f16_e32 v12, v5
.LBB207_1556:
	s_mov_b32 s12, 0
.LBB207_1557:
	s_delay_alu instid0(SALU_CYCLE_1)
	s_and_not1_b32 vcc_lo, exec_lo, s12
	s_cbranch_vccnz .LBB207_1577
; %bb.1558:
	s_cmp_lt_i32 s11, 2
	s_cbranch_scc1 .LBB207_1562
; %bb.1559:
	s_cmp_lt_i32 s11, 3
	s_cbranch_scc1 .LBB207_1563
; %bb.1560:
	s_cmp_gt_i32 s11, 3
	s_cbranch_scc0 .LBB207_1564
; %bb.1561:
	s_wait_loadcnt 0x0
	global_load_b64 v[12:13], v[10:11], off
	s_mov_b32 s12, 0
	s_branch .LBB207_1565
.LBB207_1562:
	s_mov_b32 s12, -1
                                        ; implicit-def: $vgpr12
	s_branch .LBB207_1571
.LBB207_1563:
	s_mov_b32 s12, -1
                                        ; implicit-def: $vgpr12
	s_branch .LBB207_1568
.LBB207_1564:
	s_mov_b32 s12, -1
                                        ; implicit-def: $vgpr12
.LBB207_1565:
	s_delay_alu instid0(SALU_CYCLE_1)
	s_and_not1_b32 vcc_lo, exec_lo, s12
	s_cbranch_vccnz .LBB207_1567
; %bb.1566:
	s_wait_loadcnt 0x0
	global_load_b32 v12, v[10:11], off
.LBB207_1567:
	s_mov_b32 s12, 0
.LBB207_1568:
	s_delay_alu instid0(SALU_CYCLE_1)
	s_and_not1_b32 vcc_lo, exec_lo, s12
	s_cbranch_vccnz .LBB207_1570
; %bb.1569:
	s_wait_loadcnt 0x0
	global_load_u16 v12, v[10:11], off
.LBB207_1570:
	s_mov_b32 s12, 0
.LBB207_1571:
	s_delay_alu instid0(SALU_CYCLE_1)
	s_and_not1_b32 vcc_lo, exec_lo, s12
	s_cbranch_vccnz .LBB207_1577
; %bb.1572:
	s_cmp_gt_i32 s11, 0
	s_mov_b32 s12, 0
	s_cbranch_scc0 .LBB207_1574
; %bb.1573:
	s_wait_loadcnt 0x0
	global_load_i8 v12, v[10:11], off
	s_branch .LBB207_1575
.LBB207_1574:
	s_mov_b32 s12, -1
                                        ; implicit-def: $vgpr12
.LBB207_1575:
	s_delay_alu instid0(SALU_CYCLE_1)
	s_and_not1_b32 vcc_lo, exec_lo, s12
	s_cbranch_vccnz .LBB207_1577
; %bb.1576:
	s_wait_loadcnt 0x0
	global_load_u8 v12, v[10:11], off
.LBB207_1577:
.LBB207_1578:
	s_cmp_lt_i32 s0, 1
	s_mov_b32 s12, 0
	s_cbranch_scc1 .LBB207_1581
; %bb.1579:
	s_cmp_eq_u32 s0, 1
	s_cbranch_scc0 .LBB207_1591
; %bb.1580:
	s_wait_loadcnt 0x0
	s_delay_alu instid0(VALU_DEP_1)
	v_min_i16 v13, v12, s1
	s_mov_b32 s13, 0
	s_branch .LBB207_1592
.LBB207_1581:
	s_mov_b32 s13, 0
                                        ; implicit-def: $vgpr13
	s_cbranch_execnz .LBB207_1593
.LBB207_1582:
	s_and_not1_b32 vcc_lo, exec_lo, s13
	s_cbranch_vccnz .LBB207_1594
.LBB207_1583:
	v_mov_b32_e32 v5, 0
	s_wait_loadcnt 0x0
	s_delay_alu instid0(VALU_DEP_2)
	v_max_i16 v7, v12, s1
	global_load_u16 v5, v5, s[2:3] offset:350
	s_wait_loadcnt 0x0
	s_wait_xcnt 0x1
	v_min_i16 v13, v7, v5
	s_cbranch_execz .LBB207_1595
.LBB207_1584:
	v_mov_b32_e32 v9, 0
	s_cmp_lt_i32 s11, 11
	s_delay_alu instid0(VALU_DEP_1)
	v_add_nc_u64_e32 v[8:9], s[6:7], v[8:9]
	s_cbranch_scc1 .LBB207_1596
.LBB207_1585:
	s_cmp_gt_i32 s11, 25
	s_mov_b32 s7, 0
	s_cbranch_scc0 .LBB207_1597
; %bb.1586:
	s_cmp_gt_i32 s11, 28
	s_cbranch_scc0 .LBB207_1598
; %bb.1587:
	s_cmp_gt_i32 s11, 43
	;; [unrolled: 3-line block ×3, first 2 shown]
	s_cbranch_scc0 .LBB207_1601
; %bb.1589:
	s_cmp_eq_u32 s11, 46
	s_mov_b32 s13, 0
	s_cbranch_scc0 .LBB207_1602
; %bb.1590:
	global_load_b32 v5, v[8:9], off
	s_mov_b32 s6, 0
	s_mov_b32 s12, -1
	s_wait_loadcnt 0x0
	v_lshlrev_b32_e32 v5, 16, v5
	s_delay_alu instid0(VALU_DEP_1)
	v_cvt_i32_f32_e32 v10, v5
	s_branch .LBB207_1604
.LBB207_1591:
	s_mov_b32 s13, -1
                                        ; implicit-def: $vgpr13
.LBB207_1592:
	s_branch .LBB207_1582
.LBB207_1593:
	s_cmp_lg_u32 s0, 0
	s_mov_b32 s12, -1
	s_cselect_b32 s13, -1, 0
	s_delay_alu instid0(SALU_CYCLE_1)
	s_and_not1_b32 vcc_lo, exec_lo, s13
	s_cbranch_vccz .LBB207_1583
.LBB207_1594:
	s_and_not1_b32 vcc_lo, exec_lo, s12
	s_cbranch_vccnz .LBB207_1584
.LBB207_1595:
	s_wait_loadcnt 0x0
	s_delay_alu instid0(VALU_DEP_1) | instskip(SKIP_2) | instid1(VALU_DEP_1)
	v_max_i16 v13, v12, s1
	v_mov_b32_e32 v9, 0
	s_cmp_lt_i32 s11, 11
	v_add_nc_u64_e32 v[8:9], s[6:7], v[8:9]
	s_cbranch_scc0 .LBB207_1585
.LBB207_1596:
	s_mov_b32 s6, -1
	s_mov_b32 s12, 0
                                        ; implicit-def: $vgpr10
	s_branch .LBB207_1666
.LBB207_1597:
	s_mov_b32 s13, -1
	s_mov_b32 s12, 0
	s_mov_b32 s6, 0
                                        ; implicit-def: $vgpr10
	s_branch .LBB207_1631
.LBB207_1598:
	s_mov_b32 s13, -1
	s_mov_b32 s12, 0
	s_mov_b32 s6, 0
                                        ; implicit-def: $vgpr10
	s_branch .LBB207_1614
.LBB207_1599:
	s_mov_b32 s13, -1
	s_mov_b32 s12, 0
	s_mov_b32 s6, 0
                                        ; implicit-def: $vgpr10
	s_branch .LBB207_1609
.LBB207_1600:
	s_or_b32 s10, s10, exec_lo
	s_trap 2
	s_cbranch_execz .LBB207_1528
	s_branch .LBB207_1529
.LBB207_1601:
	s_mov_b32 s13, -1
	s_mov_b32 s12, 0
	s_mov_b32 s6, 0
	s_branch .LBB207_1603
.LBB207_1602:
	s_mov_b32 s6, -1
	s_mov_b32 s12, 0
.LBB207_1603:
                                        ; implicit-def: $vgpr10
.LBB207_1604:
	s_and_b32 vcc_lo, exec_lo, s13
	s_cbranch_vccz .LBB207_1608
; %bb.1605:
	s_cmp_eq_u32 s11, 44
	s_cbranch_scc0 .LBB207_1607
; %bb.1606:
	global_load_u8 v5, v[8:9], off
	s_mov_b32 s6, 0
	s_mov_b32 s12, -1
	s_wait_loadcnt 0x0
	v_lshlrev_b32_e32 v7, 23, v5
	v_cmp_ne_u32_e32 vcc_lo, 0, v5
	s_delay_alu instid0(VALU_DEP_2) | instskip(NEXT) | instid1(VALU_DEP_1)
	v_cvt_i32_f32_e32 v7, v7
	v_cndmask_b32_e32 v10, 0, v7, vcc_lo
	s_branch .LBB207_1608
.LBB207_1607:
	s_mov_b32 s6, -1
                                        ; implicit-def: $vgpr10
.LBB207_1608:
	s_mov_b32 s13, 0
.LBB207_1609:
	s_delay_alu instid0(SALU_CYCLE_1)
	s_and_b32 vcc_lo, exec_lo, s13
	s_cbranch_vccz .LBB207_1613
; %bb.1610:
	s_cmp_eq_u32 s11, 29
	s_cbranch_scc0 .LBB207_1612
; %bb.1611:
	global_load_b64 v[10:11], v[8:9], off
	s_mov_b32 s6, 0
	s_mov_b32 s12, -1
	s_branch .LBB207_1613
.LBB207_1612:
	s_mov_b32 s6, -1
                                        ; implicit-def: $vgpr10
.LBB207_1613:
	s_mov_b32 s13, 0
.LBB207_1614:
	s_delay_alu instid0(SALU_CYCLE_1)
	s_and_b32 vcc_lo, exec_lo, s13
	s_cbranch_vccz .LBB207_1630
; %bb.1615:
	s_cmp_lt_i32 s11, 27
	s_cbranch_scc1 .LBB207_1618
; %bb.1616:
	s_cmp_gt_i32 s11, 27
	s_cbranch_scc0 .LBB207_1619
; %bb.1617:
	s_wait_loadcnt 0x0
	global_load_b32 v10, v[8:9], off
	s_mov_b32 s12, 0
	s_branch .LBB207_1620
.LBB207_1618:
	s_mov_b32 s12, -1
                                        ; implicit-def: $vgpr10
	s_branch .LBB207_1623
.LBB207_1619:
	s_mov_b32 s12, -1
                                        ; implicit-def: $vgpr10
.LBB207_1620:
	s_delay_alu instid0(SALU_CYCLE_1)
	s_and_not1_b32 vcc_lo, exec_lo, s12
	s_cbranch_vccnz .LBB207_1622
; %bb.1621:
	s_wait_loadcnt 0x0
	global_load_u16 v10, v[8:9], off
.LBB207_1622:
	s_mov_b32 s12, 0
.LBB207_1623:
	s_delay_alu instid0(SALU_CYCLE_1)
	s_and_not1_b32 vcc_lo, exec_lo, s12
	s_cbranch_vccnz .LBB207_1629
; %bb.1624:
	global_load_u8 v5, v[8:9], off
	s_mov_b32 s13, 0
	s_mov_b32 s12, exec_lo
	s_wait_loadcnt 0x0
	v_cmpx_lt_i16_e32 0x7f, v5
	s_xor_b32 s12, exec_lo, s12
	s_cbranch_execz .LBB207_1641
; %bb.1625:
	v_cmp_ne_u16_e32 vcc_lo, 0x80, v5
	s_and_b32 s13, vcc_lo, exec_lo
	s_and_not1_saveexec_b32 s12, s12
	s_cbranch_execnz .LBB207_1642
.LBB207_1626:
	s_or_b32 exec_lo, exec_lo, s12
	v_mov_b32_e32 v10, 0
	s_and_saveexec_b32 s12, s13
	s_cbranch_execz .LBB207_1628
.LBB207_1627:
	v_and_b32_e32 v7, 0xffff, v5
	s_delay_alu instid0(VALU_DEP_1) | instskip(SKIP_1) | instid1(VALU_DEP_2)
	v_dual_lshlrev_b32 v5, 24, v5 :: v_dual_bitop2_b32 v10, 7, v7 bitop3:0x40
	v_bfe_u32 v14, v7, 3, 4
	v_and_b32_e32 v5, 0x80000000, v5
	s_delay_alu instid0(VALU_DEP_3) | instskip(NEXT) | instid1(VALU_DEP_3)
	v_clz_i32_u32_e32 v11, v10
	v_cmp_eq_u32_e32 vcc_lo, 0, v14
	s_delay_alu instid0(VALU_DEP_2) | instskip(NEXT) | instid1(VALU_DEP_1)
	v_min_u32_e32 v11, 32, v11
	v_subrev_nc_u32_e32 v12, 28, v11
	v_sub_nc_u32_e32 v11, 29, v11
	s_delay_alu instid0(VALU_DEP_2) | instskip(NEXT) | instid1(VALU_DEP_2)
	v_lshlrev_b32_e32 v7, v12, v7
	v_cndmask_b32_e32 v11, v14, v11, vcc_lo
	s_delay_alu instid0(VALU_DEP_2) | instskip(NEXT) | instid1(VALU_DEP_1)
	v_and_b32_e32 v7, 7, v7
	v_cndmask_b32_e32 v7, v10, v7, vcc_lo
	s_delay_alu instid0(VALU_DEP_3) | instskip(NEXT) | instid1(VALU_DEP_2)
	v_lshl_add_u32 v10, v11, 23, 0x3b800000
	v_lshlrev_b32_e32 v7, 20, v7
	s_delay_alu instid0(VALU_DEP_1) | instskip(NEXT) | instid1(VALU_DEP_1)
	v_or3_b32 v5, v5, v10, v7
	v_cvt_i32_f32_e32 v10, v5
.LBB207_1628:
	s_or_b32 exec_lo, exec_lo, s12
.LBB207_1629:
	s_mov_b32 s12, -1
.LBB207_1630:
	s_mov_b32 s13, 0
.LBB207_1631:
	s_delay_alu instid0(SALU_CYCLE_1)
	s_and_b32 vcc_lo, exec_lo, s13
	s_cbranch_vccz .LBB207_1662
; %bb.1632:
	s_cmp_gt_i32 s11, 22
	s_cbranch_scc0 .LBB207_1640
; %bb.1633:
	s_cmp_lt_i32 s11, 24
	s_cbranch_scc1 .LBB207_1643
; %bb.1634:
	s_cmp_gt_i32 s11, 24
	s_cbranch_scc0 .LBB207_1644
; %bb.1635:
	global_load_u8 v5, v[8:9], off
	s_mov_b32 s12, 0
	s_mov_b32 s7, exec_lo
	s_wait_loadcnt 0x0
	v_cmpx_lt_i16_e32 0x7f, v5
	s_xor_b32 s7, exec_lo, s7
	s_cbranch_execz .LBB207_1656
; %bb.1636:
	v_cmp_ne_u16_e32 vcc_lo, 0x80, v5
	s_and_b32 s12, vcc_lo, exec_lo
	s_and_not1_saveexec_b32 s7, s7
	s_cbranch_execnz .LBB207_1657
.LBB207_1637:
	s_or_b32 exec_lo, exec_lo, s7
	v_mov_b32_e32 v10, 0
	s_and_saveexec_b32 s7, s12
	s_cbranch_execz .LBB207_1639
.LBB207_1638:
	v_and_b32_e32 v7, 0xffff, v5
	s_delay_alu instid0(VALU_DEP_1) | instskip(SKIP_1) | instid1(VALU_DEP_2)
	v_dual_lshlrev_b32 v5, 24, v5 :: v_dual_bitop2_b32 v10, 3, v7 bitop3:0x40
	v_bfe_u32 v14, v7, 2, 5
	v_and_b32_e32 v5, 0x80000000, v5
	s_delay_alu instid0(VALU_DEP_3) | instskip(NEXT) | instid1(VALU_DEP_3)
	v_clz_i32_u32_e32 v11, v10
	v_cmp_eq_u32_e32 vcc_lo, 0, v14
	s_delay_alu instid0(VALU_DEP_2) | instskip(NEXT) | instid1(VALU_DEP_1)
	v_min_u32_e32 v11, 32, v11
	v_subrev_nc_u32_e32 v12, 29, v11
	v_sub_nc_u32_e32 v11, 30, v11
	s_delay_alu instid0(VALU_DEP_2) | instskip(NEXT) | instid1(VALU_DEP_2)
	v_lshlrev_b32_e32 v7, v12, v7
	v_cndmask_b32_e32 v11, v14, v11, vcc_lo
	s_delay_alu instid0(VALU_DEP_2) | instskip(NEXT) | instid1(VALU_DEP_1)
	v_and_b32_e32 v7, 3, v7
	v_cndmask_b32_e32 v7, v10, v7, vcc_lo
	s_delay_alu instid0(VALU_DEP_3) | instskip(NEXT) | instid1(VALU_DEP_2)
	v_lshl_add_u32 v10, v11, 23, 0x37800000
	v_lshlrev_b32_e32 v7, 21, v7
	s_delay_alu instid0(VALU_DEP_1) | instskip(NEXT) | instid1(VALU_DEP_1)
	v_or3_b32 v5, v5, v10, v7
	v_cvt_i32_f32_e32 v10, v5
.LBB207_1639:
	s_or_b32 exec_lo, exec_lo, s7
	s_mov_b32 s7, 0
	s_branch .LBB207_1645
.LBB207_1640:
	s_mov_b32 s7, -1
                                        ; implicit-def: $vgpr10
	s_branch .LBB207_1651
.LBB207_1641:
	s_and_not1_saveexec_b32 s12, s12
	s_cbranch_execz .LBB207_1626
.LBB207_1642:
	v_cmp_ne_u16_e32 vcc_lo, 0, v5
	s_and_not1_b32 s13, s13, exec_lo
	s_and_b32 s14, vcc_lo, exec_lo
	s_delay_alu instid0(SALU_CYCLE_1)
	s_or_b32 s13, s13, s14
	s_or_b32 exec_lo, exec_lo, s12
	v_mov_b32_e32 v10, 0
	s_and_saveexec_b32 s12, s13
	s_cbranch_execnz .LBB207_1627
	s_branch .LBB207_1628
.LBB207_1643:
	s_mov_b32 s7, -1
                                        ; implicit-def: $vgpr10
	s_branch .LBB207_1648
.LBB207_1644:
	s_mov_b32 s7, -1
                                        ; implicit-def: $vgpr10
.LBB207_1645:
	s_delay_alu instid0(SALU_CYCLE_1)
	s_and_b32 vcc_lo, exec_lo, s7
	s_cbranch_vccz .LBB207_1647
; %bb.1646:
	global_load_u8 v5, v[8:9], off
	s_wait_loadcnt 0x0
	v_lshlrev_b32_e32 v5, 24, v5
	s_delay_alu instid0(VALU_DEP_1) | instskip(NEXT) | instid1(VALU_DEP_1)
	v_and_b32_e32 v7, 0x7f000000, v5
	v_clz_i32_u32_e32 v10, v7
	v_cmp_ne_u32_e32 vcc_lo, 0, v7
	v_add_nc_u32_e32 v12, 0x1000000, v7
	s_delay_alu instid0(VALU_DEP_3) | instskip(NEXT) | instid1(VALU_DEP_1)
	v_min_u32_e32 v10, 32, v10
	v_sub_nc_u32_e64 v10, v10, 4 clamp
	s_delay_alu instid0(VALU_DEP_1) | instskip(NEXT) | instid1(VALU_DEP_1)
	v_dual_lshlrev_b32 v11, v10, v7 :: v_dual_lshlrev_b32 v10, 23, v10
	v_lshrrev_b32_e32 v11, 4, v11
	s_delay_alu instid0(VALU_DEP_1) | instskip(NEXT) | instid1(VALU_DEP_1)
	v_dual_sub_nc_u32 v10, v11, v10 :: v_dual_ashrrev_i32 v11, 8, v12
	v_add_nc_u32_e32 v10, 0x3c000000, v10
	s_delay_alu instid0(VALU_DEP_1) | instskip(NEXT) | instid1(VALU_DEP_1)
	v_and_or_b32 v10, 0x7f800000, v11, v10
	v_cndmask_b32_e32 v7, 0, v10, vcc_lo
	s_delay_alu instid0(VALU_DEP_1) | instskip(NEXT) | instid1(VALU_DEP_1)
	v_and_or_b32 v5, 0x80000000, v5, v7
	v_cvt_i32_f32_e32 v10, v5
.LBB207_1647:
	s_mov_b32 s7, 0
.LBB207_1648:
	s_delay_alu instid0(SALU_CYCLE_1)
	s_and_not1_b32 vcc_lo, exec_lo, s7
	s_cbranch_vccnz .LBB207_1650
; %bb.1649:
	global_load_u8 v5, v[8:9], off
	s_wait_loadcnt 0x0
	v_lshlrev_b32_e32 v7, 25, v5
	v_lshlrev_b16 v5, 8, v5
	s_delay_alu instid0(VALU_DEP_1) | instskip(SKIP_1) | instid1(VALU_DEP_2)
	v_and_or_b32 v11, 0x7f00, v5, 0.5
	v_bfe_i32 v5, v5, 0, 16
	v_add_f32_e32 v11, -0.5, v11
	v_lshrrev_b32_e32 v10, 4, v7
	v_cmp_gt_u32_e32 vcc_lo, 0x8000000, v7
	s_delay_alu instid0(VALU_DEP_2) | instskip(NEXT) | instid1(VALU_DEP_1)
	v_or_b32_e32 v10, 0x70000000, v10
	v_mul_f32_e32 v10, 0x7800000, v10
	s_delay_alu instid0(VALU_DEP_1) | instskip(NEXT) | instid1(VALU_DEP_1)
	v_cndmask_b32_e32 v7, v10, v11, vcc_lo
	v_and_or_b32 v5, 0x80000000, v5, v7
	s_delay_alu instid0(VALU_DEP_1)
	v_cvt_i32_f32_e32 v10, v5
.LBB207_1650:
	s_mov_b32 s7, 0
	s_mov_b32 s12, -1
.LBB207_1651:
	s_and_not1_b32 vcc_lo, exec_lo, s7
	s_mov_b32 s7, 0
	s_cbranch_vccnz .LBB207_1662
; %bb.1652:
	s_cmp_gt_i32 s11, 14
	s_cbranch_scc0 .LBB207_1655
; %bb.1653:
	s_cmp_eq_u32 s11, 15
	s_cbranch_scc0 .LBB207_1658
; %bb.1654:
	global_load_u16 v5, v[8:9], off
	s_mov_b32 s6, 0
	s_mov_b32 s12, -1
	s_wait_loadcnt 0x0
	v_lshlrev_b32_e32 v5, 16, v5
	s_delay_alu instid0(VALU_DEP_1)
	v_cvt_i32_f32_e32 v10, v5
	s_branch .LBB207_1660
.LBB207_1655:
	s_mov_b32 s7, -1
	s_branch .LBB207_1659
.LBB207_1656:
	s_and_not1_saveexec_b32 s7, s7
	s_cbranch_execz .LBB207_1637
.LBB207_1657:
	v_cmp_ne_u16_e32 vcc_lo, 0, v5
	s_and_not1_b32 s12, s12, exec_lo
	s_and_b32 s13, vcc_lo, exec_lo
	s_delay_alu instid0(SALU_CYCLE_1)
	s_or_b32 s12, s12, s13
	s_or_b32 exec_lo, exec_lo, s7
	v_mov_b32_e32 v10, 0
	s_and_saveexec_b32 s7, s12
	s_cbranch_execnz .LBB207_1638
	s_branch .LBB207_1639
.LBB207_1658:
	s_mov_b32 s6, -1
.LBB207_1659:
                                        ; implicit-def: $vgpr10
.LBB207_1660:
	s_and_b32 vcc_lo, exec_lo, s7
	s_mov_b32 s7, 0
	s_cbranch_vccz .LBB207_1662
; %bb.1661:
	s_cmp_lg_u32 s11, 11
	s_mov_b32 s7, -1
	s_cselect_b32 s6, -1, 0
.LBB207_1662:
	s_delay_alu instid0(SALU_CYCLE_1)
	s_and_b32 vcc_lo, exec_lo, s6
	s_cbranch_vccnz .LBB207_2208
; %bb.1663:
	s_and_not1_b32 vcc_lo, exec_lo, s7
	s_cbranch_vccnz .LBB207_1665
.LBB207_1664:
	global_load_u8 v5, v[8:9], off
	s_mov_b32 s12, -1
	s_wait_loadcnt 0x0
	v_cmp_ne_u16_e32 vcc_lo, 0, v5
	v_cndmask_b32_e64 v10, 0, 1, vcc_lo
.LBB207_1665:
	s_mov_b32 s6, 0
.LBB207_1666:
	s_delay_alu instid0(SALU_CYCLE_1)
	s_and_b32 vcc_lo, exec_lo, s6
	s_cbranch_vccz .LBB207_1715
; %bb.1667:
	s_cmp_lt_i32 s11, 5
	s_cbranch_scc1 .LBB207_1672
; %bb.1668:
	s_cmp_lt_i32 s11, 8
	s_cbranch_scc1 .LBB207_1673
	;; [unrolled: 3-line block ×3, first 2 shown]
; %bb.1670:
	s_cmp_gt_i32 s11, 9
	s_cbranch_scc0 .LBB207_1675
; %bb.1671:
	s_wait_loadcnt 0x0
	global_load_b64 v[10:11], v[8:9], off
	s_mov_b32 s6, 0
	s_wait_loadcnt 0x0
	v_cvt_i32_f64_e32 v10, v[10:11]
	s_branch .LBB207_1676
.LBB207_1672:
	s_mov_b32 s6, -1
                                        ; implicit-def: $vgpr10
	s_branch .LBB207_1694
.LBB207_1673:
	s_mov_b32 s6, -1
                                        ; implicit-def: $vgpr10
	s_branch .LBB207_1682
.LBB207_1674:
	s_mov_b32 s6, -1
                                        ; implicit-def: $vgpr10
	s_branch .LBB207_1679
.LBB207_1675:
	s_mov_b32 s6, -1
                                        ; implicit-def: $vgpr10
.LBB207_1676:
	s_delay_alu instid0(SALU_CYCLE_1)
	s_and_not1_b32 vcc_lo, exec_lo, s6
	s_cbranch_vccnz .LBB207_1678
; %bb.1677:
	global_load_b32 v5, v[8:9], off
	s_wait_loadcnt 0x0
	v_cvt_i32_f32_e32 v10, v5
.LBB207_1678:
	s_mov_b32 s6, 0
.LBB207_1679:
	s_delay_alu instid0(SALU_CYCLE_1)
	s_and_not1_b32 vcc_lo, exec_lo, s6
	s_cbranch_vccnz .LBB207_1681
; %bb.1680:
	global_load_b32 v5, v[8:9], off
	s_wait_loadcnt 0x0
	v_cvt_i16_f16_e32 v10, v5
.LBB207_1681:
	s_mov_b32 s6, 0
.LBB207_1682:
	s_delay_alu instid0(SALU_CYCLE_1)
	s_and_not1_b32 vcc_lo, exec_lo, s6
	s_cbranch_vccnz .LBB207_1693
; %bb.1683:
	s_cmp_lt_i32 s11, 6
	s_cbranch_scc1 .LBB207_1686
; %bb.1684:
	s_cmp_gt_i32 s11, 6
	s_cbranch_scc0 .LBB207_1687
; %bb.1685:
	s_wait_loadcnt 0x0
	global_load_b64 v[10:11], v[8:9], off
	s_mov_b32 s6, 0
	s_wait_loadcnt 0x0
	v_cvt_i32_f64_e32 v10, v[10:11]
	s_branch .LBB207_1688
.LBB207_1686:
	s_mov_b32 s6, -1
                                        ; implicit-def: $vgpr10
	s_branch .LBB207_1691
.LBB207_1687:
	s_mov_b32 s6, -1
                                        ; implicit-def: $vgpr10
.LBB207_1688:
	s_delay_alu instid0(SALU_CYCLE_1)
	s_and_not1_b32 vcc_lo, exec_lo, s6
	s_cbranch_vccnz .LBB207_1690
; %bb.1689:
	global_load_b32 v5, v[8:9], off
	s_wait_loadcnt 0x0
	v_cvt_i32_f32_e32 v10, v5
.LBB207_1690:
	s_mov_b32 s6, 0
.LBB207_1691:
	s_delay_alu instid0(SALU_CYCLE_1)
	s_and_not1_b32 vcc_lo, exec_lo, s6
	s_cbranch_vccnz .LBB207_1693
; %bb.1692:
	global_load_u16 v5, v[8:9], off
	s_wait_loadcnt 0x0
	v_cvt_i16_f16_e32 v10, v5
.LBB207_1693:
	s_mov_b32 s6, 0
.LBB207_1694:
	s_delay_alu instid0(SALU_CYCLE_1)
	s_and_not1_b32 vcc_lo, exec_lo, s6
	s_cbranch_vccnz .LBB207_1714
; %bb.1695:
	s_cmp_lt_i32 s11, 2
	s_cbranch_scc1 .LBB207_1699
; %bb.1696:
	s_cmp_lt_i32 s11, 3
	s_cbranch_scc1 .LBB207_1700
; %bb.1697:
	s_cmp_gt_i32 s11, 3
	s_cbranch_scc0 .LBB207_1701
; %bb.1698:
	s_wait_loadcnt 0x0
	global_load_b64 v[10:11], v[8:9], off
	s_mov_b32 s6, 0
	s_branch .LBB207_1702
.LBB207_1699:
	s_mov_b32 s6, -1
                                        ; implicit-def: $vgpr10
	s_branch .LBB207_1708
.LBB207_1700:
	s_mov_b32 s6, -1
                                        ; implicit-def: $vgpr10
	s_branch .LBB207_1705
.LBB207_1701:
	s_mov_b32 s6, -1
                                        ; implicit-def: $vgpr10
.LBB207_1702:
	s_delay_alu instid0(SALU_CYCLE_1)
	s_and_not1_b32 vcc_lo, exec_lo, s6
	s_cbranch_vccnz .LBB207_1704
; %bb.1703:
	s_wait_loadcnt 0x0
	global_load_b32 v10, v[8:9], off
.LBB207_1704:
	s_mov_b32 s6, 0
.LBB207_1705:
	s_delay_alu instid0(SALU_CYCLE_1)
	s_and_not1_b32 vcc_lo, exec_lo, s6
	s_cbranch_vccnz .LBB207_1707
; %bb.1706:
	s_wait_loadcnt 0x0
	global_load_u16 v10, v[8:9], off
.LBB207_1707:
	s_mov_b32 s6, 0
.LBB207_1708:
	s_delay_alu instid0(SALU_CYCLE_1)
	s_and_not1_b32 vcc_lo, exec_lo, s6
	s_cbranch_vccnz .LBB207_1714
; %bb.1709:
	s_cmp_gt_i32 s11, 0
	s_mov_b32 s6, 0
	s_cbranch_scc0 .LBB207_1711
; %bb.1710:
	s_wait_loadcnt 0x0
	global_load_i8 v10, v[8:9], off
	s_branch .LBB207_1712
.LBB207_1711:
	s_mov_b32 s6, -1
                                        ; implicit-def: $vgpr10
.LBB207_1712:
	s_delay_alu instid0(SALU_CYCLE_1)
	s_and_not1_b32 vcc_lo, exec_lo, s6
	s_cbranch_vccnz .LBB207_1714
; %bb.1713:
	s_wait_loadcnt 0x0
	global_load_u8 v10, v[8:9], off
.LBB207_1714:
	s_mov_b32 s12, -1
.LBB207_1715:
	s_delay_alu instid0(SALU_CYCLE_1)
	s_and_not1_b32 vcc_lo, exec_lo, s12
	s_cbranch_vccnz .LBB207_1719
; %bb.1716:
	s_cmp_lt_i32 s0, 1
	s_mov_b32 s6, 0
	s_cbranch_scc1 .LBB207_1764
; %bb.1717:
	s_cmp_eq_u32 s0, 1
	s_cbranch_scc0 .LBB207_1765
; %bb.1718:
	s_wait_loadcnt 0x0
	s_delay_alu instid0(VALU_DEP_1)
	v_min_i16 v11, v10, s1
	s_mov_b32 s7, 0
	s_branch .LBB207_1766
.LBB207_1719:
	s_mov_b32 s0, 0
	s_wait_xcnt 0x0
	s_mov_b32 s3, 0
                                        ; implicit-def: $vgpr2_vgpr3
                                        ; implicit-def: $sgpr1
                                        ; implicit-def: $vgpr11
.LBB207_1720:
	s_and_not1_b32 s2, s8, exec_lo
	s_and_b32 s4, s10, exec_lo
	s_and_b32 s0, s0, exec_lo
	;; [unrolled: 1-line block ×3, first 2 shown]
	s_or_b32 s8, s2, s4
.LBB207_1721:
	s_wait_xcnt 0x0
	s_or_b32 exec_lo, exec_lo, s9
	s_and_saveexec_b32 s2, s8
	s_cbranch_execz .LBB207_1724
; %bb.1722:
	; divergent unreachable
	s_or_b32 exec_lo, exec_lo, s2
	s_and_saveexec_b32 s2, s34
	s_delay_alu instid0(SALU_CYCLE_1)
	s_xor_b32 s2, exec_lo, s2
	s_cbranch_execnz .LBB207_1725
.LBB207_1723:
	s_or_b32 exec_lo, exec_lo, s2
	s_and_saveexec_b32 s2, s0
	s_cbranch_execnz .LBB207_1726
	s_branch .LBB207_1763
.LBB207_1724:
	s_or_b32 exec_lo, exec_lo, s2
	s_and_saveexec_b32 s2, s34
	s_delay_alu instid0(SALU_CYCLE_1)
	s_xor_b32 s2, exec_lo, s2
	s_cbranch_execz .LBB207_1723
.LBB207_1725:
	s_wait_loadcnt 0x0
	v_cmp_ne_u16_e32 vcc_lo, 0, v11
	v_cndmask_b32_e64 v0, 0, 1, vcc_lo
	global_store_b8 v[2:3], v0, off
	s_wait_xcnt 0x0
	s_or_b32 exec_lo, exec_lo, s2
	s_and_saveexec_b32 s2, s0
	s_cbranch_execz .LBB207_1763
.LBB207_1726:
	s_sext_i32_i16 s2, s1
	s_mov_b32 s0, -1
	s_cmp_lt_i32 s2, 5
	s_cbranch_scc1 .LBB207_1747
; %bb.1727:
	s_cmp_lt_i32 s2, 8
	s_cbranch_scc1 .LBB207_1737
; %bb.1728:
	;; [unrolled: 3-line block ×3, first 2 shown]
	s_cmp_gt_i32 s2, 9
	s_cbranch_scc0 .LBB207_1731
; %bb.1730:
	s_wait_loadcnt 0x0
	v_bfe_i32 v0, v11, 0, 16
	v_mov_b32_e32 v6, 0
	s_mov_b32 s0, 0
	s_delay_alu instid0(VALU_DEP_2) | instskip(NEXT) | instid1(VALU_DEP_2)
	v_cvt_f64_i32_e32 v[4:5], v0
	v_mov_b32_e32 v7, v6
	global_store_b128 v[2:3], v[4:7], off
.LBB207_1731:
	s_and_not1_b32 vcc_lo, exec_lo, s0
	s_cbranch_vccnz .LBB207_1733
; %bb.1732:
	s_wait_loadcnt 0x0
	v_bfe_i32 v0, v11, 0, 16
	v_mov_b32_e32 v1, 0
	s_delay_alu instid0(VALU_DEP_2)
	v_cvt_f32_i32_e32 v0, v0
	global_store_b64 v[2:3], v[0:1], off
.LBB207_1733:
	s_mov_b32 s0, 0
.LBB207_1734:
	s_delay_alu instid0(SALU_CYCLE_1)
	s_and_not1_b32 vcc_lo, exec_lo, s0
	s_cbranch_vccnz .LBB207_1736
; %bb.1735:
	s_wait_loadcnt 0x0
	v_cvt_f16_i16_e32 v0, v11
	s_delay_alu instid0(VALU_DEP_1)
	v_and_b32_e32 v0, 0xffff, v0
	global_store_b32 v[2:3], v0, off
.LBB207_1736:
	s_mov_b32 s0, 0
.LBB207_1737:
	s_delay_alu instid0(SALU_CYCLE_1)
	s_and_not1_b32 vcc_lo, exec_lo, s0
	s_cbranch_vccnz .LBB207_1746
; %bb.1738:
	s_sext_i32_i16 s2, s1
	s_mov_b32 s0, -1
	s_cmp_lt_i32 s2, 6
	s_cbranch_scc1 .LBB207_1744
; %bb.1739:
	s_cmp_gt_i32 s2, 6
	s_cbranch_scc0 .LBB207_1741
; %bb.1740:
	s_wait_loadcnt 0x0
	v_bfe_i32 v0, v11, 0, 16
	s_mov_b32 s0, 0
	s_delay_alu instid0(VALU_DEP_1)
	v_cvt_f64_i32_e32 v[0:1], v0
	global_store_b64 v[2:3], v[0:1], off
.LBB207_1741:
	s_and_not1_b32 vcc_lo, exec_lo, s0
	s_cbranch_vccnz .LBB207_1743
; %bb.1742:
	s_wait_loadcnt 0x0
	v_bfe_i32 v0, v11, 0, 16
	s_delay_alu instid0(VALU_DEP_1)
	v_cvt_f32_i32_e32 v0, v0
	global_store_b32 v[2:3], v0, off
.LBB207_1743:
	s_mov_b32 s0, 0
.LBB207_1744:
	s_delay_alu instid0(SALU_CYCLE_1)
	s_and_not1_b32 vcc_lo, exec_lo, s0
	s_cbranch_vccnz .LBB207_1746
; %bb.1745:
	s_wait_loadcnt 0x0
	v_cvt_f16_i16_e32 v0, v11
	global_store_b16 v[2:3], v0, off
.LBB207_1746:
	s_mov_b32 s0, 0
.LBB207_1747:
	s_delay_alu instid0(SALU_CYCLE_1)
	s_and_not1_b32 vcc_lo, exec_lo, s0
	s_cbranch_vccnz .LBB207_1763
; %bb.1748:
	s_sext_i32_i16 s2, s1
	s_mov_b32 s0, -1
	s_cmp_lt_i32 s2, 2
	s_cbranch_scc1 .LBB207_1758
; %bb.1749:
	s_cmp_lt_i32 s2, 3
	s_cbranch_scc1 .LBB207_1755
; %bb.1750:
	s_cmp_gt_i32 s2, 3
	s_cbranch_scc0 .LBB207_1752
; %bb.1751:
	s_wait_loadcnt 0x0
	v_bfe_i32 v0, v11, 0, 16
	s_mov_b32 s0, 0
	s_delay_alu instid0(VALU_DEP_1)
	v_ashrrev_i32_e32 v1, 31, v0
	global_store_b64 v[2:3], v[0:1], off
.LBB207_1752:
	s_and_not1_b32 vcc_lo, exec_lo, s0
	s_cbranch_vccnz .LBB207_1754
; %bb.1753:
	s_wait_loadcnt 0x0
	v_bfe_i32 v0, v11, 0, 16
	global_store_b32 v[2:3], v0, off
.LBB207_1754:
	s_mov_b32 s0, 0
.LBB207_1755:
	s_delay_alu instid0(SALU_CYCLE_1)
	s_and_not1_b32 vcc_lo, exec_lo, s0
	s_cbranch_vccnz .LBB207_1757
; %bb.1756:
	s_wait_loadcnt 0x0
	global_store_b16 v[2:3], v11, off
.LBB207_1757:
	s_mov_b32 s0, 0
.LBB207_1758:
	s_delay_alu instid0(SALU_CYCLE_1)
	s_and_not1_b32 vcc_lo, exec_lo, s0
	s_cbranch_vccnz .LBB207_1763
; %bb.1759:
	s_sext_i32_i16 s0, s1
	s_delay_alu instid0(SALU_CYCLE_1)
	s_cmp_gt_i32 s0, 0
	s_mov_b32 s0, -1
	s_cbranch_scc0 .LBB207_1761
; %bb.1760:
	s_mov_b32 s0, 0
	s_wait_loadcnt 0x0
	global_store_b8 v[2:3], v11, off
.LBB207_1761:
	s_and_not1_b32 vcc_lo, exec_lo, s0
	s_cbranch_vccnz .LBB207_1763
; %bb.1762:
	s_wait_loadcnt 0x0
	global_store_b8 v[2:3], v11, off
	s_endpgm
.LBB207_1763:
	s_endpgm
.LBB207_1764:
	s_mov_b32 s11, -1
	s_mov_b32 s7, 0
                                        ; implicit-def: $vgpr11
	s_branch .LBB207_1767
.LBB207_1765:
	s_mov_b32 s7, -1
                                        ; implicit-def: $vgpr11
.LBB207_1766:
	s_mov_b32 s11, 0
.LBB207_1767:
	s_delay_alu instid0(SALU_CYCLE_1)
	s_and_b32 vcc_lo, exec_lo, s11
	s_cbranch_vccz .LBB207_1849
; %bb.1768:
	s_cmp_lg_u32 s0, 0
	s_mov_b32 s6, -1
	s_cselect_b32 s7, -1, 0
	s_delay_alu instid0(SALU_CYCLE_1)
	s_and_not1_b32 vcc_lo, exec_lo, s7
	s_cbranch_vccz .LBB207_1850
.LBB207_1769:
	s_and_not1_b32 vcc_lo, exec_lo, s6
	s_cbranch_vccnz .LBB207_1771
.LBB207_1770:
	s_wait_loadcnt 0x0
	s_delay_alu instid0(VALU_DEP_1)
	v_max_i16 v11, v10, s1
.LBB207_1771:
	s_load_b32 s0, s[2:3], 0x160
	v_mov_b32_e32 v7, 0
	s_delay_alu instid0(VALU_DEP_1) | instskip(SKIP_2) | instid1(SALU_CYCLE_1)
	v_add_nc_u64_e32 v[6:7], s[4:5], v[6:7]
	s_wait_kmcnt 0x0
	s_and_b32 s1, s0, 0xff
	s_cmp_lt_i32 s1, 11
	s_cbranch_scc1 .LBB207_1851
; %bb.1772:
	s_and_b32 s2, 0xffff, s1
	s_mov_b32 s7, -1
	s_mov_b32 s3, 0
	s_cmp_gt_i32 s2, 25
	s_mov_b32 s6, 0
	s_mov_b32 s0, 0
	s_cbranch_scc0 .LBB207_1805
; %bb.1773:
	s_cmp_gt_i32 s2, 28
	s_cbranch_scc0 .LBB207_1788
; %bb.1774:
	s_cmp_gt_i32 s2, 43
	;; [unrolled: 3-line block ×3, first 2 shown]
	s_cbranch_scc0 .LBB207_1778
; %bb.1776:
	s_mov_b32 s0, -1
	s_mov_b32 s7, 0
	s_cmp_eq_u32 s2, 46
	s_cbranch_scc0 .LBB207_1778
; %bb.1777:
	v_bfe_i32 v5, v1, 0, 16
	s_mov_b32 s0, 0
	s_mov_b32 s6, -1
	s_delay_alu instid0(VALU_DEP_1) | instskip(NEXT) | instid1(VALU_DEP_1)
	v_cvt_f32_i32_e32 v5, v5
	v_bfe_u32 v8, v5, 16, 1
	s_delay_alu instid0(VALU_DEP_1) | instskip(NEXT) | instid1(VALU_DEP_1)
	v_add3_u32 v5, v5, v8, 0x7fff
	v_lshrrev_b32_e32 v5, 16, v5
	global_store_b32 v[6:7], v5, off
.LBB207_1778:
	s_and_b32 vcc_lo, exec_lo, s7
	s_cbranch_vccz .LBB207_1783
; %bb.1779:
	s_cmp_eq_u32 s2, 44
	s_mov_b32 s0, -1
	s_cbranch_scc0 .LBB207_1783
; %bb.1780:
	s_wait_xcnt 0x0
	v_bfe_i32 v5, v1, 0, 16
	v_mov_b32_e32 v8, 0xff
	s_mov_b32 s6, exec_lo
	s_delay_alu instid0(VALU_DEP_2) | instskip(NEXT) | instid1(VALU_DEP_1)
	v_cvt_f32_i32_e32 v5, v5
	v_bfe_u32 v9, v5, 23, 8
	s_delay_alu instid0(VALU_DEP_1)
	v_cmpx_ne_u32_e32 0xff, v9
	s_cbranch_execz .LBB207_1782
; %bb.1781:
	v_and_b32_e32 v8, 0x400000, v5
	v_and_or_b32 v9, 0x3fffff, v5, v9
	v_lshrrev_b32_e32 v5, 23, v5
	s_delay_alu instid0(VALU_DEP_3) | instskip(NEXT) | instid1(VALU_DEP_3)
	v_cmp_ne_u32_e32 vcc_lo, 0, v8
	v_cmp_ne_u32_e64 s0, 0, v9
	s_and_b32 s0, vcc_lo, s0
	s_delay_alu instid0(SALU_CYCLE_1) | instskip(NEXT) | instid1(VALU_DEP_1)
	v_cndmask_b32_e64 v8, 0, 1, s0
	v_add_nc_u32_e32 v8, v5, v8
.LBB207_1782:
	s_or_b32 exec_lo, exec_lo, s6
	s_mov_b32 s0, 0
	s_mov_b32 s6, -1
	global_store_b8 v[6:7], v8, off
.LBB207_1783:
	s_mov_b32 s7, 0
.LBB207_1784:
	s_delay_alu instid0(SALU_CYCLE_1)
	s_and_b32 vcc_lo, exec_lo, s7
	s_cbranch_vccz .LBB207_1787
; %bb.1785:
	s_cmp_eq_u32 s2, 29
	s_mov_b32 s0, -1
	s_cbranch_scc0 .LBB207_1787
; %bb.1786:
	s_wait_xcnt 0x0
	v_bfe_i32 v8, v1, 0, 16
	s_mov_b32 s0, 0
	s_mov_b32 s6, -1
	s_delay_alu instid0(VALU_DEP_1)
	v_ashrrev_i32_e32 v9, 31, v8
	global_store_b64 v[6:7], v[8:9], off
.LBB207_1787:
	s_mov_b32 s7, 0
.LBB207_1788:
	s_delay_alu instid0(SALU_CYCLE_1)
	s_and_b32 vcc_lo, exec_lo, s7
	s_cbranch_vccz .LBB207_1804
; %bb.1789:
	s_cmp_lt_i32 s2, 27
	s_mov_b32 s6, -1
	s_cbranch_scc1 .LBB207_1795
; %bb.1790:
	s_cmp_gt_i32 s2, 27
	s_cbranch_scc0 .LBB207_1792
; %bb.1791:
	s_wait_xcnt 0x0
	v_bfe_i32 v5, v1, 0, 16
	s_mov_b32 s6, 0
	global_store_b32 v[6:7], v5, off
.LBB207_1792:
	s_and_not1_b32 vcc_lo, exec_lo, s6
	s_cbranch_vccnz .LBB207_1794
; %bb.1793:
	global_store_b16 v[6:7], v1, off
.LBB207_1794:
	s_mov_b32 s6, 0
.LBB207_1795:
	s_delay_alu instid0(SALU_CYCLE_1)
	s_and_not1_b32 vcc_lo, exec_lo, s6
	s_cbranch_vccnz .LBB207_1803
; %bb.1796:
	s_wait_xcnt 0x0
	v_bfe_i32 v5, v1, 0, 16
	v_mov_b32_e32 v9, 0x80
	s_mov_b32 s6, exec_lo
	s_delay_alu instid0(VALU_DEP_2) | instskip(NEXT) | instid1(VALU_DEP_1)
	v_cvt_f32_i32_e32 v5, v5
	v_and_b32_e32 v8, 0x7fffffff, v5
	s_delay_alu instid0(VALU_DEP_1)
	v_cmpx_gt_u32_e32 0x43800000, v8
	s_cbranch_execz .LBB207_1802
; %bb.1797:
	v_cmp_lt_u32_e32 vcc_lo, 0x3bffffff, v8
	s_mov_b32 s7, 0
                                        ; implicit-def: $vgpr8
	s_and_saveexec_b32 s11, vcc_lo
	s_delay_alu instid0(SALU_CYCLE_1)
	s_xor_b32 s11, exec_lo, s11
	s_cbranch_execz .LBB207_2209
; %bb.1798:
	v_bfe_u32 v8, v5, 20, 1
	s_mov_b32 s7, exec_lo
	s_delay_alu instid0(VALU_DEP_1) | instskip(NEXT) | instid1(VALU_DEP_1)
	v_add3_u32 v8, v5, v8, 0x487ffff
	v_lshrrev_b32_e32 v8, 20, v8
	s_and_not1_saveexec_b32 s11, s11
	s_cbranch_execnz .LBB207_2210
.LBB207_1799:
	s_or_b32 exec_lo, exec_lo, s11
	v_mov_b32_e32 v9, 0
	s_and_saveexec_b32 s11, s7
.LBB207_1800:
	v_lshrrev_b32_e32 v5, 24, v5
	s_delay_alu instid0(VALU_DEP_1)
	v_and_or_b32 v9, 0x80, v5, v8
.LBB207_1801:
	s_or_b32 exec_lo, exec_lo, s11
.LBB207_1802:
	s_delay_alu instid0(SALU_CYCLE_1)
	s_or_b32 exec_lo, exec_lo, s6
	global_store_b8 v[6:7], v9, off
.LBB207_1803:
	s_mov_b32 s6, -1
.LBB207_1804:
	s_mov_b32 s7, 0
.LBB207_1805:
	s_delay_alu instid0(SALU_CYCLE_1)
	s_and_b32 vcc_lo, exec_lo, s7
	s_cbranch_vccz .LBB207_1845
; %bb.1806:
	s_cmp_gt_i32 s2, 22
	s_mov_b32 s3, -1
	s_cbranch_scc0 .LBB207_1838
; %bb.1807:
	s_cmp_lt_i32 s2, 24
	s_cbranch_scc1 .LBB207_1827
; %bb.1808:
	s_cmp_gt_i32 s2, 24
	s_cbranch_scc0 .LBB207_1816
; %bb.1809:
	s_wait_xcnt 0x0
	v_bfe_i32 v5, v1, 0, 16
	v_mov_b32_e32 v9, 0x80
	s_mov_b32 s3, exec_lo
	s_delay_alu instid0(VALU_DEP_2) | instskip(NEXT) | instid1(VALU_DEP_1)
	v_cvt_f32_i32_e32 v5, v5
	v_and_b32_e32 v8, 0x7fffffff, v5
	s_delay_alu instid0(VALU_DEP_1)
	v_cmpx_gt_u32_e32 0x47800000, v8
	s_cbranch_execz .LBB207_1815
; %bb.1810:
	v_cmp_lt_u32_e32 vcc_lo, 0x37ffffff, v8
	s_mov_b32 s6, 0
                                        ; implicit-def: $vgpr8
	s_and_saveexec_b32 s7, vcc_lo
	s_delay_alu instid0(SALU_CYCLE_1)
	s_xor_b32 s7, exec_lo, s7
	s_cbranch_execz .LBB207_2212
; %bb.1811:
	v_bfe_u32 v8, v5, 21, 1
	s_mov_b32 s6, exec_lo
	s_delay_alu instid0(VALU_DEP_1) | instskip(NEXT) | instid1(VALU_DEP_1)
	v_add3_u32 v8, v5, v8, 0x88fffff
	v_lshrrev_b32_e32 v8, 21, v8
	s_and_not1_saveexec_b32 s7, s7
	s_cbranch_execnz .LBB207_2213
.LBB207_1812:
	s_or_b32 exec_lo, exec_lo, s7
	v_mov_b32_e32 v9, 0
	s_and_saveexec_b32 s7, s6
.LBB207_1813:
	v_lshrrev_b32_e32 v5, 24, v5
	s_delay_alu instid0(VALU_DEP_1)
	v_and_or_b32 v9, 0x80, v5, v8
.LBB207_1814:
	s_or_b32 exec_lo, exec_lo, s7
.LBB207_1815:
	s_delay_alu instid0(SALU_CYCLE_1)
	s_or_b32 exec_lo, exec_lo, s3
	s_mov_b32 s3, 0
	global_store_b8 v[6:7], v9, off
.LBB207_1816:
	s_and_b32 vcc_lo, exec_lo, s3
	s_cbranch_vccz .LBB207_1826
; %bb.1817:
	s_wait_xcnt 0x0
	v_bfe_i32 v5, v1, 0, 16
	s_mov_b32 s3, exec_lo
                                        ; implicit-def: $vgpr8
	s_delay_alu instid0(VALU_DEP_1) | instskip(NEXT) | instid1(VALU_DEP_1)
	v_cvt_f32_i32_e32 v5, v5
	v_and_b32_e32 v9, 0x7fffffff, v5
	s_delay_alu instid0(VALU_DEP_1)
	v_cmpx_gt_u32_e32 0x43f00000, v9
	s_xor_b32 s3, exec_lo, s3
	s_cbranch_execz .LBB207_1823
; %bb.1818:
	s_mov_b32 s6, exec_lo
                                        ; implicit-def: $vgpr8
	v_cmpx_lt_u32_e32 0x3c7fffff, v9
	s_xor_b32 s6, exec_lo, s6
; %bb.1819:
	v_bfe_u32 v8, v5, 20, 1
	s_delay_alu instid0(VALU_DEP_1) | instskip(NEXT) | instid1(VALU_DEP_1)
	v_add3_u32 v8, v5, v8, 0x407ffff
	v_and_b32_e32 v9, 0xff00000, v8
	v_lshrrev_b32_e32 v8, 20, v8
	s_delay_alu instid0(VALU_DEP_2) | instskip(NEXT) | instid1(VALU_DEP_2)
	v_cmp_ne_u32_e32 vcc_lo, 0x7f00000, v9
	v_cndmask_b32_e32 v8, 0x7e, v8, vcc_lo
; %bb.1820:
	s_and_not1_saveexec_b32 s6, s6
; %bb.1821:
	v_add_f32_e64 v8, 0x46800000, |v5|
; %bb.1822:
	s_or_b32 exec_lo, exec_lo, s6
                                        ; implicit-def: $vgpr9
.LBB207_1823:
	s_and_not1_saveexec_b32 s3, s3
; %bb.1824:
	v_mov_b32_e32 v8, 0x7f
	v_cmp_lt_u32_e32 vcc_lo, 0x7f800000, v9
	s_delay_alu instid0(VALU_DEP_2)
	v_cndmask_b32_e32 v8, 0x7e, v8, vcc_lo
; %bb.1825:
	s_or_b32 exec_lo, exec_lo, s3
	v_lshrrev_b32_e32 v5, 24, v5
	s_delay_alu instid0(VALU_DEP_1)
	v_and_or_b32 v5, 0x80, v5, v8
	global_store_b8 v[6:7], v5, off
.LBB207_1826:
	s_mov_b32 s3, 0
.LBB207_1827:
	s_delay_alu instid0(SALU_CYCLE_1)
	s_and_not1_b32 vcc_lo, exec_lo, s3
	s_cbranch_vccnz .LBB207_1837
; %bb.1828:
	s_wait_xcnt 0x0
	v_bfe_i32 v5, v1, 0, 16
	s_mov_b32 s3, exec_lo
                                        ; implicit-def: $vgpr8
	s_delay_alu instid0(VALU_DEP_1) | instskip(NEXT) | instid1(VALU_DEP_1)
	v_cvt_f32_i32_e32 v5, v5
	v_and_b32_e32 v9, 0x7fffffff, v5
	s_delay_alu instid0(VALU_DEP_1)
	v_cmpx_gt_u32_e32 0x47800000, v9
	s_xor_b32 s3, exec_lo, s3
	s_cbranch_execz .LBB207_1834
; %bb.1829:
	s_mov_b32 s6, exec_lo
                                        ; implicit-def: $vgpr8
	v_cmpx_lt_u32_e32 0x387fffff, v9
	s_xor_b32 s6, exec_lo, s6
; %bb.1830:
	v_bfe_u32 v8, v5, 21, 1
	s_delay_alu instid0(VALU_DEP_1) | instskip(NEXT) | instid1(VALU_DEP_1)
	v_add3_u32 v8, v5, v8, 0x80fffff
	v_lshrrev_b32_e32 v8, 21, v8
; %bb.1831:
	s_and_not1_saveexec_b32 s6, s6
; %bb.1832:
	v_add_f32_e64 v8, 0x43000000, |v5|
; %bb.1833:
	s_or_b32 exec_lo, exec_lo, s6
                                        ; implicit-def: $vgpr9
.LBB207_1834:
	s_and_not1_saveexec_b32 s3, s3
; %bb.1835:
	v_mov_b32_e32 v8, 0x7f
	v_cmp_lt_u32_e32 vcc_lo, 0x7f800000, v9
	s_delay_alu instid0(VALU_DEP_2)
	v_cndmask_b32_e32 v8, 0x7c, v8, vcc_lo
; %bb.1836:
	s_or_b32 exec_lo, exec_lo, s3
	v_lshrrev_b32_e32 v5, 24, v5
	s_delay_alu instid0(VALU_DEP_1)
	v_and_or_b32 v5, 0x80, v5, v8
	global_store_b8 v[6:7], v5, off
.LBB207_1837:
	s_mov_b32 s3, 0
	s_mov_b32 s6, -1
.LBB207_1838:
	s_and_not1_b32 vcc_lo, exec_lo, s3
	s_mov_b32 s3, 0
	s_cbranch_vccnz .LBB207_1845
; %bb.1839:
	s_cmp_gt_i32 s2, 14
	s_mov_b32 s3, -1
	s_cbranch_scc0 .LBB207_1843
; %bb.1840:
	s_cmp_eq_u32 s2, 15
	s_mov_b32 s0, -1
	s_cbranch_scc0 .LBB207_1842
; %bb.1841:
	s_wait_xcnt 0x0
	v_bfe_i32 v5, v1, 0, 16
	s_mov_b32 s0, 0
	s_mov_b32 s6, -1
	s_delay_alu instid0(VALU_DEP_1) | instskip(NEXT) | instid1(VALU_DEP_1)
	v_cvt_f32_i32_e32 v5, v5
	v_bfe_u32 v8, v5, 16, 1
	s_delay_alu instid0(VALU_DEP_1)
	v_add3_u32 v5, v5, v8, 0x7fff
	global_store_d16_hi_b16 v[6:7], v5, off
.LBB207_1842:
	s_mov_b32 s3, 0
.LBB207_1843:
	s_delay_alu instid0(SALU_CYCLE_1)
	s_and_b32 vcc_lo, exec_lo, s3
	s_mov_b32 s3, 0
	s_cbranch_vccz .LBB207_1845
; %bb.1844:
	s_cmp_lg_u32 s2, 11
	s_mov_b32 s3, -1
	s_cselect_b32 s0, -1, 0
.LBB207_1845:
	s_delay_alu instid0(SALU_CYCLE_1)
	s_and_b32 vcc_lo, exec_lo, s0
	s_cbranch_vccnz .LBB207_2211
; %bb.1846:
	s_and_not1_b32 vcc_lo, exec_lo, s3
	s_cbranch_vccnz .LBB207_1848
.LBB207_1847:
	v_cmp_ne_u16_e32 vcc_lo, 0, v1
	s_mov_b32 s6, -1
	s_wait_xcnt 0x0
	v_cndmask_b32_e64 v5, 0, 1, vcc_lo
	global_store_b8 v[6:7], v5, off
.LBB207_1848:
	s_mov_b32 s0, 0
	s_branch .LBB207_1852
.LBB207_1849:
	s_and_not1_b32 vcc_lo, exec_lo, s7
	s_cbranch_vccnz .LBB207_1769
.LBB207_1850:
	s_wait_xcnt 0x0
	v_mov_b32_e32 v5, 0
	s_wait_loadcnt 0x0
	s_delay_alu instid0(VALU_DEP_2)
	v_max_i16 v7, v10, s1
	global_load_u16 v5, v5, s[2:3] offset:350
	s_wait_loadcnt 0x0
	v_min_i16 v11, v7, v5
	s_cbranch_execz .LBB207_1770
	s_branch .LBB207_1771
.LBB207_1851:
	s_mov_b32 s0, -1
	s_mov_b32 s6, 0
.LBB207_1852:
	s_and_b32 vcc_lo, exec_lo, s0
	s_cbranch_vccz .LBB207_1891
; %bb.1853:
	s_and_b32 s0, 0xffff, s1
	s_mov_b32 s2, -1
	s_cmp_lt_i32 s0, 5
	s_cbranch_scc1 .LBB207_1874
; %bb.1854:
	s_cmp_lt_i32 s0, 8
	s_cbranch_scc1 .LBB207_1864
; %bb.1855:
	s_cmp_lt_i32 s0, 9
	s_cbranch_scc1 .LBB207_1861
; %bb.1856:
	s_cmp_gt_i32 s0, 9
	s_cbranch_scc0 .LBB207_1858
; %bb.1857:
	s_wait_xcnt 0x0
	v_bfe_i32 v5, v1, 0, 16
	v_mov_b32_e32 v16, 0
	s_mov_b32 s2, 0
	s_wait_loadcnt 0x0
	s_delay_alu instid0(VALU_DEP_2) | instskip(NEXT) | instid1(VALU_DEP_2)
	v_cvt_f64_i32_e32 v[14:15], v5
	v_mov_b32_e32 v17, v16
	global_store_b128 v[6:7], v[14:17], off
.LBB207_1858:
	s_and_not1_b32 vcc_lo, exec_lo, s2
	s_cbranch_vccnz .LBB207_1860
; %bb.1859:
	s_wait_xcnt 0x0
	v_bfe_i32 v5, v1, 0, 16
	v_mov_b32_e32 v9, 0
	s_delay_alu instid0(VALU_DEP_2)
	v_cvt_f32_i32_e32 v8, v5
	global_store_b64 v[6:7], v[8:9], off
.LBB207_1860:
	s_mov_b32 s2, 0
.LBB207_1861:
	s_delay_alu instid0(SALU_CYCLE_1)
	s_and_not1_b32 vcc_lo, exec_lo, s2
	s_cbranch_vccnz .LBB207_1863
; %bb.1862:
	s_wait_xcnt 0x0
	v_cvt_f16_i16_e32 v5, v1
	s_delay_alu instid0(VALU_DEP_1)
	v_and_b32_e32 v5, 0xffff, v5
	global_store_b32 v[6:7], v5, off
.LBB207_1863:
	s_mov_b32 s2, 0
.LBB207_1864:
	s_delay_alu instid0(SALU_CYCLE_1)
	s_and_not1_b32 vcc_lo, exec_lo, s2
	s_cbranch_vccnz .LBB207_1873
; %bb.1865:
	s_cmp_lt_i32 s0, 6
	s_mov_b32 s2, -1
	s_cbranch_scc1 .LBB207_1871
; %bb.1866:
	s_cmp_gt_i32 s0, 6
	s_cbranch_scc0 .LBB207_1868
; %bb.1867:
	s_wait_xcnt 0x0
	v_bfe_i32 v5, v1, 0, 16
	s_mov_b32 s2, 0
	s_delay_alu instid0(VALU_DEP_1)
	v_cvt_f64_i32_e32 v[8:9], v5
	global_store_b64 v[6:7], v[8:9], off
.LBB207_1868:
	s_and_not1_b32 vcc_lo, exec_lo, s2
	s_cbranch_vccnz .LBB207_1870
; %bb.1869:
	s_wait_xcnt 0x0
	v_bfe_i32 v5, v1, 0, 16
	s_delay_alu instid0(VALU_DEP_1)
	v_cvt_f32_i32_e32 v5, v5
	global_store_b32 v[6:7], v5, off
.LBB207_1870:
	s_mov_b32 s2, 0
.LBB207_1871:
	s_delay_alu instid0(SALU_CYCLE_1)
	s_and_not1_b32 vcc_lo, exec_lo, s2
	s_cbranch_vccnz .LBB207_1873
; %bb.1872:
	s_wait_xcnt 0x0
	v_cvt_f16_i16_e32 v5, v1
	global_store_b16 v[6:7], v5, off
.LBB207_1873:
	s_mov_b32 s2, 0
.LBB207_1874:
	s_delay_alu instid0(SALU_CYCLE_1)
	s_and_not1_b32 vcc_lo, exec_lo, s2
	s_cbranch_vccnz .LBB207_1890
; %bb.1875:
	s_cmp_lt_i32 s0, 2
	s_mov_b32 s2, -1
	s_cbranch_scc1 .LBB207_1885
; %bb.1876:
	s_cmp_lt_i32 s0, 3
	s_cbranch_scc1 .LBB207_1882
; %bb.1877:
	s_wait_xcnt 0x0
	v_bfe_i32 v8, v1, 0, 16
	s_cmp_gt_i32 s0, 3
	s_cbranch_scc0 .LBB207_1879
; %bb.1878:
	s_delay_alu instid0(VALU_DEP_1)
	v_ashrrev_i32_e32 v9, 31, v8
	s_mov_b32 s2, 0
	global_store_b64 v[6:7], v[8:9], off
.LBB207_1879:
	s_and_not1_b32 vcc_lo, exec_lo, s2
	s_cbranch_vccnz .LBB207_1881
; %bb.1880:
	global_store_b32 v[6:7], v8, off
.LBB207_1881:
	s_mov_b32 s2, 0
.LBB207_1882:
	s_delay_alu instid0(SALU_CYCLE_1)
	s_and_not1_b32 vcc_lo, exec_lo, s2
	s_cbranch_vccnz .LBB207_1884
; %bb.1883:
	global_store_b16 v[6:7], v1, off
.LBB207_1884:
	s_mov_b32 s2, 0
.LBB207_1885:
	s_delay_alu instid0(SALU_CYCLE_1)
	s_and_not1_b32 vcc_lo, exec_lo, s2
	s_cbranch_vccnz .LBB207_1890
; %bb.1886:
	s_cmp_gt_i32 s0, 0
	s_mov_b32 s0, -1
	s_cbranch_scc0 .LBB207_1888
; %bb.1887:
	s_mov_b32 s0, 0
	global_store_b8 v[6:7], v1, off
.LBB207_1888:
	s_and_not1_b32 vcc_lo, exec_lo, s0
	s_cbranch_vccnz .LBB207_1890
; %bb.1889:
	global_store_b8 v[6:7], v1, off
.LBB207_1890:
	s_mov_b32 s6, -1
.LBB207_1891:
	s_delay_alu instid0(SALU_CYCLE_1)
	s_and_not1_b32 vcc_lo, exec_lo, s6
	s_cbranch_vccnz .LBB207_2206
; %bb.1892:
	s_wait_xcnt 0x0
	v_mov_b32_e32 v5, 0
	s_and_b32 s2, 0xffff, s1
	s_delay_alu instid0(SALU_CYCLE_1) | instskip(NEXT) | instid1(VALU_DEP_1)
	s_cmp_lt_i32 s2, 11
	v_add_nc_u64_e32 v[4:5], s[4:5], v[4:5]
	s_cbranch_scc1 .LBB207_1970
; %bb.1893:
	s_mov_b32 s7, -1
	s_mov_b32 s3, 0
	s_cmp_gt_i32 s2, 25
	s_mov_b32 s6, 0
	s_mov_b32 s0, 0
	s_cbranch_scc0 .LBB207_1926
; %bb.1894:
	s_cmp_gt_i32 s2, 28
	s_cbranch_scc0 .LBB207_1909
; %bb.1895:
	s_cmp_gt_i32 s2, 43
	;; [unrolled: 3-line block ×3, first 2 shown]
	s_cbranch_scc0 .LBB207_1899
; %bb.1897:
	s_mov_b32 s0, -1
	s_mov_b32 s7, 0
	s_cmp_eq_u32 s2, 46
	s_cbranch_scc0 .LBB207_1899
; %bb.1898:
	v_bfe_i32 v1, v3, 0, 16
	s_mov_b32 s0, 0
	s_mov_b32 s6, -1
	s_delay_alu instid0(VALU_DEP_1) | instskip(NEXT) | instid1(VALU_DEP_1)
	v_cvt_f32_i32_e32 v1, v1
	v_bfe_u32 v6, v1, 16, 1
	s_delay_alu instid0(VALU_DEP_1) | instskip(NEXT) | instid1(VALU_DEP_1)
	v_add3_u32 v1, v1, v6, 0x7fff
	v_lshrrev_b32_e32 v1, 16, v1
	global_store_b32 v[4:5], v1, off
.LBB207_1899:
	s_and_b32 vcc_lo, exec_lo, s7
	s_cbranch_vccz .LBB207_1904
; %bb.1900:
	s_cmp_eq_u32 s2, 44
	s_mov_b32 s0, -1
	s_cbranch_scc0 .LBB207_1904
; %bb.1901:
	s_wait_xcnt 0x0
	v_bfe_i32 v1, v3, 0, 16
	v_mov_b32_e32 v6, 0xff
	s_mov_b32 s6, exec_lo
	s_delay_alu instid0(VALU_DEP_2) | instskip(NEXT) | instid1(VALU_DEP_1)
	v_cvt_f32_i32_e32 v1, v1
	v_bfe_u32 v7, v1, 23, 8
	s_delay_alu instid0(VALU_DEP_1)
	v_cmpx_ne_u32_e32 0xff, v7
	s_cbranch_execz .LBB207_1903
; %bb.1902:
	v_and_b32_e32 v6, 0x400000, v1
	v_and_or_b32 v7, 0x3fffff, v1, v7
	v_lshrrev_b32_e32 v1, 23, v1
	s_delay_alu instid0(VALU_DEP_3) | instskip(NEXT) | instid1(VALU_DEP_3)
	v_cmp_ne_u32_e32 vcc_lo, 0, v6
	v_cmp_ne_u32_e64 s0, 0, v7
	s_and_b32 s0, vcc_lo, s0
	s_delay_alu instid0(SALU_CYCLE_1) | instskip(NEXT) | instid1(VALU_DEP_1)
	v_cndmask_b32_e64 v6, 0, 1, s0
	v_add_nc_u32_e32 v6, v1, v6
.LBB207_1903:
	s_or_b32 exec_lo, exec_lo, s6
	s_mov_b32 s0, 0
	s_mov_b32 s6, -1
	global_store_b8 v[4:5], v6, off
.LBB207_1904:
	s_mov_b32 s7, 0
.LBB207_1905:
	s_delay_alu instid0(SALU_CYCLE_1)
	s_and_b32 vcc_lo, exec_lo, s7
	s_cbranch_vccz .LBB207_1908
; %bb.1906:
	s_cmp_eq_u32 s2, 29
	s_mov_b32 s0, -1
	s_cbranch_scc0 .LBB207_1908
; %bb.1907:
	s_wait_xcnt 0x0
	v_bfe_i32 v6, v3, 0, 16
	s_mov_b32 s0, 0
	s_mov_b32 s6, -1
	s_delay_alu instid0(VALU_DEP_1)
	v_ashrrev_i32_e32 v7, 31, v6
	global_store_b64 v[4:5], v[6:7], off
.LBB207_1908:
	s_mov_b32 s7, 0
.LBB207_1909:
	s_delay_alu instid0(SALU_CYCLE_1)
	s_and_b32 vcc_lo, exec_lo, s7
	s_cbranch_vccz .LBB207_1925
; %bb.1910:
	s_cmp_lt_i32 s2, 27
	s_mov_b32 s6, -1
	s_cbranch_scc1 .LBB207_1916
; %bb.1911:
	s_cmp_gt_i32 s2, 27
	s_cbranch_scc0 .LBB207_1913
; %bb.1912:
	s_wait_xcnt 0x0
	v_bfe_i32 v1, v3, 0, 16
	s_mov_b32 s6, 0
	global_store_b32 v[4:5], v1, off
.LBB207_1913:
	s_and_not1_b32 vcc_lo, exec_lo, s6
	s_cbranch_vccnz .LBB207_1915
; %bb.1914:
	global_store_b16 v[4:5], v3, off
.LBB207_1915:
	s_mov_b32 s6, 0
.LBB207_1916:
	s_delay_alu instid0(SALU_CYCLE_1)
	s_and_not1_b32 vcc_lo, exec_lo, s6
	s_cbranch_vccnz .LBB207_1924
; %bb.1917:
	s_wait_xcnt 0x0
	v_bfe_i32 v1, v3, 0, 16
	v_mov_b32_e32 v7, 0x80
	s_mov_b32 s6, exec_lo
	s_delay_alu instid0(VALU_DEP_2) | instskip(NEXT) | instid1(VALU_DEP_1)
	v_cvt_f32_i32_e32 v1, v1
	v_and_b32_e32 v6, 0x7fffffff, v1
	s_delay_alu instid0(VALU_DEP_1)
	v_cmpx_gt_u32_e32 0x43800000, v6
	s_cbranch_execz .LBB207_1923
; %bb.1918:
	v_cmp_lt_u32_e32 vcc_lo, 0x3bffffff, v6
	s_mov_b32 s7, 0
                                        ; implicit-def: $vgpr6
	s_and_saveexec_b32 s11, vcc_lo
	s_delay_alu instid0(SALU_CYCLE_1)
	s_xor_b32 s11, exec_lo, s11
	s_cbranch_execz .LBB207_2214
; %bb.1919:
	v_bfe_u32 v6, v1, 20, 1
	s_mov_b32 s7, exec_lo
	s_delay_alu instid0(VALU_DEP_1) | instskip(NEXT) | instid1(VALU_DEP_1)
	v_add3_u32 v6, v1, v6, 0x487ffff
	v_lshrrev_b32_e32 v6, 20, v6
	s_and_not1_saveexec_b32 s11, s11
	s_cbranch_execnz .LBB207_2215
.LBB207_1920:
	s_or_b32 exec_lo, exec_lo, s11
	v_mov_b32_e32 v7, 0
	s_and_saveexec_b32 s11, s7
.LBB207_1921:
	v_lshrrev_b32_e32 v1, 24, v1
	s_delay_alu instid0(VALU_DEP_1)
	v_and_or_b32 v7, 0x80, v1, v6
.LBB207_1922:
	s_or_b32 exec_lo, exec_lo, s11
.LBB207_1923:
	s_delay_alu instid0(SALU_CYCLE_1)
	s_or_b32 exec_lo, exec_lo, s6
	global_store_b8 v[4:5], v7, off
.LBB207_1924:
	s_mov_b32 s6, -1
.LBB207_1925:
	s_mov_b32 s7, 0
.LBB207_1926:
	s_delay_alu instid0(SALU_CYCLE_1)
	s_and_b32 vcc_lo, exec_lo, s7
	s_cbranch_vccz .LBB207_1966
; %bb.1927:
	s_cmp_gt_i32 s2, 22
	s_mov_b32 s3, -1
	s_cbranch_scc0 .LBB207_1959
; %bb.1928:
	s_cmp_lt_i32 s2, 24
	s_cbranch_scc1 .LBB207_1948
; %bb.1929:
	s_cmp_gt_i32 s2, 24
	s_cbranch_scc0 .LBB207_1937
; %bb.1930:
	s_wait_xcnt 0x0
	v_bfe_i32 v1, v3, 0, 16
	v_mov_b32_e32 v7, 0x80
	s_mov_b32 s3, exec_lo
	s_delay_alu instid0(VALU_DEP_2) | instskip(NEXT) | instid1(VALU_DEP_1)
	v_cvt_f32_i32_e32 v1, v1
	v_and_b32_e32 v6, 0x7fffffff, v1
	s_delay_alu instid0(VALU_DEP_1)
	v_cmpx_gt_u32_e32 0x47800000, v6
	s_cbranch_execz .LBB207_1936
; %bb.1931:
	v_cmp_lt_u32_e32 vcc_lo, 0x37ffffff, v6
	s_mov_b32 s6, 0
                                        ; implicit-def: $vgpr6
	s_and_saveexec_b32 s7, vcc_lo
	s_delay_alu instid0(SALU_CYCLE_1)
	s_xor_b32 s7, exec_lo, s7
	s_cbranch_execz .LBB207_2217
; %bb.1932:
	v_bfe_u32 v6, v1, 21, 1
	s_mov_b32 s6, exec_lo
	s_delay_alu instid0(VALU_DEP_1) | instskip(NEXT) | instid1(VALU_DEP_1)
	v_add3_u32 v6, v1, v6, 0x88fffff
	v_lshrrev_b32_e32 v6, 21, v6
	s_and_not1_saveexec_b32 s7, s7
	s_cbranch_execnz .LBB207_2218
.LBB207_1933:
	s_or_b32 exec_lo, exec_lo, s7
	v_mov_b32_e32 v7, 0
	s_and_saveexec_b32 s7, s6
.LBB207_1934:
	v_lshrrev_b32_e32 v1, 24, v1
	s_delay_alu instid0(VALU_DEP_1)
	v_and_or_b32 v7, 0x80, v1, v6
.LBB207_1935:
	s_or_b32 exec_lo, exec_lo, s7
.LBB207_1936:
	s_delay_alu instid0(SALU_CYCLE_1)
	s_or_b32 exec_lo, exec_lo, s3
	s_mov_b32 s3, 0
	global_store_b8 v[4:5], v7, off
.LBB207_1937:
	s_and_b32 vcc_lo, exec_lo, s3
	s_cbranch_vccz .LBB207_1947
; %bb.1938:
	s_wait_xcnt 0x0
	v_bfe_i32 v1, v3, 0, 16
	s_mov_b32 s3, exec_lo
                                        ; implicit-def: $vgpr6
	s_delay_alu instid0(VALU_DEP_1) | instskip(NEXT) | instid1(VALU_DEP_1)
	v_cvt_f32_i32_e32 v1, v1
	v_and_b32_e32 v7, 0x7fffffff, v1
	s_delay_alu instid0(VALU_DEP_1)
	v_cmpx_gt_u32_e32 0x43f00000, v7
	s_xor_b32 s3, exec_lo, s3
	s_cbranch_execz .LBB207_1944
; %bb.1939:
	s_mov_b32 s6, exec_lo
                                        ; implicit-def: $vgpr6
	v_cmpx_lt_u32_e32 0x3c7fffff, v7
	s_xor_b32 s6, exec_lo, s6
; %bb.1940:
	v_bfe_u32 v6, v1, 20, 1
	s_delay_alu instid0(VALU_DEP_1) | instskip(NEXT) | instid1(VALU_DEP_1)
	v_add3_u32 v6, v1, v6, 0x407ffff
	v_and_b32_e32 v7, 0xff00000, v6
	v_lshrrev_b32_e32 v6, 20, v6
	s_delay_alu instid0(VALU_DEP_2) | instskip(NEXT) | instid1(VALU_DEP_2)
	v_cmp_ne_u32_e32 vcc_lo, 0x7f00000, v7
	v_cndmask_b32_e32 v6, 0x7e, v6, vcc_lo
; %bb.1941:
	s_and_not1_saveexec_b32 s6, s6
; %bb.1942:
	v_add_f32_e64 v6, 0x46800000, |v1|
; %bb.1943:
	s_or_b32 exec_lo, exec_lo, s6
                                        ; implicit-def: $vgpr7
.LBB207_1944:
	s_and_not1_saveexec_b32 s3, s3
; %bb.1945:
	v_mov_b32_e32 v6, 0x7f
	v_cmp_lt_u32_e32 vcc_lo, 0x7f800000, v7
	s_delay_alu instid0(VALU_DEP_2)
	v_cndmask_b32_e32 v6, 0x7e, v6, vcc_lo
; %bb.1946:
	s_or_b32 exec_lo, exec_lo, s3
	v_lshrrev_b32_e32 v1, 24, v1
	s_delay_alu instid0(VALU_DEP_1)
	v_and_or_b32 v1, 0x80, v1, v6
	global_store_b8 v[4:5], v1, off
.LBB207_1947:
	s_mov_b32 s3, 0
.LBB207_1948:
	s_delay_alu instid0(SALU_CYCLE_1)
	s_and_not1_b32 vcc_lo, exec_lo, s3
	s_cbranch_vccnz .LBB207_1958
; %bb.1949:
	s_wait_xcnt 0x0
	v_bfe_i32 v1, v3, 0, 16
	s_mov_b32 s3, exec_lo
                                        ; implicit-def: $vgpr6
	s_delay_alu instid0(VALU_DEP_1) | instskip(NEXT) | instid1(VALU_DEP_1)
	v_cvt_f32_i32_e32 v1, v1
	v_and_b32_e32 v7, 0x7fffffff, v1
	s_delay_alu instid0(VALU_DEP_1)
	v_cmpx_gt_u32_e32 0x47800000, v7
	s_xor_b32 s3, exec_lo, s3
	s_cbranch_execz .LBB207_1955
; %bb.1950:
	s_mov_b32 s6, exec_lo
                                        ; implicit-def: $vgpr6
	v_cmpx_lt_u32_e32 0x387fffff, v7
	s_xor_b32 s6, exec_lo, s6
; %bb.1951:
	v_bfe_u32 v6, v1, 21, 1
	s_delay_alu instid0(VALU_DEP_1) | instskip(NEXT) | instid1(VALU_DEP_1)
	v_add3_u32 v6, v1, v6, 0x80fffff
	v_lshrrev_b32_e32 v6, 21, v6
; %bb.1952:
	s_and_not1_saveexec_b32 s6, s6
; %bb.1953:
	v_add_f32_e64 v6, 0x43000000, |v1|
; %bb.1954:
	s_or_b32 exec_lo, exec_lo, s6
                                        ; implicit-def: $vgpr7
.LBB207_1955:
	s_and_not1_saveexec_b32 s3, s3
; %bb.1956:
	v_mov_b32_e32 v6, 0x7f
	v_cmp_lt_u32_e32 vcc_lo, 0x7f800000, v7
	s_delay_alu instid0(VALU_DEP_2)
	v_cndmask_b32_e32 v6, 0x7c, v6, vcc_lo
; %bb.1957:
	s_or_b32 exec_lo, exec_lo, s3
	v_lshrrev_b32_e32 v1, 24, v1
	s_delay_alu instid0(VALU_DEP_1)
	v_and_or_b32 v1, 0x80, v1, v6
	global_store_b8 v[4:5], v1, off
.LBB207_1958:
	s_mov_b32 s3, 0
	s_mov_b32 s6, -1
.LBB207_1959:
	s_and_not1_b32 vcc_lo, exec_lo, s3
	s_mov_b32 s3, 0
	s_cbranch_vccnz .LBB207_1966
; %bb.1960:
	s_cmp_gt_i32 s2, 14
	s_mov_b32 s3, -1
	s_cbranch_scc0 .LBB207_1964
; %bb.1961:
	s_cmp_eq_u32 s2, 15
	s_mov_b32 s0, -1
	s_cbranch_scc0 .LBB207_1963
; %bb.1962:
	s_wait_xcnt 0x0
	v_bfe_i32 v1, v3, 0, 16
	s_mov_b32 s0, 0
	s_mov_b32 s6, -1
	s_delay_alu instid0(VALU_DEP_1) | instskip(NEXT) | instid1(VALU_DEP_1)
	v_cvt_f32_i32_e32 v1, v1
	v_bfe_u32 v6, v1, 16, 1
	s_delay_alu instid0(VALU_DEP_1)
	v_add3_u32 v1, v1, v6, 0x7fff
	global_store_d16_hi_b16 v[4:5], v1, off
.LBB207_1963:
	s_mov_b32 s3, 0
.LBB207_1964:
	s_delay_alu instid0(SALU_CYCLE_1)
	s_and_b32 vcc_lo, exec_lo, s3
	s_mov_b32 s3, 0
	s_cbranch_vccz .LBB207_1966
; %bb.1965:
	s_cmp_lg_u32 s2, 11
	s_mov_b32 s3, -1
	s_cselect_b32 s0, -1, 0
.LBB207_1966:
	s_delay_alu instid0(SALU_CYCLE_1)
	s_and_b32 vcc_lo, exec_lo, s0
	s_cbranch_vccnz .LBB207_2216
; %bb.1967:
	s_and_not1_b32 vcc_lo, exec_lo, s3
	s_cbranch_vccnz .LBB207_1969
.LBB207_1968:
	v_cmp_ne_u16_e32 vcc_lo, 0, v3
	s_mov_b32 s6, -1
	s_wait_xcnt 0x0
	v_cndmask_b32_e64 v1, 0, 1, vcc_lo
	global_store_b8 v[4:5], v1, off
.LBB207_1969:
	s_mov_b32 s0, 0
	s_branch .LBB207_1971
.LBB207_1970:
	s_mov_b32 s0, -1
	s_mov_b32 s6, 0
.LBB207_1971:
	s_and_b32 vcc_lo, exec_lo, s0
	s_cbranch_vccz .LBB207_2010
; %bb.1972:
	s_cmp_lt_i32 s2, 5
	s_mov_b32 s0, -1
	s_cbranch_scc1 .LBB207_1993
; %bb.1973:
	s_cmp_lt_i32 s2, 8
	s_cbranch_scc1 .LBB207_1983
; %bb.1974:
	s_cmp_lt_i32 s2, 9
	s_cbranch_scc1 .LBB207_1980
; %bb.1975:
	s_cmp_gt_i32 s2, 9
	s_cbranch_scc0 .LBB207_1977
; %bb.1976:
	s_wait_xcnt 0x0
	v_bfe_i32 v1, v3, 0, 16
	v_mov_b32_e32 v8, 0
	s_mov_b32 s0, 0
	s_delay_alu instid0(VALU_DEP_2) | instskip(NEXT) | instid1(VALU_DEP_2)
	v_cvt_f64_i32_e32 v[6:7], v1
	v_mov_b32_e32 v9, v8
	global_store_b128 v[4:5], v[6:9], off
.LBB207_1977:
	s_and_not1_b32 vcc_lo, exec_lo, s0
	s_cbranch_vccnz .LBB207_1979
; %bb.1978:
	s_wait_xcnt 0x0
	v_bfe_i32 v1, v3, 0, 16
	v_mov_b32_e32 v7, 0
	s_delay_alu instid0(VALU_DEP_2)
	v_cvt_f32_i32_e32 v6, v1
	global_store_b64 v[4:5], v[6:7], off
.LBB207_1979:
	s_mov_b32 s0, 0
.LBB207_1980:
	s_delay_alu instid0(SALU_CYCLE_1)
	s_and_not1_b32 vcc_lo, exec_lo, s0
	s_cbranch_vccnz .LBB207_1982
; %bb.1981:
	s_wait_xcnt 0x0
	v_cvt_f16_i16_e32 v1, v3
	s_delay_alu instid0(VALU_DEP_1)
	v_and_b32_e32 v1, 0xffff, v1
	global_store_b32 v[4:5], v1, off
.LBB207_1982:
	s_mov_b32 s0, 0
.LBB207_1983:
	s_delay_alu instid0(SALU_CYCLE_1)
	s_and_not1_b32 vcc_lo, exec_lo, s0
	s_cbranch_vccnz .LBB207_1992
; %bb.1984:
	s_cmp_lt_i32 s2, 6
	s_mov_b32 s0, -1
	s_cbranch_scc1 .LBB207_1990
; %bb.1985:
	s_cmp_gt_i32 s2, 6
	s_cbranch_scc0 .LBB207_1987
; %bb.1986:
	s_wait_xcnt 0x0
	v_bfe_i32 v1, v3, 0, 16
	s_mov_b32 s0, 0
	s_delay_alu instid0(VALU_DEP_1)
	v_cvt_f64_i32_e32 v[6:7], v1
	global_store_b64 v[4:5], v[6:7], off
.LBB207_1987:
	s_and_not1_b32 vcc_lo, exec_lo, s0
	s_cbranch_vccnz .LBB207_1989
; %bb.1988:
	s_wait_xcnt 0x0
	v_bfe_i32 v1, v3, 0, 16
	s_delay_alu instid0(VALU_DEP_1)
	v_cvt_f32_i32_e32 v1, v1
	global_store_b32 v[4:5], v1, off
.LBB207_1989:
	s_mov_b32 s0, 0
.LBB207_1990:
	s_delay_alu instid0(SALU_CYCLE_1)
	s_and_not1_b32 vcc_lo, exec_lo, s0
	s_cbranch_vccnz .LBB207_1992
; %bb.1991:
	s_wait_xcnt 0x0
	v_cvt_f16_i16_e32 v1, v3
	global_store_b16 v[4:5], v1, off
.LBB207_1992:
	s_mov_b32 s0, 0
.LBB207_1993:
	s_delay_alu instid0(SALU_CYCLE_1)
	s_and_not1_b32 vcc_lo, exec_lo, s0
	s_cbranch_vccnz .LBB207_2009
; %bb.1994:
	s_cmp_lt_i32 s2, 2
	s_mov_b32 s0, -1
	s_cbranch_scc1 .LBB207_2004
; %bb.1995:
	s_cmp_lt_i32 s2, 3
	s_cbranch_scc1 .LBB207_2001
; %bb.1996:
	s_cmp_gt_i32 s2, 3
	s_cbranch_scc0 .LBB207_1998
; %bb.1997:
	s_wait_xcnt 0x0
	v_bfe_i32 v6, v3, 0, 16
	s_mov_b32 s0, 0
	s_delay_alu instid0(VALU_DEP_1)
	v_ashrrev_i32_e32 v7, 31, v6
	global_store_b64 v[4:5], v[6:7], off
.LBB207_1998:
	s_and_not1_b32 vcc_lo, exec_lo, s0
	s_cbranch_vccnz .LBB207_2000
; %bb.1999:
	s_wait_xcnt 0x0
	v_bfe_i32 v1, v3, 0, 16
	global_store_b32 v[4:5], v1, off
.LBB207_2000:
	s_mov_b32 s0, 0
.LBB207_2001:
	s_delay_alu instid0(SALU_CYCLE_1)
	s_and_not1_b32 vcc_lo, exec_lo, s0
	s_cbranch_vccnz .LBB207_2003
; %bb.2002:
	global_store_b16 v[4:5], v3, off
.LBB207_2003:
	s_mov_b32 s0, 0
.LBB207_2004:
	s_delay_alu instid0(SALU_CYCLE_1)
	s_and_not1_b32 vcc_lo, exec_lo, s0
	s_cbranch_vccnz .LBB207_2009
; %bb.2005:
	s_cmp_gt_i32 s2, 0
	s_mov_b32 s0, -1
	s_cbranch_scc0 .LBB207_2007
; %bb.2006:
	s_mov_b32 s0, 0
	global_store_b8 v[4:5], v3, off
.LBB207_2007:
	s_and_not1_b32 vcc_lo, exec_lo, s0
	s_cbranch_vccnz .LBB207_2009
; %bb.2008:
	global_store_b8 v[4:5], v3, off
.LBB207_2009:
	s_mov_b32 s6, -1
.LBB207_2010:
	s_delay_alu instid0(SALU_CYCLE_1)
	s_and_not1_b32 vcc_lo, exec_lo, s6
	s_cbranch_vccnz .LBB207_2206
; %bb.2011:
	s_wait_xcnt 0x0
	v_mov_b32_e32 v3, 0
	s_cmp_lt_i32 s2, 11
	s_delay_alu instid0(VALU_DEP_1)
	v_add_nc_u64_e32 v[2:3], s[4:5], v[2:3]
	s_cbranch_scc1 .LBB207_2089
; %bb.2012:
	s_mov_b32 s7, -1
	s_mov_b32 s3, 0
	s_cmp_gt_i32 s2, 25
	s_mov_b32 s6, 0
	s_mov_b32 s0, 0
	s_cbranch_scc0 .LBB207_2045
; %bb.2013:
	s_cmp_gt_i32 s2, 28
	s_cbranch_scc0 .LBB207_2028
; %bb.2014:
	s_cmp_gt_i32 s2, 43
	s_cbranch_scc0 .LBB207_2024
; %bb.2015:
	s_cmp_gt_i32 s2, 45
	s_cbranch_scc0 .LBB207_2018
; %bb.2016:
	s_mov_b32 s0, -1
	s_mov_b32 s7, 0
	s_cmp_eq_u32 s2, 46
	s_cbranch_scc0 .LBB207_2018
; %bb.2017:
	s_wait_loadcnt 0x0
	v_bfe_i32 v1, v13, 0, 16
	s_mov_b32 s0, 0
	s_mov_b32 s6, -1
	s_delay_alu instid0(VALU_DEP_1) | instskip(NEXT) | instid1(VALU_DEP_1)
	v_cvt_f32_i32_e32 v1, v1
	v_bfe_u32 v4, v1, 16, 1
	s_delay_alu instid0(VALU_DEP_1) | instskip(NEXT) | instid1(VALU_DEP_1)
	v_add3_u32 v1, v1, v4, 0x7fff
	v_lshrrev_b32_e32 v1, 16, v1
	global_store_b32 v[2:3], v1, off
.LBB207_2018:
	s_and_b32 vcc_lo, exec_lo, s7
	s_cbranch_vccz .LBB207_2023
; %bb.2019:
	s_cmp_eq_u32 s2, 44
	s_mov_b32 s0, -1
	s_cbranch_scc0 .LBB207_2023
; %bb.2020:
	s_wait_loadcnt 0x0
	v_bfe_i32 v1, v13, 0, 16
	v_mov_b32_e32 v4, 0xff
	s_mov_b32 s6, exec_lo
	s_delay_alu instid0(VALU_DEP_2) | instskip(NEXT) | instid1(VALU_DEP_1)
	v_cvt_f32_i32_e32 v1, v1
	v_bfe_u32 v5, v1, 23, 8
	s_delay_alu instid0(VALU_DEP_1)
	v_cmpx_ne_u32_e32 0xff, v5
	s_cbranch_execz .LBB207_2022
; %bb.2021:
	v_and_b32_e32 v4, 0x400000, v1
	v_and_or_b32 v5, 0x3fffff, v1, v5
	v_lshrrev_b32_e32 v1, 23, v1
	s_delay_alu instid0(VALU_DEP_3) | instskip(NEXT) | instid1(VALU_DEP_3)
	v_cmp_ne_u32_e32 vcc_lo, 0, v4
	v_cmp_ne_u32_e64 s0, 0, v5
	s_and_b32 s0, vcc_lo, s0
	s_delay_alu instid0(SALU_CYCLE_1) | instskip(NEXT) | instid1(VALU_DEP_1)
	v_cndmask_b32_e64 v4, 0, 1, s0
	v_add_nc_u32_e32 v4, v1, v4
.LBB207_2022:
	s_or_b32 exec_lo, exec_lo, s6
	s_mov_b32 s0, 0
	s_mov_b32 s6, -1
	global_store_b8 v[2:3], v4, off
.LBB207_2023:
	s_mov_b32 s7, 0
.LBB207_2024:
	s_delay_alu instid0(SALU_CYCLE_1)
	s_and_b32 vcc_lo, exec_lo, s7
	s_cbranch_vccz .LBB207_2027
; %bb.2025:
	s_cmp_eq_u32 s2, 29
	s_mov_b32 s0, -1
	s_cbranch_scc0 .LBB207_2027
; %bb.2026:
	s_wait_loadcnt 0x0
	v_bfe_i32 v4, v13, 0, 16
	s_mov_b32 s0, 0
	s_mov_b32 s6, -1
	s_delay_alu instid0(VALU_DEP_1)
	v_ashrrev_i32_e32 v5, 31, v4
	global_store_b64 v[2:3], v[4:5], off
.LBB207_2027:
	s_mov_b32 s7, 0
.LBB207_2028:
	s_delay_alu instid0(SALU_CYCLE_1)
	s_and_b32 vcc_lo, exec_lo, s7
	s_cbranch_vccz .LBB207_2044
; %bb.2029:
	s_cmp_lt_i32 s2, 27
	s_mov_b32 s6, -1
	s_cbranch_scc1 .LBB207_2035
; %bb.2030:
	s_cmp_gt_i32 s2, 27
	s_cbranch_scc0 .LBB207_2032
; %bb.2031:
	s_wait_loadcnt 0x0
	v_bfe_i32 v1, v13, 0, 16
	s_mov_b32 s6, 0
	global_store_b32 v[2:3], v1, off
.LBB207_2032:
	s_and_not1_b32 vcc_lo, exec_lo, s6
	s_cbranch_vccnz .LBB207_2034
; %bb.2033:
	s_wait_loadcnt 0x0
	global_store_b16 v[2:3], v13, off
.LBB207_2034:
	s_mov_b32 s6, 0
.LBB207_2035:
	s_delay_alu instid0(SALU_CYCLE_1)
	s_and_not1_b32 vcc_lo, exec_lo, s6
	s_cbranch_vccnz .LBB207_2043
; %bb.2036:
	s_wait_loadcnt 0x0
	v_bfe_i32 v1, v13, 0, 16
	v_mov_b32_e32 v5, 0x80
	s_mov_b32 s6, exec_lo
	s_delay_alu instid0(VALU_DEP_2) | instskip(NEXT) | instid1(VALU_DEP_1)
	v_cvt_f32_i32_e32 v1, v1
	v_and_b32_e32 v4, 0x7fffffff, v1
	s_delay_alu instid0(VALU_DEP_1)
	v_cmpx_gt_u32_e32 0x43800000, v4
	s_cbranch_execz .LBB207_2042
; %bb.2037:
	v_cmp_lt_u32_e32 vcc_lo, 0x3bffffff, v4
	s_mov_b32 s7, 0
                                        ; implicit-def: $vgpr4
	s_and_saveexec_b32 s11, vcc_lo
	s_delay_alu instid0(SALU_CYCLE_1)
	s_xor_b32 s11, exec_lo, s11
	s_cbranch_execz .LBB207_2219
; %bb.2038:
	v_bfe_u32 v4, v1, 20, 1
	s_mov_b32 s7, exec_lo
	s_delay_alu instid0(VALU_DEP_1) | instskip(NEXT) | instid1(VALU_DEP_1)
	v_add3_u32 v4, v1, v4, 0x487ffff
	v_lshrrev_b32_e32 v4, 20, v4
	s_and_not1_saveexec_b32 s11, s11
	s_cbranch_execnz .LBB207_2220
.LBB207_2039:
	s_or_b32 exec_lo, exec_lo, s11
	v_mov_b32_e32 v5, 0
	s_and_saveexec_b32 s11, s7
.LBB207_2040:
	v_lshrrev_b32_e32 v1, 24, v1
	s_delay_alu instid0(VALU_DEP_1)
	v_and_or_b32 v5, 0x80, v1, v4
.LBB207_2041:
	s_or_b32 exec_lo, exec_lo, s11
.LBB207_2042:
	s_delay_alu instid0(SALU_CYCLE_1)
	s_or_b32 exec_lo, exec_lo, s6
	global_store_b8 v[2:3], v5, off
.LBB207_2043:
	s_mov_b32 s6, -1
.LBB207_2044:
	s_mov_b32 s7, 0
.LBB207_2045:
	s_delay_alu instid0(SALU_CYCLE_1)
	s_and_b32 vcc_lo, exec_lo, s7
	s_cbranch_vccz .LBB207_2085
; %bb.2046:
	s_cmp_gt_i32 s2, 22
	s_mov_b32 s3, -1
	s_cbranch_scc0 .LBB207_2078
; %bb.2047:
	s_cmp_lt_i32 s2, 24
	s_cbranch_scc1 .LBB207_2067
; %bb.2048:
	s_cmp_gt_i32 s2, 24
	s_cbranch_scc0 .LBB207_2056
; %bb.2049:
	s_wait_loadcnt 0x0
	v_bfe_i32 v1, v13, 0, 16
	v_mov_b32_e32 v5, 0x80
	s_mov_b32 s3, exec_lo
	s_delay_alu instid0(VALU_DEP_2) | instskip(NEXT) | instid1(VALU_DEP_1)
	v_cvt_f32_i32_e32 v1, v1
	v_and_b32_e32 v4, 0x7fffffff, v1
	s_delay_alu instid0(VALU_DEP_1)
	v_cmpx_gt_u32_e32 0x47800000, v4
	s_cbranch_execz .LBB207_2055
; %bb.2050:
	v_cmp_lt_u32_e32 vcc_lo, 0x37ffffff, v4
	s_mov_b32 s6, 0
                                        ; implicit-def: $vgpr4
	s_and_saveexec_b32 s7, vcc_lo
	s_delay_alu instid0(SALU_CYCLE_1)
	s_xor_b32 s7, exec_lo, s7
	s_cbranch_execz .LBB207_2222
; %bb.2051:
	v_bfe_u32 v4, v1, 21, 1
	s_mov_b32 s6, exec_lo
	s_delay_alu instid0(VALU_DEP_1) | instskip(NEXT) | instid1(VALU_DEP_1)
	v_add3_u32 v4, v1, v4, 0x88fffff
	v_lshrrev_b32_e32 v4, 21, v4
	s_and_not1_saveexec_b32 s7, s7
	s_cbranch_execnz .LBB207_2223
.LBB207_2052:
	s_or_b32 exec_lo, exec_lo, s7
	v_mov_b32_e32 v5, 0
	s_and_saveexec_b32 s7, s6
.LBB207_2053:
	v_lshrrev_b32_e32 v1, 24, v1
	s_delay_alu instid0(VALU_DEP_1)
	v_and_or_b32 v5, 0x80, v1, v4
.LBB207_2054:
	s_or_b32 exec_lo, exec_lo, s7
.LBB207_2055:
	s_delay_alu instid0(SALU_CYCLE_1)
	s_or_b32 exec_lo, exec_lo, s3
	s_mov_b32 s3, 0
	global_store_b8 v[2:3], v5, off
.LBB207_2056:
	s_and_b32 vcc_lo, exec_lo, s3
	s_cbranch_vccz .LBB207_2066
; %bb.2057:
	s_wait_loadcnt 0x0
	v_bfe_i32 v1, v13, 0, 16
	s_mov_b32 s3, exec_lo
                                        ; implicit-def: $vgpr4
	s_delay_alu instid0(VALU_DEP_1) | instskip(NEXT) | instid1(VALU_DEP_1)
	v_cvt_f32_i32_e32 v1, v1
	v_and_b32_e32 v5, 0x7fffffff, v1
	s_delay_alu instid0(VALU_DEP_1)
	v_cmpx_gt_u32_e32 0x43f00000, v5
	s_xor_b32 s3, exec_lo, s3
	s_cbranch_execz .LBB207_2063
; %bb.2058:
	s_mov_b32 s6, exec_lo
                                        ; implicit-def: $vgpr4
	v_cmpx_lt_u32_e32 0x3c7fffff, v5
	s_xor_b32 s6, exec_lo, s6
; %bb.2059:
	v_bfe_u32 v4, v1, 20, 1
	s_delay_alu instid0(VALU_DEP_1) | instskip(NEXT) | instid1(VALU_DEP_1)
	v_add3_u32 v4, v1, v4, 0x407ffff
	v_and_b32_e32 v5, 0xff00000, v4
	v_lshrrev_b32_e32 v4, 20, v4
	s_delay_alu instid0(VALU_DEP_2) | instskip(NEXT) | instid1(VALU_DEP_2)
	v_cmp_ne_u32_e32 vcc_lo, 0x7f00000, v5
	v_cndmask_b32_e32 v4, 0x7e, v4, vcc_lo
; %bb.2060:
	s_and_not1_saveexec_b32 s6, s6
; %bb.2061:
	v_add_f32_e64 v4, 0x46800000, |v1|
; %bb.2062:
	s_or_b32 exec_lo, exec_lo, s6
                                        ; implicit-def: $vgpr5
.LBB207_2063:
	s_and_not1_saveexec_b32 s3, s3
; %bb.2064:
	v_mov_b32_e32 v4, 0x7f
	v_cmp_lt_u32_e32 vcc_lo, 0x7f800000, v5
	s_delay_alu instid0(VALU_DEP_2)
	v_cndmask_b32_e32 v4, 0x7e, v4, vcc_lo
; %bb.2065:
	s_or_b32 exec_lo, exec_lo, s3
	v_lshrrev_b32_e32 v1, 24, v1
	s_delay_alu instid0(VALU_DEP_1)
	v_and_or_b32 v1, 0x80, v1, v4
	global_store_b8 v[2:3], v1, off
.LBB207_2066:
	s_mov_b32 s3, 0
.LBB207_2067:
	s_delay_alu instid0(SALU_CYCLE_1)
	s_and_not1_b32 vcc_lo, exec_lo, s3
	s_cbranch_vccnz .LBB207_2077
; %bb.2068:
	s_wait_loadcnt 0x0
	v_bfe_i32 v1, v13, 0, 16
	s_mov_b32 s3, exec_lo
                                        ; implicit-def: $vgpr4
	s_delay_alu instid0(VALU_DEP_1) | instskip(NEXT) | instid1(VALU_DEP_1)
	v_cvt_f32_i32_e32 v1, v1
	v_and_b32_e32 v5, 0x7fffffff, v1
	s_delay_alu instid0(VALU_DEP_1)
	v_cmpx_gt_u32_e32 0x47800000, v5
	s_xor_b32 s3, exec_lo, s3
	s_cbranch_execz .LBB207_2074
; %bb.2069:
	s_mov_b32 s6, exec_lo
                                        ; implicit-def: $vgpr4
	v_cmpx_lt_u32_e32 0x387fffff, v5
	s_xor_b32 s6, exec_lo, s6
; %bb.2070:
	v_bfe_u32 v4, v1, 21, 1
	s_delay_alu instid0(VALU_DEP_1) | instskip(NEXT) | instid1(VALU_DEP_1)
	v_add3_u32 v4, v1, v4, 0x80fffff
	v_lshrrev_b32_e32 v4, 21, v4
; %bb.2071:
	s_and_not1_saveexec_b32 s6, s6
; %bb.2072:
	v_add_f32_e64 v4, 0x43000000, |v1|
; %bb.2073:
	s_or_b32 exec_lo, exec_lo, s6
                                        ; implicit-def: $vgpr5
.LBB207_2074:
	s_and_not1_saveexec_b32 s3, s3
; %bb.2075:
	v_mov_b32_e32 v4, 0x7f
	v_cmp_lt_u32_e32 vcc_lo, 0x7f800000, v5
	s_delay_alu instid0(VALU_DEP_2)
	v_cndmask_b32_e32 v4, 0x7c, v4, vcc_lo
; %bb.2076:
	s_or_b32 exec_lo, exec_lo, s3
	v_lshrrev_b32_e32 v1, 24, v1
	s_delay_alu instid0(VALU_DEP_1)
	v_and_or_b32 v1, 0x80, v1, v4
	global_store_b8 v[2:3], v1, off
.LBB207_2077:
	s_mov_b32 s3, 0
	s_mov_b32 s6, -1
.LBB207_2078:
	s_and_not1_b32 vcc_lo, exec_lo, s3
	s_mov_b32 s3, 0
	s_cbranch_vccnz .LBB207_2085
; %bb.2079:
	s_cmp_gt_i32 s2, 14
	s_mov_b32 s3, -1
	s_cbranch_scc0 .LBB207_2083
; %bb.2080:
	s_cmp_eq_u32 s2, 15
	s_mov_b32 s0, -1
	s_cbranch_scc0 .LBB207_2082
; %bb.2081:
	s_wait_loadcnt 0x0
	v_bfe_i32 v1, v13, 0, 16
	s_mov_b32 s0, 0
	s_mov_b32 s6, -1
	s_delay_alu instid0(VALU_DEP_1) | instskip(NEXT) | instid1(VALU_DEP_1)
	v_cvt_f32_i32_e32 v1, v1
	v_bfe_u32 v4, v1, 16, 1
	s_delay_alu instid0(VALU_DEP_1)
	v_add3_u32 v1, v1, v4, 0x7fff
	global_store_d16_hi_b16 v[2:3], v1, off
.LBB207_2082:
	s_mov_b32 s3, 0
.LBB207_2083:
	s_delay_alu instid0(SALU_CYCLE_1)
	s_and_b32 vcc_lo, exec_lo, s3
	s_mov_b32 s3, 0
	s_cbranch_vccz .LBB207_2085
; %bb.2084:
	s_cmp_lg_u32 s2, 11
	s_mov_b32 s3, -1
	s_cselect_b32 s0, -1, 0
.LBB207_2085:
	s_delay_alu instid0(SALU_CYCLE_1)
	s_and_b32 vcc_lo, exec_lo, s0
	s_cbranch_vccnz .LBB207_2221
; %bb.2086:
	s_and_not1_b32 vcc_lo, exec_lo, s3
	s_cbranch_vccnz .LBB207_2088
.LBB207_2087:
	s_wait_loadcnt 0x0
	v_cmp_ne_u16_e32 vcc_lo, 0, v13
	s_mov_b32 s6, -1
	s_wait_xcnt 0x0
	v_cndmask_b32_e64 v1, 0, 1, vcc_lo
	global_store_b8 v[2:3], v1, off
.LBB207_2088:
	s_mov_b32 s0, 0
	s_branch .LBB207_2090
.LBB207_2089:
	s_mov_b32 s0, -1
	s_mov_b32 s6, 0
.LBB207_2090:
	s_and_b32 vcc_lo, exec_lo, s0
	s_cbranch_vccz .LBB207_2129
; %bb.2091:
	s_cmp_lt_i32 s2, 5
	s_mov_b32 s0, -1
	s_cbranch_scc1 .LBB207_2112
; %bb.2092:
	s_cmp_lt_i32 s2, 8
	s_cbranch_scc1 .LBB207_2102
; %bb.2093:
	s_cmp_lt_i32 s2, 9
	s_cbranch_scc1 .LBB207_2099
; %bb.2094:
	s_cmp_gt_i32 s2, 9
	s_cbranch_scc0 .LBB207_2096
; %bb.2095:
	s_wait_loadcnt 0x0
	v_bfe_i32 v1, v13, 0, 16
	v_mov_b32_e32 v6, 0
	s_mov_b32 s0, 0
	s_delay_alu instid0(VALU_DEP_2) | instskip(NEXT) | instid1(VALU_DEP_2)
	v_cvt_f64_i32_e32 v[4:5], v1
	v_mov_b32_e32 v7, v6
	global_store_b128 v[2:3], v[4:7], off
.LBB207_2096:
	s_and_not1_b32 vcc_lo, exec_lo, s0
	s_cbranch_vccnz .LBB207_2098
; %bb.2097:
	s_wait_loadcnt 0x0
	v_bfe_i32 v1, v13, 0, 16
	v_mov_b32_e32 v5, 0
	s_delay_alu instid0(VALU_DEP_2)
	v_cvt_f32_i32_e32 v4, v1
	global_store_b64 v[2:3], v[4:5], off
.LBB207_2098:
	s_mov_b32 s0, 0
.LBB207_2099:
	s_delay_alu instid0(SALU_CYCLE_1)
	s_and_not1_b32 vcc_lo, exec_lo, s0
	s_cbranch_vccnz .LBB207_2101
; %bb.2100:
	s_wait_loadcnt 0x0
	v_cvt_f16_i16_e32 v1, v13
	s_delay_alu instid0(VALU_DEP_1)
	v_and_b32_e32 v1, 0xffff, v1
	global_store_b32 v[2:3], v1, off
.LBB207_2101:
	s_mov_b32 s0, 0
.LBB207_2102:
	s_delay_alu instid0(SALU_CYCLE_1)
	s_and_not1_b32 vcc_lo, exec_lo, s0
	s_cbranch_vccnz .LBB207_2111
; %bb.2103:
	s_cmp_lt_i32 s2, 6
	s_mov_b32 s0, -1
	s_cbranch_scc1 .LBB207_2109
; %bb.2104:
	s_cmp_gt_i32 s2, 6
	s_cbranch_scc0 .LBB207_2106
; %bb.2105:
	s_wait_loadcnt 0x0
	v_bfe_i32 v1, v13, 0, 16
	s_mov_b32 s0, 0
	s_delay_alu instid0(VALU_DEP_1)
	v_cvt_f64_i32_e32 v[4:5], v1
	global_store_b64 v[2:3], v[4:5], off
.LBB207_2106:
	s_and_not1_b32 vcc_lo, exec_lo, s0
	s_cbranch_vccnz .LBB207_2108
; %bb.2107:
	s_wait_loadcnt 0x0
	v_bfe_i32 v1, v13, 0, 16
	s_delay_alu instid0(VALU_DEP_1)
	v_cvt_f32_i32_e32 v1, v1
	global_store_b32 v[2:3], v1, off
.LBB207_2108:
	s_mov_b32 s0, 0
.LBB207_2109:
	s_delay_alu instid0(SALU_CYCLE_1)
	s_and_not1_b32 vcc_lo, exec_lo, s0
	s_cbranch_vccnz .LBB207_2111
; %bb.2110:
	s_wait_loadcnt 0x0
	v_cvt_f16_i16_e32 v1, v13
	global_store_b16 v[2:3], v1, off
.LBB207_2111:
	s_mov_b32 s0, 0
.LBB207_2112:
	s_delay_alu instid0(SALU_CYCLE_1)
	s_and_not1_b32 vcc_lo, exec_lo, s0
	s_cbranch_vccnz .LBB207_2128
; %bb.2113:
	s_cmp_lt_i32 s2, 2
	s_mov_b32 s0, -1
	s_cbranch_scc1 .LBB207_2123
; %bb.2114:
	s_cmp_lt_i32 s2, 3
	s_cbranch_scc1 .LBB207_2120
; %bb.2115:
	s_wait_loadcnt 0x0
	v_bfe_i32 v4, v13, 0, 16
	s_cmp_gt_i32 s2, 3
	s_cbranch_scc0 .LBB207_2117
; %bb.2116:
	s_delay_alu instid0(VALU_DEP_1)
	v_ashrrev_i32_e32 v5, 31, v4
	s_mov_b32 s0, 0
	global_store_b64 v[2:3], v[4:5], off
.LBB207_2117:
	s_and_not1_b32 vcc_lo, exec_lo, s0
	s_cbranch_vccnz .LBB207_2119
; %bb.2118:
	global_store_b32 v[2:3], v4, off
.LBB207_2119:
	s_mov_b32 s0, 0
.LBB207_2120:
	s_delay_alu instid0(SALU_CYCLE_1)
	s_and_not1_b32 vcc_lo, exec_lo, s0
	s_cbranch_vccnz .LBB207_2122
; %bb.2121:
	s_wait_loadcnt 0x0
	global_store_b16 v[2:3], v13, off
.LBB207_2122:
	s_mov_b32 s0, 0
.LBB207_2123:
	s_delay_alu instid0(SALU_CYCLE_1)
	s_and_not1_b32 vcc_lo, exec_lo, s0
	s_cbranch_vccnz .LBB207_2128
; %bb.2124:
	s_cmp_gt_i32 s2, 0
	s_mov_b32 s0, -1
	s_cbranch_scc0 .LBB207_2126
; %bb.2125:
	s_mov_b32 s0, 0
	s_wait_loadcnt 0x0
	global_store_b8 v[2:3], v13, off
.LBB207_2126:
	s_and_not1_b32 vcc_lo, exec_lo, s0
	s_cbranch_vccnz .LBB207_2128
; %bb.2127:
	s_wait_loadcnt 0x0
	global_store_b8 v[2:3], v13, off
.LBB207_2128:
	s_mov_b32 s6, -1
.LBB207_2129:
	s_delay_alu instid0(SALU_CYCLE_1)
	s_and_not1_b32 vcc_lo, exec_lo, s6
	s_cbranch_vccnz .LBB207_2206
; %bb.2130:
	s_wait_xcnt 0x0
	v_mov_b32_e32 v1, 0
	s_cmp_lt_i32 s2, 11
	s_delay_alu instid0(VALU_DEP_1)
	v_add_nc_u64_e32 v[2:3], s[4:5], v[0:1]
	s_cbranch_scc1 .LBB207_2207
; %bb.2131:
	s_mov_b32 s4, -1
	s_mov_b32 s3, 0
	s_cmp_gt_i32 s2, 25
	s_mov_b32 s0, 0
	s_cbranch_scc0 .LBB207_2164
; %bb.2132:
	s_cmp_gt_i32 s2, 28
	s_cbranch_scc0 .LBB207_2148
; %bb.2133:
	s_cmp_gt_i32 s2, 43
	;; [unrolled: 3-line block ×3, first 2 shown]
	s_cbranch_scc0 .LBB207_2138
; %bb.2135:
	s_cmp_eq_u32 s2, 46
	s_mov_b32 s0, -1
	s_cbranch_scc0 .LBB207_2137
; %bb.2136:
	s_wait_loadcnt 0x0
	v_bfe_i32 v0, v11, 0, 16
	s_mov_b32 s0, 0
	s_delay_alu instid0(VALU_DEP_1) | instskip(NEXT) | instid1(VALU_DEP_1)
	v_cvt_f32_i32_e32 v0, v0
	v_bfe_u32 v1, v0, 16, 1
	s_delay_alu instid0(VALU_DEP_1) | instskip(NEXT) | instid1(VALU_DEP_1)
	v_add3_u32 v0, v0, v1, 0x7fff
	v_lshrrev_b32_e32 v0, 16, v0
	global_store_b32 v[2:3], v0, off
.LBB207_2137:
	s_mov_b32 s4, 0
.LBB207_2138:
	s_delay_alu instid0(SALU_CYCLE_1)
	s_and_b32 vcc_lo, exec_lo, s4
	s_cbranch_vccz .LBB207_2143
; %bb.2139:
	s_cmp_eq_u32 s2, 44
	s_mov_b32 s0, -1
	s_cbranch_scc0 .LBB207_2143
; %bb.2140:
	s_wait_loadcnt 0x0
	v_bfe_i32 v0, v11, 0, 16
	v_mov_b32_e32 v1, 0xff
	s_mov_b32 s4, exec_lo
	s_delay_alu instid0(VALU_DEP_2) | instskip(NEXT) | instid1(VALU_DEP_1)
	v_cvt_f32_i32_e32 v0, v0
	v_bfe_u32 v4, v0, 23, 8
	s_delay_alu instid0(VALU_DEP_1)
	v_cmpx_ne_u32_e32 0xff, v4
	s_cbranch_execz .LBB207_2142
; %bb.2141:
	v_and_b32_e32 v1, 0x400000, v0
	v_and_or_b32 v4, 0x3fffff, v0, v4
	v_lshrrev_b32_e32 v0, 23, v0
	s_delay_alu instid0(VALU_DEP_3) | instskip(NEXT) | instid1(VALU_DEP_3)
	v_cmp_ne_u32_e32 vcc_lo, 0, v1
	v_cmp_ne_u32_e64 s0, 0, v4
	s_and_b32 s0, vcc_lo, s0
	s_delay_alu instid0(SALU_CYCLE_1) | instskip(NEXT) | instid1(VALU_DEP_1)
	v_cndmask_b32_e64 v1, 0, 1, s0
	v_add_nc_u32_e32 v1, v0, v1
.LBB207_2142:
	s_or_b32 exec_lo, exec_lo, s4
	s_mov_b32 s0, 0
	global_store_b8 v[2:3], v1, off
.LBB207_2143:
	s_mov_b32 s4, 0
.LBB207_2144:
	s_delay_alu instid0(SALU_CYCLE_1)
	s_and_b32 vcc_lo, exec_lo, s4
	s_cbranch_vccz .LBB207_2147
; %bb.2145:
	s_cmp_eq_u32 s2, 29
	s_mov_b32 s0, -1
	s_cbranch_scc0 .LBB207_2147
; %bb.2146:
	s_wait_loadcnt 0x0
	v_bfe_i32 v0, v11, 0, 16
	s_mov_b32 s0, 0
	s_delay_alu instid0(VALU_DEP_1)
	v_ashrrev_i32_e32 v1, 31, v0
	global_store_b64 v[2:3], v[0:1], off
.LBB207_2147:
	s_mov_b32 s4, 0
.LBB207_2148:
	s_delay_alu instid0(SALU_CYCLE_1)
	s_and_b32 vcc_lo, exec_lo, s4
	s_cbranch_vccz .LBB207_2163
; %bb.2149:
	s_cmp_lt_i32 s2, 27
	s_mov_b32 s4, -1
	s_cbranch_scc1 .LBB207_2155
; %bb.2150:
	s_cmp_gt_i32 s2, 27
	s_cbranch_scc0 .LBB207_2152
; %bb.2151:
	s_wait_loadcnt 0x0
	v_bfe_i32 v0, v11, 0, 16
	s_mov_b32 s4, 0
	global_store_b32 v[2:3], v0, off
.LBB207_2152:
	s_and_not1_b32 vcc_lo, exec_lo, s4
	s_cbranch_vccnz .LBB207_2154
; %bb.2153:
	s_wait_loadcnt 0x0
	global_store_b16 v[2:3], v11, off
.LBB207_2154:
	s_mov_b32 s4, 0
.LBB207_2155:
	s_delay_alu instid0(SALU_CYCLE_1)
	s_and_not1_b32 vcc_lo, exec_lo, s4
	s_cbranch_vccnz .LBB207_2163
; %bb.2156:
	s_wait_loadcnt 0x0
	v_bfe_i32 v0, v11, 0, 16
	v_mov_b32_e32 v4, 0x80
	s_mov_b32 s4, exec_lo
	s_delay_alu instid0(VALU_DEP_2) | instskip(NEXT) | instid1(VALU_DEP_1)
	v_cvt_f32_i32_e32 v0, v0
	v_and_b32_e32 v1, 0x7fffffff, v0
	s_delay_alu instid0(VALU_DEP_1)
	v_cmpx_gt_u32_e32 0x43800000, v1
	s_cbranch_execz .LBB207_2162
; %bb.2157:
	v_cmp_lt_u32_e32 vcc_lo, 0x3bffffff, v1
	s_mov_b32 s5, 0
                                        ; implicit-def: $vgpr1
	s_and_saveexec_b32 s6, vcc_lo
	s_delay_alu instid0(SALU_CYCLE_1)
	s_xor_b32 s6, exec_lo, s6
	s_cbranch_execz .LBB207_2224
; %bb.2158:
	v_bfe_u32 v1, v0, 20, 1
	s_mov_b32 s5, exec_lo
	s_delay_alu instid0(VALU_DEP_1) | instskip(NEXT) | instid1(VALU_DEP_1)
	v_add3_u32 v1, v0, v1, 0x487ffff
	v_lshrrev_b32_e32 v1, 20, v1
	s_and_not1_saveexec_b32 s6, s6
	s_cbranch_execnz .LBB207_2225
.LBB207_2159:
	s_or_b32 exec_lo, exec_lo, s6
	v_mov_b32_e32 v4, 0
	s_and_saveexec_b32 s6, s5
.LBB207_2160:
	v_lshrrev_b32_e32 v0, 24, v0
	s_delay_alu instid0(VALU_DEP_1)
	v_and_or_b32 v4, 0x80, v0, v1
.LBB207_2161:
	s_or_b32 exec_lo, exec_lo, s6
.LBB207_2162:
	s_delay_alu instid0(SALU_CYCLE_1)
	s_or_b32 exec_lo, exec_lo, s4
	global_store_b8 v[2:3], v4, off
.LBB207_2163:
	s_mov_b32 s4, 0
.LBB207_2164:
	s_delay_alu instid0(SALU_CYCLE_1)
	s_and_b32 vcc_lo, exec_lo, s4
	s_cbranch_vccz .LBB207_2204
; %bb.2165:
	s_cmp_gt_i32 s2, 22
	s_mov_b32 s3, -1
	s_cbranch_scc0 .LBB207_2197
; %bb.2166:
	s_cmp_lt_i32 s2, 24
	s_cbranch_scc1 .LBB207_2186
; %bb.2167:
	s_cmp_gt_i32 s2, 24
	s_cbranch_scc0 .LBB207_2175
; %bb.2168:
	s_wait_loadcnt 0x0
	v_bfe_i32 v0, v11, 0, 16
	v_mov_b32_e32 v4, 0x80
	s_mov_b32 s3, exec_lo
	s_delay_alu instid0(VALU_DEP_2) | instskip(NEXT) | instid1(VALU_DEP_1)
	v_cvt_f32_i32_e32 v0, v0
	v_and_b32_e32 v1, 0x7fffffff, v0
	s_delay_alu instid0(VALU_DEP_1)
	v_cmpx_gt_u32_e32 0x47800000, v1
	s_cbranch_execz .LBB207_2174
; %bb.2169:
	v_cmp_lt_u32_e32 vcc_lo, 0x37ffffff, v1
	s_mov_b32 s4, 0
                                        ; implicit-def: $vgpr1
	s_and_saveexec_b32 s5, vcc_lo
	s_delay_alu instid0(SALU_CYCLE_1)
	s_xor_b32 s5, exec_lo, s5
	s_cbranch_execz .LBB207_2227
; %bb.2170:
	v_bfe_u32 v1, v0, 21, 1
	s_mov_b32 s4, exec_lo
	s_delay_alu instid0(VALU_DEP_1) | instskip(NEXT) | instid1(VALU_DEP_1)
	v_add3_u32 v1, v0, v1, 0x88fffff
	v_lshrrev_b32_e32 v1, 21, v1
	s_and_not1_saveexec_b32 s5, s5
	s_cbranch_execnz .LBB207_2228
.LBB207_2171:
	s_or_b32 exec_lo, exec_lo, s5
	v_mov_b32_e32 v4, 0
	s_and_saveexec_b32 s5, s4
.LBB207_2172:
	v_lshrrev_b32_e32 v0, 24, v0
	s_delay_alu instid0(VALU_DEP_1)
	v_and_or_b32 v4, 0x80, v0, v1
.LBB207_2173:
	s_or_b32 exec_lo, exec_lo, s5
.LBB207_2174:
	s_delay_alu instid0(SALU_CYCLE_1)
	s_or_b32 exec_lo, exec_lo, s3
	s_mov_b32 s3, 0
	global_store_b8 v[2:3], v4, off
.LBB207_2175:
	s_and_b32 vcc_lo, exec_lo, s3
	s_cbranch_vccz .LBB207_2185
; %bb.2176:
	s_wait_loadcnt 0x0
	v_bfe_i32 v0, v11, 0, 16
	s_mov_b32 s3, exec_lo
                                        ; implicit-def: $vgpr1
	s_delay_alu instid0(VALU_DEP_1) | instskip(NEXT) | instid1(VALU_DEP_1)
	v_cvt_f32_i32_e32 v0, v0
	v_and_b32_e32 v4, 0x7fffffff, v0
	s_delay_alu instid0(VALU_DEP_1)
	v_cmpx_gt_u32_e32 0x43f00000, v4
	s_xor_b32 s3, exec_lo, s3
	s_cbranch_execz .LBB207_2182
; %bb.2177:
	s_mov_b32 s4, exec_lo
                                        ; implicit-def: $vgpr1
	v_cmpx_lt_u32_e32 0x3c7fffff, v4
	s_xor_b32 s4, exec_lo, s4
; %bb.2178:
	v_bfe_u32 v1, v0, 20, 1
	s_delay_alu instid0(VALU_DEP_1) | instskip(NEXT) | instid1(VALU_DEP_1)
	v_add3_u32 v1, v0, v1, 0x407ffff
	v_and_b32_e32 v4, 0xff00000, v1
	v_lshrrev_b32_e32 v1, 20, v1
	s_delay_alu instid0(VALU_DEP_2) | instskip(NEXT) | instid1(VALU_DEP_2)
	v_cmp_ne_u32_e32 vcc_lo, 0x7f00000, v4
	v_cndmask_b32_e32 v1, 0x7e, v1, vcc_lo
; %bb.2179:
	s_and_not1_saveexec_b32 s4, s4
; %bb.2180:
	v_add_f32_e64 v1, 0x46800000, |v0|
; %bb.2181:
	s_or_b32 exec_lo, exec_lo, s4
                                        ; implicit-def: $vgpr4
.LBB207_2182:
	s_and_not1_saveexec_b32 s3, s3
; %bb.2183:
	v_mov_b32_e32 v1, 0x7f
	v_cmp_lt_u32_e32 vcc_lo, 0x7f800000, v4
	s_delay_alu instid0(VALU_DEP_2)
	v_cndmask_b32_e32 v1, 0x7e, v1, vcc_lo
; %bb.2184:
	s_or_b32 exec_lo, exec_lo, s3
	v_lshrrev_b32_e32 v0, 24, v0
	s_delay_alu instid0(VALU_DEP_1)
	v_and_or_b32 v0, 0x80, v0, v1
	global_store_b8 v[2:3], v0, off
.LBB207_2185:
	s_mov_b32 s3, 0
.LBB207_2186:
	s_delay_alu instid0(SALU_CYCLE_1)
	s_and_not1_b32 vcc_lo, exec_lo, s3
	s_cbranch_vccnz .LBB207_2196
; %bb.2187:
	s_wait_loadcnt 0x0
	v_bfe_i32 v0, v11, 0, 16
	s_mov_b32 s3, exec_lo
                                        ; implicit-def: $vgpr1
	s_delay_alu instid0(VALU_DEP_1) | instskip(NEXT) | instid1(VALU_DEP_1)
	v_cvt_f32_i32_e32 v0, v0
	v_and_b32_e32 v4, 0x7fffffff, v0
	s_delay_alu instid0(VALU_DEP_1)
	v_cmpx_gt_u32_e32 0x47800000, v4
	s_xor_b32 s3, exec_lo, s3
	s_cbranch_execz .LBB207_2193
; %bb.2188:
	s_mov_b32 s4, exec_lo
                                        ; implicit-def: $vgpr1
	v_cmpx_lt_u32_e32 0x387fffff, v4
	s_xor_b32 s4, exec_lo, s4
; %bb.2189:
	v_bfe_u32 v1, v0, 21, 1
	s_delay_alu instid0(VALU_DEP_1) | instskip(NEXT) | instid1(VALU_DEP_1)
	v_add3_u32 v1, v0, v1, 0x80fffff
	v_lshrrev_b32_e32 v1, 21, v1
; %bb.2190:
	s_and_not1_saveexec_b32 s4, s4
; %bb.2191:
	v_add_f32_e64 v1, 0x43000000, |v0|
; %bb.2192:
	s_or_b32 exec_lo, exec_lo, s4
                                        ; implicit-def: $vgpr4
.LBB207_2193:
	s_and_not1_saveexec_b32 s3, s3
; %bb.2194:
	v_mov_b32_e32 v1, 0x7f
	v_cmp_lt_u32_e32 vcc_lo, 0x7f800000, v4
	s_delay_alu instid0(VALU_DEP_2)
	v_cndmask_b32_e32 v1, 0x7c, v1, vcc_lo
; %bb.2195:
	s_or_b32 exec_lo, exec_lo, s3
	v_lshrrev_b32_e32 v0, 24, v0
	s_delay_alu instid0(VALU_DEP_1)
	v_and_or_b32 v0, 0x80, v0, v1
	global_store_b8 v[2:3], v0, off
.LBB207_2196:
	s_mov_b32 s3, 0
.LBB207_2197:
	s_delay_alu instid0(SALU_CYCLE_1)
	s_and_not1_b32 vcc_lo, exec_lo, s3
	s_mov_b32 s3, 0
	s_cbranch_vccnz .LBB207_2204
; %bb.2198:
	s_cmp_gt_i32 s2, 14
	s_mov_b32 s3, -1
	s_cbranch_scc0 .LBB207_2202
; %bb.2199:
	s_cmp_eq_u32 s2, 15
	s_mov_b32 s0, -1
	s_cbranch_scc0 .LBB207_2201
; %bb.2200:
	s_wait_loadcnt 0x0
	v_bfe_i32 v0, v11, 0, 16
	s_mov_b32 s0, 0
	s_delay_alu instid0(VALU_DEP_1) | instskip(NEXT) | instid1(VALU_DEP_1)
	v_cvt_f32_i32_e32 v0, v0
	v_bfe_u32 v1, v0, 16, 1
	s_delay_alu instid0(VALU_DEP_1)
	v_add3_u32 v0, v0, v1, 0x7fff
	global_store_d16_hi_b16 v[2:3], v0, off
.LBB207_2201:
	s_mov_b32 s3, 0
.LBB207_2202:
	s_delay_alu instid0(SALU_CYCLE_1)
	s_and_b32 vcc_lo, exec_lo, s3
	s_mov_b32 s3, 0
	s_cbranch_vccz .LBB207_2204
; %bb.2203:
	s_cmp_lg_u32 s2, 11
	s_mov_b32 s3, -1
	s_cselect_b32 s0, -1, 0
.LBB207_2204:
	s_delay_alu instid0(SALU_CYCLE_1)
	s_and_b32 vcc_lo, exec_lo, s0
	s_cbranch_vccnz .LBB207_2226
.LBB207_2205:
	s_mov_b32 s0, 0
	s_branch .LBB207_1720
.LBB207_2206:
	s_mov_b32 s0, 0
	s_mov_b32 s3, 0
                                        ; implicit-def: $vgpr2_vgpr3
                                        ; implicit-def: $sgpr1
	s_branch .LBB207_1720
.LBB207_2207:
	s_mov_b32 s3, 0
	s_mov_b32 s0, -1
	s_branch .LBB207_1720
.LBB207_2208:
	s_or_b32 s10, s10, exec_lo
	s_trap 2
	s_cbranch_execz .LBB207_1664
	s_branch .LBB207_1665
.LBB207_2209:
	s_and_not1_saveexec_b32 s11, s11
	s_cbranch_execz .LBB207_1799
.LBB207_2210:
	v_add_f32_e64 v8, 0x46000000, |v5|
	s_and_not1_b32 s7, s7, exec_lo
	s_delay_alu instid0(VALU_DEP_1) | instskip(NEXT) | instid1(VALU_DEP_1)
	v_and_b32_e32 v8, 0xff, v8
	v_cmp_ne_u32_e32 vcc_lo, 0, v8
	s_and_b32 s12, vcc_lo, exec_lo
	s_delay_alu instid0(SALU_CYCLE_1)
	s_or_b32 s7, s7, s12
	s_or_b32 exec_lo, exec_lo, s11
	v_mov_b32_e32 v9, 0
	s_and_saveexec_b32 s11, s7
	s_cbranch_execnz .LBB207_1800
	s_branch .LBB207_1801
.LBB207_2211:
	s_or_b32 s10, s10, exec_lo
	s_trap 2
	s_cbranch_execz .LBB207_1847
	s_branch .LBB207_1848
.LBB207_2212:
	s_and_not1_saveexec_b32 s7, s7
	s_cbranch_execz .LBB207_1812
.LBB207_2213:
	v_add_f32_e64 v8, 0x42800000, |v5|
	s_and_not1_b32 s6, s6, exec_lo
	s_delay_alu instid0(VALU_DEP_1) | instskip(NEXT) | instid1(VALU_DEP_1)
	v_and_b32_e32 v8, 0xff, v8
	v_cmp_ne_u32_e32 vcc_lo, 0, v8
	s_and_b32 s11, vcc_lo, exec_lo
	s_delay_alu instid0(SALU_CYCLE_1)
	s_or_b32 s6, s6, s11
	s_or_b32 exec_lo, exec_lo, s7
	v_mov_b32_e32 v9, 0
	s_and_saveexec_b32 s7, s6
	s_cbranch_execnz .LBB207_1813
	s_branch .LBB207_1814
.LBB207_2214:
	s_and_not1_saveexec_b32 s11, s11
	s_cbranch_execz .LBB207_1920
.LBB207_2215:
	v_add_f32_e64 v6, 0x46000000, |v1|
	s_and_not1_b32 s7, s7, exec_lo
	s_delay_alu instid0(VALU_DEP_1) | instskip(NEXT) | instid1(VALU_DEP_1)
	v_and_b32_e32 v6, 0xff, v6
	v_cmp_ne_u32_e32 vcc_lo, 0, v6
	s_and_b32 s12, vcc_lo, exec_lo
	s_delay_alu instid0(SALU_CYCLE_1)
	s_or_b32 s7, s7, s12
	s_or_b32 exec_lo, exec_lo, s11
	v_mov_b32_e32 v7, 0
	s_and_saveexec_b32 s11, s7
	s_cbranch_execnz .LBB207_1921
	s_branch .LBB207_1922
.LBB207_2216:
	s_or_b32 s10, s10, exec_lo
	s_trap 2
	s_cbranch_execz .LBB207_1968
	s_branch .LBB207_1969
.LBB207_2217:
	s_and_not1_saveexec_b32 s7, s7
	s_cbranch_execz .LBB207_1933
.LBB207_2218:
	v_add_f32_e64 v6, 0x42800000, |v1|
	s_and_not1_b32 s6, s6, exec_lo
	s_delay_alu instid0(VALU_DEP_1) | instskip(NEXT) | instid1(VALU_DEP_1)
	v_and_b32_e32 v6, 0xff, v6
	v_cmp_ne_u32_e32 vcc_lo, 0, v6
	s_and_b32 s11, vcc_lo, exec_lo
	s_delay_alu instid0(SALU_CYCLE_1)
	s_or_b32 s6, s6, s11
	s_or_b32 exec_lo, exec_lo, s7
	v_mov_b32_e32 v7, 0
	s_and_saveexec_b32 s7, s6
	s_cbranch_execnz .LBB207_1934
	s_branch .LBB207_1935
.LBB207_2219:
	s_and_not1_saveexec_b32 s11, s11
	s_cbranch_execz .LBB207_2039
.LBB207_2220:
	v_add_f32_e64 v4, 0x46000000, |v1|
	s_and_not1_b32 s7, s7, exec_lo
	s_delay_alu instid0(VALU_DEP_1) | instskip(NEXT) | instid1(VALU_DEP_1)
	v_and_b32_e32 v4, 0xff, v4
	v_cmp_ne_u32_e32 vcc_lo, 0, v4
	s_and_b32 s12, vcc_lo, exec_lo
	s_delay_alu instid0(SALU_CYCLE_1)
	s_or_b32 s7, s7, s12
	s_or_b32 exec_lo, exec_lo, s11
	v_mov_b32_e32 v5, 0
	s_and_saveexec_b32 s11, s7
	s_cbranch_execnz .LBB207_2040
	s_branch .LBB207_2041
.LBB207_2221:
	s_or_b32 s10, s10, exec_lo
	s_trap 2
	s_cbranch_execz .LBB207_2087
	s_branch .LBB207_2088
.LBB207_2222:
	s_and_not1_saveexec_b32 s7, s7
	s_cbranch_execz .LBB207_2052
.LBB207_2223:
	v_add_f32_e64 v4, 0x42800000, |v1|
	s_and_not1_b32 s6, s6, exec_lo
	s_delay_alu instid0(VALU_DEP_1) | instskip(NEXT) | instid1(VALU_DEP_1)
	v_and_b32_e32 v4, 0xff, v4
	v_cmp_ne_u32_e32 vcc_lo, 0, v4
	s_and_b32 s11, vcc_lo, exec_lo
	s_delay_alu instid0(SALU_CYCLE_1)
	s_or_b32 s6, s6, s11
	s_or_b32 exec_lo, exec_lo, s7
	v_mov_b32_e32 v5, 0
	s_and_saveexec_b32 s7, s6
	s_cbranch_execnz .LBB207_2053
	s_branch .LBB207_2054
.LBB207_2224:
	s_and_not1_saveexec_b32 s6, s6
	s_cbranch_execz .LBB207_2159
.LBB207_2225:
	v_add_f32_e64 v1, 0x46000000, |v0|
	s_and_not1_b32 s5, s5, exec_lo
	s_delay_alu instid0(VALU_DEP_1) | instskip(NEXT) | instid1(VALU_DEP_1)
	v_and_b32_e32 v1, 0xff, v1
	v_cmp_ne_u32_e32 vcc_lo, 0, v1
	s_and_b32 s7, vcc_lo, exec_lo
	s_delay_alu instid0(SALU_CYCLE_1)
	s_or_b32 s5, s5, s7
	s_or_b32 exec_lo, exec_lo, s6
	v_mov_b32_e32 v4, 0
	s_and_saveexec_b32 s6, s5
	s_cbranch_execnz .LBB207_2160
	s_branch .LBB207_2161
.LBB207_2226:
	s_mov_b32 s3, 0
	s_or_b32 s10, s10, exec_lo
	s_trap 2
	s_branch .LBB207_2205
.LBB207_2227:
	s_and_not1_saveexec_b32 s5, s5
	s_cbranch_execz .LBB207_2171
.LBB207_2228:
	v_add_f32_e64 v1, 0x42800000, |v0|
	s_and_not1_b32 s4, s4, exec_lo
	s_delay_alu instid0(VALU_DEP_1) | instskip(NEXT) | instid1(VALU_DEP_1)
	v_and_b32_e32 v1, 0xff, v1
	v_cmp_ne_u32_e32 vcc_lo, 0, v1
	s_and_b32 s6, vcc_lo, exec_lo
	s_delay_alu instid0(SALU_CYCLE_1)
	s_or_b32 s4, s4, s6
	s_or_b32 exec_lo, exec_lo, s5
	v_mov_b32_e32 v4, 0
	s_and_saveexec_b32 s5, s4
	s_cbranch_execnz .LBB207_2172
	s_branch .LBB207_2173
	.section	.rodata,"a",@progbits
	.p2align	6, 0x0
	.amdhsa_kernel _ZN2at6native32elementwise_kernel_manual_unrollILi128ELi4EZNS0_15gpu_kernel_implIZZZNS0_12_GLOBAL__N_119launch_clamp_scalarERNS_18TensorIteratorBaseEN3c106ScalarES7_NS0_6detail11ClampLimitsEENKUlvE_clEvENKUlvE3_clEvEUlsE_EEvS5_RKT_EUlibE0_EEviT1_
		.amdhsa_group_segment_fixed_size 0
		.amdhsa_private_segment_fixed_size 0
		.amdhsa_kernarg_size 368
		.amdhsa_user_sgpr_count 2
		.amdhsa_user_sgpr_dispatch_ptr 0
		.amdhsa_user_sgpr_queue_ptr 0
		.amdhsa_user_sgpr_kernarg_segment_ptr 1
		.amdhsa_user_sgpr_dispatch_id 0
		.amdhsa_user_sgpr_kernarg_preload_length 0
		.amdhsa_user_sgpr_kernarg_preload_offset 0
		.amdhsa_user_sgpr_private_segment_size 0
		.amdhsa_wavefront_size32 1
		.amdhsa_uses_dynamic_stack 0
		.amdhsa_enable_private_segment 0
		.amdhsa_system_sgpr_workgroup_id_x 1
		.amdhsa_system_sgpr_workgroup_id_y 0
		.amdhsa_system_sgpr_workgroup_id_z 0
		.amdhsa_system_sgpr_workgroup_info 0
		.amdhsa_system_vgpr_workitem_id 0
		.amdhsa_next_free_vgpr 18
		.amdhsa_next_free_sgpr 72
		.amdhsa_named_barrier_count 0
		.amdhsa_reserve_vcc 1
		.amdhsa_float_round_mode_32 0
		.amdhsa_float_round_mode_16_64 0
		.amdhsa_float_denorm_mode_32 3
		.amdhsa_float_denorm_mode_16_64 3
		.amdhsa_fp16_overflow 0
		.amdhsa_memory_ordered 1
		.amdhsa_forward_progress 1
		.amdhsa_inst_pref_size 255
		.amdhsa_round_robin_scheduling 0
		.amdhsa_exception_fp_ieee_invalid_op 0
		.amdhsa_exception_fp_denorm_src 0
		.amdhsa_exception_fp_ieee_div_zero 0
		.amdhsa_exception_fp_ieee_overflow 0
		.amdhsa_exception_fp_ieee_underflow 0
		.amdhsa_exception_fp_ieee_inexact 0
		.amdhsa_exception_int_div_zero 0
	.end_amdhsa_kernel
	.section	.text._ZN2at6native32elementwise_kernel_manual_unrollILi128ELi4EZNS0_15gpu_kernel_implIZZZNS0_12_GLOBAL__N_119launch_clamp_scalarERNS_18TensorIteratorBaseEN3c106ScalarES7_NS0_6detail11ClampLimitsEENKUlvE_clEvENKUlvE3_clEvEUlsE_EEvS5_RKT_EUlibE0_EEviT1_,"axG",@progbits,_ZN2at6native32elementwise_kernel_manual_unrollILi128ELi4EZNS0_15gpu_kernel_implIZZZNS0_12_GLOBAL__N_119launch_clamp_scalarERNS_18TensorIteratorBaseEN3c106ScalarES7_NS0_6detail11ClampLimitsEENKUlvE_clEvENKUlvE3_clEvEUlsE_EEvS5_RKT_EUlibE0_EEviT1_,comdat
.Lfunc_end207:
	.size	_ZN2at6native32elementwise_kernel_manual_unrollILi128ELi4EZNS0_15gpu_kernel_implIZZZNS0_12_GLOBAL__N_119launch_clamp_scalarERNS_18TensorIteratorBaseEN3c106ScalarES7_NS0_6detail11ClampLimitsEENKUlvE_clEvENKUlvE3_clEvEUlsE_EEvS5_RKT_EUlibE0_EEviT1_, .Lfunc_end207-_ZN2at6native32elementwise_kernel_manual_unrollILi128ELi4EZNS0_15gpu_kernel_implIZZZNS0_12_GLOBAL__N_119launch_clamp_scalarERNS_18TensorIteratorBaseEN3c106ScalarES7_NS0_6detail11ClampLimitsEENKUlvE_clEvENKUlvE3_clEvEUlsE_EEvS5_RKT_EUlibE0_EEviT1_
                                        ; -- End function
	.set _ZN2at6native32elementwise_kernel_manual_unrollILi128ELi4EZNS0_15gpu_kernel_implIZZZNS0_12_GLOBAL__N_119launch_clamp_scalarERNS_18TensorIteratorBaseEN3c106ScalarES7_NS0_6detail11ClampLimitsEENKUlvE_clEvENKUlvE3_clEvEUlsE_EEvS5_RKT_EUlibE0_EEviT1_.num_vgpr, 18
	.set _ZN2at6native32elementwise_kernel_manual_unrollILi128ELi4EZNS0_15gpu_kernel_implIZZZNS0_12_GLOBAL__N_119launch_clamp_scalarERNS_18TensorIteratorBaseEN3c106ScalarES7_NS0_6detail11ClampLimitsEENKUlvE_clEvENKUlvE3_clEvEUlsE_EEvS5_RKT_EUlibE0_EEviT1_.num_agpr, 0
	.set _ZN2at6native32elementwise_kernel_manual_unrollILi128ELi4EZNS0_15gpu_kernel_implIZZZNS0_12_GLOBAL__N_119launch_clamp_scalarERNS_18TensorIteratorBaseEN3c106ScalarES7_NS0_6detail11ClampLimitsEENKUlvE_clEvENKUlvE3_clEvEUlsE_EEvS5_RKT_EUlibE0_EEviT1_.numbered_sgpr, 72
	.set _ZN2at6native32elementwise_kernel_manual_unrollILi128ELi4EZNS0_15gpu_kernel_implIZZZNS0_12_GLOBAL__N_119launch_clamp_scalarERNS_18TensorIteratorBaseEN3c106ScalarES7_NS0_6detail11ClampLimitsEENKUlvE_clEvENKUlvE3_clEvEUlsE_EEvS5_RKT_EUlibE0_EEviT1_.num_named_barrier, 0
	.set _ZN2at6native32elementwise_kernel_manual_unrollILi128ELi4EZNS0_15gpu_kernel_implIZZZNS0_12_GLOBAL__N_119launch_clamp_scalarERNS_18TensorIteratorBaseEN3c106ScalarES7_NS0_6detail11ClampLimitsEENKUlvE_clEvENKUlvE3_clEvEUlsE_EEvS5_RKT_EUlibE0_EEviT1_.private_seg_size, 0
	.set _ZN2at6native32elementwise_kernel_manual_unrollILi128ELi4EZNS0_15gpu_kernel_implIZZZNS0_12_GLOBAL__N_119launch_clamp_scalarERNS_18TensorIteratorBaseEN3c106ScalarES7_NS0_6detail11ClampLimitsEENKUlvE_clEvENKUlvE3_clEvEUlsE_EEvS5_RKT_EUlibE0_EEviT1_.uses_vcc, 1
	.set _ZN2at6native32elementwise_kernel_manual_unrollILi128ELi4EZNS0_15gpu_kernel_implIZZZNS0_12_GLOBAL__N_119launch_clamp_scalarERNS_18TensorIteratorBaseEN3c106ScalarES7_NS0_6detail11ClampLimitsEENKUlvE_clEvENKUlvE3_clEvEUlsE_EEvS5_RKT_EUlibE0_EEviT1_.uses_flat_scratch, 0
	.set _ZN2at6native32elementwise_kernel_manual_unrollILi128ELi4EZNS0_15gpu_kernel_implIZZZNS0_12_GLOBAL__N_119launch_clamp_scalarERNS_18TensorIteratorBaseEN3c106ScalarES7_NS0_6detail11ClampLimitsEENKUlvE_clEvENKUlvE3_clEvEUlsE_EEvS5_RKT_EUlibE0_EEviT1_.has_dyn_sized_stack, 0
	.set _ZN2at6native32elementwise_kernel_manual_unrollILi128ELi4EZNS0_15gpu_kernel_implIZZZNS0_12_GLOBAL__N_119launch_clamp_scalarERNS_18TensorIteratorBaseEN3c106ScalarES7_NS0_6detail11ClampLimitsEENKUlvE_clEvENKUlvE3_clEvEUlsE_EEvS5_RKT_EUlibE0_EEviT1_.has_recursion, 0
	.set _ZN2at6native32elementwise_kernel_manual_unrollILi128ELi4EZNS0_15gpu_kernel_implIZZZNS0_12_GLOBAL__N_119launch_clamp_scalarERNS_18TensorIteratorBaseEN3c106ScalarES7_NS0_6detail11ClampLimitsEENKUlvE_clEvENKUlvE3_clEvEUlsE_EEvS5_RKT_EUlibE0_EEviT1_.has_indirect_call, 0
	.section	.AMDGPU.csdata,"",@progbits
; Kernel info:
; codeLenInByte = 42452
; TotalNumSgprs: 74
; NumVgprs: 18
; ScratchSize: 0
; MemoryBound: 1
; FloatMode: 240
; IeeeMode: 1
; LDSByteSize: 0 bytes/workgroup (compile time only)
; SGPRBlocks: 0
; VGPRBlocks: 1
; NumSGPRsForWavesPerEU: 74
; NumVGPRsForWavesPerEU: 18
; NamedBarCnt: 0
; Occupancy: 16
; WaveLimiterHint : 1
; COMPUTE_PGM_RSRC2:SCRATCH_EN: 0
; COMPUTE_PGM_RSRC2:USER_SGPR: 2
; COMPUTE_PGM_RSRC2:TRAP_HANDLER: 0
; COMPUTE_PGM_RSRC2:TGID_X_EN: 1
; COMPUTE_PGM_RSRC2:TGID_Y_EN: 0
; COMPUTE_PGM_RSRC2:TGID_Z_EN: 0
; COMPUTE_PGM_RSRC2:TIDIG_COMP_CNT: 0
	.section	.text._ZN2at6native29vectorized_elementwise_kernelILi16EZZZNS0_12_GLOBAL__N_119launch_clamp_scalarERNS_18TensorIteratorBaseEN3c106ScalarES6_NS0_6detail11ClampLimitsEENKUlvE_clEvENKUlvE4_clEvEUldE_St5arrayIPcLm2EEEEviT0_T1_,"axG",@progbits,_ZN2at6native29vectorized_elementwise_kernelILi16EZZZNS0_12_GLOBAL__N_119launch_clamp_scalarERNS_18TensorIteratorBaseEN3c106ScalarES6_NS0_6detail11ClampLimitsEENKUlvE_clEvENKUlvE4_clEvEUldE_St5arrayIPcLm2EEEEviT0_T1_,comdat
	.globl	_ZN2at6native29vectorized_elementwise_kernelILi16EZZZNS0_12_GLOBAL__N_119launch_clamp_scalarERNS_18TensorIteratorBaseEN3c106ScalarES6_NS0_6detail11ClampLimitsEENKUlvE_clEvENKUlvE4_clEvEUldE_St5arrayIPcLm2EEEEviT0_T1_ ; -- Begin function _ZN2at6native29vectorized_elementwise_kernelILi16EZZZNS0_12_GLOBAL__N_119launch_clamp_scalarERNS_18TensorIteratorBaseEN3c106ScalarES6_NS0_6detail11ClampLimitsEENKUlvE_clEvENKUlvE4_clEvEUldE_St5arrayIPcLm2EEEEviT0_T1_
	.p2align	8
	.type	_ZN2at6native29vectorized_elementwise_kernelILi16EZZZNS0_12_GLOBAL__N_119launch_clamp_scalarERNS_18TensorIteratorBaseEN3c106ScalarES6_NS0_6detail11ClampLimitsEENKUlvE_clEvENKUlvE4_clEvEUldE_St5arrayIPcLm2EEEEviT0_T1_,@function
_ZN2at6native29vectorized_elementwise_kernelILi16EZZZNS0_12_GLOBAL__N_119launch_clamp_scalarERNS_18TensorIteratorBaseEN3c106ScalarES6_NS0_6detail11ClampLimitsEENKUlvE_clEvENKUlvE4_clEvEUldE_St5arrayIPcLm2EEEEviT0_T1_: ; @_ZN2at6native29vectorized_elementwise_kernelILi16EZZZNS0_12_GLOBAL__N_119launch_clamp_scalarERNS_18TensorIteratorBaseEN3c106ScalarES6_NS0_6detail11ClampLimitsEENKUlvE_clEvENKUlvE4_clEvEUldE_St5arrayIPcLm2EEEEviT0_T1_
; %bb.0:
	s_clause 0x2
	s_load_b32 s3, s[0:1], 0x0
	s_load_b32 s13, s[0:1], 0x8
	s_load_b256 s[4:11], s[0:1], 0x10
	s_wait_xcnt 0x0
	s_bfe_u32 s0, ttmp6, 0x4000c
	s_and_b32 s1, ttmp6, 15
	s_add_co_i32 s0, s0, 1
	s_getreg_b32 s2, hwreg(HW_REG_IB_STS2, 6, 4)
	s_mul_i32 s0, ttmp9, s0
	s_delay_alu instid0(SALU_CYCLE_1) | instskip(SKIP_2) | instid1(SALU_CYCLE_1)
	s_add_co_i32 s1, s1, s0
	s_cmp_eq_u32 s2, 0
	s_cselect_b32 s0, ttmp9, s1
	s_lshl_b32 s2, s0, 10
	s_mov_b32 s0, -1
	s_wait_kmcnt 0x0
	s_sub_co_i32 s12, s3, s2
	s_delay_alu instid0(SALU_CYCLE_1)
	s_cmp_gt_i32 s12, 0x3ff
	s_cbranch_scc0 .LBB208_53
; %bb.1:
	s_ashr_i32 s3, s2, 31
	v_lshlrev_b32_e32 v1, 5, v0
	s_lshl_b64 s[0:1], s[2:3], 3
	s_mov_b32 s3, exec_lo
	s_add_nc_u64 s[14:15], s[10:11], s[0:1]
	s_clause 0x1
	global_load_b128 v[6:9], v1, s[14:15]
	global_load_b128 v[2:5], v1, s[14:15] offset:16
	s_wait_loadcnt 0x1
	s_wait_xcnt 0x0
	v_cmpx_o_f64_e32 v[6:7], v[6:7]
	s_cbranch_execz .LBB208_13
; %bb.2:
	s_cmp_lt_i32 s13, 1
	s_mov_b32 s14, 0
	s_cbranch_scc1 .LBB208_5
; %bb.3:
	s_cmp_eq_u32 s13, 1
	s_cbranch_scc0 .LBB208_6
; %bb.4:
	v_max_num_f64_e64 v[10:11], s[4:5], s[4:5]
	v_max_num_f64_e32 v[12:13], v[6:7], v[6:7]
	s_mov_b32 s15, 0
	s_delay_alu instid0(VALU_DEP_1)
	v_min_num_f64_e32 v[10:11], v[12:13], v[10:11]
	s_branch .LBB208_7
.LBB208_5:
	s_mov_b32 s15, 0
                                        ; implicit-def: $vgpr10_vgpr11
	s_cbranch_execnz .LBB208_8
	s_branch .LBB208_9
.LBB208_6:
	s_mov_b32 s15, -1
                                        ; implicit-def: $vgpr10_vgpr11
.LBB208_7:
	s_branch .LBB208_9
.LBB208_8:
	s_cmp_lg_u32 s13, 0
	s_mov_b32 s14, -1
	s_cselect_b32 s15, -1, 0
.LBB208_9:
	v_max_num_f64_e32 v[6:7], v[6:7], v[6:7]
	s_and_not1_b32 vcc_lo, exec_lo, s15
	s_cbranch_vccz .LBB208_17
; %bb.10:
	s_and_not1_b32 vcc_lo, exec_lo, s14
	s_cbranch_vccnz .LBB208_12
.LBB208_11:
	v_max_num_f64_e64 v[10:11], s[4:5], s[4:5]
	s_delay_alu instid0(VALU_DEP_1)
	v_max_num_f64_e32 v[10:11], v[6:7], v[10:11]
.LBB208_12:
	s_delay_alu instid0(VALU_DEP_1)
	v_mov_b64_e32 v[6:7], v[10:11]
.LBB208_13:
	s_or_b32 exec_lo, exec_lo, s3
	s_delay_alu instid0(SALU_CYCLE_1)
	s_mov_b32 s3, exec_lo
	v_cmpx_o_f64_e32 v[8:9], v[8:9]
	s_cbranch_execz .LBB208_26
; %bb.14:
	s_cmp_lt_i32 s13, 1
	s_mov_b32 s14, 0
	s_cbranch_scc1 .LBB208_18
; %bb.15:
	s_cmp_eq_u32 s13, 1
	s_cbranch_scc0 .LBB208_19
; %bb.16:
	v_max_num_f64_e64 v[10:11], s[4:5], s[4:5]
	v_max_num_f64_e32 v[12:13], v[8:9], v[8:9]
	s_mov_b32 s15, 0
	s_delay_alu instid0(VALU_DEP_1)
	v_min_num_f64_e32 v[10:11], v[12:13], v[10:11]
	s_branch .LBB208_20
.LBB208_17:
	v_max_num_f64_e64 v[10:11], s[4:5], s[4:5]
	v_max_num_f64_e64 v[12:13], s[6:7], s[6:7]
	s_delay_alu instid0(VALU_DEP_2) | instskip(NEXT) | instid1(VALU_DEP_1)
	v_max_num_f64_e32 v[10:11], v[6:7], v[10:11]
	v_min_num_f64_e32 v[10:11], v[10:11], v[12:13]
	s_cbranch_execz .LBB208_11
	s_branch .LBB208_12
.LBB208_18:
	s_mov_b32 s15, 0
                                        ; implicit-def: $vgpr10_vgpr11
	s_cbranch_execnz .LBB208_21
	s_branch .LBB208_22
.LBB208_19:
	s_mov_b32 s15, -1
                                        ; implicit-def: $vgpr10_vgpr11
.LBB208_20:
	s_branch .LBB208_22
.LBB208_21:
	s_cmp_lg_u32 s13, 0
	s_mov_b32 s14, -1
	s_cselect_b32 s15, -1, 0
.LBB208_22:
	v_max_num_f64_e32 v[8:9], v[8:9], v[8:9]
	s_and_not1_b32 vcc_lo, exec_lo, s15
	s_cbranch_vccz .LBB208_30
; %bb.23:
	s_and_not1_b32 vcc_lo, exec_lo, s14
	s_cbranch_vccnz .LBB208_25
.LBB208_24:
	v_max_num_f64_e64 v[10:11], s[4:5], s[4:5]
	s_delay_alu instid0(VALU_DEP_1)
	v_max_num_f64_e32 v[10:11], v[8:9], v[10:11]
.LBB208_25:
	s_delay_alu instid0(VALU_DEP_1)
	v_mov_b64_e32 v[8:9], v[10:11]
.LBB208_26:
	s_or_b32 exec_lo, exec_lo, s3
	s_delay_alu instid0(SALU_CYCLE_1)
	s_mov_b32 s3, exec_lo
	s_wait_loadcnt 0x0
	v_cmpx_o_f64_e32 v[2:3], v[2:3]
	s_cbranch_execz .LBB208_39
; %bb.27:
	s_cmp_lt_i32 s13, 1
	s_mov_b32 s14, 0
	s_cbranch_scc1 .LBB208_31
; %bb.28:
	s_cmp_eq_u32 s13, 1
	s_cbranch_scc0 .LBB208_32
; %bb.29:
	v_max_num_f64_e64 v[10:11], s[4:5], s[4:5]
	v_max_num_f64_e32 v[12:13], v[2:3], v[2:3]
	s_mov_b32 s15, 0
	s_delay_alu instid0(VALU_DEP_1)
	v_min_num_f64_e32 v[10:11], v[12:13], v[10:11]
	s_branch .LBB208_33
.LBB208_30:
	v_max_num_f64_e64 v[10:11], s[4:5], s[4:5]
	v_max_num_f64_e64 v[12:13], s[6:7], s[6:7]
	s_delay_alu instid0(VALU_DEP_2) | instskip(NEXT) | instid1(VALU_DEP_1)
	v_max_num_f64_e32 v[10:11], v[8:9], v[10:11]
	v_min_num_f64_e32 v[10:11], v[10:11], v[12:13]
	s_cbranch_execz .LBB208_24
	s_branch .LBB208_25
.LBB208_31:
	s_mov_b32 s15, 0
                                        ; implicit-def: $vgpr10_vgpr11
	s_cbranch_execnz .LBB208_34
	s_branch .LBB208_35
.LBB208_32:
	s_mov_b32 s15, -1
                                        ; implicit-def: $vgpr10_vgpr11
.LBB208_33:
	s_branch .LBB208_35
.LBB208_34:
	s_cmp_lg_u32 s13, 0
	s_mov_b32 s14, -1
	s_cselect_b32 s15, -1, 0
.LBB208_35:
	v_max_num_f64_e32 v[2:3], v[2:3], v[2:3]
	s_and_not1_b32 vcc_lo, exec_lo, s15
	s_cbranch_vccz .LBB208_43
; %bb.36:
	s_and_not1_b32 vcc_lo, exec_lo, s14
	s_cbranch_vccnz .LBB208_38
.LBB208_37:
	v_max_num_f64_e64 v[10:11], s[4:5], s[4:5]
	s_delay_alu instid0(VALU_DEP_1)
	v_max_num_f64_e32 v[10:11], v[2:3], v[10:11]
.LBB208_38:
	s_delay_alu instid0(VALU_DEP_1)
	v_mov_b64_e32 v[2:3], v[10:11]
.LBB208_39:
	s_or_b32 exec_lo, exec_lo, s3
	s_delay_alu instid0(SALU_CYCLE_1)
	s_mov_b32 s3, exec_lo
	v_cmpx_o_f64_e32 v[4:5], v[4:5]
	s_cbranch_execz .LBB208_52
; %bb.40:
	s_cmp_lt_i32 s13, 1
	s_mov_b32 s14, 0
	s_cbranch_scc1 .LBB208_44
; %bb.41:
	s_cmp_eq_u32 s13, 1
	s_cbranch_scc0 .LBB208_45
; %bb.42:
	v_max_num_f64_e64 v[10:11], s[4:5], s[4:5]
	v_max_num_f64_e32 v[12:13], v[4:5], v[4:5]
	s_mov_b32 s15, 0
	s_delay_alu instid0(VALU_DEP_1)
	v_min_num_f64_e32 v[10:11], v[12:13], v[10:11]
	s_branch .LBB208_46
.LBB208_43:
	v_max_num_f64_e64 v[10:11], s[4:5], s[4:5]
	v_max_num_f64_e64 v[12:13], s[6:7], s[6:7]
	s_delay_alu instid0(VALU_DEP_2) | instskip(NEXT) | instid1(VALU_DEP_1)
	v_max_num_f64_e32 v[10:11], v[2:3], v[10:11]
	v_min_num_f64_e32 v[10:11], v[10:11], v[12:13]
	s_cbranch_execz .LBB208_37
	s_branch .LBB208_38
.LBB208_44:
	s_mov_b32 s15, 0
                                        ; implicit-def: $vgpr10_vgpr11
	s_cbranch_execnz .LBB208_47
	s_branch .LBB208_48
.LBB208_45:
	s_mov_b32 s15, -1
                                        ; implicit-def: $vgpr10_vgpr11
.LBB208_46:
	s_branch .LBB208_48
.LBB208_47:
	s_cmp_lg_u32 s13, 0
	s_mov_b32 s14, -1
	s_cselect_b32 s15, -1, 0
.LBB208_48:
	v_max_num_f64_e32 v[4:5], v[4:5], v[4:5]
	s_and_not1_b32 vcc_lo, exec_lo, s15
	s_cbranch_vccz .LBB208_67
; %bb.49:
	s_and_not1_b32 vcc_lo, exec_lo, s14
	s_cbranch_vccnz .LBB208_51
.LBB208_50:
	v_max_num_f64_e64 v[10:11], s[4:5], s[4:5]
	s_delay_alu instid0(VALU_DEP_1)
	v_max_num_f64_e32 v[10:11], v[4:5], v[10:11]
.LBB208_51:
	s_delay_alu instid0(VALU_DEP_1)
	v_mov_b64_e32 v[4:5], v[10:11]
.LBB208_52:
	s_or_b32 exec_lo, exec_lo, s3
	s_add_nc_u64 s[14:15], s[8:9], s[0:1]
	s_mov_b32 s0, 0
	s_clause 0x1
	global_store_b128 v1, v[6:9], s[14:15]
	global_store_b128 v1, v[2:5], s[14:15] offset:16
.LBB208_53:
	s_and_b32 vcc_lo, exec_lo, s0
	s_cbranch_vccz .LBB208_131
; %bb.54:
	v_mov_b64_e32 v[22:23], 0
	v_mov_b64_e32 v[10:11], 0
	v_cmp_gt_i32_e64 s0, s12, v0
	s_wait_xcnt 0x0
	v_dual_mov_b32 v2, v0 :: v_dual_bitop2_b32 v1, s2, v0 bitop3:0x54
	v_or_b32_e32 v24, 0x100, v0
	s_and_saveexec_b32 s1, s0
	s_cbranch_execz .LBB208_56
; %bb.55:
	global_load_b64 v[10:11], v1, s[10:11] scale_offset
	v_or_b32_e32 v2, 0x100, v0
.LBB208_56:
	s_wait_xcnt 0x0
	s_or_b32 exec_lo, exec_lo, s1
	s_delay_alu instid0(SALU_CYCLE_1) | instskip(NEXT) | instid1(VALU_DEP_1)
	s_mov_b32 s1, exec_lo
	v_cmpx_gt_i32_e64 s12, v2
	s_cbranch_execz .LBB208_58
; %bb.57:
	v_add_nc_u32_e32 v3, s2, v2
	v_add_nc_u32_e32 v2, 0x100, v2
	global_load_b64 v[22:23], v3, s[10:11] scale_offset
.LBB208_58:
	s_wait_xcnt 0x0
	s_or_b32 exec_lo, exec_lo, s1
	v_mov_b64_e32 v[18:19], 0
	v_mov_b64_e32 v[20:21], 0
	s_mov_b32 s1, exec_lo
	v_cmpx_gt_i32_e64 s12, v2
	s_cbranch_execz .LBB208_60
; %bb.59:
	v_add_nc_u32_e32 v3, s2, v2
	v_add_nc_u32_e32 v2, 0x100, v2
	global_load_b64 v[20:21], v3, s[10:11] scale_offset
.LBB208_60:
	s_wait_xcnt 0x0
	s_or_b32 exec_lo, exec_lo, s1
	s_delay_alu instid0(SALU_CYCLE_1)
	s_mov_b32 s1, exec_lo
	v_cmpx_gt_i32_e64 s12, v2
	s_cbranch_execz .LBB208_62
; %bb.61:
	v_add_nc_u32_e32 v2, s2, v2
	global_load_b64 v[18:19], v2, s[10:11] scale_offset
.LBB208_62:
	s_wait_xcnt 0x0
	s_or_b32 exec_lo, exec_lo, s1
	v_mov_b32_e32 v2, 0
	s_delay_alu instid0(VALU_DEP_1)
	v_dual_mov_b32 v3, v2 :: v_dual_mov_b32 v4, v2
	v_dual_mov_b32 v5, v2 :: v_dual_mov_b32 v6, v2
	;; [unrolled: 1-line block ×3, first 2 shown]
	v_mov_b32_e32 v9, v2
	s_and_saveexec_b32 s1, s0
	s_cbranch_execz .LBB208_77
; %bb.63:
	s_mov_b32 s3, exec_lo
	s_wait_loadcnt 0x0
	v_cmpx_o_f64_e32 v[10:11], v[10:11]
	s_cbranch_execz .LBB208_76
; %bb.64:
	s_cmp_lt_i32 s13, 1
	s_mov_b32 s10, 0
	s_cbranch_scc1 .LBB208_68
; %bb.65:
	s_cmp_eq_u32 s13, 1
	s_cbranch_scc0 .LBB208_69
; %bb.66:
	v_max_num_f64_e64 v[2:3], s[4:5], s[4:5]
	v_max_num_f64_e32 v[4:5], v[10:11], v[10:11]
	s_mov_b32 s11, 0
	s_delay_alu instid0(VALU_DEP_1)
	v_min_num_f64_e32 v[2:3], v[4:5], v[2:3]
	s_branch .LBB208_70
.LBB208_67:
	v_max_num_f64_e64 v[10:11], s[4:5], s[4:5]
	v_max_num_f64_e64 v[12:13], s[6:7], s[6:7]
	s_delay_alu instid0(VALU_DEP_2) | instskip(NEXT) | instid1(VALU_DEP_1)
	v_max_num_f64_e32 v[10:11], v[4:5], v[10:11]
	v_min_num_f64_e32 v[10:11], v[10:11], v[12:13]
	s_cbranch_execz .LBB208_50
	s_branch .LBB208_51
.LBB208_68:
	s_mov_b32 s11, 0
                                        ; implicit-def: $vgpr2_vgpr3
	s_cbranch_execnz .LBB208_71
	s_branch .LBB208_72
.LBB208_69:
	s_mov_b32 s11, -1
                                        ; implicit-def: $vgpr2_vgpr3
.LBB208_70:
	s_branch .LBB208_72
.LBB208_71:
	s_cmp_lg_u32 s13, 0
	s_mov_b32 s10, -1
	s_cselect_b32 s11, -1, 0
.LBB208_72:
	v_max_num_f64_e32 v[4:5], v[10:11], v[10:11]
	s_and_not1_b32 vcc_lo, exec_lo, s11
	s_cbranch_vccz .LBB208_82
; %bb.73:
	s_and_not1_b32 vcc_lo, exec_lo, s10
	s_cbranch_vccnz .LBB208_75
.LBB208_74:
	v_max_num_f64_e64 v[2:3], s[4:5], s[4:5]
	s_delay_alu instid0(VALU_DEP_1)
	v_max_num_f64_e32 v[2:3], v[4:5], v[2:3]
.LBB208_75:
	s_delay_alu instid0(VALU_DEP_1)
	v_mov_b64_e32 v[10:11], v[2:3]
.LBB208_76:
	s_or_b32 exec_lo, exec_lo, s3
	v_mov_b32_e32 v12, 0
	s_delay_alu instid0(VALU_DEP_1) | instskip(SKIP_3) | instid1(VALU_DEP_4)
	v_dual_mov_b32 v13, v12 :: v_dual_mov_b32 v14, v12
	v_dual_mov_b32 v15, v12 :: v_dual_mov_b32 v16, v12
	v_mov_b32_e32 v17, v12
	v_mov_b64_e32 v[2:3], v[10:11]
	v_mov_b64_e32 v[4:5], v[12:13]
	s_delay_alu instid0(VALU_DEP_4) | instskip(NEXT) | instid1(VALU_DEP_4)
	v_mov_b64_e32 v[6:7], v[14:15]
	v_mov_b64_e32 v[8:9], v[16:17]
.LBB208_77:
	s_or_b32 exec_lo, exec_lo, s1
	s_delay_alu instid0(SALU_CYCLE_1)
	s_mov_b32 s1, exec_lo
	v_cmpx_gt_i32_e64 s12, v24
	s_cbranch_execz .LBB208_92
; %bb.78:
	s_mov_b32 s3, exec_lo
	s_wait_loadcnt 0x0
	v_cmpx_o_f64_e32 v[22:23], v[22:23]
	s_cbranch_execz .LBB208_91
; %bb.79:
	s_cmp_lt_i32 s13, 1
	s_mov_b32 s10, 0
	s_cbranch_scc1 .LBB208_83
; %bb.80:
	s_cmp_eq_u32 s13, 1
	s_cbranch_scc0 .LBB208_84
; %bb.81:
	v_max_num_f64_e64 v[4:5], s[4:5], s[4:5]
	v_max_num_f64_e32 v[10:11], v[22:23], v[22:23]
	s_mov_b32 s11, 0
	s_delay_alu instid0(VALU_DEP_1)
	v_min_num_f64_e32 v[4:5], v[10:11], v[4:5]
	s_branch .LBB208_85
.LBB208_82:
	v_max_num_f64_e64 v[2:3], s[4:5], s[4:5]
	v_max_num_f64_e64 v[6:7], s[6:7], s[6:7]
	s_delay_alu instid0(VALU_DEP_2) | instskip(NEXT) | instid1(VALU_DEP_1)
	v_max_num_f64_e32 v[2:3], v[4:5], v[2:3]
	v_min_num_f64_e32 v[2:3], v[2:3], v[6:7]
	s_cbranch_execz .LBB208_74
	s_branch .LBB208_75
.LBB208_83:
	s_mov_b32 s11, 0
                                        ; implicit-def: $vgpr4_vgpr5
	s_cbranch_execnz .LBB208_86
	s_branch .LBB208_87
.LBB208_84:
	s_mov_b32 s11, -1
                                        ; implicit-def: $vgpr4_vgpr5
.LBB208_85:
	s_branch .LBB208_87
.LBB208_86:
	s_cmp_lg_u32 s13, 0
	s_mov_b32 s10, -1
	s_cselect_b32 s11, -1, 0
.LBB208_87:
	v_max_num_f64_e32 v[10:11], v[22:23], v[22:23]
	s_and_not1_b32 vcc_lo, exec_lo, s11
	s_cbranch_vccz .LBB208_97
; %bb.88:
	s_and_not1_b32 vcc_lo, exec_lo, s10
	s_cbranch_vccnz .LBB208_90
.LBB208_89:
	v_max_num_f64_e64 v[4:5], s[4:5], s[4:5]
	s_delay_alu instid0(VALU_DEP_1)
	v_max_num_f64_e32 v[4:5], v[10:11], v[4:5]
.LBB208_90:
	s_delay_alu instid0(VALU_DEP_1)
	v_mov_b64_e32 v[22:23], v[4:5]
.LBB208_91:
	s_or_b32 exec_lo, exec_lo, s3
	s_delay_alu instid0(VALU_DEP_1)
	v_dual_mov_b32 v4, v22 :: v_dual_mov_b32 v5, v23
.LBB208_92:
	s_or_b32 exec_lo, exec_lo, s1
	s_wait_loadcnt 0x0
	v_or_b32_e32 v10, 0x200, v0
	s_mov_b32 s1, exec_lo
	s_delay_alu instid0(VALU_DEP_1)
	v_cmpx_gt_i32_e64 s12, v10
	s_cbranch_execz .LBB208_107
; %bb.93:
	s_mov_b32 s3, exec_lo
	v_cmpx_o_f64_e32 v[20:21], v[20:21]
	s_cbranch_execz .LBB208_106
; %bb.94:
	s_cmp_lt_i32 s13, 1
	s_mov_b32 s10, 0
	s_cbranch_scc1 .LBB208_98
; %bb.95:
	s_cmp_eq_u32 s13, 1
	s_cbranch_scc0 .LBB208_99
; %bb.96:
	v_max_num_f64_e64 v[6:7], s[4:5], s[4:5]
	v_max_num_f64_e32 v[10:11], v[20:21], v[20:21]
	s_mov_b32 s11, 0
	s_delay_alu instid0(VALU_DEP_1)
	v_min_num_f64_e32 v[6:7], v[10:11], v[6:7]
	s_branch .LBB208_100
.LBB208_97:
	v_max_num_f64_e64 v[4:5], s[4:5], s[4:5]
	v_max_num_f64_e64 v[12:13], s[6:7], s[6:7]
	s_delay_alu instid0(VALU_DEP_2) | instskip(NEXT) | instid1(VALU_DEP_1)
	v_max_num_f64_e32 v[4:5], v[10:11], v[4:5]
	v_min_num_f64_e32 v[4:5], v[4:5], v[12:13]
	s_cbranch_execz .LBB208_89
	s_branch .LBB208_90
.LBB208_98:
	s_mov_b32 s11, 0
                                        ; implicit-def: $vgpr6_vgpr7
	s_cbranch_execnz .LBB208_101
	s_branch .LBB208_102
.LBB208_99:
	s_mov_b32 s11, -1
                                        ; implicit-def: $vgpr6_vgpr7
.LBB208_100:
	s_branch .LBB208_102
.LBB208_101:
	s_cmp_lg_u32 s13, 0
	s_mov_b32 s10, -1
	s_cselect_b32 s11, -1, 0
.LBB208_102:
	v_max_num_f64_e32 v[10:11], v[20:21], v[20:21]
	s_and_not1_b32 vcc_lo, exec_lo, s11
	s_cbranch_vccz .LBB208_117
; %bb.103:
	s_and_not1_b32 vcc_lo, exec_lo, s10
	s_cbranch_vccnz .LBB208_105
.LBB208_104:
	v_max_num_f64_e64 v[6:7], s[4:5], s[4:5]
	s_delay_alu instid0(VALU_DEP_1)
	v_max_num_f64_e32 v[6:7], v[10:11], v[6:7]
.LBB208_105:
	s_delay_alu instid0(VALU_DEP_1)
	v_mov_b64_e32 v[20:21], v[6:7]
.LBB208_106:
	s_or_b32 exec_lo, exec_lo, s3
	s_delay_alu instid0(VALU_DEP_1)
	v_dual_mov_b32 v6, v20 :: v_dual_mov_b32 v7, v21
.LBB208_107:
	s_or_b32 exec_lo, exec_lo, s1
	v_or_b32_e32 v10, 0x300, v0
	s_mov_b32 s1, exec_lo
	s_delay_alu instid0(VALU_DEP_1)
	v_cmpx_gt_i32_e64 s12, v10
	s_cbranch_execnz .LBB208_113
; %bb.108:
	s_or_b32 exec_lo, exec_lo, s1
	s_and_saveexec_b32 s1, s0
	s_delay_alu instid0(SALU_CYCLE_1)
	s_xor_b32 s0, exec_lo, s1
	s_cbranch_execnz .LBB208_128
.LBB208_109:
	s_or_b32 exec_lo, exec_lo, s0
	s_delay_alu instid0(SALU_CYCLE_1)
	s_mov_b32 s0, exec_lo
	v_cmpx_gt_i32_e64 s12, v0
	s_cbranch_execnz .LBB208_129
.LBB208_110:
	s_or_b32 exec_lo, exec_lo, s0
	s_delay_alu instid0(SALU_CYCLE_1)
	s_mov_b32 s0, exec_lo
	v_cmpx_gt_i32_e64 s12, v0
	s_cbranch_execnz .LBB208_130
.LBB208_111:
	s_or_b32 exec_lo, exec_lo, s0
	s_delay_alu instid0(SALU_CYCLE_1)
	s_mov_b32 s0, exec_lo
	v_cmpx_gt_i32_e64 s12, v0
	s_cbranch_execz .LBB208_131
.LBB208_112:
	v_add_nc_u32_e32 v0, s2, v0
	global_store_b64 v0, v[8:9], s[8:9] scale_offset
	s_endpgm
.LBB208_113:
	s_mov_b32 s3, exec_lo
	v_cmpx_o_f64_e32 v[18:19], v[18:19]
	s_cbranch_execz .LBB208_127
; %bb.114:
	s_cmp_lt_i32 s13, 1
	s_mov_b32 s10, 0
	s_cbranch_scc1 .LBB208_118
; %bb.115:
	s_cmp_eq_u32 s13, 1
	s_cbranch_scc0 .LBB208_119
; %bb.116:
	v_max_num_f64_e64 v[8:9], s[4:5], s[4:5]
	v_max_num_f64_e32 v[10:11], v[18:19], v[18:19]
	s_mov_b32 s11, 0
	s_delay_alu instid0(VALU_DEP_1)
	v_min_num_f64_e32 v[8:9], v[10:11], v[8:9]
	s_branch .LBB208_120
.LBB208_117:
	v_max_num_f64_e64 v[6:7], s[4:5], s[4:5]
	v_max_num_f64_e64 v[12:13], s[6:7], s[6:7]
	s_delay_alu instid0(VALU_DEP_2) | instskip(NEXT) | instid1(VALU_DEP_1)
	v_max_num_f64_e32 v[6:7], v[10:11], v[6:7]
	v_min_num_f64_e32 v[6:7], v[6:7], v[12:13]
	s_cbranch_execz .LBB208_104
	s_branch .LBB208_105
.LBB208_118:
	s_mov_b32 s11, 0
                                        ; implicit-def: $vgpr8_vgpr9
	s_cbranch_execnz .LBB208_121
	s_branch .LBB208_122
.LBB208_119:
	s_mov_b32 s11, -1
                                        ; implicit-def: $vgpr8_vgpr9
.LBB208_120:
	s_branch .LBB208_122
.LBB208_121:
	s_cmp_lg_u32 s13, 0
	s_mov_b32 s10, -1
	s_cselect_b32 s11, -1, 0
.LBB208_122:
	v_max_num_f64_e64 v[12:13], s[4:5], s[4:5]
	v_max_num_f64_e32 v[14:15], v[18:19], v[18:19]
	s_and_not1_b32 vcc_lo, exec_lo, s11
	s_delay_alu instid0(VALU_DEP_1)
	v_max_num_f64_e32 v[10:11], v[14:15], v[12:13]
	s_cbranch_vccnz .LBB208_124
; %bb.123:
	v_max_num_f64_e32 v[8:9], v[14:15], v[12:13]
	v_max_num_f64_e64 v[12:13], s[6:7], s[6:7]
	s_mov_b32 s10, 0
	s_delay_alu instid0(VALU_DEP_1)
	v_min_num_f64_e32 v[8:9], v[8:9], v[12:13]
.LBB208_124:
	s_and_not1_b32 vcc_lo, exec_lo, s10
	s_cbranch_vccnz .LBB208_126
; %bb.125:
	s_delay_alu instid0(VALU_DEP_1)
	v_mov_b64_e32 v[8:9], v[10:11]
.LBB208_126:
	s_delay_alu instid0(VALU_DEP_1)
	v_mov_b64_e32 v[18:19], v[8:9]
.LBB208_127:
	s_or_b32 exec_lo, exec_lo, s3
	s_delay_alu instid0(VALU_DEP_1) | instskip(SKIP_2) | instid1(SALU_CYCLE_1)
	v_dual_mov_b32 v8, v18 :: v_dual_mov_b32 v9, v19
	s_or_b32 exec_lo, exec_lo, s1
	s_and_saveexec_b32 s1, s0
	s_xor_b32 s0, exec_lo, s1
	s_cbranch_execz .LBB208_109
.LBB208_128:
	v_mov_b32_e32 v0, v24
	global_store_b64 v1, v[2:3], s[8:9] scale_offset
	s_wait_xcnt 0x0
	s_or_b32 exec_lo, exec_lo, s0
	s_delay_alu instid0(SALU_CYCLE_1)
	s_mov_b32 s0, exec_lo
	v_cmpx_gt_i32_e64 s12, v0
	s_cbranch_execz .LBB208_110
.LBB208_129:
	v_add_nc_u32_e32 v1, s2, v0
	v_add_nc_u32_e32 v0, 0x100, v0
	global_store_b64 v1, v[4:5], s[8:9] scale_offset
	s_wait_xcnt 0x0
	s_or_b32 exec_lo, exec_lo, s0
	s_delay_alu instid0(SALU_CYCLE_1)
	s_mov_b32 s0, exec_lo
	v_cmpx_gt_i32_e64 s12, v0
	s_cbranch_execz .LBB208_111
.LBB208_130:
	v_add_nc_u32_e32 v1, s2, v0
	v_add_nc_u32_e32 v0, 0x100, v0
	global_store_b64 v1, v[6:7], s[8:9] scale_offset
	s_wait_xcnt 0x0
	s_or_b32 exec_lo, exec_lo, s0
	s_delay_alu instid0(SALU_CYCLE_1)
	s_mov_b32 s0, exec_lo
	v_cmpx_gt_i32_e64 s12, v0
	s_cbranch_execnz .LBB208_112
.LBB208_131:
	s_endpgm
	.section	.rodata,"a",@progbits
	.p2align	6, 0x0
	.amdhsa_kernel _ZN2at6native29vectorized_elementwise_kernelILi16EZZZNS0_12_GLOBAL__N_119launch_clamp_scalarERNS_18TensorIteratorBaseEN3c106ScalarES6_NS0_6detail11ClampLimitsEENKUlvE_clEvENKUlvE4_clEvEUldE_St5arrayIPcLm2EEEEviT0_T1_
		.amdhsa_group_segment_fixed_size 0
		.amdhsa_private_segment_fixed_size 0
		.amdhsa_kernarg_size 48
		.amdhsa_user_sgpr_count 2
		.amdhsa_user_sgpr_dispatch_ptr 0
		.amdhsa_user_sgpr_queue_ptr 0
		.amdhsa_user_sgpr_kernarg_segment_ptr 1
		.amdhsa_user_sgpr_dispatch_id 0
		.amdhsa_user_sgpr_kernarg_preload_length 0
		.amdhsa_user_sgpr_kernarg_preload_offset 0
		.amdhsa_user_sgpr_private_segment_size 0
		.amdhsa_wavefront_size32 1
		.amdhsa_uses_dynamic_stack 0
		.amdhsa_enable_private_segment 0
		.amdhsa_system_sgpr_workgroup_id_x 1
		.amdhsa_system_sgpr_workgroup_id_y 0
		.amdhsa_system_sgpr_workgroup_id_z 0
		.amdhsa_system_sgpr_workgroup_info 0
		.amdhsa_system_vgpr_workitem_id 0
		.amdhsa_next_free_vgpr 25
		.amdhsa_next_free_sgpr 16
		.amdhsa_named_barrier_count 0
		.amdhsa_reserve_vcc 1
		.amdhsa_float_round_mode_32 0
		.amdhsa_float_round_mode_16_64 0
		.amdhsa_float_denorm_mode_32 3
		.amdhsa_float_denorm_mode_16_64 3
		.amdhsa_fp16_overflow 0
		.amdhsa_memory_ordered 1
		.amdhsa_forward_progress 1
		.amdhsa_inst_pref_size 19
		.amdhsa_round_robin_scheduling 0
		.amdhsa_exception_fp_ieee_invalid_op 0
		.amdhsa_exception_fp_denorm_src 0
		.amdhsa_exception_fp_ieee_div_zero 0
		.amdhsa_exception_fp_ieee_overflow 0
		.amdhsa_exception_fp_ieee_underflow 0
		.amdhsa_exception_fp_ieee_inexact 0
		.amdhsa_exception_int_div_zero 0
	.end_amdhsa_kernel
	.section	.text._ZN2at6native29vectorized_elementwise_kernelILi16EZZZNS0_12_GLOBAL__N_119launch_clamp_scalarERNS_18TensorIteratorBaseEN3c106ScalarES6_NS0_6detail11ClampLimitsEENKUlvE_clEvENKUlvE4_clEvEUldE_St5arrayIPcLm2EEEEviT0_T1_,"axG",@progbits,_ZN2at6native29vectorized_elementwise_kernelILi16EZZZNS0_12_GLOBAL__N_119launch_clamp_scalarERNS_18TensorIteratorBaseEN3c106ScalarES6_NS0_6detail11ClampLimitsEENKUlvE_clEvENKUlvE4_clEvEUldE_St5arrayIPcLm2EEEEviT0_T1_,comdat
.Lfunc_end208:
	.size	_ZN2at6native29vectorized_elementwise_kernelILi16EZZZNS0_12_GLOBAL__N_119launch_clamp_scalarERNS_18TensorIteratorBaseEN3c106ScalarES6_NS0_6detail11ClampLimitsEENKUlvE_clEvENKUlvE4_clEvEUldE_St5arrayIPcLm2EEEEviT0_T1_, .Lfunc_end208-_ZN2at6native29vectorized_elementwise_kernelILi16EZZZNS0_12_GLOBAL__N_119launch_clamp_scalarERNS_18TensorIteratorBaseEN3c106ScalarES6_NS0_6detail11ClampLimitsEENKUlvE_clEvENKUlvE4_clEvEUldE_St5arrayIPcLm2EEEEviT0_T1_
                                        ; -- End function
	.set _ZN2at6native29vectorized_elementwise_kernelILi16EZZZNS0_12_GLOBAL__N_119launch_clamp_scalarERNS_18TensorIteratorBaseEN3c106ScalarES6_NS0_6detail11ClampLimitsEENKUlvE_clEvENKUlvE4_clEvEUldE_St5arrayIPcLm2EEEEviT0_T1_.num_vgpr, 25
	.set _ZN2at6native29vectorized_elementwise_kernelILi16EZZZNS0_12_GLOBAL__N_119launch_clamp_scalarERNS_18TensorIteratorBaseEN3c106ScalarES6_NS0_6detail11ClampLimitsEENKUlvE_clEvENKUlvE4_clEvEUldE_St5arrayIPcLm2EEEEviT0_T1_.num_agpr, 0
	.set _ZN2at6native29vectorized_elementwise_kernelILi16EZZZNS0_12_GLOBAL__N_119launch_clamp_scalarERNS_18TensorIteratorBaseEN3c106ScalarES6_NS0_6detail11ClampLimitsEENKUlvE_clEvENKUlvE4_clEvEUldE_St5arrayIPcLm2EEEEviT0_T1_.numbered_sgpr, 16
	.set _ZN2at6native29vectorized_elementwise_kernelILi16EZZZNS0_12_GLOBAL__N_119launch_clamp_scalarERNS_18TensorIteratorBaseEN3c106ScalarES6_NS0_6detail11ClampLimitsEENKUlvE_clEvENKUlvE4_clEvEUldE_St5arrayIPcLm2EEEEviT0_T1_.num_named_barrier, 0
	.set _ZN2at6native29vectorized_elementwise_kernelILi16EZZZNS0_12_GLOBAL__N_119launch_clamp_scalarERNS_18TensorIteratorBaseEN3c106ScalarES6_NS0_6detail11ClampLimitsEENKUlvE_clEvENKUlvE4_clEvEUldE_St5arrayIPcLm2EEEEviT0_T1_.private_seg_size, 0
	.set _ZN2at6native29vectorized_elementwise_kernelILi16EZZZNS0_12_GLOBAL__N_119launch_clamp_scalarERNS_18TensorIteratorBaseEN3c106ScalarES6_NS0_6detail11ClampLimitsEENKUlvE_clEvENKUlvE4_clEvEUldE_St5arrayIPcLm2EEEEviT0_T1_.uses_vcc, 1
	.set _ZN2at6native29vectorized_elementwise_kernelILi16EZZZNS0_12_GLOBAL__N_119launch_clamp_scalarERNS_18TensorIteratorBaseEN3c106ScalarES6_NS0_6detail11ClampLimitsEENKUlvE_clEvENKUlvE4_clEvEUldE_St5arrayIPcLm2EEEEviT0_T1_.uses_flat_scratch, 0
	.set _ZN2at6native29vectorized_elementwise_kernelILi16EZZZNS0_12_GLOBAL__N_119launch_clamp_scalarERNS_18TensorIteratorBaseEN3c106ScalarES6_NS0_6detail11ClampLimitsEENKUlvE_clEvENKUlvE4_clEvEUldE_St5arrayIPcLm2EEEEviT0_T1_.has_dyn_sized_stack, 0
	.set _ZN2at6native29vectorized_elementwise_kernelILi16EZZZNS0_12_GLOBAL__N_119launch_clamp_scalarERNS_18TensorIteratorBaseEN3c106ScalarES6_NS0_6detail11ClampLimitsEENKUlvE_clEvENKUlvE4_clEvEUldE_St5arrayIPcLm2EEEEviT0_T1_.has_recursion, 0
	.set _ZN2at6native29vectorized_elementwise_kernelILi16EZZZNS0_12_GLOBAL__N_119launch_clamp_scalarERNS_18TensorIteratorBaseEN3c106ScalarES6_NS0_6detail11ClampLimitsEENKUlvE_clEvENKUlvE4_clEvEUldE_St5arrayIPcLm2EEEEviT0_T1_.has_indirect_call, 0
	.section	.AMDGPU.csdata,"",@progbits
; Kernel info:
; codeLenInByte = 2356
; TotalNumSgprs: 18
; NumVgprs: 25
; ScratchSize: 0
; MemoryBound: 1
; FloatMode: 240
; IeeeMode: 1
; LDSByteSize: 0 bytes/workgroup (compile time only)
; SGPRBlocks: 0
; VGPRBlocks: 1
; NumSGPRsForWavesPerEU: 18
; NumVGPRsForWavesPerEU: 25
; NamedBarCnt: 0
; Occupancy: 16
; WaveLimiterHint : 0
; COMPUTE_PGM_RSRC2:SCRATCH_EN: 0
; COMPUTE_PGM_RSRC2:USER_SGPR: 2
; COMPUTE_PGM_RSRC2:TRAP_HANDLER: 0
; COMPUTE_PGM_RSRC2:TGID_X_EN: 1
; COMPUTE_PGM_RSRC2:TGID_Y_EN: 0
; COMPUTE_PGM_RSRC2:TGID_Z_EN: 0
; COMPUTE_PGM_RSRC2:TIDIG_COMP_CNT: 0
	.section	.text._ZN2at6native29vectorized_elementwise_kernelILi8EZZZNS0_12_GLOBAL__N_119launch_clamp_scalarERNS_18TensorIteratorBaseEN3c106ScalarES6_NS0_6detail11ClampLimitsEENKUlvE_clEvENKUlvE4_clEvEUldE_St5arrayIPcLm2EEEEviT0_T1_,"axG",@progbits,_ZN2at6native29vectorized_elementwise_kernelILi8EZZZNS0_12_GLOBAL__N_119launch_clamp_scalarERNS_18TensorIteratorBaseEN3c106ScalarES6_NS0_6detail11ClampLimitsEENKUlvE_clEvENKUlvE4_clEvEUldE_St5arrayIPcLm2EEEEviT0_T1_,comdat
	.globl	_ZN2at6native29vectorized_elementwise_kernelILi8EZZZNS0_12_GLOBAL__N_119launch_clamp_scalarERNS_18TensorIteratorBaseEN3c106ScalarES6_NS0_6detail11ClampLimitsEENKUlvE_clEvENKUlvE4_clEvEUldE_St5arrayIPcLm2EEEEviT0_T1_ ; -- Begin function _ZN2at6native29vectorized_elementwise_kernelILi8EZZZNS0_12_GLOBAL__N_119launch_clamp_scalarERNS_18TensorIteratorBaseEN3c106ScalarES6_NS0_6detail11ClampLimitsEENKUlvE_clEvENKUlvE4_clEvEUldE_St5arrayIPcLm2EEEEviT0_T1_
	.p2align	8
	.type	_ZN2at6native29vectorized_elementwise_kernelILi8EZZZNS0_12_GLOBAL__N_119launch_clamp_scalarERNS_18TensorIteratorBaseEN3c106ScalarES6_NS0_6detail11ClampLimitsEENKUlvE_clEvENKUlvE4_clEvEUldE_St5arrayIPcLm2EEEEviT0_T1_,@function
_ZN2at6native29vectorized_elementwise_kernelILi8EZZZNS0_12_GLOBAL__N_119launch_clamp_scalarERNS_18TensorIteratorBaseEN3c106ScalarES6_NS0_6detail11ClampLimitsEENKUlvE_clEvENKUlvE4_clEvEUldE_St5arrayIPcLm2EEEEviT0_T1_: ; @_ZN2at6native29vectorized_elementwise_kernelILi8EZZZNS0_12_GLOBAL__N_119launch_clamp_scalarERNS_18TensorIteratorBaseEN3c106ScalarES6_NS0_6detail11ClampLimitsEENKUlvE_clEvENKUlvE4_clEvEUldE_St5arrayIPcLm2EEEEviT0_T1_
; %bb.0:
	s_clause 0x2
	s_load_b32 s3, s[0:1], 0x0
	s_load_b32 s13, s[0:1], 0x8
	s_load_b256 s[4:11], s[0:1], 0x10
	s_wait_xcnt 0x0
	s_bfe_u32 s0, ttmp6, 0x4000c
	s_and_b32 s1, ttmp6, 15
	s_add_co_i32 s0, s0, 1
	s_getreg_b32 s2, hwreg(HW_REG_IB_STS2, 6, 4)
	s_mul_i32 s0, ttmp9, s0
	s_delay_alu instid0(SALU_CYCLE_1) | instskip(SKIP_2) | instid1(SALU_CYCLE_1)
	s_add_co_i32 s1, s1, s0
	s_cmp_eq_u32 s2, 0
	s_cselect_b32 s0, ttmp9, s1
	s_lshl_b32 s2, s0, 10
	s_mov_b32 s0, -1
	s_wait_kmcnt 0x0
	s_sub_co_i32 s12, s3, s2
	s_delay_alu instid0(SALU_CYCLE_1)
	s_cmp_gt_i32 s12, 0x3ff
	s_cbranch_scc0 .LBB209_53
; %bb.1:
	s_ashr_i32 s3, s2, 31
	v_lshlrev_b32_e32 v1, 5, v0
	s_lshl_b64 s[0:1], s[2:3], 3
	s_mov_b32 s3, exec_lo
	s_add_nc_u64 s[14:15], s[10:11], s[0:1]
	s_clause 0x1
	global_load_b128 v[6:9], v1, s[14:15]
	global_load_b128 v[2:5], v1, s[14:15] offset:16
	s_wait_loadcnt 0x1
	s_wait_xcnt 0x0
	v_cmpx_o_f64_e32 v[6:7], v[6:7]
	s_cbranch_execz .LBB209_13
; %bb.2:
	s_cmp_lt_i32 s13, 1
	s_mov_b32 s14, 0
	s_cbranch_scc1 .LBB209_5
; %bb.3:
	s_cmp_eq_u32 s13, 1
	s_cbranch_scc0 .LBB209_6
; %bb.4:
	v_max_num_f64_e64 v[10:11], s[4:5], s[4:5]
	v_max_num_f64_e32 v[12:13], v[6:7], v[6:7]
	s_mov_b32 s15, 0
	s_delay_alu instid0(VALU_DEP_1)
	v_min_num_f64_e32 v[10:11], v[12:13], v[10:11]
	s_branch .LBB209_7
.LBB209_5:
	s_mov_b32 s15, 0
                                        ; implicit-def: $vgpr10_vgpr11
	s_cbranch_execnz .LBB209_8
	s_branch .LBB209_9
.LBB209_6:
	s_mov_b32 s15, -1
                                        ; implicit-def: $vgpr10_vgpr11
.LBB209_7:
	s_branch .LBB209_9
.LBB209_8:
	s_cmp_lg_u32 s13, 0
	s_mov_b32 s14, -1
	s_cselect_b32 s15, -1, 0
.LBB209_9:
	v_max_num_f64_e32 v[6:7], v[6:7], v[6:7]
	s_and_not1_b32 vcc_lo, exec_lo, s15
	s_cbranch_vccz .LBB209_17
; %bb.10:
	s_and_not1_b32 vcc_lo, exec_lo, s14
	s_cbranch_vccnz .LBB209_12
.LBB209_11:
	v_max_num_f64_e64 v[10:11], s[4:5], s[4:5]
	s_delay_alu instid0(VALU_DEP_1)
	v_max_num_f64_e32 v[10:11], v[6:7], v[10:11]
.LBB209_12:
	s_delay_alu instid0(VALU_DEP_1)
	v_mov_b64_e32 v[6:7], v[10:11]
.LBB209_13:
	s_or_b32 exec_lo, exec_lo, s3
	s_delay_alu instid0(SALU_CYCLE_1)
	s_mov_b32 s3, exec_lo
	v_cmpx_o_f64_e32 v[8:9], v[8:9]
	s_cbranch_execz .LBB209_26
; %bb.14:
	s_cmp_lt_i32 s13, 1
	s_mov_b32 s14, 0
	s_cbranch_scc1 .LBB209_18
; %bb.15:
	s_cmp_eq_u32 s13, 1
	s_cbranch_scc0 .LBB209_19
; %bb.16:
	v_max_num_f64_e64 v[10:11], s[4:5], s[4:5]
	v_max_num_f64_e32 v[12:13], v[8:9], v[8:9]
	s_mov_b32 s15, 0
	s_delay_alu instid0(VALU_DEP_1)
	v_min_num_f64_e32 v[10:11], v[12:13], v[10:11]
	s_branch .LBB209_20
.LBB209_17:
	v_max_num_f64_e64 v[10:11], s[4:5], s[4:5]
	v_max_num_f64_e64 v[12:13], s[6:7], s[6:7]
	s_delay_alu instid0(VALU_DEP_2) | instskip(NEXT) | instid1(VALU_DEP_1)
	v_max_num_f64_e32 v[10:11], v[6:7], v[10:11]
	v_min_num_f64_e32 v[10:11], v[10:11], v[12:13]
	s_cbranch_execz .LBB209_11
	s_branch .LBB209_12
.LBB209_18:
	s_mov_b32 s15, 0
                                        ; implicit-def: $vgpr10_vgpr11
	s_cbranch_execnz .LBB209_21
	s_branch .LBB209_22
.LBB209_19:
	s_mov_b32 s15, -1
                                        ; implicit-def: $vgpr10_vgpr11
.LBB209_20:
	s_branch .LBB209_22
.LBB209_21:
	s_cmp_lg_u32 s13, 0
	s_mov_b32 s14, -1
	s_cselect_b32 s15, -1, 0
.LBB209_22:
	v_max_num_f64_e32 v[8:9], v[8:9], v[8:9]
	s_and_not1_b32 vcc_lo, exec_lo, s15
	s_cbranch_vccz .LBB209_30
; %bb.23:
	s_and_not1_b32 vcc_lo, exec_lo, s14
	s_cbranch_vccnz .LBB209_25
.LBB209_24:
	v_max_num_f64_e64 v[10:11], s[4:5], s[4:5]
	s_delay_alu instid0(VALU_DEP_1)
	v_max_num_f64_e32 v[10:11], v[8:9], v[10:11]
.LBB209_25:
	s_delay_alu instid0(VALU_DEP_1)
	v_mov_b64_e32 v[8:9], v[10:11]
.LBB209_26:
	s_or_b32 exec_lo, exec_lo, s3
	s_delay_alu instid0(SALU_CYCLE_1)
	s_mov_b32 s3, exec_lo
	s_wait_loadcnt 0x0
	v_cmpx_o_f64_e32 v[2:3], v[2:3]
	s_cbranch_execz .LBB209_39
; %bb.27:
	s_cmp_lt_i32 s13, 1
	s_mov_b32 s14, 0
	s_cbranch_scc1 .LBB209_31
; %bb.28:
	s_cmp_eq_u32 s13, 1
	s_cbranch_scc0 .LBB209_32
; %bb.29:
	v_max_num_f64_e64 v[10:11], s[4:5], s[4:5]
	v_max_num_f64_e32 v[12:13], v[2:3], v[2:3]
	s_mov_b32 s15, 0
	s_delay_alu instid0(VALU_DEP_1)
	v_min_num_f64_e32 v[10:11], v[12:13], v[10:11]
	s_branch .LBB209_33
.LBB209_30:
	v_max_num_f64_e64 v[10:11], s[4:5], s[4:5]
	v_max_num_f64_e64 v[12:13], s[6:7], s[6:7]
	s_delay_alu instid0(VALU_DEP_2) | instskip(NEXT) | instid1(VALU_DEP_1)
	v_max_num_f64_e32 v[10:11], v[8:9], v[10:11]
	v_min_num_f64_e32 v[10:11], v[10:11], v[12:13]
	s_cbranch_execz .LBB209_24
	s_branch .LBB209_25
.LBB209_31:
	s_mov_b32 s15, 0
                                        ; implicit-def: $vgpr10_vgpr11
	s_cbranch_execnz .LBB209_34
	s_branch .LBB209_35
.LBB209_32:
	s_mov_b32 s15, -1
                                        ; implicit-def: $vgpr10_vgpr11
.LBB209_33:
	s_branch .LBB209_35
.LBB209_34:
	s_cmp_lg_u32 s13, 0
	s_mov_b32 s14, -1
	s_cselect_b32 s15, -1, 0
.LBB209_35:
	v_max_num_f64_e32 v[2:3], v[2:3], v[2:3]
	s_and_not1_b32 vcc_lo, exec_lo, s15
	s_cbranch_vccz .LBB209_43
; %bb.36:
	s_and_not1_b32 vcc_lo, exec_lo, s14
	s_cbranch_vccnz .LBB209_38
.LBB209_37:
	v_max_num_f64_e64 v[10:11], s[4:5], s[4:5]
	s_delay_alu instid0(VALU_DEP_1)
	v_max_num_f64_e32 v[10:11], v[2:3], v[10:11]
.LBB209_38:
	s_delay_alu instid0(VALU_DEP_1)
	v_mov_b64_e32 v[2:3], v[10:11]
.LBB209_39:
	s_or_b32 exec_lo, exec_lo, s3
	s_delay_alu instid0(SALU_CYCLE_1)
	s_mov_b32 s3, exec_lo
	v_cmpx_o_f64_e32 v[4:5], v[4:5]
	s_cbranch_execz .LBB209_52
; %bb.40:
	s_cmp_lt_i32 s13, 1
	s_mov_b32 s14, 0
	s_cbranch_scc1 .LBB209_44
; %bb.41:
	s_cmp_eq_u32 s13, 1
	s_cbranch_scc0 .LBB209_45
; %bb.42:
	v_max_num_f64_e64 v[10:11], s[4:5], s[4:5]
	v_max_num_f64_e32 v[12:13], v[4:5], v[4:5]
	s_mov_b32 s15, 0
	s_delay_alu instid0(VALU_DEP_1)
	v_min_num_f64_e32 v[10:11], v[12:13], v[10:11]
	s_branch .LBB209_46
.LBB209_43:
	v_max_num_f64_e64 v[10:11], s[4:5], s[4:5]
	v_max_num_f64_e64 v[12:13], s[6:7], s[6:7]
	s_delay_alu instid0(VALU_DEP_2) | instskip(NEXT) | instid1(VALU_DEP_1)
	v_max_num_f64_e32 v[10:11], v[2:3], v[10:11]
	v_min_num_f64_e32 v[10:11], v[10:11], v[12:13]
	s_cbranch_execz .LBB209_37
	s_branch .LBB209_38
.LBB209_44:
	s_mov_b32 s15, 0
                                        ; implicit-def: $vgpr10_vgpr11
	s_cbranch_execnz .LBB209_47
	s_branch .LBB209_48
.LBB209_45:
	s_mov_b32 s15, -1
                                        ; implicit-def: $vgpr10_vgpr11
.LBB209_46:
	s_branch .LBB209_48
.LBB209_47:
	s_cmp_lg_u32 s13, 0
	s_mov_b32 s14, -1
	s_cselect_b32 s15, -1, 0
.LBB209_48:
	v_max_num_f64_e32 v[4:5], v[4:5], v[4:5]
	s_and_not1_b32 vcc_lo, exec_lo, s15
	s_cbranch_vccz .LBB209_67
; %bb.49:
	s_and_not1_b32 vcc_lo, exec_lo, s14
	s_cbranch_vccnz .LBB209_51
.LBB209_50:
	v_max_num_f64_e64 v[10:11], s[4:5], s[4:5]
	s_delay_alu instid0(VALU_DEP_1)
	v_max_num_f64_e32 v[10:11], v[4:5], v[10:11]
.LBB209_51:
	s_delay_alu instid0(VALU_DEP_1)
	v_mov_b64_e32 v[4:5], v[10:11]
.LBB209_52:
	s_or_b32 exec_lo, exec_lo, s3
	s_add_nc_u64 s[14:15], s[8:9], s[0:1]
	s_mov_b32 s0, 0
	s_clause 0x1
	global_store_b128 v1, v[6:9], s[14:15]
	global_store_b128 v1, v[2:5], s[14:15] offset:16
.LBB209_53:
	s_and_b32 vcc_lo, exec_lo, s0
	s_cbranch_vccz .LBB209_131
; %bb.54:
	v_mov_b64_e32 v[22:23], 0
	v_mov_b64_e32 v[10:11], 0
	v_cmp_gt_i32_e64 s0, s12, v0
	s_wait_xcnt 0x0
	v_dual_mov_b32 v2, v0 :: v_dual_bitop2_b32 v1, s2, v0 bitop3:0x54
	v_or_b32_e32 v24, 0x100, v0
	s_and_saveexec_b32 s1, s0
	s_cbranch_execz .LBB209_56
; %bb.55:
	global_load_b64 v[10:11], v1, s[10:11] scale_offset
	v_or_b32_e32 v2, 0x100, v0
.LBB209_56:
	s_wait_xcnt 0x0
	s_or_b32 exec_lo, exec_lo, s1
	s_delay_alu instid0(SALU_CYCLE_1) | instskip(NEXT) | instid1(VALU_DEP_1)
	s_mov_b32 s1, exec_lo
	v_cmpx_gt_i32_e64 s12, v2
	s_cbranch_execz .LBB209_58
; %bb.57:
	v_add_nc_u32_e32 v3, s2, v2
	v_add_nc_u32_e32 v2, 0x100, v2
	global_load_b64 v[22:23], v3, s[10:11] scale_offset
.LBB209_58:
	s_wait_xcnt 0x0
	s_or_b32 exec_lo, exec_lo, s1
	v_mov_b64_e32 v[18:19], 0
	v_mov_b64_e32 v[20:21], 0
	s_mov_b32 s1, exec_lo
	v_cmpx_gt_i32_e64 s12, v2
	s_cbranch_execz .LBB209_60
; %bb.59:
	v_add_nc_u32_e32 v3, s2, v2
	v_add_nc_u32_e32 v2, 0x100, v2
	global_load_b64 v[20:21], v3, s[10:11] scale_offset
.LBB209_60:
	s_wait_xcnt 0x0
	s_or_b32 exec_lo, exec_lo, s1
	s_delay_alu instid0(SALU_CYCLE_1)
	s_mov_b32 s1, exec_lo
	v_cmpx_gt_i32_e64 s12, v2
	s_cbranch_execz .LBB209_62
; %bb.61:
	v_add_nc_u32_e32 v2, s2, v2
	global_load_b64 v[18:19], v2, s[10:11] scale_offset
.LBB209_62:
	s_wait_xcnt 0x0
	s_or_b32 exec_lo, exec_lo, s1
	v_mov_b32_e32 v2, 0
	s_delay_alu instid0(VALU_DEP_1)
	v_dual_mov_b32 v3, v2 :: v_dual_mov_b32 v4, v2
	v_dual_mov_b32 v5, v2 :: v_dual_mov_b32 v6, v2
	;; [unrolled: 1-line block ×3, first 2 shown]
	v_mov_b32_e32 v9, v2
	s_and_saveexec_b32 s1, s0
	s_cbranch_execz .LBB209_77
; %bb.63:
	s_mov_b32 s3, exec_lo
	s_wait_loadcnt 0x0
	v_cmpx_o_f64_e32 v[10:11], v[10:11]
	s_cbranch_execz .LBB209_76
; %bb.64:
	s_cmp_lt_i32 s13, 1
	s_mov_b32 s10, 0
	s_cbranch_scc1 .LBB209_68
; %bb.65:
	s_cmp_eq_u32 s13, 1
	s_cbranch_scc0 .LBB209_69
; %bb.66:
	v_max_num_f64_e64 v[2:3], s[4:5], s[4:5]
	v_max_num_f64_e32 v[4:5], v[10:11], v[10:11]
	s_mov_b32 s11, 0
	s_delay_alu instid0(VALU_DEP_1)
	v_min_num_f64_e32 v[2:3], v[4:5], v[2:3]
	s_branch .LBB209_70
.LBB209_67:
	v_max_num_f64_e64 v[10:11], s[4:5], s[4:5]
	v_max_num_f64_e64 v[12:13], s[6:7], s[6:7]
	s_delay_alu instid0(VALU_DEP_2) | instskip(NEXT) | instid1(VALU_DEP_1)
	v_max_num_f64_e32 v[10:11], v[4:5], v[10:11]
	v_min_num_f64_e32 v[10:11], v[10:11], v[12:13]
	s_cbranch_execz .LBB209_50
	s_branch .LBB209_51
.LBB209_68:
	s_mov_b32 s11, 0
                                        ; implicit-def: $vgpr2_vgpr3
	s_cbranch_execnz .LBB209_71
	s_branch .LBB209_72
.LBB209_69:
	s_mov_b32 s11, -1
                                        ; implicit-def: $vgpr2_vgpr3
.LBB209_70:
	s_branch .LBB209_72
.LBB209_71:
	s_cmp_lg_u32 s13, 0
	s_mov_b32 s10, -1
	s_cselect_b32 s11, -1, 0
.LBB209_72:
	v_max_num_f64_e32 v[4:5], v[10:11], v[10:11]
	s_and_not1_b32 vcc_lo, exec_lo, s11
	s_cbranch_vccz .LBB209_82
; %bb.73:
	s_and_not1_b32 vcc_lo, exec_lo, s10
	s_cbranch_vccnz .LBB209_75
.LBB209_74:
	v_max_num_f64_e64 v[2:3], s[4:5], s[4:5]
	s_delay_alu instid0(VALU_DEP_1)
	v_max_num_f64_e32 v[2:3], v[4:5], v[2:3]
.LBB209_75:
	s_delay_alu instid0(VALU_DEP_1)
	v_mov_b64_e32 v[10:11], v[2:3]
.LBB209_76:
	s_or_b32 exec_lo, exec_lo, s3
	v_mov_b32_e32 v12, 0
	s_delay_alu instid0(VALU_DEP_1) | instskip(SKIP_3) | instid1(VALU_DEP_4)
	v_dual_mov_b32 v13, v12 :: v_dual_mov_b32 v14, v12
	v_dual_mov_b32 v15, v12 :: v_dual_mov_b32 v16, v12
	v_mov_b32_e32 v17, v12
	v_mov_b64_e32 v[2:3], v[10:11]
	v_mov_b64_e32 v[4:5], v[12:13]
	s_delay_alu instid0(VALU_DEP_4) | instskip(NEXT) | instid1(VALU_DEP_4)
	v_mov_b64_e32 v[6:7], v[14:15]
	v_mov_b64_e32 v[8:9], v[16:17]
.LBB209_77:
	s_or_b32 exec_lo, exec_lo, s1
	s_delay_alu instid0(SALU_CYCLE_1)
	s_mov_b32 s1, exec_lo
	v_cmpx_gt_i32_e64 s12, v24
	s_cbranch_execz .LBB209_92
; %bb.78:
	s_mov_b32 s3, exec_lo
	s_wait_loadcnt 0x0
	v_cmpx_o_f64_e32 v[22:23], v[22:23]
	s_cbranch_execz .LBB209_91
; %bb.79:
	s_cmp_lt_i32 s13, 1
	s_mov_b32 s10, 0
	s_cbranch_scc1 .LBB209_83
; %bb.80:
	s_cmp_eq_u32 s13, 1
	s_cbranch_scc0 .LBB209_84
; %bb.81:
	v_max_num_f64_e64 v[4:5], s[4:5], s[4:5]
	v_max_num_f64_e32 v[10:11], v[22:23], v[22:23]
	s_mov_b32 s11, 0
	s_delay_alu instid0(VALU_DEP_1)
	v_min_num_f64_e32 v[4:5], v[10:11], v[4:5]
	s_branch .LBB209_85
.LBB209_82:
	v_max_num_f64_e64 v[2:3], s[4:5], s[4:5]
	v_max_num_f64_e64 v[6:7], s[6:7], s[6:7]
	s_delay_alu instid0(VALU_DEP_2) | instskip(NEXT) | instid1(VALU_DEP_1)
	v_max_num_f64_e32 v[2:3], v[4:5], v[2:3]
	v_min_num_f64_e32 v[2:3], v[2:3], v[6:7]
	s_cbranch_execz .LBB209_74
	s_branch .LBB209_75
.LBB209_83:
	s_mov_b32 s11, 0
                                        ; implicit-def: $vgpr4_vgpr5
	s_cbranch_execnz .LBB209_86
	s_branch .LBB209_87
.LBB209_84:
	s_mov_b32 s11, -1
                                        ; implicit-def: $vgpr4_vgpr5
.LBB209_85:
	s_branch .LBB209_87
.LBB209_86:
	s_cmp_lg_u32 s13, 0
	s_mov_b32 s10, -1
	s_cselect_b32 s11, -1, 0
.LBB209_87:
	v_max_num_f64_e32 v[10:11], v[22:23], v[22:23]
	s_and_not1_b32 vcc_lo, exec_lo, s11
	s_cbranch_vccz .LBB209_97
; %bb.88:
	s_and_not1_b32 vcc_lo, exec_lo, s10
	s_cbranch_vccnz .LBB209_90
.LBB209_89:
	v_max_num_f64_e64 v[4:5], s[4:5], s[4:5]
	s_delay_alu instid0(VALU_DEP_1)
	v_max_num_f64_e32 v[4:5], v[10:11], v[4:5]
.LBB209_90:
	s_delay_alu instid0(VALU_DEP_1)
	v_mov_b64_e32 v[22:23], v[4:5]
.LBB209_91:
	s_or_b32 exec_lo, exec_lo, s3
	s_delay_alu instid0(VALU_DEP_1)
	v_dual_mov_b32 v4, v22 :: v_dual_mov_b32 v5, v23
.LBB209_92:
	s_or_b32 exec_lo, exec_lo, s1
	s_wait_loadcnt 0x0
	v_or_b32_e32 v10, 0x200, v0
	s_mov_b32 s1, exec_lo
	s_delay_alu instid0(VALU_DEP_1)
	v_cmpx_gt_i32_e64 s12, v10
	s_cbranch_execz .LBB209_107
; %bb.93:
	s_mov_b32 s3, exec_lo
	v_cmpx_o_f64_e32 v[20:21], v[20:21]
	s_cbranch_execz .LBB209_106
; %bb.94:
	s_cmp_lt_i32 s13, 1
	s_mov_b32 s10, 0
	s_cbranch_scc1 .LBB209_98
; %bb.95:
	s_cmp_eq_u32 s13, 1
	s_cbranch_scc0 .LBB209_99
; %bb.96:
	v_max_num_f64_e64 v[6:7], s[4:5], s[4:5]
	v_max_num_f64_e32 v[10:11], v[20:21], v[20:21]
	s_mov_b32 s11, 0
	s_delay_alu instid0(VALU_DEP_1)
	v_min_num_f64_e32 v[6:7], v[10:11], v[6:7]
	s_branch .LBB209_100
.LBB209_97:
	v_max_num_f64_e64 v[4:5], s[4:5], s[4:5]
	v_max_num_f64_e64 v[12:13], s[6:7], s[6:7]
	s_delay_alu instid0(VALU_DEP_2) | instskip(NEXT) | instid1(VALU_DEP_1)
	v_max_num_f64_e32 v[4:5], v[10:11], v[4:5]
	v_min_num_f64_e32 v[4:5], v[4:5], v[12:13]
	s_cbranch_execz .LBB209_89
	s_branch .LBB209_90
.LBB209_98:
	s_mov_b32 s11, 0
                                        ; implicit-def: $vgpr6_vgpr7
	s_cbranch_execnz .LBB209_101
	s_branch .LBB209_102
.LBB209_99:
	s_mov_b32 s11, -1
                                        ; implicit-def: $vgpr6_vgpr7
.LBB209_100:
	s_branch .LBB209_102
.LBB209_101:
	s_cmp_lg_u32 s13, 0
	s_mov_b32 s10, -1
	s_cselect_b32 s11, -1, 0
.LBB209_102:
	v_max_num_f64_e32 v[10:11], v[20:21], v[20:21]
	s_and_not1_b32 vcc_lo, exec_lo, s11
	s_cbranch_vccz .LBB209_117
; %bb.103:
	s_and_not1_b32 vcc_lo, exec_lo, s10
	s_cbranch_vccnz .LBB209_105
.LBB209_104:
	v_max_num_f64_e64 v[6:7], s[4:5], s[4:5]
	s_delay_alu instid0(VALU_DEP_1)
	v_max_num_f64_e32 v[6:7], v[10:11], v[6:7]
.LBB209_105:
	s_delay_alu instid0(VALU_DEP_1)
	v_mov_b64_e32 v[20:21], v[6:7]
.LBB209_106:
	s_or_b32 exec_lo, exec_lo, s3
	s_delay_alu instid0(VALU_DEP_1)
	v_dual_mov_b32 v6, v20 :: v_dual_mov_b32 v7, v21
.LBB209_107:
	s_or_b32 exec_lo, exec_lo, s1
	v_or_b32_e32 v10, 0x300, v0
	s_mov_b32 s1, exec_lo
	s_delay_alu instid0(VALU_DEP_1)
	v_cmpx_gt_i32_e64 s12, v10
	s_cbranch_execnz .LBB209_113
; %bb.108:
	s_or_b32 exec_lo, exec_lo, s1
	s_and_saveexec_b32 s1, s0
	s_delay_alu instid0(SALU_CYCLE_1)
	s_xor_b32 s0, exec_lo, s1
	s_cbranch_execnz .LBB209_128
.LBB209_109:
	s_or_b32 exec_lo, exec_lo, s0
	s_delay_alu instid0(SALU_CYCLE_1)
	s_mov_b32 s0, exec_lo
	v_cmpx_gt_i32_e64 s12, v0
	s_cbranch_execnz .LBB209_129
.LBB209_110:
	s_or_b32 exec_lo, exec_lo, s0
	s_delay_alu instid0(SALU_CYCLE_1)
	s_mov_b32 s0, exec_lo
	v_cmpx_gt_i32_e64 s12, v0
	s_cbranch_execnz .LBB209_130
.LBB209_111:
	s_or_b32 exec_lo, exec_lo, s0
	s_delay_alu instid0(SALU_CYCLE_1)
	s_mov_b32 s0, exec_lo
	v_cmpx_gt_i32_e64 s12, v0
	s_cbranch_execz .LBB209_131
.LBB209_112:
	v_add_nc_u32_e32 v0, s2, v0
	global_store_b64 v0, v[8:9], s[8:9] scale_offset
	s_endpgm
.LBB209_113:
	s_mov_b32 s3, exec_lo
	v_cmpx_o_f64_e32 v[18:19], v[18:19]
	s_cbranch_execz .LBB209_127
; %bb.114:
	s_cmp_lt_i32 s13, 1
	s_mov_b32 s10, 0
	s_cbranch_scc1 .LBB209_118
; %bb.115:
	s_cmp_eq_u32 s13, 1
	s_cbranch_scc0 .LBB209_119
; %bb.116:
	v_max_num_f64_e64 v[8:9], s[4:5], s[4:5]
	v_max_num_f64_e32 v[10:11], v[18:19], v[18:19]
	s_mov_b32 s11, 0
	s_delay_alu instid0(VALU_DEP_1)
	v_min_num_f64_e32 v[8:9], v[10:11], v[8:9]
	s_branch .LBB209_120
.LBB209_117:
	v_max_num_f64_e64 v[6:7], s[4:5], s[4:5]
	v_max_num_f64_e64 v[12:13], s[6:7], s[6:7]
	s_delay_alu instid0(VALU_DEP_2) | instskip(NEXT) | instid1(VALU_DEP_1)
	v_max_num_f64_e32 v[6:7], v[10:11], v[6:7]
	v_min_num_f64_e32 v[6:7], v[6:7], v[12:13]
	s_cbranch_execz .LBB209_104
	s_branch .LBB209_105
.LBB209_118:
	s_mov_b32 s11, 0
                                        ; implicit-def: $vgpr8_vgpr9
	s_cbranch_execnz .LBB209_121
	s_branch .LBB209_122
.LBB209_119:
	s_mov_b32 s11, -1
                                        ; implicit-def: $vgpr8_vgpr9
.LBB209_120:
	s_branch .LBB209_122
.LBB209_121:
	s_cmp_lg_u32 s13, 0
	s_mov_b32 s10, -1
	s_cselect_b32 s11, -1, 0
.LBB209_122:
	v_max_num_f64_e64 v[12:13], s[4:5], s[4:5]
	v_max_num_f64_e32 v[14:15], v[18:19], v[18:19]
	s_and_not1_b32 vcc_lo, exec_lo, s11
	s_delay_alu instid0(VALU_DEP_1)
	v_max_num_f64_e32 v[10:11], v[14:15], v[12:13]
	s_cbranch_vccnz .LBB209_124
; %bb.123:
	v_max_num_f64_e32 v[8:9], v[14:15], v[12:13]
	v_max_num_f64_e64 v[12:13], s[6:7], s[6:7]
	s_mov_b32 s10, 0
	s_delay_alu instid0(VALU_DEP_1)
	v_min_num_f64_e32 v[8:9], v[8:9], v[12:13]
.LBB209_124:
	s_and_not1_b32 vcc_lo, exec_lo, s10
	s_cbranch_vccnz .LBB209_126
; %bb.125:
	s_delay_alu instid0(VALU_DEP_1)
	v_mov_b64_e32 v[8:9], v[10:11]
.LBB209_126:
	s_delay_alu instid0(VALU_DEP_1)
	v_mov_b64_e32 v[18:19], v[8:9]
.LBB209_127:
	s_or_b32 exec_lo, exec_lo, s3
	s_delay_alu instid0(VALU_DEP_1) | instskip(SKIP_2) | instid1(SALU_CYCLE_1)
	v_dual_mov_b32 v8, v18 :: v_dual_mov_b32 v9, v19
	s_or_b32 exec_lo, exec_lo, s1
	s_and_saveexec_b32 s1, s0
	s_xor_b32 s0, exec_lo, s1
	s_cbranch_execz .LBB209_109
.LBB209_128:
	v_mov_b32_e32 v0, v24
	global_store_b64 v1, v[2:3], s[8:9] scale_offset
	s_wait_xcnt 0x0
	s_or_b32 exec_lo, exec_lo, s0
	s_delay_alu instid0(SALU_CYCLE_1)
	s_mov_b32 s0, exec_lo
	v_cmpx_gt_i32_e64 s12, v0
	s_cbranch_execz .LBB209_110
.LBB209_129:
	v_add_nc_u32_e32 v1, s2, v0
	v_add_nc_u32_e32 v0, 0x100, v0
	global_store_b64 v1, v[4:5], s[8:9] scale_offset
	s_wait_xcnt 0x0
	s_or_b32 exec_lo, exec_lo, s0
	s_delay_alu instid0(SALU_CYCLE_1)
	s_mov_b32 s0, exec_lo
	v_cmpx_gt_i32_e64 s12, v0
	s_cbranch_execz .LBB209_111
.LBB209_130:
	v_add_nc_u32_e32 v1, s2, v0
	v_add_nc_u32_e32 v0, 0x100, v0
	global_store_b64 v1, v[6:7], s[8:9] scale_offset
	s_wait_xcnt 0x0
	s_or_b32 exec_lo, exec_lo, s0
	s_delay_alu instid0(SALU_CYCLE_1)
	s_mov_b32 s0, exec_lo
	v_cmpx_gt_i32_e64 s12, v0
	s_cbranch_execnz .LBB209_112
.LBB209_131:
	s_endpgm
	.section	.rodata,"a",@progbits
	.p2align	6, 0x0
	.amdhsa_kernel _ZN2at6native29vectorized_elementwise_kernelILi8EZZZNS0_12_GLOBAL__N_119launch_clamp_scalarERNS_18TensorIteratorBaseEN3c106ScalarES6_NS0_6detail11ClampLimitsEENKUlvE_clEvENKUlvE4_clEvEUldE_St5arrayIPcLm2EEEEviT0_T1_
		.amdhsa_group_segment_fixed_size 0
		.amdhsa_private_segment_fixed_size 0
		.amdhsa_kernarg_size 48
		.amdhsa_user_sgpr_count 2
		.amdhsa_user_sgpr_dispatch_ptr 0
		.amdhsa_user_sgpr_queue_ptr 0
		.amdhsa_user_sgpr_kernarg_segment_ptr 1
		.amdhsa_user_sgpr_dispatch_id 0
		.amdhsa_user_sgpr_kernarg_preload_length 0
		.amdhsa_user_sgpr_kernarg_preload_offset 0
		.amdhsa_user_sgpr_private_segment_size 0
		.amdhsa_wavefront_size32 1
		.amdhsa_uses_dynamic_stack 0
		.amdhsa_enable_private_segment 0
		.amdhsa_system_sgpr_workgroup_id_x 1
		.amdhsa_system_sgpr_workgroup_id_y 0
		.amdhsa_system_sgpr_workgroup_id_z 0
		.amdhsa_system_sgpr_workgroup_info 0
		.amdhsa_system_vgpr_workitem_id 0
		.amdhsa_next_free_vgpr 25
		.amdhsa_next_free_sgpr 16
		.amdhsa_named_barrier_count 0
		.amdhsa_reserve_vcc 1
		.amdhsa_float_round_mode_32 0
		.amdhsa_float_round_mode_16_64 0
		.amdhsa_float_denorm_mode_32 3
		.amdhsa_float_denorm_mode_16_64 3
		.amdhsa_fp16_overflow 0
		.amdhsa_memory_ordered 1
		.amdhsa_forward_progress 1
		.amdhsa_inst_pref_size 19
		.amdhsa_round_robin_scheduling 0
		.amdhsa_exception_fp_ieee_invalid_op 0
		.amdhsa_exception_fp_denorm_src 0
		.amdhsa_exception_fp_ieee_div_zero 0
		.amdhsa_exception_fp_ieee_overflow 0
		.amdhsa_exception_fp_ieee_underflow 0
		.amdhsa_exception_fp_ieee_inexact 0
		.amdhsa_exception_int_div_zero 0
	.end_amdhsa_kernel
	.section	.text._ZN2at6native29vectorized_elementwise_kernelILi8EZZZNS0_12_GLOBAL__N_119launch_clamp_scalarERNS_18TensorIteratorBaseEN3c106ScalarES6_NS0_6detail11ClampLimitsEENKUlvE_clEvENKUlvE4_clEvEUldE_St5arrayIPcLm2EEEEviT0_T1_,"axG",@progbits,_ZN2at6native29vectorized_elementwise_kernelILi8EZZZNS0_12_GLOBAL__N_119launch_clamp_scalarERNS_18TensorIteratorBaseEN3c106ScalarES6_NS0_6detail11ClampLimitsEENKUlvE_clEvENKUlvE4_clEvEUldE_St5arrayIPcLm2EEEEviT0_T1_,comdat
.Lfunc_end209:
	.size	_ZN2at6native29vectorized_elementwise_kernelILi8EZZZNS0_12_GLOBAL__N_119launch_clamp_scalarERNS_18TensorIteratorBaseEN3c106ScalarES6_NS0_6detail11ClampLimitsEENKUlvE_clEvENKUlvE4_clEvEUldE_St5arrayIPcLm2EEEEviT0_T1_, .Lfunc_end209-_ZN2at6native29vectorized_elementwise_kernelILi8EZZZNS0_12_GLOBAL__N_119launch_clamp_scalarERNS_18TensorIteratorBaseEN3c106ScalarES6_NS0_6detail11ClampLimitsEENKUlvE_clEvENKUlvE4_clEvEUldE_St5arrayIPcLm2EEEEviT0_T1_
                                        ; -- End function
	.set _ZN2at6native29vectorized_elementwise_kernelILi8EZZZNS0_12_GLOBAL__N_119launch_clamp_scalarERNS_18TensorIteratorBaseEN3c106ScalarES6_NS0_6detail11ClampLimitsEENKUlvE_clEvENKUlvE4_clEvEUldE_St5arrayIPcLm2EEEEviT0_T1_.num_vgpr, 25
	.set _ZN2at6native29vectorized_elementwise_kernelILi8EZZZNS0_12_GLOBAL__N_119launch_clamp_scalarERNS_18TensorIteratorBaseEN3c106ScalarES6_NS0_6detail11ClampLimitsEENKUlvE_clEvENKUlvE4_clEvEUldE_St5arrayIPcLm2EEEEviT0_T1_.num_agpr, 0
	.set _ZN2at6native29vectorized_elementwise_kernelILi8EZZZNS0_12_GLOBAL__N_119launch_clamp_scalarERNS_18TensorIteratorBaseEN3c106ScalarES6_NS0_6detail11ClampLimitsEENKUlvE_clEvENKUlvE4_clEvEUldE_St5arrayIPcLm2EEEEviT0_T1_.numbered_sgpr, 16
	.set _ZN2at6native29vectorized_elementwise_kernelILi8EZZZNS0_12_GLOBAL__N_119launch_clamp_scalarERNS_18TensorIteratorBaseEN3c106ScalarES6_NS0_6detail11ClampLimitsEENKUlvE_clEvENKUlvE4_clEvEUldE_St5arrayIPcLm2EEEEviT0_T1_.num_named_barrier, 0
	.set _ZN2at6native29vectorized_elementwise_kernelILi8EZZZNS0_12_GLOBAL__N_119launch_clamp_scalarERNS_18TensorIteratorBaseEN3c106ScalarES6_NS0_6detail11ClampLimitsEENKUlvE_clEvENKUlvE4_clEvEUldE_St5arrayIPcLm2EEEEviT0_T1_.private_seg_size, 0
	.set _ZN2at6native29vectorized_elementwise_kernelILi8EZZZNS0_12_GLOBAL__N_119launch_clamp_scalarERNS_18TensorIteratorBaseEN3c106ScalarES6_NS0_6detail11ClampLimitsEENKUlvE_clEvENKUlvE4_clEvEUldE_St5arrayIPcLm2EEEEviT0_T1_.uses_vcc, 1
	.set _ZN2at6native29vectorized_elementwise_kernelILi8EZZZNS0_12_GLOBAL__N_119launch_clamp_scalarERNS_18TensorIteratorBaseEN3c106ScalarES6_NS0_6detail11ClampLimitsEENKUlvE_clEvENKUlvE4_clEvEUldE_St5arrayIPcLm2EEEEviT0_T1_.uses_flat_scratch, 0
	.set _ZN2at6native29vectorized_elementwise_kernelILi8EZZZNS0_12_GLOBAL__N_119launch_clamp_scalarERNS_18TensorIteratorBaseEN3c106ScalarES6_NS0_6detail11ClampLimitsEENKUlvE_clEvENKUlvE4_clEvEUldE_St5arrayIPcLm2EEEEviT0_T1_.has_dyn_sized_stack, 0
	.set _ZN2at6native29vectorized_elementwise_kernelILi8EZZZNS0_12_GLOBAL__N_119launch_clamp_scalarERNS_18TensorIteratorBaseEN3c106ScalarES6_NS0_6detail11ClampLimitsEENKUlvE_clEvENKUlvE4_clEvEUldE_St5arrayIPcLm2EEEEviT0_T1_.has_recursion, 0
	.set _ZN2at6native29vectorized_elementwise_kernelILi8EZZZNS0_12_GLOBAL__N_119launch_clamp_scalarERNS_18TensorIteratorBaseEN3c106ScalarES6_NS0_6detail11ClampLimitsEENKUlvE_clEvENKUlvE4_clEvEUldE_St5arrayIPcLm2EEEEviT0_T1_.has_indirect_call, 0
	.section	.AMDGPU.csdata,"",@progbits
; Kernel info:
; codeLenInByte = 2356
; TotalNumSgprs: 18
; NumVgprs: 25
; ScratchSize: 0
; MemoryBound: 1
; FloatMode: 240
; IeeeMode: 1
; LDSByteSize: 0 bytes/workgroup (compile time only)
; SGPRBlocks: 0
; VGPRBlocks: 1
; NumSGPRsForWavesPerEU: 18
; NumVGPRsForWavesPerEU: 25
; NamedBarCnt: 0
; Occupancy: 16
; WaveLimiterHint : 0
; COMPUTE_PGM_RSRC2:SCRATCH_EN: 0
; COMPUTE_PGM_RSRC2:USER_SGPR: 2
; COMPUTE_PGM_RSRC2:TRAP_HANDLER: 0
; COMPUTE_PGM_RSRC2:TGID_X_EN: 1
; COMPUTE_PGM_RSRC2:TGID_Y_EN: 0
; COMPUTE_PGM_RSRC2:TGID_Z_EN: 0
; COMPUTE_PGM_RSRC2:TIDIG_COMP_CNT: 0
	.section	.text._ZN2at6native29vectorized_elementwise_kernelILi4EZZZNS0_12_GLOBAL__N_119launch_clamp_scalarERNS_18TensorIteratorBaseEN3c106ScalarES6_NS0_6detail11ClampLimitsEENKUlvE_clEvENKUlvE4_clEvEUldE_St5arrayIPcLm2EEEEviT0_T1_,"axG",@progbits,_ZN2at6native29vectorized_elementwise_kernelILi4EZZZNS0_12_GLOBAL__N_119launch_clamp_scalarERNS_18TensorIteratorBaseEN3c106ScalarES6_NS0_6detail11ClampLimitsEENKUlvE_clEvENKUlvE4_clEvEUldE_St5arrayIPcLm2EEEEviT0_T1_,comdat
	.globl	_ZN2at6native29vectorized_elementwise_kernelILi4EZZZNS0_12_GLOBAL__N_119launch_clamp_scalarERNS_18TensorIteratorBaseEN3c106ScalarES6_NS0_6detail11ClampLimitsEENKUlvE_clEvENKUlvE4_clEvEUldE_St5arrayIPcLm2EEEEviT0_T1_ ; -- Begin function _ZN2at6native29vectorized_elementwise_kernelILi4EZZZNS0_12_GLOBAL__N_119launch_clamp_scalarERNS_18TensorIteratorBaseEN3c106ScalarES6_NS0_6detail11ClampLimitsEENKUlvE_clEvENKUlvE4_clEvEUldE_St5arrayIPcLm2EEEEviT0_T1_
	.p2align	8
	.type	_ZN2at6native29vectorized_elementwise_kernelILi4EZZZNS0_12_GLOBAL__N_119launch_clamp_scalarERNS_18TensorIteratorBaseEN3c106ScalarES6_NS0_6detail11ClampLimitsEENKUlvE_clEvENKUlvE4_clEvEUldE_St5arrayIPcLm2EEEEviT0_T1_,@function
_ZN2at6native29vectorized_elementwise_kernelILi4EZZZNS0_12_GLOBAL__N_119launch_clamp_scalarERNS_18TensorIteratorBaseEN3c106ScalarES6_NS0_6detail11ClampLimitsEENKUlvE_clEvENKUlvE4_clEvEUldE_St5arrayIPcLm2EEEEviT0_T1_: ; @_ZN2at6native29vectorized_elementwise_kernelILi4EZZZNS0_12_GLOBAL__N_119launch_clamp_scalarERNS_18TensorIteratorBaseEN3c106ScalarES6_NS0_6detail11ClampLimitsEENKUlvE_clEvENKUlvE4_clEvEUldE_St5arrayIPcLm2EEEEviT0_T1_
; %bb.0:
	s_clause 0x2
	s_load_b32 s3, s[0:1], 0x0
	s_load_b32 s13, s[0:1], 0x8
	s_load_b256 s[4:11], s[0:1], 0x10
	s_wait_xcnt 0x0
	s_bfe_u32 s0, ttmp6, 0x4000c
	s_and_b32 s1, ttmp6, 15
	s_add_co_i32 s0, s0, 1
	s_getreg_b32 s2, hwreg(HW_REG_IB_STS2, 6, 4)
	s_mul_i32 s0, ttmp9, s0
	s_delay_alu instid0(SALU_CYCLE_1) | instskip(SKIP_2) | instid1(SALU_CYCLE_1)
	s_add_co_i32 s1, s1, s0
	s_cmp_eq_u32 s2, 0
	s_cselect_b32 s0, ttmp9, s1
	s_lshl_b32 s2, s0, 10
	s_mov_b32 s0, -1
	s_wait_kmcnt 0x0
	s_sub_co_i32 s12, s3, s2
	s_delay_alu instid0(SALU_CYCLE_1)
	s_cmp_gt_i32 s12, 0x3ff
	s_cbranch_scc0 .LBB210_53
; %bb.1:
	s_ashr_i32 s3, s2, 31
	v_lshlrev_b32_e32 v1, 5, v0
	s_lshl_b64 s[0:1], s[2:3], 3
	s_mov_b32 s3, exec_lo
	s_add_nc_u64 s[14:15], s[10:11], s[0:1]
	s_clause 0x1
	global_load_b128 v[6:9], v1, s[14:15]
	global_load_b128 v[2:5], v1, s[14:15] offset:16
	s_wait_loadcnt 0x1
	s_wait_xcnt 0x0
	v_cmpx_o_f64_e32 v[6:7], v[6:7]
	s_cbranch_execz .LBB210_13
; %bb.2:
	s_cmp_lt_i32 s13, 1
	s_mov_b32 s14, 0
	s_cbranch_scc1 .LBB210_5
; %bb.3:
	s_cmp_eq_u32 s13, 1
	s_cbranch_scc0 .LBB210_6
; %bb.4:
	v_max_num_f64_e64 v[10:11], s[4:5], s[4:5]
	v_max_num_f64_e32 v[12:13], v[6:7], v[6:7]
	s_mov_b32 s15, 0
	s_delay_alu instid0(VALU_DEP_1)
	v_min_num_f64_e32 v[10:11], v[12:13], v[10:11]
	s_branch .LBB210_7
.LBB210_5:
	s_mov_b32 s15, 0
                                        ; implicit-def: $vgpr10_vgpr11
	s_cbranch_execnz .LBB210_8
	s_branch .LBB210_9
.LBB210_6:
	s_mov_b32 s15, -1
                                        ; implicit-def: $vgpr10_vgpr11
.LBB210_7:
	s_branch .LBB210_9
.LBB210_8:
	s_cmp_lg_u32 s13, 0
	s_mov_b32 s14, -1
	s_cselect_b32 s15, -1, 0
.LBB210_9:
	v_max_num_f64_e32 v[6:7], v[6:7], v[6:7]
	s_and_not1_b32 vcc_lo, exec_lo, s15
	s_cbranch_vccz .LBB210_17
; %bb.10:
	s_and_not1_b32 vcc_lo, exec_lo, s14
	s_cbranch_vccnz .LBB210_12
.LBB210_11:
	v_max_num_f64_e64 v[10:11], s[4:5], s[4:5]
	s_delay_alu instid0(VALU_DEP_1)
	v_max_num_f64_e32 v[10:11], v[6:7], v[10:11]
.LBB210_12:
	s_delay_alu instid0(VALU_DEP_1)
	v_mov_b64_e32 v[6:7], v[10:11]
.LBB210_13:
	s_or_b32 exec_lo, exec_lo, s3
	s_delay_alu instid0(SALU_CYCLE_1)
	s_mov_b32 s3, exec_lo
	v_cmpx_o_f64_e32 v[8:9], v[8:9]
	s_cbranch_execz .LBB210_26
; %bb.14:
	s_cmp_lt_i32 s13, 1
	s_mov_b32 s14, 0
	s_cbranch_scc1 .LBB210_18
; %bb.15:
	s_cmp_eq_u32 s13, 1
	s_cbranch_scc0 .LBB210_19
; %bb.16:
	v_max_num_f64_e64 v[10:11], s[4:5], s[4:5]
	v_max_num_f64_e32 v[12:13], v[8:9], v[8:9]
	s_mov_b32 s15, 0
	s_delay_alu instid0(VALU_DEP_1)
	v_min_num_f64_e32 v[10:11], v[12:13], v[10:11]
	s_branch .LBB210_20
.LBB210_17:
	v_max_num_f64_e64 v[10:11], s[4:5], s[4:5]
	v_max_num_f64_e64 v[12:13], s[6:7], s[6:7]
	s_delay_alu instid0(VALU_DEP_2) | instskip(NEXT) | instid1(VALU_DEP_1)
	v_max_num_f64_e32 v[10:11], v[6:7], v[10:11]
	v_min_num_f64_e32 v[10:11], v[10:11], v[12:13]
	s_cbranch_execz .LBB210_11
	s_branch .LBB210_12
.LBB210_18:
	s_mov_b32 s15, 0
                                        ; implicit-def: $vgpr10_vgpr11
	s_cbranch_execnz .LBB210_21
	s_branch .LBB210_22
.LBB210_19:
	s_mov_b32 s15, -1
                                        ; implicit-def: $vgpr10_vgpr11
.LBB210_20:
	s_branch .LBB210_22
.LBB210_21:
	s_cmp_lg_u32 s13, 0
	s_mov_b32 s14, -1
	s_cselect_b32 s15, -1, 0
.LBB210_22:
	v_max_num_f64_e32 v[8:9], v[8:9], v[8:9]
	s_and_not1_b32 vcc_lo, exec_lo, s15
	s_cbranch_vccz .LBB210_30
; %bb.23:
	s_and_not1_b32 vcc_lo, exec_lo, s14
	s_cbranch_vccnz .LBB210_25
.LBB210_24:
	v_max_num_f64_e64 v[10:11], s[4:5], s[4:5]
	s_delay_alu instid0(VALU_DEP_1)
	v_max_num_f64_e32 v[10:11], v[8:9], v[10:11]
.LBB210_25:
	s_delay_alu instid0(VALU_DEP_1)
	v_mov_b64_e32 v[8:9], v[10:11]
.LBB210_26:
	s_or_b32 exec_lo, exec_lo, s3
	s_delay_alu instid0(SALU_CYCLE_1)
	s_mov_b32 s3, exec_lo
	s_wait_loadcnt 0x0
	v_cmpx_o_f64_e32 v[2:3], v[2:3]
	s_cbranch_execz .LBB210_39
; %bb.27:
	s_cmp_lt_i32 s13, 1
	s_mov_b32 s14, 0
	s_cbranch_scc1 .LBB210_31
; %bb.28:
	s_cmp_eq_u32 s13, 1
	s_cbranch_scc0 .LBB210_32
; %bb.29:
	v_max_num_f64_e64 v[10:11], s[4:5], s[4:5]
	v_max_num_f64_e32 v[12:13], v[2:3], v[2:3]
	s_mov_b32 s15, 0
	s_delay_alu instid0(VALU_DEP_1)
	v_min_num_f64_e32 v[10:11], v[12:13], v[10:11]
	s_branch .LBB210_33
.LBB210_30:
	v_max_num_f64_e64 v[10:11], s[4:5], s[4:5]
	v_max_num_f64_e64 v[12:13], s[6:7], s[6:7]
	s_delay_alu instid0(VALU_DEP_2) | instskip(NEXT) | instid1(VALU_DEP_1)
	v_max_num_f64_e32 v[10:11], v[8:9], v[10:11]
	v_min_num_f64_e32 v[10:11], v[10:11], v[12:13]
	s_cbranch_execz .LBB210_24
	s_branch .LBB210_25
.LBB210_31:
	s_mov_b32 s15, 0
                                        ; implicit-def: $vgpr10_vgpr11
	s_cbranch_execnz .LBB210_34
	s_branch .LBB210_35
.LBB210_32:
	s_mov_b32 s15, -1
                                        ; implicit-def: $vgpr10_vgpr11
.LBB210_33:
	s_branch .LBB210_35
.LBB210_34:
	s_cmp_lg_u32 s13, 0
	s_mov_b32 s14, -1
	s_cselect_b32 s15, -1, 0
.LBB210_35:
	v_max_num_f64_e32 v[2:3], v[2:3], v[2:3]
	s_and_not1_b32 vcc_lo, exec_lo, s15
	s_cbranch_vccz .LBB210_43
; %bb.36:
	s_and_not1_b32 vcc_lo, exec_lo, s14
	s_cbranch_vccnz .LBB210_38
.LBB210_37:
	v_max_num_f64_e64 v[10:11], s[4:5], s[4:5]
	s_delay_alu instid0(VALU_DEP_1)
	v_max_num_f64_e32 v[10:11], v[2:3], v[10:11]
.LBB210_38:
	s_delay_alu instid0(VALU_DEP_1)
	v_mov_b64_e32 v[2:3], v[10:11]
.LBB210_39:
	s_or_b32 exec_lo, exec_lo, s3
	s_delay_alu instid0(SALU_CYCLE_1)
	s_mov_b32 s3, exec_lo
	v_cmpx_o_f64_e32 v[4:5], v[4:5]
	s_cbranch_execz .LBB210_52
; %bb.40:
	s_cmp_lt_i32 s13, 1
	s_mov_b32 s14, 0
	s_cbranch_scc1 .LBB210_44
; %bb.41:
	s_cmp_eq_u32 s13, 1
	s_cbranch_scc0 .LBB210_45
; %bb.42:
	v_max_num_f64_e64 v[10:11], s[4:5], s[4:5]
	v_max_num_f64_e32 v[12:13], v[4:5], v[4:5]
	s_mov_b32 s15, 0
	s_delay_alu instid0(VALU_DEP_1)
	v_min_num_f64_e32 v[10:11], v[12:13], v[10:11]
	s_branch .LBB210_46
.LBB210_43:
	v_max_num_f64_e64 v[10:11], s[4:5], s[4:5]
	v_max_num_f64_e64 v[12:13], s[6:7], s[6:7]
	s_delay_alu instid0(VALU_DEP_2) | instskip(NEXT) | instid1(VALU_DEP_1)
	v_max_num_f64_e32 v[10:11], v[2:3], v[10:11]
	v_min_num_f64_e32 v[10:11], v[10:11], v[12:13]
	s_cbranch_execz .LBB210_37
	s_branch .LBB210_38
.LBB210_44:
	s_mov_b32 s15, 0
                                        ; implicit-def: $vgpr10_vgpr11
	s_cbranch_execnz .LBB210_47
	s_branch .LBB210_48
.LBB210_45:
	s_mov_b32 s15, -1
                                        ; implicit-def: $vgpr10_vgpr11
.LBB210_46:
	s_branch .LBB210_48
.LBB210_47:
	s_cmp_lg_u32 s13, 0
	s_mov_b32 s14, -1
	s_cselect_b32 s15, -1, 0
.LBB210_48:
	v_max_num_f64_e32 v[4:5], v[4:5], v[4:5]
	s_and_not1_b32 vcc_lo, exec_lo, s15
	s_cbranch_vccz .LBB210_67
; %bb.49:
	s_and_not1_b32 vcc_lo, exec_lo, s14
	s_cbranch_vccnz .LBB210_51
.LBB210_50:
	v_max_num_f64_e64 v[10:11], s[4:5], s[4:5]
	s_delay_alu instid0(VALU_DEP_1)
	v_max_num_f64_e32 v[10:11], v[4:5], v[10:11]
.LBB210_51:
	s_delay_alu instid0(VALU_DEP_1)
	v_mov_b64_e32 v[4:5], v[10:11]
.LBB210_52:
	s_or_b32 exec_lo, exec_lo, s3
	s_add_nc_u64 s[14:15], s[8:9], s[0:1]
	s_mov_b32 s0, 0
	s_clause 0x1
	global_store_b128 v1, v[6:9], s[14:15]
	global_store_b128 v1, v[2:5], s[14:15] offset:16
.LBB210_53:
	s_and_b32 vcc_lo, exec_lo, s0
	s_cbranch_vccz .LBB210_131
; %bb.54:
	v_mov_b64_e32 v[22:23], 0
	v_mov_b64_e32 v[10:11], 0
	v_cmp_gt_i32_e64 s0, s12, v0
	s_wait_xcnt 0x0
	v_dual_mov_b32 v2, v0 :: v_dual_bitop2_b32 v1, s2, v0 bitop3:0x54
	v_or_b32_e32 v24, 0x100, v0
	s_and_saveexec_b32 s1, s0
	s_cbranch_execz .LBB210_56
; %bb.55:
	global_load_b64 v[10:11], v1, s[10:11] scale_offset
	v_or_b32_e32 v2, 0x100, v0
.LBB210_56:
	s_wait_xcnt 0x0
	s_or_b32 exec_lo, exec_lo, s1
	s_delay_alu instid0(SALU_CYCLE_1) | instskip(NEXT) | instid1(VALU_DEP_1)
	s_mov_b32 s1, exec_lo
	v_cmpx_gt_i32_e64 s12, v2
	s_cbranch_execz .LBB210_58
; %bb.57:
	v_add_nc_u32_e32 v3, s2, v2
	v_add_nc_u32_e32 v2, 0x100, v2
	global_load_b64 v[22:23], v3, s[10:11] scale_offset
.LBB210_58:
	s_wait_xcnt 0x0
	s_or_b32 exec_lo, exec_lo, s1
	v_mov_b64_e32 v[18:19], 0
	v_mov_b64_e32 v[20:21], 0
	s_mov_b32 s1, exec_lo
	v_cmpx_gt_i32_e64 s12, v2
	s_cbranch_execz .LBB210_60
; %bb.59:
	v_add_nc_u32_e32 v3, s2, v2
	v_add_nc_u32_e32 v2, 0x100, v2
	global_load_b64 v[20:21], v3, s[10:11] scale_offset
.LBB210_60:
	s_wait_xcnt 0x0
	s_or_b32 exec_lo, exec_lo, s1
	s_delay_alu instid0(SALU_CYCLE_1)
	s_mov_b32 s1, exec_lo
	v_cmpx_gt_i32_e64 s12, v2
	s_cbranch_execz .LBB210_62
; %bb.61:
	v_add_nc_u32_e32 v2, s2, v2
	global_load_b64 v[18:19], v2, s[10:11] scale_offset
.LBB210_62:
	s_wait_xcnt 0x0
	s_or_b32 exec_lo, exec_lo, s1
	v_mov_b32_e32 v2, 0
	s_delay_alu instid0(VALU_DEP_1)
	v_dual_mov_b32 v3, v2 :: v_dual_mov_b32 v4, v2
	v_dual_mov_b32 v5, v2 :: v_dual_mov_b32 v6, v2
	;; [unrolled: 1-line block ×3, first 2 shown]
	v_mov_b32_e32 v9, v2
	s_and_saveexec_b32 s1, s0
	s_cbranch_execz .LBB210_77
; %bb.63:
	s_mov_b32 s3, exec_lo
	s_wait_loadcnt 0x0
	v_cmpx_o_f64_e32 v[10:11], v[10:11]
	s_cbranch_execz .LBB210_76
; %bb.64:
	s_cmp_lt_i32 s13, 1
	s_mov_b32 s10, 0
	s_cbranch_scc1 .LBB210_68
; %bb.65:
	s_cmp_eq_u32 s13, 1
	s_cbranch_scc0 .LBB210_69
; %bb.66:
	v_max_num_f64_e64 v[2:3], s[4:5], s[4:5]
	v_max_num_f64_e32 v[4:5], v[10:11], v[10:11]
	s_mov_b32 s11, 0
	s_delay_alu instid0(VALU_DEP_1)
	v_min_num_f64_e32 v[2:3], v[4:5], v[2:3]
	s_branch .LBB210_70
.LBB210_67:
	v_max_num_f64_e64 v[10:11], s[4:5], s[4:5]
	v_max_num_f64_e64 v[12:13], s[6:7], s[6:7]
	s_delay_alu instid0(VALU_DEP_2) | instskip(NEXT) | instid1(VALU_DEP_1)
	v_max_num_f64_e32 v[10:11], v[4:5], v[10:11]
	v_min_num_f64_e32 v[10:11], v[10:11], v[12:13]
	s_cbranch_execz .LBB210_50
	s_branch .LBB210_51
.LBB210_68:
	s_mov_b32 s11, 0
                                        ; implicit-def: $vgpr2_vgpr3
	s_cbranch_execnz .LBB210_71
	s_branch .LBB210_72
.LBB210_69:
	s_mov_b32 s11, -1
                                        ; implicit-def: $vgpr2_vgpr3
.LBB210_70:
	s_branch .LBB210_72
.LBB210_71:
	s_cmp_lg_u32 s13, 0
	s_mov_b32 s10, -1
	s_cselect_b32 s11, -1, 0
.LBB210_72:
	v_max_num_f64_e32 v[4:5], v[10:11], v[10:11]
	s_and_not1_b32 vcc_lo, exec_lo, s11
	s_cbranch_vccz .LBB210_82
; %bb.73:
	s_and_not1_b32 vcc_lo, exec_lo, s10
	s_cbranch_vccnz .LBB210_75
.LBB210_74:
	v_max_num_f64_e64 v[2:3], s[4:5], s[4:5]
	s_delay_alu instid0(VALU_DEP_1)
	v_max_num_f64_e32 v[2:3], v[4:5], v[2:3]
.LBB210_75:
	s_delay_alu instid0(VALU_DEP_1)
	v_mov_b64_e32 v[10:11], v[2:3]
.LBB210_76:
	s_or_b32 exec_lo, exec_lo, s3
	v_mov_b32_e32 v12, 0
	s_delay_alu instid0(VALU_DEP_1) | instskip(SKIP_3) | instid1(VALU_DEP_4)
	v_dual_mov_b32 v13, v12 :: v_dual_mov_b32 v14, v12
	v_dual_mov_b32 v15, v12 :: v_dual_mov_b32 v16, v12
	v_mov_b32_e32 v17, v12
	v_mov_b64_e32 v[2:3], v[10:11]
	v_mov_b64_e32 v[4:5], v[12:13]
	s_delay_alu instid0(VALU_DEP_4) | instskip(NEXT) | instid1(VALU_DEP_4)
	v_mov_b64_e32 v[6:7], v[14:15]
	v_mov_b64_e32 v[8:9], v[16:17]
.LBB210_77:
	s_or_b32 exec_lo, exec_lo, s1
	s_delay_alu instid0(SALU_CYCLE_1)
	s_mov_b32 s1, exec_lo
	v_cmpx_gt_i32_e64 s12, v24
	s_cbranch_execz .LBB210_92
; %bb.78:
	s_mov_b32 s3, exec_lo
	s_wait_loadcnt 0x0
	v_cmpx_o_f64_e32 v[22:23], v[22:23]
	s_cbranch_execz .LBB210_91
; %bb.79:
	s_cmp_lt_i32 s13, 1
	s_mov_b32 s10, 0
	s_cbranch_scc1 .LBB210_83
; %bb.80:
	s_cmp_eq_u32 s13, 1
	s_cbranch_scc0 .LBB210_84
; %bb.81:
	v_max_num_f64_e64 v[4:5], s[4:5], s[4:5]
	v_max_num_f64_e32 v[10:11], v[22:23], v[22:23]
	s_mov_b32 s11, 0
	s_delay_alu instid0(VALU_DEP_1)
	v_min_num_f64_e32 v[4:5], v[10:11], v[4:5]
	s_branch .LBB210_85
.LBB210_82:
	v_max_num_f64_e64 v[2:3], s[4:5], s[4:5]
	v_max_num_f64_e64 v[6:7], s[6:7], s[6:7]
	s_delay_alu instid0(VALU_DEP_2) | instskip(NEXT) | instid1(VALU_DEP_1)
	v_max_num_f64_e32 v[2:3], v[4:5], v[2:3]
	v_min_num_f64_e32 v[2:3], v[2:3], v[6:7]
	s_cbranch_execz .LBB210_74
	s_branch .LBB210_75
.LBB210_83:
	s_mov_b32 s11, 0
                                        ; implicit-def: $vgpr4_vgpr5
	s_cbranch_execnz .LBB210_86
	s_branch .LBB210_87
.LBB210_84:
	s_mov_b32 s11, -1
                                        ; implicit-def: $vgpr4_vgpr5
.LBB210_85:
	s_branch .LBB210_87
.LBB210_86:
	s_cmp_lg_u32 s13, 0
	s_mov_b32 s10, -1
	s_cselect_b32 s11, -1, 0
.LBB210_87:
	v_max_num_f64_e32 v[10:11], v[22:23], v[22:23]
	s_and_not1_b32 vcc_lo, exec_lo, s11
	s_cbranch_vccz .LBB210_97
; %bb.88:
	s_and_not1_b32 vcc_lo, exec_lo, s10
	s_cbranch_vccnz .LBB210_90
.LBB210_89:
	v_max_num_f64_e64 v[4:5], s[4:5], s[4:5]
	s_delay_alu instid0(VALU_DEP_1)
	v_max_num_f64_e32 v[4:5], v[10:11], v[4:5]
.LBB210_90:
	s_delay_alu instid0(VALU_DEP_1)
	v_mov_b64_e32 v[22:23], v[4:5]
.LBB210_91:
	s_or_b32 exec_lo, exec_lo, s3
	s_delay_alu instid0(VALU_DEP_1)
	v_dual_mov_b32 v4, v22 :: v_dual_mov_b32 v5, v23
.LBB210_92:
	s_or_b32 exec_lo, exec_lo, s1
	s_wait_loadcnt 0x0
	v_or_b32_e32 v10, 0x200, v0
	s_mov_b32 s1, exec_lo
	s_delay_alu instid0(VALU_DEP_1)
	v_cmpx_gt_i32_e64 s12, v10
	s_cbranch_execz .LBB210_107
; %bb.93:
	s_mov_b32 s3, exec_lo
	v_cmpx_o_f64_e32 v[20:21], v[20:21]
	s_cbranch_execz .LBB210_106
; %bb.94:
	s_cmp_lt_i32 s13, 1
	s_mov_b32 s10, 0
	s_cbranch_scc1 .LBB210_98
; %bb.95:
	s_cmp_eq_u32 s13, 1
	s_cbranch_scc0 .LBB210_99
; %bb.96:
	v_max_num_f64_e64 v[6:7], s[4:5], s[4:5]
	v_max_num_f64_e32 v[10:11], v[20:21], v[20:21]
	s_mov_b32 s11, 0
	s_delay_alu instid0(VALU_DEP_1)
	v_min_num_f64_e32 v[6:7], v[10:11], v[6:7]
	s_branch .LBB210_100
.LBB210_97:
	v_max_num_f64_e64 v[4:5], s[4:5], s[4:5]
	v_max_num_f64_e64 v[12:13], s[6:7], s[6:7]
	s_delay_alu instid0(VALU_DEP_2) | instskip(NEXT) | instid1(VALU_DEP_1)
	v_max_num_f64_e32 v[4:5], v[10:11], v[4:5]
	v_min_num_f64_e32 v[4:5], v[4:5], v[12:13]
	s_cbranch_execz .LBB210_89
	s_branch .LBB210_90
.LBB210_98:
	s_mov_b32 s11, 0
                                        ; implicit-def: $vgpr6_vgpr7
	s_cbranch_execnz .LBB210_101
	s_branch .LBB210_102
.LBB210_99:
	s_mov_b32 s11, -1
                                        ; implicit-def: $vgpr6_vgpr7
.LBB210_100:
	s_branch .LBB210_102
.LBB210_101:
	s_cmp_lg_u32 s13, 0
	s_mov_b32 s10, -1
	s_cselect_b32 s11, -1, 0
.LBB210_102:
	v_max_num_f64_e32 v[10:11], v[20:21], v[20:21]
	s_and_not1_b32 vcc_lo, exec_lo, s11
	s_cbranch_vccz .LBB210_117
; %bb.103:
	s_and_not1_b32 vcc_lo, exec_lo, s10
	s_cbranch_vccnz .LBB210_105
.LBB210_104:
	v_max_num_f64_e64 v[6:7], s[4:5], s[4:5]
	s_delay_alu instid0(VALU_DEP_1)
	v_max_num_f64_e32 v[6:7], v[10:11], v[6:7]
.LBB210_105:
	s_delay_alu instid0(VALU_DEP_1)
	v_mov_b64_e32 v[20:21], v[6:7]
.LBB210_106:
	s_or_b32 exec_lo, exec_lo, s3
	s_delay_alu instid0(VALU_DEP_1)
	v_dual_mov_b32 v6, v20 :: v_dual_mov_b32 v7, v21
.LBB210_107:
	s_or_b32 exec_lo, exec_lo, s1
	v_or_b32_e32 v10, 0x300, v0
	s_mov_b32 s1, exec_lo
	s_delay_alu instid0(VALU_DEP_1)
	v_cmpx_gt_i32_e64 s12, v10
	s_cbranch_execnz .LBB210_113
; %bb.108:
	s_or_b32 exec_lo, exec_lo, s1
	s_and_saveexec_b32 s1, s0
	s_delay_alu instid0(SALU_CYCLE_1)
	s_xor_b32 s0, exec_lo, s1
	s_cbranch_execnz .LBB210_128
.LBB210_109:
	s_or_b32 exec_lo, exec_lo, s0
	s_delay_alu instid0(SALU_CYCLE_1)
	s_mov_b32 s0, exec_lo
	v_cmpx_gt_i32_e64 s12, v0
	s_cbranch_execnz .LBB210_129
.LBB210_110:
	s_or_b32 exec_lo, exec_lo, s0
	s_delay_alu instid0(SALU_CYCLE_1)
	s_mov_b32 s0, exec_lo
	v_cmpx_gt_i32_e64 s12, v0
	s_cbranch_execnz .LBB210_130
.LBB210_111:
	s_or_b32 exec_lo, exec_lo, s0
	s_delay_alu instid0(SALU_CYCLE_1)
	s_mov_b32 s0, exec_lo
	v_cmpx_gt_i32_e64 s12, v0
	s_cbranch_execz .LBB210_131
.LBB210_112:
	v_add_nc_u32_e32 v0, s2, v0
	global_store_b64 v0, v[8:9], s[8:9] scale_offset
	s_endpgm
.LBB210_113:
	s_mov_b32 s3, exec_lo
	v_cmpx_o_f64_e32 v[18:19], v[18:19]
	s_cbranch_execz .LBB210_127
; %bb.114:
	s_cmp_lt_i32 s13, 1
	s_mov_b32 s10, 0
	s_cbranch_scc1 .LBB210_118
; %bb.115:
	s_cmp_eq_u32 s13, 1
	s_cbranch_scc0 .LBB210_119
; %bb.116:
	v_max_num_f64_e64 v[8:9], s[4:5], s[4:5]
	v_max_num_f64_e32 v[10:11], v[18:19], v[18:19]
	s_mov_b32 s11, 0
	s_delay_alu instid0(VALU_DEP_1)
	v_min_num_f64_e32 v[8:9], v[10:11], v[8:9]
	s_branch .LBB210_120
.LBB210_117:
	v_max_num_f64_e64 v[6:7], s[4:5], s[4:5]
	v_max_num_f64_e64 v[12:13], s[6:7], s[6:7]
	s_delay_alu instid0(VALU_DEP_2) | instskip(NEXT) | instid1(VALU_DEP_1)
	v_max_num_f64_e32 v[6:7], v[10:11], v[6:7]
	v_min_num_f64_e32 v[6:7], v[6:7], v[12:13]
	s_cbranch_execz .LBB210_104
	s_branch .LBB210_105
.LBB210_118:
	s_mov_b32 s11, 0
                                        ; implicit-def: $vgpr8_vgpr9
	s_cbranch_execnz .LBB210_121
	s_branch .LBB210_122
.LBB210_119:
	s_mov_b32 s11, -1
                                        ; implicit-def: $vgpr8_vgpr9
.LBB210_120:
	s_branch .LBB210_122
.LBB210_121:
	s_cmp_lg_u32 s13, 0
	s_mov_b32 s10, -1
	s_cselect_b32 s11, -1, 0
.LBB210_122:
	v_max_num_f64_e64 v[12:13], s[4:5], s[4:5]
	v_max_num_f64_e32 v[14:15], v[18:19], v[18:19]
	s_and_not1_b32 vcc_lo, exec_lo, s11
	s_delay_alu instid0(VALU_DEP_1)
	v_max_num_f64_e32 v[10:11], v[14:15], v[12:13]
	s_cbranch_vccnz .LBB210_124
; %bb.123:
	v_max_num_f64_e32 v[8:9], v[14:15], v[12:13]
	v_max_num_f64_e64 v[12:13], s[6:7], s[6:7]
	s_mov_b32 s10, 0
	s_delay_alu instid0(VALU_DEP_1)
	v_min_num_f64_e32 v[8:9], v[8:9], v[12:13]
.LBB210_124:
	s_and_not1_b32 vcc_lo, exec_lo, s10
	s_cbranch_vccnz .LBB210_126
; %bb.125:
	s_delay_alu instid0(VALU_DEP_1)
	v_mov_b64_e32 v[8:9], v[10:11]
.LBB210_126:
	s_delay_alu instid0(VALU_DEP_1)
	v_mov_b64_e32 v[18:19], v[8:9]
.LBB210_127:
	s_or_b32 exec_lo, exec_lo, s3
	s_delay_alu instid0(VALU_DEP_1) | instskip(SKIP_2) | instid1(SALU_CYCLE_1)
	v_dual_mov_b32 v8, v18 :: v_dual_mov_b32 v9, v19
	s_or_b32 exec_lo, exec_lo, s1
	s_and_saveexec_b32 s1, s0
	s_xor_b32 s0, exec_lo, s1
	s_cbranch_execz .LBB210_109
.LBB210_128:
	v_mov_b32_e32 v0, v24
	global_store_b64 v1, v[2:3], s[8:9] scale_offset
	s_wait_xcnt 0x0
	s_or_b32 exec_lo, exec_lo, s0
	s_delay_alu instid0(SALU_CYCLE_1)
	s_mov_b32 s0, exec_lo
	v_cmpx_gt_i32_e64 s12, v0
	s_cbranch_execz .LBB210_110
.LBB210_129:
	v_add_nc_u32_e32 v1, s2, v0
	v_add_nc_u32_e32 v0, 0x100, v0
	global_store_b64 v1, v[4:5], s[8:9] scale_offset
	s_wait_xcnt 0x0
	s_or_b32 exec_lo, exec_lo, s0
	s_delay_alu instid0(SALU_CYCLE_1)
	s_mov_b32 s0, exec_lo
	v_cmpx_gt_i32_e64 s12, v0
	s_cbranch_execz .LBB210_111
.LBB210_130:
	v_add_nc_u32_e32 v1, s2, v0
	v_add_nc_u32_e32 v0, 0x100, v0
	global_store_b64 v1, v[6:7], s[8:9] scale_offset
	s_wait_xcnt 0x0
	s_or_b32 exec_lo, exec_lo, s0
	s_delay_alu instid0(SALU_CYCLE_1)
	s_mov_b32 s0, exec_lo
	v_cmpx_gt_i32_e64 s12, v0
	s_cbranch_execnz .LBB210_112
.LBB210_131:
	s_endpgm
	.section	.rodata,"a",@progbits
	.p2align	6, 0x0
	.amdhsa_kernel _ZN2at6native29vectorized_elementwise_kernelILi4EZZZNS0_12_GLOBAL__N_119launch_clamp_scalarERNS_18TensorIteratorBaseEN3c106ScalarES6_NS0_6detail11ClampLimitsEENKUlvE_clEvENKUlvE4_clEvEUldE_St5arrayIPcLm2EEEEviT0_T1_
		.amdhsa_group_segment_fixed_size 0
		.amdhsa_private_segment_fixed_size 0
		.amdhsa_kernarg_size 48
		.amdhsa_user_sgpr_count 2
		.amdhsa_user_sgpr_dispatch_ptr 0
		.amdhsa_user_sgpr_queue_ptr 0
		.amdhsa_user_sgpr_kernarg_segment_ptr 1
		.amdhsa_user_sgpr_dispatch_id 0
		.amdhsa_user_sgpr_kernarg_preload_length 0
		.amdhsa_user_sgpr_kernarg_preload_offset 0
		.amdhsa_user_sgpr_private_segment_size 0
		.amdhsa_wavefront_size32 1
		.amdhsa_uses_dynamic_stack 0
		.amdhsa_enable_private_segment 0
		.amdhsa_system_sgpr_workgroup_id_x 1
		.amdhsa_system_sgpr_workgroup_id_y 0
		.amdhsa_system_sgpr_workgroup_id_z 0
		.amdhsa_system_sgpr_workgroup_info 0
		.amdhsa_system_vgpr_workitem_id 0
		.amdhsa_next_free_vgpr 25
		.amdhsa_next_free_sgpr 16
		.amdhsa_named_barrier_count 0
		.amdhsa_reserve_vcc 1
		.amdhsa_float_round_mode_32 0
		.amdhsa_float_round_mode_16_64 0
		.amdhsa_float_denorm_mode_32 3
		.amdhsa_float_denorm_mode_16_64 3
		.amdhsa_fp16_overflow 0
		.amdhsa_memory_ordered 1
		.amdhsa_forward_progress 1
		.amdhsa_inst_pref_size 19
		.amdhsa_round_robin_scheduling 0
		.amdhsa_exception_fp_ieee_invalid_op 0
		.amdhsa_exception_fp_denorm_src 0
		.amdhsa_exception_fp_ieee_div_zero 0
		.amdhsa_exception_fp_ieee_overflow 0
		.amdhsa_exception_fp_ieee_underflow 0
		.amdhsa_exception_fp_ieee_inexact 0
		.amdhsa_exception_int_div_zero 0
	.end_amdhsa_kernel
	.section	.text._ZN2at6native29vectorized_elementwise_kernelILi4EZZZNS0_12_GLOBAL__N_119launch_clamp_scalarERNS_18TensorIteratorBaseEN3c106ScalarES6_NS0_6detail11ClampLimitsEENKUlvE_clEvENKUlvE4_clEvEUldE_St5arrayIPcLm2EEEEviT0_T1_,"axG",@progbits,_ZN2at6native29vectorized_elementwise_kernelILi4EZZZNS0_12_GLOBAL__N_119launch_clamp_scalarERNS_18TensorIteratorBaseEN3c106ScalarES6_NS0_6detail11ClampLimitsEENKUlvE_clEvENKUlvE4_clEvEUldE_St5arrayIPcLm2EEEEviT0_T1_,comdat
.Lfunc_end210:
	.size	_ZN2at6native29vectorized_elementwise_kernelILi4EZZZNS0_12_GLOBAL__N_119launch_clamp_scalarERNS_18TensorIteratorBaseEN3c106ScalarES6_NS0_6detail11ClampLimitsEENKUlvE_clEvENKUlvE4_clEvEUldE_St5arrayIPcLm2EEEEviT0_T1_, .Lfunc_end210-_ZN2at6native29vectorized_elementwise_kernelILi4EZZZNS0_12_GLOBAL__N_119launch_clamp_scalarERNS_18TensorIteratorBaseEN3c106ScalarES6_NS0_6detail11ClampLimitsEENKUlvE_clEvENKUlvE4_clEvEUldE_St5arrayIPcLm2EEEEviT0_T1_
                                        ; -- End function
	.set _ZN2at6native29vectorized_elementwise_kernelILi4EZZZNS0_12_GLOBAL__N_119launch_clamp_scalarERNS_18TensorIteratorBaseEN3c106ScalarES6_NS0_6detail11ClampLimitsEENKUlvE_clEvENKUlvE4_clEvEUldE_St5arrayIPcLm2EEEEviT0_T1_.num_vgpr, 25
	.set _ZN2at6native29vectorized_elementwise_kernelILi4EZZZNS0_12_GLOBAL__N_119launch_clamp_scalarERNS_18TensorIteratorBaseEN3c106ScalarES6_NS0_6detail11ClampLimitsEENKUlvE_clEvENKUlvE4_clEvEUldE_St5arrayIPcLm2EEEEviT0_T1_.num_agpr, 0
	.set _ZN2at6native29vectorized_elementwise_kernelILi4EZZZNS0_12_GLOBAL__N_119launch_clamp_scalarERNS_18TensorIteratorBaseEN3c106ScalarES6_NS0_6detail11ClampLimitsEENKUlvE_clEvENKUlvE4_clEvEUldE_St5arrayIPcLm2EEEEviT0_T1_.numbered_sgpr, 16
	.set _ZN2at6native29vectorized_elementwise_kernelILi4EZZZNS0_12_GLOBAL__N_119launch_clamp_scalarERNS_18TensorIteratorBaseEN3c106ScalarES6_NS0_6detail11ClampLimitsEENKUlvE_clEvENKUlvE4_clEvEUldE_St5arrayIPcLm2EEEEviT0_T1_.num_named_barrier, 0
	.set _ZN2at6native29vectorized_elementwise_kernelILi4EZZZNS0_12_GLOBAL__N_119launch_clamp_scalarERNS_18TensorIteratorBaseEN3c106ScalarES6_NS0_6detail11ClampLimitsEENKUlvE_clEvENKUlvE4_clEvEUldE_St5arrayIPcLm2EEEEviT0_T1_.private_seg_size, 0
	.set _ZN2at6native29vectorized_elementwise_kernelILi4EZZZNS0_12_GLOBAL__N_119launch_clamp_scalarERNS_18TensorIteratorBaseEN3c106ScalarES6_NS0_6detail11ClampLimitsEENKUlvE_clEvENKUlvE4_clEvEUldE_St5arrayIPcLm2EEEEviT0_T1_.uses_vcc, 1
	.set _ZN2at6native29vectorized_elementwise_kernelILi4EZZZNS0_12_GLOBAL__N_119launch_clamp_scalarERNS_18TensorIteratorBaseEN3c106ScalarES6_NS0_6detail11ClampLimitsEENKUlvE_clEvENKUlvE4_clEvEUldE_St5arrayIPcLm2EEEEviT0_T1_.uses_flat_scratch, 0
	.set _ZN2at6native29vectorized_elementwise_kernelILi4EZZZNS0_12_GLOBAL__N_119launch_clamp_scalarERNS_18TensorIteratorBaseEN3c106ScalarES6_NS0_6detail11ClampLimitsEENKUlvE_clEvENKUlvE4_clEvEUldE_St5arrayIPcLm2EEEEviT0_T1_.has_dyn_sized_stack, 0
	.set _ZN2at6native29vectorized_elementwise_kernelILi4EZZZNS0_12_GLOBAL__N_119launch_clamp_scalarERNS_18TensorIteratorBaseEN3c106ScalarES6_NS0_6detail11ClampLimitsEENKUlvE_clEvENKUlvE4_clEvEUldE_St5arrayIPcLm2EEEEviT0_T1_.has_recursion, 0
	.set _ZN2at6native29vectorized_elementwise_kernelILi4EZZZNS0_12_GLOBAL__N_119launch_clamp_scalarERNS_18TensorIteratorBaseEN3c106ScalarES6_NS0_6detail11ClampLimitsEENKUlvE_clEvENKUlvE4_clEvEUldE_St5arrayIPcLm2EEEEviT0_T1_.has_indirect_call, 0
	.section	.AMDGPU.csdata,"",@progbits
; Kernel info:
; codeLenInByte = 2356
; TotalNumSgprs: 18
; NumVgprs: 25
; ScratchSize: 0
; MemoryBound: 1
; FloatMode: 240
; IeeeMode: 1
; LDSByteSize: 0 bytes/workgroup (compile time only)
; SGPRBlocks: 0
; VGPRBlocks: 1
; NumSGPRsForWavesPerEU: 18
; NumVGPRsForWavesPerEU: 25
; NamedBarCnt: 0
; Occupancy: 16
; WaveLimiterHint : 0
; COMPUTE_PGM_RSRC2:SCRATCH_EN: 0
; COMPUTE_PGM_RSRC2:USER_SGPR: 2
; COMPUTE_PGM_RSRC2:TRAP_HANDLER: 0
; COMPUTE_PGM_RSRC2:TGID_X_EN: 1
; COMPUTE_PGM_RSRC2:TGID_Y_EN: 0
; COMPUTE_PGM_RSRC2:TGID_Z_EN: 0
; COMPUTE_PGM_RSRC2:TIDIG_COMP_CNT: 0
	.section	.text._ZN2at6native29vectorized_elementwise_kernelILi2EZZZNS0_12_GLOBAL__N_119launch_clamp_scalarERNS_18TensorIteratorBaseEN3c106ScalarES6_NS0_6detail11ClampLimitsEENKUlvE_clEvENKUlvE4_clEvEUldE_St5arrayIPcLm2EEEEviT0_T1_,"axG",@progbits,_ZN2at6native29vectorized_elementwise_kernelILi2EZZZNS0_12_GLOBAL__N_119launch_clamp_scalarERNS_18TensorIteratorBaseEN3c106ScalarES6_NS0_6detail11ClampLimitsEENKUlvE_clEvENKUlvE4_clEvEUldE_St5arrayIPcLm2EEEEviT0_T1_,comdat
	.globl	_ZN2at6native29vectorized_elementwise_kernelILi2EZZZNS0_12_GLOBAL__N_119launch_clamp_scalarERNS_18TensorIteratorBaseEN3c106ScalarES6_NS0_6detail11ClampLimitsEENKUlvE_clEvENKUlvE4_clEvEUldE_St5arrayIPcLm2EEEEviT0_T1_ ; -- Begin function _ZN2at6native29vectorized_elementwise_kernelILi2EZZZNS0_12_GLOBAL__N_119launch_clamp_scalarERNS_18TensorIteratorBaseEN3c106ScalarES6_NS0_6detail11ClampLimitsEENKUlvE_clEvENKUlvE4_clEvEUldE_St5arrayIPcLm2EEEEviT0_T1_
	.p2align	8
	.type	_ZN2at6native29vectorized_elementwise_kernelILi2EZZZNS0_12_GLOBAL__N_119launch_clamp_scalarERNS_18TensorIteratorBaseEN3c106ScalarES6_NS0_6detail11ClampLimitsEENKUlvE_clEvENKUlvE4_clEvEUldE_St5arrayIPcLm2EEEEviT0_T1_,@function
_ZN2at6native29vectorized_elementwise_kernelILi2EZZZNS0_12_GLOBAL__N_119launch_clamp_scalarERNS_18TensorIteratorBaseEN3c106ScalarES6_NS0_6detail11ClampLimitsEENKUlvE_clEvENKUlvE4_clEvEUldE_St5arrayIPcLm2EEEEviT0_T1_: ; @_ZN2at6native29vectorized_elementwise_kernelILi2EZZZNS0_12_GLOBAL__N_119launch_clamp_scalarERNS_18TensorIteratorBaseEN3c106ScalarES6_NS0_6detail11ClampLimitsEENKUlvE_clEvENKUlvE4_clEvEUldE_St5arrayIPcLm2EEEEviT0_T1_
; %bb.0:
	s_clause 0x2
	s_load_b32 s3, s[0:1], 0x0
	s_load_b32 s13, s[0:1], 0x8
	s_load_b256 s[4:11], s[0:1], 0x10
	s_wait_xcnt 0x0
	s_bfe_u32 s0, ttmp6, 0x4000c
	s_and_b32 s1, ttmp6, 15
	s_add_co_i32 s0, s0, 1
	s_getreg_b32 s2, hwreg(HW_REG_IB_STS2, 6, 4)
	s_mul_i32 s0, ttmp9, s0
	s_delay_alu instid0(SALU_CYCLE_1) | instskip(SKIP_2) | instid1(SALU_CYCLE_1)
	s_add_co_i32 s1, s1, s0
	s_cmp_eq_u32 s2, 0
	s_cselect_b32 s0, ttmp9, s1
	s_lshl_b32 s2, s0, 10
	s_mov_b32 s0, -1
	s_wait_kmcnt 0x0
	s_sub_co_i32 s12, s3, s2
	s_delay_alu instid0(SALU_CYCLE_1)
	s_cmp_gt_i32 s12, 0x3ff
	s_cbranch_scc0 .LBB211_53
; %bb.1:
	s_ashr_i32 s3, s2, 31
	s_delay_alu instid0(SALU_CYCLE_1)
	s_lshl_b64 s[0:1], s[2:3], 3
	s_mov_b32 s3, exec_lo
	s_add_nc_u64 s[14:15], s[10:11], s[0:1]
	s_clause 0x1
	global_load_b128 v[2:5], v0, s[14:15] scale_offset
	global_load_b128 v[6:9], v0, s[14:15] offset:4096 scale_offset
	s_wait_loadcnt 0x1
	s_wait_xcnt 0x0
	v_cmpx_o_f64_e32 v[2:3], v[2:3]
	s_cbranch_execz .LBB211_13
; %bb.2:
	s_cmp_lt_i32 s13, 1
	s_mov_b32 s14, 0
	s_cbranch_scc1 .LBB211_5
; %bb.3:
	s_cmp_eq_u32 s13, 1
	s_cbranch_scc0 .LBB211_6
; %bb.4:
	v_max_num_f64_e64 v[10:11], s[4:5], s[4:5]
	v_max_num_f64_e32 v[12:13], v[2:3], v[2:3]
	s_mov_b32 s15, 0
	s_delay_alu instid0(VALU_DEP_1)
	v_min_num_f64_e32 v[10:11], v[12:13], v[10:11]
	s_branch .LBB211_7
.LBB211_5:
	s_mov_b32 s15, 0
                                        ; implicit-def: $vgpr10_vgpr11
	s_cbranch_execnz .LBB211_8
	s_branch .LBB211_9
.LBB211_6:
	s_mov_b32 s15, -1
                                        ; implicit-def: $vgpr10_vgpr11
.LBB211_7:
	s_branch .LBB211_9
.LBB211_8:
	s_cmp_lg_u32 s13, 0
	s_mov_b32 s14, -1
	s_cselect_b32 s15, -1, 0
.LBB211_9:
	v_max_num_f64_e32 v[2:3], v[2:3], v[2:3]
	s_and_not1_b32 vcc_lo, exec_lo, s15
	s_cbranch_vccz .LBB211_17
; %bb.10:
	s_and_not1_b32 vcc_lo, exec_lo, s14
	s_cbranch_vccnz .LBB211_12
.LBB211_11:
	v_max_num_f64_e64 v[10:11], s[4:5], s[4:5]
	s_delay_alu instid0(VALU_DEP_1)
	v_max_num_f64_e32 v[10:11], v[2:3], v[10:11]
.LBB211_12:
	s_delay_alu instid0(VALU_DEP_1)
	v_mov_b64_e32 v[2:3], v[10:11]
.LBB211_13:
	s_or_b32 exec_lo, exec_lo, s3
	s_delay_alu instid0(SALU_CYCLE_1)
	s_mov_b32 s3, exec_lo
	v_cmpx_o_f64_e32 v[4:5], v[4:5]
	s_cbranch_execz .LBB211_26
; %bb.14:
	s_cmp_lt_i32 s13, 1
	s_mov_b32 s14, 0
	s_cbranch_scc1 .LBB211_18
; %bb.15:
	s_cmp_eq_u32 s13, 1
	s_cbranch_scc0 .LBB211_19
; %bb.16:
	v_max_num_f64_e64 v[10:11], s[4:5], s[4:5]
	v_max_num_f64_e32 v[12:13], v[4:5], v[4:5]
	s_mov_b32 s15, 0
	s_delay_alu instid0(VALU_DEP_1)
	v_min_num_f64_e32 v[10:11], v[12:13], v[10:11]
	s_branch .LBB211_20
.LBB211_17:
	v_max_num_f64_e64 v[10:11], s[4:5], s[4:5]
	v_max_num_f64_e64 v[12:13], s[6:7], s[6:7]
	s_delay_alu instid0(VALU_DEP_2) | instskip(NEXT) | instid1(VALU_DEP_1)
	v_max_num_f64_e32 v[10:11], v[2:3], v[10:11]
	v_min_num_f64_e32 v[10:11], v[10:11], v[12:13]
	s_cbranch_execz .LBB211_11
	s_branch .LBB211_12
.LBB211_18:
	s_mov_b32 s15, 0
                                        ; implicit-def: $vgpr10_vgpr11
	s_cbranch_execnz .LBB211_21
	s_branch .LBB211_22
.LBB211_19:
	s_mov_b32 s15, -1
                                        ; implicit-def: $vgpr10_vgpr11
.LBB211_20:
	s_branch .LBB211_22
.LBB211_21:
	s_cmp_lg_u32 s13, 0
	s_mov_b32 s14, -1
	s_cselect_b32 s15, -1, 0
.LBB211_22:
	v_max_num_f64_e32 v[4:5], v[4:5], v[4:5]
	s_and_not1_b32 vcc_lo, exec_lo, s15
	s_cbranch_vccz .LBB211_30
; %bb.23:
	s_and_not1_b32 vcc_lo, exec_lo, s14
	s_cbranch_vccnz .LBB211_25
.LBB211_24:
	v_max_num_f64_e64 v[10:11], s[4:5], s[4:5]
	s_delay_alu instid0(VALU_DEP_1)
	v_max_num_f64_e32 v[10:11], v[4:5], v[10:11]
.LBB211_25:
	s_delay_alu instid0(VALU_DEP_1)
	v_mov_b64_e32 v[4:5], v[10:11]
.LBB211_26:
	s_or_b32 exec_lo, exec_lo, s3
	s_delay_alu instid0(SALU_CYCLE_1)
	s_mov_b32 s3, exec_lo
	s_wait_loadcnt 0x0
	v_cmpx_o_f64_e32 v[6:7], v[6:7]
	s_cbranch_execz .LBB211_39
; %bb.27:
	s_cmp_lt_i32 s13, 1
	s_mov_b32 s14, 0
	s_cbranch_scc1 .LBB211_31
; %bb.28:
	s_cmp_eq_u32 s13, 1
	s_cbranch_scc0 .LBB211_32
; %bb.29:
	v_max_num_f64_e64 v[10:11], s[4:5], s[4:5]
	v_max_num_f64_e32 v[12:13], v[6:7], v[6:7]
	s_mov_b32 s15, 0
	s_delay_alu instid0(VALU_DEP_1)
	v_min_num_f64_e32 v[10:11], v[12:13], v[10:11]
	s_branch .LBB211_33
.LBB211_30:
	v_max_num_f64_e64 v[10:11], s[4:5], s[4:5]
	v_max_num_f64_e64 v[12:13], s[6:7], s[6:7]
	s_delay_alu instid0(VALU_DEP_2) | instskip(NEXT) | instid1(VALU_DEP_1)
	v_max_num_f64_e32 v[10:11], v[4:5], v[10:11]
	v_min_num_f64_e32 v[10:11], v[10:11], v[12:13]
	s_cbranch_execz .LBB211_24
	s_branch .LBB211_25
.LBB211_31:
	s_mov_b32 s15, 0
                                        ; implicit-def: $vgpr10_vgpr11
	s_cbranch_execnz .LBB211_34
	s_branch .LBB211_35
.LBB211_32:
	s_mov_b32 s15, -1
                                        ; implicit-def: $vgpr10_vgpr11
.LBB211_33:
	s_branch .LBB211_35
.LBB211_34:
	s_cmp_lg_u32 s13, 0
	s_mov_b32 s14, -1
	s_cselect_b32 s15, -1, 0
.LBB211_35:
	v_max_num_f64_e32 v[6:7], v[6:7], v[6:7]
	s_and_not1_b32 vcc_lo, exec_lo, s15
	s_cbranch_vccz .LBB211_43
; %bb.36:
	s_and_not1_b32 vcc_lo, exec_lo, s14
	s_cbranch_vccnz .LBB211_38
.LBB211_37:
	v_max_num_f64_e64 v[10:11], s[4:5], s[4:5]
	s_delay_alu instid0(VALU_DEP_1)
	v_max_num_f64_e32 v[10:11], v[6:7], v[10:11]
.LBB211_38:
	s_delay_alu instid0(VALU_DEP_1)
	v_mov_b64_e32 v[6:7], v[10:11]
.LBB211_39:
	s_or_b32 exec_lo, exec_lo, s3
	s_delay_alu instid0(SALU_CYCLE_1)
	s_mov_b32 s3, exec_lo
	v_cmpx_o_f64_e32 v[8:9], v[8:9]
	s_cbranch_execz .LBB211_52
; %bb.40:
	s_cmp_lt_i32 s13, 1
	s_mov_b32 s14, 0
	s_cbranch_scc1 .LBB211_44
; %bb.41:
	s_cmp_eq_u32 s13, 1
	s_cbranch_scc0 .LBB211_45
; %bb.42:
	v_max_num_f64_e64 v[10:11], s[4:5], s[4:5]
	v_max_num_f64_e32 v[12:13], v[8:9], v[8:9]
	s_mov_b32 s15, 0
	s_delay_alu instid0(VALU_DEP_1)
	v_min_num_f64_e32 v[10:11], v[12:13], v[10:11]
	s_branch .LBB211_46
.LBB211_43:
	v_max_num_f64_e64 v[10:11], s[4:5], s[4:5]
	v_max_num_f64_e64 v[12:13], s[6:7], s[6:7]
	s_delay_alu instid0(VALU_DEP_2) | instskip(NEXT) | instid1(VALU_DEP_1)
	v_max_num_f64_e32 v[10:11], v[6:7], v[10:11]
	v_min_num_f64_e32 v[10:11], v[10:11], v[12:13]
	s_cbranch_execz .LBB211_37
	s_branch .LBB211_38
.LBB211_44:
	s_mov_b32 s15, 0
                                        ; implicit-def: $vgpr10_vgpr11
	s_cbranch_execnz .LBB211_47
	s_branch .LBB211_48
.LBB211_45:
	s_mov_b32 s15, -1
                                        ; implicit-def: $vgpr10_vgpr11
.LBB211_46:
	s_branch .LBB211_48
.LBB211_47:
	s_cmp_lg_u32 s13, 0
	s_mov_b32 s14, -1
	s_cselect_b32 s15, -1, 0
.LBB211_48:
	v_max_num_f64_e32 v[8:9], v[8:9], v[8:9]
	s_and_not1_b32 vcc_lo, exec_lo, s15
	s_cbranch_vccz .LBB211_67
; %bb.49:
	s_and_not1_b32 vcc_lo, exec_lo, s14
	s_cbranch_vccnz .LBB211_51
.LBB211_50:
	v_max_num_f64_e64 v[10:11], s[4:5], s[4:5]
	s_delay_alu instid0(VALU_DEP_1)
	v_max_num_f64_e32 v[10:11], v[8:9], v[10:11]
.LBB211_51:
	s_delay_alu instid0(VALU_DEP_1)
	v_mov_b64_e32 v[8:9], v[10:11]
.LBB211_52:
	s_or_b32 exec_lo, exec_lo, s3
	s_add_nc_u64 s[14:15], s[8:9], s[0:1]
	s_mov_b32 s0, 0
	s_clause 0x1
	global_store_b128 v0, v[2:5], s[14:15] scale_offset
	global_store_b128 v0, v[6:9], s[14:15] offset:4096 scale_offset
.LBB211_53:
	s_and_b32 vcc_lo, exec_lo, s0
	s_cbranch_vccz .LBB211_131
; %bb.54:
	v_mov_b64_e32 v[22:23], 0
	v_mov_b64_e32 v[10:11], 0
	v_cmp_gt_i32_e64 s0, s12, v0
	s_wait_xcnt 0x1
	v_dual_mov_b32 v2, v0 :: v_dual_bitop2_b32 v1, s2, v0 bitop3:0x54
	v_or_b32_e32 v24, 0x100, v0
	s_wait_xcnt 0x0
	s_and_saveexec_b32 s1, s0
	s_cbranch_execz .LBB211_56
; %bb.55:
	global_load_b64 v[10:11], v1, s[10:11] scale_offset
	v_or_b32_e32 v2, 0x100, v0
.LBB211_56:
	s_wait_xcnt 0x0
	s_or_b32 exec_lo, exec_lo, s1
	s_delay_alu instid0(SALU_CYCLE_1) | instskip(NEXT) | instid1(VALU_DEP_1)
	s_mov_b32 s1, exec_lo
	v_cmpx_gt_i32_e64 s12, v2
	s_cbranch_execz .LBB211_58
; %bb.57:
	v_add_nc_u32_e32 v3, s2, v2
	v_add_nc_u32_e32 v2, 0x100, v2
	global_load_b64 v[22:23], v3, s[10:11] scale_offset
.LBB211_58:
	s_wait_xcnt 0x0
	s_or_b32 exec_lo, exec_lo, s1
	v_mov_b64_e32 v[18:19], 0
	v_mov_b64_e32 v[20:21], 0
	s_mov_b32 s1, exec_lo
	v_cmpx_gt_i32_e64 s12, v2
	s_cbranch_execz .LBB211_60
; %bb.59:
	v_add_nc_u32_e32 v3, s2, v2
	v_add_nc_u32_e32 v2, 0x100, v2
	global_load_b64 v[20:21], v3, s[10:11] scale_offset
.LBB211_60:
	s_wait_xcnt 0x0
	s_or_b32 exec_lo, exec_lo, s1
	s_delay_alu instid0(SALU_CYCLE_1)
	s_mov_b32 s1, exec_lo
	v_cmpx_gt_i32_e64 s12, v2
	s_cbranch_execz .LBB211_62
; %bb.61:
	v_add_nc_u32_e32 v2, s2, v2
	global_load_b64 v[18:19], v2, s[10:11] scale_offset
.LBB211_62:
	s_wait_xcnt 0x0
	s_or_b32 exec_lo, exec_lo, s1
	v_mov_b32_e32 v2, 0
	s_delay_alu instid0(VALU_DEP_1)
	v_dual_mov_b32 v3, v2 :: v_dual_mov_b32 v4, v2
	v_dual_mov_b32 v5, v2 :: v_dual_mov_b32 v6, v2
	;; [unrolled: 1-line block ×3, first 2 shown]
	v_mov_b32_e32 v9, v2
	s_and_saveexec_b32 s1, s0
	s_cbranch_execz .LBB211_77
; %bb.63:
	s_mov_b32 s3, exec_lo
	s_wait_loadcnt 0x0
	v_cmpx_o_f64_e32 v[10:11], v[10:11]
	s_cbranch_execz .LBB211_76
; %bb.64:
	s_cmp_lt_i32 s13, 1
	s_mov_b32 s10, 0
	s_cbranch_scc1 .LBB211_68
; %bb.65:
	s_cmp_eq_u32 s13, 1
	s_cbranch_scc0 .LBB211_69
; %bb.66:
	v_max_num_f64_e64 v[2:3], s[4:5], s[4:5]
	v_max_num_f64_e32 v[4:5], v[10:11], v[10:11]
	s_mov_b32 s11, 0
	s_delay_alu instid0(VALU_DEP_1)
	v_min_num_f64_e32 v[2:3], v[4:5], v[2:3]
	s_branch .LBB211_70
.LBB211_67:
	v_max_num_f64_e64 v[10:11], s[4:5], s[4:5]
	v_max_num_f64_e64 v[12:13], s[6:7], s[6:7]
	s_delay_alu instid0(VALU_DEP_2) | instskip(NEXT) | instid1(VALU_DEP_1)
	v_max_num_f64_e32 v[10:11], v[8:9], v[10:11]
	v_min_num_f64_e32 v[10:11], v[10:11], v[12:13]
	s_cbranch_execz .LBB211_50
	s_branch .LBB211_51
.LBB211_68:
	s_mov_b32 s11, 0
                                        ; implicit-def: $vgpr2_vgpr3
	s_cbranch_execnz .LBB211_71
	s_branch .LBB211_72
.LBB211_69:
	s_mov_b32 s11, -1
                                        ; implicit-def: $vgpr2_vgpr3
.LBB211_70:
	s_branch .LBB211_72
.LBB211_71:
	s_cmp_lg_u32 s13, 0
	s_mov_b32 s10, -1
	s_cselect_b32 s11, -1, 0
.LBB211_72:
	v_max_num_f64_e32 v[4:5], v[10:11], v[10:11]
	s_and_not1_b32 vcc_lo, exec_lo, s11
	s_cbranch_vccz .LBB211_82
; %bb.73:
	s_and_not1_b32 vcc_lo, exec_lo, s10
	s_cbranch_vccnz .LBB211_75
.LBB211_74:
	v_max_num_f64_e64 v[2:3], s[4:5], s[4:5]
	s_delay_alu instid0(VALU_DEP_1)
	v_max_num_f64_e32 v[2:3], v[4:5], v[2:3]
.LBB211_75:
	s_delay_alu instid0(VALU_DEP_1)
	v_mov_b64_e32 v[10:11], v[2:3]
.LBB211_76:
	s_or_b32 exec_lo, exec_lo, s3
	v_mov_b32_e32 v12, 0
	s_delay_alu instid0(VALU_DEP_1) | instskip(SKIP_3) | instid1(VALU_DEP_4)
	v_dual_mov_b32 v13, v12 :: v_dual_mov_b32 v14, v12
	v_dual_mov_b32 v15, v12 :: v_dual_mov_b32 v16, v12
	v_mov_b32_e32 v17, v12
	v_mov_b64_e32 v[2:3], v[10:11]
	v_mov_b64_e32 v[4:5], v[12:13]
	s_delay_alu instid0(VALU_DEP_4) | instskip(NEXT) | instid1(VALU_DEP_4)
	v_mov_b64_e32 v[6:7], v[14:15]
	v_mov_b64_e32 v[8:9], v[16:17]
.LBB211_77:
	s_or_b32 exec_lo, exec_lo, s1
	s_delay_alu instid0(SALU_CYCLE_1)
	s_mov_b32 s1, exec_lo
	v_cmpx_gt_i32_e64 s12, v24
	s_cbranch_execz .LBB211_92
; %bb.78:
	s_mov_b32 s3, exec_lo
	s_wait_loadcnt 0x0
	v_cmpx_o_f64_e32 v[22:23], v[22:23]
	s_cbranch_execz .LBB211_91
; %bb.79:
	s_cmp_lt_i32 s13, 1
	s_mov_b32 s10, 0
	s_cbranch_scc1 .LBB211_83
; %bb.80:
	s_cmp_eq_u32 s13, 1
	s_cbranch_scc0 .LBB211_84
; %bb.81:
	v_max_num_f64_e64 v[4:5], s[4:5], s[4:5]
	v_max_num_f64_e32 v[10:11], v[22:23], v[22:23]
	s_mov_b32 s11, 0
	s_delay_alu instid0(VALU_DEP_1)
	v_min_num_f64_e32 v[4:5], v[10:11], v[4:5]
	s_branch .LBB211_85
.LBB211_82:
	v_max_num_f64_e64 v[2:3], s[4:5], s[4:5]
	v_max_num_f64_e64 v[6:7], s[6:7], s[6:7]
	s_delay_alu instid0(VALU_DEP_2) | instskip(NEXT) | instid1(VALU_DEP_1)
	v_max_num_f64_e32 v[2:3], v[4:5], v[2:3]
	v_min_num_f64_e32 v[2:3], v[2:3], v[6:7]
	s_cbranch_execz .LBB211_74
	s_branch .LBB211_75
.LBB211_83:
	s_mov_b32 s11, 0
                                        ; implicit-def: $vgpr4_vgpr5
	s_cbranch_execnz .LBB211_86
	s_branch .LBB211_87
.LBB211_84:
	s_mov_b32 s11, -1
                                        ; implicit-def: $vgpr4_vgpr5
.LBB211_85:
	s_branch .LBB211_87
.LBB211_86:
	s_cmp_lg_u32 s13, 0
	s_mov_b32 s10, -1
	s_cselect_b32 s11, -1, 0
.LBB211_87:
	v_max_num_f64_e32 v[10:11], v[22:23], v[22:23]
	s_and_not1_b32 vcc_lo, exec_lo, s11
	s_cbranch_vccz .LBB211_97
; %bb.88:
	s_and_not1_b32 vcc_lo, exec_lo, s10
	s_cbranch_vccnz .LBB211_90
.LBB211_89:
	v_max_num_f64_e64 v[4:5], s[4:5], s[4:5]
	s_delay_alu instid0(VALU_DEP_1)
	v_max_num_f64_e32 v[4:5], v[10:11], v[4:5]
.LBB211_90:
	s_delay_alu instid0(VALU_DEP_1)
	v_mov_b64_e32 v[22:23], v[4:5]
.LBB211_91:
	s_or_b32 exec_lo, exec_lo, s3
	s_delay_alu instid0(VALU_DEP_1)
	v_dual_mov_b32 v4, v22 :: v_dual_mov_b32 v5, v23
.LBB211_92:
	s_or_b32 exec_lo, exec_lo, s1
	s_wait_loadcnt 0x0
	v_or_b32_e32 v10, 0x200, v0
	s_mov_b32 s1, exec_lo
	s_delay_alu instid0(VALU_DEP_1)
	v_cmpx_gt_i32_e64 s12, v10
	s_cbranch_execz .LBB211_107
; %bb.93:
	s_mov_b32 s3, exec_lo
	v_cmpx_o_f64_e32 v[20:21], v[20:21]
	s_cbranch_execz .LBB211_106
; %bb.94:
	s_cmp_lt_i32 s13, 1
	s_mov_b32 s10, 0
	s_cbranch_scc1 .LBB211_98
; %bb.95:
	s_cmp_eq_u32 s13, 1
	s_cbranch_scc0 .LBB211_99
; %bb.96:
	v_max_num_f64_e64 v[6:7], s[4:5], s[4:5]
	v_max_num_f64_e32 v[10:11], v[20:21], v[20:21]
	s_mov_b32 s11, 0
	s_delay_alu instid0(VALU_DEP_1)
	v_min_num_f64_e32 v[6:7], v[10:11], v[6:7]
	s_branch .LBB211_100
.LBB211_97:
	v_max_num_f64_e64 v[4:5], s[4:5], s[4:5]
	v_max_num_f64_e64 v[12:13], s[6:7], s[6:7]
	s_delay_alu instid0(VALU_DEP_2) | instskip(NEXT) | instid1(VALU_DEP_1)
	v_max_num_f64_e32 v[4:5], v[10:11], v[4:5]
	v_min_num_f64_e32 v[4:5], v[4:5], v[12:13]
	s_cbranch_execz .LBB211_89
	s_branch .LBB211_90
.LBB211_98:
	s_mov_b32 s11, 0
                                        ; implicit-def: $vgpr6_vgpr7
	s_cbranch_execnz .LBB211_101
	s_branch .LBB211_102
.LBB211_99:
	s_mov_b32 s11, -1
                                        ; implicit-def: $vgpr6_vgpr7
.LBB211_100:
	s_branch .LBB211_102
.LBB211_101:
	s_cmp_lg_u32 s13, 0
	s_mov_b32 s10, -1
	s_cselect_b32 s11, -1, 0
.LBB211_102:
	v_max_num_f64_e32 v[10:11], v[20:21], v[20:21]
	s_and_not1_b32 vcc_lo, exec_lo, s11
	s_cbranch_vccz .LBB211_117
; %bb.103:
	s_and_not1_b32 vcc_lo, exec_lo, s10
	s_cbranch_vccnz .LBB211_105
.LBB211_104:
	v_max_num_f64_e64 v[6:7], s[4:5], s[4:5]
	s_delay_alu instid0(VALU_DEP_1)
	v_max_num_f64_e32 v[6:7], v[10:11], v[6:7]
.LBB211_105:
	s_delay_alu instid0(VALU_DEP_1)
	v_mov_b64_e32 v[20:21], v[6:7]
.LBB211_106:
	s_or_b32 exec_lo, exec_lo, s3
	s_delay_alu instid0(VALU_DEP_1)
	v_dual_mov_b32 v6, v20 :: v_dual_mov_b32 v7, v21
.LBB211_107:
	s_or_b32 exec_lo, exec_lo, s1
	v_or_b32_e32 v10, 0x300, v0
	s_mov_b32 s1, exec_lo
	s_delay_alu instid0(VALU_DEP_1)
	v_cmpx_gt_i32_e64 s12, v10
	s_cbranch_execnz .LBB211_113
; %bb.108:
	s_or_b32 exec_lo, exec_lo, s1
	s_and_saveexec_b32 s1, s0
	s_delay_alu instid0(SALU_CYCLE_1)
	s_xor_b32 s0, exec_lo, s1
	s_cbranch_execnz .LBB211_128
.LBB211_109:
	s_or_b32 exec_lo, exec_lo, s0
	s_delay_alu instid0(SALU_CYCLE_1)
	s_mov_b32 s0, exec_lo
	v_cmpx_gt_i32_e64 s12, v0
	s_cbranch_execnz .LBB211_129
.LBB211_110:
	s_or_b32 exec_lo, exec_lo, s0
	s_delay_alu instid0(SALU_CYCLE_1)
	s_mov_b32 s0, exec_lo
	v_cmpx_gt_i32_e64 s12, v0
	s_cbranch_execnz .LBB211_130
.LBB211_111:
	s_or_b32 exec_lo, exec_lo, s0
	s_delay_alu instid0(SALU_CYCLE_1)
	s_mov_b32 s0, exec_lo
	v_cmpx_gt_i32_e64 s12, v0
	s_cbranch_execz .LBB211_131
.LBB211_112:
	v_add_nc_u32_e32 v0, s2, v0
	global_store_b64 v0, v[8:9], s[8:9] scale_offset
	s_endpgm
.LBB211_113:
	s_mov_b32 s3, exec_lo
	v_cmpx_o_f64_e32 v[18:19], v[18:19]
	s_cbranch_execz .LBB211_127
; %bb.114:
	s_cmp_lt_i32 s13, 1
	s_mov_b32 s10, 0
	s_cbranch_scc1 .LBB211_118
; %bb.115:
	s_cmp_eq_u32 s13, 1
	s_cbranch_scc0 .LBB211_119
; %bb.116:
	v_max_num_f64_e64 v[8:9], s[4:5], s[4:5]
	v_max_num_f64_e32 v[10:11], v[18:19], v[18:19]
	s_mov_b32 s11, 0
	s_delay_alu instid0(VALU_DEP_1)
	v_min_num_f64_e32 v[8:9], v[10:11], v[8:9]
	s_branch .LBB211_120
.LBB211_117:
	v_max_num_f64_e64 v[6:7], s[4:5], s[4:5]
	v_max_num_f64_e64 v[12:13], s[6:7], s[6:7]
	s_delay_alu instid0(VALU_DEP_2) | instskip(NEXT) | instid1(VALU_DEP_1)
	v_max_num_f64_e32 v[6:7], v[10:11], v[6:7]
	v_min_num_f64_e32 v[6:7], v[6:7], v[12:13]
	s_cbranch_execz .LBB211_104
	s_branch .LBB211_105
.LBB211_118:
	s_mov_b32 s11, 0
                                        ; implicit-def: $vgpr8_vgpr9
	s_cbranch_execnz .LBB211_121
	s_branch .LBB211_122
.LBB211_119:
	s_mov_b32 s11, -1
                                        ; implicit-def: $vgpr8_vgpr9
.LBB211_120:
	s_branch .LBB211_122
.LBB211_121:
	s_cmp_lg_u32 s13, 0
	s_mov_b32 s10, -1
	s_cselect_b32 s11, -1, 0
.LBB211_122:
	v_max_num_f64_e64 v[12:13], s[4:5], s[4:5]
	v_max_num_f64_e32 v[14:15], v[18:19], v[18:19]
	s_and_not1_b32 vcc_lo, exec_lo, s11
	s_delay_alu instid0(VALU_DEP_1)
	v_max_num_f64_e32 v[10:11], v[14:15], v[12:13]
	s_cbranch_vccnz .LBB211_124
; %bb.123:
	v_max_num_f64_e32 v[8:9], v[14:15], v[12:13]
	v_max_num_f64_e64 v[12:13], s[6:7], s[6:7]
	s_mov_b32 s10, 0
	s_delay_alu instid0(VALU_DEP_1)
	v_min_num_f64_e32 v[8:9], v[8:9], v[12:13]
.LBB211_124:
	s_and_not1_b32 vcc_lo, exec_lo, s10
	s_cbranch_vccnz .LBB211_126
; %bb.125:
	s_delay_alu instid0(VALU_DEP_1)
	v_mov_b64_e32 v[8:9], v[10:11]
.LBB211_126:
	s_delay_alu instid0(VALU_DEP_1)
	v_mov_b64_e32 v[18:19], v[8:9]
.LBB211_127:
	s_or_b32 exec_lo, exec_lo, s3
	s_delay_alu instid0(VALU_DEP_1) | instskip(SKIP_2) | instid1(SALU_CYCLE_1)
	v_dual_mov_b32 v8, v18 :: v_dual_mov_b32 v9, v19
	s_or_b32 exec_lo, exec_lo, s1
	s_and_saveexec_b32 s1, s0
	s_xor_b32 s0, exec_lo, s1
	s_cbranch_execz .LBB211_109
.LBB211_128:
	v_mov_b32_e32 v0, v24
	global_store_b64 v1, v[2:3], s[8:9] scale_offset
	s_wait_xcnt 0x0
	s_or_b32 exec_lo, exec_lo, s0
	s_delay_alu instid0(SALU_CYCLE_1)
	s_mov_b32 s0, exec_lo
	v_cmpx_gt_i32_e64 s12, v0
	s_cbranch_execz .LBB211_110
.LBB211_129:
	v_add_nc_u32_e32 v1, s2, v0
	v_add_nc_u32_e32 v0, 0x100, v0
	global_store_b64 v1, v[4:5], s[8:9] scale_offset
	s_wait_xcnt 0x0
	s_or_b32 exec_lo, exec_lo, s0
	s_delay_alu instid0(SALU_CYCLE_1)
	s_mov_b32 s0, exec_lo
	v_cmpx_gt_i32_e64 s12, v0
	s_cbranch_execz .LBB211_111
.LBB211_130:
	v_add_nc_u32_e32 v1, s2, v0
	v_add_nc_u32_e32 v0, 0x100, v0
	global_store_b64 v1, v[6:7], s[8:9] scale_offset
	s_wait_xcnt 0x0
	s_or_b32 exec_lo, exec_lo, s0
	s_delay_alu instid0(SALU_CYCLE_1)
	s_mov_b32 s0, exec_lo
	v_cmpx_gt_i32_e64 s12, v0
	s_cbranch_execnz .LBB211_112
.LBB211_131:
	s_endpgm
	.section	.rodata,"a",@progbits
	.p2align	6, 0x0
	.amdhsa_kernel _ZN2at6native29vectorized_elementwise_kernelILi2EZZZNS0_12_GLOBAL__N_119launch_clamp_scalarERNS_18TensorIteratorBaseEN3c106ScalarES6_NS0_6detail11ClampLimitsEENKUlvE_clEvENKUlvE4_clEvEUldE_St5arrayIPcLm2EEEEviT0_T1_
		.amdhsa_group_segment_fixed_size 0
		.amdhsa_private_segment_fixed_size 0
		.amdhsa_kernarg_size 48
		.amdhsa_user_sgpr_count 2
		.amdhsa_user_sgpr_dispatch_ptr 0
		.amdhsa_user_sgpr_queue_ptr 0
		.amdhsa_user_sgpr_kernarg_segment_ptr 1
		.amdhsa_user_sgpr_dispatch_id 0
		.amdhsa_user_sgpr_kernarg_preload_length 0
		.amdhsa_user_sgpr_kernarg_preload_offset 0
		.amdhsa_user_sgpr_private_segment_size 0
		.amdhsa_wavefront_size32 1
		.amdhsa_uses_dynamic_stack 0
		.amdhsa_enable_private_segment 0
		.amdhsa_system_sgpr_workgroup_id_x 1
		.amdhsa_system_sgpr_workgroup_id_y 0
		.amdhsa_system_sgpr_workgroup_id_z 0
		.amdhsa_system_sgpr_workgroup_info 0
		.amdhsa_system_vgpr_workitem_id 0
		.amdhsa_next_free_vgpr 25
		.amdhsa_next_free_sgpr 16
		.amdhsa_named_barrier_count 0
		.amdhsa_reserve_vcc 1
		.amdhsa_float_round_mode_32 0
		.amdhsa_float_round_mode_16_64 0
		.amdhsa_float_denorm_mode_32 3
		.amdhsa_float_denorm_mode_16_64 3
		.amdhsa_fp16_overflow 0
		.amdhsa_memory_ordered 1
		.amdhsa_forward_progress 1
		.amdhsa_inst_pref_size 19
		.amdhsa_round_robin_scheduling 0
		.amdhsa_exception_fp_ieee_invalid_op 0
		.amdhsa_exception_fp_denorm_src 0
		.amdhsa_exception_fp_ieee_div_zero 0
		.amdhsa_exception_fp_ieee_overflow 0
		.amdhsa_exception_fp_ieee_underflow 0
		.amdhsa_exception_fp_ieee_inexact 0
		.amdhsa_exception_int_div_zero 0
	.end_amdhsa_kernel
	.section	.text._ZN2at6native29vectorized_elementwise_kernelILi2EZZZNS0_12_GLOBAL__N_119launch_clamp_scalarERNS_18TensorIteratorBaseEN3c106ScalarES6_NS0_6detail11ClampLimitsEENKUlvE_clEvENKUlvE4_clEvEUldE_St5arrayIPcLm2EEEEviT0_T1_,"axG",@progbits,_ZN2at6native29vectorized_elementwise_kernelILi2EZZZNS0_12_GLOBAL__N_119launch_clamp_scalarERNS_18TensorIteratorBaseEN3c106ScalarES6_NS0_6detail11ClampLimitsEENKUlvE_clEvENKUlvE4_clEvEUldE_St5arrayIPcLm2EEEEviT0_T1_,comdat
.Lfunc_end211:
	.size	_ZN2at6native29vectorized_elementwise_kernelILi2EZZZNS0_12_GLOBAL__N_119launch_clamp_scalarERNS_18TensorIteratorBaseEN3c106ScalarES6_NS0_6detail11ClampLimitsEENKUlvE_clEvENKUlvE4_clEvEUldE_St5arrayIPcLm2EEEEviT0_T1_, .Lfunc_end211-_ZN2at6native29vectorized_elementwise_kernelILi2EZZZNS0_12_GLOBAL__N_119launch_clamp_scalarERNS_18TensorIteratorBaseEN3c106ScalarES6_NS0_6detail11ClampLimitsEENKUlvE_clEvENKUlvE4_clEvEUldE_St5arrayIPcLm2EEEEviT0_T1_
                                        ; -- End function
	.set _ZN2at6native29vectorized_elementwise_kernelILi2EZZZNS0_12_GLOBAL__N_119launch_clamp_scalarERNS_18TensorIteratorBaseEN3c106ScalarES6_NS0_6detail11ClampLimitsEENKUlvE_clEvENKUlvE4_clEvEUldE_St5arrayIPcLm2EEEEviT0_T1_.num_vgpr, 25
	.set _ZN2at6native29vectorized_elementwise_kernelILi2EZZZNS0_12_GLOBAL__N_119launch_clamp_scalarERNS_18TensorIteratorBaseEN3c106ScalarES6_NS0_6detail11ClampLimitsEENKUlvE_clEvENKUlvE4_clEvEUldE_St5arrayIPcLm2EEEEviT0_T1_.num_agpr, 0
	.set _ZN2at6native29vectorized_elementwise_kernelILi2EZZZNS0_12_GLOBAL__N_119launch_clamp_scalarERNS_18TensorIteratorBaseEN3c106ScalarES6_NS0_6detail11ClampLimitsEENKUlvE_clEvENKUlvE4_clEvEUldE_St5arrayIPcLm2EEEEviT0_T1_.numbered_sgpr, 16
	.set _ZN2at6native29vectorized_elementwise_kernelILi2EZZZNS0_12_GLOBAL__N_119launch_clamp_scalarERNS_18TensorIteratorBaseEN3c106ScalarES6_NS0_6detail11ClampLimitsEENKUlvE_clEvENKUlvE4_clEvEUldE_St5arrayIPcLm2EEEEviT0_T1_.num_named_barrier, 0
	.set _ZN2at6native29vectorized_elementwise_kernelILi2EZZZNS0_12_GLOBAL__N_119launch_clamp_scalarERNS_18TensorIteratorBaseEN3c106ScalarES6_NS0_6detail11ClampLimitsEENKUlvE_clEvENKUlvE4_clEvEUldE_St5arrayIPcLm2EEEEviT0_T1_.private_seg_size, 0
	.set _ZN2at6native29vectorized_elementwise_kernelILi2EZZZNS0_12_GLOBAL__N_119launch_clamp_scalarERNS_18TensorIteratorBaseEN3c106ScalarES6_NS0_6detail11ClampLimitsEENKUlvE_clEvENKUlvE4_clEvEUldE_St5arrayIPcLm2EEEEviT0_T1_.uses_vcc, 1
	.set _ZN2at6native29vectorized_elementwise_kernelILi2EZZZNS0_12_GLOBAL__N_119launch_clamp_scalarERNS_18TensorIteratorBaseEN3c106ScalarES6_NS0_6detail11ClampLimitsEENKUlvE_clEvENKUlvE4_clEvEUldE_St5arrayIPcLm2EEEEviT0_T1_.uses_flat_scratch, 0
	.set _ZN2at6native29vectorized_elementwise_kernelILi2EZZZNS0_12_GLOBAL__N_119launch_clamp_scalarERNS_18TensorIteratorBaseEN3c106ScalarES6_NS0_6detail11ClampLimitsEENKUlvE_clEvENKUlvE4_clEvEUldE_St5arrayIPcLm2EEEEviT0_T1_.has_dyn_sized_stack, 0
	.set _ZN2at6native29vectorized_elementwise_kernelILi2EZZZNS0_12_GLOBAL__N_119launch_clamp_scalarERNS_18TensorIteratorBaseEN3c106ScalarES6_NS0_6detail11ClampLimitsEENKUlvE_clEvENKUlvE4_clEvEUldE_St5arrayIPcLm2EEEEviT0_T1_.has_recursion, 0
	.set _ZN2at6native29vectorized_elementwise_kernelILi2EZZZNS0_12_GLOBAL__N_119launch_clamp_scalarERNS_18TensorIteratorBaseEN3c106ScalarES6_NS0_6detail11ClampLimitsEENKUlvE_clEvENKUlvE4_clEvEUldE_St5arrayIPcLm2EEEEviT0_T1_.has_indirect_call, 0
	.section	.AMDGPU.csdata,"",@progbits
; Kernel info:
; codeLenInByte = 2360
; TotalNumSgprs: 18
; NumVgprs: 25
; ScratchSize: 0
; MemoryBound: 0
; FloatMode: 240
; IeeeMode: 1
; LDSByteSize: 0 bytes/workgroup (compile time only)
; SGPRBlocks: 0
; VGPRBlocks: 1
; NumSGPRsForWavesPerEU: 18
; NumVGPRsForWavesPerEU: 25
; NamedBarCnt: 0
; Occupancy: 16
; WaveLimiterHint : 1
; COMPUTE_PGM_RSRC2:SCRATCH_EN: 0
; COMPUTE_PGM_RSRC2:USER_SGPR: 2
; COMPUTE_PGM_RSRC2:TRAP_HANDLER: 0
; COMPUTE_PGM_RSRC2:TGID_X_EN: 1
; COMPUTE_PGM_RSRC2:TGID_Y_EN: 0
; COMPUTE_PGM_RSRC2:TGID_Z_EN: 0
; COMPUTE_PGM_RSRC2:TIDIG_COMP_CNT: 0
	.section	.text._ZN2at6native27unrolled_elementwise_kernelIZZZNS0_12_GLOBAL__N_119launch_clamp_scalarERNS_18TensorIteratorBaseEN3c106ScalarES6_NS0_6detail11ClampLimitsEENKUlvE_clEvENKUlvE4_clEvEUldE_St5arrayIPcLm2EELi4E23TrivialOffsetCalculatorILi1EjESG_NS0_6memory15LoadWithoutCastENSH_16StoreWithoutCastEEEviT_T0_T2_T3_T4_T5_,"axG",@progbits,_ZN2at6native27unrolled_elementwise_kernelIZZZNS0_12_GLOBAL__N_119launch_clamp_scalarERNS_18TensorIteratorBaseEN3c106ScalarES6_NS0_6detail11ClampLimitsEENKUlvE_clEvENKUlvE4_clEvEUldE_St5arrayIPcLm2EELi4E23TrivialOffsetCalculatorILi1EjESG_NS0_6memory15LoadWithoutCastENSH_16StoreWithoutCastEEEviT_T0_T2_T3_T4_T5_,comdat
	.globl	_ZN2at6native27unrolled_elementwise_kernelIZZZNS0_12_GLOBAL__N_119launch_clamp_scalarERNS_18TensorIteratorBaseEN3c106ScalarES6_NS0_6detail11ClampLimitsEENKUlvE_clEvENKUlvE4_clEvEUldE_St5arrayIPcLm2EELi4E23TrivialOffsetCalculatorILi1EjESG_NS0_6memory15LoadWithoutCastENSH_16StoreWithoutCastEEEviT_T0_T2_T3_T4_T5_ ; -- Begin function _ZN2at6native27unrolled_elementwise_kernelIZZZNS0_12_GLOBAL__N_119launch_clamp_scalarERNS_18TensorIteratorBaseEN3c106ScalarES6_NS0_6detail11ClampLimitsEENKUlvE_clEvENKUlvE4_clEvEUldE_St5arrayIPcLm2EELi4E23TrivialOffsetCalculatorILi1EjESG_NS0_6memory15LoadWithoutCastENSH_16StoreWithoutCastEEEviT_T0_T2_T3_T4_T5_
	.p2align	8
	.type	_ZN2at6native27unrolled_elementwise_kernelIZZZNS0_12_GLOBAL__N_119launch_clamp_scalarERNS_18TensorIteratorBaseEN3c106ScalarES6_NS0_6detail11ClampLimitsEENKUlvE_clEvENKUlvE4_clEvEUldE_St5arrayIPcLm2EELi4E23TrivialOffsetCalculatorILi1EjESG_NS0_6memory15LoadWithoutCastENSH_16StoreWithoutCastEEEviT_T0_T2_T3_T4_T5_,@function
_ZN2at6native27unrolled_elementwise_kernelIZZZNS0_12_GLOBAL__N_119launch_clamp_scalarERNS_18TensorIteratorBaseEN3c106ScalarES6_NS0_6detail11ClampLimitsEENKUlvE_clEvENKUlvE4_clEvEUldE_St5arrayIPcLm2EELi4E23TrivialOffsetCalculatorILi1EjESG_NS0_6memory15LoadWithoutCastENSH_16StoreWithoutCastEEEviT_T0_T2_T3_T4_T5_: ; @_ZN2at6native27unrolled_elementwise_kernelIZZZNS0_12_GLOBAL__N_119launch_clamp_scalarERNS_18TensorIteratorBaseEN3c106ScalarES6_NS0_6detail11ClampLimitsEENKUlvE_clEvENKUlvE4_clEvEUldE_St5arrayIPcLm2EELi4E23TrivialOffsetCalculatorILi1EjESG_NS0_6memory15LoadWithoutCastENSH_16StoreWithoutCastEEEviT_T0_T2_T3_T4_T5_
; %bb.0:
	s_load_b32 s2, s[0:1], 0x0
	s_bfe_u32 s3, ttmp6, 0x4000c
	s_load_b256 s[4:11], s[0:1], 0x10
	s_add_co_i32 s3, s3, 1
	s_and_b32 s12, ttmp6, 15
	s_mul_i32 s3, ttmp9, s3
	s_getreg_b32 s13, hwreg(HW_REG_IB_STS2, 6, 4)
	s_add_co_i32 s12, s12, s3
	s_cmp_eq_u32 s13, 0
	v_mov_b64_e32 v[22:23], 0
	s_cselect_b32 s3, ttmp9, s12
	v_mov_b64_e32 v[10:11], 0
	s_lshl_b32 s3, s3, 10
	v_or_b32_e32 v1, 0x100, v0
	v_dual_mov_b32 v2, v0 :: v_dual_bitop2_b32 v24, s3, v0 bitop3:0x54
	s_wait_kmcnt 0x0
	s_sub_co_i32 s12, s2, s3
	s_delay_alu instid0(SALU_CYCLE_1)
	v_cmp_gt_i32_e64 s2, s12, v0
	s_and_saveexec_b32 s13, s2
	s_cbranch_execz .LBB212_2
; %bb.1:
	global_load_b64 v[10:11], v24, s[10:11] scale_offset
	v_or_b32_e32 v2, 0x100, v0
.LBB212_2:
	s_wait_xcnt 0x0
	s_or_b32 exec_lo, exec_lo, s13
	s_delay_alu instid0(SALU_CYCLE_1) | instskip(NEXT) | instid1(VALU_DEP_1)
	s_mov_b32 s13, exec_lo
	v_cmpx_gt_i32_e64 s12, v2
	s_cbranch_execz .LBB212_4
; %bb.3:
	v_add_nc_u32_e32 v3, s3, v2
	v_add_nc_u32_e32 v2, 0x100, v2
	global_load_b64 v[22:23], v3, s[10:11] scale_offset
.LBB212_4:
	s_wait_xcnt 0x0
	s_or_b32 exec_lo, exec_lo, s13
	v_mov_b64_e32 v[18:19], 0
	v_mov_b64_e32 v[20:21], 0
	s_mov_b32 s13, exec_lo
	v_cmpx_gt_i32_e64 s12, v2
	s_cbranch_execz .LBB212_6
; %bb.5:
	v_add_nc_u32_e32 v3, s3, v2
	v_add_nc_u32_e32 v2, 0x100, v2
	global_load_b64 v[20:21], v3, s[10:11] scale_offset
.LBB212_6:
	s_wait_xcnt 0x0
	s_or_b32 exec_lo, exec_lo, s13
	s_delay_alu instid0(SALU_CYCLE_1)
	s_mov_b32 s13, exec_lo
	v_cmpx_gt_i32_e64 s12, v2
	s_cbranch_execz .LBB212_8
; %bb.7:
	v_add_nc_u32_e32 v2, s3, v2
	global_load_b64 v[18:19], v2, s[10:11] scale_offset
.LBB212_8:
	s_wait_xcnt 0x0
	s_or_b32 exec_lo, exec_lo, s13
	s_load_b32 s0, s[0:1], 0x8
	v_mov_b32_e32 v2, 0
	s_delay_alu instid0(VALU_DEP_1)
	v_dual_mov_b32 v3, v2 :: v_dual_mov_b32 v4, v2
	v_dual_mov_b32 v5, v2 :: v_dual_mov_b32 v6, v2
	;; [unrolled: 1-line block ×3, first 2 shown]
	v_mov_b32_e32 v9, v2
	s_wait_xcnt 0x0
	s_and_saveexec_b32 s1, s2
	s_cbranch_execz .LBB212_22
; %bb.9:
	s_mov_b32 s10, exec_lo
	s_wait_loadcnt 0x0
	v_cmpx_o_f64_e32 v[10:11], v[10:11]
	s_cbranch_execz .LBB212_21
; %bb.10:
	s_wait_kmcnt 0x0
	s_cmp_lt_i32 s0, 1
	s_mov_b32 s11, 0
	s_cbranch_scc1 .LBB212_13
; %bb.11:
	s_cmp_eq_u32 s0, 1
	s_cbranch_scc0 .LBB212_14
; %bb.12:
	v_max_num_f64_e64 v[2:3], s[4:5], s[4:5]
	v_max_num_f64_e32 v[4:5], v[10:11], v[10:11]
	s_mov_b32 s13, 0
	s_delay_alu instid0(VALU_DEP_1)
	v_min_num_f64_e32 v[2:3], v[4:5], v[2:3]
	s_branch .LBB212_15
.LBB212_13:
	s_mov_b32 s13, 0
                                        ; implicit-def: $vgpr2_vgpr3
	s_cbranch_execnz .LBB212_16
	s_branch .LBB212_17
.LBB212_14:
	s_mov_b32 s13, -1
                                        ; implicit-def: $vgpr2_vgpr3
.LBB212_15:
	s_branch .LBB212_17
.LBB212_16:
	s_cmp_lg_u32 s0, 0
	s_mov_b32 s11, -1
	s_cselect_b32 s13, -1, 0
.LBB212_17:
	v_max_num_f64_e32 v[4:5], v[10:11], v[10:11]
	s_and_not1_b32 vcc_lo, exec_lo, s13
	s_cbranch_vccz .LBB212_27
; %bb.18:
	s_and_not1_b32 vcc_lo, exec_lo, s11
	s_cbranch_vccnz .LBB212_20
.LBB212_19:
	v_max_num_f64_e64 v[2:3], s[4:5], s[4:5]
	s_delay_alu instid0(VALU_DEP_1)
	v_max_num_f64_e32 v[2:3], v[4:5], v[2:3]
.LBB212_20:
	s_delay_alu instid0(VALU_DEP_1)
	v_mov_b64_e32 v[10:11], v[2:3]
.LBB212_21:
	s_or_b32 exec_lo, exec_lo, s10
	v_mov_b32_e32 v12, 0
	s_delay_alu instid0(VALU_DEP_1) | instskip(SKIP_3) | instid1(VALU_DEP_4)
	v_dual_mov_b32 v13, v12 :: v_dual_mov_b32 v14, v12
	v_dual_mov_b32 v15, v12 :: v_dual_mov_b32 v16, v12
	v_mov_b32_e32 v17, v12
	v_mov_b64_e32 v[2:3], v[10:11]
	v_mov_b64_e32 v[4:5], v[12:13]
	s_delay_alu instid0(VALU_DEP_4) | instskip(NEXT) | instid1(VALU_DEP_4)
	v_mov_b64_e32 v[6:7], v[14:15]
	v_mov_b64_e32 v[8:9], v[16:17]
.LBB212_22:
	s_or_b32 exec_lo, exec_lo, s1
	s_delay_alu instid0(SALU_CYCLE_1)
	s_mov_b32 s1, exec_lo
	v_cmpx_gt_i32_e64 s12, v1
	s_cbranch_execz .LBB212_37
; %bb.23:
	s_mov_b32 s10, exec_lo
	s_wait_loadcnt 0x0
	v_cmpx_o_f64_e32 v[22:23], v[22:23]
	s_cbranch_execz .LBB212_36
; %bb.24:
	s_wait_kmcnt 0x0
	s_cmp_lt_i32 s0, 1
	s_mov_b32 s11, 0
	s_cbranch_scc1 .LBB212_28
; %bb.25:
	s_cmp_eq_u32 s0, 1
	s_cbranch_scc0 .LBB212_29
; %bb.26:
	v_max_num_f64_e64 v[4:5], s[4:5], s[4:5]
	v_max_num_f64_e32 v[10:11], v[22:23], v[22:23]
	s_mov_b32 s13, 0
	s_delay_alu instid0(VALU_DEP_1)
	v_min_num_f64_e32 v[4:5], v[10:11], v[4:5]
	s_branch .LBB212_30
.LBB212_27:
	v_max_num_f64_e64 v[2:3], s[4:5], s[4:5]
	v_max_num_f64_e64 v[6:7], s[6:7], s[6:7]
	s_delay_alu instid0(VALU_DEP_2) | instskip(NEXT) | instid1(VALU_DEP_1)
	v_max_num_f64_e32 v[2:3], v[4:5], v[2:3]
	v_min_num_f64_e32 v[2:3], v[2:3], v[6:7]
	s_cbranch_execz .LBB212_19
	s_branch .LBB212_20
.LBB212_28:
	s_mov_b32 s13, 0
                                        ; implicit-def: $vgpr4_vgpr5
	s_cbranch_execnz .LBB212_31
	s_branch .LBB212_32
.LBB212_29:
	s_mov_b32 s13, -1
                                        ; implicit-def: $vgpr4_vgpr5
.LBB212_30:
	s_branch .LBB212_32
.LBB212_31:
	s_cmp_lg_u32 s0, 0
	s_mov_b32 s11, -1
	s_cselect_b32 s13, -1, 0
.LBB212_32:
	v_max_num_f64_e32 v[10:11], v[22:23], v[22:23]
	s_and_not1_b32 vcc_lo, exec_lo, s13
	s_cbranch_vccz .LBB212_42
; %bb.33:
	s_and_not1_b32 vcc_lo, exec_lo, s11
	s_cbranch_vccnz .LBB212_35
.LBB212_34:
	v_max_num_f64_e64 v[4:5], s[4:5], s[4:5]
	s_delay_alu instid0(VALU_DEP_1)
	v_max_num_f64_e32 v[4:5], v[10:11], v[4:5]
.LBB212_35:
	s_delay_alu instid0(VALU_DEP_1)
	v_mov_b64_e32 v[22:23], v[4:5]
.LBB212_36:
	s_or_b32 exec_lo, exec_lo, s10
	s_delay_alu instid0(VALU_DEP_1)
	v_dual_mov_b32 v4, v22 :: v_dual_mov_b32 v5, v23
.LBB212_37:
	s_or_b32 exec_lo, exec_lo, s1
	s_wait_loadcnt 0x0
	v_or_b32_e32 v10, 0x200, v0
	s_mov_b32 s1, exec_lo
	s_delay_alu instid0(VALU_DEP_1)
	v_cmpx_gt_i32_e64 s12, v10
	s_cbranch_execz .LBB212_52
; %bb.38:
	s_mov_b32 s10, exec_lo
	v_cmpx_o_f64_e32 v[20:21], v[20:21]
	s_cbranch_execz .LBB212_51
; %bb.39:
	s_wait_kmcnt 0x0
	s_cmp_lt_i32 s0, 1
	s_mov_b32 s11, 0
	s_cbranch_scc1 .LBB212_43
; %bb.40:
	s_cmp_eq_u32 s0, 1
	s_cbranch_scc0 .LBB212_44
; %bb.41:
	v_max_num_f64_e64 v[6:7], s[4:5], s[4:5]
	v_max_num_f64_e32 v[10:11], v[20:21], v[20:21]
	s_mov_b32 s13, 0
	s_delay_alu instid0(VALU_DEP_1)
	v_min_num_f64_e32 v[6:7], v[10:11], v[6:7]
	s_branch .LBB212_45
.LBB212_42:
	v_max_num_f64_e64 v[4:5], s[4:5], s[4:5]
	v_max_num_f64_e64 v[12:13], s[6:7], s[6:7]
	s_delay_alu instid0(VALU_DEP_2) | instskip(NEXT) | instid1(VALU_DEP_1)
	v_max_num_f64_e32 v[4:5], v[10:11], v[4:5]
	v_min_num_f64_e32 v[4:5], v[4:5], v[12:13]
	s_cbranch_execz .LBB212_34
	s_branch .LBB212_35
.LBB212_43:
	s_mov_b32 s13, 0
                                        ; implicit-def: $vgpr6_vgpr7
	s_cbranch_execnz .LBB212_46
	s_branch .LBB212_47
.LBB212_44:
	s_mov_b32 s13, -1
                                        ; implicit-def: $vgpr6_vgpr7
.LBB212_45:
	s_branch .LBB212_47
.LBB212_46:
	s_cmp_lg_u32 s0, 0
	s_mov_b32 s11, -1
	s_cselect_b32 s13, -1, 0
.LBB212_47:
	v_max_num_f64_e32 v[10:11], v[20:21], v[20:21]
	s_and_not1_b32 vcc_lo, exec_lo, s13
	s_cbranch_vccz .LBB212_62
; %bb.48:
	s_and_not1_b32 vcc_lo, exec_lo, s11
	s_cbranch_vccnz .LBB212_50
.LBB212_49:
	v_max_num_f64_e64 v[6:7], s[4:5], s[4:5]
	s_delay_alu instid0(VALU_DEP_1)
	v_max_num_f64_e32 v[6:7], v[10:11], v[6:7]
.LBB212_50:
	s_delay_alu instid0(VALU_DEP_1)
	v_mov_b64_e32 v[20:21], v[6:7]
.LBB212_51:
	s_or_b32 exec_lo, exec_lo, s10
	s_delay_alu instid0(VALU_DEP_1)
	v_dual_mov_b32 v6, v20 :: v_dual_mov_b32 v7, v21
.LBB212_52:
	s_or_b32 exec_lo, exec_lo, s1
	v_or_b32_e32 v10, 0x300, v0
	s_mov_b32 s1, exec_lo
	s_delay_alu instid0(VALU_DEP_1)
	v_cmpx_gt_i32_e64 s12, v10
	s_cbranch_execnz .LBB212_58
; %bb.53:
	s_or_b32 exec_lo, exec_lo, s1
	s_wait_kmcnt 0x0
	s_and_saveexec_b32 s0, s2
	s_delay_alu instid0(SALU_CYCLE_1)
	s_xor_b32 s0, exec_lo, s0
	s_cbranch_execnz .LBB212_73
.LBB212_54:
	s_or_b32 exec_lo, exec_lo, s0
	s_delay_alu instid0(SALU_CYCLE_1)
	s_mov_b32 s0, exec_lo
	v_cmpx_gt_i32_e64 s12, v0
	s_cbranch_execnz .LBB212_74
.LBB212_55:
	s_or_b32 exec_lo, exec_lo, s0
	s_delay_alu instid0(SALU_CYCLE_1)
	s_mov_b32 s0, exec_lo
	v_cmpx_gt_i32_e64 s12, v0
	s_cbranch_execnz .LBB212_75
.LBB212_56:
	s_or_b32 exec_lo, exec_lo, s0
	s_delay_alu instid0(SALU_CYCLE_1)
	s_mov_b32 s0, exec_lo
	v_cmpx_gt_i32_e64 s12, v0
	s_cbranch_execnz .LBB212_76
.LBB212_57:
	s_endpgm
.LBB212_58:
	s_mov_b32 s10, exec_lo
	v_cmpx_o_f64_e32 v[18:19], v[18:19]
	s_cbranch_execz .LBB212_72
; %bb.59:
	s_wait_kmcnt 0x0
	s_cmp_lt_i32 s0, 1
	s_mov_b32 s11, 0
	s_cbranch_scc1 .LBB212_63
; %bb.60:
	s_cmp_eq_u32 s0, 1
	s_cbranch_scc0 .LBB212_64
; %bb.61:
	v_max_num_f64_e64 v[8:9], s[4:5], s[4:5]
	v_max_num_f64_e32 v[10:11], v[18:19], v[18:19]
	s_mov_b32 s13, 0
	s_delay_alu instid0(VALU_DEP_1)
	v_min_num_f64_e32 v[8:9], v[10:11], v[8:9]
	s_branch .LBB212_65
.LBB212_62:
	v_max_num_f64_e64 v[6:7], s[4:5], s[4:5]
	v_max_num_f64_e64 v[12:13], s[6:7], s[6:7]
	s_delay_alu instid0(VALU_DEP_2) | instskip(NEXT) | instid1(VALU_DEP_1)
	v_max_num_f64_e32 v[6:7], v[10:11], v[6:7]
	v_min_num_f64_e32 v[6:7], v[6:7], v[12:13]
	s_cbranch_execz .LBB212_49
	s_branch .LBB212_50
.LBB212_63:
	s_mov_b32 s13, 0
                                        ; implicit-def: $vgpr8_vgpr9
	s_cbranch_execnz .LBB212_66
	s_branch .LBB212_67
.LBB212_64:
	s_mov_b32 s13, -1
                                        ; implicit-def: $vgpr8_vgpr9
.LBB212_65:
	s_branch .LBB212_67
.LBB212_66:
	s_cmp_lg_u32 s0, 0
	s_mov_b32 s11, -1
	s_cselect_b32 s13, -1, 0
.LBB212_67:
	v_max_num_f64_e64 v[12:13], s[4:5], s[4:5]
	v_max_num_f64_e32 v[14:15], v[18:19], v[18:19]
	s_and_not1_b32 vcc_lo, exec_lo, s13
	s_delay_alu instid0(VALU_DEP_1)
	v_max_num_f64_e32 v[10:11], v[14:15], v[12:13]
	s_cbranch_vccnz .LBB212_69
; %bb.68:
	v_max_num_f64_e32 v[8:9], v[14:15], v[12:13]
	v_max_num_f64_e64 v[12:13], s[6:7], s[6:7]
	s_mov_b32 s11, 0
	s_delay_alu instid0(VALU_DEP_1)
	v_min_num_f64_e32 v[8:9], v[8:9], v[12:13]
.LBB212_69:
	s_and_not1_b32 vcc_lo, exec_lo, s11
	s_cbranch_vccnz .LBB212_71
; %bb.70:
	s_delay_alu instid0(VALU_DEP_1)
	v_mov_b64_e32 v[8:9], v[10:11]
.LBB212_71:
	s_delay_alu instid0(VALU_DEP_1)
	v_mov_b64_e32 v[18:19], v[8:9]
.LBB212_72:
	s_or_b32 exec_lo, exec_lo, s10
	s_delay_alu instid0(VALU_DEP_1) | instskip(SKIP_3) | instid1(SALU_CYCLE_1)
	v_dual_mov_b32 v8, v18 :: v_dual_mov_b32 v9, v19
	s_or_b32 exec_lo, exec_lo, s1
	s_wait_kmcnt 0x0
	s_and_saveexec_b32 s0, s2
	s_xor_b32 s0, exec_lo, s0
	s_cbranch_execz .LBB212_54
.LBB212_73:
	v_mov_b32_e32 v0, v1
	global_store_b64 v24, v[2:3], s[8:9] scale_offset
	s_wait_xcnt 0x0
	s_or_b32 exec_lo, exec_lo, s0
	s_delay_alu instid0(SALU_CYCLE_1)
	s_mov_b32 s0, exec_lo
	v_cmpx_gt_i32_e64 s12, v0
	s_cbranch_execz .LBB212_55
.LBB212_74:
	v_add_nc_u32_e32 v1, 0x100, v0
	s_delay_alu instid0(VALU_DEP_1) | instskip(SKIP_3) | instid1(SALU_CYCLE_1)
	v_dual_add_nc_u32 v2, s3, v0 :: v_dual_mov_b32 v0, v1
	global_store_b64 v2, v[4:5], s[8:9] scale_offset
	s_wait_xcnt 0x0
	s_or_b32 exec_lo, exec_lo, s0
	s_mov_b32 s0, exec_lo
	v_cmpx_gt_i32_e64 s12, v0
	s_cbranch_execz .LBB212_56
.LBB212_75:
	v_add_nc_u32_e32 v1, 0x100, v0
	s_delay_alu instid0(VALU_DEP_1) | instskip(SKIP_3) | instid1(SALU_CYCLE_1)
	v_dual_add_nc_u32 v2, s3, v0 :: v_dual_mov_b32 v0, v1
	global_store_b64 v2, v[6:7], s[8:9] scale_offset
	s_wait_xcnt 0x0
	s_or_b32 exec_lo, exec_lo, s0
	s_mov_b32 s0, exec_lo
	v_cmpx_gt_i32_e64 s12, v0
	s_cbranch_execz .LBB212_57
.LBB212_76:
	v_add_nc_u32_e32 v0, s3, v0
	global_store_b64 v0, v[8:9], s[8:9] scale_offset
	s_endpgm
	.section	.rodata,"a",@progbits
	.p2align	6, 0x0
	.amdhsa_kernel _ZN2at6native27unrolled_elementwise_kernelIZZZNS0_12_GLOBAL__N_119launch_clamp_scalarERNS_18TensorIteratorBaseEN3c106ScalarES6_NS0_6detail11ClampLimitsEENKUlvE_clEvENKUlvE4_clEvEUldE_St5arrayIPcLm2EELi4E23TrivialOffsetCalculatorILi1EjESG_NS0_6memory15LoadWithoutCastENSH_16StoreWithoutCastEEEviT_T0_T2_T3_T4_T5_
		.amdhsa_group_segment_fixed_size 0
		.amdhsa_private_segment_fixed_size 0
		.amdhsa_kernarg_size 52
		.amdhsa_user_sgpr_count 2
		.amdhsa_user_sgpr_dispatch_ptr 0
		.amdhsa_user_sgpr_queue_ptr 0
		.amdhsa_user_sgpr_kernarg_segment_ptr 1
		.amdhsa_user_sgpr_dispatch_id 0
		.amdhsa_user_sgpr_kernarg_preload_length 0
		.amdhsa_user_sgpr_kernarg_preload_offset 0
		.amdhsa_user_sgpr_private_segment_size 0
		.amdhsa_wavefront_size32 1
		.amdhsa_uses_dynamic_stack 0
		.amdhsa_enable_private_segment 0
		.amdhsa_system_sgpr_workgroup_id_x 1
		.amdhsa_system_sgpr_workgroup_id_y 0
		.amdhsa_system_sgpr_workgroup_id_z 0
		.amdhsa_system_sgpr_workgroup_info 0
		.amdhsa_system_vgpr_workitem_id 0
		.amdhsa_next_free_vgpr 25
		.amdhsa_next_free_sgpr 14
		.amdhsa_named_barrier_count 0
		.amdhsa_reserve_vcc 1
		.amdhsa_float_round_mode_32 0
		.amdhsa_float_round_mode_16_64 0
		.amdhsa_float_denorm_mode_32 3
		.amdhsa_float_denorm_mode_16_64 3
		.amdhsa_fp16_overflow 0
		.amdhsa_memory_ordered 1
		.amdhsa_forward_progress 1
		.amdhsa_inst_pref_size 13
		.amdhsa_round_robin_scheduling 0
		.amdhsa_exception_fp_ieee_invalid_op 0
		.amdhsa_exception_fp_denorm_src 0
		.amdhsa_exception_fp_ieee_div_zero 0
		.amdhsa_exception_fp_ieee_overflow 0
		.amdhsa_exception_fp_ieee_underflow 0
		.amdhsa_exception_fp_ieee_inexact 0
		.amdhsa_exception_int_div_zero 0
	.end_amdhsa_kernel
	.section	.text._ZN2at6native27unrolled_elementwise_kernelIZZZNS0_12_GLOBAL__N_119launch_clamp_scalarERNS_18TensorIteratorBaseEN3c106ScalarES6_NS0_6detail11ClampLimitsEENKUlvE_clEvENKUlvE4_clEvEUldE_St5arrayIPcLm2EELi4E23TrivialOffsetCalculatorILi1EjESG_NS0_6memory15LoadWithoutCastENSH_16StoreWithoutCastEEEviT_T0_T2_T3_T4_T5_,"axG",@progbits,_ZN2at6native27unrolled_elementwise_kernelIZZZNS0_12_GLOBAL__N_119launch_clamp_scalarERNS_18TensorIteratorBaseEN3c106ScalarES6_NS0_6detail11ClampLimitsEENKUlvE_clEvENKUlvE4_clEvEUldE_St5arrayIPcLm2EELi4E23TrivialOffsetCalculatorILi1EjESG_NS0_6memory15LoadWithoutCastENSH_16StoreWithoutCastEEEviT_T0_T2_T3_T4_T5_,comdat
.Lfunc_end212:
	.size	_ZN2at6native27unrolled_elementwise_kernelIZZZNS0_12_GLOBAL__N_119launch_clamp_scalarERNS_18TensorIteratorBaseEN3c106ScalarES6_NS0_6detail11ClampLimitsEENKUlvE_clEvENKUlvE4_clEvEUldE_St5arrayIPcLm2EELi4E23TrivialOffsetCalculatorILi1EjESG_NS0_6memory15LoadWithoutCastENSH_16StoreWithoutCastEEEviT_T0_T2_T3_T4_T5_, .Lfunc_end212-_ZN2at6native27unrolled_elementwise_kernelIZZZNS0_12_GLOBAL__N_119launch_clamp_scalarERNS_18TensorIteratorBaseEN3c106ScalarES6_NS0_6detail11ClampLimitsEENKUlvE_clEvENKUlvE4_clEvEUldE_St5arrayIPcLm2EELi4E23TrivialOffsetCalculatorILi1EjESG_NS0_6memory15LoadWithoutCastENSH_16StoreWithoutCastEEEviT_T0_T2_T3_T4_T5_
                                        ; -- End function
	.set _ZN2at6native27unrolled_elementwise_kernelIZZZNS0_12_GLOBAL__N_119launch_clamp_scalarERNS_18TensorIteratorBaseEN3c106ScalarES6_NS0_6detail11ClampLimitsEENKUlvE_clEvENKUlvE4_clEvEUldE_St5arrayIPcLm2EELi4E23TrivialOffsetCalculatorILi1EjESG_NS0_6memory15LoadWithoutCastENSH_16StoreWithoutCastEEEviT_T0_T2_T3_T4_T5_.num_vgpr, 25
	.set _ZN2at6native27unrolled_elementwise_kernelIZZZNS0_12_GLOBAL__N_119launch_clamp_scalarERNS_18TensorIteratorBaseEN3c106ScalarES6_NS0_6detail11ClampLimitsEENKUlvE_clEvENKUlvE4_clEvEUldE_St5arrayIPcLm2EELi4E23TrivialOffsetCalculatorILi1EjESG_NS0_6memory15LoadWithoutCastENSH_16StoreWithoutCastEEEviT_T0_T2_T3_T4_T5_.num_agpr, 0
	.set _ZN2at6native27unrolled_elementwise_kernelIZZZNS0_12_GLOBAL__N_119launch_clamp_scalarERNS_18TensorIteratorBaseEN3c106ScalarES6_NS0_6detail11ClampLimitsEENKUlvE_clEvENKUlvE4_clEvEUldE_St5arrayIPcLm2EELi4E23TrivialOffsetCalculatorILi1EjESG_NS0_6memory15LoadWithoutCastENSH_16StoreWithoutCastEEEviT_T0_T2_T3_T4_T5_.numbered_sgpr, 14
	.set _ZN2at6native27unrolled_elementwise_kernelIZZZNS0_12_GLOBAL__N_119launch_clamp_scalarERNS_18TensorIteratorBaseEN3c106ScalarES6_NS0_6detail11ClampLimitsEENKUlvE_clEvENKUlvE4_clEvEUldE_St5arrayIPcLm2EELi4E23TrivialOffsetCalculatorILi1EjESG_NS0_6memory15LoadWithoutCastENSH_16StoreWithoutCastEEEviT_T0_T2_T3_T4_T5_.num_named_barrier, 0
	.set _ZN2at6native27unrolled_elementwise_kernelIZZZNS0_12_GLOBAL__N_119launch_clamp_scalarERNS_18TensorIteratorBaseEN3c106ScalarES6_NS0_6detail11ClampLimitsEENKUlvE_clEvENKUlvE4_clEvEUldE_St5arrayIPcLm2EELi4E23TrivialOffsetCalculatorILi1EjESG_NS0_6memory15LoadWithoutCastENSH_16StoreWithoutCastEEEviT_T0_T2_T3_T4_T5_.private_seg_size, 0
	.set _ZN2at6native27unrolled_elementwise_kernelIZZZNS0_12_GLOBAL__N_119launch_clamp_scalarERNS_18TensorIteratorBaseEN3c106ScalarES6_NS0_6detail11ClampLimitsEENKUlvE_clEvENKUlvE4_clEvEUldE_St5arrayIPcLm2EELi4E23TrivialOffsetCalculatorILi1EjESG_NS0_6memory15LoadWithoutCastENSH_16StoreWithoutCastEEEviT_T0_T2_T3_T4_T5_.uses_vcc, 1
	.set _ZN2at6native27unrolled_elementwise_kernelIZZZNS0_12_GLOBAL__N_119launch_clamp_scalarERNS_18TensorIteratorBaseEN3c106ScalarES6_NS0_6detail11ClampLimitsEENKUlvE_clEvENKUlvE4_clEvEUldE_St5arrayIPcLm2EELi4E23TrivialOffsetCalculatorILi1EjESG_NS0_6memory15LoadWithoutCastENSH_16StoreWithoutCastEEEviT_T0_T2_T3_T4_T5_.uses_flat_scratch, 0
	.set _ZN2at6native27unrolled_elementwise_kernelIZZZNS0_12_GLOBAL__N_119launch_clamp_scalarERNS_18TensorIteratorBaseEN3c106ScalarES6_NS0_6detail11ClampLimitsEENKUlvE_clEvENKUlvE4_clEvEUldE_St5arrayIPcLm2EELi4E23TrivialOffsetCalculatorILi1EjESG_NS0_6memory15LoadWithoutCastENSH_16StoreWithoutCastEEEviT_T0_T2_T3_T4_T5_.has_dyn_sized_stack, 0
	.set _ZN2at6native27unrolled_elementwise_kernelIZZZNS0_12_GLOBAL__N_119launch_clamp_scalarERNS_18TensorIteratorBaseEN3c106ScalarES6_NS0_6detail11ClampLimitsEENKUlvE_clEvENKUlvE4_clEvEUldE_St5arrayIPcLm2EELi4E23TrivialOffsetCalculatorILi1EjESG_NS0_6memory15LoadWithoutCastENSH_16StoreWithoutCastEEEviT_T0_T2_T3_T4_T5_.has_recursion, 0
	.set _ZN2at6native27unrolled_elementwise_kernelIZZZNS0_12_GLOBAL__N_119launch_clamp_scalarERNS_18TensorIteratorBaseEN3c106ScalarES6_NS0_6detail11ClampLimitsEENKUlvE_clEvENKUlvE4_clEvEUldE_St5arrayIPcLm2EELi4E23TrivialOffsetCalculatorILi1EjESG_NS0_6memory15LoadWithoutCastENSH_16StoreWithoutCastEEEviT_T0_T2_T3_T4_T5_.has_indirect_call, 0
	.section	.AMDGPU.csdata,"",@progbits
; Kernel info:
; codeLenInByte = 1552
; TotalNumSgprs: 16
; NumVgprs: 25
; ScratchSize: 0
; MemoryBound: 0
; FloatMode: 240
; IeeeMode: 1
; LDSByteSize: 0 bytes/workgroup (compile time only)
; SGPRBlocks: 0
; VGPRBlocks: 1
; NumSGPRsForWavesPerEU: 16
; NumVGPRsForWavesPerEU: 25
; NamedBarCnt: 0
; Occupancy: 16
; WaveLimiterHint : 0
; COMPUTE_PGM_RSRC2:SCRATCH_EN: 0
; COMPUTE_PGM_RSRC2:USER_SGPR: 2
; COMPUTE_PGM_RSRC2:TRAP_HANDLER: 0
; COMPUTE_PGM_RSRC2:TGID_X_EN: 1
; COMPUTE_PGM_RSRC2:TGID_Y_EN: 0
; COMPUTE_PGM_RSRC2:TGID_Z_EN: 0
; COMPUTE_PGM_RSRC2:TIDIG_COMP_CNT: 0
	.section	.text._ZN2at6native32elementwise_kernel_manual_unrollILi128ELi4EZNS0_22gpu_kernel_impl_nocastIZZZNS0_12_GLOBAL__N_119launch_clamp_scalarERNS_18TensorIteratorBaseEN3c106ScalarES7_NS0_6detail11ClampLimitsEENKUlvE_clEvENKUlvE4_clEvEUldE_EEvS5_RKT_EUlibE_EEviT1_,"axG",@progbits,_ZN2at6native32elementwise_kernel_manual_unrollILi128ELi4EZNS0_22gpu_kernel_impl_nocastIZZZNS0_12_GLOBAL__N_119launch_clamp_scalarERNS_18TensorIteratorBaseEN3c106ScalarES7_NS0_6detail11ClampLimitsEENKUlvE_clEvENKUlvE4_clEvEUldE_EEvS5_RKT_EUlibE_EEviT1_,comdat
	.globl	_ZN2at6native32elementwise_kernel_manual_unrollILi128ELi4EZNS0_22gpu_kernel_impl_nocastIZZZNS0_12_GLOBAL__N_119launch_clamp_scalarERNS_18TensorIteratorBaseEN3c106ScalarES7_NS0_6detail11ClampLimitsEENKUlvE_clEvENKUlvE4_clEvEUldE_EEvS5_RKT_EUlibE_EEviT1_ ; -- Begin function _ZN2at6native32elementwise_kernel_manual_unrollILi128ELi4EZNS0_22gpu_kernel_impl_nocastIZZZNS0_12_GLOBAL__N_119launch_clamp_scalarERNS_18TensorIteratorBaseEN3c106ScalarES7_NS0_6detail11ClampLimitsEENKUlvE_clEvENKUlvE4_clEvEUldE_EEvS5_RKT_EUlibE_EEviT1_
	.p2align	8
	.type	_ZN2at6native32elementwise_kernel_manual_unrollILi128ELi4EZNS0_22gpu_kernel_impl_nocastIZZZNS0_12_GLOBAL__N_119launch_clamp_scalarERNS_18TensorIteratorBaseEN3c106ScalarES7_NS0_6detail11ClampLimitsEENKUlvE_clEvENKUlvE4_clEvEUldE_EEvS5_RKT_EUlibE_EEviT1_,@function
_ZN2at6native32elementwise_kernel_manual_unrollILi128ELi4EZNS0_22gpu_kernel_impl_nocastIZZZNS0_12_GLOBAL__N_119launch_clamp_scalarERNS_18TensorIteratorBaseEN3c106ScalarES7_NS0_6detail11ClampLimitsEENKUlvE_clEvENKUlvE4_clEvEUldE_EEvS5_RKT_EUlibE_EEviT1_: ; @_ZN2at6native32elementwise_kernel_manual_unrollILi128ELi4EZNS0_22gpu_kernel_impl_nocastIZZZNS0_12_GLOBAL__N_119launch_clamp_scalarERNS_18TensorIteratorBaseEN3c106ScalarES7_NS0_6detail11ClampLimitsEENKUlvE_clEvENKUlvE4_clEvEUldE_EEvS5_RKT_EUlibE_EEviT1_
; %bb.0:
	s_clause 0x1
	s_load_b32 s33, s[0:1], 0x8
	s_load_b32 s39, s[0:1], 0x0
	s_bfe_u32 s2, ttmp6, 0x4000c
	s_and_b32 s3, ttmp6, 15
	s_add_co_i32 s2, s2, 1
	s_getreg_b32 s4, hwreg(HW_REG_IB_STS2, 6, 4)
	s_mul_i32 s2, ttmp9, s2
	s_add_nc_u64 s[16:17], s[0:1], 8
	s_add_co_i32 s3, s3, s2
	s_cmp_eq_u32 s4, 0
	s_mov_b32 s21, 0
	s_cselect_b32 s2, ttmp9, s3
	s_wait_xcnt 0x0
	s_mov_b32 s0, exec_lo
	v_lshl_or_b32 v0, s2, 9, v0
	s_delay_alu instid0(VALU_DEP_1) | instskip(SKIP_2) | instid1(SALU_CYCLE_1)
	v_or_b32_e32 v8, 0x180, v0
	s_wait_kmcnt 0x0
	s_add_co_i32 s34, s33, -1
	s_cmp_gt_u32 s34, 1
	s_cselect_b32 s35, -1, 0
	v_cmpx_le_i32_e64 s39, v8
	s_xor_b32 s36, exec_lo, s0
	s_cbranch_execz .LBB213_7
; %bb.1:
	s_clause 0x5
	s_load_b128 s[8:11], s[16:17], 0x4
	s_load_b64 s[18:19], s[16:17], 0x14
	s_load_b128 s[12:15], s[16:17], 0xc4
	s_load_b128 s[0:3], s[16:17], 0x148
	s_load_b32 s37, s[16:17], 0x158
	s_load_b128 s[4:7], s[16:17], 0x160
	s_cmp_lg_u32 s33, 0
	s_add_nc_u64 s[24:25], s[16:17], 0xc4
	s_cselect_b32 s41, -1, 0
	s_min_u32 s40, s34, 15
	s_cmp_gt_u32 s33, 1
	s_mov_b32 s23, s21
	s_cselect_b32 s38, -1, 0
	s_wait_kmcnt 0x0
	s_mov_b32 s20, s9
	s_mov_b32 s22, s18
	s_mov_b32 s9, exec_lo
	v_cmpx_gt_i32_e64 s39, v0
	s_cbranch_execz .LBB213_14
; %bb.2:
	s_and_not1_b32 vcc_lo, exec_lo, s35
	s_cbranch_vccnz .LBB213_21
; %bb.3:
	s_and_not1_b32 vcc_lo, exec_lo, s41
	s_cbranch_vccnz .LBB213_121
; %bb.4:
	s_add_co_i32 s18, s40, 1
	s_cmp_eq_u32 s34, 2
	s_cbranch_scc1 .LBB213_123
; %bb.5:
	v_dual_mov_b32 v2, 0 :: v_dual_mov_b32 v3, 0
	v_mov_b32_e32 v1, v0
	s_and_b32 s26, s18, 28
	s_mov_b32 s27, 0
	s_mov_b64 s[28:29], s[16:17]
	s_mov_b64 s[30:31], s[24:25]
.LBB213_6:                              ; =>This Inner Loop Header: Depth=1
	s_clause 0x1
	s_load_b256 s[44:51], s[28:29], 0x4
	s_load_b128 s[60:63], s[28:29], 0x24
	s_load_b256 s[52:59], s[30:31], 0x0
	s_add_co_i32 s27, s27, 4
	s_wait_xcnt 0x0
	s_add_nc_u64 s[28:29], s[28:29], 48
	s_cmp_lg_u32 s26, s27
	s_add_nc_u64 s[30:31], s[30:31], 32
	s_wait_kmcnt 0x0
	v_mul_hi_u32 v4, s45, v1
	s_delay_alu instid0(VALU_DEP_1) | instskip(NEXT) | instid1(VALU_DEP_1)
	v_add_nc_u32_e32 v4, v1, v4
	v_lshrrev_b32_e32 v4, s46, v4
	s_delay_alu instid0(VALU_DEP_1) | instskip(NEXT) | instid1(VALU_DEP_1)
	v_mul_hi_u32 v5, s48, v4
	v_add_nc_u32_e32 v5, v4, v5
	s_delay_alu instid0(VALU_DEP_1) | instskip(NEXT) | instid1(VALU_DEP_1)
	v_lshrrev_b32_e32 v5, s49, v5
	v_mul_hi_u32 v6, s51, v5
	s_delay_alu instid0(VALU_DEP_1) | instskip(SKIP_1) | instid1(VALU_DEP_1)
	v_add_nc_u32_e32 v6, v5, v6
	v_mul_lo_u32 v7, v4, s44
	v_sub_nc_u32_e32 v1, v1, v7
	v_mul_lo_u32 v7, v5, s47
	s_delay_alu instid0(VALU_DEP_4) | instskip(NEXT) | instid1(VALU_DEP_3)
	v_lshrrev_b32_e32 v6, s60, v6
	v_mad_u32 v3, v1, s53, v3
	v_mad_u32 v1, v1, s52, v2
	s_delay_alu instid0(VALU_DEP_4) | instskip(NEXT) | instid1(VALU_DEP_4)
	v_sub_nc_u32_e32 v2, v4, v7
	v_mul_hi_u32 v8, s62, v6
	v_mul_lo_u32 v4, v6, s50
	s_delay_alu instid0(VALU_DEP_3) | instskip(SKIP_1) | instid1(VALU_DEP_4)
	v_mad_u32 v3, v2, s55, v3
	v_mad_u32 v2, v2, s54, v1
	v_add_nc_u32_e32 v7, v6, v8
	s_delay_alu instid0(VALU_DEP_1) | instskip(NEXT) | instid1(VALU_DEP_1)
	v_dual_sub_nc_u32 v4, v5, v4 :: v_dual_lshrrev_b32 v1, s63, v7
	v_mad_u32 v3, v4, s57, v3
	s_delay_alu instid0(VALU_DEP_4) | instskip(NEXT) | instid1(VALU_DEP_3)
	v_mad_u32 v2, v4, s56, v2
	v_mul_lo_u32 v5, v1, s61
	s_delay_alu instid0(VALU_DEP_1) | instskip(NEXT) | instid1(VALU_DEP_1)
	v_sub_nc_u32_e32 v4, v6, v5
	v_mad_u32 v3, v4, s59, v3
	s_delay_alu instid0(VALU_DEP_4)
	v_mad_u32 v2, v4, s58, v2
	s_cbranch_scc1 .LBB213_6
	s_branch .LBB213_124
.LBB213_7:
	s_and_not1_saveexec_b32 s0, s36
	s_cbranch_execz .LBB213_187
.LBB213_8:
	v_cndmask_b32_e64 v6, 0, 1, s35
	s_and_not1_b32 vcc_lo, exec_lo, s35
	s_cbranch_vccnz .LBB213_20
; %bb.9:
	s_cmp_lg_u32 s33, 0
	s_mov_b32 s6, 0
	s_cbranch_scc0 .LBB213_23
; %bb.10:
	s_min_u32 s1, s34, 15
	s_delay_alu instid0(SALU_CYCLE_1)
	s_add_co_i32 s1, s1, 1
	s_cmp_eq_u32 s34, 2
	s_cbranch_scc1 .LBB213_24
; %bb.11:
	v_dual_mov_b32 v2, 0 :: v_dual_mov_b32 v3, 0
	v_mov_b32_e32 v1, v0
	s_and_b32 s0, s1, 28
	s_add_nc_u64 s[2:3], s[16:17], 0xc4
	s_mov_b32 s7, 0
	s_mov_b64 s[4:5], s[16:17]
.LBB213_12:                             ; =>This Inner Loop Header: Depth=1
	s_clause 0x1
	s_load_b256 s[8:15], s[4:5], 0x4
	s_load_b128 s[28:31], s[4:5], 0x24
	s_load_b256 s[20:27], s[2:3], 0x0
	s_add_co_i32 s7, s7, 4
	s_wait_xcnt 0x0
	s_add_nc_u64 s[4:5], s[4:5], 48
	s_cmp_lg_u32 s0, s7
	s_add_nc_u64 s[2:3], s[2:3], 32
	s_wait_kmcnt 0x0
	v_mul_hi_u32 v4, s9, v1
	s_delay_alu instid0(VALU_DEP_1) | instskip(NEXT) | instid1(VALU_DEP_1)
	v_add_nc_u32_e32 v4, v1, v4
	v_lshrrev_b32_e32 v4, s10, v4
	s_delay_alu instid0(VALU_DEP_1) | instskip(NEXT) | instid1(VALU_DEP_1)
	v_mul_hi_u32 v5, s12, v4
	v_add_nc_u32_e32 v5, v4, v5
	s_delay_alu instid0(VALU_DEP_1) | instskip(NEXT) | instid1(VALU_DEP_1)
	v_lshrrev_b32_e32 v5, s13, v5
	v_mul_hi_u32 v7, s15, v5
	s_delay_alu instid0(VALU_DEP_1) | instskip(SKIP_1) | instid1(VALU_DEP_2)
	v_add_nc_u32_e32 v7, v5, v7
	v_mul_lo_u32 v9, v4, s8
	v_lshrrev_b32_e32 v7, s28, v7
	s_delay_alu instid0(VALU_DEP_1) | instskip(NEXT) | instid1(VALU_DEP_3)
	v_mul_hi_u32 v10, s30, v7
	v_sub_nc_u32_e32 v1, v1, v9
	v_mul_lo_u32 v9, v5, s11
	s_delay_alu instid0(VALU_DEP_2) | instskip(SKIP_1) | instid1(VALU_DEP_3)
	v_mad_u32 v3, v1, s21, v3
	v_mad_u32 v1, v1, s20, v2
	v_sub_nc_u32_e32 v2, v4, v9
	v_mul_lo_u32 v4, v7, s14
	v_add_nc_u32_e32 v9, v7, v10
	s_delay_alu instid0(VALU_DEP_3) | instskip(SKIP_1) | instid1(VALU_DEP_3)
	v_mad_u32 v3, v2, s23, v3
	v_mad_u32 v2, v2, s22, v1
	v_dual_sub_nc_u32 v4, v5, v4 :: v_dual_lshrrev_b32 v1, s31, v9
	s_delay_alu instid0(VALU_DEP_1) | instskip(NEXT) | instid1(VALU_DEP_2)
	v_mad_u32 v3, v4, s25, v3
	v_mul_lo_u32 v5, v1, s29
	s_delay_alu instid0(VALU_DEP_4) | instskip(NEXT) | instid1(VALU_DEP_2)
	v_mad_u32 v2, v4, s24, v2
	v_sub_nc_u32_e32 v4, v7, v5
	s_delay_alu instid0(VALU_DEP_1) | instskip(NEXT) | instid1(VALU_DEP_3)
	v_mad_u32 v3, v4, s27, v3
	v_mad_u32 v2, v4, s26, v2
	s_cbranch_scc1 .LBB213_12
; %bb.13:
	s_and_b32 s4, s1, 3
	s_mov_b32 s1, 0
	s_cmp_eq_u32 s4, 0
	s_cbranch_scc0 .LBB213_25
	s_branch .LBB213_27
.LBB213_14:
	s_or_b32 exec_lo, exec_lo, s9
	s_delay_alu instid0(SALU_CYCLE_1)
	s_mov_b32 s9, exec_lo
	v_cmpx_gt_i32_e64 s39, v0
	s_cbranch_execz .LBB213_156
.LBB213_15:
	s_and_not1_b32 vcc_lo, exec_lo, s35
	s_cbranch_vccnz .LBB213_22
; %bb.16:
	s_and_not1_b32 vcc_lo, exec_lo, s41
	s_cbranch_vccnz .LBB213_122
; %bb.17:
	s_add_co_i32 s18, s40, 1
	s_cmp_eq_u32 s34, 2
	s_cbranch_scc1 .LBB213_135
; %bb.18:
	v_dual_mov_b32 v2, 0 :: v_dual_mov_b32 v3, 0
	v_mov_b32_e32 v1, v0
	s_and_b32 s26, s18, 28
	s_mov_b32 s27, 0
	s_mov_b64 s[28:29], s[16:17]
	s_mov_b64 s[30:31], s[24:25]
.LBB213_19:                             ; =>This Inner Loop Header: Depth=1
	s_clause 0x1
	s_load_b256 s[44:51], s[28:29], 0x4
	s_load_b128 s[60:63], s[28:29], 0x24
	s_load_b256 s[52:59], s[30:31], 0x0
	s_add_co_i32 s27, s27, 4
	s_wait_xcnt 0x0
	s_add_nc_u64 s[28:29], s[28:29], 48
	s_cmp_eq_u32 s26, s27
	s_add_nc_u64 s[30:31], s[30:31], 32
	s_wait_kmcnt 0x0
	v_mul_hi_u32 v4, s45, v1
	s_delay_alu instid0(VALU_DEP_1) | instskip(NEXT) | instid1(VALU_DEP_1)
	v_add_nc_u32_e32 v4, v1, v4
	v_lshrrev_b32_e32 v4, s46, v4
	s_delay_alu instid0(VALU_DEP_1) | instskip(NEXT) | instid1(VALU_DEP_1)
	v_mul_hi_u32 v5, s48, v4
	v_add_nc_u32_e32 v5, v4, v5
	s_delay_alu instid0(VALU_DEP_1) | instskip(NEXT) | instid1(VALU_DEP_1)
	v_lshrrev_b32_e32 v5, s49, v5
	v_mul_hi_u32 v6, s51, v5
	s_delay_alu instid0(VALU_DEP_1) | instskip(SKIP_1) | instid1(VALU_DEP_1)
	v_add_nc_u32_e32 v6, v5, v6
	v_mul_lo_u32 v7, v4, s44
	v_sub_nc_u32_e32 v1, v1, v7
	v_mul_lo_u32 v7, v5, s47
	s_delay_alu instid0(VALU_DEP_4) | instskip(NEXT) | instid1(VALU_DEP_3)
	v_lshrrev_b32_e32 v6, s60, v6
	v_mad_u32 v3, v1, s53, v3
	v_mad_u32 v1, v1, s52, v2
	s_delay_alu instid0(VALU_DEP_4) | instskip(NEXT) | instid1(VALU_DEP_4)
	v_sub_nc_u32_e32 v2, v4, v7
	v_mul_hi_u32 v8, s62, v6
	v_mul_lo_u32 v4, v6, s50
	s_delay_alu instid0(VALU_DEP_3) | instskip(SKIP_1) | instid1(VALU_DEP_4)
	v_mad_u32 v3, v2, s55, v3
	v_mad_u32 v2, v2, s54, v1
	v_add_nc_u32_e32 v7, v6, v8
	s_delay_alu instid0(VALU_DEP_1) | instskip(NEXT) | instid1(VALU_DEP_1)
	v_dual_sub_nc_u32 v4, v5, v4 :: v_dual_lshrrev_b32 v1, s63, v7
	v_mad_u32 v3, v4, s57, v3
	s_delay_alu instid0(VALU_DEP_4) | instskip(NEXT) | instid1(VALU_DEP_3)
	v_mad_u32 v2, v4, s56, v2
	v_mul_lo_u32 v5, v1, s61
	s_delay_alu instid0(VALU_DEP_1) | instskip(NEXT) | instid1(VALU_DEP_1)
	v_sub_nc_u32_e32 v4, v6, v5
	v_mad_u32 v3, v4, s59, v3
	s_delay_alu instid0(VALU_DEP_4)
	v_mad_u32 v2, v4, s58, v2
	s_cbranch_scc0 .LBB213_19
	s_branch .LBB213_136
.LBB213_20:
	s_mov_b32 s6, -1
                                        ; implicit-def: $vgpr3
	s_branch .LBB213_27
.LBB213_21:
                                        ; implicit-def: $vgpr3
	s_branch .LBB213_128
.LBB213_22:
                                        ; implicit-def: $vgpr3
	s_branch .LBB213_140
.LBB213_23:
	v_dual_mov_b32 v3, 0 :: v_dual_mov_b32 v2, 0
	s_branch .LBB213_27
.LBB213_24:
	v_mov_b64_e32 v[2:3], 0
	v_mov_b32_e32 v1, v0
	s_mov_b32 s0, 0
	s_and_b32 s4, s1, 3
	s_mov_b32 s1, 0
	s_cmp_eq_u32 s4, 0
	s_cbranch_scc1 .LBB213_27
.LBB213_25:
	s_lshl_b32 s2, s0, 3
	s_mov_b32 s3, s1
	s_mul_u64 s[8:9], s[0:1], 12
	s_add_nc_u64 s[2:3], s[16:17], s[2:3]
	s_delay_alu instid0(SALU_CYCLE_1)
	s_add_nc_u64 s[0:1], s[2:3], 0xc4
	s_add_nc_u64 s[2:3], s[16:17], s[8:9]
.LBB213_26:                             ; =>This Inner Loop Header: Depth=1
	s_load_b96 s[8:10], s[2:3], 0x4
	s_add_co_i32 s4, s4, -1
	s_wait_xcnt 0x0
	s_add_nc_u64 s[2:3], s[2:3], 12
	s_cmp_lg_u32 s4, 0
	s_wait_kmcnt 0x0
	v_mul_hi_u32 v4, s9, v1
	s_delay_alu instid0(VALU_DEP_1) | instskip(NEXT) | instid1(VALU_DEP_1)
	v_add_nc_u32_e32 v4, v1, v4
	v_lshrrev_b32_e32 v4, s10, v4
	s_load_b64 s[10:11], s[0:1], 0x0
	s_wait_xcnt 0x0
	s_add_nc_u64 s[0:1], s[0:1], 8
	s_delay_alu instid0(VALU_DEP_1) | instskip(NEXT) | instid1(VALU_DEP_1)
	v_mul_lo_u32 v5, v4, s8
	v_sub_nc_u32_e32 v1, v1, v5
	s_wait_kmcnt 0x0
	s_delay_alu instid0(VALU_DEP_1)
	v_mad_u32 v3, v1, s11, v3
	v_mad_u32 v2, v1, s10, v2
	v_mov_b32_e32 v1, v4
	s_cbranch_scc1 .LBB213_26
.LBB213_27:
	s_and_not1_b32 vcc_lo, exec_lo, s6
	s_cbranch_vccnz .LBB213_30
; %bb.28:
	s_clause 0x1
	s_load_b96 s[0:2], s[16:17], 0x4
	s_load_b64 s[4:5], s[16:17], 0xc4
	s_cmp_lt_u32 s33, 2
	s_wait_kmcnt 0x0
	v_mul_hi_u32 v1, s1, v0
	s_delay_alu instid0(VALU_DEP_1) | instskip(NEXT) | instid1(VALU_DEP_1)
	v_add_nc_u32_e32 v1, v0, v1
	v_lshrrev_b32_e32 v1, s2, v1
	s_delay_alu instid0(VALU_DEP_1) | instskip(NEXT) | instid1(VALU_DEP_1)
	v_mul_lo_u32 v2, v1, s0
	v_sub_nc_u32_e32 v2, v0, v2
	s_delay_alu instid0(VALU_DEP_1)
	v_mul_lo_u32 v3, v2, s5
	v_mul_lo_u32 v2, v2, s4
	s_cbranch_scc1 .LBB213_30
; %bb.29:
	s_clause 0x1
	s_load_b96 s[0:2], s[16:17], 0x10
	s_load_b64 s[4:5], s[16:17], 0xcc
	s_wait_kmcnt 0x0
	v_mul_hi_u32 v4, s1, v1
	s_delay_alu instid0(VALU_DEP_1) | instskip(NEXT) | instid1(VALU_DEP_1)
	v_add_nc_u32_e32 v4, v1, v4
	v_lshrrev_b32_e32 v4, s2, v4
	s_delay_alu instid0(VALU_DEP_1) | instskip(NEXT) | instid1(VALU_DEP_1)
	v_mul_lo_u32 v4, v4, s0
	v_sub_nc_u32_e32 v1, v1, v4
	s_delay_alu instid0(VALU_DEP_1)
	v_mad_u32 v2, v1, s4, v2
	v_mad_u32 v3, v1, s5, v3
.LBB213_30:
	v_cmp_ne_u32_e32 vcc_lo, 1, v6
	v_add_nc_u32_e32 v1, 0x80, v0
	s_cbranch_vccnz .LBB213_36
; %bb.31:
	s_cmp_lg_u32 s33, 0
	s_mov_b32 s6, 0
	s_cbranch_scc0 .LBB213_37
; %bb.32:
	s_min_u32 s1, s34, 15
	s_delay_alu instid0(SALU_CYCLE_1)
	s_add_co_i32 s1, s1, 1
	s_cmp_eq_u32 s34, 2
	s_cbranch_scc1 .LBB213_38
; %bb.33:
	v_dual_mov_b32 v4, 0 :: v_dual_mov_b32 v5, 0
	v_mov_b32_e32 v7, v1
	s_and_b32 s0, s1, 28
	s_add_nc_u64 s[2:3], s[16:17], 0xc4
	s_mov_b32 s7, 0
	s_mov_b64 s[4:5], s[16:17]
.LBB213_34:                             ; =>This Inner Loop Header: Depth=1
	s_clause 0x1
	s_load_b256 s[8:15], s[4:5], 0x4
	s_load_b128 s[28:31], s[4:5], 0x24
	s_load_b256 s[20:27], s[2:3], 0x0
	s_add_co_i32 s7, s7, 4
	s_wait_xcnt 0x0
	s_add_nc_u64 s[4:5], s[4:5], 48
	s_cmp_lg_u32 s0, s7
	s_add_nc_u64 s[2:3], s[2:3], 32
	s_wait_kmcnt 0x0
	v_mul_hi_u32 v9, s9, v7
	s_delay_alu instid0(VALU_DEP_1) | instskip(NEXT) | instid1(VALU_DEP_1)
	v_add_nc_u32_e32 v9, v7, v9
	v_lshrrev_b32_e32 v9, s10, v9
	s_delay_alu instid0(VALU_DEP_1) | instskip(NEXT) | instid1(VALU_DEP_1)
	v_mul_hi_u32 v10, s12, v9
	v_add_nc_u32_e32 v10, v9, v10
	s_delay_alu instid0(VALU_DEP_1) | instskip(NEXT) | instid1(VALU_DEP_1)
	v_lshrrev_b32_e32 v10, s13, v10
	v_mul_hi_u32 v11, s15, v10
	s_delay_alu instid0(VALU_DEP_1) | instskip(SKIP_1) | instid1(VALU_DEP_1)
	v_add_nc_u32_e32 v11, v10, v11
	v_mul_lo_u32 v12, v9, s8
	v_sub_nc_u32_e32 v7, v7, v12
	v_mul_lo_u32 v12, v10, s11
	s_delay_alu instid0(VALU_DEP_4) | instskip(NEXT) | instid1(VALU_DEP_3)
	v_lshrrev_b32_e32 v11, s28, v11
	v_mad_u32 v5, v7, s21, v5
	v_mad_u32 v4, v7, s20, v4
	s_delay_alu instid0(VALU_DEP_4) | instskip(NEXT) | instid1(VALU_DEP_4)
	v_sub_nc_u32_e32 v7, v9, v12
	v_mul_hi_u32 v13, s30, v11
	v_mul_lo_u32 v9, v11, s14
	s_delay_alu instid0(VALU_DEP_3) | instskip(SKIP_1) | instid1(VALU_DEP_4)
	v_mad_u32 v5, v7, s23, v5
	v_mad_u32 v4, v7, s22, v4
	v_add_nc_u32_e32 v12, v11, v13
	s_delay_alu instid0(VALU_DEP_1) | instskip(NEXT) | instid1(VALU_DEP_1)
	v_dual_sub_nc_u32 v9, v10, v9 :: v_dual_lshrrev_b32 v7, s31, v12
	v_mad_u32 v5, v9, s25, v5
	s_delay_alu instid0(VALU_DEP_4) | instskip(NEXT) | instid1(VALU_DEP_3)
	v_mad_u32 v4, v9, s24, v4
	v_mul_lo_u32 v10, v7, s29
	s_delay_alu instid0(VALU_DEP_1) | instskip(NEXT) | instid1(VALU_DEP_1)
	v_sub_nc_u32_e32 v9, v11, v10
	v_mad_u32 v5, v9, s27, v5
	s_delay_alu instid0(VALU_DEP_4)
	v_mad_u32 v4, v9, s26, v4
	s_cbranch_scc1 .LBB213_34
; %bb.35:
	s_and_b32 s4, s1, 3
	s_mov_b32 s1, 0
	s_cmp_eq_u32 s4, 0
	s_cbranch_scc0 .LBB213_39
	s_branch .LBB213_41
.LBB213_36:
	s_mov_b32 s6, -1
                                        ; implicit-def: $vgpr5
	s_branch .LBB213_41
.LBB213_37:
	v_dual_mov_b32 v5, 0 :: v_dual_mov_b32 v4, 0
	s_branch .LBB213_41
.LBB213_38:
	v_mov_b64_e32 v[4:5], 0
	v_mov_b32_e32 v7, v1
	s_mov_b32 s0, 0
	s_and_b32 s4, s1, 3
	s_mov_b32 s1, 0
	s_cmp_eq_u32 s4, 0
	s_cbranch_scc1 .LBB213_41
.LBB213_39:
	s_lshl_b32 s2, s0, 3
	s_mov_b32 s3, s1
	s_mul_u64 s[8:9], s[0:1], 12
	s_add_nc_u64 s[2:3], s[16:17], s[2:3]
	s_delay_alu instid0(SALU_CYCLE_1)
	s_add_nc_u64 s[0:1], s[2:3], 0xc4
	s_add_nc_u64 s[2:3], s[16:17], s[8:9]
.LBB213_40:                             ; =>This Inner Loop Header: Depth=1
	s_load_b96 s[8:10], s[2:3], 0x4
	s_add_co_i32 s4, s4, -1
	s_wait_xcnt 0x0
	s_add_nc_u64 s[2:3], s[2:3], 12
	s_cmp_lg_u32 s4, 0
	s_wait_kmcnt 0x0
	v_mul_hi_u32 v9, s9, v7
	s_delay_alu instid0(VALU_DEP_1) | instskip(NEXT) | instid1(VALU_DEP_1)
	v_add_nc_u32_e32 v9, v7, v9
	v_lshrrev_b32_e32 v9, s10, v9
	s_load_b64 s[10:11], s[0:1], 0x0
	s_wait_xcnt 0x0
	s_add_nc_u64 s[0:1], s[0:1], 8
	s_delay_alu instid0(VALU_DEP_1) | instskip(NEXT) | instid1(VALU_DEP_1)
	v_mul_lo_u32 v10, v9, s8
	v_sub_nc_u32_e32 v7, v7, v10
	s_wait_kmcnt 0x0
	s_delay_alu instid0(VALU_DEP_1)
	v_mad_u32 v5, v7, s11, v5
	v_mad_u32 v4, v7, s10, v4
	v_mov_b32_e32 v7, v9
	s_cbranch_scc1 .LBB213_40
.LBB213_41:
	s_and_not1_b32 vcc_lo, exec_lo, s6
	s_cbranch_vccnz .LBB213_44
; %bb.42:
	s_clause 0x1
	s_load_b96 s[0:2], s[16:17], 0x4
	s_load_b64 s[4:5], s[16:17], 0xc4
	s_cmp_lt_u32 s33, 2
	s_wait_kmcnt 0x0
	v_mul_hi_u32 v4, s1, v1
	s_delay_alu instid0(VALU_DEP_1) | instskip(NEXT) | instid1(VALU_DEP_1)
	v_add_nc_u32_e32 v4, v1, v4
	v_lshrrev_b32_e32 v7, s2, v4
	s_delay_alu instid0(VALU_DEP_1) | instskip(NEXT) | instid1(VALU_DEP_1)
	v_mul_lo_u32 v4, v7, s0
	v_sub_nc_u32_e32 v1, v1, v4
	s_delay_alu instid0(VALU_DEP_1)
	v_mul_lo_u32 v5, v1, s5
	v_mul_lo_u32 v4, v1, s4
	s_cbranch_scc1 .LBB213_44
; %bb.43:
	s_clause 0x1
	s_load_b96 s[0:2], s[16:17], 0x10
	s_load_b64 s[4:5], s[16:17], 0xcc
	s_wait_kmcnt 0x0
	v_mul_hi_u32 v1, s1, v7
	s_delay_alu instid0(VALU_DEP_1) | instskip(NEXT) | instid1(VALU_DEP_1)
	v_add_nc_u32_e32 v1, v7, v1
	v_lshrrev_b32_e32 v1, s2, v1
	s_delay_alu instid0(VALU_DEP_1) | instskip(NEXT) | instid1(VALU_DEP_1)
	v_mul_lo_u32 v1, v1, s0
	v_sub_nc_u32_e32 v1, v7, v1
	s_delay_alu instid0(VALU_DEP_1)
	v_mad_u32 v4, v1, s4, v4
	v_mad_u32 v5, v1, s5, v5
.LBB213_44:
	v_cmp_ne_u32_e32 vcc_lo, 1, v6
	v_add_nc_u32_e32 v7, 0x100, v0
	s_cbranch_vccnz .LBB213_50
; %bb.45:
	s_cmp_lg_u32 s33, 0
	s_mov_b32 s6, 0
	s_cbranch_scc0 .LBB213_51
; %bb.46:
	s_min_u32 s1, s34, 15
	s_delay_alu instid0(SALU_CYCLE_1)
	s_add_co_i32 s1, s1, 1
	s_cmp_eq_u32 s34, 2
	s_cbranch_scc1 .LBB213_52
; %bb.47:
	v_dual_mov_b32 v0, 0 :: v_dual_mov_b32 v1, 0
	v_mov_b32_e32 v9, v7
	s_and_b32 s0, s1, 28
	s_add_nc_u64 s[2:3], s[16:17], 0xc4
	s_mov_b32 s7, 0
	s_mov_b64 s[4:5], s[16:17]
.LBB213_48:                             ; =>This Inner Loop Header: Depth=1
	s_clause 0x1
	s_load_b256 s[8:15], s[4:5], 0x4
	s_load_b128 s[28:31], s[4:5], 0x24
	s_load_b256 s[20:27], s[2:3], 0x0
	s_add_co_i32 s7, s7, 4
	s_wait_xcnt 0x0
	s_add_nc_u64 s[4:5], s[4:5], 48
	s_cmp_lg_u32 s0, s7
	s_add_nc_u64 s[2:3], s[2:3], 32
	s_wait_kmcnt 0x0
	v_mul_hi_u32 v10, s9, v9
	s_delay_alu instid0(VALU_DEP_1) | instskip(NEXT) | instid1(VALU_DEP_1)
	v_add_nc_u32_e32 v10, v9, v10
	v_lshrrev_b32_e32 v10, s10, v10
	s_delay_alu instid0(VALU_DEP_1) | instskip(NEXT) | instid1(VALU_DEP_1)
	v_mul_hi_u32 v11, s12, v10
	v_add_nc_u32_e32 v11, v10, v11
	s_delay_alu instid0(VALU_DEP_1) | instskip(NEXT) | instid1(VALU_DEP_1)
	v_lshrrev_b32_e32 v11, s13, v11
	v_mul_hi_u32 v12, s15, v11
	s_delay_alu instid0(VALU_DEP_1) | instskip(SKIP_1) | instid1(VALU_DEP_1)
	v_add_nc_u32_e32 v12, v11, v12
	v_mul_lo_u32 v13, v10, s8
	v_sub_nc_u32_e32 v9, v9, v13
	v_mul_lo_u32 v13, v11, s11
	s_delay_alu instid0(VALU_DEP_4) | instskip(NEXT) | instid1(VALU_DEP_3)
	v_lshrrev_b32_e32 v12, s28, v12
	v_mad_u32 v1, v9, s21, v1
	v_mad_u32 v0, v9, s20, v0
	s_delay_alu instid0(VALU_DEP_4) | instskip(NEXT) | instid1(VALU_DEP_4)
	v_sub_nc_u32_e32 v9, v10, v13
	v_mul_hi_u32 v14, s30, v12
	v_mul_lo_u32 v10, v12, s14
	s_delay_alu instid0(VALU_DEP_3) | instskip(SKIP_1) | instid1(VALU_DEP_4)
	v_mad_u32 v1, v9, s23, v1
	v_mad_u32 v0, v9, s22, v0
	v_add_nc_u32_e32 v13, v12, v14
	s_delay_alu instid0(VALU_DEP_1) | instskip(NEXT) | instid1(VALU_DEP_1)
	v_dual_sub_nc_u32 v10, v11, v10 :: v_dual_lshrrev_b32 v9, s31, v13
	v_mad_u32 v1, v10, s25, v1
	s_delay_alu instid0(VALU_DEP_4) | instskip(NEXT) | instid1(VALU_DEP_3)
	v_mad_u32 v0, v10, s24, v0
	v_mul_lo_u32 v11, v9, s29
	s_delay_alu instid0(VALU_DEP_1) | instskip(NEXT) | instid1(VALU_DEP_1)
	v_sub_nc_u32_e32 v10, v12, v11
	v_mad_u32 v1, v10, s27, v1
	s_delay_alu instid0(VALU_DEP_4)
	v_mad_u32 v0, v10, s26, v0
	s_cbranch_scc1 .LBB213_48
; %bb.49:
	s_and_b32 s4, s1, 3
	s_mov_b32 s1, 0
	s_cmp_eq_u32 s4, 0
	s_cbranch_scc0 .LBB213_53
	s_branch .LBB213_55
.LBB213_50:
	s_mov_b32 s6, -1
                                        ; implicit-def: $vgpr1
	s_branch .LBB213_55
.LBB213_51:
	v_dual_mov_b32 v1, 0 :: v_dual_mov_b32 v0, 0
	s_branch .LBB213_55
.LBB213_52:
	v_mov_b64_e32 v[0:1], 0
	v_mov_b32_e32 v9, v7
	s_mov_b32 s0, 0
	s_and_b32 s4, s1, 3
	s_mov_b32 s1, 0
	s_cmp_eq_u32 s4, 0
	s_cbranch_scc1 .LBB213_55
.LBB213_53:
	s_lshl_b32 s2, s0, 3
	s_mov_b32 s3, s1
	s_mul_u64 s[8:9], s[0:1], 12
	s_add_nc_u64 s[2:3], s[16:17], s[2:3]
	s_delay_alu instid0(SALU_CYCLE_1)
	s_add_nc_u64 s[0:1], s[2:3], 0xc4
	s_add_nc_u64 s[2:3], s[16:17], s[8:9]
.LBB213_54:                             ; =>This Inner Loop Header: Depth=1
	s_load_b96 s[8:10], s[2:3], 0x4
	s_add_co_i32 s4, s4, -1
	s_wait_xcnt 0x0
	s_add_nc_u64 s[2:3], s[2:3], 12
	s_cmp_lg_u32 s4, 0
	s_wait_kmcnt 0x0
	v_mul_hi_u32 v10, s9, v9
	s_delay_alu instid0(VALU_DEP_1) | instskip(NEXT) | instid1(VALU_DEP_1)
	v_add_nc_u32_e32 v10, v9, v10
	v_lshrrev_b32_e32 v10, s10, v10
	s_load_b64 s[10:11], s[0:1], 0x0
	s_wait_xcnt 0x0
	s_add_nc_u64 s[0:1], s[0:1], 8
	s_delay_alu instid0(VALU_DEP_1) | instskip(NEXT) | instid1(VALU_DEP_1)
	v_mul_lo_u32 v11, v10, s8
	v_sub_nc_u32_e32 v9, v9, v11
	s_wait_kmcnt 0x0
	s_delay_alu instid0(VALU_DEP_1)
	v_mad_u32 v1, v9, s11, v1
	v_mad_u32 v0, v9, s10, v0
	v_mov_b32_e32 v9, v10
	s_cbranch_scc1 .LBB213_54
.LBB213_55:
	s_and_not1_b32 vcc_lo, exec_lo, s6
	s_cbranch_vccnz .LBB213_58
; %bb.56:
	s_clause 0x1
	s_load_b96 s[0:2], s[16:17], 0x4
	s_load_b64 s[4:5], s[16:17], 0xc4
	s_cmp_lt_u32 s33, 2
	s_wait_kmcnt 0x0
	v_mul_hi_u32 v0, s1, v7
	s_delay_alu instid0(VALU_DEP_1) | instskip(NEXT) | instid1(VALU_DEP_1)
	v_add_nc_u32_e32 v0, v7, v0
	v_lshrrev_b32_e32 v9, s2, v0
	s_delay_alu instid0(VALU_DEP_1) | instskip(NEXT) | instid1(VALU_DEP_1)
	v_mul_lo_u32 v0, v9, s0
	v_sub_nc_u32_e32 v0, v7, v0
	s_delay_alu instid0(VALU_DEP_1)
	v_mul_lo_u32 v1, v0, s5
	v_mul_lo_u32 v0, v0, s4
	s_cbranch_scc1 .LBB213_58
; %bb.57:
	s_clause 0x1
	s_load_b96 s[0:2], s[16:17], 0x10
	s_load_b64 s[4:5], s[16:17], 0xcc
	s_wait_kmcnt 0x0
	v_mul_hi_u32 v7, s1, v9
	s_delay_alu instid0(VALU_DEP_1) | instskip(NEXT) | instid1(VALU_DEP_1)
	v_add_nc_u32_e32 v7, v9, v7
	v_lshrrev_b32_e32 v7, s2, v7
	s_delay_alu instid0(VALU_DEP_1) | instskip(NEXT) | instid1(VALU_DEP_1)
	v_mul_lo_u32 v7, v7, s0
	v_sub_nc_u32_e32 v7, v9, v7
	s_delay_alu instid0(VALU_DEP_1)
	v_mad_u32 v0, v7, s4, v0
	v_mad_u32 v1, v7, s5, v1
.LBB213_58:
	v_cmp_ne_u32_e32 vcc_lo, 1, v6
	s_cbranch_vccnz .LBB213_64
; %bb.59:
	s_cmp_lg_u32 s33, 0
	s_mov_b32 s6, 0
	s_cbranch_scc0 .LBB213_65
; %bb.60:
	s_min_u32 s1, s34, 15
	s_delay_alu instid0(SALU_CYCLE_1)
	s_add_co_i32 s1, s1, 1
	s_cmp_eq_u32 s34, 2
	s_cbranch_scc1 .LBB213_66
; %bb.61:
	v_dual_mov_b32 v6, 0 :: v_dual_mov_b32 v7, 0
	v_mov_b32_e32 v9, v8
	s_and_b32 s0, s1, 28
	s_add_nc_u64 s[2:3], s[16:17], 0xc4
	s_mov_b32 s7, 0
	s_mov_b64 s[4:5], s[16:17]
.LBB213_62:                             ; =>This Inner Loop Header: Depth=1
	s_clause 0x1
	s_load_b256 s[8:15], s[4:5], 0x4
	s_load_b128 s[28:31], s[4:5], 0x24
	s_load_b256 s[20:27], s[2:3], 0x0
	s_add_co_i32 s7, s7, 4
	s_wait_xcnt 0x0
	s_add_nc_u64 s[4:5], s[4:5], 48
	s_cmp_lg_u32 s0, s7
	s_add_nc_u64 s[2:3], s[2:3], 32
	s_wait_kmcnt 0x0
	v_mul_hi_u32 v10, s9, v9
	s_delay_alu instid0(VALU_DEP_1) | instskip(NEXT) | instid1(VALU_DEP_1)
	v_add_nc_u32_e32 v10, v9, v10
	v_lshrrev_b32_e32 v10, s10, v10
	s_delay_alu instid0(VALU_DEP_1) | instskip(NEXT) | instid1(VALU_DEP_1)
	v_mul_hi_u32 v11, s12, v10
	v_add_nc_u32_e32 v11, v10, v11
	s_delay_alu instid0(VALU_DEP_1) | instskip(NEXT) | instid1(VALU_DEP_1)
	v_lshrrev_b32_e32 v11, s13, v11
	v_mul_hi_u32 v12, s15, v11
	s_delay_alu instid0(VALU_DEP_1) | instskip(SKIP_1) | instid1(VALU_DEP_1)
	v_add_nc_u32_e32 v12, v11, v12
	v_mul_lo_u32 v13, v10, s8
	v_sub_nc_u32_e32 v9, v9, v13
	v_mul_lo_u32 v13, v11, s11
	s_delay_alu instid0(VALU_DEP_4) | instskip(NEXT) | instid1(VALU_DEP_3)
	v_lshrrev_b32_e32 v12, s28, v12
	v_mad_u32 v7, v9, s21, v7
	v_mad_u32 v6, v9, s20, v6
	s_delay_alu instid0(VALU_DEP_4) | instskip(NEXT) | instid1(VALU_DEP_4)
	v_sub_nc_u32_e32 v9, v10, v13
	v_mul_hi_u32 v14, s30, v12
	v_mul_lo_u32 v10, v12, s14
	s_delay_alu instid0(VALU_DEP_3) | instskip(SKIP_1) | instid1(VALU_DEP_4)
	v_mad_u32 v7, v9, s23, v7
	v_mad_u32 v6, v9, s22, v6
	v_add_nc_u32_e32 v13, v12, v14
	s_delay_alu instid0(VALU_DEP_1) | instskip(NEXT) | instid1(VALU_DEP_1)
	v_dual_sub_nc_u32 v10, v11, v10 :: v_dual_lshrrev_b32 v9, s31, v13
	v_mad_u32 v7, v10, s25, v7
	s_delay_alu instid0(VALU_DEP_4) | instskip(NEXT) | instid1(VALU_DEP_3)
	v_mad_u32 v6, v10, s24, v6
	v_mul_lo_u32 v11, v9, s29
	s_delay_alu instid0(VALU_DEP_1) | instskip(NEXT) | instid1(VALU_DEP_1)
	v_sub_nc_u32_e32 v10, v12, v11
	v_mad_u32 v7, v10, s27, v7
	s_delay_alu instid0(VALU_DEP_4)
	v_mad_u32 v6, v10, s26, v6
	s_cbranch_scc1 .LBB213_62
; %bb.63:
	s_and_b32 s4, s1, 3
	s_mov_b32 s1, 0
	s_cmp_eq_u32 s4, 0
	s_cbranch_scc0 .LBB213_67
	s_branch .LBB213_69
.LBB213_64:
	s_mov_b32 s6, -1
                                        ; implicit-def: $vgpr7
	s_branch .LBB213_69
.LBB213_65:
	v_dual_mov_b32 v7, 0 :: v_dual_mov_b32 v6, 0
	s_branch .LBB213_69
.LBB213_66:
	v_mov_b64_e32 v[6:7], 0
	v_mov_b32_e32 v9, v8
	s_mov_b32 s0, 0
	s_and_b32 s4, s1, 3
	s_mov_b32 s1, 0
	s_cmp_eq_u32 s4, 0
	s_cbranch_scc1 .LBB213_69
.LBB213_67:
	s_lshl_b32 s2, s0, 3
	s_mov_b32 s3, s1
	s_mul_u64 s[8:9], s[0:1], 12
	s_add_nc_u64 s[2:3], s[16:17], s[2:3]
	s_delay_alu instid0(SALU_CYCLE_1)
	s_add_nc_u64 s[0:1], s[2:3], 0xc4
	s_add_nc_u64 s[2:3], s[16:17], s[8:9]
.LBB213_68:                             ; =>This Inner Loop Header: Depth=1
	s_load_b96 s[8:10], s[2:3], 0x4
	s_add_co_i32 s4, s4, -1
	s_wait_xcnt 0x0
	s_add_nc_u64 s[2:3], s[2:3], 12
	s_cmp_lg_u32 s4, 0
	s_wait_kmcnt 0x0
	v_mul_hi_u32 v10, s9, v9
	s_delay_alu instid0(VALU_DEP_1) | instskip(NEXT) | instid1(VALU_DEP_1)
	v_add_nc_u32_e32 v10, v9, v10
	v_lshrrev_b32_e32 v10, s10, v10
	s_load_b64 s[10:11], s[0:1], 0x0
	s_wait_xcnt 0x0
	s_add_nc_u64 s[0:1], s[0:1], 8
	s_delay_alu instid0(VALU_DEP_1) | instskip(NEXT) | instid1(VALU_DEP_1)
	v_mul_lo_u32 v11, v10, s8
	v_sub_nc_u32_e32 v9, v9, v11
	s_wait_kmcnt 0x0
	s_delay_alu instid0(VALU_DEP_1)
	v_mad_u32 v7, v9, s11, v7
	v_mad_u32 v6, v9, s10, v6
	v_mov_b32_e32 v9, v10
	s_cbranch_scc1 .LBB213_68
.LBB213_69:
	s_and_not1_b32 vcc_lo, exec_lo, s6
	s_cbranch_vccnz .LBB213_72
; %bb.70:
	s_clause 0x1
	s_load_b96 s[0:2], s[16:17], 0x4
	s_load_b64 s[4:5], s[16:17], 0xc4
	s_cmp_lt_u32 s33, 2
	s_wait_kmcnt 0x0
	v_mul_hi_u32 v6, s1, v8
	s_delay_alu instid0(VALU_DEP_1) | instskip(NEXT) | instid1(VALU_DEP_1)
	v_add_nc_u32_e32 v6, v8, v6
	v_lshrrev_b32_e32 v9, s2, v6
	s_delay_alu instid0(VALU_DEP_1) | instskip(NEXT) | instid1(VALU_DEP_1)
	v_mul_lo_u32 v6, v9, s0
	v_sub_nc_u32_e32 v6, v8, v6
	s_delay_alu instid0(VALU_DEP_1)
	v_mul_lo_u32 v7, v6, s5
	v_mul_lo_u32 v6, v6, s4
	s_cbranch_scc1 .LBB213_72
; %bb.71:
	s_clause 0x1
	s_load_b96 s[0:2], s[16:17], 0x10
	s_load_b64 s[4:5], s[16:17], 0xcc
	s_wait_kmcnt 0x0
	v_mul_hi_u32 v8, s1, v9
	s_delay_alu instid0(VALU_DEP_1) | instskip(NEXT) | instid1(VALU_DEP_1)
	v_add_nc_u32_e32 v8, v9, v8
	v_lshrrev_b32_e32 v8, s2, v8
	s_delay_alu instid0(VALU_DEP_1) | instskip(NEXT) | instid1(VALU_DEP_1)
	v_mul_lo_u32 v8, v8, s0
	v_sub_nc_u32_e32 v8, v9, v8
	s_delay_alu instid0(VALU_DEP_1)
	v_mad_u32 v6, v8, s4, v6
	v_mad_u32 v7, v8, s5, v7
.LBB213_72:
	s_load_b128 s[0:3], s[16:17], 0x148
	s_mov_b32 s6, exec_lo
	s_wait_kmcnt 0x0
	global_load_b64 v[8:9], v3, s[2:3]
	s_wait_loadcnt 0x0
	v_cmpx_o_f64_e32 v[8:9], v[8:9]
	s_cbranch_execz .LBB213_83
; %bb.73:
	s_clause 0x1
	s_load_b32 s8, s[16:17], 0x158
	s_load_b64 s[4:5], s[16:17], 0x160
	s_mov_b32 s7, 0
	s_wait_kmcnt 0x0
	s_cmp_lt_i32 s8, 1
	s_cbranch_scc1 .LBB213_76
; %bb.74:
	s_cmp_eq_u32 s8, 1
	s_cbranch_scc0 .LBB213_117
; %bb.75:
	v_max_num_f64_e64 v[10:11], s[4:5], s[4:5]
	v_max_num_f64_e32 v[12:13], v[8:9], v[8:9]
	s_mov_b32 s9, 0
	s_delay_alu instid0(VALU_DEP_1)
	v_min_num_f64_e32 v[10:11], v[12:13], v[10:11]
	s_branch .LBB213_78
.LBB213_76:
	s_mov_b32 s9, 0
                                        ; implicit-def: $vgpr10_vgpr11
	s_cbranch_execz .LBB213_78
; %bb.77:
	s_cmp_lg_u32 s8, 0
	s_mov_b32 s7, -1
	s_cselect_b32 s9, -1, 0
.LBB213_78:
	v_max_num_f64_e64 v[12:13], s[4:5], s[4:5]
	v_max_num_f64_e32 v[14:15], v[8:9], v[8:9]
	s_and_not1_b32 vcc_lo, exec_lo, s9
	s_delay_alu instid0(VALU_DEP_1)
	v_max_num_f64_e32 v[8:9], v[14:15], v[12:13]
	s_cbranch_vccnz .LBB213_80
; %bb.79:
	s_load_b64 s[4:5], s[16:17], 0x168
	v_max_num_f64_e32 v[10:11], v[14:15], v[12:13]
	s_mov_b32 s7, 0
	s_wait_kmcnt 0x0
	v_max_num_f64_e64 v[12:13], s[4:5], s[4:5]
	s_delay_alu instid0(VALU_DEP_1)
	v_min_num_f64_e32 v[10:11], v[10:11], v[12:13]
.LBB213_80:
	s_and_not1_b32 vcc_lo, exec_lo, s7
	s_cbranch_vccnz .LBB213_82
; %bb.81:
	s_delay_alu instid0(VALU_DEP_1)
	v_mov_b64_e32 v[10:11], v[8:9]
.LBB213_82:
	s_delay_alu instid0(VALU_DEP_1)
	v_mov_b64_e32 v[8:9], v[10:11]
.LBB213_83:
	s_or_b32 exec_lo, exec_lo, s6
	global_load_b64 v[10:11], v5, s[2:3]
	s_mov_b32 s6, exec_lo
	s_wait_loadcnt 0x0
	v_cmpx_o_f64_e32 v[10:11], v[10:11]
	s_cbranch_execz .LBB213_94
; %bb.84:
	s_clause 0x1
	s_load_b32 s8, s[16:17], 0x158
	s_load_b64 s[4:5], s[16:17], 0x160
	s_mov_b32 s7, 0
	s_wait_kmcnt 0x0
	s_cmp_lt_i32 s8, 1
	s_cbranch_scc1 .LBB213_87
; %bb.85:
	s_cmp_eq_u32 s8, 1
	s_cbranch_scc0 .LBB213_118
; %bb.86:
	v_max_num_f64_e64 v[12:13], s[4:5], s[4:5]
	v_max_num_f64_e32 v[14:15], v[10:11], v[10:11]
	s_mov_b32 s9, 0
	s_delay_alu instid0(VALU_DEP_1)
	v_min_num_f64_e32 v[12:13], v[14:15], v[12:13]
	s_branch .LBB213_89
.LBB213_87:
	s_mov_b32 s9, 0
                                        ; implicit-def: $vgpr12_vgpr13
	s_cbranch_execz .LBB213_89
; %bb.88:
	s_cmp_lg_u32 s8, 0
	s_mov_b32 s7, -1
	s_cselect_b32 s9, -1, 0
.LBB213_89:
	v_max_num_f64_e64 v[14:15], s[4:5], s[4:5]
	v_max_num_f64_e32 v[16:17], v[10:11], v[10:11]
	s_and_not1_b32 vcc_lo, exec_lo, s9
	s_delay_alu instid0(VALU_DEP_1)
	v_max_num_f64_e32 v[10:11], v[16:17], v[14:15]
	s_cbranch_vccnz .LBB213_91
; %bb.90:
	s_load_b64 s[4:5], s[16:17], 0x168
	v_max_num_f64_e32 v[12:13], v[16:17], v[14:15]
	s_mov_b32 s7, 0
	s_wait_kmcnt 0x0
	v_max_num_f64_e64 v[14:15], s[4:5], s[4:5]
	s_delay_alu instid0(VALU_DEP_1)
	v_min_num_f64_e32 v[12:13], v[12:13], v[14:15]
.LBB213_91:
	s_and_not1_b32 vcc_lo, exec_lo, s7
	s_cbranch_vccnz .LBB213_93
; %bb.92:
	s_delay_alu instid0(VALU_DEP_1)
	v_mov_b64_e32 v[12:13], v[10:11]
.LBB213_93:
	s_delay_alu instid0(VALU_DEP_1)
	v_mov_b64_e32 v[10:11], v[12:13]
.LBB213_94:
	s_or_b32 exec_lo, exec_lo, s6
	global_load_b64 v[12:13], v1, s[2:3]
	s_mov_b32 s6, exec_lo
	s_wait_loadcnt 0x0
	v_cmpx_o_f64_e32 v[12:13], v[12:13]
	s_cbranch_execz .LBB213_105
; %bb.95:
	s_clause 0x1
	s_load_b32 s8, s[16:17], 0x158
	s_load_b64 s[4:5], s[16:17], 0x160
	s_mov_b32 s7, 0
	s_wait_kmcnt 0x0
	s_cmp_lt_i32 s8, 1
	s_cbranch_scc1 .LBB213_98
; %bb.96:
	s_cmp_eq_u32 s8, 1
	s_cbranch_scc0 .LBB213_119
; %bb.97:
	v_max_num_f64_e64 v[14:15], s[4:5], s[4:5]
	v_max_num_f64_e32 v[16:17], v[12:13], v[12:13]
	s_mov_b32 s9, 0
	s_delay_alu instid0(VALU_DEP_1)
	v_min_num_f64_e32 v[14:15], v[16:17], v[14:15]
	s_branch .LBB213_100
.LBB213_98:
	s_mov_b32 s9, 0
                                        ; implicit-def: $vgpr14_vgpr15
	s_cbranch_execz .LBB213_100
; %bb.99:
	s_cmp_lg_u32 s8, 0
	s_mov_b32 s7, -1
	s_cselect_b32 s9, -1, 0
.LBB213_100:
	v_max_num_f64_e64 v[16:17], s[4:5], s[4:5]
	v_max_num_f64_e32 v[18:19], v[12:13], v[12:13]
	s_and_not1_b32 vcc_lo, exec_lo, s9
	s_delay_alu instid0(VALU_DEP_1)
	v_max_num_f64_e32 v[12:13], v[18:19], v[16:17]
	s_cbranch_vccnz .LBB213_102
; %bb.101:
	s_load_b64 s[4:5], s[16:17], 0x168
	v_max_num_f64_e32 v[14:15], v[18:19], v[16:17]
	s_mov_b32 s7, 0
	s_wait_kmcnt 0x0
	v_max_num_f64_e64 v[16:17], s[4:5], s[4:5]
	s_delay_alu instid0(VALU_DEP_1)
	v_min_num_f64_e32 v[14:15], v[14:15], v[16:17]
.LBB213_102:
	s_and_not1_b32 vcc_lo, exec_lo, s7
	s_cbranch_vccnz .LBB213_104
; %bb.103:
	s_delay_alu instid0(VALU_DEP_1)
	v_mov_b64_e32 v[14:15], v[12:13]
.LBB213_104:
	s_delay_alu instid0(VALU_DEP_1)
	v_mov_b64_e32 v[12:13], v[14:15]
.LBB213_105:
	s_or_b32 exec_lo, exec_lo, s6
	global_load_b64 v[14:15], v7, s[2:3]
	s_mov_b32 s4, exec_lo
	s_wait_loadcnt 0x0
	v_cmpx_o_f64_e32 v[14:15], v[14:15]
	s_cbranch_execz .LBB213_116
; %bb.106:
	s_clause 0x1
	s_load_b32 s6, s[16:17], 0x158
	s_load_b64 s[2:3], s[16:17], 0x160
	s_mov_b32 s5, 0
	s_wait_kmcnt 0x0
	s_cmp_lt_i32 s6, 1
	s_cbranch_scc1 .LBB213_109
; %bb.107:
	s_cmp_eq_u32 s6, 1
	s_cbranch_scc0 .LBB213_120
; %bb.108:
	v_max_num_f64_e64 v[16:17], s[2:3], s[2:3]
	v_max_num_f64_e32 v[18:19], v[14:15], v[14:15]
	s_mov_b32 s7, 0
	s_delay_alu instid0(VALU_DEP_1)
	v_min_num_f64_e32 v[16:17], v[18:19], v[16:17]
	s_branch .LBB213_111
.LBB213_109:
	s_mov_b32 s7, 0
                                        ; implicit-def: $vgpr16_vgpr17
	s_cbranch_execz .LBB213_111
; %bb.110:
	s_cmp_lg_u32 s6, 0
	s_mov_b32 s5, -1
	s_cselect_b32 s7, -1, 0
.LBB213_111:
	v_max_num_f64_e64 v[18:19], s[2:3], s[2:3]
	v_max_num_f64_e32 v[20:21], v[14:15], v[14:15]
	s_and_not1_b32 vcc_lo, exec_lo, s7
	s_delay_alu instid0(VALU_DEP_1)
	v_max_num_f64_e32 v[14:15], v[20:21], v[18:19]
	s_cbranch_vccnz .LBB213_113
; %bb.112:
	s_load_b64 s[2:3], s[16:17], 0x168
	v_max_num_f64_e32 v[16:17], v[20:21], v[18:19]
	s_mov_b32 s5, 0
	s_wait_kmcnt 0x0
	v_max_num_f64_e64 v[18:19], s[2:3], s[2:3]
	s_delay_alu instid0(VALU_DEP_1)
	v_min_num_f64_e32 v[16:17], v[16:17], v[18:19]
.LBB213_113:
	s_and_not1_b32 vcc_lo, exec_lo, s5
	s_cbranch_vccnz .LBB213_115
; %bb.114:
	s_delay_alu instid0(VALU_DEP_1)
	v_mov_b64_e32 v[16:17], v[14:15]
.LBB213_115:
	s_delay_alu instid0(VALU_DEP_1)
	v_mov_b64_e32 v[14:15], v[16:17]
.LBB213_116:
	s_or_b32 exec_lo, exec_lo, s4
	s_clause 0x3
	global_store_b64 v2, v[8:9], s[0:1]
	global_store_b64 v4, v[10:11], s[0:1]
	global_store_b64 v0, v[12:13], s[0:1]
	global_store_b64 v6, v[14:15], s[0:1]
	s_endpgm
.LBB213_117:
	s_mov_b32 s9, -1
                                        ; implicit-def: $vgpr10_vgpr11
	s_branch .LBB213_78
.LBB213_118:
	s_mov_b32 s9, -1
                                        ; implicit-def: $vgpr12_vgpr13
	s_branch .LBB213_89
.LBB213_119:
	s_mov_b32 s9, -1
                                        ; implicit-def: $vgpr14_vgpr15
	s_branch .LBB213_100
.LBB213_120:
	s_mov_b32 s7, -1
                                        ; implicit-def: $vgpr16_vgpr17
	s_branch .LBB213_111
.LBB213_121:
	v_dual_mov_b32 v3, 0 :: v_dual_mov_b32 v2, 0
	s_branch .LBB213_127
.LBB213_122:
	v_dual_mov_b32 v3, 0 :: v_dual_mov_b32 v2, 0
	s_branch .LBB213_139
.LBB213_123:
	v_mov_b64_e32 v[2:3], 0
	v_mov_b32_e32 v1, v0
	s_mov_b32 s26, 0
.LBB213_124:
	s_and_b32 s18, s18, 3
	s_mov_b32 s27, 0
	s_cmp_eq_u32 s18, 0
	s_cbranch_scc1 .LBB213_127
; %bb.125:
	s_lshl_b32 s28, s26, 3
	s_mov_b32 s29, s27
	s_mul_u64 s[30:31], s[26:27], 12
	s_add_nc_u64 s[28:29], s[16:17], s[28:29]
	s_delay_alu instid0(SALU_CYCLE_1)
	s_add_nc_u64 s[26:27], s[28:29], 0xc4
	s_add_nc_u64 s[28:29], s[16:17], s[30:31]
.LBB213_126:                            ; =>This Inner Loop Header: Depth=1
	s_load_b96 s[44:46], s[28:29], 0x4
	s_load_b64 s[30:31], s[26:27], 0x0
	s_add_co_i32 s18, s18, -1
	s_wait_xcnt 0x0
	s_add_nc_u64 s[28:29], s[28:29], 12
	s_cmp_lg_u32 s18, 0
	s_add_nc_u64 s[26:27], s[26:27], 8
	s_wait_kmcnt 0x0
	v_mul_hi_u32 v4, s45, v1
	s_delay_alu instid0(VALU_DEP_1) | instskip(NEXT) | instid1(VALU_DEP_1)
	v_add_nc_u32_e32 v4, v1, v4
	v_lshrrev_b32_e32 v4, s46, v4
	s_delay_alu instid0(VALU_DEP_1) | instskip(NEXT) | instid1(VALU_DEP_1)
	v_mul_lo_u32 v5, v4, s44
	v_sub_nc_u32_e32 v1, v1, v5
	s_delay_alu instid0(VALU_DEP_1)
	v_mad_u32 v3, v1, s31, v3
	v_mad_u32 v2, v1, s30, v2
	v_mov_b32_e32 v1, v4
	s_cbranch_scc1 .LBB213_126
.LBB213_127:
	s_cbranch_execnz .LBB213_130
.LBB213_128:
	v_mov_b32_e32 v1, 0
	s_and_not1_b32 vcc_lo, exec_lo, s38
	s_delay_alu instid0(VALU_DEP_1) | instskip(NEXT) | instid1(VALU_DEP_1)
	v_mul_u64_e32 v[2:3], s[20:21], v[0:1]
	v_add_nc_u32_e32 v2, v0, v3
	s_delay_alu instid0(VALU_DEP_1) | instskip(NEXT) | instid1(VALU_DEP_1)
	v_lshrrev_b32_e32 v4, s10, v2
	v_mul_lo_u32 v2, v4, s8
	s_delay_alu instid0(VALU_DEP_1) | instskip(NEXT) | instid1(VALU_DEP_1)
	v_sub_nc_u32_e32 v2, v0, v2
	v_mul_lo_u32 v3, v2, s13
	v_mul_lo_u32 v2, v2, s12
	s_cbranch_vccnz .LBB213_130
; %bb.129:
	v_mov_b32_e32 v5, v1
	s_delay_alu instid0(VALU_DEP_1) | instskip(NEXT) | instid1(VALU_DEP_1)
	v_mul_u64_e32 v[6:7], s[22:23], v[4:5]
	v_add_nc_u32_e32 v1, v4, v7
	s_delay_alu instid0(VALU_DEP_1) | instskip(NEXT) | instid1(VALU_DEP_1)
	v_lshrrev_b32_e32 v1, s19, v1
	v_mul_lo_u32 v1, v1, s11
	s_delay_alu instid0(VALU_DEP_1) | instskip(NEXT) | instid1(VALU_DEP_1)
	v_sub_nc_u32_e32 v1, v4, v1
	v_mad_u32 v2, v1, s14, v2
	v_mad_u32 v3, v1, s15, v3
.LBB213_130:
	global_load_b64 v[4:5], v3, s[2:3]
	s_mov_b32 s18, exec_lo
	s_wait_loadcnt 0x0
	v_cmpx_o_f64_e32 v[4:5], v[4:5]
	s_cbranch_execz .LBB213_155
; %bb.131:
	s_cmp_lt_i32 s37, 1
	s_mov_b32 s26, 0
	s_cbranch_scc1 .LBB213_134
; %bb.132:
	s_cmp_eq_u32 s37, 1
	s_cbranch_scc0 .LBB213_147
; %bb.133:
	v_max_num_f64_e64 v[6:7], s[4:5], s[4:5]
	v_max_num_f64_e32 v[8:9], v[4:5], v[4:5]
	s_mov_b32 s27, 0
	s_delay_alu instid0(VALU_DEP_1)
	v_min_num_f64_e32 v[6:7], v[8:9], v[6:7]
	s_branch .LBB213_148
.LBB213_134:
	s_mov_b32 s27, 0
                                        ; implicit-def: $vgpr6_vgpr7
	s_cbranch_execnz .LBB213_149
	s_branch .LBB213_150
.LBB213_135:
	v_mov_b64_e32 v[2:3], 0
	v_mov_b32_e32 v1, v0
	s_mov_b32 s26, 0
.LBB213_136:
	s_and_b32 s18, s18, 3
	s_mov_b32 s27, 0
	s_cmp_eq_u32 s18, 0
	s_cbranch_scc1 .LBB213_139
; %bb.137:
	s_lshl_b32 s28, s26, 3
	s_mov_b32 s29, s27
	s_mul_u64 s[30:31], s[26:27], 12
	s_add_nc_u64 s[28:29], s[16:17], s[28:29]
	s_delay_alu instid0(SALU_CYCLE_1)
	s_add_nc_u64 s[26:27], s[28:29], 0xc4
	s_add_nc_u64 s[28:29], s[16:17], s[30:31]
.LBB213_138:                            ; =>This Inner Loop Header: Depth=1
	s_load_b96 s[44:46], s[28:29], 0x4
	s_load_b64 s[30:31], s[26:27], 0x0
	s_add_co_i32 s18, s18, -1
	s_wait_xcnt 0x0
	s_add_nc_u64 s[28:29], s[28:29], 12
	s_cmp_lg_u32 s18, 0
	s_add_nc_u64 s[26:27], s[26:27], 8
	s_wait_kmcnt 0x0
	v_mul_hi_u32 v4, s45, v1
	s_delay_alu instid0(VALU_DEP_1) | instskip(NEXT) | instid1(VALU_DEP_1)
	v_add_nc_u32_e32 v4, v1, v4
	v_lshrrev_b32_e32 v4, s46, v4
	s_delay_alu instid0(VALU_DEP_1) | instskip(NEXT) | instid1(VALU_DEP_1)
	v_mul_lo_u32 v5, v4, s44
	v_sub_nc_u32_e32 v1, v1, v5
	s_delay_alu instid0(VALU_DEP_1)
	v_mad_u32 v3, v1, s31, v3
	v_mad_u32 v2, v1, s30, v2
	v_mov_b32_e32 v1, v4
	s_cbranch_scc1 .LBB213_138
.LBB213_139:
	s_cbranch_execnz .LBB213_142
.LBB213_140:
	v_mov_b32_e32 v1, 0
	s_and_not1_b32 vcc_lo, exec_lo, s38
	s_delay_alu instid0(VALU_DEP_1) | instskip(NEXT) | instid1(VALU_DEP_1)
	v_mul_u64_e32 v[2:3], s[20:21], v[0:1]
	v_add_nc_u32_e32 v2, v0, v3
	s_delay_alu instid0(VALU_DEP_1) | instskip(NEXT) | instid1(VALU_DEP_1)
	v_lshrrev_b32_e32 v4, s10, v2
	v_mul_lo_u32 v2, v4, s8
	s_delay_alu instid0(VALU_DEP_1) | instskip(NEXT) | instid1(VALU_DEP_1)
	v_sub_nc_u32_e32 v2, v0, v2
	v_mul_lo_u32 v3, v2, s13
	v_mul_lo_u32 v2, v2, s12
	s_cbranch_vccnz .LBB213_142
; %bb.141:
	v_mov_b32_e32 v5, v1
	s_delay_alu instid0(VALU_DEP_1) | instskip(NEXT) | instid1(VALU_DEP_1)
	v_mul_u64_e32 v[6:7], s[22:23], v[4:5]
	v_add_nc_u32_e32 v1, v4, v7
	s_delay_alu instid0(VALU_DEP_1) | instskip(NEXT) | instid1(VALU_DEP_1)
	v_lshrrev_b32_e32 v1, s19, v1
	v_mul_lo_u32 v1, v1, s11
	s_delay_alu instid0(VALU_DEP_1) | instskip(NEXT) | instid1(VALU_DEP_1)
	v_sub_nc_u32_e32 v1, v4, v1
	v_mad_u32 v2, v1, s14, v2
	v_mad_u32 v3, v1, s15, v3
.LBB213_142:
	global_load_b64 v[4:5], v3, s[2:3]
	s_mov_b32 s18, exec_lo
	s_wait_loadcnt 0x0
	v_cmpx_o_f64_e32 v[4:5], v[4:5]
	s_cbranch_execz .LBB213_184
; %bb.143:
	s_cmp_lt_i32 s37, 1
	s_mov_b32 s26, 0
	s_cbranch_scc1 .LBB213_146
; %bb.144:
	s_cmp_eq_u32 s37, 1
	s_cbranch_scc0 .LBB213_176
; %bb.145:
	v_max_num_f64_e64 v[6:7], s[4:5], s[4:5]
	v_max_num_f64_e32 v[8:9], v[4:5], v[4:5]
	s_mov_b32 s27, 0
	s_delay_alu instid0(VALU_DEP_1)
	v_min_num_f64_e32 v[6:7], v[8:9], v[6:7]
	s_branch .LBB213_177
.LBB213_146:
	s_mov_b32 s27, 0
                                        ; implicit-def: $vgpr6_vgpr7
	s_cbranch_execnz .LBB213_178
	s_branch .LBB213_179
.LBB213_147:
	s_mov_b32 s27, -1
                                        ; implicit-def: $vgpr6_vgpr7
.LBB213_148:
	s_branch .LBB213_150
.LBB213_149:
	s_cmp_lg_u32 s37, 0
	s_mov_b32 s26, -1
	s_cselect_b32 s27, -1, 0
.LBB213_150:
	s_delay_alu instid0(SALU_CYCLE_1)
	s_and_not1_b32 vcc_lo, exec_lo, s27
	s_cbranch_vccnz .LBB213_152
; %bb.151:
	v_max_num_f64_e64 v[6:7], s[4:5], s[4:5]
	v_max_num_f64_e32 v[8:9], v[4:5], v[4:5]
	s_delay_alu instid0(VALU_DEP_1) | instskip(SKIP_1) | instid1(VALU_DEP_1)
	v_max_num_f64_e32 v[6:7], v[8:9], v[6:7]
	v_max_num_f64_e64 v[8:9], s[6:7], s[6:7]
	v_min_num_f64_e32 v[6:7], v[6:7], v[8:9]
	s_cbranch_execz .LBB213_153
	s_branch .LBB213_154
.LBB213_152:
	s_and_not1_b32 vcc_lo, exec_lo, s26
	s_cbranch_vccnz .LBB213_154
.LBB213_153:
	v_max_num_f64_e64 v[6:7], s[4:5], s[4:5]
	v_max_num_f64_e32 v[4:5], v[4:5], v[4:5]
	s_delay_alu instid0(VALU_DEP_1)
	v_max_num_f64_e32 v[6:7], v[4:5], v[6:7]
.LBB213_154:
	s_delay_alu instid0(VALU_DEP_1)
	v_mov_b64_e32 v[4:5], v[6:7]
.LBB213_155:
	s_or_b32 exec_lo, exec_lo, s18
	v_add_nc_u32_e32 v0, 0x80, v0
	global_store_b64 v2, v[4:5], s[0:1]
	s_wait_xcnt 0x0
	s_or_b32 exec_lo, exec_lo, s9
	s_delay_alu instid0(SALU_CYCLE_1)
	s_mov_b32 s9, exec_lo
	v_cmpx_gt_i32_e64 s39, v0
	s_cbranch_execnz .LBB213_15
.LBB213_156:
	s_or_b32 exec_lo, exec_lo, s9
	s_delay_alu instid0(SALU_CYCLE_1)
	s_mov_b32 s9, exec_lo
	v_cmpx_gt_i32_e64 s39, v0
	s_cbranch_execz .LBB213_185
.LBB213_157:
	s_and_not1_b32 vcc_lo, exec_lo, s35
	s_cbranch_vccnz .LBB213_162
; %bb.158:
	s_and_not1_b32 vcc_lo, exec_lo, s41
	s_cbranch_vccnz .LBB213_163
; %bb.159:
	s_add_co_i32 s18, s40, 1
	s_cmp_eq_u32 s34, 2
	s_cbranch_scc1 .LBB213_164
; %bb.160:
	v_dual_mov_b32 v2, 0 :: v_dual_mov_b32 v3, 0
	v_mov_b32_e32 v1, v0
	s_and_b32 s26, s18, 28
	s_mov_b32 s27, 0
	s_mov_b64 s[28:29], s[16:17]
	s_mov_b64 s[30:31], s[24:25]
.LBB213_161:                            ; =>This Inner Loop Header: Depth=1
	s_clause 0x1
	s_load_b256 s[44:51], s[28:29], 0x4
	s_load_b128 s[60:63], s[28:29], 0x24
	s_load_b256 s[52:59], s[30:31], 0x0
	s_add_co_i32 s27, s27, 4
	s_wait_xcnt 0x0
	s_add_nc_u64 s[28:29], s[28:29], 48
	s_cmp_eq_u32 s26, s27
	s_add_nc_u64 s[30:31], s[30:31], 32
	s_wait_kmcnt 0x0
	v_mul_hi_u32 v4, s45, v1
	s_delay_alu instid0(VALU_DEP_1) | instskip(NEXT) | instid1(VALU_DEP_1)
	v_add_nc_u32_e32 v4, v1, v4
	v_lshrrev_b32_e32 v4, s46, v4
	s_delay_alu instid0(VALU_DEP_1) | instskip(NEXT) | instid1(VALU_DEP_1)
	v_mul_hi_u32 v5, s48, v4
	v_add_nc_u32_e32 v5, v4, v5
	s_delay_alu instid0(VALU_DEP_1) | instskip(NEXT) | instid1(VALU_DEP_1)
	v_lshrrev_b32_e32 v5, s49, v5
	v_mul_hi_u32 v6, s51, v5
	s_delay_alu instid0(VALU_DEP_1) | instskip(SKIP_1) | instid1(VALU_DEP_1)
	v_add_nc_u32_e32 v6, v5, v6
	v_mul_lo_u32 v7, v4, s44
	v_sub_nc_u32_e32 v1, v1, v7
	v_mul_lo_u32 v7, v5, s47
	s_delay_alu instid0(VALU_DEP_4) | instskip(NEXT) | instid1(VALU_DEP_3)
	v_lshrrev_b32_e32 v6, s60, v6
	v_mad_u32 v3, v1, s53, v3
	v_mad_u32 v1, v1, s52, v2
	s_delay_alu instid0(VALU_DEP_4) | instskip(NEXT) | instid1(VALU_DEP_4)
	v_sub_nc_u32_e32 v2, v4, v7
	v_mul_hi_u32 v8, s62, v6
	v_mul_lo_u32 v4, v6, s50
	s_delay_alu instid0(VALU_DEP_3) | instskip(SKIP_1) | instid1(VALU_DEP_4)
	v_mad_u32 v3, v2, s55, v3
	v_mad_u32 v2, v2, s54, v1
	v_add_nc_u32_e32 v7, v6, v8
	s_delay_alu instid0(VALU_DEP_1) | instskip(NEXT) | instid1(VALU_DEP_1)
	v_dual_sub_nc_u32 v4, v5, v4 :: v_dual_lshrrev_b32 v1, s63, v7
	v_mad_u32 v3, v4, s57, v3
	s_delay_alu instid0(VALU_DEP_4) | instskip(NEXT) | instid1(VALU_DEP_3)
	v_mad_u32 v2, v4, s56, v2
	v_mul_lo_u32 v5, v1, s61
	s_delay_alu instid0(VALU_DEP_1) | instskip(NEXT) | instid1(VALU_DEP_1)
	v_sub_nc_u32_e32 v4, v6, v5
	v_mad_u32 v3, v4, s59, v3
	s_delay_alu instid0(VALU_DEP_4)
	v_mad_u32 v2, v4, s58, v2
	s_cbranch_scc0 .LBB213_161
	s_branch .LBB213_165
.LBB213_162:
                                        ; implicit-def: $vgpr3
	s_branch .LBB213_169
.LBB213_163:
	v_dual_mov_b32 v3, 0 :: v_dual_mov_b32 v2, 0
	s_branch .LBB213_168
.LBB213_164:
	v_mov_b64_e32 v[2:3], 0
	v_mov_b32_e32 v1, v0
	s_mov_b32 s26, 0
.LBB213_165:
	s_and_b32 s18, s18, 3
	s_mov_b32 s27, 0
	s_cmp_eq_u32 s18, 0
	s_cbranch_scc1 .LBB213_168
; %bb.166:
	s_lshl_b32 s28, s26, 3
	s_mov_b32 s29, s27
	s_mul_u64 s[30:31], s[26:27], 12
	s_add_nc_u64 s[28:29], s[16:17], s[28:29]
	s_delay_alu instid0(SALU_CYCLE_1)
	s_add_nc_u64 s[26:27], s[28:29], 0xc4
	s_add_nc_u64 s[28:29], s[16:17], s[30:31]
.LBB213_167:                            ; =>This Inner Loop Header: Depth=1
	s_load_b96 s[44:46], s[28:29], 0x4
	s_load_b64 s[30:31], s[26:27], 0x0
	s_add_co_i32 s18, s18, -1
	s_wait_xcnt 0x0
	s_add_nc_u64 s[28:29], s[28:29], 12
	s_cmp_lg_u32 s18, 0
	s_add_nc_u64 s[26:27], s[26:27], 8
	s_wait_kmcnt 0x0
	v_mul_hi_u32 v4, s45, v1
	s_delay_alu instid0(VALU_DEP_1) | instskip(NEXT) | instid1(VALU_DEP_1)
	v_add_nc_u32_e32 v4, v1, v4
	v_lshrrev_b32_e32 v4, s46, v4
	s_delay_alu instid0(VALU_DEP_1) | instskip(NEXT) | instid1(VALU_DEP_1)
	v_mul_lo_u32 v5, v4, s44
	v_sub_nc_u32_e32 v1, v1, v5
	s_delay_alu instid0(VALU_DEP_1)
	v_mad_u32 v3, v1, s31, v3
	v_mad_u32 v2, v1, s30, v2
	v_mov_b32_e32 v1, v4
	s_cbranch_scc1 .LBB213_167
.LBB213_168:
	s_cbranch_execnz .LBB213_171
.LBB213_169:
	v_mov_b32_e32 v1, 0
	s_and_not1_b32 vcc_lo, exec_lo, s38
	s_delay_alu instid0(VALU_DEP_1) | instskip(NEXT) | instid1(VALU_DEP_1)
	v_mul_u64_e32 v[2:3], s[20:21], v[0:1]
	v_add_nc_u32_e32 v2, v0, v3
	s_delay_alu instid0(VALU_DEP_1) | instskip(NEXT) | instid1(VALU_DEP_1)
	v_lshrrev_b32_e32 v4, s10, v2
	v_mul_lo_u32 v2, v4, s8
	s_delay_alu instid0(VALU_DEP_1) | instskip(NEXT) | instid1(VALU_DEP_1)
	v_sub_nc_u32_e32 v2, v0, v2
	v_mul_lo_u32 v3, v2, s13
	v_mul_lo_u32 v2, v2, s12
	s_cbranch_vccnz .LBB213_171
; %bb.170:
	v_mov_b32_e32 v5, v1
	s_delay_alu instid0(VALU_DEP_1) | instskip(NEXT) | instid1(VALU_DEP_1)
	v_mul_u64_e32 v[6:7], s[22:23], v[4:5]
	v_add_nc_u32_e32 v1, v4, v7
	s_delay_alu instid0(VALU_DEP_1) | instskip(NEXT) | instid1(VALU_DEP_1)
	v_lshrrev_b32_e32 v1, s19, v1
	v_mul_lo_u32 v1, v1, s11
	s_delay_alu instid0(VALU_DEP_1) | instskip(NEXT) | instid1(VALU_DEP_1)
	v_sub_nc_u32_e32 v1, v4, v1
	v_mad_u32 v2, v1, s14, v2
	v_mad_u32 v3, v1, s15, v3
.LBB213_171:
	global_load_b64 v[4:5], v3, s[2:3]
	s_mov_b32 s18, exec_lo
	s_wait_loadcnt 0x0
	v_cmpx_o_f64_e32 v[4:5], v[4:5]
	s_cbranch_execz .LBB213_196
; %bb.172:
	s_cmp_lt_i32 s37, 1
	s_mov_b32 s26, 0
	s_cbranch_scc1 .LBB213_175
; %bb.173:
	s_cmp_eq_u32 s37, 1
	s_cbranch_scc0 .LBB213_188
; %bb.174:
	v_max_num_f64_e64 v[6:7], s[4:5], s[4:5]
	v_max_num_f64_e32 v[8:9], v[4:5], v[4:5]
	s_mov_b32 s27, 0
	s_delay_alu instid0(VALU_DEP_1)
	v_min_num_f64_e32 v[6:7], v[8:9], v[6:7]
	s_branch .LBB213_189
.LBB213_175:
	s_mov_b32 s27, 0
                                        ; implicit-def: $vgpr6_vgpr7
	s_cbranch_execnz .LBB213_190
	s_branch .LBB213_191
.LBB213_176:
	s_mov_b32 s27, -1
                                        ; implicit-def: $vgpr6_vgpr7
.LBB213_177:
	s_branch .LBB213_179
.LBB213_178:
	s_cmp_lg_u32 s37, 0
	s_mov_b32 s26, -1
	s_cselect_b32 s27, -1, 0
.LBB213_179:
	s_delay_alu instid0(SALU_CYCLE_1)
	s_and_not1_b32 vcc_lo, exec_lo, s27
	s_cbranch_vccnz .LBB213_181
; %bb.180:
	v_max_num_f64_e64 v[6:7], s[4:5], s[4:5]
	v_max_num_f64_e32 v[8:9], v[4:5], v[4:5]
	s_delay_alu instid0(VALU_DEP_1) | instskip(SKIP_1) | instid1(VALU_DEP_1)
	v_max_num_f64_e32 v[6:7], v[8:9], v[6:7]
	v_max_num_f64_e64 v[8:9], s[6:7], s[6:7]
	v_min_num_f64_e32 v[6:7], v[6:7], v[8:9]
	s_cbranch_execz .LBB213_182
	s_branch .LBB213_183
.LBB213_181:
	s_and_not1_b32 vcc_lo, exec_lo, s26
	s_cbranch_vccnz .LBB213_183
.LBB213_182:
	v_max_num_f64_e64 v[6:7], s[4:5], s[4:5]
	v_max_num_f64_e32 v[4:5], v[4:5], v[4:5]
	s_delay_alu instid0(VALU_DEP_1)
	v_max_num_f64_e32 v[6:7], v[4:5], v[6:7]
.LBB213_183:
	s_delay_alu instid0(VALU_DEP_1)
	v_mov_b64_e32 v[4:5], v[6:7]
.LBB213_184:
	s_or_b32 exec_lo, exec_lo, s18
	v_add_nc_u32_e32 v0, 0x80, v0
	global_store_b64 v2, v[4:5], s[0:1]
	s_wait_xcnt 0x0
	s_or_b32 exec_lo, exec_lo, s9
	s_delay_alu instid0(SALU_CYCLE_1)
	s_mov_b32 s9, exec_lo
	v_cmpx_gt_i32_e64 s39, v0
	s_cbranch_execnz .LBB213_157
.LBB213_185:
	s_or_b32 exec_lo, exec_lo, s9
	s_delay_alu instid0(SALU_CYCLE_1)
	s_mov_b32 s9, exec_lo
	v_cmpx_gt_i32_e64 s39, v0
	s_cbranch_execnz .LBB213_197
.LBB213_186:
	s_or_b32 exec_lo, exec_lo, s9
                                        ; implicit-def: $vgpr8
                                        ; implicit-def: $vgpr0
	s_and_not1_saveexec_b32 s0, s36
	s_cbranch_execnz .LBB213_8
.LBB213_187:
	s_endpgm
.LBB213_188:
	s_mov_b32 s27, -1
                                        ; implicit-def: $vgpr6_vgpr7
.LBB213_189:
	s_branch .LBB213_191
.LBB213_190:
	s_cmp_lg_u32 s37, 0
	s_mov_b32 s26, -1
	s_cselect_b32 s27, -1, 0
.LBB213_191:
	s_delay_alu instid0(SALU_CYCLE_1)
	s_and_not1_b32 vcc_lo, exec_lo, s27
	s_cbranch_vccnz .LBB213_193
; %bb.192:
	v_max_num_f64_e64 v[6:7], s[4:5], s[4:5]
	v_max_num_f64_e32 v[8:9], v[4:5], v[4:5]
	s_delay_alu instid0(VALU_DEP_1) | instskip(SKIP_1) | instid1(VALU_DEP_1)
	v_max_num_f64_e32 v[6:7], v[8:9], v[6:7]
	v_max_num_f64_e64 v[8:9], s[6:7], s[6:7]
	v_min_num_f64_e32 v[6:7], v[6:7], v[8:9]
	s_cbranch_execz .LBB213_194
	s_branch .LBB213_195
.LBB213_193:
	s_and_not1_b32 vcc_lo, exec_lo, s26
	s_cbranch_vccnz .LBB213_195
.LBB213_194:
	v_max_num_f64_e64 v[6:7], s[4:5], s[4:5]
	v_max_num_f64_e32 v[4:5], v[4:5], v[4:5]
	s_delay_alu instid0(VALU_DEP_1)
	v_max_num_f64_e32 v[6:7], v[4:5], v[6:7]
.LBB213_195:
	s_delay_alu instid0(VALU_DEP_1)
	v_mov_b64_e32 v[4:5], v[6:7]
.LBB213_196:
	s_or_b32 exec_lo, exec_lo, s18
	v_add_nc_u32_e32 v0, 0x80, v0
	global_store_b64 v2, v[4:5], s[0:1]
	s_wait_xcnt 0x0
	s_or_b32 exec_lo, exec_lo, s9
	s_delay_alu instid0(SALU_CYCLE_1)
	s_mov_b32 s9, exec_lo
	v_cmpx_gt_i32_e64 s39, v0
	s_cbranch_execz .LBB213_186
.LBB213_197:
	s_and_not1_b32 vcc_lo, exec_lo, s35
	s_cbranch_vccnz .LBB213_202
; %bb.198:
	s_and_not1_b32 vcc_lo, exec_lo, s41
	s_cbranch_vccnz .LBB213_203
; %bb.199:
	s_add_co_i32 s40, s40, 1
	s_cmp_eq_u32 s34, 2
	s_cbranch_scc1 .LBB213_204
; %bb.200:
	v_dual_mov_b32 v2, 0 :: v_dual_mov_b32 v3, 0
	v_mov_b32_e32 v1, v0
	s_and_b32 s26, s40, 28
	s_mov_b32 s18, 0
	s_mov_b64 s[28:29], s[16:17]
.LBB213_201:                            ; =>This Inner Loop Header: Depth=1
	s_clause 0x1
	s_load_b256 s[44:51], s[28:29], 0x4
	s_load_b128 s[60:63], s[28:29], 0x24
	s_load_b256 s[52:59], s[24:25], 0x0
	s_add_co_i32 s18, s18, 4
	s_wait_xcnt 0x0
	s_add_nc_u64 s[28:29], s[28:29], 48
	s_cmp_eq_u32 s26, s18
	s_add_nc_u64 s[24:25], s[24:25], 32
	s_wait_kmcnt 0x0
	v_mul_hi_u32 v4, s45, v1
	s_delay_alu instid0(VALU_DEP_1) | instskip(NEXT) | instid1(VALU_DEP_1)
	v_add_nc_u32_e32 v4, v1, v4
	v_lshrrev_b32_e32 v4, s46, v4
	s_delay_alu instid0(VALU_DEP_1) | instskip(NEXT) | instid1(VALU_DEP_1)
	v_mul_hi_u32 v5, s48, v4
	v_add_nc_u32_e32 v5, v4, v5
	s_delay_alu instid0(VALU_DEP_1) | instskip(NEXT) | instid1(VALU_DEP_1)
	v_lshrrev_b32_e32 v5, s49, v5
	v_mul_hi_u32 v6, s51, v5
	s_delay_alu instid0(VALU_DEP_1) | instskip(SKIP_1) | instid1(VALU_DEP_1)
	v_add_nc_u32_e32 v6, v5, v6
	v_mul_lo_u32 v7, v4, s44
	v_sub_nc_u32_e32 v1, v1, v7
	v_mul_lo_u32 v7, v5, s47
	s_delay_alu instid0(VALU_DEP_4) | instskip(NEXT) | instid1(VALU_DEP_3)
	v_lshrrev_b32_e32 v6, s60, v6
	v_mad_u32 v3, v1, s53, v3
	v_mad_u32 v1, v1, s52, v2
	s_delay_alu instid0(VALU_DEP_4) | instskip(NEXT) | instid1(VALU_DEP_4)
	v_sub_nc_u32_e32 v2, v4, v7
	v_mul_hi_u32 v8, s62, v6
	v_mul_lo_u32 v4, v6, s50
	s_delay_alu instid0(VALU_DEP_3) | instskip(SKIP_1) | instid1(VALU_DEP_4)
	v_mad_u32 v3, v2, s55, v3
	v_mad_u32 v2, v2, s54, v1
	v_add_nc_u32_e32 v7, v6, v8
	s_delay_alu instid0(VALU_DEP_1) | instskip(NEXT) | instid1(VALU_DEP_1)
	v_dual_sub_nc_u32 v4, v5, v4 :: v_dual_lshrrev_b32 v1, s63, v7
	v_mad_u32 v3, v4, s57, v3
	s_delay_alu instid0(VALU_DEP_4) | instskip(NEXT) | instid1(VALU_DEP_3)
	v_mad_u32 v2, v4, s56, v2
	v_mul_lo_u32 v5, v1, s61
	s_delay_alu instid0(VALU_DEP_1) | instskip(NEXT) | instid1(VALU_DEP_1)
	v_sub_nc_u32_e32 v4, v6, v5
	v_mad_u32 v3, v4, s59, v3
	s_delay_alu instid0(VALU_DEP_4)
	v_mad_u32 v2, v4, s58, v2
	s_cbranch_scc0 .LBB213_201
	s_branch .LBB213_205
.LBB213_202:
                                        ; implicit-def: $vgpr3
	s_branch .LBB213_209
.LBB213_203:
	v_dual_mov_b32 v3, 0 :: v_dual_mov_b32 v2, 0
	s_branch .LBB213_208
.LBB213_204:
	v_mov_b64_e32 v[2:3], 0
	v_mov_b32_e32 v1, v0
	s_mov_b32 s26, 0
.LBB213_205:
	s_and_b32 s18, s40, 3
	s_mov_b32 s27, 0
	s_cmp_eq_u32 s18, 0
	s_cbranch_scc1 .LBB213_208
; %bb.206:
	s_lshl_b32 s24, s26, 3
	s_mov_b32 s25, s27
	s_mul_u64 s[26:27], s[26:27], 12
	s_add_nc_u64 s[24:25], s[16:17], s[24:25]
	s_add_nc_u64 s[26:27], s[16:17], s[26:27]
	s_add_nc_u64 s[24:25], s[24:25], 0xc4
.LBB213_207:                            ; =>This Inner Loop Header: Depth=1
	s_load_b96 s[28:30], s[26:27], 0x4
	s_add_co_i32 s18, s18, -1
	s_wait_xcnt 0x0
	s_add_nc_u64 s[26:27], s[26:27], 12
	s_cmp_lg_u32 s18, 0
	s_wait_kmcnt 0x0
	v_mul_hi_u32 v4, s29, v1
	s_delay_alu instid0(VALU_DEP_1) | instskip(NEXT) | instid1(VALU_DEP_1)
	v_add_nc_u32_e32 v4, v1, v4
	v_lshrrev_b32_e32 v4, s30, v4
	s_load_b64 s[30:31], s[24:25], 0x0
	s_wait_xcnt 0x0
	s_add_nc_u64 s[24:25], s[24:25], 8
	s_delay_alu instid0(VALU_DEP_1) | instskip(NEXT) | instid1(VALU_DEP_1)
	v_mul_lo_u32 v5, v4, s28
	v_sub_nc_u32_e32 v1, v1, v5
	s_wait_kmcnt 0x0
	s_delay_alu instid0(VALU_DEP_1)
	v_mad_u32 v3, v1, s31, v3
	v_mad_u32 v2, v1, s30, v2
	v_mov_b32_e32 v1, v4
	s_cbranch_scc1 .LBB213_207
.LBB213_208:
	s_cbranch_execnz .LBB213_211
.LBB213_209:
	v_mov_b32_e32 v1, 0
	s_and_not1_b32 vcc_lo, exec_lo, s38
	s_delay_alu instid0(VALU_DEP_1) | instskip(NEXT) | instid1(VALU_DEP_1)
	v_mul_u64_e32 v[2:3], s[20:21], v[0:1]
	v_add_nc_u32_e32 v2, v0, v3
	s_delay_alu instid0(VALU_DEP_1) | instskip(NEXT) | instid1(VALU_DEP_1)
	v_lshrrev_b32_e32 v4, s10, v2
	v_mul_lo_u32 v2, v4, s8
	s_delay_alu instid0(VALU_DEP_1) | instskip(NEXT) | instid1(VALU_DEP_1)
	v_sub_nc_u32_e32 v0, v0, v2
	v_mul_lo_u32 v3, v0, s13
	v_mul_lo_u32 v2, v0, s12
	s_cbranch_vccnz .LBB213_211
; %bb.210:
	v_mov_b32_e32 v5, v1
	s_delay_alu instid0(VALU_DEP_1) | instskip(NEXT) | instid1(VALU_DEP_1)
	v_mul_u64_e32 v[0:1], s[22:23], v[4:5]
	v_add_nc_u32_e32 v0, v4, v1
	s_delay_alu instid0(VALU_DEP_1) | instskip(NEXT) | instid1(VALU_DEP_1)
	v_lshrrev_b32_e32 v0, s19, v0
	v_mul_lo_u32 v0, v0, s11
	s_delay_alu instid0(VALU_DEP_1) | instskip(NEXT) | instid1(VALU_DEP_1)
	v_sub_nc_u32_e32 v0, v4, v0
	v_mad_u32 v2, v0, s14, v2
	v_mad_u32 v3, v0, s15, v3
.LBB213_211:
	global_load_b64 v[0:1], v3, s[2:3]
	s_wait_xcnt 0x0
	s_mov_b32 s2, exec_lo
	s_wait_loadcnt 0x0
	v_cmpx_o_f64_e32 v[0:1], v[0:1]
	s_cbranch_execz .LBB213_224
; %bb.212:
	s_cmp_lt_i32 s37, 1
	s_mov_b32 s3, 0
	s_cbranch_scc1 .LBB213_215
; %bb.213:
	s_cmp_eq_u32 s37, 1
	s_cbranch_scc0 .LBB213_216
; %bb.214:
	v_max_num_f64_e64 v[4:5], s[4:5], s[4:5]
	v_max_num_f64_e32 v[6:7], v[0:1], v[0:1]
	s_mov_b32 s8, 0
	s_delay_alu instid0(VALU_DEP_1)
	v_min_num_f64_e32 v[4:5], v[6:7], v[4:5]
	s_branch .LBB213_217
.LBB213_215:
	s_mov_b32 s8, 0
                                        ; implicit-def: $vgpr4_vgpr5
	s_cbranch_execnz .LBB213_218
	s_branch .LBB213_219
.LBB213_216:
	s_mov_b32 s8, -1
                                        ; implicit-def: $vgpr4_vgpr5
.LBB213_217:
	s_branch .LBB213_219
.LBB213_218:
	s_cmp_lg_u32 s37, 0
	s_mov_b32 s3, -1
	s_cselect_b32 s8, -1, 0
.LBB213_219:
	s_delay_alu instid0(SALU_CYCLE_1)
	s_and_not1_b32 vcc_lo, exec_lo, s8
	s_cbranch_vccnz .LBB213_221
; %bb.220:
	v_max_num_f64_e64 v[4:5], s[4:5], s[4:5]
	v_max_num_f64_e32 v[6:7], v[0:1], v[0:1]
	s_delay_alu instid0(VALU_DEP_1) | instskip(SKIP_1) | instid1(VALU_DEP_1)
	v_max_num_f64_e32 v[4:5], v[6:7], v[4:5]
	v_max_num_f64_e64 v[6:7], s[6:7], s[6:7]
	v_min_num_f64_e32 v[4:5], v[4:5], v[6:7]
	s_cbranch_execz .LBB213_222
	s_branch .LBB213_223
.LBB213_221:
	s_and_not1_b32 vcc_lo, exec_lo, s3
	s_cbranch_vccnz .LBB213_223
.LBB213_222:
	v_max_num_f64_e64 v[4:5], s[4:5], s[4:5]
	v_max_num_f64_e32 v[0:1], v[0:1], v[0:1]
	s_delay_alu instid0(VALU_DEP_1)
	v_max_num_f64_e32 v[4:5], v[0:1], v[4:5]
.LBB213_223:
	s_delay_alu instid0(VALU_DEP_1)
	v_mov_b64_e32 v[0:1], v[4:5]
.LBB213_224:
	s_or_b32 exec_lo, exec_lo, s2
	global_store_b64 v2, v[0:1], s[0:1]
	s_wait_xcnt 0x0
	s_or_b32 exec_lo, exec_lo, s9
                                        ; implicit-def: $vgpr8
                                        ; implicit-def: $vgpr0
	s_and_not1_saveexec_b32 s0, s36
	s_cbranch_execz .LBB213_187
	s_branch .LBB213_8
	.section	.rodata,"a",@progbits
	.p2align	6, 0x0
	.amdhsa_kernel _ZN2at6native32elementwise_kernel_manual_unrollILi128ELi4EZNS0_22gpu_kernel_impl_nocastIZZZNS0_12_GLOBAL__N_119launch_clamp_scalarERNS_18TensorIteratorBaseEN3c106ScalarES7_NS0_6detail11ClampLimitsEENKUlvE_clEvENKUlvE4_clEvEUldE_EEvS5_RKT_EUlibE_EEviT1_
		.amdhsa_group_segment_fixed_size 0
		.amdhsa_private_segment_fixed_size 0
		.amdhsa_kernarg_size 376
		.amdhsa_user_sgpr_count 2
		.amdhsa_user_sgpr_dispatch_ptr 0
		.amdhsa_user_sgpr_queue_ptr 0
		.amdhsa_user_sgpr_kernarg_segment_ptr 1
		.amdhsa_user_sgpr_dispatch_id 0
		.amdhsa_user_sgpr_kernarg_preload_length 0
		.amdhsa_user_sgpr_kernarg_preload_offset 0
		.amdhsa_user_sgpr_private_segment_size 0
		.amdhsa_wavefront_size32 1
		.amdhsa_uses_dynamic_stack 0
		.amdhsa_enable_private_segment 0
		.amdhsa_system_sgpr_workgroup_id_x 1
		.amdhsa_system_sgpr_workgroup_id_y 0
		.amdhsa_system_sgpr_workgroup_id_z 0
		.amdhsa_system_sgpr_workgroup_info 0
		.amdhsa_system_vgpr_workitem_id 0
		.amdhsa_next_free_vgpr 22
		.amdhsa_next_free_sgpr 64
		.amdhsa_named_barrier_count 0
		.amdhsa_reserve_vcc 1
		.amdhsa_float_round_mode_32 0
		.amdhsa_float_round_mode_16_64 0
		.amdhsa_float_denorm_mode_32 3
		.amdhsa_float_denorm_mode_16_64 3
		.amdhsa_fp16_overflow 0
		.amdhsa_memory_ordered 1
		.amdhsa_forward_progress 1
		.amdhsa_inst_pref_size 62
		.amdhsa_round_robin_scheduling 0
		.amdhsa_exception_fp_ieee_invalid_op 0
		.amdhsa_exception_fp_denorm_src 0
		.amdhsa_exception_fp_ieee_div_zero 0
		.amdhsa_exception_fp_ieee_overflow 0
		.amdhsa_exception_fp_ieee_underflow 0
		.amdhsa_exception_fp_ieee_inexact 0
		.amdhsa_exception_int_div_zero 0
	.end_amdhsa_kernel
	.section	.text._ZN2at6native32elementwise_kernel_manual_unrollILi128ELi4EZNS0_22gpu_kernel_impl_nocastIZZZNS0_12_GLOBAL__N_119launch_clamp_scalarERNS_18TensorIteratorBaseEN3c106ScalarES7_NS0_6detail11ClampLimitsEENKUlvE_clEvENKUlvE4_clEvEUldE_EEvS5_RKT_EUlibE_EEviT1_,"axG",@progbits,_ZN2at6native32elementwise_kernel_manual_unrollILi128ELi4EZNS0_22gpu_kernel_impl_nocastIZZZNS0_12_GLOBAL__N_119launch_clamp_scalarERNS_18TensorIteratorBaseEN3c106ScalarES7_NS0_6detail11ClampLimitsEENKUlvE_clEvENKUlvE4_clEvEUldE_EEvS5_RKT_EUlibE_EEviT1_,comdat
.Lfunc_end213:
	.size	_ZN2at6native32elementwise_kernel_manual_unrollILi128ELi4EZNS0_22gpu_kernel_impl_nocastIZZZNS0_12_GLOBAL__N_119launch_clamp_scalarERNS_18TensorIteratorBaseEN3c106ScalarES7_NS0_6detail11ClampLimitsEENKUlvE_clEvENKUlvE4_clEvEUldE_EEvS5_RKT_EUlibE_EEviT1_, .Lfunc_end213-_ZN2at6native32elementwise_kernel_manual_unrollILi128ELi4EZNS0_22gpu_kernel_impl_nocastIZZZNS0_12_GLOBAL__N_119launch_clamp_scalarERNS_18TensorIteratorBaseEN3c106ScalarES7_NS0_6detail11ClampLimitsEENKUlvE_clEvENKUlvE4_clEvEUldE_EEvS5_RKT_EUlibE_EEviT1_
                                        ; -- End function
	.set _ZN2at6native32elementwise_kernel_manual_unrollILi128ELi4EZNS0_22gpu_kernel_impl_nocastIZZZNS0_12_GLOBAL__N_119launch_clamp_scalarERNS_18TensorIteratorBaseEN3c106ScalarES7_NS0_6detail11ClampLimitsEENKUlvE_clEvENKUlvE4_clEvEUldE_EEvS5_RKT_EUlibE_EEviT1_.num_vgpr, 22
	.set _ZN2at6native32elementwise_kernel_manual_unrollILi128ELi4EZNS0_22gpu_kernel_impl_nocastIZZZNS0_12_GLOBAL__N_119launch_clamp_scalarERNS_18TensorIteratorBaseEN3c106ScalarES7_NS0_6detail11ClampLimitsEENKUlvE_clEvENKUlvE4_clEvEUldE_EEvS5_RKT_EUlibE_EEviT1_.num_agpr, 0
	.set _ZN2at6native32elementwise_kernel_manual_unrollILi128ELi4EZNS0_22gpu_kernel_impl_nocastIZZZNS0_12_GLOBAL__N_119launch_clamp_scalarERNS_18TensorIteratorBaseEN3c106ScalarES7_NS0_6detail11ClampLimitsEENKUlvE_clEvENKUlvE4_clEvEUldE_EEvS5_RKT_EUlibE_EEviT1_.numbered_sgpr, 64
	.set _ZN2at6native32elementwise_kernel_manual_unrollILi128ELi4EZNS0_22gpu_kernel_impl_nocastIZZZNS0_12_GLOBAL__N_119launch_clamp_scalarERNS_18TensorIteratorBaseEN3c106ScalarES7_NS0_6detail11ClampLimitsEENKUlvE_clEvENKUlvE4_clEvEUldE_EEvS5_RKT_EUlibE_EEviT1_.num_named_barrier, 0
	.set _ZN2at6native32elementwise_kernel_manual_unrollILi128ELi4EZNS0_22gpu_kernel_impl_nocastIZZZNS0_12_GLOBAL__N_119launch_clamp_scalarERNS_18TensorIteratorBaseEN3c106ScalarES7_NS0_6detail11ClampLimitsEENKUlvE_clEvENKUlvE4_clEvEUldE_EEvS5_RKT_EUlibE_EEviT1_.private_seg_size, 0
	.set _ZN2at6native32elementwise_kernel_manual_unrollILi128ELi4EZNS0_22gpu_kernel_impl_nocastIZZZNS0_12_GLOBAL__N_119launch_clamp_scalarERNS_18TensorIteratorBaseEN3c106ScalarES7_NS0_6detail11ClampLimitsEENKUlvE_clEvENKUlvE4_clEvEUldE_EEvS5_RKT_EUlibE_EEviT1_.uses_vcc, 1
	.set _ZN2at6native32elementwise_kernel_manual_unrollILi128ELi4EZNS0_22gpu_kernel_impl_nocastIZZZNS0_12_GLOBAL__N_119launch_clamp_scalarERNS_18TensorIteratorBaseEN3c106ScalarES7_NS0_6detail11ClampLimitsEENKUlvE_clEvENKUlvE4_clEvEUldE_EEvS5_RKT_EUlibE_EEviT1_.uses_flat_scratch, 0
	.set _ZN2at6native32elementwise_kernel_manual_unrollILi128ELi4EZNS0_22gpu_kernel_impl_nocastIZZZNS0_12_GLOBAL__N_119launch_clamp_scalarERNS_18TensorIteratorBaseEN3c106ScalarES7_NS0_6detail11ClampLimitsEENKUlvE_clEvENKUlvE4_clEvEUldE_EEvS5_RKT_EUlibE_EEviT1_.has_dyn_sized_stack, 0
	.set _ZN2at6native32elementwise_kernel_manual_unrollILi128ELi4EZNS0_22gpu_kernel_impl_nocastIZZZNS0_12_GLOBAL__N_119launch_clamp_scalarERNS_18TensorIteratorBaseEN3c106ScalarES7_NS0_6detail11ClampLimitsEENKUlvE_clEvENKUlvE4_clEvEUldE_EEvS5_RKT_EUlibE_EEviT1_.has_recursion, 0
	.set _ZN2at6native32elementwise_kernel_manual_unrollILi128ELi4EZNS0_22gpu_kernel_impl_nocastIZZZNS0_12_GLOBAL__N_119launch_clamp_scalarERNS_18TensorIteratorBaseEN3c106ScalarES7_NS0_6detail11ClampLimitsEENKUlvE_clEvENKUlvE4_clEvEUldE_EEvS5_RKT_EUlibE_EEviT1_.has_indirect_call, 0
	.section	.AMDGPU.csdata,"",@progbits
; Kernel info:
; codeLenInByte = 7816
; TotalNumSgprs: 66
; NumVgprs: 22
; ScratchSize: 0
; MemoryBound: 0
; FloatMode: 240
; IeeeMode: 1
; LDSByteSize: 0 bytes/workgroup (compile time only)
; SGPRBlocks: 0
; VGPRBlocks: 1
; NumSGPRsForWavesPerEU: 66
; NumVGPRsForWavesPerEU: 22
; NamedBarCnt: 0
; Occupancy: 16
; WaveLimiterHint : 1
; COMPUTE_PGM_RSRC2:SCRATCH_EN: 0
; COMPUTE_PGM_RSRC2:USER_SGPR: 2
; COMPUTE_PGM_RSRC2:TRAP_HANDLER: 0
; COMPUTE_PGM_RSRC2:TGID_X_EN: 1
; COMPUTE_PGM_RSRC2:TGID_Y_EN: 0
; COMPUTE_PGM_RSRC2:TGID_Z_EN: 0
; COMPUTE_PGM_RSRC2:TIDIG_COMP_CNT: 0
	.section	.text._ZN2at6native32elementwise_kernel_manual_unrollILi128ELi4EZNS0_15gpu_kernel_implIZZZNS0_12_GLOBAL__N_119launch_clamp_scalarERNS_18TensorIteratorBaseEN3c106ScalarES7_NS0_6detail11ClampLimitsEENKUlvE_clEvENKUlvE4_clEvEUldE_EEvS5_RKT_EUlibE_EEviT1_,"axG",@progbits,_ZN2at6native32elementwise_kernel_manual_unrollILi128ELi4EZNS0_15gpu_kernel_implIZZZNS0_12_GLOBAL__N_119launch_clamp_scalarERNS_18TensorIteratorBaseEN3c106ScalarES7_NS0_6detail11ClampLimitsEENKUlvE_clEvENKUlvE4_clEvEUldE_EEvS5_RKT_EUlibE_EEviT1_,comdat
	.globl	_ZN2at6native32elementwise_kernel_manual_unrollILi128ELi4EZNS0_15gpu_kernel_implIZZZNS0_12_GLOBAL__N_119launch_clamp_scalarERNS_18TensorIteratorBaseEN3c106ScalarES7_NS0_6detail11ClampLimitsEENKUlvE_clEvENKUlvE4_clEvEUldE_EEvS5_RKT_EUlibE_EEviT1_ ; -- Begin function _ZN2at6native32elementwise_kernel_manual_unrollILi128ELi4EZNS0_15gpu_kernel_implIZZZNS0_12_GLOBAL__N_119launch_clamp_scalarERNS_18TensorIteratorBaseEN3c106ScalarES7_NS0_6detail11ClampLimitsEENKUlvE_clEvENKUlvE4_clEvEUldE_EEvS5_RKT_EUlibE_EEviT1_
	.p2align	8
	.type	_ZN2at6native32elementwise_kernel_manual_unrollILi128ELi4EZNS0_15gpu_kernel_implIZZZNS0_12_GLOBAL__N_119launch_clamp_scalarERNS_18TensorIteratorBaseEN3c106ScalarES7_NS0_6detail11ClampLimitsEENKUlvE_clEvENKUlvE4_clEvEUldE_EEvS5_RKT_EUlibE_EEviT1_,@function
_ZN2at6native32elementwise_kernel_manual_unrollILi128ELi4EZNS0_15gpu_kernel_implIZZZNS0_12_GLOBAL__N_119launch_clamp_scalarERNS_18TensorIteratorBaseEN3c106ScalarES7_NS0_6detail11ClampLimitsEENKUlvE_clEvENKUlvE4_clEvEUldE_EEvS5_RKT_EUlibE_EEviT1_: ; @_ZN2at6native32elementwise_kernel_manual_unrollILi128ELi4EZNS0_15gpu_kernel_implIZZZNS0_12_GLOBAL__N_119launch_clamp_scalarERNS_18TensorIteratorBaseEN3c106ScalarES7_NS0_6detail11ClampLimitsEENKUlvE_clEvENKUlvE4_clEvEUldE_EEvS5_RKT_EUlibE_EEviT1_
; %bb.0:
	s_load_b32 s2, s[0:1], 0x38
	s_bfe_u32 s3, ttmp6, 0x4000c
	s_clause 0x3
	s_load_b32 s17, s[0:1], 0x0
	s_load_b128 s[4:7], s[0:1], 0x8
	s_load_b96 s[12:14], s[0:1], 0x18
	s_load_b128 s[8:11], s[0:1], 0x28
	s_add_co_i32 s3, s3, 1
	s_and_b32 s15, ttmp6, 15
	s_wait_xcnt 0x0
	s_mul_i32 s0, ttmp9, s3
	s_getreg_b32 s16, hwreg(HW_REG_IB_STS2, 6, 4)
	s_add_co_i32 s15, s15, s0
	s_mov_b32 s1, 0
	s_wait_kmcnt 0x0
	s_bfe_u32 s3, s2, 0x80008
	s_cmp_eq_u32 s16, 0
	s_mov_b32 s16, 0
	s_cselect_b32 s0, ttmp9, s15
	s_delay_alu instid0(SALU_CYCLE_1) | instskip(SKIP_1) | instid1(VALU_DEP_1)
	v_lshl_or_b32 v14, s0, 9, v0
	s_mov_b32 s0, exec_lo
	v_or_b32_e32 v0, 0x180, v14
	s_delay_alu instid0(VALU_DEP_1)
	v_cmpx_le_i32_e64 s17, v0
	s_xor_b32 s15, exec_lo, s0
	s_cbranch_execz .LBB214_1084
; %bb.1:
	s_mov_b32 s22, -1
	s_mov_b32 s20, 0
	s_mov_b32 s18, 0
	s_mov_b32 s19, exec_lo
	v_cmpx_gt_i32_e64 s17, v14
	s_cbranch_execz .LBB214_265
; %bb.2:
	v_mul_lo_u32 v0, v14, s13
	s_and_b32 s0, 0xffff, s3
	s_delay_alu instid0(SALU_CYCLE_1) | instskip(NEXT) | instid1(VALU_DEP_1)
	s_cmp_lt_i32 s0, 11
	v_ashrrev_i32_e32 v1, 31, v0
	s_delay_alu instid0(VALU_DEP_1)
	v_add_nc_u64_e32 v[2:3], s[6:7], v[0:1]
	s_cbranch_scc1 .LBB214_9
; %bb.3:
	s_cmp_gt_i32 s0, 25
	s_cbranch_scc0 .LBB214_15
; %bb.4:
	s_cmp_gt_i32 s0, 28
	s_cbranch_scc0 .LBB214_16
	;; [unrolled: 3-line block ×4, first 2 shown]
; %bb.7:
	s_cmp_eq_u32 s0, 46
	s_mov_b32 s21, 0
	s_cbranch_scc0 .LBB214_40
; %bb.8:
	global_load_b32 v0, v[2:3], off
	s_mov_b32 s16, -1
	s_wait_loadcnt 0x0
	v_lshlrev_b32_e32 v0, 16, v0
	s_delay_alu instid0(VALU_DEP_1)
	v_cvt_f64_f32_e32 v[0:1], v0
	s_branch .LBB214_42
.LBB214_9:
                                        ; implicit-def: $vgpr0_vgpr1
	s_cbranch_execnz .LBB214_215
.LBB214_10:
	s_and_not1_b32 vcc_lo, exec_lo, s16
	s_cbranch_vccnz .LBB214_262
.LBB214_11:
	s_mov_b32 s0, exec_lo
	s_wait_loadcnt 0x0
	s_delay_alu instid0(VALU_DEP_1)
	v_cmpx_o_f64_e32 v[0:1], v[0:1]
	s_cbranch_execz .LBB214_27
; %bb.12:
	s_cmp_lt_i32 s14, 1
	s_mov_b32 s16, 0
	s_cbranch_scc1 .LBB214_17
; %bb.13:
	s_cmp_eq_u32 s14, 1
	s_cbranch_scc0 .LBB214_21
; %bb.14:
	v_max_num_f64_e64 v[2:3], s[8:9], s[8:9]
	v_max_num_f64_e32 v[4:5], v[0:1], v[0:1]
	s_mov_b32 s21, 0
	s_delay_alu instid0(VALU_DEP_1)
	v_min_num_f64_e32 v[2:3], v[4:5], v[2:3]
	s_branch .LBB214_22
.LBB214_15:
                                        ; implicit-def: $vgpr0_vgpr1
	s_cbranch_execnz .LBB214_180
	s_branch .LBB214_214
.LBB214_16:
	s_mov_b32 s21, -1
                                        ; implicit-def: $vgpr0_vgpr1
	s_branch .LBB214_161
.LBB214_17:
	s_mov_b32 s21, 0
                                        ; implicit-def: $vgpr2_vgpr3
	s_cbranch_execnz .LBB214_23
.LBB214_18:
	v_max_num_f64_e32 v[0:1], v[0:1], v[0:1]
	s_and_not1_b32 vcc_lo, exec_lo, s21
	s_cbranch_vccnz .LBB214_24
.LBB214_19:
	v_max_num_f64_e64 v[2:3], s[8:9], s[8:9]
	v_max_num_f64_e64 v[4:5], s[10:11], s[10:11]
	s_delay_alu instid0(VALU_DEP_2) | instskip(NEXT) | instid1(VALU_DEP_1)
	v_max_num_f64_e32 v[2:3], v[0:1], v[2:3]
	v_min_num_f64_e32 v[2:3], v[2:3], v[4:5]
	s_cbranch_execz .LBB214_25
	s_branch .LBB214_26
.LBB214_20:
	s_mov_b32 s21, -1
                                        ; implicit-def: $vgpr0_vgpr1
	s_branch .LBB214_156
.LBB214_21:
	s_mov_b32 s21, -1
                                        ; implicit-def: $vgpr2_vgpr3
.LBB214_22:
	s_branch .LBB214_18
.LBB214_23:
	s_cmp_lg_u32 s14, 0
	s_mov_b32 s16, -1
	s_cselect_b32 s21, -1, 0
	v_max_num_f64_e32 v[0:1], v[0:1], v[0:1]
	s_and_not1_b32 vcc_lo, exec_lo, s21
	s_cbranch_vccz .LBB214_19
.LBB214_24:
	s_and_not1_b32 vcc_lo, exec_lo, s16
	s_cbranch_vccnz .LBB214_26
.LBB214_25:
	v_max_num_f64_e64 v[2:3], s[8:9], s[8:9]
	s_delay_alu instid0(VALU_DEP_1)
	v_max_num_f64_e32 v[2:3], v[0:1], v[2:3]
.LBB214_26:
	s_delay_alu instid0(VALU_DEP_1)
	v_mov_b64_e32 v[0:1], v[2:3]
.LBB214_27:
	s_or_b32 exec_lo, exec_lo, s0
	v_mul_lo_u32 v2, v14, s12
	s_and_b32 s16, s2, 0xff
	s_delay_alu instid0(SALU_CYCLE_1) | instskip(NEXT) | instid1(VALU_DEP_1)
	s_cmp_lt_i32 s16, 11
	v_ashrrev_i32_e32 v3, 31, v2
	s_delay_alu instid0(VALU_DEP_1)
	v_add_nc_u64_e32 v[4:5], s[4:5], v[2:3]
	s_cbranch_scc1 .LBB214_34
; %bb.28:
	s_and_b32 s21, 0xffff, s16
	s_delay_alu instid0(SALU_CYCLE_1)
	s_cmp_gt_i32 s21, 25
	s_cbranch_scc0 .LBB214_36
; %bb.29:
	s_cmp_gt_i32 s21, 28
	s_cbranch_scc0 .LBB214_37
; %bb.30:
	;; [unrolled: 3-line block ×4, first 2 shown]
	s_mov_b32 s23, 0
	s_mov_b32 s0, -1
	s_cmp_eq_u32 s21, 46
	s_mov_b32 s22, 0
	s_cbranch_scc0 .LBB214_46
; %bb.33:
	v_cvt_f32_f64_e32 v2, v[0:1]
	s_mov_b32 s22, -1
	s_mov_b32 s0, 0
	s_delay_alu instid0(VALU_DEP_1) | instskip(SKIP_1) | instid1(VALU_DEP_2)
	v_bfe_u32 v3, v2, 16, 1
	v_cmp_o_f32_e32 vcc_lo, v2, v2
	v_add3_u32 v3, v2, v3, 0x7fff
	s_delay_alu instid0(VALU_DEP_1) | instskip(NEXT) | instid1(VALU_DEP_1)
	v_lshrrev_b32_e32 v3, 16, v3
	v_cndmask_b32_e32 v2, 0x7fc0, v3, vcc_lo
	global_store_b32 v[4:5], v2, off
	s_branch .LBB214_46
.LBB214_34:
	s_mov_b32 s0, 0
	s_mov_b32 s22, 0
	s_cbranch_execnz .LBB214_115
.LBB214_35:
	s_and_not1_b32 vcc_lo, exec_lo, s22
	s_cbranch_vccnz .LBB214_263
	s_branch .LBB214_153
.LBB214_36:
	s_mov_b32 s23, -1
	s_mov_b32 s0, 0
	s_mov_b32 s22, 0
	s_branch .LBB214_73
.LBB214_37:
	s_mov_b32 s23, -1
	s_mov_b32 s0, 0
	s_mov_b32 s22, 0
	s_branch .LBB214_56
.LBB214_38:
	s_mov_b32 s21, -1
	s_branch .LBB214_41
.LBB214_39:
	s_mov_b32 s23, -1
	s_mov_b32 s0, 0
	s_mov_b32 s22, 0
	s_branch .LBB214_52
.LBB214_40:
	s_mov_b32 s18, -1
.LBB214_41:
                                        ; implicit-def: $vgpr0_vgpr1
.LBB214_42:
	s_and_b32 vcc_lo, exec_lo, s21
	s_cbranch_vccz .LBB214_155
; %bb.43:
	s_cmp_eq_u32 s0, 44
	s_cbranch_scc0 .LBB214_154
; %bb.44:
	global_load_u8 v4, v[2:3], off
	s_mov_b32 s18, 0
	s_mov_b32 s16, -1
	s_wait_loadcnt 0x0
	v_cmp_ne_u32_e32 vcc_lo, 0xff, v4
	v_lshlrev_b32_e32 v0, 23, v4
	s_delay_alu instid0(VALU_DEP_1) | instskip(NEXT) | instid1(VALU_DEP_1)
	v_cvt_f64_f32_e32 v[0:1], v0
	v_cndmask_b32_e32 v0, 0x20000000, v0, vcc_lo
	s_delay_alu instid0(VALU_DEP_2) | instskip(SKIP_1) | instid1(VALU_DEP_2)
	v_cndmask_b32_e32 v1, 0x7ff80000, v1, vcc_lo
	v_cmp_ne_u32_e32 vcc_lo, 0, v4
	v_cndmask_b32_e32 v1, 0x38000000, v1, vcc_lo
	s_delay_alu instid0(VALU_DEP_4)
	v_cndmask_b32_e32 v0, 0, v0, vcc_lo
	s_branch .LBB214_155
.LBB214_45:
	s_mov_b32 s23, -1
	s_mov_b32 s0, 0
	s_mov_b32 s22, 0
.LBB214_46:
	s_and_b32 vcc_lo, exec_lo, s23
	s_cbranch_vccz .LBB214_51
; %bb.47:
	s_cmp_eq_u32 s21, 44
	s_mov_b32 s0, -1
	s_cbranch_scc0 .LBB214_51
; %bb.48:
	s_wait_xcnt 0x0
	v_cvt_f32_f64_e32 v2, v[0:1]
	v_mov_b32_e32 v3, 0xff
	s_mov_b32 s22, exec_lo
	s_delay_alu instid0(VALU_DEP_2) | instskip(NEXT) | instid1(VALU_DEP_1)
	v_bfe_u32 v6, v2, 23, 8
	v_cmpx_ne_u32_e32 0xff, v6
	s_cbranch_execz .LBB214_50
; %bb.49:
	v_and_b32_e32 v3, 0x400000, v2
	v_and_or_b32 v6, 0x3fffff, v2, v6
	v_lshrrev_b32_e32 v2, 23, v2
	s_delay_alu instid0(VALU_DEP_3) | instskip(NEXT) | instid1(VALU_DEP_3)
	v_cmp_ne_u32_e32 vcc_lo, 0, v3
	v_cmp_ne_u32_e64 s0, 0, v6
	s_and_b32 s0, vcc_lo, s0
	s_delay_alu instid0(SALU_CYCLE_1) | instskip(NEXT) | instid1(VALU_DEP_1)
	v_cndmask_b32_e64 v3, 0, 1, s0
	v_add_nc_u32_e32 v3, v2, v3
.LBB214_50:
	s_or_b32 exec_lo, exec_lo, s22
	s_mov_b32 s22, -1
	s_mov_b32 s0, 0
	global_store_b8 v[4:5], v3, off
.LBB214_51:
	s_mov_b32 s23, 0
.LBB214_52:
	s_delay_alu instid0(SALU_CYCLE_1)
	s_and_b32 vcc_lo, exec_lo, s23
	s_cbranch_vccz .LBB214_55
; %bb.53:
	s_cmp_eq_u32 s21, 29
	s_mov_b32 s0, -1
	s_cbranch_scc0 .LBB214_55
; %bb.54:
	s_wait_xcnt 0x0
	v_trunc_f64_e32 v[2:3], v[0:1]
	s_mov_b32 s22, -1
	s_mov_b32 s0, 0
	s_mov_b32 s23, 0
	s_delay_alu instid0(VALU_DEP_1) | instskip(NEXT) | instid1(VALU_DEP_1)
	v_ldexp_f64 v[6:7], v[2:3], 0xffffffe0
	v_floor_f64_e32 v[6:7], v[6:7]
	s_delay_alu instid0(VALU_DEP_1) | instskip(SKIP_1) | instid1(VALU_DEP_2)
	v_fmamk_f64 v[2:3], v[6:7], 0xc1f00000, v[2:3]
	v_cvt_u32_f64_e32 v7, v[6:7]
	v_cvt_u32_f64_e32 v6, v[2:3]
	global_store_b64 v[4:5], v[6:7], off
	s_branch .LBB214_56
.LBB214_55:
	s_mov_b32 s23, 0
.LBB214_56:
	s_delay_alu instid0(SALU_CYCLE_1)
	s_and_b32 vcc_lo, exec_lo, s23
	s_cbranch_vccz .LBB214_72
; %bb.57:
	s_cmp_lt_i32 s21, 27
	s_mov_b32 s22, -1
	s_cbranch_scc1 .LBB214_63
; %bb.58:
	s_wait_xcnt 0x0
	v_cvt_u32_f64_e32 v2, v[0:1]
	s_cmp_gt_i32 s21, 27
	s_cbranch_scc0 .LBB214_60
; %bb.59:
	s_mov_b32 s22, 0
	global_store_b32 v[4:5], v2, off
.LBB214_60:
	s_and_not1_b32 vcc_lo, exec_lo, s22
	s_cbranch_vccnz .LBB214_62
; %bb.61:
	global_store_b16 v[4:5], v2, off
.LBB214_62:
	s_mov_b32 s22, 0
.LBB214_63:
	s_delay_alu instid0(SALU_CYCLE_1)
	s_and_not1_b32 vcc_lo, exec_lo, s22
	s_cbranch_vccnz .LBB214_71
; %bb.64:
	s_wait_xcnt 0x0
	v_cvt_f32_f64_e32 v2, v[0:1]
	v_mov_b32_e32 v6, 0x80
	s_mov_b32 s22, exec_lo
	s_delay_alu instid0(VALU_DEP_2) | instskip(NEXT) | instid1(VALU_DEP_1)
	v_and_b32_e32 v3, 0x7fffffff, v2
	v_cmpx_gt_u32_e32 0x43800000, v3
	s_cbranch_execz .LBB214_70
; %bb.65:
	v_cmp_lt_u32_e32 vcc_lo, 0x3bffffff, v3
	s_mov_b32 s23, 0
                                        ; implicit-def: $vgpr3
	s_and_saveexec_b32 s24, vcc_lo
	s_delay_alu instid0(SALU_CYCLE_1)
	s_xor_b32 s24, exec_lo, s24
	s_cbranch_execz .LBB214_306
; %bb.66:
	v_bfe_u32 v3, v2, 20, 1
	s_mov_b32 s23, exec_lo
	s_delay_alu instid0(VALU_DEP_1) | instskip(NEXT) | instid1(VALU_DEP_1)
	v_add3_u32 v3, v2, v3, 0x487ffff
	v_lshrrev_b32_e32 v3, 20, v3
	s_and_not1_saveexec_b32 s24, s24
	s_cbranch_execnz .LBB214_307
.LBB214_67:
	s_or_b32 exec_lo, exec_lo, s24
	v_mov_b32_e32 v6, 0
	s_and_saveexec_b32 s24, s23
.LBB214_68:
	v_lshrrev_b32_e32 v2, 24, v2
	s_delay_alu instid0(VALU_DEP_1)
	v_and_or_b32 v6, 0x80, v2, v3
.LBB214_69:
	s_or_b32 exec_lo, exec_lo, s24
.LBB214_70:
	s_delay_alu instid0(SALU_CYCLE_1)
	s_or_b32 exec_lo, exec_lo, s22
	global_store_b8 v[4:5], v6, off
.LBB214_71:
	s_mov_b32 s22, -1
.LBB214_72:
	s_mov_b32 s23, 0
.LBB214_73:
	s_delay_alu instid0(SALU_CYCLE_1)
	s_and_b32 vcc_lo, exec_lo, s23
	s_cbranch_vccz .LBB214_114
; %bb.74:
	s_cmp_gt_i32 s21, 22
	s_mov_b32 s23, -1
	s_cbranch_scc0 .LBB214_106
; %bb.75:
	s_cmp_lt_i32 s21, 24
	s_mov_b32 s22, -1
	s_cbranch_scc1 .LBB214_95
; %bb.76:
	s_cmp_gt_i32 s21, 24
	s_cbranch_scc0 .LBB214_84
; %bb.77:
	s_wait_xcnt 0x0
	v_cvt_f32_f64_e32 v2, v[0:1]
	v_mov_b32_e32 v6, 0x80
	s_mov_b32 s22, exec_lo
	s_delay_alu instid0(VALU_DEP_2) | instskip(NEXT) | instid1(VALU_DEP_1)
	v_and_b32_e32 v3, 0x7fffffff, v2
	v_cmpx_gt_u32_e32 0x47800000, v3
	s_cbranch_execz .LBB214_83
; %bb.78:
	v_cmp_lt_u32_e32 vcc_lo, 0x37ffffff, v3
	s_mov_b32 s23, 0
                                        ; implicit-def: $vgpr3
	s_and_saveexec_b32 s24, vcc_lo
	s_delay_alu instid0(SALU_CYCLE_1)
	s_xor_b32 s24, exec_lo, s24
	s_cbranch_execz .LBB214_310
; %bb.79:
	v_bfe_u32 v3, v2, 21, 1
	s_mov_b32 s23, exec_lo
	s_delay_alu instid0(VALU_DEP_1) | instskip(NEXT) | instid1(VALU_DEP_1)
	v_add3_u32 v3, v2, v3, 0x88fffff
	v_lshrrev_b32_e32 v3, 21, v3
	s_and_not1_saveexec_b32 s24, s24
	s_cbranch_execnz .LBB214_311
.LBB214_80:
	s_or_b32 exec_lo, exec_lo, s24
	v_mov_b32_e32 v6, 0
	s_and_saveexec_b32 s24, s23
.LBB214_81:
	v_lshrrev_b32_e32 v2, 24, v2
	s_delay_alu instid0(VALU_DEP_1)
	v_and_or_b32 v6, 0x80, v2, v3
.LBB214_82:
	s_or_b32 exec_lo, exec_lo, s24
.LBB214_83:
	s_delay_alu instid0(SALU_CYCLE_1)
	s_or_b32 exec_lo, exec_lo, s22
	s_mov_b32 s22, 0
	global_store_b8 v[4:5], v6, off
.LBB214_84:
	s_and_b32 vcc_lo, exec_lo, s22
	s_cbranch_vccz .LBB214_94
; %bb.85:
	s_wait_xcnt 0x0
	v_cvt_f32_f64_e32 v2, v[0:1]
	s_mov_b32 s22, exec_lo
                                        ; implicit-def: $vgpr3
	s_delay_alu instid0(VALU_DEP_1) | instskip(NEXT) | instid1(VALU_DEP_1)
	v_and_b32_e32 v6, 0x7fffffff, v2
	v_cmpx_gt_u32_e32 0x43f00000, v6
	s_xor_b32 s22, exec_lo, s22
	s_cbranch_execz .LBB214_91
; %bb.86:
	s_mov_b32 s23, exec_lo
                                        ; implicit-def: $vgpr3
	v_cmpx_lt_u32_e32 0x3c7fffff, v6
	s_xor_b32 s23, exec_lo, s23
; %bb.87:
	v_bfe_u32 v3, v2, 20, 1
	s_delay_alu instid0(VALU_DEP_1) | instskip(NEXT) | instid1(VALU_DEP_1)
	v_add3_u32 v3, v2, v3, 0x407ffff
	v_and_b32_e32 v6, 0xff00000, v3
	v_lshrrev_b32_e32 v3, 20, v3
	s_delay_alu instid0(VALU_DEP_2) | instskip(NEXT) | instid1(VALU_DEP_2)
	v_cmp_ne_u32_e32 vcc_lo, 0x7f00000, v6
	v_cndmask_b32_e32 v3, 0x7e, v3, vcc_lo
; %bb.88:
	s_and_not1_saveexec_b32 s23, s23
; %bb.89:
	v_add_f32_e64 v3, 0x46800000, |v2|
; %bb.90:
	s_or_b32 exec_lo, exec_lo, s23
                                        ; implicit-def: $vgpr6
.LBB214_91:
	s_and_not1_saveexec_b32 s22, s22
; %bb.92:
	v_mov_b32_e32 v3, 0x7f
	v_cmp_lt_u32_e32 vcc_lo, 0x7f800000, v6
	s_delay_alu instid0(VALU_DEP_2)
	v_cndmask_b32_e32 v3, 0x7e, v3, vcc_lo
; %bb.93:
	s_or_b32 exec_lo, exec_lo, s22
	v_lshrrev_b32_e32 v2, 24, v2
	s_delay_alu instid0(VALU_DEP_1)
	v_and_or_b32 v2, 0x80, v2, v3
	global_store_b8 v[4:5], v2, off
.LBB214_94:
	s_mov_b32 s22, 0
.LBB214_95:
	s_delay_alu instid0(SALU_CYCLE_1)
	s_and_not1_b32 vcc_lo, exec_lo, s22
	s_cbranch_vccnz .LBB214_105
; %bb.96:
	s_wait_xcnt 0x0
	v_cvt_f32_f64_e32 v2, v[0:1]
	s_mov_b32 s22, exec_lo
                                        ; implicit-def: $vgpr3
	s_delay_alu instid0(VALU_DEP_1) | instskip(NEXT) | instid1(VALU_DEP_1)
	v_and_b32_e32 v6, 0x7fffffff, v2
	v_cmpx_gt_u32_e32 0x47800000, v6
	s_xor_b32 s22, exec_lo, s22
	s_cbranch_execz .LBB214_102
; %bb.97:
	s_mov_b32 s23, exec_lo
                                        ; implicit-def: $vgpr3
	v_cmpx_lt_u32_e32 0x387fffff, v6
	s_xor_b32 s23, exec_lo, s23
; %bb.98:
	v_bfe_u32 v3, v2, 21, 1
	s_delay_alu instid0(VALU_DEP_1) | instskip(NEXT) | instid1(VALU_DEP_1)
	v_add3_u32 v3, v2, v3, 0x80fffff
	v_lshrrev_b32_e32 v3, 21, v3
; %bb.99:
	s_and_not1_saveexec_b32 s23, s23
; %bb.100:
	v_add_f32_e64 v3, 0x43000000, |v2|
; %bb.101:
	s_or_b32 exec_lo, exec_lo, s23
                                        ; implicit-def: $vgpr6
.LBB214_102:
	s_and_not1_saveexec_b32 s22, s22
; %bb.103:
	v_mov_b32_e32 v3, 0x7f
	v_cmp_lt_u32_e32 vcc_lo, 0x7f800000, v6
	s_delay_alu instid0(VALU_DEP_2)
	v_cndmask_b32_e32 v3, 0x7c, v3, vcc_lo
; %bb.104:
	s_or_b32 exec_lo, exec_lo, s22
	v_lshrrev_b32_e32 v2, 24, v2
	s_delay_alu instid0(VALU_DEP_1)
	v_and_or_b32 v2, 0x80, v2, v3
	global_store_b8 v[4:5], v2, off
.LBB214_105:
	s_mov_b32 s23, 0
	s_mov_b32 s22, -1
.LBB214_106:
	s_and_not1_b32 vcc_lo, exec_lo, s23
	s_cbranch_vccnz .LBB214_114
; %bb.107:
	s_cmp_gt_i32 s21, 14
	s_mov_b32 s23, -1
	s_cbranch_scc0 .LBB214_111
; %bb.108:
	s_cmp_eq_u32 s21, 15
	s_mov_b32 s0, -1
	s_cbranch_scc0 .LBB214_110
; %bb.109:
	s_wait_xcnt 0x0
	v_cvt_f32_f64_e32 v2, v[0:1]
	s_mov_b32 s22, -1
	s_mov_b32 s0, 0
	s_delay_alu instid0(VALU_DEP_1) | instskip(SKIP_1) | instid1(VALU_DEP_2)
	v_bfe_u32 v3, v2, 16, 1
	v_cmp_o_f32_e32 vcc_lo, v2, v2
	v_add3_u32 v3, v2, v3, 0x7fff
	s_delay_alu instid0(VALU_DEP_1) | instskip(NEXT) | instid1(VALU_DEP_1)
	v_lshrrev_b32_e32 v3, 16, v3
	v_cndmask_b32_e32 v2, 0x7fc0, v3, vcc_lo
	global_store_b16 v[4:5], v2, off
.LBB214_110:
	s_mov_b32 s23, 0
.LBB214_111:
	s_delay_alu instid0(SALU_CYCLE_1)
	s_and_b32 vcc_lo, exec_lo, s23
	s_cbranch_vccz .LBB214_114
; %bb.112:
	s_cmp_eq_u32 s21, 11
	s_mov_b32 s0, -1
	s_cbranch_scc0 .LBB214_114
; %bb.113:
	v_cmp_neq_f64_e32 vcc_lo, 0, v[0:1]
	s_mov_b32 s22, -1
	s_mov_b32 s0, 0
	s_wait_xcnt 0x0
	v_cndmask_b32_e64 v2, 0, 1, vcc_lo
	global_store_b8 v[4:5], v2, off
.LBB214_114:
	s_branch .LBB214_35
.LBB214_115:
	s_and_b32 s16, 0xffff, s16
	s_mov_b32 s21, -1
	s_cmp_lt_i32 s16, 5
	s_cbranch_scc1 .LBB214_136
; %bb.116:
	s_cmp_lt_i32 s16, 8
	s_cbranch_scc1 .LBB214_126
; %bb.117:
	;; [unrolled: 3-line block ×3, first 2 shown]
	s_cmp_gt_i32 s16, 9
	s_cbranch_scc0 .LBB214_120
; %bb.119:
	s_wait_xcnt 0x0
	v_mov_b32_e32 v2, 0
	s_mov_b32 s21, 0
	s_delay_alu instid0(VALU_DEP_1)
	v_mov_b32_e32 v3, v2
	global_store_b128 v[4:5], v[0:3], off
.LBB214_120:
	s_and_not1_b32 vcc_lo, exec_lo, s21
	s_cbranch_vccnz .LBB214_122
; %bb.121:
	s_wait_xcnt 0x0
	v_cvt_f32_f64_e32 v2, v[0:1]
	v_mov_b32_e32 v3, 0
	global_store_b64 v[4:5], v[2:3], off
.LBB214_122:
	s_mov_b32 s21, 0
.LBB214_123:
	s_delay_alu instid0(SALU_CYCLE_1)
	s_and_not1_b32 vcc_lo, exec_lo, s21
	s_cbranch_vccnz .LBB214_125
; %bb.124:
	s_wait_xcnt 0x0
	v_and_or_b32 v2, 0x1ff, v1, v0
	v_lshrrev_b32_e32 v3, 8, v1
	v_bfe_u32 v6, v1, 20, 11
	s_delay_alu instid0(VALU_DEP_3) | instskip(NEXT) | instid1(VALU_DEP_2)
	v_cmp_ne_u32_e32 vcc_lo, 0, v2
	v_sub_nc_u32_e32 v7, 0x3f1, v6
	v_cndmask_b32_e64 v2, 0, 1, vcc_lo
	s_delay_alu instid0(VALU_DEP_1) | instskip(NEXT) | instid1(VALU_DEP_3)
	v_and_or_b32 v2, 0xffe, v3, v2
	v_med3_i32 v3, v7, 0, 13
	s_delay_alu instid0(VALU_DEP_2) | instskip(NEXT) | instid1(VALU_DEP_1)
	v_or_b32_e32 v7, 0x1000, v2
	v_lshrrev_b32_e32 v8, v3, v7
	s_delay_alu instid0(VALU_DEP_1) | instskip(NEXT) | instid1(VALU_DEP_1)
	v_lshlrev_b32_e32 v3, v3, v8
	v_cmp_ne_u32_e32 vcc_lo, v3, v7
	v_cndmask_b32_e64 v3, 0, 1, vcc_lo
	s_delay_alu instid0(VALU_DEP_1) | instskip(SKIP_1) | instid1(VALU_DEP_1)
	v_or_b32_e32 v3, v8, v3
	v_add_nc_u32_e32 v6, 0xfffffc10, v6
	v_lshl_or_b32 v7, v6, 12, v2
	v_cmp_gt_i32_e32 vcc_lo, 1, v6
	s_delay_alu instid0(VALU_DEP_2) | instskip(NEXT) | instid1(VALU_DEP_1)
	v_cndmask_b32_e32 v3, v7, v3, vcc_lo
	v_dual_lshrrev_b32 v3, 2, v3 :: v_dual_bitop2_b32 v7, 7, v3 bitop3:0x40
	s_delay_alu instid0(VALU_DEP_1) | instskip(SKIP_4) | instid1(VALU_DEP_2)
	v_cmp_lt_i32_e32 vcc_lo, 5, v7
	v_cndmask_b32_e64 v8, 0, 1, vcc_lo
	v_cmp_eq_u32_e32 vcc_lo, 3, v7
	v_cndmask_b32_e64 v7, 0, 1, vcc_lo
	v_cmp_ne_u32_e32 vcc_lo, 0, v2
	v_or_b32_e32 v7, v7, v8
	s_delay_alu instid0(VALU_DEP_1) | instskip(NEXT) | instid1(VALU_DEP_1)
	v_dual_mov_b32 v8, 0x7e00 :: v_dual_add_nc_u32 v3, v3, v7
	v_cndmask_b32_e32 v2, 0x7c00, v8, vcc_lo
	v_cmp_gt_i32_e32 vcc_lo, 31, v6
	v_lshrrev_b32_e32 v7, 16, v1
	s_delay_alu instid0(VALU_DEP_4) | instskip(SKIP_1) | instid1(VALU_DEP_2)
	v_cndmask_b32_e32 v3, 0x7c00, v3, vcc_lo
	v_cmp_eq_u32_e32 vcc_lo, 0x40f, v6
	v_cndmask_b32_e32 v2, v3, v2, vcc_lo
	s_delay_alu instid0(VALU_DEP_4) | instskip(NEXT) | instid1(VALU_DEP_1)
	v_and_b32_e32 v3, 0x8000, v7
	v_bitop3_b32 v2, v3, 0xffff, v2 bitop3:0xc8
	global_store_b32 v[4:5], v2, off
.LBB214_125:
	s_mov_b32 s21, 0
.LBB214_126:
	s_delay_alu instid0(SALU_CYCLE_1)
	s_and_not1_b32 vcc_lo, exec_lo, s21
	s_cbranch_vccnz .LBB214_135
; %bb.127:
	s_cmp_lt_i32 s16, 6
	s_mov_b32 s21, -1
	s_cbranch_scc1 .LBB214_133
; %bb.128:
	s_cmp_gt_i32 s16, 6
	s_cbranch_scc0 .LBB214_130
; %bb.129:
	s_mov_b32 s21, 0
	global_store_b64 v[4:5], v[0:1], off
.LBB214_130:
	s_and_not1_b32 vcc_lo, exec_lo, s21
	s_cbranch_vccnz .LBB214_132
; %bb.131:
	s_wait_xcnt 0x0
	v_cvt_f32_f64_e32 v2, v[0:1]
	global_store_b32 v[4:5], v2, off
.LBB214_132:
	s_mov_b32 s21, 0
.LBB214_133:
	s_delay_alu instid0(SALU_CYCLE_1)
	s_and_not1_b32 vcc_lo, exec_lo, s21
	s_cbranch_vccnz .LBB214_135
; %bb.134:
	s_wait_xcnt 0x0
	v_and_or_b32 v2, 0x1ff, v1, v0
	v_lshrrev_b32_e32 v3, 8, v1
	v_bfe_u32 v6, v1, 20, 11
	s_delay_alu instid0(VALU_DEP_3) | instskip(NEXT) | instid1(VALU_DEP_2)
	v_cmp_ne_u32_e32 vcc_lo, 0, v2
	v_sub_nc_u32_e32 v7, 0x3f1, v6
	v_cndmask_b32_e64 v2, 0, 1, vcc_lo
	s_delay_alu instid0(VALU_DEP_1) | instskip(NEXT) | instid1(VALU_DEP_3)
	v_and_or_b32 v2, 0xffe, v3, v2
	v_med3_i32 v3, v7, 0, 13
	s_delay_alu instid0(VALU_DEP_2) | instskip(NEXT) | instid1(VALU_DEP_1)
	v_or_b32_e32 v7, 0x1000, v2
	v_lshrrev_b32_e32 v8, v3, v7
	s_delay_alu instid0(VALU_DEP_1) | instskip(NEXT) | instid1(VALU_DEP_1)
	v_lshlrev_b32_e32 v3, v3, v8
	v_cmp_ne_u32_e32 vcc_lo, v3, v7
	v_cndmask_b32_e64 v3, 0, 1, vcc_lo
	s_delay_alu instid0(VALU_DEP_1) | instskip(SKIP_1) | instid1(VALU_DEP_1)
	v_or_b32_e32 v3, v8, v3
	v_add_nc_u32_e32 v6, 0xfffffc10, v6
	v_lshl_or_b32 v7, v6, 12, v2
	v_cmp_gt_i32_e32 vcc_lo, 1, v6
	s_delay_alu instid0(VALU_DEP_2) | instskip(NEXT) | instid1(VALU_DEP_1)
	v_cndmask_b32_e32 v3, v7, v3, vcc_lo
	v_dual_lshrrev_b32 v3, 2, v3 :: v_dual_bitop2_b32 v7, 7, v3 bitop3:0x40
	s_delay_alu instid0(VALU_DEP_1) | instskip(SKIP_4) | instid1(VALU_DEP_2)
	v_cmp_lt_i32_e32 vcc_lo, 5, v7
	v_cndmask_b32_e64 v8, 0, 1, vcc_lo
	v_cmp_eq_u32_e32 vcc_lo, 3, v7
	v_cndmask_b32_e64 v7, 0, 1, vcc_lo
	v_cmp_ne_u32_e32 vcc_lo, 0, v2
	v_or_b32_e32 v7, v7, v8
	s_delay_alu instid0(VALU_DEP_1) | instskip(NEXT) | instid1(VALU_DEP_1)
	v_dual_mov_b32 v8, 0x7e00 :: v_dual_add_nc_u32 v3, v3, v7
	v_cndmask_b32_e32 v2, 0x7c00, v8, vcc_lo
	v_cmp_gt_i32_e32 vcc_lo, 31, v6
	s_delay_alu instid0(VALU_DEP_3) | instskip(SKIP_1) | instid1(VALU_DEP_2)
	v_cndmask_b32_e32 v3, 0x7c00, v3, vcc_lo
	v_cmp_eq_u32_e32 vcc_lo, 0x40f, v6
	v_dual_cndmask_b32 v2, v3, v2 :: v_dual_lshrrev_b32 v3, 16, v1
	s_delay_alu instid0(VALU_DEP_1)
	v_and_or_b32 v2, 0x8000, v3, v2
	global_store_b16 v[4:5], v2, off
.LBB214_135:
	s_mov_b32 s21, 0
.LBB214_136:
	s_delay_alu instid0(SALU_CYCLE_1)
	s_and_not1_b32 vcc_lo, exec_lo, s21
	s_cbranch_vccnz .LBB214_152
; %bb.137:
	s_cmp_lt_i32 s16, 2
	s_mov_b32 s21, -1
	s_cbranch_scc1 .LBB214_147
; %bb.138:
	s_cmp_lt_i32 s16, 3
	s_cbranch_scc1 .LBB214_144
; %bb.139:
	s_cmp_gt_i32 s16, 3
	s_cbranch_scc0 .LBB214_141
; %bb.140:
	s_wait_xcnt 0x0
	v_trunc_f64_e32 v[2:3], v[0:1]
	s_mov_b32 s21, 0
	s_delay_alu instid0(VALU_DEP_1) | instskip(NEXT) | instid1(VALU_DEP_1)
	v_ldexp_f64 v[6:7], v[2:3], 0xffffffe0
	v_floor_f64_e32 v[6:7], v[6:7]
	s_delay_alu instid0(VALU_DEP_1) | instskip(SKIP_1) | instid1(VALU_DEP_2)
	v_fmamk_f64 v[2:3], v[6:7], 0xc1f00000, v[2:3]
	v_cvt_i32_f64_e32 v7, v[6:7]
	v_cvt_u32_f64_e32 v6, v[2:3]
	global_store_b64 v[4:5], v[6:7], off
.LBB214_141:
	s_and_not1_b32 vcc_lo, exec_lo, s21
	s_cbranch_vccnz .LBB214_143
; %bb.142:
	s_wait_xcnt 0x0
	v_cvt_i32_f64_e32 v2, v[0:1]
	global_store_b32 v[4:5], v2, off
.LBB214_143:
	s_mov_b32 s21, 0
.LBB214_144:
	s_delay_alu instid0(SALU_CYCLE_1)
	s_and_not1_b32 vcc_lo, exec_lo, s21
	s_cbranch_vccnz .LBB214_146
; %bb.145:
	s_wait_xcnt 0x0
	v_cvt_i32_f64_e32 v2, v[0:1]
	global_store_b16 v[4:5], v2, off
.LBB214_146:
	s_mov_b32 s21, 0
.LBB214_147:
	s_delay_alu instid0(SALU_CYCLE_1)
	s_and_not1_b32 vcc_lo, exec_lo, s21
	s_cbranch_vccnz .LBB214_152
; %bb.148:
	s_cmp_gt_i32 s16, 0
	s_mov_b32 s16, -1
	s_cbranch_scc0 .LBB214_150
; %bb.149:
	s_wait_xcnt 0x0
	v_cvt_i32_f64_e32 v2, v[0:1]
	s_mov_b32 s16, 0
	global_store_b8 v[4:5], v2, off
.LBB214_150:
	s_and_not1_b32 vcc_lo, exec_lo, s16
	s_cbranch_vccnz .LBB214_152
; %bb.151:
	s_wait_xcnt 0x0
	v_trunc_f64_e32 v[0:1], v[0:1]
	s_delay_alu instid0(VALU_DEP_1) | instskip(NEXT) | instid1(VALU_DEP_1)
	v_ldexp_f64 v[2:3], v[0:1], 0xffffffe0
	v_floor_f64_e32 v[2:3], v[2:3]
	s_delay_alu instid0(VALU_DEP_1) | instskip(NEXT) | instid1(VALU_DEP_1)
	v_fmamk_f64 v[0:1], v[2:3], 0xc1f00000, v[0:1]
	v_cvt_u32_f64_e32 v0, v[0:1]
	global_store_b8 v[4:5], v0, off
.LBB214_152:
.LBB214_153:
	v_add_nc_u32_e32 v14, 0x80, v14
	s_mov_b32 s21, -1
	s_branch .LBB214_264
.LBB214_154:
	s_mov_b32 s18, -1
                                        ; implicit-def: $vgpr0_vgpr1
.LBB214_155:
	s_mov_b32 s21, 0
.LBB214_156:
	s_delay_alu instid0(SALU_CYCLE_1)
	s_and_b32 vcc_lo, exec_lo, s21
	s_cbranch_vccz .LBB214_160
; %bb.157:
	s_cmp_eq_u32 s0, 29
	s_cbranch_scc0 .LBB214_159
; %bb.158:
	global_load_b64 v[0:1], v[2:3], off
	s_mov_b32 s16, -1
	s_mov_b32 s18, 0
	s_mov_b32 s21, 0
	s_wait_loadcnt 0x0
	v_cvt_f64_u32_e32 v[4:5], v1
	v_cvt_f64_u32_e32 v[0:1], v0
	s_delay_alu instid0(VALU_DEP_2) | instskip(NEXT) | instid1(VALU_DEP_1)
	v_ldexp_f64 v[4:5], v[4:5], 32
	v_add_f64_e32 v[0:1], v[4:5], v[0:1]
	s_branch .LBB214_161
.LBB214_159:
	s_mov_b32 s18, -1
                                        ; implicit-def: $vgpr0_vgpr1
.LBB214_160:
	s_mov_b32 s21, 0
.LBB214_161:
	s_delay_alu instid0(SALU_CYCLE_1)
	s_and_b32 vcc_lo, exec_lo, s21
	s_cbranch_vccz .LBB214_179
; %bb.162:
	s_cmp_lt_i32 s0, 27
	s_cbranch_scc1 .LBB214_165
; %bb.163:
	s_cmp_gt_i32 s0, 27
	s_cbranch_scc0 .LBB214_166
; %bb.164:
	global_load_b32 v0, v[2:3], off
	s_mov_b32 s16, 0
	s_wait_loadcnt 0x0
	v_cvt_f64_u32_e32 v[0:1], v0
	s_branch .LBB214_167
.LBB214_165:
	s_mov_b32 s16, -1
                                        ; implicit-def: $vgpr0_vgpr1
	s_branch .LBB214_170
.LBB214_166:
	s_mov_b32 s16, -1
                                        ; implicit-def: $vgpr0_vgpr1
.LBB214_167:
	s_delay_alu instid0(SALU_CYCLE_1)
	s_and_not1_b32 vcc_lo, exec_lo, s16
	s_cbranch_vccnz .LBB214_169
; %bb.168:
	global_load_u16 v0, v[2:3], off
	s_wait_loadcnt 0x0
	v_cvt_f64_u32_e32 v[0:1], v0
.LBB214_169:
	s_mov_b32 s16, 0
.LBB214_170:
	s_delay_alu instid0(SALU_CYCLE_1)
	s_and_not1_b32 vcc_lo, exec_lo, s16
	s_cbranch_vccnz .LBB214_178
; %bb.171:
	global_load_u8 v4, v[2:3], off
	s_mov_b32 s16, 0
	s_mov_b32 s21, exec_lo
	s_wait_loadcnt 0x0
	v_cmpx_lt_i16_e32 0x7f, v4
	s_xor_b32 s21, exec_lo, s21
	s_cbranch_execz .LBB214_191
; %bb.172:
	s_mov_b32 s16, -1
	s_mov_b32 s22, exec_lo
	v_cmpx_eq_u16_e32 0x80, v4
; %bb.173:
	s_xor_b32 s16, exec_lo, -1
; %bb.174:
	s_or_b32 exec_lo, exec_lo, s22
	s_delay_alu instid0(SALU_CYCLE_1)
	s_and_b32 s16, s16, exec_lo
	s_or_saveexec_b32 s21, s21
	v_mov_b64_e32 v[0:1], 0x7ff8000020000000
	s_xor_b32 exec_lo, exec_lo, s21
	s_cbranch_execnz .LBB214_192
.LBB214_175:
	s_or_b32 exec_lo, exec_lo, s21
	s_and_saveexec_b32 s21, s16
	s_cbranch_execz .LBB214_177
.LBB214_176:
	v_and_b32_e32 v0, 0xffff, v4
	s_delay_alu instid0(VALU_DEP_1) | instskip(SKIP_1) | instid1(VALU_DEP_2)
	v_and_b32_e32 v1, 7, v0
	v_bfe_u32 v7, v0, 3, 4
	v_clz_i32_u32_e32 v5, v1
	s_delay_alu instid0(VALU_DEP_2) | instskip(NEXT) | instid1(VALU_DEP_2)
	v_cmp_eq_u32_e32 vcc_lo, 0, v7
	v_min_u32_e32 v5, 32, v5
	s_delay_alu instid0(VALU_DEP_1) | instskip(NEXT) | instid1(VALU_DEP_1)
	v_subrev_nc_u32_e32 v6, 28, v5
	v_dual_lshlrev_b32 v0, v6, v0 :: v_dual_sub_nc_u32 v5, 29, v5
	s_delay_alu instid0(VALU_DEP_1) | instskip(NEXT) | instid1(VALU_DEP_2)
	v_and_b32_e32 v0, 7, v0
	v_dual_cndmask_b32 v5, v7, v5 :: v_dual_lshlrev_b32 v4, 24, v4
	s_delay_alu instid0(VALU_DEP_2) | instskip(NEXT) | instid1(VALU_DEP_2)
	v_cndmask_b32_e32 v0, v1, v0, vcc_lo
	v_and_b32_e32 v1, 0x80000000, v4
	s_delay_alu instid0(VALU_DEP_3) | instskip(NEXT) | instid1(VALU_DEP_3)
	v_lshl_add_u32 v4, v5, 23, 0x3b800000
	v_lshlrev_b32_e32 v0, 20, v0
	s_delay_alu instid0(VALU_DEP_1) | instskip(NEXT) | instid1(VALU_DEP_1)
	v_or3_b32 v0, v1, v4, v0
	v_cvt_f64_f32_e32 v[0:1], v0
.LBB214_177:
	s_or_b32 exec_lo, exec_lo, s21
.LBB214_178:
	s_mov_b32 s16, -1
.LBB214_179:
	s_branch .LBB214_214
.LBB214_180:
	s_cmp_gt_i32 s0, 22
	s_cbranch_scc0 .LBB214_190
; %bb.181:
	s_cmp_lt_i32 s0, 24
	s_cbranch_scc1 .LBB214_193
; %bb.182:
	s_cmp_gt_i32 s0, 24
	s_cbranch_scc0 .LBB214_194
; %bb.183:
	global_load_u8 v4, v[2:3], off
	s_mov_b32 s16, 0
	s_mov_b32 s21, exec_lo
	s_wait_loadcnt 0x0
	v_cmpx_lt_i16_e32 0x7f, v4
	s_xor_b32 s21, exec_lo, s21
	s_cbranch_execz .LBB214_206
; %bb.184:
	s_mov_b32 s16, -1
	s_mov_b32 s22, exec_lo
	v_cmpx_eq_u16_e32 0x80, v4
; %bb.185:
	s_xor_b32 s16, exec_lo, -1
; %bb.186:
	s_or_b32 exec_lo, exec_lo, s22
	s_delay_alu instid0(SALU_CYCLE_1)
	s_and_b32 s16, s16, exec_lo
	s_or_saveexec_b32 s21, s21
	v_mov_b64_e32 v[0:1], 0x7ff8000020000000
	s_xor_b32 exec_lo, exec_lo, s21
	s_cbranch_execnz .LBB214_207
.LBB214_187:
	s_or_b32 exec_lo, exec_lo, s21
	s_and_saveexec_b32 s21, s16
	s_cbranch_execz .LBB214_189
.LBB214_188:
	v_and_b32_e32 v0, 0xffff, v4
	s_delay_alu instid0(VALU_DEP_1) | instskip(SKIP_1) | instid1(VALU_DEP_2)
	v_and_b32_e32 v1, 3, v0
	v_bfe_u32 v7, v0, 2, 5
	v_clz_i32_u32_e32 v5, v1
	s_delay_alu instid0(VALU_DEP_2) | instskip(NEXT) | instid1(VALU_DEP_2)
	v_cmp_eq_u32_e32 vcc_lo, 0, v7
	v_min_u32_e32 v5, 32, v5
	s_delay_alu instid0(VALU_DEP_1) | instskip(NEXT) | instid1(VALU_DEP_1)
	v_subrev_nc_u32_e32 v6, 29, v5
	v_dual_lshlrev_b32 v0, v6, v0 :: v_dual_sub_nc_u32 v5, 30, v5
	s_delay_alu instid0(VALU_DEP_1) | instskip(NEXT) | instid1(VALU_DEP_2)
	v_and_b32_e32 v0, 3, v0
	v_dual_cndmask_b32 v5, v7, v5 :: v_dual_lshlrev_b32 v4, 24, v4
	s_delay_alu instid0(VALU_DEP_2) | instskip(NEXT) | instid1(VALU_DEP_2)
	v_cndmask_b32_e32 v0, v1, v0, vcc_lo
	v_and_b32_e32 v1, 0x80000000, v4
	s_delay_alu instid0(VALU_DEP_3) | instskip(NEXT) | instid1(VALU_DEP_3)
	v_lshl_add_u32 v4, v5, 23, 0x37800000
	v_lshlrev_b32_e32 v0, 21, v0
	s_delay_alu instid0(VALU_DEP_1) | instskip(NEXT) | instid1(VALU_DEP_1)
	v_or3_b32 v0, v1, v4, v0
	v_cvt_f64_f32_e32 v[0:1], v0
.LBB214_189:
	s_or_b32 exec_lo, exec_lo, s21
	s_mov_b32 s16, 0
	s_branch .LBB214_195
.LBB214_190:
	s_mov_b32 s21, -1
                                        ; implicit-def: $vgpr0_vgpr1
	s_branch .LBB214_201
.LBB214_191:
	s_or_saveexec_b32 s21, s21
	v_mov_b64_e32 v[0:1], 0x7ff8000020000000
	s_xor_b32 exec_lo, exec_lo, s21
	s_cbranch_execz .LBB214_175
.LBB214_192:
	v_cmp_ne_u16_e32 vcc_lo, 0, v4
	v_mov_b64_e32 v[0:1], 0
	s_and_not1_b32 s16, s16, exec_lo
	s_and_b32 s22, vcc_lo, exec_lo
	s_delay_alu instid0(SALU_CYCLE_1)
	s_or_b32 s16, s16, s22
	s_or_b32 exec_lo, exec_lo, s21
	s_and_saveexec_b32 s21, s16
	s_cbranch_execnz .LBB214_176
	s_branch .LBB214_177
.LBB214_193:
	s_mov_b32 s16, -1
                                        ; implicit-def: $vgpr0_vgpr1
	s_branch .LBB214_198
.LBB214_194:
	s_mov_b32 s16, -1
                                        ; implicit-def: $vgpr0_vgpr1
.LBB214_195:
	s_delay_alu instid0(SALU_CYCLE_1)
	s_and_b32 vcc_lo, exec_lo, s16
	s_cbranch_vccz .LBB214_197
; %bb.196:
	global_load_u8 v0, v[2:3], off
	s_wait_loadcnt 0x0
	v_lshlrev_b32_e32 v0, 24, v0
	s_delay_alu instid0(VALU_DEP_1) | instskip(NEXT) | instid1(VALU_DEP_1)
	v_and_b32_e32 v1, 0x7f000000, v0
	v_clz_i32_u32_e32 v4, v1
	v_cmp_ne_u32_e32 vcc_lo, 0, v1
	v_add_nc_u32_e32 v6, 0x1000000, v1
	s_delay_alu instid0(VALU_DEP_3) | instskip(NEXT) | instid1(VALU_DEP_1)
	v_min_u32_e32 v4, 32, v4
	v_sub_nc_u32_e64 v4, v4, 4 clamp
	s_delay_alu instid0(VALU_DEP_1) | instskip(NEXT) | instid1(VALU_DEP_1)
	v_dual_lshlrev_b32 v5, v4, v1 :: v_dual_lshlrev_b32 v4, 23, v4
	v_lshrrev_b32_e32 v5, 4, v5
	s_delay_alu instid0(VALU_DEP_1) | instskip(NEXT) | instid1(VALU_DEP_1)
	v_dual_sub_nc_u32 v4, v5, v4 :: v_dual_ashrrev_i32 v5, 8, v6
	v_add_nc_u32_e32 v4, 0x3c000000, v4
	s_delay_alu instid0(VALU_DEP_1) | instskip(NEXT) | instid1(VALU_DEP_1)
	v_and_or_b32 v4, 0x7f800000, v5, v4
	v_cndmask_b32_e32 v1, 0, v4, vcc_lo
	s_delay_alu instid0(VALU_DEP_1) | instskip(NEXT) | instid1(VALU_DEP_1)
	v_and_or_b32 v0, 0x80000000, v0, v1
	v_cvt_f64_f32_e32 v[0:1], v0
.LBB214_197:
	s_mov_b32 s16, 0
.LBB214_198:
	s_delay_alu instid0(SALU_CYCLE_1)
	s_and_not1_b32 vcc_lo, exec_lo, s16
	s_cbranch_vccnz .LBB214_200
; %bb.199:
	global_load_u8 v0, v[2:3], off
	s_wait_loadcnt 0x0
	v_lshlrev_b32_e32 v1, 25, v0
	v_lshlrev_b16 v0, 8, v0
	s_delay_alu instid0(VALU_DEP_1) | instskip(SKIP_1) | instid1(VALU_DEP_2)
	v_and_or_b32 v5, 0x7f00, v0, 0.5
	v_bfe_i32 v0, v0, 0, 16
	v_add_f32_e32 v5, -0.5, v5
	v_lshrrev_b32_e32 v4, 4, v1
	v_cmp_gt_u32_e32 vcc_lo, 0x8000000, v1
	s_delay_alu instid0(VALU_DEP_2) | instskip(NEXT) | instid1(VALU_DEP_1)
	v_or_b32_e32 v4, 0x70000000, v4
	v_mul_f32_e32 v4, 0x7800000, v4
	s_delay_alu instid0(VALU_DEP_1) | instskip(NEXT) | instid1(VALU_DEP_1)
	v_cndmask_b32_e32 v1, v4, v5, vcc_lo
	v_and_or_b32 v0, 0x80000000, v0, v1
	s_delay_alu instid0(VALU_DEP_1)
	v_cvt_f64_f32_e32 v[0:1], v0
.LBB214_200:
	s_mov_b32 s21, 0
	s_mov_b32 s16, -1
.LBB214_201:
	s_and_not1_b32 vcc_lo, exec_lo, s21
	s_cbranch_vccnz .LBB214_214
; %bb.202:
	s_cmp_gt_i32 s0, 14
	s_cbranch_scc0 .LBB214_205
; %bb.203:
	s_cmp_eq_u32 s0, 15
	s_cbranch_scc0 .LBB214_208
; %bb.204:
	global_load_u16 v0, v[2:3], off
	s_mov_b32 s16, -1
	s_mov_b32 s18, 0
	s_wait_loadcnt 0x0
	v_lshlrev_b32_e32 v0, 16, v0
	s_delay_alu instid0(VALU_DEP_1)
	v_cvt_f64_f32_e32 v[0:1], v0
	s_branch .LBB214_209
.LBB214_205:
	s_mov_b32 s21, -1
                                        ; implicit-def: $vgpr0_vgpr1
	s_branch .LBB214_210
.LBB214_206:
	s_or_saveexec_b32 s21, s21
	v_mov_b64_e32 v[0:1], 0x7ff8000020000000
	s_xor_b32 exec_lo, exec_lo, s21
	s_cbranch_execz .LBB214_187
.LBB214_207:
	v_cmp_ne_u16_e32 vcc_lo, 0, v4
	v_mov_b64_e32 v[0:1], 0
	s_and_not1_b32 s16, s16, exec_lo
	s_and_b32 s22, vcc_lo, exec_lo
	s_delay_alu instid0(SALU_CYCLE_1)
	s_or_b32 s16, s16, s22
	s_or_b32 exec_lo, exec_lo, s21
	s_and_saveexec_b32 s21, s16
	s_cbranch_execnz .LBB214_188
	s_branch .LBB214_189
.LBB214_208:
	s_mov_b32 s18, -1
                                        ; implicit-def: $vgpr0_vgpr1
.LBB214_209:
	s_mov_b32 s21, 0
.LBB214_210:
	s_delay_alu instid0(SALU_CYCLE_1)
	s_and_b32 vcc_lo, exec_lo, s21
	s_cbranch_vccz .LBB214_214
; %bb.211:
	s_cmp_eq_u32 s0, 11
	s_cbranch_scc0 .LBB214_213
; %bb.212:
	global_load_u8 v0, v[2:3], off
	s_mov_b32 s18, 0
	s_mov_b32 s16, -1
	s_wait_loadcnt 0x0
	v_cmp_ne_u16_e32 vcc_lo, 0, v0
	v_mov_b32_e32 v0, 0
	v_cndmask_b32_e64 v1, 0, 0x3ff00000, vcc_lo
	s_branch .LBB214_214
.LBB214_213:
	s_mov_b32 s18, -1
                                        ; implicit-def: $vgpr0_vgpr1
.LBB214_214:
	s_branch .LBB214_10
.LBB214_215:
	s_cmp_lt_i32 s0, 5
	s_cbranch_scc1 .LBB214_220
; %bb.216:
	s_cmp_lt_i32 s0, 8
	s_cbranch_scc1 .LBB214_221
; %bb.217:
	;; [unrolled: 3-line block ×3, first 2 shown]
	s_cmp_gt_i32 s0, 9
	s_cbranch_scc0 .LBB214_223
; %bb.219:
	global_load_b64 v[0:1], v[2:3], off
	s_mov_b32 s16, 0
	s_branch .LBB214_224
.LBB214_220:
                                        ; implicit-def: $vgpr0_vgpr1
	s_branch .LBB214_242
.LBB214_221:
	s_mov_b32 s16, -1
                                        ; implicit-def: $vgpr0_vgpr1
	s_branch .LBB214_230
.LBB214_222:
	s_mov_b32 s16, -1
                                        ; implicit-def: $vgpr0_vgpr1
	s_branch .LBB214_227
.LBB214_223:
	s_mov_b32 s16, -1
                                        ; implicit-def: $vgpr0_vgpr1
.LBB214_224:
	s_delay_alu instid0(SALU_CYCLE_1)
	s_and_not1_b32 vcc_lo, exec_lo, s16
	s_cbranch_vccnz .LBB214_226
; %bb.225:
	s_wait_loadcnt 0x0
	global_load_b32 v0, v[2:3], off
	s_wait_loadcnt 0x0
	v_cvt_f64_f32_e32 v[0:1], v0
.LBB214_226:
	s_mov_b32 s16, 0
.LBB214_227:
	s_delay_alu instid0(SALU_CYCLE_1)
	s_and_not1_b32 vcc_lo, exec_lo, s16
	s_cbranch_vccnz .LBB214_229
; %bb.228:
	s_wait_loadcnt 0x0
	global_load_b32 v0, v[2:3], off
	s_wait_loadcnt 0x0
	v_cvt_f32_f16_e32 v0, v0
	s_delay_alu instid0(VALU_DEP_1)
	v_cvt_f64_f32_e32 v[0:1], v0
.LBB214_229:
	s_mov_b32 s16, 0
.LBB214_230:
	s_delay_alu instid0(SALU_CYCLE_1)
	s_and_not1_b32 vcc_lo, exec_lo, s16
	s_cbranch_vccnz .LBB214_241
; %bb.231:
	s_cmp_lt_i32 s0, 6
	s_cbranch_scc1 .LBB214_234
; %bb.232:
	s_cmp_gt_i32 s0, 6
	s_cbranch_scc0 .LBB214_235
; %bb.233:
	s_wait_loadcnt 0x0
	global_load_b64 v[0:1], v[2:3], off
	s_mov_b32 s16, 0
	s_branch .LBB214_236
.LBB214_234:
	s_mov_b32 s16, -1
                                        ; implicit-def: $vgpr0_vgpr1
	s_branch .LBB214_239
.LBB214_235:
	s_mov_b32 s16, -1
                                        ; implicit-def: $vgpr0_vgpr1
.LBB214_236:
	s_delay_alu instid0(SALU_CYCLE_1)
	s_and_not1_b32 vcc_lo, exec_lo, s16
	s_cbranch_vccnz .LBB214_238
; %bb.237:
	s_wait_loadcnt 0x0
	global_load_b32 v0, v[2:3], off
	s_wait_loadcnt 0x0
	v_cvt_f64_f32_e32 v[0:1], v0
.LBB214_238:
	s_mov_b32 s16, 0
.LBB214_239:
	s_delay_alu instid0(SALU_CYCLE_1)
	s_and_not1_b32 vcc_lo, exec_lo, s16
	s_cbranch_vccnz .LBB214_241
; %bb.240:
	s_wait_loadcnt 0x0
	global_load_u16 v0, v[2:3], off
	s_wait_loadcnt 0x0
	v_cvt_f32_f16_e32 v0, v0
	s_delay_alu instid0(VALU_DEP_1)
	v_cvt_f64_f32_e32 v[0:1], v0
.LBB214_241:
	s_cbranch_execnz .LBB214_261
.LBB214_242:
	s_cmp_lt_i32 s0, 2
	s_cbranch_scc1 .LBB214_246
; %bb.243:
	s_cmp_lt_i32 s0, 3
	s_cbranch_scc1 .LBB214_247
; %bb.244:
	s_cmp_gt_i32 s0, 3
	s_cbranch_scc0 .LBB214_248
; %bb.245:
	s_wait_loadcnt 0x0
	global_load_b64 v[0:1], v[2:3], off
	s_mov_b32 s16, 0
	s_wait_loadcnt 0x0
	v_cvt_f64_i32_e32 v[4:5], v1
	v_cvt_f64_u32_e32 v[0:1], v0
	s_delay_alu instid0(VALU_DEP_2) | instskip(NEXT) | instid1(VALU_DEP_1)
	v_ldexp_f64 v[4:5], v[4:5], 32
	v_add_f64_e32 v[0:1], v[4:5], v[0:1]
	s_branch .LBB214_249
.LBB214_246:
	s_mov_b32 s16, -1
                                        ; implicit-def: $vgpr0_vgpr1
	s_branch .LBB214_255
.LBB214_247:
	s_mov_b32 s16, -1
                                        ; implicit-def: $vgpr0_vgpr1
	s_branch .LBB214_252
.LBB214_248:
	s_mov_b32 s16, -1
                                        ; implicit-def: $vgpr0_vgpr1
.LBB214_249:
	s_delay_alu instid0(SALU_CYCLE_1)
	s_and_not1_b32 vcc_lo, exec_lo, s16
	s_cbranch_vccnz .LBB214_251
; %bb.250:
	s_wait_loadcnt 0x0
	global_load_b32 v0, v[2:3], off
	s_wait_loadcnt 0x0
	v_cvt_f64_i32_e32 v[0:1], v0
.LBB214_251:
	s_mov_b32 s16, 0
.LBB214_252:
	s_delay_alu instid0(SALU_CYCLE_1)
	s_and_not1_b32 vcc_lo, exec_lo, s16
	s_cbranch_vccnz .LBB214_254
; %bb.253:
	s_wait_loadcnt 0x0
	global_load_i16 v0, v[2:3], off
	s_wait_loadcnt 0x0
	v_cvt_f64_i32_e32 v[0:1], v0
.LBB214_254:
	s_mov_b32 s16, 0
.LBB214_255:
	s_delay_alu instid0(SALU_CYCLE_1)
	s_and_not1_b32 vcc_lo, exec_lo, s16
	s_cbranch_vccnz .LBB214_261
; %bb.256:
	s_cmp_gt_i32 s0, 0
	s_mov_b32 s0, 0
	s_cbranch_scc0 .LBB214_258
; %bb.257:
	s_wait_loadcnt 0x0
	global_load_i8 v0, v[2:3], off
	s_wait_loadcnt 0x0
	v_cvt_f64_i32_e32 v[0:1], v0
	s_branch .LBB214_259
.LBB214_258:
	s_mov_b32 s0, -1
                                        ; implicit-def: $vgpr0_vgpr1
.LBB214_259:
	s_delay_alu instid0(SALU_CYCLE_1)
	s_and_not1_b32 vcc_lo, exec_lo, s0
	s_cbranch_vccnz .LBB214_261
; %bb.260:
	s_wait_loadcnt 0x0
	global_load_u8 v0, v[2:3], off
	s_wait_loadcnt 0x0
	v_cvt_f64_u32_e32 v[0:1], v0
.LBB214_261:
	s_branch .LBB214_11
.LBB214_262:
	s_mov_b32 s0, 0
.LBB214_263:
	s_mov_b32 s21, 0
                                        ; implicit-def: $vgpr14
.LBB214_264:
	s_and_b32 s16, s0, exec_lo
	s_and_b32 s18, s18, exec_lo
	s_or_not1_b32 s22, s21, exec_lo
.LBB214_265:
	s_wait_xcnt 0x0
	s_or_b32 exec_lo, exec_lo, s19
	s_mov_b32 s21, 0
	s_mov_b32 s0, 0
                                        ; implicit-def: $vgpr2_vgpr3
                                        ; implicit-def: $vgpr0_vgpr1
	s_and_saveexec_b32 s19, s22
	s_cbranch_execz .LBB214_274
; %bb.266:
	s_mov_b32 s0, -1
	s_mov_b32 s20, s18
	s_mov_b32 s21, s16
	s_mov_b32 s22, exec_lo
	v_cmpx_gt_i32_e64 s17, v14
	s_cbranch_execz .LBB214_542
; %bb.267:
	s_wait_loadcnt 0x0
	v_mul_lo_u32 v0, v14, s13
	s_and_b32 s0, 0xffff, s3
	s_delay_alu instid0(SALU_CYCLE_1) | instskip(NEXT) | instid1(VALU_DEP_1)
	s_cmp_lt_i32 s0, 11
	v_ashrrev_i32_e32 v1, 31, v0
	s_delay_alu instid0(VALU_DEP_1)
	v_add_nc_u64_e32 v[2:3], s[6:7], v[0:1]
	s_cbranch_scc1 .LBB214_277
; %bb.268:
	s_cmp_gt_i32 s0, 25
	s_cbranch_scc0 .LBB214_283
; %bb.269:
	s_cmp_gt_i32 s0, 28
	s_cbranch_scc0 .LBB214_284
	;; [unrolled: 3-line block ×4, first 2 shown]
; %bb.272:
	s_cmp_eq_u32 s0, 46
	s_mov_b32 s23, 0
	s_cbranch_scc0 .LBB214_312
; %bb.273:
	global_load_b32 v0, v[2:3], off
	s_mov_b32 s21, -1
	s_mov_b32 s20, 0
	s_wait_loadcnt 0x0
	v_lshlrev_b32_e32 v0, 16, v0
	s_delay_alu instid0(VALU_DEP_1)
	v_cvt_f64_f32_e32 v[0:1], v0
	s_branch .LBB214_314
.LBB214_274:
	s_or_b32 exec_lo, exec_lo, s19
	s_mov_b32 s17, 0
	s_and_saveexec_b32 s19, s18
	s_cbranch_execnz .LBB214_904
.LBB214_275:
	s_or_b32 exec_lo, exec_lo, s19
	s_and_saveexec_b32 s18, s20
	s_delay_alu instid0(SALU_CYCLE_1)
	s_xor_b32 s18, exec_lo, s18
	s_cbranch_execz .LBB214_905
.LBB214_276:
	s_wait_loadcnt 0x0
	global_load_u8 v0, v[2:3], off
	s_or_b32 s0, s0, exec_lo
	s_wait_loadcnt 0x0
	v_cmp_ne_u16_e32 vcc_lo, 0, v0
	v_mov_b32_e32 v0, 0
	v_cndmask_b32_e64 v1, 0, 0x3ff00000, vcc_lo
	s_wait_xcnt 0x0
	s_or_b32 exec_lo, exec_lo, s18
	s_and_saveexec_b32 s18, s21
	s_cbranch_execz .LBB214_951
	s_branch .LBB214_906
.LBB214_277:
	s_mov_b32 s21, 0
	s_mov_b32 s20, s18
                                        ; implicit-def: $vgpr0_vgpr1
	s_cbranch_execnz .LBB214_491
.LBB214_278:
	s_and_not1_b32 vcc_lo, exec_lo, s21
	s_cbranch_vccnz .LBB214_539
.LBB214_279:
	s_mov_b32 s0, exec_lo
	s_wait_loadcnt 0x0
	s_delay_alu instid0(VALU_DEP_1)
	v_cmpx_o_f64_e32 v[0:1], v[0:1]
	s_cbranch_execz .LBB214_294
; %bb.280:
	s_cmp_lt_i32 s14, 1
	s_mov_b32 s21, 0
	s_cbranch_scc1 .LBB214_285
; %bb.281:
	s_cmp_eq_u32 s14, 1
	s_cbranch_scc0 .LBB214_287
; %bb.282:
	v_max_num_f64_e64 v[2:3], s[8:9], s[8:9]
	v_max_num_f64_e32 v[4:5], v[0:1], v[0:1]
	s_mov_b32 s23, 0
	s_delay_alu instid0(VALU_DEP_1)
	v_min_num_f64_e32 v[2:3], v[4:5], v[2:3]
	s_branch .LBB214_288
.LBB214_283:
	s_mov_b32 s23, -1
	s_mov_b32 s21, 0
	s_mov_b32 s20, s18
                                        ; implicit-def: $vgpr0_vgpr1
	s_branch .LBB214_455
.LBB214_284:
	s_mov_b32 s23, -1
	s_mov_b32 s21, 0
	s_mov_b32 s20, s18
                                        ; implicit-def: $vgpr0_vgpr1
	s_branch .LBB214_436
.LBB214_285:
	s_mov_b32 s24, -1
	s_mov_b32 s23, 0
                                        ; implicit-def: $vgpr2_vgpr3
	s_branch .LBB214_289
.LBB214_286:
	s_mov_b32 s23, -1
	s_mov_b32 s21, 0
	s_mov_b32 s20, s18
                                        ; implicit-def: $vgpr0_vgpr1
	s_branch .LBB214_431
.LBB214_287:
	s_mov_b32 s23, -1
                                        ; implicit-def: $vgpr2_vgpr3
.LBB214_288:
	s_mov_b32 s24, 0
.LBB214_289:
	s_delay_alu instid0(SALU_CYCLE_1)
	s_and_b32 vcc_lo, exec_lo, s24
	s_cbranch_vccz .LBB214_301
; %bb.290:
	s_cmp_lg_u32 s14, 0
	s_mov_b32 s21, -1
	s_cselect_b32 s23, -1, 0
	v_max_num_f64_e32 v[0:1], v[0:1], v[0:1]
	s_and_not1_b32 vcc_lo, exec_lo, s23
	s_cbranch_vccz .LBB214_302
.LBB214_291:
	s_and_not1_b32 vcc_lo, exec_lo, s21
	s_cbranch_vccnz .LBB214_293
.LBB214_292:
	v_max_num_f64_e64 v[2:3], s[8:9], s[8:9]
	s_delay_alu instid0(VALU_DEP_1)
	v_max_num_f64_e32 v[2:3], v[0:1], v[2:3]
.LBB214_293:
	s_delay_alu instid0(VALU_DEP_1)
	v_mov_b64_e32 v[0:1], v[2:3]
.LBB214_294:
	s_or_b32 exec_lo, exec_lo, s0
	v_mul_lo_u32 v2, v14, s12
	s_and_b32 s21, s2, 0xff
	s_delay_alu instid0(SALU_CYCLE_1) | instskip(NEXT) | instid1(VALU_DEP_1)
	s_cmp_lt_i32 s21, 11
	v_ashrrev_i32_e32 v3, 31, v2
	s_delay_alu instid0(VALU_DEP_1)
	v_add_nc_u64_e32 v[4:5], s[4:5], v[2:3]
	s_cbranch_scc1 .LBB214_303
; %bb.295:
	s_and_b32 s23, 0xffff, s21
	s_delay_alu instid0(SALU_CYCLE_1)
	s_cmp_gt_i32 s23, 25
	s_cbranch_scc0 .LBB214_304
; %bb.296:
	s_cmp_gt_i32 s23, 28
	s_cbranch_scc0 .LBB214_305
; %bb.297:
	;; [unrolled: 3-line block ×4, first 2 shown]
	s_mov_b32 s25, 0
	s_mov_b32 s0, -1
	s_cmp_eq_u32 s23, 46
	s_mov_b32 s24, 0
	s_cbranch_scc0 .LBB214_318
; %bb.300:
	v_cvt_f32_f64_e32 v2, v[0:1]
	s_mov_b32 s24, -1
	s_mov_b32 s0, 0
	s_delay_alu instid0(VALU_DEP_1) | instskip(SKIP_1) | instid1(VALU_DEP_2)
	v_bfe_u32 v3, v2, 16, 1
	v_cmp_o_f32_e32 vcc_lo, v2, v2
	v_add3_u32 v3, v2, v3, 0x7fff
	s_delay_alu instid0(VALU_DEP_1) | instskip(NEXT) | instid1(VALU_DEP_1)
	v_lshrrev_b32_e32 v3, 16, v3
	v_cndmask_b32_e32 v2, 0x7fc0, v3, vcc_lo
	global_store_b32 v[4:5], v2, off
	s_branch .LBB214_318
.LBB214_301:
	v_max_num_f64_e32 v[0:1], v[0:1], v[0:1]
	s_and_not1_b32 vcc_lo, exec_lo, s23
	s_cbranch_vccnz .LBB214_291
.LBB214_302:
	v_max_num_f64_e64 v[2:3], s[8:9], s[8:9]
	v_max_num_f64_e64 v[4:5], s[10:11], s[10:11]
	s_delay_alu instid0(VALU_DEP_2) | instskip(NEXT) | instid1(VALU_DEP_1)
	v_max_num_f64_e32 v[2:3], v[0:1], v[2:3]
	v_min_num_f64_e32 v[2:3], v[2:3], v[4:5]
	s_cbranch_execz .LBB214_292
	s_branch .LBB214_293
.LBB214_303:
	s_mov_b32 s23, -1
	s_mov_b32 s24, 0
	s_mov_b32 s0, s16
	s_branch .LBB214_387
.LBB214_304:
	s_mov_b32 s25, -1
	s_mov_b32 s24, 0
	s_mov_b32 s0, s16
	s_branch .LBB214_345
.LBB214_305:
	s_mov_b32 s25, -1
	s_mov_b32 s24, 0
	s_mov_b32 s0, s16
	s_branch .LBB214_328
.LBB214_306:
	s_and_not1_saveexec_b32 s24, s24
	s_cbranch_execz .LBB214_67
.LBB214_307:
	v_add_f32_e64 v3, 0x46000000, |v2|
	s_and_not1_b32 s23, s23, exec_lo
	s_delay_alu instid0(VALU_DEP_1) | instskip(NEXT) | instid1(VALU_DEP_1)
	v_and_b32_e32 v3, 0xff, v3
	v_cmp_ne_u32_e32 vcc_lo, 0, v3
	s_and_b32 s25, vcc_lo, exec_lo
	s_delay_alu instid0(SALU_CYCLE_1)
	s_or_b32 s23, s23, s25
	s_or_b32 exec_lo, exec_lo, s24
	v_mov_b32_e32 v6, 0
	s_and_saveexec_b32 s24, s23
	s_cbranch_execnz .LBB214_68
	s_branch .LBB214_69
.LBB214_308:
	s_mov_b32 s23, -1
	s_mov_b32 s21, 0
	s_mov_b32 s20, s18
	s_branch .LBB214_313
.LBB214_309:
	s_mov_b32 s25, -1
	s_mov_b32 s24, 0
	s_mov_b32 s0, s16
	s_branch .LBB214_324
.LBB214_310:
	s_and_not1_saveexec_b32 s24, s24
	s_cbranch_execz .LBB214_80
.LBB214_311:
	v_add_f32_e64 v3, 0x42800000, |v2|
	s_and_not1_b32 s23, s23, exec_lo
	s_delay_alu instid0(VALU_DEP_1) | instskip(NEXT) | instid1(VALU_DEP_1)
	v_and_b32_e32 v3, 0xff, v3
	v_cmp_ne_u32_e32 vcc_lo, 0, v3
	s_and_b32 s25, vcc_lo, exec_lo
	s_delay_alu instid0(SALU_CYCLE_1)
	s_or_b32 s23, s23, s25
	s_or_b32 exec_lo, exec_lo, s24
	v_mov_b32_e32 v6, 0
	s_and_saveexec_b32 s24, s23
	s_cbranch_execnz .LBB214_81
	s_branch .LBB214_82
.LBB214_312:
	s_mov_b32 s20, -1
	s_mov_b32 s21, 0
.LBB214_313:
                                        ; implicit-def: $vgpr0_vgpr1
.LBB214_314:
	s_and_b32 vcc_lo, exec_lo, s23
	s_cbranch_vccz .LBB214_430
; %bb.315:
	s_cmp_eq_u32 s0, 44
	s_cbranch_scc0 .LBB214_429
; %bb.316:
	global_load_u8 v4, v[2:3], off
	s_mov_b32 s20, 0
	s_mov_b32 s21, -1
	s_wait_loadcnt 0x0
	v_cmp_ne_u32_e32 vcc_lo, 0xff, v4
	v_lshlrev_b32_e32 v0, 23, v4
	s_delay_alu instid0(VALU_DEP_1) | instskip(NEXT) | instid1(VALU_DEP_1)
	v_cvt_f64_f32_e32 v[0:1], v0
	v_cndmask_b32_e32 v0, 0x20000000, v0, vcc_lo
	s_delay_alu instid0(VALU_DEP_2) | instskip(SKIP_1) | instid1(VALU_DEP_2)
	v_cndmask_b32_e32 v1, 0x7ff80000, v1, vcc_lo
	v_cmp_ne_u32_e32 vcc_lo, 0, v4
	v_cndmask_b32_e32 v1, 0x38000000, v1, vcc_lo
	s_delay_alu instid0(VALU_DEP_4)
	v_cndmask_b32_e32 v0, 0, v0, vcc_lo
	s_branch .LBB214_430
.LBB214_317:
	s_mov_b32 s25, -1
	s_mov_b32 s24, 0
	s_mov_b32 s0, s16
.LBB214_318:
	s_and_b32 vcc_lo, exec_lo, s25
	s_cbranch_vccz .LBB214_323
; %bb.319:
	s_cmp_eq_u32 s23, 44
	s_mov_b32 s0, -1
	s_cbranch_scc0 .LBB214_323
; %bb.320:
	s_wait_xcnt 0x0
	v_cvt_f32_f64_e32 v2, v[0:1]
	v_mov_b32_e32 v3, 0xff
	s_mov_b32 s24, exec_lo
	s_delay_alu instid0(VALU_DEP_2) | instskip(NEXT) | instid1(VALU_DEP_1)
	v_bfe_u32 v6, v2, 23, 8
	v_cmpx_ne_u32_e32 0xff, v6
	s_cbranch_execz .LBB214_322
; %bb.321:
	v_and_b32_e32 v3, 0x400000, v2
	v_and_or_b32 v6, 0x3fffff, v2, v6
	v_lshrrev_b32_e32 v2, 23, v2
	s_delay_alu instid0(VALU_DEP_3) | instskip(NEXT) | instid1(VALU_DEP_3)
	v_cmp_ne_u32_e32 vcc_lo, 0, v3
	v_cmp_ne_u32_e64 s0, 0, v6
	s_and_b32 s0, vcc_lo, s0
	s_delay_alu instid0(SALU_CYCLE_1) | instskip(NEXT) | instid1(VALU_DEP_1)
	v_cndmask_b32_e64 v3, 0, 1, s0
	v_add_nc_u32_e32 v3, v2, v3
.LBB214_322:
	s_or_b32 exec_lo, exec_lo, s24
	s_mov_b32 s24, -1
	s_mov_b32 s0, 0
	global_store_b8 v[4:5], v3, off
.LBB214_323:
	s_mov_b32 s25, 0
.LBB214_324:
	s_delay_alu instid0(SALU_CYCLE_1)
	s_and_b32 vcc_lo, exec_lo, s25
	s_cbranch_vccz .LBB214_327
; %bb.325:
	s_cmp_eq_u32 s23, 29
	s_mov_b32 s0, -1
	s_cbranch_scc0 .LBB214_327
; %bb.326:
	s_wait_xcnt 0x0
	v_trunc_f64_e32 v[2:3], v[0:1]
	s_mov_b32 s24, -1
	s_mov_b32 s0, 0
	s_mov_b32 s25, 0
	s_delay_alu instid0(VALU_DEP_1) | instskip(NEXT) | instid1(VALU_DEP_1)
	v_ldexp_f64 v[6:7], v[2:3], 0xffffffe0
	v_floor_f64_e32 v[6:7], v[6:7]
	s_delay_alu instid0(VALU_DEP_1) | instskip(SKIP_1) | instid1(VALU_DEP_2)
	v_fmamk_f64 v[2:3], v[6:7], 0xc1f00000, v[2:3]
	v_cvt_u32_f64_e32 v7, v[6:7]
	v_cvt_u32_f64_e32 v6, v[2:3]
	global_store_b64 v[4:5], v[6:7], off
	s_branch .LBB214_328
.LBB214_327:
	s_mov_b32 s25, 0
.LBB214_328:
	s_delay_alu instid0(SALU_CYCLE_1)
	s_and_b32 vcc_lo, exec_lo, s25
	s_cbranch_vccz .LBB214_344
; %bb.329:
	s_cmp_lt_i32 s23, 27
	s_mov_b32 s24, -1
	s_cbranch_scc1 .LBB214_335
; %bb.330:
	s_wait_xcnt 0x0
	v_cvt_u32_f64_e32 v2, v[0:1]
	s_cmp_gt_i32 s23, 27
	s_cbranch_scc0 .LBB214_332
; %bb.331:
	s_mov_b32 s24, 0
	global_store_b32 v[4:5], v2, off
.LBB214_332:
	s_and_not1_b32 vcc_lo, exec_lo, s24
	s_cbranch_vccnz .LBB214_334
; %bb.333:
	global_store_b16 v[4:5], v2, off
.LBB214_334:
	s_mov_b32 s24, 0
.LBB214_335:
	s_delay_alu instid0(SALU_CYCLE_1)
	s_and_not1_b32 vcc_lo, exec_lo, s24
	s_cbranch_vccnz .LBB214_343
; %bb.336:
	s_wait_xcnt 0x0
	v_cvt_f32_f64_e32 v2, v[0:1]
	v_mov_b32_e32 v6, 0x80
	s_mov_b32 s24, exec_lo
	s_delay_alu instid0(VALU_DEP_2) | instskip(NEXT) | instid1(VALU_DEP_1)
	v_and_b32_e32 v3, 0x7fffffff, v2
	v_cmpx_gt_u32_e32 0x43800000, v3
	s_cbranch_execz .LBB214_342
; %bb.337:
	v_cmp_lt_u32_e32 vcc_lo, 0x3bffffff, v3
	s_mov_b32 s25, 0
                                        ; implicit-def: $vgpr3
	s_and_saveexec_b32 s26, vcc_lo
	s_delay_alu instid0(SALU_CYCLE_1)
	s_xor_b32 s26, exec_lo, s26
	s_cbranch_execz .LBB214_555
; %bb.338:
	v_bfe_u32 v3, v2, 20, 1
	s_mov_b32 s25, exec_lo
	s_delay_alu instid0(VALU_DEP_1) | instskip(NEXT) | instid1(VALU_DEP_1)
	v_add3_u32 v3, v2, v3, 0x487ffff
	v_lshrrev_b32_e32 v3, 20, v3
	s_and_not1_saveexec_b32 s26, s26
	s_cbranch_execnz .LBB214_556
.LBB214_339:
	s_or_b32 exec_lo, exec_lo, s26
	v_mov_b32_e32 v6, 0
	s_and_saveexec_b32 s26, s25
.LBB214_340:
	v_lshrrev_b32_e32 v2, 24, v2
	s_delay_alu instid0(VALU_DEP_1)
	v_and_or_b32 v6, 0x80, v2, v3
.LBB214_341:
	s_or_b32 exec_lo, exec_lo, s26
.LBB214_342:
	s_delay_alu instid0(SALU_CYCLE_1)
	s_or_b32 exec_lo, exec_lo, s24
	global_store_b8 v[4:5], v6, off
.LBB214_343:
	s_mov_b32 s24, -1
.LBB214_344:
	s_mov_b32 s25, 0
.LBB214_345:
	s_delay_alu instid0(SALU_CYCLE_1)
	s_and_b32 vcc_lo, exec_lo, s25
	s_cbranch_vccz .LBB214_386
; %bb.346:
	s_cmp_gt_i32 s23, 22
	s_mov_b32 s25, -1
	s_cbranch_scc0 .LBB214_378
; %bb.347:
	s_cmp_lt_i32 s23, 24
	s_mov_b32 s24, -1
	s_cbranch_scc1 .LBB214_367
; %bb.348:
	s_cmp_gt_i32 s23, 24
	s_cbranch_scc0 .LBB214_356
; %bb.349:
	s_wait_xcnt 0x0
	v_cvt_f32_f64_e32 v2, v[0:1]
	v_mov_b32_e32 v6, 0x80
	s_mov_b32 s24, exec_lo
	s_delay_alu instid0(VALU_DEP_2) | instskip(NEXT) | instid1(VALU_DEP_1)
	v_and_b32_e32 v3, 0x7fffffff, v2
	v_cmpx_gt_u32_e32 0x47800000, v3
	s_cbranch_execz .LBB214_355
; %bb.350:
	v_cmp_lt_u32_e32 vcc_lo, 0x37ffffff, v3
	s_mov_b32 s25, 0
                                        ; implicit-def: $vgpr3
	s_and_saveexec_b32 s26, vcc_lo
	s_delay_alu instid0(SALU_CYCLE_1)
	s_xor_b32 s26, exec_lo, s26
	s_cbranch_execz .LBB214_558
; %bb.351:
	v_bfe_u32 v3, v2, 21, 1
	s_mov_b32 s25, exec_lo
	s_delay_alu instid0(VALU_DEP_1) | instskip(NEXT) | instid1(VALU_DEP_1)
	v_add3_u32 v3, v2, v3, 0x88fffff
	v_lshrrev_b32_e32 v3, 21, v3
	s_and_not1_saveexec_b32 s26, s26
	s_cbranch_execnz .LBB214_559
.LBB214_352:
	s_or_b32 exec_lo, exec_lo, s26
	v_mov_b32_e32 v6, 0
	s_and_saveexec_b32 s26, s25
.LBB214_353:
	v_lshrrev_b32_e32 v2, 24, v2
	s_delay_alu instid0(VALU_DEP_1)
	v_and_or_b32 v6, 0x80, v2, v3
.LBB214_354:
	s_or_b32 exec_lo, exec_lo, s26
.LBB214_355:
	s_delay_alu instid0(SALU_CYCLE_1)
	s_or_b32 exec_lo, exec_lo, s24
	s_mov_b32 s24, 0
	global_store_b8 v[4:5], v6, off
.LBB214_356:
	s_and_b32 vcc_lo, exec_lo, s24
	s_cbranch_vccz .LBB214_366
; %bb.357:
	s_wait_xcnt 0x0
	v_cvt_f32_f64_e32 v2, v[0:1]
	s_mov_b32 s24, exec_lo
                                        ; implicit-def: $vgpr3
	s_delay_alu instid0(VALU_DEP_1) | instskip(NEXT) | instid1(VALU_DEP_1)
	v_and_b32_e32 v6, 0x7fffffff, v2
	v_cmpx_gt_u32_e32 0x43f00000, v6
	s_xor_b32 s24, exec_lo, s24
	s_cbranch_execz .LBB214_363
; %bb.358:
	s_mov_b32 s25, exec_lo
                                        ; implicit-def: $vgpr3
	v_cmpx_lt_u32_e32 0x3c7fffff, v6
	s_xor_b32 s25, exec_lo, s25
; %bb.359:
	v_bfe_u32 v3, v2, 20, 1
	s_delay_alu instid0(VALU_DEP_1) | instskip(NEXT) | instid1(VALU_DEP_1)
	v_add3_u32 v3, v2, v3, 0x407ffff
	v_and_b32_e32 v6, 0xff00000, v3
	v_lshrrev_b32_e32 v3, 20, v3
	s_delay_alu instid0(VALU_DEP_2) | instskip(NEXT) | instid1(VALU_DEP_2)
	v_cmp_ne_u32_e32 vcc_lo, 0x7f00000, v6
	v_cndmask_b32_e32 v3, 0x7e, v3, vcc_lo
; %bb.360:
	s_and_not1_saveexec_b32 s25, s25
; %bb.361:
	v_add_f32_e64 v3, 0x46800000, |v2|
; %bb.362:
	s_or_b32 exec_lo, exec_lo, s25
                                        ; implicit-def: $vgpr6
.LBB214_363:
	s_and_not1_saveexec_b32 s24, s24
; %bb.364:
	v_mov_b32_e32 v3, 0x7f
	v_cmp_lt_u32_e32 vcc_lo, 0x7f800000, v6
	s_delay_alu instid0(VALU_DEP_2)
	v_cndmask_b32_e32 v3, 0x7e, v3, vcc_lo
; %bb.365:
	s_or_b32 exec_lo, exec_lo, s24
	v_lshrrev_b32_e32 v2, 24, v2
	s_delay_alu instid0(VALU_DEP_1)
	v_and_or_b32 v2, 0x80, v2, v3
	global_store_b8 v[4:5], v2, off
.LBB214_366:
	s_mov_b32 s24, 0
.LBB214_367:
	s_delay_alu instid0(SALU_CYCLE_1)
	s_and_not1_b32 vcc_lo, exec_lo, s24
	s_cbranch_vccnz .LBB214_377
; %bb.368:
	s_wait_xcnt 0x0
	v_cvt_f32_f64_e32 v2, v[0:1]
	s_mov_b32 s24, exec_lo
                                        ; implicit-def: $vgpr3
	s_delay_alu instid0(VALU_DEP_1) | instskip(NEXT) | instid1(VALU_DEP_1)
	v_and_b32_e32 v6, 0x7fffffff, v2
	v_cmpx_gt_u32_e32 0x47800000, v6
	s_xor_b32 s24, exec_lo, s24
	s_cbranch_execz .LBB214_374
; %bb.369:
	s_mov_b32 s25, exec_lo
                                        ; implicit-def: $vgpr3
	v_cmpx_lt_u32_e32 0x387fffff, v6
	s_xor_b32 s25, exec_lo, s25
; %bb.370:
	v_bfe_u32 v3, v2, 21, 1
	s_delay_alu instid0(VALU_DEP_1) | instskip(NEXT) | instid1(VALU_DEP_1)
	v_add3_u32 v3, v2, v3, 0x80fffff
	v_lshrrev_b32_e32 v3, 21, v3
; %bb.371:
	s_and_not1_saveexec_b32 s25, s25
; %bb.372:
	v_add_f32_e64 v3, 0x43000000, |v2|
; %bb.373:
	s_or_b32 exec_lo, exec_lo, s25
                                        ; implicit-def: $vgpr6
.LBB214_374:
	s_and_not1_saveexec_b32 s24, s24
; %bb.375:
	v_mov_b32_e32 v3, 0x7f
	v_cmp_lt_u32_e32 vcc_lo, 0x7f800000, v6
	s_delay_alu instid0(VALU_DEP_2)
	v_cndmask_b32_e32 v3, 0x7c, v3, vcc_lo
; %bb.376:
	s_or_b32 exec_lo, exec_lo, s24
	v_lshrrev_b32_e32 v2, 24, v2
	s_delay_alu instid0(VALU_DEP_1)
	v_and_or_b32 v2, 0x80, v2, v3
	global_store_b8 v[4:5], v2, off
.LBB214_377:
	s_mov_b32 s25, 0
	s_mov_b32 s24, -1
.LBB214_378:
	s_and_not1_b32 vcc_lo, exec_lo, s25
	s_cbranch_vccnz .LBB214_386
; %bb.379:
	s_cmp_gt_i32 s23, 14
	s_mov_b32 s25, -1
	s_cbranch_scc0 .LBB214_383
; %bb.380:
	s_cmp_eq_u32 s23, 15
	s_mov_b32 s0, -1
	s_cbranch_scc0 .LBB214_382
; %bb.381:
	s_wait_xcnt 0x0
	v_cvt_f32_f64_e32 v2, v[0:1]
	s_mov_b32 s24, -1
	s_mov_b32 s0, 0
	s_delay_alu instid0(VALU_DEP_1) | instskip(SKIP_1) | instid1(VALU_DEP_2)
	v_bfe_u32 v3, v2, 16, 1
	v_cmp_o_f32_e32 vcc_lo, v2, v2
	v_add3_u32 v3, v2, v3, 0x7fff
	s_delay_alu instid0(VALU_DEP_1) | instskip(NEXT) | instid1(VALU_DEP_1)
	v_lshrrev_b32_e32 v3, 16, v3
	v_cndmask_b32_e32 v2, 0x7fc0, v3, vcc_lo
	global_store_b16 v[4:5], v2, off
.LBB214_382:
	s_mov_b32 s25, 0
.LBB214_383:
	s_delay_alu instid0(SALU_CYCLE_1)
	s_and_b32 vcc_lo, exec_lo, s25
	s_cbranch_vccz .LBB214_386
; %bb.384:
	s_cmp_eq_u32 s23, 11
	s_mov_b32 s0, -1
	s_cbranch_scc0 .LBB214_386
; %bb.385:
	v_cmp_neq_f64_e32 vcc_lo, 0, v[0:1]
	s_mov_b32 s24, -1
	s_mov_b32 s0, 0
	s_wait_xcnt 0x0
	v_cndmask_b32_e64 v2, 0, 1, vcc_lo
	global_store_b8 v[4:5], v2, off
.LBB214_386:
	s_mov_b32 s23, 0
.LBB214_387:
	s_delay_alu instid0(SALU_CYCLE_1)
	s_and_b32 vcc_lo, exec_lo, s23
	s_cbranch_vccz .LBB214_426
; %bb.388:
	s_and_b32 s21, 0xffff, s21
	s_mov_b32 s23, -1
	s_cmp_lt_i32 s21, 5
	s_cbranch_scc1 .LBB214_409
; %bb.389:
	s_cmp_lt_i32 s21, 8
	s_cbranch_scc1 .LBB214_399
; %bb.390:
	;; [unrolled: 3-line block ×3, first 2 shown]
	s_cmp_gt_i32 s21, 9
	s_cbranch_scc0 .LBB214_393
; %bb.392:
	s_wait_xcnt 0x0
	v_mov_b32_e32 v2, 0
	s_mov_b32 s23, 0
	s_delay_alu instid0(VALU_DEP_1)
	v_mov_b32_e32 v3, v2
	global_store_b128 v[4:5], v[0:3], off
.LBB214_393:
	s_and_not1_b32 vcc_lo, exec_lo, s23
	s_cbranch_vccnz .LBB214_395
; %bb.394:
	s_wait_xcnt 0x0
	v_cvt_f32_f64_e32 v2, v[0:1]
	v_mov_b32_e32 v3, 0
	global_store_b64 v[4:5], v[2:3], off
.LBB214_395:
	s_mov_b32 s23, 0
.LBB214_396:
	s_delay_alu instid0(SALU_CYCLE_1)
	s_and_not1_b32 vcc_lo, exec_lo, s23
	s_cbranch_vccnz .LBB214_398
; %bb.397:
	s_wait_xcnt 0x0
	v_and_or_b32 v2, 0x1ff, v1, v0
	v_lshrrev_b32_e32 v3, 8, v1
	v_bfe_u32 v6, v1, 20, 11
	s_delay_alu instid0(VALU_DEP_3) | instskip(NEXT) | instid1(VALU_DEP_2)
	v_cmp_ne_u32_e32 vcc_lo, 0, v2
	v_sub_nc_u32_e32 v7, 0x3f1, v6
	v_cndmask_b32_e64 v2, 0, 1, vcc_lo
	s_delay_alu instid0(VALU_DEP_1) | instskip(NEXT) | instid1(VALU_DEP_3)
	v_and_or_b32 v2, 0xffe, v3, v2
	v_med3_i32 v3, v7, 0, 13
	s_delay_alu instid0(VALU_DEP_2) | instskip(NEXT) | instid1(VALU_DEP_1)
	v_or_b32_e32 v7, 0x1000, v2
	v_lshrrev_b32_e32 v8, v3, v7
	s_delay_alu instid0(VALU_DEP_1) | instskip(NEXT) | instid1(VALU_DEP_1)
	v_lshlrev_b32_e32 v3, v3, v8
	v_cmp_ne_u32_e32 vcc_lo, v3, v7
	v_cndmask_b32_e64 v3, 0, 1, vcc_lo
	s_delay_alu instid0(VALU_DEP_1) | instskip(SKIP_1) | instid1(VALU_DEP_1)
	v_or_b32_e32 v3, v8, v3
	v_add_nc_u32_e32 v6, 0xfffffc10, v6
	v_lshl_or_b32 v7, v6, 12, v2
	v_cmp_gt_i32_e32 vcc_lo, 1, v6
	s_delay_alu instid0(VALU_DEP_2) | instskip(NEXT) | instid1(VALU_DEP_1)
	v_cndmask_b32_e32 v3, v7, v3, vcc_lo
	v_dual_lshrrev_b32 v3, 2, v3 :: v_dual_bitop2_b32 v7, 7, v3 bitop3:0x40
	s_delay_alu instid0(VALU_DEP_1) | instskip(SKIP_4) | instid1(VALU_DEP_2)
	v_cmp_lt_i32_e32 vcc_lo, 5, v7
	v_cndmask_b32_e64 v8, 0, 1, vcc_lo
	v_cmp_eq_u32_e32 vcc_lo, 3, v7
	v_cndmask_b32_e64 v7, 0, 1, vcc_lo
	v_cmp_ne_u32_e32 vcc_lo, 0, v2
	v_or_b32_e32 v7, v7, v8
	s_delay_alu instid0(VALU_DEP_1) | instskip(NEXT) | instid1(VALU_DEP_1)
	v_dual_mov_b32 v8, 0x7e00 :: v_dual_add_nc_u32 v3, v3, v7
	v_cndmask_b32_e32 v2, 0x7c00, v8, vcc_lo
	v_cmp_gt_i32_e32 vcc_lo, 31, v6
	v_lshrrev_b32_e32 v7, 16, v1
	s_delay_alu instid0(VALU_DEP_4) | instskip(SKIP_1) | instid1(VALU_DEP_2)
	v_cndmask_b32_e32 v3, 0x7c00, v3, vcc_lo
	v_cmp_eq_u32_e32 vcc_lo, 0x40f, v6
	v_cndmask_b32_e32 v2, v3, v2, vcc_lo
	s_delay_alu instid0(VALU_DEP_4) | instskip(NEXT) | instid1(VALU_DEP_1)
	v_and_b32_e32 v3, 0x8000, v7
	v_bitop3_b32 v2, v3, 0xffff, v2 bitop3:0xc8
	global_store_b32 v[4:5], v2, off
.LBB214_398:
	s_mov_b32 s23, 0
.LBB214_399:
	s_delay_alu instid0(SALU_CYCLE_1)
	s_and_not1_b32 vcc_lo, exec_lo, s23
	s_cbranch_vccnz .LBB214_408
; %bb.400:
	s_cmp_lt_i32 s21, 6
	s_mov_b32 s23, -1
	s_cbranch_scc1 .LBB214_406
; %bb.401:
	s_cmp_gt_i32 s21, 6
	s_cbranch_scc0 .LBB214_403
; %bb.402:
	s_mov_b32 s23, 0
	global_store_b64 v[4:5], v[0:1], off
.LBB214_403:
	s_and_not1_b32 vcc_lo, exec_lo, s23
	s_cbranch_vccnz .LBB214_405
; %bb.404:
	s_wait_xcnt 0x0
	v_cvt_f32_f64_e32 v2, v[0:1]
	global_store_b32 v[4:5], v2, off
.LBB214_405:
	s_mov_b32 s23, 0
.LBB214_406:
	s_delay_alu instid0(SALU_CYCLE_1)
	s_and_not1_b32 vcc_lo, exec_lo, s23
	s_cbranch_vccnz .LBB214_408
; %bb.407:
	s_wait_xcnt 0x0
	v_and_or_b32 v2, 0x1ff, v1, v0
	v_lshrrev_b32_e32 v3, 8, v1
	v_bfe_u32 v6, v1, 20, 11
	s_delay_alu instid0(VALU_DEP_3) | instskip(NEXT) | instid1(VALU_DEP_2)
	v_cmp_ne_u32_e32 vcc_lo, 0, v2
	v_sub_nc_u32_e32 v7, 0x3f1, v6
	v_cndmask_b32_e64 v2, 0, 1, vcc_lo
	s_delay_alu instid0(VALU_DEP_1) | instskip(NEXT) | instid1(VALU_DEP_3)
	v_and_or_b32 v2, 0xffe, v3, v2
	v_med3_i32 v3, v7, 0, 13
	s_delay_alu instid0(VALU_DEP_2) | instskip(NEXT) | instid1(VALU_DEP_1)
	v_or_b32_e32 v7, 0x1000, v2
	v_lshrrev_b32_e32 v8, v3, v7
	s_delay_alu instid0(VALU_DEP_1) | instskip(NEXT) | instid1(VALU_DEP_1)
	v_lshlrev_b32_e32 v3, v3, v8
	v_cmp_ne_u32_e32 vcc_lo, v3, v7
	v_cndmask_b32_e64 v3, 0, 1, vcc_lo
	s_delay_alu instid0(VALU_DEP_1) | instskip(SKIP_1) | instid1(VALU_DEP_1)
	v_or_b32_e32 v3, v8, v3
	v_add_nc_u32_e32 v6, 0xfffffc10, v6
	v_lshl_or_b32 v7, v6, 12, v2
	v_cmp_gt_i32_e32 vcc_lo, 1, v6
	s_delay_alu instid0(VALU_DEP_2) | instskip(NEXT) | instid1(VALU_DEP_1)
	v_cndmask_b32_e32 v3, v7, v3, vcc_lo
	v_dual_lshrrev_b32 v3, 2, v3 :: v_dual_bitop2_b32 v7, 7, v3 bitop3:0x40
	s_delay_alu instid0(VALU_DEP_1) | instskip(SKIP_4) | instid1(VALU_DEP_2)
	v_cmp_lt_i32_e32 vcc_lo, 5, v7
	v_cndmask_b32_e64 v8, 0, 1, vcc_lo
	v_cmp_eq_u32_e32 vcc_lo, 3, v7
	v_cndmask_b32_e64 v7, 0, 1, vcc_lo
	v_cmp_ne_u32_e32 vcc_lo, 0, v2
	v_or_b32_e32 v7, v7, v8
	s_delay_alu instid0(VALU_DEP_1) | instskip(NEXT) | instid1(VALU_DEP_1)
	v_dual_mov_b32 v8, 0x7e00 :: v_dual_add_nc_u32 v3, v3, v7
	v_cndmask_b32_e32 v2, 0x7c00, v8, vcc_lo
	v_cmp_gt_i32_e32 vcc_lo, 31, v6
	s_delay_alu instid0(VALU_DEP_3) | instskip(SKIP_1) | instid1(VALU_DEP_2)
	v_cndmask_b32_e32 v3, 0x7c00, v3, vcc_lo
	v_cmp_eq_u32_e32 vcc_lo, 0x40f, v6
	v_dual_cndmask_b32 v2, v3, v2 :: v_dual_lshrrev_b32 v3, 16, v1
	s_delay_alu instid0(VALU_DEP_1)
	v_and_or_b32 v2, 0x8000, v3, v2
	global_store_b16 v[4:5], v2, off
.LBB214_408:
	s_mov_b32 s23, 0
.LBB214_409:
	s_delay_alu instid0(SALU_CYCLE_1)
	s_and_not1_b32 vcc_lo, exec_lo, s23
	s_cbranch_vccnz .LBB214_425
; %bb.410:
	s_cmp_lt_i32 s21, 2
	s_mov_b32 s23, -1
	s_cbranch_scc1 .LBB214_420
; %bb.411:
	s_cmp_lt_i32 s21, 3
	s_cbranch_scc1 .LBB214_417
; %bb.412:
	s_cmp_gt_i32 s21, 3
	s_cbranch_scc0 .LBB214_414
; %bb.413:
	s_wait_xcnt 0x0
	v_trunc_f64_e32 v[2:3], v[0:1]
	s_mov_b32 s23, 0
	s_delay_alu instid0(VALU_DEP_1) | instskip(NEXT) | instid1(VALU_DEP_1)
	v_ldexp_f64 v[6:7], v[2:3], 0xffffffe0
	v_floor_f64_e32 v[6:7], v[6:7]
	s_delay_alu instid0(VALU_DEP_1) | instskip(SKIP_1) | instid1(VALU_DEP_2)
	v_fmamk_f64 v[2:3], v[6:7], 0xc1f00000, v[2:3]
	v_cvt_i32_f64_e32 v7, v[6:7]
	v_cvt_u32_f64_e32 v6, v[2:3]
	global_store_b64 v[4:5], v[6:7], off
.LBB214_414:
	s_and_not1_b32 vcc_lo, exec_lo, s23
	s_cbranch_vccnz .LBB214_416
; %bb.415:
	s_wait_xcnt 0x0
	v_cvt_i32_f64_e32 v2, v[0:1]
	global_store_b32 v[4:5], v2, off
.LBB214_416:
	s_mov_b32 s23, 0
.LBB214_417:
	s_delay_alu instid0(SALU_CYCLE_1)
	s_and_not1_b32 vcc_lo, exec_lo, s23
	s_cbranch_vccnz .LBB214_419
; %bb.418:
	s_wait_xcnt 0x0
	v_cvt_i32_f64_e32 v2, v[0:1]
	global_store_b16 v[4:5], v2, off
.LBB214_419:
	s_mov_b32 s23, 0
.LBB214_420:
	s_delay_alu instid0(SALU_CYCLE_1)
	s_and_not1_b32 vcc_lo, exec_lo, s23
	s_cbranch_vccnz .LBB214_425
; %bb.421:
	s_cmp_gt_i32 s21, 0
	s_mov_b32 s21, -1
	s_cbranch_scc0 .LBB214_423
; %bb.422:
	s_wait_xcnt 0x0
	v_cvt_i32_f64_e32 v2, v[0:1]
	s_mov_b32 s21, 0
	global_store_b8 v[4:5], v2, off
.LBB214_423:
	s_and_not1_b32 vcc_lo, exec_lo, s21
	s_cbranch_vccnz .LBB214_425
; %bb.424:
	s_wait_xcnt 0x0
	v_trunc_f64_e32 v[0:1], v[0:1]
	s_delay_alu instid0(VALU_DEP_1) | instskip(NEXT) | instid1(VALU_DEP_1)
	v_ldexp_f64 v[2:3], v[0:1], 0xffffffe0
	v_floor_f64_e32 v[2:3], v[2:3]
	s_delay_alu instid0(VALU_DEP_1) | instskip(NEXT) | instid1(VALU_DEP_1)
	v_fmamk_f64 v[0:1], v[2:3], 0xc1f00000, v[0:1]
	v_cvt_u32_f64_e32 v0, v[0:1]
	global_store_b8 v[4:5], v0, off
.LBB214_425:
	s_mov_b32 s24, -1
.LBB214_426:
	s_delay_alu instid0(SALU_CYCLE_1)
	s_and_not1_b32 vcc_lo, exec_lo, s24
	s_cbranch_vccnz .LBB214_428
; %bb.427:
	v_add_nc_u32_e32 v14, 0x80, v14
	s_mov_b32 s23, -1
	s_branch .LBB214_541
.LBB214_428:
	s_mov_b32 s23, 0
	s_branch .LBB214_540
.LBB214_429:
	s_mov_b32 s20, -1
                                        ; implicit-def: $vgpr0_vgpr1
.LBB214_430:
	s_mov_b32 s23, 0
.LBB214_431:
	s_delay_alu instid0(SALU_CYCLE_1)
	s_and_b32 vcc_lo, exec_lo, s23
	s_cbranch_vccz .LBB214_435
; %bb.432:
	s_cmp_eq_u32 s0, 29
	s_cbranch_scc0 .LBB214_434
; %bb.433:
	global_load_b64 v[0:1], v[2:3], off
	s_mov_b32 s21, -1
	s_mov_b32 s20, 0
	s_mov_b32 s23, 0
	s_wait_loadcnt 0x0
	v_cvt_f64_u32_e32 v[4:5], v1
	v_cvt_f64_u32_e32 v[0:1], v0
	s_delay_alu instid0(VALU_DEP_2) | instskip(NEXT) | instid1(VALU_DEP_1)
	v_ldexp_f64 v[4:5], v[4:5], 32
	v_add_f64_e32 v[0:1], v[4:5], v[0:1]
	s_branch .LBB214_436
.LBB214_434:
	s_mov_b32 s20, -1
                                        ; implicit-def: $vgpr0_vgpr1
.LBB214_435:
	s_mov_b32 s23, 0
.LBB214_436:
	s_delay_alu instid0(SALU_CYCLE_1)
	s_and_b32 vcc_lo, exec_lo, s23
	s_cbranch_vccz .LBB214_454
; %bb.437:
	s_cmp_lt_i32 s0, 27
	s_cbranch_scc1 .LBB214_440
; %bb.438:
	s_cmp_gt_i32 s0, 27
	s_cbranch_scc0 .LBB214_441
; %bb.439:
	global_load_b32 v0, v[2:3], off
	s_mov_b32 s21, 0
	s_wait_loadcnt 0x0
	v_cvt_f64_u32_e32 v[0:1], v0
	s_branch .LBB214_442
.LBB214_440:
	s_mov_b32 s21, -1
                                        ; implicit-def: $vgpr0_vgpr1
	s_branch .LBB214_445
.LBB214_441:
	s_mov_b32 s21, -1
                                        ; implicit-def: $vgpr0_vgpr1
.LBB214_442:
	s_delay_alu instid0(SALU_CYCLE_1)
	s_and_not1_b32 vcc_lo, exec_lo, s21
	s_cbranch_vccnz .LBB214_444
; %bb.443:
	global_load_u16 v0, v[2:3], off
	s_wait_loadcnt 0x0
	v_cvt_f64_u32_e32 v[0:1], v0
.LBB214_444:
	s_mov_b32 s21, 0
.LBB214_445:
	s_delay_alu instid0(SALU_CYCLE_1)
	s_and_not1_b32 vcc_lo, exec_lo, s21
	s_cbranch_vccnz .LBB214_453
; %bb.446:
	global_load_u8 v4, v[2:3], off
	s_mov_b32 s21, 0
	s_mov_b32 s23, exec_lo
	s_wait_loadcnt 0x0
	v_cmpx_lt_i16_e32 0x7f, v4
	s_xor_b32 s23, exec_lo, s23
	s_cbranch_execz .LBB214_467
; %bb.447:
	s_mov_b32 s21, -1
	s_mov_b32 s24, exec_lo
	v_cmpx_eq_u16_e32 0x80, v4
; %bb.448:
	s_xor_b32 s21, exec_lo, -1
; %bb.449:
	s_or_b32 exec_lo, exec_lo, s24
	s_delay_alu instid0(SALU_CYCLE_1)
	s_and_b32 s21, s21, exec_lo
	s_or_saveexec_b32 s23, s23
	v_mov_b64_e32 v[0:1], 0x7ff8000020000000
	s_xor_b32 exec_lo, exec_lo, s23
	s_cbranch_execnz .LBB214_468
.LBB214_450:
	s_or_b32 exec_lo, exec_lo, s23
	s_and_saveexec_b32 s23, s21
	s_cbranch_execz .LBB214_452
.LBB214_451:
	v_and_b32_e32 v0, 0xffff, v4
	s_delay_alu instid0(VALU_DEP_1) | instskip(SKIP_1) | instid1(VALU_DEP_2)
	v_and_b32_e32 v1, 7, v0
	v_bfe_u32 v7, v0, 3, 4
	v_clz_i32_u32_e32 v5, v1
	s_delay_alu instid0(VALU_DEP_2) | instskip(NEXT) | instid1(VALU_DEP_2)
	v_cmp_eq_u32_e32 vcc_lo, 0, v7
	v_min_u32_e32 v5, 32, v5
	s_delay_alu instid0(VALU_DEP_1) | instskip(NEXT) | instid1(VALU_DEP_1)
	v_subrev_nc_u32_e32 v6, 28, v5
	v_dual_lshlrev_b32 v0, v6, v0 :: v_dual_sub_nc_u32 v5, 29, v5
	s_delay_alu instid0(VALU_DEP_1) | instskip(NEXT) | instid1(VALU_DEP_2)
	v_and_b32_e32 v0, 7, v0
	v_dual_cndmask_b32 v5, v7, v5 :: v_dual_lshlrev_b32 v4, 24, v4
	s_delay_alu instid0(VALU_DEP_2) | instskip(NEXT) | instid1(VALU_DEP_2)
	v_cndmask_b32_e32 v0, v1, v0, vcc_lo
	v_and_b32_e32 v1, 0x80000000, v4
	s_delay_alu instid0(VALU_DEP_3) | instskip(NEXT) | instid1(VALU_DEP_3)
	v_lshl_add_u32 v4, v5, 23, 0x3b800000
	v_lshlrev_b32_e32 v0, 20, v0
	s_delay_alu instid0(VALU_DEP_1) | instskip(NEXT) | instid1(VALU_DEP_1)
	v_or3_b32 v0, v1, v4, v0
	v_cvt_f64_f32_e32 v[0:1], v0
.LBB214_452:
	s_or_b32 exec_lo, exec_lo, s23
.LBB214_453:
	s_mov_b32 s21, -1
.LBB214_454:
	s_mov_b32 s23, 0
.LBB214_455:
	s_delay_alu instid0(SALU_CYCLE_1)
	s_and_b32 vcc_lo, exec_lo, s23
	s_cbranch_vccz .LBB214_490
; %bb.456:
	s_cmp_gt_i32 s0, 22
	s_cbranch_scc0 .LBB214_466
; %bb.457:
	s_cmp_lt_i32 s0, 24
	s_cbranch_scc1 .LBB214_469
; %bb.458:
	s_cmp_gt_i32 s0, 24
	s_cbranch_scc0 .LBB214_470
; %bb.459:
	global_load_u8 v4, v[2:3], off
	s_mov_b32 s21, 0
	s_mov_b32 s23, exec_lo
	s_wait_loadcnt 0x0
	v_cmpx_lt_i16_e32 0x7f, v4
	s_xor_b32 s23, exec_lo, s23
	s_cbranch_execz .LBB214_482
; %bb.460:
	s_mov_b32 s21, -1
	s_mov_b32 s24, exec_lo
	v_cmpx_eq_u16_e32 0x80, v4
; %bb.461:
	s_xor_b32 s21, exec_lo, -1
; %bb.462:
	s_or_b32 exec_lo, exec_lo, s24
	s_delay_alu instid0(SALU_CYCLE_1)
	s_and_b32 s21, s21, exec_lo
	s_or_saveexec_b32 s23, s23
	v_mov_b64_e32 v[0:1], 0x7ff8000020000000
	s_xor_b32 exec_lo, exec_lo, s23
	s_cbranch_execnz .LBB214_483
.LBB214_463:
	s_or_b32 exec_lo, exec_lo, s23
	s_and_saveexec_b32 s23, s21
	s_cbranch_execz .LBB214_465
.LBB214_464:
	v_and_b32_e32 v0, 0xffff, v4
	s_delay_alu instid0(VALU_DEP_1) | instskip(SKIP_1) | instid1(VALU_DEP_2)
	v_and_b32_e32 v1, 3, v0
	v_bfe_u32 v7, v0, 2, 5
	v_clz_i32_u32_e32 v5, v1
	s_delay_alu instid0(VALU_DEP_2) | instskip(NEXT) | instid1(VALU_DEP_2)
	v_cmp_eq_u32_e32 vcc_lo, 0, v7
	v_min_u32_e32 v5, 32, v5
	s_delay_alu instid0(VALU_DEP_1) | instskip(NEXT) | instid1(VALU_DEP_1)
	v_subrev_nc_u32_e32 v6, 29, v5
	v_dual_lshlrev_b32 v0, v6, v0 :: v_dual_sub_nc_u32 v5, 30, v5
	s_delay_alu instid0(VALU_DEP_1) | instskip(NEXT) | instid1(VALU_DEP_2)
	v_and_b32_e32 v0, 3, v0
	v_dual_cndmask_b32 v5, v7, v5 :: v_dual_lshlrev_b32 v4, 24, v4
	s_delay_alu instid0(VALU_DEP_2) | instskip(NEXT) | instid1(VALU_DEP_2)
	v_cndmask_b32_e32 v0, v1, v0, vcc_lo
	v_and_b32_e32 v1, 0x80000000, v4
	s_delay_alu instid0(VALU_DEP_3) | instskip(NEXT) | instid1(VALU_DEP_3)
	v_lshl_add_u32 v4, v5, 23, 0x37800000
	v_lshlrev_b32_e32 v0, 21, v0
	s_delay_alu instid0(VALU_DEP_1) | instskip(NEXT) | instid1(VALU_DEP_1)
	v_or3_b32 v0, v1, v4, v0
	v_cvt_f64_f32_e32 v[0:1], v0
.LBB214_465:
	s_or_b32 exec_lo, exec_lo, s23
	s_mov_b32 s21, 0
	s_branch .LBB214_471
.LBB214_466:
	s_mov_b32 s23, -1
                                        ; implicit-def: $vgpr0_vgpr1
	s_branch .LBB214_477
.LBB214_467:
	s_or_saveexec_b32 s23, s23
	v_mov_b64_e32 v[0:1], 0x7ff8000020000000
	s_xor_b32 exec_lo, exec_lo, s23
	s_cbranch_execz .LBB214_450
.LBB214_468:
	v_cmp_ne_u16_e32 vcc_lo, 0, v4
	v_mov_b64_e32 v[0:1], 0
	s_and_not1_b32 s21, s21, exec_lo
	s_and_b32 s24, vcc_lo, exec_lo
	s_delay_alu instid0(SALU_CYCLE_1)
	s_or_b32 s21, s21, s24
	s_or_b32 exec_lo, exec_lo, s23
	s_and_saveexec_b32 s23, s21
	s_cbranch_execnz .LBB214_451
	s_branch .LBB214_452
.LBB214_469:
	s_mov_b32 s21, -1
                                        ; implicit-def: $vgpr0_vgpr1
	s_branch .LBB214_474
.LBB214_470:
	s_mov_b32 s21, -1
                                        ; implicit-def: $vgpr0_vgpr1
.LBB214_471:
	s_delay_alu instid0(SALU_CYCLE_1)
	s_and_b32 vcc_lo, exec_lo, s21
	s_cbranch_vccz .LBB214_473
; %bb.472:
	global_load_u8 v0, v[2:3], off
	s_wait_loadcnt 0x0
	v_lshlrev_b32_e32 v0, 24, v0
	s_delay_alu instid0(VALU_DEP_1) | instskip(NEXT) | instid1(VALU_DEP_1)
	v_and_b32_e32 v1, 0x7f000000, v0
	v_clz_i32_u32_e32 v4, v1
	v_cmp_ne_u32_e32 vcc_lo, 0, v1
	v_add_nc_u32_e32 v6, 0x1000000, v1
	s_delay_alu instid0(VALU_DEP_3) | instskip(NEXT) | instid1(VALU_DEP_1)
	v_min_u32_e32 v4, 32, v4
	v_sub_nc_u32_e64 v4, v4, 4 clamp
	s_delay_alu instid0(VALU_DEP_1) | instskip(NEXT) | instid1(VALU_DEP_1)
	v_dual_lshlrev_b32 v5, v4, v1 :: v_dual_lshlrev_b32 v4, 23, v4
	v_lshrrev_b32_e32 v5, 4, v5
	s_delay_alu instid0(VALU_DEP_1) | instskip(NEXT) | instid1(VALU_DEP_1)
	v_dual_sub_nc_u32 v4, v5, v4 :: v_dual_ashrrev_i32 v5, 8, v6
	v_add_nc_u32_e32 v4, 0x3c000000, v4
	s_delay_alu instid0(VALU_DEP_1) | instskip(NEXT) | instid1(VALU_DEP_1)
	v_and_or_b32 v4, 0x7f800000, v5, v4
	v_cndmask_b32_e32 v1, 0, v4, vcc_lo
	s_delay_alu instid0(VALU_DEP_1) | instskip(NEXT) | instid1(VALU_DEP_1)
	v_and_or_b32 v0, 0x80000000, v0, v1
	v_cvt_f64_f32_e32 v[0:1], v0
.LBB214_473:
	s_mov_b32 s21, 0
.LBB214_474:
	s_delay_alu instid0(SALU_CYCLE_1)
	s_and_not1_b32 vcc_lo, exec_lo, s21
	s_cbranch_vccnz .LBB214_476
; %bb.475:
	global_load_u8 v0, v[2:3], off
	s_wait_loadcnt 0x0
	v_lshlrev_b32_e32 v1, 25, v0
	v_lshlrev_b16 v0, 8, v0
	s_delay_alu instid0(VALU_DEP_1) | instskip(SKIP_1) | instid1(VALU_DEP_2)
	v_and_or_b32 v5, 0x7f00, v0, 0.5
	v_bfe_i32 v0, v0, 0, 16
	v_add_f32_e32 v5, -0.5, v5
	v_lshrrev_b32_e32 v4, 4, v1
	v_cmp_gt_u32_e32 vcc_lo, 0x8000000, v1
	s_delay_alu instid0(VALU_DEP_2) | instskip(NEXT) | instid1(VALU_DEP_1)
	v_or_b32_e32 v4, 0x70000000, v4
	v_mul_f32_e32 v4, 0x7800000, v4
	s_delay_alu instid0(VALU_DEP_1) | instskip(NEXT) | instid1(VALU_DEP_1)
	v_cndmask_b32_e32 v1, v4, v5, vcc_lo
	v_and_or_b32 v0, 0x80000000, v0, v1
	s_delay_alu instid0(VALU_DEP_1)
	v_cvt_f64_f32_e32 v[0:1], v0
.LBB214_476:
	s_mov_b32 s23, 0
	s_mov_b32 s21, -1
.LBB214_477:
	s_and_not1_b32 vcc_lo, exec_lo, s23
	s_cbranch_vccnz .LBB214_490
; %bb.478:
	s_cmp_gt_i32 s0, 14
	s_cbranch_scc0 .LBB214_481
; %bb.479:
	s_cmp_eq_u32 s0, 15
	s_cbranch_scc0 .LBB214_484
; %bb.480:
	global_load_u16 v0, v[2:3], off
	s_mov_b32 s21, -1
	s_mov_b32 s20, 0
	s_wait_loadcnt 0x0
	v_lshlrev_b32_e32 v0, 16, v0
	s_delay_alu instid0(VALU_DEP_1)
	v_cvt_f64_f32_e32 v[0:1], v0
	s_branch .LBB214_485
.LBB214_481:
	s_mov_b32 s23, -1
                                        ; implicit-def: $vgpr0_vgpr1
	s_branch .LBB214_486
.LBB214_482:
	s_or_saveexec_b32 s23, s23
	v_mov_b64_e32 v[0:1], 0x7ff8000020000000
	s_xor_b32 exec_lo, exec_lo, s23
	s_cbranch_execz .LBB214_463
.LBB214_483:
	v_cmp_ne_u16_e32 vcc_lo, 0, v4
	v_mov_b64_e32 v[0:1], 0
	s_and_not1_b32 s21, s21, exec_lo
	s_and_b32 s24, vcc_lo, exec_lo
	s_delay_alu instid0(SALU_CYCLE_1)
	s_or_b32 s21, s21, s24
	s_or_b32 exec_lo, exec_lo, s23
	s_and_saveexec_b32 s23, s21
	s_cbranch_execnz .LBB214_464
	s_branch .LBB214_465
.LBB214_484:
	s_mov_b32 s20, -1
                                        ; implicit-def: $vgpr0_vgpr1
.LBB214_485:
	s_mov_b32 s23, 0
.LBB214_486:
	s_delay_alu instid0(SALU_CYCLE_1)
	s_and_b32 vcc_lo, exec_lo, s23
	s_cbranch_vccz .LBB214_490
; %bb.487:
	s_cmp_eq_u32 s0, 11
	s_cbranch_scc0 .LBB214_489
; %bb.488:
	global_load_u8 v0, v[2:3], off
	s_mov_b32 s20, 0
	s_mov_b32 s21, -1
	s_wait_loadcnt 0x0
	v_cmp_ne_u16_e32 vcc_lo, 0, v0
	v_mov_b32_e32 v0, 0
	v_cndmask_b32_e64 v1, 0, 0x3ff00000, vcc_lo
	s_branch .LBB214_490
.LBB214_489:
	s_mov_b32 s20, -1
                                        ; implicit-def: $vgpr0_vgpr1
.LBB214_490:
	s_branch .LBB214_278
.LBB214_491:
	s_cmp_lt_i32 s0, 5
	s_cbranch_scc1 .LBB214_496
; %bb.492:
	s_cmp_lt_i32 s0, 8
	s_cbranch_scc1 .LBB214_497
; %bb.493:
	;; [unrolled: 3-line block ×3, first 2 shown]
	s_cmp_gt_i32 s0, 9
	s_cbranch_scc0 .LBB214_499
; %bb.495:
	global_load_b64 v[0:1], v[2:3], off
	s_mov_b32 s21, 0
	s_branch .LBB214_500
.LBB214_496:
	s_mov_b32 s21, -1
                                        ; implicit-def: $vgpr0_vgpr1
	s_branch .LBB214_518
.LBB214_497:
	s_mov_b32 s21, -1
                                        ; implicit-def: $vgpr0_vgpr1
	s_branch .LBB214_506
.LBB214_498:
	s_mov_b32 s21, -1
                                        ; implicit-def: $vgpr0_vgpr1
	s_branch .LBB214_503
.LBB214_499:
	s_mov_b32 s21, -1
                                        ; implicit-def: $vgpr0_vgpr1
.LBB214_500:
	s_delay_alu instid0(SALU_CYCLE_1)
	s_and_not1_b32 vcc_lo, exec_lo, s21
	s_cbranch_vccnz .LBB214_502
; %bb.501:
	s_wait_loadcnt 0x0
	global_load_b32 v0, v[2:3], off
	s_wait_loadcnt 0x0
	v_cvt_f64_f32_e32 v[0:1], v0
.LBB214_502:
	s_mov_b32 s21, 0
.LBB214_503:
	s_delay_alu instid0(SALU_CYCLE_1)
	s_and_not1_b32 vcc_lo, exec_lo, s21
	s_cbranch_vccnz .LBB214_505
; %bb.504:
	s_wait_loadcnt 0x0
	global_load_b32 v0, v[2:3], off
	s_wait_loadcnt 0x0
	v_cvt_f32_f16_e32 v0, v0
	s_delay_alu instid0(VALU_DEP_1)
	v_cvt_f64_f32_e32 v[0:1], v0
.LBB214_505:
	s_mov_b32 s21, 0
.LBB214_506:
	s_delay_alu instid0(SALU_CYCLE_1)
	s_and_not1_b32 vcc_lo, exec_lo, s21
	s_cbranch_vccnz .LBB214_517
; %bb.507:
	s_cmp_lt_i32 s0, 6
	s_cbranch_scc1 .LBB214_510
; %bb.508:
	s_cmp_gt_i32 s0, 6
	s_cbranch_scc0 .LBB214_511
; %bb.509:
	s_wait_loadcnt 0x0
	global_load_b64 v[0:1], v[2:3], off
	s_mov_b32 s21, 0
	s_branch .LBB214_512
.LBB214_510:
	s_mov_b32 s21, -1
                                        ; implicit-def: $vgpr0_vgpr1
	s_branch .LBB214_515
.LBB214_511:
	s_mov_b32 s21, -1
                                        ; implicit-def: $vgpr0_vgpr1
.LBB214_512:
	s_delay_alu instid0(SALU_CYCLE_1)
	s_and_not1_b32 vcc_lo, exec_lo, s21
	s_cbranch_vccnz .LBB214_514
; %bb.513:
	s_wait_loadcnt 0x0
	global_load_b32 v0, v[2:3], off
	s_wait_loadcnt 0x0
	v_cvt_f64_f32_e32 v[0:1], v0
.LBB214_514:
	s_mov_b32 s21, 0
.LBB214_515:
	s_delay_alu instid0(SALU_CYCLE_1)
	s_and_not1_b32 vcc_lo, exec_lo, s21
	s_cbranch_vccnz .LBB214_517
; %bb.516:
	s_wait_loadcnt 0x0
	global_load_u16 v0, v[2:3], off
	s_wait_loadcnt 0x0
	v_cvt_f32_f16_e32 v0, v0
	s_delay_alu instid0(VALU_DEP_1)
	v_cvt_f64_f32_e32 v[0:1], v0
.LBB214_517:
	s_mov_b32 s21, 0
.LBB214_518:
	s_delay_alu instid0(SALU_CYCLE_1)
	s_and_not1_b32 vcc_lo, exec_lo, s21
	s_cbranch_vccnz .LBB214_538
; %bb.519:
	s_cmp_lt_i32 s0, 2
	s_cbranch_scc1 .LBB214_523
; %bb.520:
	s_cmp_lt_i32 s0, 3
	s_cbranch_scc1 .LBB214_524
; %bb.521:
	s_cmp_gt_i32 s0, 3
	s_cbranch_scc0 .LBB214_525
; %bb.522:
	s_wait_loadcnt 0x0
	global_load_b64 v[0:1], v[2:3], off
	s_mov_b32 s21, 0
	s_wait_loadcnt 0x0
	v_cvt_f64_i32_e32 v[4:5], v1
	v_cvt_f64_u32_e32 v[0:1], v0
	s_delay_alu instid0(VALU_DEP_2) | instskip(NEXT) | instid1(VALU_DEP_1)
	v_ldexp_f64 v[4:5], v[4:5], 32
	v_add_f64_e32 v[0:1], v[4:5], v[0:1]
	s_branch .LBB214_526
.LBB214_523:
	s_mov_b32 s21, -1
                                        ; implicit-def: $vgpr0_vgpr1
	s_branch .LBB214_532
.LBB214_524:
	s_mov_b32 s21, -1
                                        ; implicit-def: $vgpr0_vgpr1
	s_branch .LBB214_529
.LBB214_525:
	s_mov_b32 s21, -1
                                        ; implicit-def: $vgpr0_vgpr1
.LBB214_526:
	s_delay_alu instid0(SALU_CYCLE_1)
	s_and_not1_b32 vcc_lo, exec_lo, s21
	s_cbranch_vccnz .LBB214_528
; %bb.527:
	s_wait_loadcnt 0x0
	global_load_b32 v0, v[2:3], off
	s_wait_loadcnt 0x0
	v_cvt_f64_i32_e32 v[0:1], v0
.LBB214_528:
	s_mov_b32 s21, 0
.LBB214_529:
	s_delay_alu instid0(SALU_CYCLE_1)
	s_and_not1_b32 vcc_lo, exec_lo, s21
	s_cbranch_vccnz .LBB214_531
; %bb.530:
	s_wait_loadcnt 0x0
	global_load_i16 v0, v[2:3], off
	s_wait_loadcnt 0x0
	v_cvt_f64_i32_e32 v[0:1], v0
.LBB214_531:
	s_mov_b32 s21, 0
.LBB214_532:
	s_delay_alu instid0(SALU_CYCLE_1)
	s_and_not1_b32 vcc_lo, exec_lo, s21
	s_cbranch_vccnz .LBB214_538
; %bb.533:
	s_cmp_gt_i32 s0, 0
	s_mov_b32 s0, 0
	s_cbranch_scc0 .LBB214_535
; %bb.534:
	s_wait_loadcnt 0x0
	global_load_i8 v0, v[2:3], off
	s_wait_loadcnt 0x0
	v_cvt_f64_i32_e32 v[0:1], v0
	s_branch .LBB214_536
.LBB214_535:
	s_mov_b32 s0, -1
                                        ; implicit-def: $vgpr0_vgpr1
.LBB214_536:
	s_delay_alu instid0(SALU_CYCLE_1)
	s_and_not1_b32 vcc_lo, exec_lo, s0
	s_cbranch_vccnz .LBB214_538
; %bb.537:
	s_wait_loadcnt 0x0
	global_load_u8 v0, v[2:3], off
	s_wait_loadcnt 0x0
	v_cvt_f64_u32_e32 v[0:1], v0
.LBB214_538:
	s_branch .LBB214_279
.LBB214_539:
	s_mov_b32 s23, 0
	s_mov_b32 s0, s16
.LBB214_540:
                                        ; implicit-def: $vgpr14
.LBB214_541:
	s_and_not1_b32 s21, s16, exec_lo
	s_and_b32 s0, s0, exec_lo
	s_and_not1_b32 s24, s18, exec_lo
	s_and_b32 s20, s20, exec_lo
	s_or_b32 s21, s21, s0
	s_or_b32 s20, s24, s20
	s_or_not1_b32 s0, s23, exec_lo
.LBB214_542:
	s_wait_xcnt 0x0
	s_or_b32 exec_lo, exec_lo, s22
	s_mov_b32 s23, 0
	s_mov_b32 s24, 0
	;; [unrolled: 1-line block ×3, first 2 shown]
                                        ; implicit-def: $vgpr2_vgpr3
                                        ; implicit-def: $vgpr0_vgpr1
	s_and_saveexec_b32 s22, s0
	s_cbranch_execz .LBB214_903
; %bb.543:
	s_mov_b32 s25, -1
	s_mov_b32 s0, s20
	s_mov_b32 s24, s21
	s_mov_b32 s23, exec_lo
	v_cmpx_gt_i32_e64 s17, v14
	s_cbranch_execz .LBB214_817
; %bb.544:
	s_wait_loadcnt 0x0
	v_mul_lo_u32 v0, v14, s13
	s_and_b32 s0, 0xffff, s3
	s_delay_alu instid0(SALU_CYCLE_1) | instskip(NEXT) | instid1(VALU_DEP_1)
	s_cmp_lt_i32 s0, 11
	v_ashrrev_i32_e32 v1, 31, v0
	s_delay_alu instid0(VALU_DEP_1)
	v_add_nc_u64_e32 v[2:3], s[6:7], v[0:1]
	s_cbranch_scc1 .LBB214_551
; %bb.545:
	s_cmp_gt_i32 s0, 25
	s_cbranch_scc0 .LBB214_552
; %bb.546:
	s_cmp_gt_i32 s0, 28
	s_cbranch_scc0 .LBB214_553
	;; [unrolled: 3-line block ×4, first 2 shown]
; %bb.549:
	s_cmp_eq_u32 s0, 46
	s_mov_b32 s26, 0
	s_cbranch_scc0 .LBB214_560
; %bb.550:
	global_load_b32 v0, v[2:3], off
	s_mov_b32 s24, 0
	s_wait_loadcnt 0x0
	v_lshlrev_b32_e32 v0, 16, v0
	s_delay_alu instid0(VALU_DEP_1)
	v_cvt_f64_f32_e32 v[0:1], v0
	s_branch .LBB214_562
.LBB214_551:
	s_mov_b32 s26, -1
	s_mov_b32 s25, 0
	s_mov_b32 s24, s20
                                        ; implicit-def: $vgpr0_vgpr1
	s_branch .LBB214_627
.LBB214_552:
	s_mov_b32 s26, -1
	s_mov_b32 s25, 0
	s_mov_b32 s24, s20
                                        ; implicit-def: $vgpr0_vgpr1
	s_branch .LBB214_591
.LBB214_553:
	s_mov_b32 s26, -1
	s_mov_b32 s25, 0
	s_mov_b32 s24, s20
                                        ; implicit-def: $vgpr0_vgpr1
	s_branch .LBB214_572
.LBB214_554:
	s_mov_b32 s26, -1
	s_mov_b32 s25, 0
	s_mov_b32 s24, s20
                                        ; implicit-def: $vgpr0_vgpr1
	s_branch .LBB214_567
.LBB214_555:
	s_and_not1_saveexec_b32 s26, s26
	s_cbranch_execz .LBB214_339
.LBB214_556:
	v_add_f32_e64 v3, 0x46000000, |v2|
	s_and_not1_b32 s25, s25, exec_lo
	s_delay_alu instid0(VALU_DEP_1) | instskip(NEXT) | instid1(VALU_DEP_1)
	v_and_b32_e32 v3, 0xff, v3
	v_cmp_ne_u32_e32 vcc_lo, 0, v3
	s_and_b32 s27, vcc_lo, exec_lo
	s_delay_alu instid0(SALU_CYCLE_1)
	s_or_b32 s25, s25, s27
	s_or_b32 exec_lo, exec_lo, s26
	v_mov_b32_e32 v6, 0
	s_and_saveexec_b32 s26, s25
	s_cbranch_execnz .LBB214_340
	s_branch .LBB214_341
.LBB214_557:
	s_mov_b32 s26, -1
	s_mov_b32 s25, 0
	s_mov_b32 s24, s20
	s_branch .LBB214_561
.LBB214_558:
	s_and_not1_saveexec_b32 s26, s26
	s_cbranch_execz .LBB214_352
.LBB214_559:
	v_add_f32_e64 v3, 0x42800000, |v2|
	s_and_not1_b32 s25, s25, exec_lo
	s_delay_alu instid0(VALU_DEP_1) | instskip(NEXT) | instid1(VALU_DEP_1)
	v_and_b32_e32 v3, 0xff, v3
	v_cmp_ne_u32_e32 vcc_lo, 0, v3
	s_and_b32 s27, vcc_lo, exec_lo
	s_delay_alu instid0(SALU_CYCLE_1)
	s_or_b32 s25, s25, s27
	s_or_b32 exec_lo, exec_lo, s26
	v_mov_b32_e32 v6, 0
	s_and_saveexec_b32 s26, s25
	s_cbranch_execnz .LBB214_353
	s_branch .LBB214_354
.LBB214_560:
	s_mov_b32 s24, -1
	s_mov_b32 s25, 0
.LBB214_561:
                                        ; implicit-def: $vgpr0_vgpr1
.LBB214_562:
	s_and_b32 vcc_lo, exec_lo, s26
	s_cbranch_vccz .LBB214_566
; %bb.563:
	s_cmp_eq_u32 s0, 44
	s_cbranch_scc0 .LBB214_565
; %bb.564:
	global_load_u8 v4, v[2:3], off
	s_mov_b32 s24, 0
	s_mov_b32 s25, -1
	s_wait_loadcnt 0x0
	v_cmp_ne_u32_e32 vcc_lo, 0xff, v4
	v_lshlrev_b32_e32 v0, 23, v4
	s_delay_alu instid0(VALU_DEP_1) | instskip(NEXT) | instid1(VALU_DEP_1)
	v_cvt_f64_f32_e32 v[0:1], v0
	v_cndmask_b32_e32 v0, 0x20000000, v0, vcc_lo
	s_delay_alu instid0(VALU_DEP_2) | instskip(SKIP_1) | instid1(VALU_DEP_2)
	v_cndmask_b32_e32 v1, 0x7ff80000, v1, vcc_lo
	v_cmp_ne_u32_e32 vcc_lo, 0, v4
	v_cndmask_b32_e32 v1, 0x38000000, v1, vcc_lo
	s_delay_alu instid0(VALU_DEP_4)
	v_cndmask_b32_e32 v0, 0, v0, vcc_lo
	s_branch .LBB214_566
.LBB214_565:
	s_mov_b32 s24, -1
                                        ; implicit-def: $vgpr0_vgpr1
.LBB214_566:
	s_mov_b32 s26, 0
.LBB214_567:
	s_delay_alu instid0(SALU_CYCLE_1)
	s_and_b32 vcc_lo, exec_lo, s26
	s_cbranch_vccz .LBB214_571
; %bb.568:
	s_cmp_eq_u32 s0, 29
	s_cbranch_scc0 .LBB214_570
; %bb.569:
	global_load_b64 v[0:1], v[2:3], off
	s_mov_b32 s25, -1
	s_mov_b32 s24, 0
	s_mov_b32 s26, 0
	s_wait_loadcnt 0x0
	v_cvt_f64_u32_e32 v[4:5], v1
	v_cvt_f64_u32_e32 v[0:1], v0
	s_delay_alu instid0(VALU_DEP_2) | instskip(NEXT) | instid1(VALU_DEP_1)
	v_ldexp_f64 v[4:5], v[4:5], 32
	v_add_f64_e32 v[0:1], v[4:5], v[0:1]
	s_branch .LBB214_572
.LBB214_570:
	s_mov_b32 s24, -1
                                        ; implicit-def: $vgpr0_vgpr1
.LBB214_571:
	s_mov_b32 s26, 0
.LBB214_572:
	s_delay_alu instid0(SALU_CYCLE_1)
	s_and_b32 vcc_lo, exec_lo, s26
	s_cbranch_vccz .LBB214_590
; %bb.573:
	s_cmp_lt_i32 s0, 27
	s_cbranch_scc1 .LBB214_576
; %bb.574:
	s_cmp_gt_i32 s0, 27
	s_cbranch_scc0 .LBB214_577
; %bb.575:
	global_load_b32 v0, v[2:3], off
	s_mov_b32 s25, 0
	s_wait_loadcnt 0x0
	v_cvt_f64_u32_e32 v[0:1], v0
	s_branch .LBB214_578
.LBB214_576:
	s_mov_b32 s25, -1
                                        ; implicit-def: $vgpr0_vgpr1
	s_branch .LBB214_581
.LBB214_577:
	s_mov_b32 s25, -1
                                        ; implicit-def: $vgpr0_vgpr1
.LBB214_578:
	s_delay_alu instid0(SALU_CYCLE_1)
	s_and_not1_b32 vcc_lo, exec_lo, s25
	s_cbranch_vccnz .LBB214_580
; %bb.579:
	global_load_u16 v0, v[2:3], off
	s_wait_loadcnt 0x0
	v_cvt_f64_u32_e32 v[0:1], v0
.LBB214_580:
	s_mov_b32 s25, 0
.LBB214_581:
	s_delay_alu instid0(SALU_CYCLE_1)
	s_and_not1_b32 vcc_lo, exec_lo, s25
	s_cbranch_vccnz .LBB214_589
; %bb.582:
	global_load_u8 v4, v[2:3], off
	s_mov_b32 s25, 0
	s_mov_b32 s26, exec_lo
	s_wait_loadcnt 0x0
	v_cmpx_lt_i16_e32 0x7f, v4
	s_xor_b32 s26, exec_lo, s26
	s_cbranch_execz .LBB214_603
; %bb.583:
	s_mov_b32 s25, -1
	s_mov_b32 s27, exec_lo
	v_cmpx_eq_u16_e32 0x80, v4
; %bb.584:
	s_xor_b32 s25, exec_lo, -1
; %bb.585:
	s_or_b32 exec_lo, exec_lo, s27
	s_delay_alu instid0(SALU_CYCLE_1)
	s_and_b32 s25, s25, exec_lo
	s_or_saveexec_b32 s26, s26
	v_mov_b64_e32 v[0:1], 0x7ff8000020000000
	s_xor_b32 exec_lo, exec_lo, s26
	s_cbranch_execnz .LBB214_604
.LBB214_586:
	s_or_b32 exec_lo, exec_lo, s26
	s_and_saveexec_b32 s26, s25
	s_cbranch_execz .LBB214_588
.LBB214_587:
	v_and_b32_e32 v0, 0xffff, v4
	s_delay_alu instid0(VALU_DEP_1) | instskip(SKIP_1) | instid1(VALU_DEP_2)
	v_and_b32_e32 v1, 7, v0
	v_bfe_u32 v7, v0, 3, 4
	v_clz_i32_u32_e32 v5, v1
	s_delay_alu instid0(VALU_DEP_2) | instskip(NEXT) | instid1(VALU_DEP_2)
	v_cmp_eq_u32_e32 vcc_lo, 0, v7
	v_min_u32_e32 v5, 32, v5
	s_delay_alu instid0(VALU_DEP_1) | instskip(NEXT) | instid1(VALU_DEP_1)
	v_subrev_nc_u32_e32 v6, 28, v5
	v_dual_lshlrev_b32 v0, v6, v0 :: v_dual_sub_nc_u32 v5, 29, v5
	s_delay_alu instid0(VALU_DEP_1) | instskip(NEXT) | instid1(VALU_DEP_2)
	v_and_b32_e32 v0, 7, v0
	v_dual_cndmask_b32 v5, v7, v5 :: v_dual_lshlrev_b32 v4, 24, v4
	s_delay_alu instid0(VALU_DEP_2) | instskip(NEXT) | instid1(VALU_DEP_2)
	v_cndmask_b32_e32 v0, v1, v0, vcc_lo
	v_and_b32_e32 v1, 0x80000000, v4
	s_delay_alu instid0(VALU_DEP_3) | instskip(NEXT) | instid1(VALU_DEP_3)
	v_lshl_add_u32 v4, v5, 23, 0x3b800000
	v_lshlrev_b32_e32 v0, 20, v0
	s_delay_alu instid0(VALU_DEP_1) | instskip(NEXT) | instid1(VALU_DEP_1)
	v_or3_b32 v0, v1, v4, v0
	v_cvt_f64_f32_e32 v[0:1], v0
.LBB214_588:
	s_or_b32 exec_lo, exec_lo, s26
.LBB214_589:
	s_mov_b32 s25, -1
.LBB214_590:
	s_mov_b32 s26, 0
.LBB214_591:
	s_delay_alu instid0(SALU_CYCLE_1)
	s_and_b32 vcc_lo, exec_lo, s26
	s_cbranch_vccz .LBB214_626
; %bb.592:
	s_cmp_gt_i32 s0, 22
	s_cbranch_scc0 .LBB214_602
; %bb.593:
	s_cmp_lt_i32 s0, 24
	s_cbranch_scc1 .LBB214_605
; %bb.594:
	s_cmp_gt_i32 s0, 24
	s_cbranch_scc0 .LBB214_606
; %bb.595:
	global_load_u8 v4, v[2:3], off
	s_mov_b32 s25, 0
	s_mov_b32 s26, exec_lo
	s_wait_loadcnt 0x0
	v_cmpx_lt_i16_e32 0x7f, v4
	s_xor_b32 s26, exec_lo, s26
	s_cbranch_execz .LBB214_618
; %bb.596:
	s_mov_b32 s25, -1
	s_mov_b32 s27, exec_lo
	v_cmpx_eq_u16_e32 0x80, v4
; %bb.597:
	s_xor_b32 s25, exec_lo, -1
; %bb.598:
	s_or_b32 exec_lo, exec_lo, s27
	s_delay_alu instid0(SALU_CYCLE_1)
	s_and_b32 s25, s25, exec_lo
	s_or_saveexec_b32 s26, s26
	v_mov_b64_e32 v[0:1], 0x7ff8000020000000
	s_xor_b32 exec_lo, exec_lo, s26
	s_cbranch_execnz .LBB214_619
.LBB214_599:
	s_or_b32 exec_lo, exec_lo, s26
	s_and_saveexec_b32 s26, s25
	s_cbranch_execz .LBB214_601
.LBB214_600:
	v_and_b32_e32 v0, 0xffff, v4
	s_delay_alu instid0(VALU_DEP_1) | instskip(SKIP_1) | instid1(VALU_DEP_2)
	v_and_b32_e32 v1, 3, v0
	v_bfe_u32 v7, v0, 2, 5
	v_clz_i32_u32_e32 v5, v1
	s_delay_alu instid0(VALU_DEP_2) | instskip(NEXT) | instid1(VALU_DEP_2)
	v_cmp_eq_u32_e32 vcc_lo, 0, v7
	v_min_u32_e32 v5, 32, v5
	s_delay_alu instid0(VALU_DEP_1) | instskip(NEXT) | instid1(VALU_DEP_1)
	v_subrev_nc_u32_e32 v6, 29, v5
	v_dual_lshlrev_b32 v0, v6, v0 :: v_dual_sub_nc_u32 v5, 30, v5
	s_delay_alu instid0(VALU_DEP_1) | instskip(NEXT) | instid1(VALU_DEP_2)
	v_and_b32_e32 v0, 3, v0
	v_dual_cndmask_b32 v5, v7, v5 :: v_dual_lshlrev_b32 v4, 24, v4
	s_delay_alu instid0(VALU_DEP_2) | instskip(NEXT) | instid1(VALU_DEP_2)
	v_cndmask_b32_e32 v0, v1, v0, vcc_lo
	v_and_b32_e32 v1, 0x80000000, v4
	s_delay_alu instid0(VALU_DEP_3) | instskip(NEXT) | instid1(VALU_DEP_3)
	v_lshl_add_u32 v4, v5, 23, 0x37800000
	v_lshlrev_b32_e32 v0, 21, v0
	s_delay_alu instid0(VALU_DEP_1) | instskip(NEXT) | instid1(VALU_DEP_1)
	v_or3_b32 v0, v1, v4, v0
	v_cvt_f64_f32_e32 v[0:1], v0
.LBB214_601:
	s_or_b32 exec_lo, exec_lo, s26
	s_mov_b32 s25, 0
	s_branch .LBB214_607
.LBB214_602:
	s_mov_b32 s26, -1
                                        ; implicit-def: $vgpr0_vgpr1
	s_branch .LBB214_613
.LBB214_603:
	s_or_saveexec_b32 s26, s26
	v_mov_b64_e32 v[0:1], 0x7ff8000020000000
	s_xor_b32 exec_lo, exec_lo, s26
	s_cbranch_execz .LBB214_586
.LBB214_604:
	v_cmp_ne_u16_e32 vcc_lo, 0, v4
	v_mov_b64_e32 v[0:1], 0
	s_and_not1_b32 s25, s25, exec_lo
	s_and_b32 s27, vcc_lo, exec_lo
	s_delay_alu instid0(SALU_CYCLE_1)
	s_or_b32 s25, s25, s27
	s_or_b32 exec_lo, exec_lo, s26
	s_and_saveexec_b32 s26, s25
	s_cbranch_execnz .LBB214_587
	s_branch .LBB214_588
.LBB214_605:
	s_mov_b32 s25, -1
                                        ; implicit-def: $vgpr0_vgpr1
	s_branch .LBB214_610
.LBB214_606:
	s_mov_b32 s25, -1
                                        ; implicit-def: $vgpr0_vgpr1
.LBB214_607:
	s_delay_alu instid0(SALU_CYCLE_1)
	s_and_b32 vcc_lo, exec_lo, s25
	s_cbranch_vccz .LBB214_609
; %bb.608:
	global_load_u8 v0, v[2:3], off
	s_wait_loadcnt 0x0
	v_lshlrev_b32_e32 v0, 24, v0
	s_delay_alu instid0(VALU_DEP_1) | instskip(NEXT) | instid1(VALU_DEP_1)
	v_and_b32_e32 v1, 0x7f000000, v0
	v_clz_i32_u32_e32 v4, v1
	v_cmp_ne_u32_e32 vcc_lo, 0, v1
	v_add_nc_u32_e32 v6, 0x1000000, v1
	s_delay_alu instid0(VALU_DEP_3) | instskip(NEXT) | instid1(VALU_DEP_1)
	v_min_u32_e32 v4, 32, v4
	v_sub_nc_u32_e64 v4, v4, 4 clamp
	s_delay_alu instid0(VALU_DEP_1) | instskip(NEXT) | instid1(VALU_DEP_1)
	v_dual_lshlrev_b32 v5, v4, v1 :: v_dual_lshlrev_b32 v4, 23, v4
	v_lshrrev_b32_e32 v5, 4, v5
	s_delay_alu instid0(VALU_DEP_1) | instskip(NEXT) | instid1(VALU_DEP_1)
	v_dual_sub_nc_u32 v4, v5, v4 :: v_dual_ashrrev_i32 v5, 8, v6
	v_add_nc_u32_e32 v4, 0x3c000000, v4
	s_delay_alu instid0(VALU_DEP_1) | instskip(NEXT) | instid1(VALU_DEP_1)
	v_and_or_b32 v4, 0x7f800000, v5, v4
	v_cndmask_b32_e32 v1, 0, v4, vcc_lo
	s_delay_alu instid0(VALU_DEP_1) | instskip(NEXT) | instid1(VALU_DEP_1)
	v_and_or_b32 v0, 0x80000000, v0, v1
	v_cvt_f64_f32_e32 v[0:1], v0
.LBB214_609:
	s_mov_b32 s25, 0
.LBB214_610:
	s_delay_alu instid0(SALU_CYCLE_1)
	s_and_not1_b32 vcc_lo, exec_lo, s25
	s_cbranch_vccnz .LBB214_612
; %bb.611:
	global_load_u8 v0, v[2:3], off
	s_wait_loadcnt 0x0
	v_lshlrev_b32_e32 v1, 25, v0
	v_lshlrev_b16 v0, 8, v0
	s_delay_alu instid0(VALU_DEP_1) | instskip(SKIP_1) | instid1(VALU_DEP_2)
	v_and_or_b32 v5, 0x7f00, v0, 0.5
	v_bfe_i32 v0, v0, 0, 16
	v_add_f32_e32 v5, -0.5, v5
	v_lshrrev_b32_e32 v4, 4, v1
	v_cmp_gt_u32_e32 vcc_lo, 0x8000000, v1
	s_delay_alu instid0(VALU_DEP_2) | instskip(NEXT) | instid1(VALU_DEP_1)
	v_or_b32_e32 v4, 0x70000000, v4
	v_mul_f32_e32 v4, 0x7800000, v4
	s_delay_alu instid0(VALU_DEP_1) | instskip(NEXT) | instid1(VALU_DEP_1)
	v_cndmask_b32_e32 v1, v4, v5, vcc_lo
	v_and_or_b32 v0, 0x80000000, v0, v1
	s_delay_alu instid0(VALU_DEP_1)
	v_cvt_f64_f32_e32 v[0:1], v0
.LBB214_612:
	s_mov_b32 s26, 0
	s_mov_b32 s25, -1
.LBB214_613:
	s_and_not1_b32 vcc_lo, exec_lo, s26
	s_cbranch_vccnz .LBB214_626
; %bb.614:
	s_cmp_gt_i32 s0, 14
	s_cbranch_scc0 .LBB214_617
; %bb.615:
	s_cmp_eq_u32 s0, 15
	s_cbranch_scc0 .LBB214_620
; %bb.616:
	global_load_u16 v0, v[2:3], off
	s_mov_b32 s25, -1
	s_mov_b32 s24, 0
	s_wait_loadcnt 0x0
	v_lshlrev_b32_e32 v0, 16, v0
	s_delay_alu instid0(VALU_DEP_1)
	v_cvt_f64_f32_e32 v[0:1], v0
	s_branch .LBB214_621
.LBB214_617:
	s_mov_b32 s26, -1
                                        ; implicit-def: $vgpr0_vgpr1
	s_branch .LBB214_622
.LBB214_618:
	s_or_saveexec_b32 s26, s26
	v_mov_b64_e32 v[0:1], 0x7ff8000020000000
	s_xor_b32 exec_lo, exec_lo, s26
	s_cbranch_execz .LBB214_599
.LBB214_619:
	v_cmp_ne_u16_e32 vcc_lo, 0, v4
	v_mov_b64_e32 v[0:1], 0
	s_and_not1_b32 s25, s25, exec_lo
	s_and_b32 s27, vcc_lo, exec_lo
	s_delay_alu instid0(SALU_CYCLE_1)
	s_or_b32 s25, s25, s27
	s_or_b32 exec_lo, exec_lo, s26
	s_and_saveexec_b32 s26, s25
	s_cbranch_execnz .LBB214_600
	s_branch .LBB214_601
.LBB214_620:
	s_mov_b32 s24, -1
                                        ; implicit-def: $vgpr0_vgpr1
.LBB214_621:
	s_mov_b32 s26, 0
.LBB214_622:
	s_delay_alu instid0(SALU_CYCLE_1)
	s_and_b32 vcc_lo, exec_lo, s26
	s_cbranch_vccz .LBB214_626
; %bb.623:
	s_cmp_eq_u32 s0, 11
	s_cbranch_scc0 .LBB214_625
; %bb.624:
	global_load_u8 v0, v[2:3], off
	s_mov_b32 s24, 0
	s_mov_b32 s25, -1
	s_wait_loadcnt 0x0
	v_cmp_ne_u16_e32 vcc_lo, 0, v0
	v_mov_b32_e32 v0, 0
	v_cndmask_b32_e64 v1, 0, 0x3ff00000, vcc_lo
	s_branch .LBB214_626
.LBB214_625:
	s_mov_b32 s24, -1
                                        ; implicit-def: $vgpr0_vgpr1
.LBB214_626:
	s_mov_b32 s26, 0
.LBB214_627:
	s_delay_alu instid0(SALU_CYCLE_1)
	s_and_b32 vcc_lo, exec_lo, s26
	s_cbranch_vccz .LBB214_676
; %bb.628:
	s_cmp_lt_i32 s0, 5
	s_cbranch_scc1 .LBB214_633
; %bb.629:
	s_cmp_lt_i32 s0, 8
	s_cbranch_scc1 .LBB214_634
	;; [unrolled: 3-line block ×3, first 2 shown]
; %bb.631:
	s_cmp_gt_i32 s0, 9
	s_cbranch_scc0 .LBB214_636
; %bb.632:
	global_load_b64 v[0:1], v[2:3], off
	s_mov_b32 s25, 0
	s_branch .LBB214_637
.LBB214_633:
	s_mov_b32 s25, -1
                                        ; implicit-def: $vgpr0_vgpr1
	s_branch .LBB214_655
.LBB214_634:
	s_mov_b32 s25, -1
                                        ; implicit-def: $vgpr0_vgpr1
	s_branch .LBB214_643
.LBB214_635:
	s_mov_b32 s25, -1
                                        ; implicit-def: $vgpr0_vgpr1
	s_branch .LBB214_640
.LBB214_636:
	s_mov_b32 s25, -1
                                        ; implicit-def: $vgpr0_vgpr1
.LBB214_637:
	s_delay_alu instid0(SALU_CYCLE_1)
	s_and_not1_b32 vcc_lo, exec_lo, s25
	s_cbranch_vccnz .LBB214_639
; %bb.638:
	s_wait_loadcnt 0x0
	global_load_b32 v0, v[2:3], off
	s_wait_loadcnt 0x0
	v_cvt_f64_f32_e32 v[0:1], v0
.LBB214_639:
	s_mov_b32 s25, 0
.LBB214_640:
	s_delay_alu instid0(SALU_CYCLE_1)
	s_and_not1_b32 vcc_lo, exec_lo, s25
	s_cbranch_vccnz .LBB214_642
; %bb.641:
	s_wait_loadcnt 0x0
	global_load_b32 v0, v[2:3], off
	s_wait_loadcnt 0x0
	v_cvt_f32_f16_e32 v0, v0
	s_delay_alu instid0(VALU_DEP_1)
	v_cvt_f64_f32_e32 v[0:1], v0
.LBB214_642:
	s_mov_b32 s25, 0
.LBB214_643:
	s_delay_alu instid0(SALU_CYCLE_1)
	s_and_not1_b32 vcc_lo, exec_lo, s25
	s_cbranch_vccnz .LBB214_654
; %bb.644:
	s_cmp_lt_i32 s0, 6
	s_cbranch_scc1 .LBB214_647
; %bb.645:
	s_cmp_gt_i32 s0, 6
	s_cbranch_scc0 .LBB214_648
; %bb.646:
	s_wait_loadcnt 0x0
	global_load_b64 v[0:1], v[2:3], off
	s_mov_b32 s25, 0
	s_branch .LBB214_649
.LBB214_647:
	s_mov_b32 s25, -1
                                        ; implicit-def: $vgpr0_vgpr1
	s_branch .LBB214_652
.LBB214_648:
	s_mov_b32 s25, -1
                                        ; implicit-def: $vgpr0_vgpr1
.LBB214_649:
	s_delay_alu instid0(SALU_CYCLE_1)
	s_and_not1_b32 vcc_lo, exec_lo, s25
	s_cbranch_vccnz .LBB214_651
; %bb.650:
	s_wait_loadcnt 0x0
	global_load_b32 v0, v[2:3], off
	s_wait_loadcnt 0x0
	v_cvt_f64_f32_e32 v[0:1], v0
.LBB214_651:
	s_mov_b32 s25, 0
.LBB214_652:
	s_delay_alu instid0(SALU_CYCLE_1)
	s_and_not1_b32 vcc_lo, exec_lo, s25
	s_cbranch_vccnz .LBB214_654
; %bb.653:
	s_wait_loadcnt 0x0
	global_load_u16 v0, v[2:3], off
	s_wait_loadcnt 0x0
	v_cvt_f32_f16_e32 v0, v0
	s_delay_alu instid0(VALU_DEP_1)
	v_cvt_f64_f32_e32 v[0:1], v0
.LBB214_654:
	s_mov_b32 s25, 0
.LBB214_655:
	s_delay_alu instid0(SALU_CYCLE_1)
	s_and_not1_b32 vcc_lo, exec_lo, s25
	s_cbranch_vccnz .LBB214_675
; %bb.656:
	s_cmp_lt_i32 s0, 2
	s_cbranch_scc1 .LBB214_660
; %bb.657:
	s_cmp_lt_i32 s0, 3
	s_cbranch_scc1 .LBB214_661
; %bb.658:
	s_cmp_gt_i32 s0, 3
	s_cbranch_scc0 .LBB214_662
; %bb.659:
	s_wait_loadcnt 0x0
	global_load_b64 v[0:1], v[2:3], off
	s_mov_b32 s25, 0
	s_wait_loadcnt 0x0
	v_cvt_f64_i32_e32 v[4:5], v1
	v_cvt_f64_u32_e32 v[0:1], v0
	s_delay_alu instid0(VALU_DEP_2) | instskip(NEXT) | instid1(VALU_DEP_1)
	v_ldexp_f64 v[4:5], v[4:5], 32
	v_add_f64_e32 v[0:1], v[4:5], v[0:1]
	s_branch .LBB214_663
.LBB214_660:
	s_mov_b32 s25, -1
                                        ; implicit-def: $vgpr0_vgpr1
	s_branch .LBB214_669
.LBB214_661:
	s_mov_b32 s25, -1
                                        ; implicit-def: $vgpr0_vgpr1
	s_branch .LBB214_666
.LBB214_662:
	s_mov_b32 s25, -1
                                        ; implicit-def: $vgpr0_vgpr1
.LBB214_663:
	s_delay_alu instid0(SALU_CYCLE_1)
	s_and_not1_b32 vcc_lo, exec_lo, s25
	s_cbranch_vccnz .LBB214_665
; %bb.664:
	s_wait_loadcnt 0x0
	global_load_b32 v0, v[2:3], off
	s_wait_loadcnt 0x0
	v_cvt_f64_i32_e32 v[0:1], v0
.LBB214_665:
	s_mov_b32 s25, 0
.LBB214_666:
	s_delay_alu instid0(SALU_CYCLE_1)
	s_and_not1_b32 vcc_lo, exec_lo, s25
	s_cbranch_vccnz .LBB214_668
; %bb.667:
	s_wait_loadcnt 0x0
	global_load_i16 v0, v[2:3], off
	s_wait_loadcnt 0x0
	v_cvt_f64_i32_e32 v[0:1], v0
.LBB214_668:
	s_mov_b32 s25, 0
.LBB214_669:
	s_delay_alu instid0(SALU_CYCLE_1)
	s_and_not1_b32 vcc_lo, exec_lo, s25
	s_cbranch_vccnz .LBB214_675
; %bb.670:
	s_cmp_gt_i32 s0, 0
	s_mov_b32 s0, 0
	s_cbranch_scc0 .LBB214_672
; %bb.671:
	s_wait_loadcnt 0x0
	global_load_i8 v0, v[2:3], off
	s_wait_loadcnt 0x0
	v_cvt_f64_i32_e32 v[0:1], v0
	s_branch .LBB214_673
.LBB214_672:
	s_mov_b32 s0, -1
                                        ; implicit-def: $vgpr0_vgpr1
.LBB214_673:
	s_delay_alu instid0(SALU_CYCLE_1)
	s_and_not1_b32 vcc_lo, exec_lo, s0
	s_cbranch_vccnz .LBB214_675
; %bb.674:
	s_wait_loadcnt 0x0
	global_load_u8 v0, v[2:3], off
	s_wait_loadcnt 0x0
	v_cvt_f64_u32_e32 v[0:1], v0
.LBB214_675:
	s_mov_b32 s25, -1
.LBB214_676:
	s_delay_alu instid0(SALU_CYCLE_1)
	s_and_not1_b32 vcc_lo, exec_lo, s25
	s_cbranch_vccnz .LBB214_681
; %bb.677:
	s_mov_b32 s0, exec_lo
	s_wait_loadcnt 0x0
	s_delay_alu instid0(VALU_DEP_1)
	v_cmpx_o_f64_e32 v[0:1], v[0:1]
	s_cbranch_execz .LBB214_690
; %bb.678:
	s_cmp_lt_i32 s14, 1
	s_mov_b32 s25, 0
	s_cbranch_scc1 .LBB214_682
; %bb.679:
	s_cmp_eq_u32 s14, 1
	s_cbranch_scc0 .LBB214_683
; %bb.680:
	v_max_num_f64_e64 v[2:3], s[8:9], s[8:9]
	v_max_num_f64_e32 v[4:5], v[0:1], v[0:1]
	s_mov_b32 s26, 0
	s_delay_alu instid0(VALU_DEP_1)
	v_min_num_f64_e32 v[2:3], v[4:5], v[2:3]
	s_branch .LBB214_684
.LBB214_681:
	s_mov_b32 s25, 0
	s_mov_b32 s0, s21
	s_branch .LBB214_815
.LBB214_682:
	s_mov_b32 s27, -1
	s_mov_b32 s26, 0
                                        ; implicit-def: $vgpr2_vgpr3
	s_branch .LBB214_685
.LBB214_683:
	s_mov_b32 s26, -1
                                        ; implicit-def: $vgpr2_vgpr3
.LBB214_684:
	s_mov_b32 s27, 0
.LBB214_685:
	s_delay_alu instid0(SALU_CYCLE_1)
	s_and_b32 vcc_lo, exec_lo, s27
	s_cbranch_vccz .LBB214_697
; %bb.686:
	s_cmp_lg_u32 s14, 0
	s_mov_b32 s25, -1
	s_cselect_b32 s26, -1, 0
	v_max_num_f64_e32 v[0:1], v[0:1], v[0:1]
	s_and_not1_b32 vcc_lo, exec_lo, s26
	s_cbranch_vccz .LBB214_698
.LBB214_687:
	s_and_not1_b32 vcc_lo, exec_lo, s25
	s_cbranch_vccnz .LBB214_689
.LBB214_688:
	v_max_num_f64_e64 v[2:3], s[8:9], s[8:9]
	s_delay_alu instid0(VALU_DEP_1)
	v_max_num_f64_e32 v[2:3], v[0:1], v[2:3]
.LBB214_689:
	s_delay_alu instid0(VALU_DEP_1)
	v_mov_b64_e32 v[0:1], v[2:3]
.LBB214_690:
	s_or_b32 exec_lo, exec_lo, s0
	v_mul_lo_u32 v2, v14, s12
	s_and_b32 s25, s2, 0xff
	s_delay_alu instid0(SALU_CYCLE_1) | instskip(NEXT) | instid1(VALU_DEP_1)
	s_cmp_lt_i32 s25, 11
	v_ashrrev_i32_e32 v3, 31, v2
	s_delay_alu instid0(VALU_DEP_1)
	v_add_nc_u64_e32 v[4:5], s[4:5], v[2:3]
	s_cbranch_scc1 .LBB214_699
; %bb.691:
	s_and_b32 s26, 0xffff, s25
	s_delay_alu instid0(SALU_CYCLE_1)
	s_cmp_gt_i32 s26, 25
	s_cbranch_scc0 .LBB214_700
; %bb.692:
	s_cmp_gt_i32 s26, 28
	s_cbranch_scc0 .LBB214_701
; %bb.693:
	;; [unrolled: 3-line block ×4, first 2 shown]
	s_mov_b32 s28, 0
	s_mov_b32 s0, -1
	s_cmp_eq_u32 s26, 46
	s_mov_b32 s27, 0
	s_cbranch_scc0 .LBB214_704
; %bb.696:
	v_cvt_f32_f64_e32 v2, v[0:1]
	s_mov_b32 s27, -1
	s_mov_b32 s0, 0
	s_delay_alu instid0(VALU_DEP_1) | instskip(SKIP_1) | instid1(VALU_DEP_2)
	v_bfe_u32 v3, v2, 16, 1
	v_cmp_o_f32_e32 vcc_lo, v2, v2
	v_add3_u32 v3, v2, v3, 0x7fff
	s_delay_alu instid0(VALU_DEP_1) | instskip(NEXT) | instid1(VALU_DEP_1)
	v_lshrrev_b32_e32 v3, 16, v3
	v_cndmask_b32_e32 v2, 0x7fc0, v3, vcc_lo
	global_store_b32 v[4:5], v2, off
	s_branch .LBB214_704
.LBB214_697:
	v_max_num_f64_e32 v[0:1], v[0:1], v[0:1]
	s_and_not1_b32 vcc_lo, exec_lo, s26
	s_cbranch_vccnz .LBB214_687
.LBB214_698:
	v_max_num_f64_e64 v[2:3], s[8:9], s[8:9]
	v_max_num_f64_e64 v[4:5], s[10:11], s[10:11]
	s_delay_alu instid0(VALU_DEP_2) | instskip(NEXT) | instid1(VALU_DEP_1)
	v_max_num_f64_e32 v[2:3], v[0:1], v[2:3]
	v_min_num_f64_e32 v[2:3], v[2:3], v[4:5]
	s_cbranch_execz .LBB214_688
	s_branch .LBB214_689
.LBB214_699:
	s_mov_b32 s26, -1
	s_mov_b32 s27, 0
	s_mov_b32 s0, s21
	s_branch .LBB214_773
.LBB214_700:
	s_mov_b32 s28, -1
	s_mov_b32 s27, 0
	s_mov_b32 s0, s21
	s_branch .LBB214_731
.LBB214_701:
	s_mov_b32 s28, -1
	s_mov_b32 s27, 0
	s_mov_b32 s0, s21
	s_branch .LBB214_714
.LBB214_702:
	s_mov_b32 s28, -1
	s_mov_b32 s27, 0
	s_mov_b32 s0, s21
	s_branch .LBB214_710
.LBB214_703:
	s_mov_b32 s28, -1
	s_mov_b32 s27, 0
	s_mov_b32 s0, s21
.LBB214_704:
	s_and_b32 vcc_lo, exec_lo, s28
	s_cbranch_vccz .LBB214_709
; %bb.705:
	s_cmp_eq_u32 s26, 44
	s_mov_b32 s0, -1
	s_cbranch_scc0 .LBB214_709
; %bb.706:
	s_wait_xcnt 0x0
	v_cvt_f32_f64_e32 v2, v[0:1]
	v_mov_b32_e32 v3, 0xff
	s_mov_b32 s27, exec_lo
	s_delay_alu instid0(VALU_DEP_2) | instskip(NEXT) | instid1(VALU_DEP_1)
	v_bfe_u32 v6, v2, 23, 8
	v_cmpx_ne_u32_e32 0xff, v6
	s_cbranch_execz .LBB214_708
; %bb.707:
	v_and_b32_e32 v3, 0x400000, v2
	v_and_or_b32 v6, 0x3fffff, v2, v6
	v_lshrrev_b32_e32 v2, 23, v2
	s_delay_alu instid0(VALU_DEP_3) | instskip(NEXT) | instid1(VALU_DEP_3)
	v_cmp_ne_u32_e32 vcc_lo, 0, v3
	v_cmp_ne_u32_e64 s0, 0, v6
	s_and_b32 s0, vcc_lo, s0
	s_delay_alu instid0(SALU_CYCLE_1) | instskip(NEXT) | instid1(VALU_DEP_1)
	v_cndmask_b32_e64 v3, 0, 1, s0
	v_add_nc_u32_e32 v3, v2, v3
.LBB214_708:
	s_or_b32 exec_lo, exec_lo, s27
	s_mov_b32 s27, -1
	s_mov_b32 s0, 0
	global_store_b8 v[4:5], v3, off
.LBB214_709:
	s_mov_b32 s28, 0
.LBB214_710:
	s_delay_alu instid0(SALU_CYCLE_1)
	s_and_b32 vcc_lo, exec_lo, s28
	s_cbranch_vccz .LBB214_713
; %bb.711:
	s_cmp_eq_u32 s26, 29
	s_mov_b32 s0, -1
	s_cbranch_scc0 .LBB214_713
; %bb.712:
	s_wait_xcnt 0x0
	v_trunc_f64_e32 v[2:3], v[0:1]
	s_mov_b32 s27, -1
	s_mov_b32 s0, 0
	s_mov_b32 s28, 0
	s_delay_alu instid0(VALU_DEP_1) | instskip(NEXT) | instid1(VALU_DEP_1)
	v_ldexp_f64 v[6:7], v[2:3], 0xffffffe0
	v_floor_f64_e32 v[6:7], v[6:7]
	s_delay_alu instid0(VALU_DEP_1) | instskip(SKIP_1) | instid1(VALU_DEP_2)
	v_fmamk_f64 v[2:3], v[6:7], 0xc1f00000, v[2:3]
	v_cvt_u32_f64_e32 v7, v[6:7]
	v_cvt_u32_f64_e32 v6, v[2:3]
	global_store_b64 v[4:5], v[6:7], off
	s_branch .LBB214_714
.LBB214_713:
	s_mov_b32 s28, 0
.LBB214_714:
	s_delay_alu instid0(SALU_CYCLE_1)
	s_and_b32 vcc_lo, exec_lo, s28
	s_cbranch_vccz .LBB214_730
; %bb.715:
	s_cmp_lt_i32 s26, 27
	s_mov_b32 s27, -1
	s_cbranch_scc1 .LBB214_721
; %bb.716:
	s_wait_xcnt 0x0
	v_cvt_u32_f64_e32 v2, v[0:1]
	s_cmp_gt_i32 s26, 27
	s_cbranch_scc0 .LBB214_718
; %bb.717:
	s_mov_b32 s27, 0
	global_store_b32 v[4:5], v2, off
.LBB214_718:
	s_and_not1_b32 vcc_lo, exec_lo, s27
	s_cbranch_vccnz .LBB214_720
; %bb.719:
	global_store_b16 v[4:5], v2, off
.LBB214_720:
	s_mov_b32 s27, 0
.LBB214_721:
	s_delay_alu instid0(SALU_CYCLE_1)
	s_and_not1_b32 vcc_lo, exec_lo, s27
	s_cbranch_vccnz .LBB214_729
; %bb.722:
	s_wait_xcnt 0x0
	v_cvt_f32_f64_e32 v2, v[0:1]
	v_mov_b32_e32 v6, 0x80
	s_mov_b32 s27, exec_lo
	s_delay_alu instid0(VALU_DEP_2) | instskip(NEXT) | instid1(VALU_DEP_1)
	v_and_b32_e32 v3, 0x7fffffff, v2
	v_cmpx_gt_u32_e32 0x43800000, v3
	s_cbranch_execz .LBB214_728
; %bb.723:
	v_cmp_lt_u32_e32 vcc_lo, 0x3bffffff, v3
	s_mov_b32 s28, 0
                                        ; implicit-def: $vgpr3
	s_and_saveexec_b32 s29, vcc_lo
	s_delay_alu instid0(SALU_CYCLE_1)
	s_xor_b32 s29, exec_lo, s29
	s_cbranch_execz .LBB214_830
; %bb.724:
	v_bfe_u32 v3, v2, 20, 1
	s_mov_b32 s28, exec_lo
	s_delay_alu instid0(VALU_DEP_1) | instskip(NEXT) | instid1(VALU_DEP_1)
	v_add3_u32 v3, v2, v3, 0x487ffff
	v_lshrrev_b32_e32 v3, 20, v3
	s_and_not1_saveexec_b32 s29, s29
	s_cbranch_execnz .LBB214_831
.LBB214_725:
	s_or_b32 exec_lo, exec_lo, s29
	v_mov_b32_e32 v6, 0
	s_and_saveexec_b32 s29, s28
.LBB214_726:
	v_lshrrev_b32_e32 v2, 24, v2
	s_delay_alu instid0(VALU_DEP_1)
	v_and_or_b32 v6, 0x80, v2, v3
.LBB214_727:
	s_or_b32 exec_lo, exec_lo, s29
.LBB214_728:
	s_delay_alu instid0(SALU_CYCLE_1)
	s_or_b32 exec_lo, exec_lo, s27
	global_store_b8 v[4:5], v6, off
.LBB214_729:
	s_mov_b32 s27, -1
.LBB214_730:
	s_mov_b32 s28, 0
.LBB214_731:
	s_delay_alu instid0(SALU_CYCLE_1)
	s_and_b32 vcc_lo, exec_lo, s28
	s_cbranch_vccz .LBB214_772
; %bb.732:
	s_cmp_gt_i32 s26, 22
	s_mov_b32 s28, -1
	s_cbranch_scc0 .LBB214_764
; %bb.733:
	s_cmp_lt_i32 s26, 24
	s_mov_b32 s27, -1
	s_cbranch_scc1 .LBB214_753
; %bb.734:
	s_cmp_gt_i32 s26, 24
	s_cbranch_scc0 .LBB214_742
; %bb.735:
	s_wait_xcnt 0x0
	v_cvt_f32_f64_e32 v2, v[0:1]
	v_mov_b32_e32 v6, 0x80
	s_mov_b32 s27, exec_lo
	s_delay_alu instid0(VALU_DEP_2) | instskip(NEXT) | instid1(VALU_DEP_1)
	v_and_b32_e32 v3, 0x7fffffff, v2
	v_cmpx_gt_u32_e32 0x47800000, v3
	s_cbranch_execz .LBB214_741
; %bb.736:
	v_cmp_lt_u32_e32 vcc_lo, 0x37ffffff, v3
	s_mov_b32 s28, 0
                                        ; implicit-def: $vgpr3
	s_and_saveexec_b32 s29, vcc_lo
	s_delay_alu instid0(SALU_CYCLE_1)
	s_xor_b32 s29, exec_lo, s29
	s_cbranch_execz .LBB214_833
; %bb.737:
	v_bfe_u32 v3, v2, 21, 1
	s_mov_b32 s28, exec_lo
	s_delay_alu instid0(VALU_DEP_1) | instskip(NEXT) | instid1(VALU_DEP_1)
	v_add3_u32 v3, v2, v3, 0x88fffff
	v_lshrrev_b32_e32 v3, 21, v3
	s_and_not1_saveexec_b32 s29, s29
	s_cbranch_execnz .LBB214_834
.LBB214_738:
	s_or_b32 exec_lo, exec_lo, s29
	v_mov_b32_e32 v6, 0
	s_and_saveexec_b32 s29, s28
.LBB214_739:
	v_lshrrev_b32_e32 v2, 24, v2
	s_delay_alu instid0(VALU_DEP_1)
	v_and_or_b32 v6, 0x80, v2, v3
.LBB214_740:
	s_or_b32 exec_lo, exec_lo, s29
.LBB214_741:
	s_delay_alu instid0(SALU_CYCLE_1)
	s_or_b32 exec_lo, exec_lo, s27
	s_mov_b32 s27, 0
	global_store_b8 v[4:5], v6, off
.LBB214_742:
	s_and_b32 vcc_lo, exec_lo, s27
	s_cbranch_vccz .LBB214_752
; %bb.743:
	s_wait_xcnt 0x0
	v_cvt_f32_f64_e32 v2, v[0:1]
	s_mov_b32 s27, exec_lo
                                        ; implicit-def: $vgpr3
	s_delay_alu instid0(VALU_DEP_1) | instskip(NEXT) | instid1(VALU_DEP_1)
	v_and_b32_e32 v6, 0x7fffffff, v2
	v_cmpx_gt_u32_e32 0x43f00000, v6
	s_xor_b32 s27, exec_lo, s27
	s_cbranch_execz .LBB214_749
; %bb.744:
	s_mov_b32 s28, exec_lo
                                        ; implicit-def: $vgpr3
	v_cmpx_lt_u32_e32 0x3c7fffff, v6
	s_xor_b32 s28, exec_lo, s28
; %bb.745:
	v_bfe_u32 v3, v2, 20, 1
	s_delay_alu instid0(VALU_DEP_1) | instskip(NEXT) | instid1(VALU_DEP_1)
	v_add3_u32 v3, v2, v3, 0x407ffff
	v_and_b32_e32 v6, 0xff00000, v3
	v_lshrrev_b32_e32 v3, 20, v3
	s_delay_alu instid0(VALU_DEP_2) | instskip(NEXT) | instid1(VALU_DEP_2)
	v_cmp_ne_u32_e32 vcc_lo, 0x7f00000, v6
	v_cndmask_b32_e32 v3, 0x7e, v3, vcc_lo
; %bb.746:
	s_and_not1_saveexec_b32 s28, s28
; %bb.747:
	v_add_f32_e64 v3, 0x46800000, |v2|
; %bb.748:
	s_or_b32 exec_lo, exec_lo, s28
                                        ; implicit-def: $vgpr6
.LBB214_749:
	s_and_not1_saveexec_b32 s27, s27
; %bb.750:
	v_mov_b32_e32 v3, 0x7f
	v_cmp_lt_u32_e32 vcc_lo, 0x7f800000, v6
	s_delay_alu instid0(VALU_DEP_2)
	v_cndmask_b32_e32 v3, 0x7e, v3, vcc_lo
; %bb.751:
	s_or_b32 exec_lo, exec_lo, s27
	v_lshrrev_b32_e32 v2, 24, v2
	s_delay_alu instid0(VALU_DEP_1)
	v_and_or_b32 v2, 0x80, v2, v3
	global_store_b8 v[4:5], v2, off
.LBB214_752:
	s_mov_b32 s27, 0
.LBB214_753:
	s_delay_alu instid0(SALU_CYCLE_1)
	s_and_not1_b32 vcc_lo, exec_lo, s27
	s_cbranch_vccnz .LBB214_763
; %bb.754:
	s_wait_xcnt 0x0
	v_cvt_f32_f64_e32 v2, v[0:1]
	s_mov_b32 s27, exec_lo
                                        ; implicit-def: $vgpr3
	s_delay_alu instid0(VALU_DEP_1) | instskip(NEXT) | instid1(VALU_DEP_1)
	v_and_b32_e32 v6, 0x7fffffff, v2
	v_cmpx_gt_u32_e32 0x47800000, v6
	s_xor_b32 s27, exec_lo, s27
	s_cbranch_execz .LBB214_760
; %bb.755:
	s_mov_b32 s28, exec_lo
                                        ; implicit-def: $vgpr3
	v_cmpx_lt_u32_e32 0x387fffff, v6
	s_xor_b32 s28, exec_lo, s28
; %bb.756:
	v_bfe_u32 v3, v2, 21, 1
	s_delay_alu instid0(VALU_DEP_1) | instskip(NEXT) | instid1(VALU_DEP_1)
	v_add3_u32 v3, v2, v3, 0x80fffff
	v_lshrrev_b32_e32 v3, 21, v3
; %bb.757:
	s_and_not1_saveexec_b32 s28, s28
; %bb.758:
	v_add_f32_e64 v3, 0x43000000, |v2|
; %bb.759:
	s_or_b32 exec_lo, exec_lo, s28
                                        ; implicit-def: $vgpr6
.LBB214_760:
	s_and_not1_saveexec_b32 s27, s27
; %bb.761:
	v_mov_b32_e32 v3, 0x7f
	v_cmp_lt_u32_e32 vcc_lo, 0x7f800000, v6
	s_delay_alu instid0(VALU_DEP_2)
	v_cndmask_b32_e32 v3, 0x7c, v3, vcc_lo
; %bb.762:
	s_or_b32 exec_lo, exec_lo, s27
	v_lshrrev_b32_e32 v2, 24, v2
	s_delay_alu instid0(VALU_DEP_1)
	v_and_or_b32 v2, 0x80, v2, v3
	global_store_b8 v[4:5], v2, off
.LBB214_763:
	s_mov_b32 s28, 0
	s_mov_b32 s27, -1
.LBB214_764:
	s_and_not1_b32 vcc_lo, exec_lo, s28
	s_cbranch_vccnz .LBB214_772
; %bb.765:
	s_cmp_gt_i32 s26, 14
	s_mov_b32 s28, -1
	s_cbranch_scc0 .LBB214_769
; %bb.766:
	s_cmp_eq_u32 s26, 15
	s_mov_b32 s0, -1
	s_cbranch_scc0 .LBB214_768
; %bb.767:
	s_wait_xcnt 0x0
	v_cvt_f32_f64_e32 v2, v[0:1]
	s_mov_b32 s27, -1
	s_mov_b32 s0, 0
	s_delay_alu instid0(VALU_DEP_1) | instskip(SKIP_1) | instid1(VALU_DEP_2)
	v_bfe_u32 v3, v2, 16, 1
	v_cmp_o_f32_e32 vcc_lo, v2, v2
	v_add3_u32 v3, v2, v3, 0x7fff
	s_delay_alu instid0(VALU_DEP_1) | instskip(NEXT) | instid1(VALU_DEP_1)
	v_lshrrev_b32_e32 v3, 16, v3
	v_cndmask_b32_e32 v2, 0x7fc0, v3, vcc_lo
	global_store_b16 v[4:5], v2, off
.LBB214_768:
	s_mov_b32 s28, 0
.LBB214_769:
	s_delay_alu instid0(SALU_CYCLE_1)
	s_and_b32 vcc_lo, exec_lo, s28
	s_cbranch_vccz .LBB214_772
; %bb.770:
	s_cmp_eq_u32 s26, 11
	s_mov_b32 s0, -1
	s_cbranch_scc0 .LBB214_772
; %bb.771:
	v_cmp_neq_f64_e32 vcc_lo, 0, v[0:1]
	s_mov_b32 s27, -1
	s_mov_b32 s0, 0
	s_wait_xcnt 0x0
	v_cndmask_b32_e64 v2, 0, 1, vcc_lo
	global_store_b8 v[4:5], v2, off
.LBB214_772:
	s_mov_b32 s26, 0
.LBB214_773:
	s_delay_alu instid0(SALU_CYCLE_1)
	s_and_b32 vcc_lo, exec_lo, s26
	s_cbranch_vccz .LBB214_812
; %bb.774:
	s_and_b32 s25, 0xffff, s25
	s_mov_b32 s26, -1
	s_cmp_lt_i32 s25, 5
	s_cbranch_scc1 .LBB214_795
; %bb.775:
	s_cmp_lt_i32 s25, 8
	s_cbranch_scc1 .LBB214_785
; %bb.776:
	;; [unrolled: 3-line block ×3, first 2 shown]
	s_cmp_gt_i32 s25, 9
	s_cbranch_scc0 .LBB214_779
; %bb.778:
	s_wait_xcnt 0x0
	v_mov_b32_e32 v2, 0
	s_mov_b32 s26, 0
	s_delay_alu instid0(VALU_DEP_1)
	v_mov_b32_e32 v3, v2
	global_store_b128 v[4:5], v[0:3], off
.LBB214_779:
	s_and_not1_b32 vcc_lo, exec_lo, s26
	s_cbranch_vccnz .LBB214_781
; %bb.780:
	s_wait_xcnt 0x0
	v_cvt_f32_f64_e32 v2, v[0:1]
	v_mov_b32_e32 v3, 0
	global_store_b64 v[4:5], v[2:3], off
.LBB214_781:
	s_mov_b32 s26, 0
.LBB214_782:
	s_delay_alu instid0(SALU_CYCLE_1)
	s_and_not1_b32 vcc_lo, exec_lo, s26
	s_cbranch_vccnz .LBB214_784
; %bb.783:
	s_wait_xcnt 0x0
	v_and_or_b32 v2, 0x1ff, v1, v0
	v_lshrrev_b32_e32 v3, 8, v1
	v_bfe_u32 v6, v1, 20, 11
	s_delay_alu instid0(VALU_DEP_3) | instskip(NEXT) | instid1(VALU_DEP_2)
	v_cmp_ne_u32_e32 vcc_lo, 0, v2
	v_sub_nc_u32_e32 v7, 0x3f1, v6
	v_cndmask_b32_e64 v2, 0, 1, vcc_lo
	s_delay_alu instid0(VALU_DEP_1) | instskip(NEXT) | instid1(VALU_DEP_3)
	v_and_or_b32 v2, 0xffe, v3, v2
	v_med3_i32 v3, v7, 0, 13
	s_delay_alu instid0(VALU_DEP_2) | instskip(NEXT) | instid1(VALU_DEP_1)
	v_or_b32_e32 v7, 0x1000, v2
	v_lshrrev_b32_e32 v8, v3, v7
	s_delay_alu instid0(VALU_DEP_1) | instskip(NEXT) | instid1(VALU_DEP_1)
	v_lshlrev_b32_e32 v3, v3, v8
	v_cmp_ne_u32_e32 vcc_lo, v3, v7
	v_cndmask_b32_e64 v3, 0, 1, vcc_lo
	s_delay_alu instid0(VALU_DEP_1) | instskip(SKIP_1) | instid1(VALU_DEP_1)
	v_or_b32_e32 v3, v8, v3
	v_add_nc_u32_e32 v6, 0xfffffc10, v6
	v_lshl_or_b32 v7, v6, 12, v2
	v_cmp_gt_i32_e32 vcc_lo, 1, v6
	s_delay_alu instid0(VALU_DEP_2) | instskip(NEXT) | instid1(VALU_DEP_1)
	v_cndmask_b32_e32 v3, v7, v3, vcc_lo
	v_dual_lshrrev_b32 v3, 2, v3 :: v_dual_bitop2_b32 v7, 7, v3 bitop3:0x40
	s_delay_alu instid0(VALU_DEP_1) | instskip(SKIP_4) | instid1(VALU_DEP_2)
	v_cmp_lt_i32_e32 vcc_lo, 5, v7
	v_cndmask_b32_e64 v8, 0, 1, vcc_lo
	v_cmp_eq_u32_e32 vcc_lo, 3, v7
	v_cndmask_b32_e64 v7, 0, 1, vcc_lo
	v_cmp_ne_u32_e32 vcc_lo, 0, v2
	v_or_b32_e32 v7, v7, v8
	s_delay_alu instid0(VALU_DEP_1) | instskip(NEXT) | instid1(VALU_DEP_1)
	v_dual_mov_b32 v8, 0x7e00 :: v_dual_add_nc_u32 v3, v3, v7
	v_cndmask_b32_e32 v2, 0x7c00, v8, vcc_lo
	v_cmp_gt_i32_e32 vcc_lo, 31, v6
	v_lshrrev_b32_e32 v7, 16, v1
	s_delay_alu instid0(VALU_DEP_4) | instskip(SKIP_1) | instid1(VALU_DEP_2)
	v_cndmask_b32_e32 v3, 0x7c00, v3, vcc_lo
	v_cmp_eq_u32_e32 vcc_lo, 0x40f, v6
	v_cndmask_b32_e32 v2, v3, v2, vcc_lo
	s_delay_alu instid0(VALU_DEP_4) | instskip(NEXT) | instid1(VALU_DEP_1)
	v_and_b32_e32 v3, 0x8000, v7
	v_bitop3_b32 v2, v3, 0xffff, v2 bitop3:0xc8
	global_store_b32 v[4:5], v2, off
.LBB214_784:
	s_mov_b32 s26, 0
.LBB214_785:
	s_delay_alu instid0(SALU_CYCLE_1)
	s_and_not1_b32 vcc_lo, exec_lo, s26
	s_cbranch_vccnz .LBB214_794
; %bb.786:
	s_cmp_lt_i32 s25, 6
	s_mov_b32 s26, -1
	s_cbranch_scc1 .LBB214_792
; %bb.787:
	s_cmp_gt_i32 s25, 6
	s_cbranch_scc0 .LBB214_789
; %bb.788:
	s_mov_b32 s26, 0
	global_store_b64 v[4:5], v[0:1], off
.LBB214_789:
	s_and_not1_b32 vcc_lo, exec_lo, s26
	s_cbranch_vccnz .LBB214_791
; %bb.790:
	s_wait_xcnt 0x0
	v_cvt_f32_f64_e32 v2, v[0:1]
	global_store_b32 v[4:5], v2, off
.LBB214_791:
	s_mov_b32 s26, 0
.LBB214_792:
	s_delay_alu instid0(SALU_CYCLE_1)
	s_and_not1_b32 vcc_lo, exec_lo, s26
	s_cbranch_vccnz .LBB214_794
; %bb.793:
	s_wait_xcnt 0x0
	v_and_or_b32 v2, 0x1ff, v1, v0
	v_lshrrev_b32_e32 v3, 8, v1
	v_bfe_u32 v6, v1, 20, 11
	s_delay_alu instid0(VALU_DEP_3) | instskip(NEXT) | instid1(VALU_DEP_2)
	v_cmp_ne_u32_e32 vcc_lo, 0, v2
	v_sub_nc_u32_e32 v7, 0x3f1, v6
	v_cndmask_b32_e64 v2, 0, 1, vcc_lo
	s_delay_alu instid0(VALU_DEP_1) | instskip(NEXT) | instid1(VALU_DEP_3)
	v_and_or_b32 v2, 0xffe, v3, v2
	v_med3_i32 v3, v7, 0, 13
	s_delay_alu instid0(VALU_DEP_2) | instskip(NEXT) | instid1(VALU_DEP_1)
	v_or_b32_e32 v7, 0x1000, v2
	v_lshrrev_b32_e32 v8, v3, v7
	s_delay_alu instid0(VALU_DEP_1) | instskip(NEXT) | instid1(VALU_DEP_1)
	v_lshlrev_b32_e32 v3, v3, v8
	v_cmp_ne_u32_e32 vcc_lo, v3, v7
	v_cndmask_b32_e64 v3, 0, 1, vcc_lo
	s_delay_alu instid0(VALU_DEP_1) | instskip(SKIP_1) | instid1(VALU_DEP_1)
	v_or_b32_e32 v3, v8, v3
	v_add_nc_u32_e32 v6, 0xfffffc10, v6
	v_lshl_or_b32 v7, v6, 12, v2
	v_cmp_gt_i32_e32 vcc_lo, 1, v6
	s_delay_alu instid0(VALU_DEP_2) | instskip(NEXT) | instid1(VALU_DEP_1)
	v_cndmask_b32_e32 v3, v7, v3, vcc_lo
	v_dual_lshrrev_b32 v3, 2, v3 :: v_dual_bitop2_b32 v7, 7, v3 bitop3:0x40
	s_delay_alu instid0(VALU_DEP_1) | instskip(SKIP_4) | instid1(VALU_DEP_2)
	v_cmp_lt_i32_e32 vcc_lo, 5, v7
	v_cndmask_b32_e64 v8, 0, 1, vcc_lo
	v_cmp_eq_u32_e32 vcc_lo, 3, v7
	v_cndmask_b32_e64 v7, 0, 1, vcc_lo
	v_cmp_ne_u32_e32 vcc_lo, 0, v2
	v_or_b32_e32 v7, v7, v8
	s_delay_alu instid0(VALU_DEP_1) | instskip(NEXT) | instid1(VALU_DEP_1)
	v_dual_mov_b32 v8, 0x7e00 :: v_dual_add_nc_u32 v3, v3, v7
	v_cndmask_b32_e32 v2, 0x7c00, v8, vcc_lo
	v_cmp_gt_i32_e32 vcc_lo, 31, v6
	s_delay_alu instid0(VALU_DEP_3) | instskip(SKIP_1) | instid1(VALU_DEP_2)
	v_cndmask_b32_e32 v3, 0x7c00, v3, vcc_lo
	v_cmp_eq_u32_e32 vcc_lo, 0x40f, v6
	v_dual_cndmask_b32 v2, v3, v2 :: v_dual_lshrrev_b32 v3, 16, v1
	s_delay_alu instid0(VALU_DEP_1)
	v_and_or_b32 v2, 0x8000, v3, v2
	global_store_b16 v[4:5], v2, off
.LBB214_794:
	s_mov_b32 s26, 0
.LBB214_795:
	s_delay_alu instid0(SALU_CYCLE_1)
	s_and_not1_b32 vcc_lo, exec_lo, s26
	s_cbranch_vccnz .LBB214_811
; %bb.796:
	s_cmp_lt_i32 s25, 2
	s_mov_b32 s26, -1
	s_cbranch_scc1 .LBB214_806
; %bb.797:
	s_cmp_lt_i32 s25, 3
	s_cbranch_scc1 .LBB214_803
; %bb.798:
	s_cmp_gt_i32 s25, 3
	s_cbranch_scc0 .LBB214_800
; %bb.799:
	s_wait_xcnt 0x0
	v_trunc_f64_e32 v[2:3], v[0:1]
	s_mov_b32 s26, 0
	s_delay_alu instid0(VALU_DEP_1) | instskip(NEXT) | instid1(VALU_DEP_1)
	v_ldexp_f64 v[6:7], v[2:3], 0xffffffe0
	v_floor_f64_e32 v[6:7], v[6:7]
	s_delay_alu instid0(VALU_DEP_1) | instskip(SKIP_1) | instid1(VALU_DEP_2)
	v_fmamk_f64 v[2:3], v[6:7], 0xc1f00000, v[2:3]
	v_cvt_i32_f64_e32 v7, v[6:7]
	v_cvt_u32_f64_e32 v6, v[2:3]
	global_store_b64 v[4:5], v[6:7], off
.LBB214_800:
	s_and_not1_b32 vcc_lo, exec_lo, s26
	s_cbranch_vccnz .LBB214_802
; %bb.801:
	s_wait_xcnt 0x0
	v_cvt_i32_f64_e32 v2, v[0:1]
	global_store_b32 v[4:5], v2, off
.LBB214_802:
	s_mov_b32 s26, 0
.LBB214_803:
	s_delay_alu instid0(SALU_CYCLE_1)
	s_and_not1_b32 vcc_lo, exec_lo, s26
	s_cbranch_vccnz .LBB214_805
; %bb.804:
	s_wait_xcnt 0x0
	v_cvt_i32_f64_e32 v2, v[0:1]
	global_store_b16 v[4:5], v2, off
.LBB214_805:
	s_mov_b32 s26, 0
.LBB214_806:
	s_delay_alu instid0(SALU_CYCLE_1)
	s_and_not1_b32 vcc_lo, exec_lo, s26
	s_cbranch_vccnz .LBB214_811
; %bb.807:
	s_cmp_gt_i32 s25, 0
	s_mov_b32 s25, -1
	s_cbranch_scc0 .LBB214_809
; %bb.808:
	s_wait_xcnt 0x0
	v_cvt_i32_f64_e32 v2, v[0:1]
	s_mov_b32 s25, 0
	global_store_b8 v[4:5], v2, off
.LBB214_809:
	s_and_not1_b32 vcc_lo, exec_lo, s25
	s_cbranch_vccnz .LBB214_811
; %bb.810:
	s_wait_xcnt 0x0
	v_trunc_f64_e32 v[0:1], v[0:1]
	s_delay_alu instid0(VALU_DEP_1) | instskip(NEXT) | instid1(VALU_DEP_1)
	v_ldexp_f64 v[2:3], v[0:1], 0xffffffe0
	v_floor_f64_e32 v[2:3], v[2:3]
	s_delay_alu instid0(VALU_DEP_1) | instskip(NEXT) | instid1(VALU_DEP_1)
	v_fmamk_f64 v[0:1], v[2:3], 0xc1f00000, v[0:1]
	v_cvt_u32_f64_e32 v0, v[0:1]
	global_store_b8 v[4:5], v0, off
.LBB214_811:
	s_mov_b32 s27, -1
.LBB214_812:
	s_delay_alu instid0(SALU_CYCLE_1)
	s_and_not1_b32 vcc_lo, exec_lo, s27
	s_cbranch_vccnz .LBB214_814
; %bb.813:
	v_add_nc_u32_e32 v14, 0x80, v14
	s_mov_b32 s25, -1
	s_branch .LBB214_816
.LBB214_814:
	s_mov_b32 s25, 0
.LBB214_815:
                                        ; implicit-def: $vgpr14
.LBB214_816:
	s_and_not1_b32 s26, s21, exec_lo
	s_and_b32 s0, s0, exec_lo
	s_and_not1_b32 s27, s20, exec_lo
	s_and_b32 s28, s24, exec_lo
	s_or_b32 s24, s26, s0
	s_or_b32 s0, s27, s28
	s_or_not1_b32 s25, s25, exec_lo
.LBB214_817:
	s_wait_xcnt 0x0
	s_or_b32 exec_lo, exec_lo, s23
	s_mov_b32 s26, 0
	s_mov_b32 s27, 0
	s_mov_b32 s28, 0
                                        ; implicit-def: $vgpr2_vgpr3
                                        ; implicit-def: $vgpr0_vgpr1
	s_and_saveexec_b32 s23, s25
	s_cbranch_execz .LBB214_902
; %bb.818:
	v_cmp_gt_i32_e32 vcc_lo, s17, v14
	s_mov_b32 s25, 0
	s_mov_b32 s26, s0
	;; [unrolled: 1-line block ×3, first 2 shown]
                                        ; implicit-def: $vgpr2_vgpr3
                                        ; implicit-def: $vgpr0_vgpr1
	s_and_saveexec_b32 s17, vcc_lo
	s_cbranch_execz .LBB214_901
; %bb.819:
	s_wait_loadcnt 0x0
	v_mul_lo_u32 v0, v14, s13
	s_and_b32 s25, 0xffff, s3
	s_delay_alu instid0(SALU_CYCLE_1) | instskip(NEXT) | instid1(VALU_DEP_1)
	s_cmp_lt_i32 s25, 11
	v_ashrrev_i32_e32 v1, 31, v0
	s_delay_alu instid0(VALU_DEP_1)
	v_add_nc_u64_e32 v[2:3], s[6:7], v[0:1]
	s_cbranch_scc1 .LBB214_826
; %bb.820:
	s_cmp_gt_i32 s25, 25
	s_cbranch_scc0 .LBB214_827
; %bb.821:
	s_cmp_gt_i32 s25, 28
	s_cbranch_scc0 .LBB214_828
	;; [unrolled: 3-line block ×4, first 2 shown]
; %bb.824:
	s_cmp_eq_u32 s25, 46
	s_cbranch_scc0 .LBB214_835
; %bb.825:
	global_load_b32 v0, v[2:3], off
	s_mov_b32 s26, 0
	s_mov_b32 s28, -1
	s_wait_loadcnt 0x0
	v_lshlrev_b32_e32 v0, 16, v0
	s_delay_alu instid0(VALU_DEP_1)
	v_cvt_f64_f32_e32 v[0:1], v0
	s_branch .LBB214_837
.LBB214_826:
	s_mov_b32 s25, -1
	s_mov_b32 s26, s0
                                        ; implicit-def: $vgpr0_vgpr1
	s_branch .LBB214_900
.LBB214_827:
	s_mov_b32 s29, -1
	s_mov_b32 s26, s0
                                        ; implicit-def: $vgpr0_vgpr1
	s_branch .LBB214_866
.LBB214_828:
	s_mov_b32 s29, -1
	s_mov_b32 s26, s0
                                        ; implicit-def: $vgpr0_vgpr1
	s_branch .LBB214_847
.LBB214_829:
	s_mov_b32 s29, -1
	s_mov_b32 s26, s0
                                        ; implicit-def: $vgpr0_vgpr1
	s_branch .LBB214_842
.LBB214_830:
	s_and_not1_saveexec_b32 s29, s29
	s_cbranch_execz .LBB214_725
.LBB214_831:
	v_add_f32_e64 v3, 0x46000000, |v2|
	s_and_not1_b32 s28, s28, exec_lo
	s_delay_alu instid0(VALU_DEP_1) | instskip(NEXT) | instid1(VALU_DEP_1)
	v_and_b32_e32 v3, 0xff, v3
	v_cmp_ne_u32_e32 vcc_lo, 0, v3
	s_and_b32 s30, vcc_lo, exec_lo
	s_delay_alu instid0(SALU_CYCLE_1)
	s_or_b32 s28, s28, s30
	s_or_b32 exec_lo, exec_lo, s29
	v_mov_b32_e32 v6, 0
	s_and_saveexec_b32 s29, s28
	s_cbranch_execnz .LBB214_726
	s_branch .LBB214_727
.LBB214_832:
	s_mov_b32 s29, -1
	s_mov_b32 s26, s0
	s_branch .LBB214_836
.LBB214_833:
	s_and_not1_saveexec_b32 s29, s29
	s_cbranch_execz .LBB214_738
.LBB214_834:
	v_add_f32_e64 v3, 0x42800000, |v2|
	s_and_not1_b32 s28, s28, exec_lo
	s_delay_alu instid0(VALU_DEP_1) | instskip(NEXT) | instid1(VALU_DEP_1)
	v_and_b32_e32 v3, 0xff, v3
	v_cmp_ne_u32_e32 vcc_lo, 0, v3
	s_and_b32 s30, vcc_lo, exec_lo
	s_delay_alu instid0(SALU_CYCLE_1)
	s_or_b32 s28, s28, s30
	s_or_b32 exec_lo, exec_lo, s29
	v_mov_b32_e32 v6, 0
	s_and_saveexec_b32 s29, s28
	s_cbranch_execnz .LBB214_739
	s_branch .LBB214_740
.LBB214_835:
	s_mov_b32 s26, -1
.LBB214_836:
                                        ; implicit-def: $vgpr0_vgpr1
.LBB214_837:
	s_and_b32 vcc_lo, exec_lo, s29
	s_cbranch_vccz .LBB214_841
; %bb.838:
	s_cmp_eq_u32 s25, 44
	s_cbranch_scc0 .LBB214_840
; %bb.839:
	global_load_u8 v4, v[2:3], off
	s_mov_b32 s26, 0
	s_mov_b32 s28, -1
	s_wait_loadcnt 0x0
	v_cmp_ne_u32_e32 vcc_lo, 0xff, v4
	v_lshlrev_b32_e32 v0, 23, v4
	s_delay_alu instid0(VALU_DEP_1) | instskip(NEXT) | instid1(VALU_DEP_1)
	v_cvt_f64_f32_e32 v[0:1], v0
	v_cndmask_b32_e32 v0, 0x20000000, v0, vcc_lo
	s_delay_alu instid0(VALU_DEP_2) | instskip(SKIP_1) | instid1(VALU_DEP_2)
	v_cndmask_b32_e32 v1, 0x7ff80000, v1, vcc_lo
	v_cmp_ne_u32_e32 vcc_lo, 0, v4
	v_cndmask_b32_e32 v1, 0x38000000, v1, vcc_lo
	s_delay_alu instid0(VALU_DEP_4)
	v_cndmask_b32_e32 v0, 0, v0, vcc_lo
	s_branch .LBB214_841
.LBB214_840:
	s_mov_b32 s26, -1
                                        ; implicit-def: $vgpr0_vgpr1
.LBB214_841:
	s_mov_b32 s29, 0
.LBB214_842:
	s_delay_alu instid0(SALU_CYCLE_1)
	s_and_b32 vcc_lo, exec_lo, s29
	s_cbranch_vccz .LBB214_846
; %bb.843:
	s_cmp_eq_u32 s25, 29
	s_cbranch_scc0 .LBB214_845
; %bb.844:
	global_load_b64 v[0:1], v[2:3], off
	s_mov_b32 s26, 0
	s_mov_b32 s28, -1
	s_mov_b32 s29, 0
	s_wait_loadcnt 0x0
	v_cvt_f64_u32_e32 v[4:5], v1
	v_cvt_f64_u32_e32 v[0:1], v0
	s_delay_alu instid0(VALU_DEP_2) | instskip(NEXT) | instid1(VALU_DEP_1)
	v_ldexp_f64 v[4:5], v[4:5], 32
	v_add_f64_e32 v[0:1], v[4:5], v[0:1]
	s_branch .LBB214_847
.LBB214_845:
	s_mov_b32 s26, -1
                                        ; implicit-def: $vgpr0_vgpr1
.LBB214_846:
	s_mov_b32 s29, 0
.LBB214_847:
	s_delay_alu instid0(SALU_CYCLE_1)
	s_and_b32 vcc_lo, exec_lo, s29
	s_cbranch_vccz .LBB214_865
; %bb.848:
	s_cmp_lt_i32 s25, 27
	s_cbranch_scc1 .LBB214_851
; %bb.849:
	s_cmp_gt_i32 s25, 27
	s_cbranch_scc0 .LBB214_852
; %bb.850:
	global_load_b32 v0, v[2:3], off
	s_mov_b32 s28, 0
	s_wait_loadcnt 0x0
	v_cvt_f64_u32_e32 v[0:1], v0
	s_branch .LBB214_853
.LBB214_851:
	s_mov_b32 s28, -1
                                        ; implicit-def: $vgpr0_vgpr1
	s_branch .LBB214_856
.LBB214_852:
	s_mov_b32 s28, -1
                                        ; implicit-def: $vgpr0_vgpr1
.LBB214_853:
	s_delay_alu instid0(SALU_CYCLE_1)
	s_and_not1_b32 vcc_lo, exec_lo, s28
	s_cbranch_vccnz .LBB214_855
; %bb.854:
	global_load_u16 v0, v[2:3], off
	s_wait_loadcnt 0x0
	v_cvt_f64_u32_e32 v[0:1], v0
.LBB214_855:
	s_mov_b32 s28, 0
.LBB214_856:
	s_delay_alu instid0(SALU_CYCLE_1)
	s_and_not1_b32 vcc_lo, exec_lo, s28
	s_cbranch_vccnz .LBB214_864
; %bb.857:
	global_load_u8 v4, v[2:3], off
	s_mov_b32 s28, 0
	s_mov_b32 s29, exec_lo
	s_wait_loadcnt 0x0
	v_cmpx_lt_i16_e32 0x7f, v4
	s_xor_b32 s29, exec_lo, s29
	s_cbranch_execz .LBB214_878
; %bb.858:
	s_mov_b32 s28, -1
	s_mov_b32 s30, exec_lo
	v_cmpx_eq_u16_e32 0x80, v4
; %bb.859:
	s_xor_b32 s28, exec_lo, -1
; %bb.860:
	s_or_b32 exec_lo, exec_lo, s30
	s_delay_alu instid0(SALU_CYCLE_1)
	s_and_b32 s28, s28, exec_lo
	s_or_saveexec_b32 s29, s29
	v_mov_b64_e32 v[0:1], 0x7ff8000020000000
	s_xor_b32 exec_lo, exec_lo, s29
	s_cbranch_execnz .LBB214_879
.LBB214_861:
	s_or_b32 exec_lo, exec_lo, s29
	s_and_saveexec_b32 s29, s28
	s_cbranch_execz .LBB214_863
.LBB214_862:
	v_and_b32_e32 v0, 0xffff, v4
	s_delay_alu instid0(VALU_DEP_1) | instskip(SKIP_1) | instid1(VALU_DEP_2)
	v_and_b32_e32 v1, 7, v0
	v_bfe_u32 v7, v0, 3, 4
	v_clz_i32_u32_e32 v5, v1
	s_delay_alu instid0(VALU_DEP_2) | instskip(NEXT) | instid1(VALU_DEP_2)
	v_cmp_eq_u32_e32 vcc_lo, 0, v7
	v_min_u32_e32 v5, 32, v5
	s_delay_alu instid0(VALU_DEP_1) | instskip(NEXT) | instid1(VALU_DEP_1)
	v_subrev_nc_u32_e32 v6, 28, v5
	v_dual_lshlrev_b32 v0, v6, v0 :: v_dual_sub_nc_u32 v5, 29, v5
	s_delay_alu instid0(VALU_DEP_1) | instskip(NEXT) | instid1(VALU_DEP_2)
	v_and_b32_e32 v0, 7, v0
	v_dual_cndmask_b32 v5, v7, v5 :: v_dual_lshlrev_b32 v4, 24, v4
	s_delay_alu instid0(VALU_DEP_2) | instskip(NEXT) | instid1(VALU_DEP_2)
	v_cndmask_b32_e32 v0, v1, v0, vcc_lo
	v_and_b32_e32 v1, 0x80000000, v4
	s_delay_alu instid0(VALU_DEP_3) | instskip(NEXT) | instid1(VALU_DEP_3)
	v_lshl_add_u32 v4, v5, 23, 0x3b800000
	v_lshlrev_b32_e32 v0, 20, v0
	s_delay_alu instid0(VALU_DEP_1) | instskip(NEXT) | instid1(VALU_DEP_1)
	v_or3_b32 v0, v1, v4, v0
	v_cvt_f64_f32_e32 v[0:1], v0
.LBB214_863:
	s_or_b32 exec_lo, exec_lo, s29
.LBB214_864:
	s_mov_b32 s28, -1
.LBB214_865:
	s_mov_b32 s29, 0
.LBB214_866:
	s_delay_alu instid0(SALU_CYCLE_1)
	s_and_b32 vcc_lo, exec_lo, s29
	s_cbranch_vccz .LBB214_899
; %bb.867:
	s_cmp_gt_i32 s25, 22
	s_cbranch_scc0 .LBB214_877
; %bb.868:
	s_cmp_lt_i32 s25, 24
	s_cbranch_scc1 .LBB214_880
; %bb.869:
	s_cmp_gt_i32 s25, 24
	s_cbranch_scc0 .LBB214_881
; %bb.870:
	global_load_u8 v4, v[2:3], off
	s_mov_b32 s28, exec_lo
	s_wait_loadcnt 0x0
	v_cmpx_lt_i16_e32 0x7f, v4
	s_xor_b32 s28, exec_lo, s28
	s_cbranch_execz .LBB214_893
; %bb.871:
	s_mov_b32 s27, -1
	s_mov_b32 s29, exec_lo
	v_cmpx_eq_u16_e32 0x80, v4
; %bb.872:
	s_xor_b32 s27, exec_lo, -1
; %bb.873:
	s_or_b32 exec_lo, exec_lo, s29
	s_delay_alu instid0(SALU_CYCLE_1)
	s_and_b32 s27, s27, exec_lo
	s_or_saveexec_b32 s28, s28
	v_mov_b64_e32 v[0:1], 0x7ff8000020000000
	s_xor_b32 exec_lo, exec_lo, s28
	s_cbranch_execnz .LBB214_894
.LBB214_874:
	s_or_b32 exec_lo, exec_lo, s28
	s_and_saveexec_b32 s28, s27
	s_cbranch_execz .LBB214_876
.LBB214_875:
	v_and_b32_e32 v0, 0xffff, v4
	s_delay_alu instid0(VALU_DEP_1) | instskip(SKIP_1) | instid1(VALU_DEP_2)
	v_and_b32_e32 v1, 3, v0
	v_bfe_u32 v7, v0, 2, 5
	v_clz_i32_u32_e32 v5, v1
	s_delay_alu instid0(VALU_DEP_2) | instskip(NEXT) | instid1(VALU_DEP_2)
	v_cmp_eq_u32_e32 vcc_lo, 0, v7
	v_min_u32_e32 v5, 32, v5
	s_delay_alu instid0(VALU_DEP_1) | instskip(NEXT) | instid1(VALU_DEP_1)
	v_subrev_nc_u32_e32 v6, 29, v5
	v_dual_lshlrev_b32 v0, v6, v0 :: v_dual_sub_nc_u32 v5, 30, v5
	s_delay_alu instid0(VALU_DEP_1) | instskip(NEXT) | instid1(VALU_DEP_2)
	v_and_b32_e32 v0, 3, v0
	v_dual_cndmask_b32 v5, v7, v5 :: v_dual_lshlrev_b32 v4, 24, v4
	s_delay_alu instid0(VALU_DEP_2) | instskip(NEXT) | instid1(VALU_DEP_2)
	v_cndmask_b32_e32 v0, v1, v0, vcc_lo
	v_and_b32_e32 v1, 0x80000000, v4
	s_delay_alu instid0(VALU_DEP_3) | instskip(NEXT) | instid1(VALU_DEP_3)
	v_lshl_add_u32 v4, v5, 23, 0x37800000
	v_lshlrev_b32_e32 v0, 21, v0
	s_delay_alu instid0(VALU_DEP_1) | instskip(NEXT) | instid1(VALU_DEP_1)
	v_or3_b32 v0, v1, v4, v0
	v_cvt_f64_f32_e32 v[0:1], v0
.LBB214_876:
	s_or_b32 exec_lo, exec_lo, s28
	s_mov_b32 s27, 0
	s_branch .LBB214_882
.LBB214_877:
	s_mov_b32 s27, -1
                                        ; implicit-def: $vgpr0_vgpr1
	s_branch .LBB214_888
.LBB214_878:
	s_or_saveexec_b32 s29, s29
	v_mov_b64_e32 v[0:1], 0x7ff8000020000000
	s_xor_b32 exec_lo, exec_lo, s29
	s_cbranch_execz .LBB214_861
.LBB214_879:
	v_cmp_ne_u16_e32 vcc_lo, 0, v4
	v_mov_b64_e32 v[0:1], 0
	s_and_not1_b32 s28, s28, exec_lo
	s_and_b32 s30, vcc_lo, exec_lo
	s_delay_alu instid0(SALU_CYCLE_1)
	s_or_b32 s28, s28, s30
	s_or_b32 exec_lo, exec_lo, s29
	s_and_saveexec_b32 s29, s28
	s_cbranch_execnz .LBB214_862
	s_branch .LBB214_863
.LBB214_880:
	s_mov_b32 s27, -1
                                        ; implicit-def: $vgpr0_vgpr1
	s_branch .LBB214_885
.LBB214_881:
	s_mov_b32 s27, -1
                                        ; implicit-def: $vgpr0_vgpr1
.LBB214_882:
	s_delay_alu instid0(SALU_CYCLE_1)
	s_and_b32 vcc_lo, exec_lo, s27
	s_cbranch_vccz .LBB214_884
; %bb.883:
	global_load_u8 v0, v[2:3], off
	s_wait_loadcnt 0x0
	v_lshlrev_b32_e32 v0, 24, v0
	s_delay_alu instid0(VALU_DEP_1) | instskip(NEXT) | instid1(VALU_DEP_1)
	v_and_b32_e32 v1, 0x7f000000, v0
	v_clz_i32_u32_e32 v4, v1
	v_cmp_ne_u32_e32 vcc_lo, 0, v1
	v_add_nc_u32_e32 v6, 0x1000000, v1
	s_delay_alu instid0(VALU_DEP_3) | instskip(NEXT) | instid1(VALU_DEP_1)
	v_min_u32_e32 v4, 32, v4
	v_sub_nc_u32_e64 v4, v4, 4 clamp
	s_delay_alu instid0(VALU_DEP_1) | instskip(NEXT) | instid1(VALU_DEP_1)
	v_dual_lshlrev_b32 v5, v4, v1 :: v_dual_lshlrev_b32 v4, 23, v4
	v_lshrrev_b32_e32 v5, 4, v5
	s_delay_alu instid0(VALU_DEP_1) | instskip(NEXT) | instid1(VALU_DEP_1)
	v_dual_sub_nc_u32 v4, v5, v4 :: v_dual_ashrrev_i32 v5, 8, v6
	v_add_nc_u32_e32 v4, 0x3c000000, v4
	s_delay_alu instid0(VALU_DEP_1) | instskip(NEXT) | instid1(VALU_DEP_1)
	v_and_or_b32 v4, 0x7f800000, v5, v4
	v_cndmask_b32_e32 v1, 0, v4, vcc_lo
	s_delay_alu instid0(VALU_DEP_1) | instskip(NEXT) | instid1(VALU_DEP_1)
	v_and_or_b32 v0, 0x80000000, v0, v1
	v_cvt_f64_f32_e32 v[0:1], v0
.LBB214_884:
	s_mov_b32 s27, 0
.LBB214_885:
	s_delay_alu instid0(SALU_CYCLE_1)
	s_and_not1_b32 vcc_lo, exec_lo, s27
	s_cbranch_vccnz .LBB214_887
; %bb.886:
	global_load_u8 v0, v[2:3], off
	s_wait_loadcnt 0x0
	v_lshlrev_b32_e32 v1, 25, v0
	v_lshlrev_b16 v0, 8, v0
	s_delay_alu instid0(VALU_DEP_1) | instskip(SKIP_1) | instid1(VALU_DEP_2)
	v_and_or_b32 v5, 0x7f00, v0, 0.5
	v_bfe_i32 v0, v0, 0, 16
	v_add_f32_e32 v5, -0.5, v5
	v_lshrrev_b32_e32 v4, 4, v1
	v_cmp_gt_u32_e32 vcc_lo, 0x8000000, v1
	s_delay_alu instid0(VALU_DEP_2) | instskip(NEXT) | instid1(VALU_DEP_1)
	v_or_b32_e32 v4, 0x70000000, v4
	v_mul_f32_e32 v4, 0x7800000, v4
	s_delay_alu instid0(VALU_DEP_1) | instskip(NEXT) | instid1(VALU_DEP_1)
	v_cndmask_b32_e32 v1, v4, v5, vcc_lo
	v_and_or_b32 v0, 0x80000000, v0, v1
	s_delay_alu instid0(VALU_DEP_1)
	v_cvt_f64_f32_e32 v[0:1], v0
.LBB214_887:
	s_mov_b32 s27, 0
	s_mov_b32 s28, -1
.LBB214_888:
	s_and_not1_b32 vcc_lo, exec_lo, s27
	s_mov_b32 s27, 0
	s_cbranch_vccnz .LBB214_899
; %bb.889:
	s_cmp_gt_i32 s25, 14
	s_cbranch_scc0 .LBB214_892
; %bb.890:
	s_cmp_eq_u32 s25, 15
	s_cbranch_scc0 .LBB214_895
; %bb.891:
	global_load_u16 v0, v[2:3], off
	s_mov_b32 s26, 0
	s_mov_b32 s28, -1
	s_wait_loadcnt 0x0
	v_lshlrev_b32_e32 v0, 16, v0
	s_delay_alu instid0(VALU_DEP_1)
	v_cvt_f64_f32_e32 v[0:1], v0
	s_branch .LBB214_897
.LBB214_892:
	s_mov_b32 s27, -1
	s_branch .LBB214_896
.LBB214_893:
	s_or_saveexec_b32 s28, s28
	v_mov_b64_e32 v[0:1], 0x7ff8000020000000
	s_xor_b32 exec_lo, exec_lo, s28
	s_cbranch_execz .LBB214_874
.LBB214_894:
	v_cmp_ne_u16_e32 vcc_lo, 0, v4
	v_mov_b64_e32 v[0:1], 0
	s_and_not1_b32 s27, s27, exec_lo
	s_and_b32 s29, vcc_lo, exec_lo
	s_delay_alu instid0(SALU_CYCLE_1)
	s_or_b32 s27, s27, s29
	s_or_b32 exec_lo, exec_lo, s28
	s_and_saveexec_b32 s28, s27
	s_cbranch_execnz .LBB214_875
	s_branch .LBB214_876
.LBB214_895:
	s_mov_b32 s26, -1
.LBB214_896:
                                        ; implicit-def: $vgpr0_vgpr1
.LBB214_897:
	s_and_b32 vcc_lo, exec_lo, s27
	s_mov_b32 s27, 0
	s_cbranch_vccz .LBB214_899
; %bb.898:
	s_cmp_lg_u32 s25, 11
	s_mov_b32 s27, -1
	s_cselect_b32 s25, -1, 0
	s_and_not1_b32 s26, s26, exec_lo
	s_and_b32 s25, s25, exec_lo
	s_delay_alu instid0(SALU_CYCLE_1)
	s_or_b32 s26, s26, s25
.LBB214_899:
	s_mov_b32 s25, 0
.LBB214_900:
	s_and_not1_b32 s30, s0, exec_lo
	s_and_b32 s26, s26, exec_lo
	s_and_b32 s28, s28, exec_lo
	;; [unrolled: 1-line block ×4, first 2 shown]
	s_or_b32 s26, s30, s26
.LBB214_901:
	s_wait_xcnt 0x0
	s_or_b32 exec_lo, exec_lo, s17
	s_delay_alu instid0(SALU_CYCLE_1)
	s_and_not1_b32 s0, s0, exec_lo
	s_and_b32 s17, s26, exec_lo
	s_and_b32 s28, s28, exec_lo
	;; [unrolled: 1-line block ×4, first 2 shown]
	s_or_b32 s0, s0, s17
.LBB214_902:
	s_or_b32 exec_lo, exec_lo, s23
	s_delay_alu instid0(SALU_CYCLE_1)
	s_and_not1_b32 s17, s21, exec_lo
	s_and_b32 s21, s24, exec_lo
	s_and_b32 s0, s0, exec_lo
	s_or_b32 s21, s17, s21
	s_and_not1_b32 s17, s20, exec_lo
	s_and_b32 s25, s28, exec_lo
	s_and_b32 s24, s27, exec_lo
	;; [unrolled: 1-line block ×3, first 2 shown]
	s_or_b32 s20, s17, s0
.LBB214_903:
	s_or_b32 exec_lo, exec_lo, s22
	s_delay_alu instid0(SALU_CYCLE_1)
	s_and_not1_b32 s0, s16, exec_lo
	s_and_b32 s16, s21, exec_lo
	s_and_not1_b32 s17, s18, exec_lo
	s_and_b32 s18, s20, exec_lo
	s_or_b32 s16, s0, s16
	s_and_b32 s0, s25, exec_lo
	s_and_b32 s21, s24, exec_lo
	;; [unrolled: 1-line block ×3, first 2 shown]
	s_or_b32 s18, s17, s18
	s_or_b32 exec_lo, exec_lo, s19
	s_mov_b32 s17, 0
	s_and_saveexec_b32 s19, s18
	s_cbranch_execz .LBB214_275
.LBB214_904:
	s_mov_b32 s17, exec_lo
	s_and_not1_b32 s20, s20, exec_lo
	s_trap 2
	s_or_b32 exec_lo, exec_lo, s19
	s_and_saveexec_b32 s18, s20
	s_delay_alu instid0(SALU_CYCLE_1)
	s_xor_b32 s18, exec_lo, s18
	s_cbranch_execnz .LBB214_276
.LBB214_905:
	s_or_b32 exec_lo, exec_lo, s18
	s_and_saveexec_b32 s18, s21
	s_cbranch_execz .LBB214_951
.LBB214_906:
	s_sext_i32_i16 s19, s3
	s_delay_alu instid0(SALU_CYCLE_1)
	s_cmp_lt_i32 s19, 5
	s_cbranch_scc1 .LBB214_911
; %bb.907:
	s_cmp_lt_i32 s19, 8
	s_cbranch_scc1 .LBB214_912
; %bb.908:
	;; [unrolled: 3-line block ×3, first 2 shown]
	s_cmp_gt_i32 s19, 9
	s_cbranch_scc0 .LBB214_914
; %bb.910:
	s_wait_loadcnt 0x0
	global_load_b64 v[0:1], v[2:3], off
	s_mov_b32 s19, 0
	s_branch .LBB214_915
.LBB214_911:
                                        ; implicit-def: $vgpr0_vgpr1
	s_branch .LBB214_932
.LBB214_912:
                                        ; implicit-def: $vgpr0_vgpr1
	s_branch .LBB214_921
.LBB214_913:
	s_mov_b32 s19, -1
                                        ; implicit-def: $vgpr0_vgpr1
	s_branch .LBB214_918
.LBB214_914:
	s_mov_b32 s19, -1
                                        ; implicit-def: $vgpr0_vgpr1
.LBB214_915:
	s_delay_alu instid0(SALU_CYCLE_1)
	s_and_not1_b32 vcc_lo, exec_lo, s19
	s_cbranch_vccnz .LBB214_917
; %bb.916:
	s_wait_loadcnt 0x0
	global_load_b32 v0, v[2:3], off
	s_wait_loadcnt 0x0
	v_cvt_f64_f32_e32 v[0:1], v0
.LBB214_917:
	s_mov_b32 s19, 0
.LBB214_918:
	s_delay_alu instid0(SALU_CYCLE_1)
	s_and_not1_b32 vcc_lo, exec_lo, s19
	s_cbranch_vccnz .LBB214_920
; %bb.919:
	s_wait_loadcnt 0x0
	global_load_b32 v0, v[2:3], off
	s_wait_loadcnt 0x0
	v_cvt_f32_f16_e32 v0, v0
	s_delay_alu instid0(VALU_DEP_1)
	v_cvt_f64_f32_e32 v[0:1], v0
.LBB214_920:
	s_cbranch_execnz .LBB214_931
.LBB214_921:
	s_sext_i32_i16 s19, s3
	s_delay_alu instid0(SALU_CYCLE_1)
	s_cmp_lt_i32 s19, 6
	s_cbranch_scc1 .LBB214_924
; %bb.922:
	s_cmp_gt_i32 s19, 6
	s_cbranch_scc0 .LBB214_925
; %bb.923:
	s_wait_loadcnt 0x0
	global_load_b64 v[0:1], v[2:3], off
	s_mov_b32 s19, 0
	s_branch .LBB214_926
.LBB214_924:
	s_mov_b32 s19, -1
                                        ; implicit-def: $vgpr0_vgpr1
	s_branch .LBB214_929
.LBB214_925:
	s_mov_b32 s19, -1
                                        ; implicit-def: $vgpr0_vgpr1
.LBB214_926:
	s_delay_alu instid0(SALU_CYCLE_1)
	s_and_not1_b32 vcc_lo, exec_lo, s19
	s_cbranch_vccnz .LBB214_928
; %bb.927:
	s_wait_loadcnt 0x0
	global_load_b32 v0, v[2:3], off
	s_wait_loadcnt 0x0
	v_cvt_f64_f32_e32 v[0:1], v0
.LBB214_928:
	s_mov_b32 s19, 0
.LBB214_929:
	s_delay_alu instid0(SALU_CYCLE_1)
	s_and_not1_b32 vcc_lo, exec_lo, s19
	s_cbranch_vccnz .LBB214_931
; %bb.930:
	s_wait_loadcnt 0x0
	global_load_u16 v0, v[2:3], off
	s_wait_loadcnt 0x0
	v_cvt_f32_f16_e32 v0, v0
	s_delay_alu instid0(VALU_DEP_1)
	v_cvt_f64_f32_e32 v[0:1], v0
.LBB214_931:
	s_cbranch_execnz .LBB214_950
.LBB214_932:
	s_sext_i32_i16 s19, s3
	s_delay_alu instid0(SALU_CYCLE_1)
	s_cmp_lt_i32 s19, 2
	s_cbranch_scc1 .LBB214_936
; %bb.933:
	s_cmp_lt_i32 s19, 3
	s_cbranch_scc1 .LBB214_937
; %bb.934:
	s_cmp_gt_i32 s19, 3
	s_cbranch_scc0 .LBB214_938
; %bb.935:
	s_wait_loadcnt 0x0
	global_load_b64 v[0:1], v[2:3], off
	s_mov_b32 s19, 0
	s_wait_loadcnt 0x0
	v_cvt_f64_i32_e32 v[4:5], v1
	v_cvt_f64_u32_e32 v[0:1], v0
	s_delay_alu instid0(VALU_DEP_2) | instskip(NEXT) | instid1(VALU_DEP_1)
	v_ldexp_f64 v[4:5], v[4:5], 32
	v_add_f64_e32 v[0:1], v[4:5], v[0:1]
	s_branch .LBB214_939
.LBB214_936:
                                        ; implicit-def: $vgpr0_vgpr1
	s_branch .LBB214_945
.LBB214_937:
	s_mov_b32 s19, -1
                                        ; implicit-def: $vgpr0_vgpr1
	s_branch .LBB214_942
.LBB214_938:
	s_mov_b32 s19, -1
                                        ; implicit-def: $vgpr0_vgpr1
.LBB214_939:
	s_delay_alu instid0(SALU_CYCLE_1)
	s_and_not1_b32 vcc_lo, exec_lo, s19
	s_cbranch_vccnz .LBB214_941
; %bb.940:
	s_wait_loadcnt 0x0
	global_load_b32 v0, v[2:3], off
	s_wait_loadcnt 0x0
	v_cvt_f64_i32_e32 v[0:1], v0
.LBB214_941:
	s_mov_b32 s19, 0
.LBB214_942:
	s_delay_alu instid0(SALU_CYCLE_1)
	s_and_not1_b32 vcc_lo, exec_lo, s19
	s_cbranch_vccnz .LBB214_944
; %bb.943:
	s_wait_loadcnt 0x0
	global_load_i16 v0, v[2:3], off
	s_wait_loadcnt 0x0
	v_cvt_f64_i32_e32 v[0:1], v0
.LBB214_944:
	s_cbranch_execnz .LBB214_950
.LBB214_945:
	s_sext_i32_i16 s19, s3
	s_delay_alu instid0(SALU_CYCLE_1)
	s_cmp_gt_i32 s19, 0
	s_mov_b32 s19, 0
	s_cbranch_scc0 .LBB214_947
; %bb.946:
	s_wait_loadcnt 0x0
	global_load_i8 v0, v[2:3], off
	s_wait_loadcnt 0x0
	v_cvt_f64_i32_e32 v[0:1], v0
	s_branch .LBB214_948
.LBB214_947:
	s_mov_b32 s19, -1
                                        ; implicit-def: $vgpr0_vgpr1
.LBB214_948:
	s_delay_alu instid0(SALU_CYCLE_1)
	s_and_not1_b32 vcc_lo, exec_lo, s19
	s_cbranch_vccnz .LBB214_950
; %bb.949:
	s_wait_loadcnt 0x0
	global_load_u8 v0, v[2:3], off
	s_wait_loadcnt 0x0
	v_cvt_f64_u32_e32 v[0:1], v0
.LBB214_950:
	s_or_b32 s0, s0, exec_lo
.LBB214_951:
	s_wait_xcnt 0x0
	s_or_b32 exec_lo, exec_lo, s18
	s_mov_b32 s21, 0
	s_mov_b32 s20, 0
                                        ; implicit-def: $sgpr18
                                        ; implicit-def: $vgpr4_vgpr5
	s_and_saveexec_b32 s19, s0
	s_cbranch_execz .LBB214_958
; %bb.952:
	s_mov_b32 s0, exec_lo
	s_wait_loadcnt 0x0
	s_delay_alu instid0(VALU_DEP_1)
	v_cmpx_o_f64_e32 v[0:1], v[0:1]
	s_cbranch_execz .LBB214_967
; %bb.953:
	s_cmp_lt_i32 s14, 1
	s_mov_b32 s18, 0
	s_cbranch_scc1 .LBB214_961
; %bb.954:
	s_cmp_eq_u32 s14, 1
	s_cbranch_scc0 .LBB214_962
; %bb.955:
	v_max_num_f64_e64 v[2:3], s[8:9], s[8:9]
	v_max_num_f64_e32 v[4:5], v[0:1], v[0:1]
	s_delay_alu instid0(VALU_DEP_1)
	v_min_num_f64_e32 v[2:3], v[4:5], v[2:3]
	s_and_b32 vcc_lo, exec_lo, s21
	s_cbranch_vccnz .LBB214_963
.LBB214_956:
	v_max_num_f64_e32 v[0:1], v[0:1], v[0:1]
	s_and_not1_b32 vcc_lo, exec_lo, s20
	s_cbranch_vccnz .LBB214_964
.LBB214_957:
	v_max_num_f64_e64 v[2:3], s[8:9], s[8:9]
	v_max_num_f64_e64 v[4:5], s[10:11], s[10:11]
	s_delay_alu instid0(VALU_DEP_2) | instskip(NEXT) | instid1(VALU_DEP_1)
	v_max_num_f64_e32 v[2:3], v[0:1], v[2:3]
	v_min_num_f64_e32 v[2:3], v[2:3], v[4:5]
	s_cbranch_execz .LBB214_965
	s_branch .LBB214_966
.LBB214_958:
	s_or_b32 exec_lo, exec_lo, s19
	s_and_saveexec_b32 s0, s16
	s_cbranch_execnz .LBB214_1044
.LBB214_959:
	s_or_b32 exec_lo, exec_lo, s0
	s_and_saveexec_b32 s0, s21
	s_delay_alu instid0(SALU_CYCLE_1)
	s_xor_b32 s0, exec_lo, s0
	s_cbranch_execz .LBB214_1045
.LBB214_960:
	s_wait_loadcnt 0x0
	s_delay_alu instid0(VALU_DEP_1)
	v_cmp_neq_f64_e32 vcc_lo, 0, v[0:1]
	v_cndmask_b32_e64 v2, 0, 1, vcc_lo
	global_store_b8 v[4:5], v2, off
	s_wait_xcnt 0x0
	s_or_b32 exec_lo, exec_lo, s0
	s_and_saveexec_b32 s0, s20
	s_delay_alu instid0(SALU_CYCLE_1)
	s_xor_b32 s0, exec_lo, s0
	s_cbranch_execz .LBB214_1083
	s_branch .LBB214_1046
.LBB214_961:
                                        ; implicit-def: $vgpr2_vgpr3
	s_cbranch_execnz .LBB214_963
	s_branch .LBB214_956
.LBB214_962:
	s_mov_b32 s20, -1
                                        ; implicit-def: $vgpr2_vgpr3
	s_and_b32 vcc_lo, exec_lo, s21
	s_cbranch_vccz .LBB214_956
.LBB214_963:
	s_cmp_lg_u32 s14, 0
	s_mov_b32 s18, -1
	s_cselect_b32 s20, -1, 0
	v_max_num_f64_e32 v[0:1], v[0:1], v[0:1]
	s_and_not1_b32 vcc_lo, exec_lo, s20
	s_cbranch_vccz .LBB214_957
.LBB214_964:
	s_and_not1_b32 vcc_lo, exec_lo, s18
	s_cbranch_vccnz .LBB214_966
.LBB214_965:
	v_max_num_f64_e64 v[2:3], s[8:9], s[8:9]
	s_delay_alu instid0(VALU_DEP_1)
	v_max_num_f64_e32 v[2:3], v[0:1], v[2:3]
.LBB214_966:
	s_delay_alu instid0(VALU_DEP_1)
	v_mov_b64_e32 v[0:1], v[2:3]
.LBB214_967:
	s_or_b32 exec_lo, exec_lo, s0
	v_mul_lo_u32 v2, v14, s12
	s_and_b32 s18, s2, 0xff
	s_delay_alu instid0(SALU_CYCLE_1) | instskip(NEXT) | instid1(VALU_DEP_1)
	s_cmp_lt_i32 s18, 11
	v_ashrrev_i32_e32 v3, 31, v2
	s_delay_alu instid0(VALU_DEP_1)
	v_add_nc_u64_e32 v[4:5], s[4:5], v[2:3]
	s_cbranch_scc1 .LBB214_974
; %bb.968:
	s_and_b32 s20, 0xffff, s18
	s_mov_b32 s21, -1
	s_cmp_gt_i32 s20, 25
	s_mov_b32 s0, s16
	s_cbranch_scc0 .LBB214_1002
; %bb.969:
	s_cmp_gt_i32 s20, 28
	s_mov_b32 s0, s16
	s_cbranch_scc0 .LBB214_986
; %bb.970:
	;; [unrolled: 4-line block ×4, first 2 shown]
	s_cmp_eq_u32 s20, 46
	s_mov_b32 s0, -1
	s_cbranch_scc0 .LBB214_975
; %bb.973:
	v_cvt_f32_f64_e32 v2, v[0:1]
	s_mov_b32 s0, 0
	s_mov_b32 s21, 0
	s_delay_alu instid0(VALU_DEP_1) | instskip(SKIP_1) | instid1(VALU_DEP_2)
	v_bfe_u32 v3, v2, 16, 1
	v_cmp_o_f32_e32 vcc_lo, v2, v2
	v_add3_u32 v3, v2, v3, 0x7fff
	s_delay_alu instid0(VALU_DEP_1) | instskip(NEXT) | instid1(VALU_DEP_1)
	v_lshrrev_b32_e32 v3, 16, v3
	v_cndmask_b32_e32 v2, 0x7fc0, v3, vcc_lo
	global_store_b32 v[4:5], v2, off
	s_branch .LBB214_976
.LBB214_974:
	s_mov_b32 s22, 0
	s_mov_b32 s21, -1
	s_mov_b32 s0, s16
	s_branch .LBB214_1043
.LBB214_975:
	s_mov_b32 s21, 0
.LBB214_976:
	s_delay_alu instid0(SALU_CYCLE_1)
	s_and_b32 vcc_lo, exec_lo, s21
	s_cbranch_vccz .LBB214_981
; %bb.977:
	s_cmp_eq_u32 s20, 44
	s_mov_b32 s0, -1
	s_cbranch_scc0 .LBB214_981
; %bb.978:
	s_wait_xcnt 0x0
	v_cvt_f32_f64_e32 v2, v[0:1]
	v_mov_b32_e32 v3, 0xff
	s_mov_b32 s21, exec_lo
	s_delay_alu instid0(VALU_DEP_2) | instskip(NEXT) | instid1(VALU_DEP_1)
	v_bfe_u32 v6, v2, 23, 8
	v_cmpx_ne_u32_e32 0xff, v6
	s_cbranch_execz .LBB214_980
; %bb.979:
	v_and_b32_e32 v3, 0x400000, v2
	v_and_or_b32 v6, 0x3fffff, v2, v6
	v_lshrrev_b32_e32 v2, 23, v2
	s_delay_alu instid0(VALU_DEP_3) | instskip(NEXT) | instid1(VALU_DEP_3)
	v_cmp_ne_u32_e32 vcc_lo, 0, v3
	v_cmp_ne_u32_e64 s0, 0, v6
	s_and_b32 s0, vcc_lo, s0
	s_delay_alu instid0(SALU_CYCLE_1) | instskip(NEXT) | instid1(VALU_DEP_1)
	v_cndmask_b32_e64 v3, 0, 1, s0
	v_add_nc_u32_e32 v3, v2, v3
.LBB214_980:
	s_or_b32 exec_lo, exec_lo, s21
	s_mov_b32 s0, 0
	global_store_b8 v[4:5], v3, off
.LBB214_981:
	s_mov_b32 s21, 0
.LBB214_982:
	s_delay_alu instid0(SALU_CYCLE_1)
	s_and_b32 vcc_lo, exec_lo, s21
	s_cbranch_vccz .LBB214_985
; %bb.983:
	s_cmp_eq_u32 s20, 29
	s_mov_b32 s0, -1
	s_cbranch_scc0 .LBB214_985
; %bb.984:
	s_wait_xcnt 0x0
	v_trunc_f64_e32 v[2:3], v[0:1]
	s_mov_b32 s0, 0
	s_mov_b32 s21, 0
	s_delay_alu instid0(VALU_DEP_1) | instskip(NEXT) | instid1(VALU_DEP_1)
	v_ldexp_f64 v[6:7], v[2:3], 0xffffffe0
	v_floor_f64_e32 v[6:7], v[6:7]
	s_delay_alu instid0(VALU_DEP_1) | instskip(SKIP_1) | instid1(VALU_DEP_2)
	v_fmamk_f64 v[2:3], v[6:7], 0xc1f00000, v[2:3]
	v_cvt_u32_f64_e32 v7, v[6:7]
	v_cvt_u32_f64_e32 v6, v[2:3]
	global_store_b64 v[4:5], v[6:7], off
	s_branch .LBB214_986
.LBB214_985:
	s_mov_b32 s21, 0
.LBB214_986:
	s_delay_alu instid0(SALU_CYCLE_1)
	s_and_b32 vcc_lo, exec_lo, s21
	s_cbranch_vccz .LBB214_1001
; %bb.987:
	s_cmp_lt_i32 s20, 27
	s_mov_b32 s21, -1
	s_cbranch_scc1 .LBB214_993
; %bb.988:
	s_wait_xcnt 0x0
	v_cvt_u32_f64_e32 v2, v[0:1]
	s_cmp_gt_i32 s20, 27
	s_cbranch_scc0 .LBB214_990
; %bb.989:
	s_mov_b32 s21, 0
	global_store_b32 v[4:5], v2, off
.LBB214_990:
	s_and_not1_b32 vcc_lo, exec_lo, s21
	s_cbranch_vccnz .LBB214_992
; %bb.991:
	global_store_b16 v[4:5], v2, off
.LBB214_992:
	s_mov_b32 s21, 0
.LBB214_993:
	s_delay_alu instid0(SALU_CYCLE_1)
	s_and_not1_b32 vcc_lo, exec_lo, s21
	s_cbranch_vccnz .LBB214_1001
; %bb.994:
	s_wait_xcnt 0x0
	v_cvt_f32_f64_e32 v2, v[0:1]
	v_mov_b32_e32 v6, 0x80
	s_mov_b32 s21, exec_lo
	s_delay_alu instid0(VALU_DEP_2) | instskip(NEXT) | instid1(VALU_DEP_1)
	v_and_b32_e32 v3, 0x7fffffff, v2
	v_cmpx_gt_u32_e32 0x43800000, v3
	s_cbranch_execz .LBB214_1000
; %bb.995:
	v_cmp_lt_u32_e32 vcc_lo, 0x3bffffff, v3
	s_mov_b32 s22, 0
                                        ; implicit-def: $vgpr3
	s_and_saveexec_b32 s23, vcc_lo
	s_delay_alu instid0(SALU_CYCLE_1)
	s_xor_b32 s23, exec_lo, s23
	s_cbranch_execz .LBB214_1098
; %bb.996:
	v_bfe_u32 v3, v2, 20, 1
	s_mov_b32 s22, exec_lo
	s_delay_alu instid0(VALU_DEP_1) | instskip(NEXT) | instid1(VALU_DEP_1)
	v_add3_u32 v3, v2, v3, 0x487ffff
	v_lshrrev_b32_e32 v3, 20, v3
	s_and_not1_saveexec_b32 s23, s23
	s_cbranch_execnz .LBB214_1099
.LBB214_997:
	s_or_b32 exec_lo, exec_lo, s23
	v_mov_b32_e32 v6, 0
	s_and_saveexec_b32 s23, s22
.LBB214_998:
	v_lshrrev_b32_e32 v2, 24, v2
	s_delay_alu instid0(VALU_DEP_1)
	v_and_or_b32 v6, 0x80, v2, v3
.LBB214_999:
	s_or_b32 exec_lo, exec_lo, s23
.LBB214_1000:
	s_delay_alu instid0(SALU_CYCLE_1)
	s_or_b32 exec_lo, exec_lo, s21
	global_store_b8 v[4:5], v6, off
.LBB214_1001:
	s_mov_b32 s21, 0
.LBB214_1002:
	s_delay_alu instid0(SALU_CYCLE_1)
	s_and_b32 vcc_lo, exec_lo, s21
	s_mov_b32 s21, 0
	s_cbranch_vccz .LBB214_1042
; %bb.1003:
	s_cmp_gt_i32 s20, 22
	s_mov_b32 s22, -1
	s_cbranch_scc0 .LBB214_1035
; %bb.1004:
	s_cmp_lt_i32 s20, 24
	s_cbranch_scc1 .LBB214_1024
; %bb.1005:
	s_cmp_gt_i32 s20, 24
	s_cbranch_scc0 .LBB214_1013
; %bb.1006:
	s_wait_xcnt 0x0
	v_cvt_f32_f64_e32 v2, v[0:1]
	v_mov_b32_e32 v6, 0x80
	s_mov_b32 s22, exec_lo
	s_delay_alu instid0(VALU_DEP_2) | instskip(NEXT) | instid1(VALU_DEP_1)
	v_and_b32_e32 v3, 0x7fffffff, v2
	v_cmpx_gt_u32_e32 0x47800000, v3
	s_cbranch_execz .LBB214_1012
; %bb.1007:
	v_cmp_lt_u32_e32 vcc_lo, 0x37ffffff, v3
	s_mov_b32 s23, 0
                                        ; implicit-def: $vgpr3
	s_and_saveexec_b32 s24, vcc_lo
	s_delay_alu instid0(SALU_CYCLE_1)
	s_xor_b32 s24, exec_lo, s24
	s_cbranch_execz .LBB214_1237
; %bb.1008:
	v_bfe_u32 v3, v2, 21, 1
	s_mov_b32 s23, exec_lo
	s_delay_alu instid0(VALU_DEP_1) | instskip(NEXT) | instid1(VALU_DEP_1)
	v_add3_u32 v3, v2, v3, 0x88fffff
	v_lshrrev_b32_e32 v3, 21, v3
	s_and_not1_saveexec_b32 s24, s24
	s_cbranch_execnz .LBB214_1238
.LBB214_1009:
	s_or_b32 exec_lo, exec_lo, s24
	v_mov_b32_e32 v6, 0
	s_and_saveexec_b32 s24, s23
.LBB214_1010:
	v_lshrrev_b32_e32 v2, 24, v2
	s_delay_alu instid0(VALU_DEP_1)
	v_and_or_b32 v6, 0x80, v2, v3
.LBB214_1011:
	s_or_b32 exec_lo, exec_lo, s24
.LBB214_1012:
	s_delay_alu instid0(SALU_CYCLE_1)
	s_or_b32 exec_lo, exec_lo, s22
	s_mov_b32 s22, 0
	global_store_b8 v[4:5], v6, off
.LBB214_1013:
	s_and_b32 vcc_lo, exec_lo, s22
	s_cbranch_vccz .LBB214_1023
; %bb.1014:
	s_wait_xcnt 0x0
	v_cvt_f32_f64_e32 v2, v[0:1]
	s_mov_b32 s22, exec_lo
                                        ; implicit-def: $vgpr3
	s_delay_alu instid0(VALU_DEP_1) | instskip(NEXT) | instid1(VALU_DEP_1)
	v_and_b32_e32 v6, 0x7fffffff, v2
	v_cmpx_gt_u32_e32 0x43f00000, v6
	s_xor_b32 s22, exec_lo, s22
	s_cbranch_execz .LBB214_1020
; %bb.1015:
	s_mov_b32 s23, exec_lo
                                        ; implicit-def: $vgpr3
	v_cmpx_lt_u32_e32 0x3c7fffff, v6
	s_xor_b32 s23, exec_lo, s23
; %bb.1016:
	v_bfe_u32 v3, v2, 20, 1
	s_delay_alu instid0(VALU_DEP_1) | instskip(NEXT) | instid1(VALU_DEP_1)
	v_add3_u32 v3, v2, v3, 0x407ffff
	v_and_b32_e32 v6, 0xff00000, v3
	v_lshrrev_b32_e32 v3, 20, v3
	s_delay_alu instid0(VALU_DEP_2) | instskip(NEXT) | instid1(VALU_DEP_2)
	v_cmp_ne_u32_e32 vcc_lo, 0x7f00000, v6
	v_cndmask_b32_e32 v3, 0x7e, v3, vcc_lo
; %bb.1017:
	s_and_not1_saveexec_b32 s23, s23
; %bb.1018:
	v_add_f32_e64 v3, 0x46800000, |v2|
; %bb.1019:
	s_or_b32 exec_lo, exec_lo, s23
                                        ; implicit-def: $vgpr6
.LBB214_1020:
	s_and_not1_saveexec_b32 s22, s22
; %bb.1021:
	v_mov_b32_e32 v3, 0x7f
	v_cmp_lt_u32_e32 vcc_lo, 0x7f800000, v6
	s_delay_alu instid0(VALU_DEP_2)
	v_cndmask_b32_e32 v3, 0x7e, v3, vcc_lo
; %bb.1022:
	s_or_b32 exec_lo, exec_lo, s22
	v_lshrrev_b32_e32 v2, 24, v2
	s_delay_alu instid0(VALU_DEP_1)
	v_and_or_b32 v2, 0x80, v2, v3
	global_store_b8 v[4:5], v2, off
.LBB214_1023:
	s_mov_b32 s22, 0
.LBB214_1024:
	s_delay_alu instid0(SALU_CYCLE_1)
	s_and_not1_b32 vcc_lo, exec_lo, s22
	s_cbranch_vccnz .LBB214_1034
; %bb.1025:
	s_wait_xcnt 0x0
	v_cvt_f32_f64_e32 v2, v[0:1]
	s_mov_b32 s22, exec_lo
                                        ; implicit-def: $vgpr3
	s_delay_alu instid0(VALU_DEP_1) | instskip(NEXT) | instid1(VALU_DEP_1)
	v_and_b32_e32 v6, 0x7fffffff, v2
	v_cmpx_gt_u32_e32 0x47800000, v6
	s_xor_b32 s22, exec_lo, s22
	s_cbranch_execz .LBB214_1031
; %bb.1026:
	s_mov_b32 s23, exec_lo
                                        ; implicit-def: $vgpr3
	v_cmpx_lt_u32_e32 0x387fffff, v6
	s_xor_b32 s23, exec_lo, s23
; %bb.1027:
	v_bfe_u32 v3, v2, 21, 1
	s_delay_alu instid0(VALU_DEP_1) | instskip(NEXT) | instid1(VALU_DEP_1)
	v_add3_u32 v3, v2, v3, 0x80fffff
	v_lshrrev_b32_e32 v3, 21, v3
; %bb.1028:
	s_and_not1_saveexec_b32 s23, s23
; %bb.1029:
	v_add_f32_e64 v3, 0x43000000, |v2|
; %bb.1030:
	s_or_b32 exec_lo, exec_lo, s23
                                        ; implicit-def: $vgpr6
.LBB214_1031:
	s_and_not1_saveexec_b32 s22, s22
; %bb.1032:
	v_mov_b32_e32 v3, 0x7f
	v_cmp_lt_u32_e32 vcc_lo, 0x7f800000, v6
	s_delay_alu instid0(VALU_DEP_2)
	v_cndmask_b32_e32 v3, 0x7c, v3, vcc_lo
; %bb.1033:
	s_or_b32 exec_lo, exec_lo, s22
	v_lshrrev_b32_e32 v2, 24, v2
	s_delay_alu instid0(VALU_DEP_1)
	v_and_or_b32 v2, 0x80, v2, v3
	global_store_b8 v[4:5], v2, off
.LBB214_1034:
	s_mov_b32 s22, 0
.LBB214_1035:
	s_delay_alu instid0(SALU_CYCLE_1)
	s_and_not1_b32 vcc_lo, exec_lo, s22
	s_mov_b32 s22, 0
	s_cbranch_vccnz .LBB214_1043
; %bb.1036:
	s_cmp_gt_i32 s20, 14
	s_mov_b32 s22, -1
	s_cbranch_scc0 .LBB214_1040
; %bb.1037:
	s_cmp_eq_u32 s20, 15
	s_mov_b32 s0, -1
	s_cbranch_scc0 .LBB214_1039
; %bb.1038:
	s_wait_xcnt 0x0
	v_cvt_f32_f64_e32 v2, v[0:1]
	s_mov_b32 s0, 0
	s_delay_alu instid0(VALU_DEP_1) | instskip(SKIP_1) | instid1(VALU_DEP_2)
	v_bfe_u32 v3, v2, 16, 1
	v_cmp_o_f32_e32 vcc_lo, v2, v2
	v_add3_u32 v3, v2, v3, 0x7fff
	s_delay_alu instid0(VALU_DEP_1) | instskip(NEXT) | instid1(VALU_DEP_1)
	v_lshrrev_b32_e32 v3, 16, v3
	v_cndmask_b32_e32 v2, 0x7fc0, v3, vcc_lo
	global_store_b16 v[4:5], v2, off
.LBB214_1039:
	s_mov_b32 s22, 0
.LBB214_1040:
	s_delay_alu instid0(SALU_CYCLE_1)
	s_and_b32 vcc_lo, exec_lo, s22
	s_mov_b32 s22, 0
	s_cbranch_vccz .LBB214_1043
; %bb.1041:
	s_cmp_lg_u32 s20, 11
	s_mov_b32 s22, -1
	s_cselect_b32 s20, -1, 0
	s_and_not1_b32 s0, s0, exec_lo
	s_and_b32 s20, s20, exec_lo
	s_delay_alu instid0(SALU_CYCLE_1)
	s_or_b32 s0, s0, s20
	s_branch .LBB214_1043
.LBB214_1042:
	s_mov_b32 s22, 0
.LBB214_1043:
	s_and_not1_b32 s16, s16, exec_lo
	s_and_b32 s0, s0, exec_lo
	s_and_b32 s20, s21, exec_lo
	;; [unrolled: 1-line block ×3, first 2 shown]
	s_or_b32 s16, s16, s0
	s_wait_xcnt 0x0
	s_or_b32 exec_lo, exec_lo, s19
	s_and_saveexec_b32 s0, s16
	s_cbranch_execz .LBB214_959
.LBB214_1044:
	s_or_b32 s17, s17, exec_lo
	s_and_not1_b32 s21, s21, exec_lo
	s_trap 2
	s_or_b32 exec_lo, exec_lo, s0
	s_and_saveexec_b32 s0, s21
	s_delay_alu instid0(SALU_CYCLE_1)
	s_xor_b32 s0, exec_lo, s0
	s_cbranch_execnz .LBB214_960
.LBB214_1045:
	s_or_b32 exec_lo, exec_lo, s0
	s_and_saveexec_b32 s0, s20
	s_delay_alu instid0(SALU_CYCLE_1)
	s_xor_b32 s0, exec_lo, s0
	s_cbranch_execz .LBB214_1083
.LBB214_1046:
	s_sext_i32_i16 s19, s18
	s_mov_b32 s16, -1
	s_cmp_lt_i32 s19, 5
	s_cbranch_scc1 .LBB214_1067
; %bb.1047:
	s_cmp_lt_i32 s19, 8
	s_cbranch_scc1 .LBB214_1057
; %bb.1048:
	;; [unrolled: 3-line block ×3, first 2 shown]
	s_cmp_gt_i32 s19, 9
	s_cbranch_scc0 .LBB214_1051
; %bb.1050:
	v_mov_b32_e32 v2, 0
	s_mov_b32 s16, 0
	s_delay_alu instid0(VALU_DEP_1)
	v_mov_b32_e32 v3, v2
	s_wait_loadcnt 0x0
	global_store_b128 v[4:5], v[0:3], off
.LBB214_1051:
	s_and_not1_b32 vcc_lo, exec_lo, s16
	s_cbranch_vccnz .LBB214_1053
; %bb.1052:
	s_wait_loadcnt 0x0
	v_cvt_f32_f64_e32 v2, v[0:1]
	v_mov_b32_e32 v3, 0
	global_store_b64 v[4:5], v[2:3], off
.LBB214_1053:
	s_mov_b32 s16, 0
.LBB214_1054:
	s_delay_alu instid0(SALU_CYCLE_1)
	s_and_not1_b32 vcc_lo, exec_lo, s16
	s_cbranch_vccnz .LBB214_1056
; %bb.1055:
	s_wait_loadcnt 0x0
	s_delay_alu instid0(VALU_DEP_1) | instskip(SKIP_2) | instid1(VALU_DEP_3)
	v_and_or_b32 v2, 0x1ff, v1, v0
	v_lshrrev_b32_e32 v3, 8, v1
	v_bfe_u32 v6, v1, 20, 11
	v_cmp_ne_u32_e32 vcc_lo, 0, v2
	s_delay_alu instid0(VALU_DEP_2) | instskip(SKIP_1) | instid1(VALU_DEP_1)
	v_sub_nc_u32_e32 v7, 0x3f1, v6
	v_cndmask_b32_e64 v2, 0, 1, vcc_lo
	v_and_or_b32 v2, 0xffe, v3, v2
	s_delay_alu instid0(VALU_DEP_3) | instskip(NEXT) | instid1(VALU_DEP_2)
	v_med3_i32 v3, v7, 0, 13
	v_or_b32_e32 v7, 0x1000, v2
	s_delay_alu instid0(VALU_DEP_1) | instskip(NEXT) | instid1(VALU_DEP_1)
	v_lshrrev_b32_e32 v8, v3, v7
	v_lshlrev_b32_e32 v3, v3, v8
	s_delay_alu instid0(VALU_DEP_1) | instskip(SKIP_1) | instid1(VALU_DEP_1)
	v_cmp_ne_u32_e32 vcc_lo, v3, v7
	v_cndmask_b32_e64 v3, 0, 1, vcc_lo
	v_or_b32_e32 v3, v8, v3
	v_add_nc_u32_e32 v6, 0xfffffc10, v6
	s_delay_alu instid0(VALU_DEP_1) | instskip(SKIP_1) | instid1(VALU_DEP_2)
	v_lshl_or_b32 v7, v6, 12, v2
	v_cmp_gt_i32_e32 vcc_lo, 1, v6
	v_cndmask_b32_e32 v3, v7, v3, vcc_lo
	s_delay_alu instid0(VALU_DEP_1) | instskip(NEXT) | instid1(VALU_DEP_1)
	v_dual_lshrrev_b32 v3, 2, v3 :: v_dual_bitop2_b32 v7, 7, v3 bitop3:0x40
	v_cmp_lt_i32_e32 vcc_lo, 5, v7
	v_cndmask_b32_e64 v8, 0, 1, vcc_lo
	v_cmp_eq_u32_e32 vcc_lo, 3, v7
	v_cndmask_b32_e64 v7, 0, 1, vcc_lo
	v_cmp_ne_u32_e32 vcc_lo, 0, v2
	s_delay_alu instid0(VALU_DEP_2) | instskip(NEXT) | instid1(VALU_DEP_1)
	v_or_b32_e32 v7, v7, v8
	v_dual_mov_b32 v8, 0x7e00 :: v_dual_add_nc_u32 v3, v3, v7
	s_delay_alu instid0(VALU_DEP_1) | instskip(SKIP_2) | instid1(VALU_DEP_4)
	v_cndmask_b32_e32 v2, 0x7c00, v8, vcc_lo
	v_cmp_gt_i32_e32 vcc_lo, 31, v6
	v_lshrrev_b32_e32 v7, 16, v1
	v_cndmask_b32_e32 v3, 0x7c00, v3, vcc_lo
	v_cmp_eq_u32_e32 vcc_lo, 0x40f, v6
	s_delay_alu instid0(VALU_DEP_2) | instskip(NEXT) | instid1(VALU_DEP_4)
	v_cndmask_b32_e32 v2, v3, v2, vcc_lo
	v_and_b32_e32 v3, 0x8000, v7
	s_delay_alu instid0(VALU_DEP_1)
	v_bitop3_b32 v2, v3, 0xffff, v2 bitop3:0xc8
	global_store_b32 v[4:5], v2, off
.LBB214_1056:
	s_mov_b32 s16, 0
.LBB214_1057:
	s_delay_alu instid0(SALU_CYCLE_1)
	s_and_not1_b32 vcc_lo, exec_lo, s16
	s_cbranch_vccnz .LBB214_1066
; %bb.1058:
	s_sext_i32_i16 s19, s18
	s_mov_b32 s16, -1
	s_cmp_lt_i32 s19, 6
	s_cbranch_scc1 .LBB214_1064
; %bb.1059:
	s_cmp_gt_i32 s19, 6
	s_cbranch_scc0 .LBB214_1061
; %bb.1060:
	s_mov_b32 s16, 0
	s_wait_loadcnt 0x0
	global_store_b64 v[4:5], v[0:1], off
.LBB214_1061:
	s_and_not1_b32 vcc_lo, exec_lo, s16
	s_cbranch_vccnz .LBB214_1063
; %bb.1062:
	s_wait_loadcnt 0x0
	v_cvt_f32_f64_e32 v2, v[0:1]
	global_store_b32 v[4:5], v2, off
.LBB214_1063:
	s_mov_b32 s16, 0
.LBB214_1064:
	s_delay_alu instid0(SALU_CYCLE_1)
	s_and_not1_b32 vcc_lo, exec_lo, s16
	s_cbranch_vccnz .LBB214_1066
; %bb.1065:
	s_wait_loadcnt 0x0
	v_and_or_b32 v2, 0x1ff, v1, v0
	v_lshrrev_b32_e32 v3, 8, v1
	v_bfe_u32 v6, v1, 20, 11
	s_delay_alu instid0(VALU_DEP_3) | instskip(NEXT) | instid1(VALU_DEP_2)
	v_cmp_ne_u32_e32 vcc_lo, 0, v2
	v_sub_nc_u32_e32 v7, 0x3f1, v6
	v_cndmask_b32_e64 v2, 0, 1, vcc_lo
	s_delay_alu instid0(VALU_DEP_1) | instskip(NEXT) | instid1(VALU_DEP_3)
	v_and_or_b32 v2, 0xffe, v3, v2
	v_med3_i32 v3, v7, 0, 13
	s_delay_alu instid0(VALU_DEP_2) | instskip(NEXT) | instid1(VALU_DEP_1)
	v_or_b32_e32 v7, 0x1000, v2
	v_lshrrev_b32_e32 v8, v3, v7
	s_delay_alu instid0(VALU_DEP_1) | instskip(NEXT) | instid1(VALU_DEP_1)
	v_lshlrev_b32_e32 v3, v3, v8
	v_cmp_ne_u32_e32 vcc_lo, v3, v7
	v_cndmask_b32_e64 v3, 0, 1, vcc_lo
	s_delay_alu instid0(VALU_DEP_1) | instskip(SKIP_1) | instid1(VALU_DEP_1)
	v_or_b32_e32 v3, v8, v3
	v_add_nc_u32_e32 v6, 0xfffffc10, v6
	v_lshl_or_b32 v7, v6, 12, v2
	v_cmp_gt_i32_e32 vcc_lo, 1, v6
	s_delay_alu instid0(VALU_DEP_2) | instskip(NEXT) | instid1(VALU_DEP_1)
	v_cndmask_b32_e32 v3, v7, v3, vcc_lo
	v_dual_lshrrev_b32 v3, 2, v3 :: v_dual_bitop2_b32 v7, 7, v3 bitop3:0x40
	s_delay_alu instid0(VALU_DEP_1) | instskip(SKIP_4) | instid1(VALU_DEP_2)
	v_cmp_lt_i32_e32 vcc_lo, 5, v7
	v_cndmask_b32_e64 v8, 0, 1, vcc_lo
	v_cmp_eq_u32_e32 vcc_lo, 3, v7
	v_cndmask_b32_e64 v7, 0, 1, vcc_lo
	v_cmp_ne_u32_e32 vcc_lo, 0, v2
	v_or_b32_e32 v7, v7, v8
	s_delay_alu instid0(VALU_DEP_1) | instskip(NEXT) | instid1(VALU_DEP_1)
	v_dual_mov_b32 v8, 0x7e00 :: v_dual_add_nc_u32 v3, v3, v7
	v_cndmask_b32_e32 v2, 0x7c00, v8, vcc_lo
	v_cmp_gt_i32_e32 vcc_lo, 31, v6
	s_delay_alu instid0(VALU_DEP_3) | instskip(SKIP_1) | instid1(VALU_DEP_2)
	v_cndmask_b32_e32 v3, 0x7c00, v3, vcc_lo
	v_cmp_eq_u32_e32 vcc_lo, 0x40f, v6
	v_dual_cndmask_b32 v2, v3, v2 :: v_dual_lshrrev_b32 v3, 16, v1
	s_delay_alu instid0(VALU_DEP_1)
	v_and_or_b32 v2, 0x8000, v3, v2
	global_store_b16 v[4:5], v2, off
.LBB214_1066:
	s_mov_b32 s16, 0
.LBB214_1067:
	s_delay_alu instid0(SALU_CYCLE_1)
	s_and_not1_b32 vcc_lo, exec_lo, s16
	s_cbranch_vccnz .LBB214_1083
; %bb.1068:
	s_sext_i32_i16 s19, s18
	s_mov_b32 s16, -1
	s_cmp_lt_i32 s19, 2
	s_cbranch_scc1 .LBB214_1078
; %bb.1069:
	s_cmp_lt_i32 s19, 3
	s_cbranch_scc1 .LBB214_1075
; %bb.1070:
	s_cmp_gt_i32 s19, 3
	s_cbranch_scc0 .LBB214_1072
; %bb.1071:
	s_wait_loadcnt 0x0
	v_trunc_f64_e32 v[2:3], v[0:1]
	s_mov_b32 s16, 0
	s_delay_alu instid0(VALU_DEP_1) | instskip(NEXT) | instid1(VALU_DEP_1)
	v_ldexp_f64 v[6:7], v[2:3], 0xffffffe0
	v_floor_f64_e32 v[6:7], v[6:7]
	s_delay_alu instid0(VALU_DEP_1) | instskip(SKIP_1) | instid1(VALU_DEP_2)
	v_fmamk_f64 v[2:3], v[6:7], 0xc1f00000, v[2:3]
	v_cvt_i32_f64_e32 v7, v[6:7]
	v_cvt_u32_f64_e32 v6, v[2:3]
	global_store_b64 v[4:5], v[6:7], off
.LBB214_1072:
	s_and_not1_b32 vcc_lo, exec_lo, s16
	s_cbranch_vccnz .LBB214_1074
; %bb.1073:
	s_wait_loadcnt 0x0
	v_cvt_i32_f64_e32 v2, v[0:1]
	global_store_b32 v[4:5], v2, off
.LBB214_1074:
	s_mov_b32 s16, 0
.LBB214_1075:
	s_delay_alu instid0(SALU_CYCLE_1)
	s_and_not1_b32 vcc_lo, exec_lo, s16
	s_cbranch_vccnz .LBB214_1077
; %bb.1076:
	s_wait_loadcnt 0x0
	v_cvt_i32_f64_e32 v2, v[0:1]
	global_store_b16 v[4:5], v2, off
.LBB214_1077:
	s_mov_b32 s16, 0
.LBB214_1078:
	s_delay_alu instid0(SALU_CYCLE_1)
	s_and_not1_b32 vcc_lo, exec_lo, s16
	s_cbranch_vccnz .LBB214_1083
; %bb.1079:
	s_sext_i32_i16 s16, s18
	s_delay_alu instid0(SALU_CYCLE_1)
	s_cmp_gt_i32 s16, 0
	s_mov_b32 s16, -1
	s_cbranch_scc0 .LBB214_1081
; %bb.1080:
	s_wait_loadcnt 0x0
	v_cvt_i32_f64_e32 v2, v[0:1]
	s_mov_b32 s16, 0
	global_store_b8 v[4:5], v2, off
.LBB214_1081:
	s_and_not1_b32 vcc_lo, exec_lo, s16
	s_cbranch_vccnz .LBB214_1083
; %bb.1082:
	s_wait_loadcnt 0x0
	v_trunc_f64_e32 v[0:1], v[0:1]
	s_delay_alu instid0(VALU_DEP_1) | instskip(NEXT) | instid1(VALU_DEP_1)
	v_ldexp_f64 v[2:3], v[0:1], 0xffffffe0
	v_floor_f64_e32 v[2:3], v[2:3]
	s_delay_alu instid0(VALU_DEP_1) | instskip(NEXT) | instid1(VALU_DEP_1)
	v_fmamk_f64 v[0:1], v[2:3], 0xc1f00000, v[0:1]
	v_cvt_u32_f64_e32 v0, v[0:1]
	global_store_b8 v[4:5], v0, off
.LBB214_1083:
	s_wait_xcnt 0x0
	s_or_b32 exec_lo, exec_lo, s0
	s_delay_alu instid0(SALU_CYCLE_1)
	s_and_b32 s16, s17, exec_lo
                                        ; implicit-def: $vgpr14
.LBB214_1084:
	s_or_saveexec_b32 s15, s15
	s_mov_b32 s0, 0
                                        ; implicit-def: $sgpr17
                                        ; implicit-def: $vgpr4_vgpr5
                                        ; implicit-def: $vgpr0_vgpr1
	s_xor_b32 exec_lo, exec_lo, s15
	s_cbranch_execz .LBB214_1647
; %bb.1085:
	s_wait_loadcnt 0x0
	v_mul_lo_u32 v0, s13, v14
	s_and_b32 s0, 0xffff, s3
	s_delay_alu instid0(SALU_CYCLE_1) | instskip(NEXT) | instid1(VALU_DEP_1)
	s_cmp_lt_i32 s0, 11
	v_ashrrev_i32_e32 v1, 31, v0
	s_delay_alu instid0(VALU_DEP_1)
	v_add_nc_u64_e32 v[4:5], s[6:7], v[0:1]
	s_cbranch_scc1 .LBB214_1092
; %bb.1086:
	s_cmp_gt_i32 s0, 25
	s_mov_b32 s3, 0
	s_cbranch_scc0 .LBB214_1094
; %bb.1087:
	s_cmp_gt_i32 s0, 28
	s_cbranch_scc0 .LBB214_1095
; %bb.1088:
	s_cmp_gt_i32 s0, 43
	;; [unrolled: 3-line block ×3, first 2 shown]
	s_cbranch_scc0 .LBB214_1097
; %bb.1090:
	s_cmp_eq_u32 s0, 46
	s_mov_b32 s18, 0
	s_cbranch_scc0 .LBB214_1100
; %bb.1091:
	global_load_b32 v1, v[4:5], off
	s_mov_b32 s17, -1
	s_wait_loadcnt 0x0
	v_lshlrev_b32_e32 v1, 16, v1
	s_delay_alu instid0(VALU_DEP_1)
	v_cvt_f64_f32_e32 v[2:3], v1
	s_branch .LBB214_1102
.LBB214_1092:
	s_mov_b32 s17, 0
	s_mov_b32 s1, s16
                                        ; implicit-def: $vgpr2_vgpr3
	s_cbranch_execnz .LBB214_1165
.LBB214_1093:
	s_and_not1_b32 vcc_lo, exec_lo, s17
	s_cbranch_vccz .LBB214_1210
	s_branch .LBB214_1645
.LBB214_1094:
	s_mov_b32 s17, 0
                                        ; implicit-def: $vgpr2_vgpr3
	s_cbranch_execnz .LBB214_1130
	s_branch .LBB214_1161
.LBB214_1095:
	s_mov_b32 s18, -1
	s_mov_b32 s17, 0
                                        ; implicit-def: $vgpr2_vgpr3
	s_branch .LBB214_1111
.LBB214_1096:
	s_mov_b32 s17, 0
                                        ; implicit-def: $vgpr2_vgpr3
	s_cbranch_execnz .LBB214_1107
	s_branch .LBB214_1110
.LBB214_1097:
	s_mov_b32 s18, -1
	s_branch .LBB214_1101
.LBB214_1098:
	s_and_not1_saveexec_b32 s23, s23
	s_cbranch_execz .LBB214_997
.LBB214_1099:
	v_add_f32_e64 v3, 0x46000000, |v2|
	s_and_not1_b32 s22, s22, exec_lo
	s_delay_alu instid0(VALU_DEP_1) | instskip(NEXT) | instid1(VALU_DEP_1)
	v_and_b32_e32 v3, 0xff, v3
	v_cmp_ne_u32_e32 vcc_lo, 0, v3
	s_and_b32 s24, vcc_lo, exec_lo
	s_delay_alu instid0(SALU_CYCLE_1)
	s_or_b32 s22, s22, s24
	s_or_b32 exec_lo, exec_lo, s23
	v_mov_b32_e32 v6, 0
	s_and_saveexec_b32 s23, s22
	s_cbranch_execnz .LBB214_998
	s_branch .LBB214_999
.LBB214_1100:
	s_mov_b32 s1, -1
.LBB214_1101:
	s_mov_b32 s17, 0
                                        ; implicit-def: $vgpr2_vgpr3
.LBB214_1102:
	s_and_b32 vcc_lo, exec_lo, s18
	s_cbranch_vccz .LBB214_1105
; %bb.1103:
	s_cmp_eq_u32 s0, 44
	s_cbranch_scc0 .LBB214_1106
; %bb.1104:
	global_load_u8 v1, v[4:5], off
	s_mov_b32 s1, 0
	s_mov_b32 s17, -1
	s_wait_loadcnt 0x0
	v_cmp_ne_u32_e32 vcc_lo, 0xff, v1
	v_lshlrev_b32_e32 v2, 23, v1
	s_delay_alu instid0(VALU_DEP_1) | instskip(NEXT) | instid1(VALU_DEP_1)
	v_cvt_f64_f32_e32 v[2:3], v2
	v_cndmask_b32_e32 v2, 0x20000000, v2, vcc_lo
	s_delay_alu instid0(VALU_DEP_2) | instskip(SKIP_1) | instid1(VALU_DEP_2)
	v_cndmask_b32_e32 v3, 0x7ff80000, v3, vcc_lo
	v_cmp_ne_u32_e32 vcc_lo, 0, v1
	v_cndmask_b32_e32 v3, 0x38000000, v3, vcc_lo
	s_delay_alu instid0(VALU_DEP_4)
	v_cndmask_b32_e32 v2, 0, v2, vcc_lo
.LBB214_1105:
	s_branch .LBB214_1110
.LBB214_1106:
	s_mov_b32 s1, -1
                                        ; implicit-def: $vgpr2_vgpr3
	s_branch .LBB214_1110
.LBB214_1107:
	s_cmp_eq_u32 s0, 29
	s_cbranch_scc0 .LBB214_1109
; %bb.1108:
	global_load_b64 v[2:3], v[4:5], off
	s_mov_b32 s1, 0
	s_mov_b32 s17, -1
	s_mov_b32 s18, 0
	s_wait_loadcnt 0x0
	v_cvt_f64_u32_e32 v[6:7], v3
	v_cvt_f64_u32_e32 v[2:3], v2
	s_delay_alu instid0(VALU_DEP_2) | instskip(NEXT) | instid1(VALU_DEP_1)
	v_ldexp_f64 v[6:7], v[6:7], 32
	v_add_f64_e32 v[2:3], v[6:7], v[2:3]
	s_branch .LBB214_1111
.LBB214_1109:
	s_mov_b32 s1, -1
                                        ; implicit-def: $vgpr2_vgpr3
.LBB214_1110:
	s_mov_b32 s18, 0
.LBB214_1111:
	s_delay_alu instid0(SALU_CYCLE_1)
	s_and_b32 vcc_lo, exec_lo, s18
	s_cbranch_vccz .LBB214_1129
; %bb.1112:
	s_cmp_lt_i32 s0, 27
	s_cbranch_scc1 .LBB214_1115
; %bb.1113:
	s_cmp_gt_i32 s0, 27
	s_cbranch_scc0 .LBB214_1116
; %bb.1114:
	global_load_b32 v1, v[4:5], off
	s_mov_b32 s17, 0
	s_wait_loadcnt 0x0
	v_cvt_f64_u32_e32 v[2:3], v1
	s_branch .LBB214_1117
.LBB214_1115:
	s_mov_b32 s17, -1
                                        ; implicit-def: $vgpr2_vgpr3
	s_branch .LBB214_1120
.LBB214_1116:
	s_mov_b32 s17, -1
                                        ; implicit-def: $vgpr2_vgpr3
.LBB214_1117:
	s_delay_alu instid0(SALU_CYCLE_1)
	s_and_not1_b32 vcc_lo, exec_lo, s17
	s_cbranch_vccnz .LBB214_1119
; %bb.1118:
	global_load_u16 v1, v[4:5], off
	s_wait_loadcnt 0x0
	v_cvt_f64_u32_e32 v[2:3], v1
.LBB214_1119:
	s_mov_b32 s17, 0
.LBB214_1120:
	s_delay_alu instid0(SALU_CYCLE_1)
	s_and_not1_b32 vcc_lo, exec_lo, s17
	s_cbranch_vccnz .LBB214_1128
; %bb.1121:
	global_load_u8 v1, v[4:5], off
	s_mov_b32 s17, 0
	s_mov_b32 s18, exec_lo
	s_wait_loadcnt 0x0
	v_cmpx_lt_i16_e32 0x7f, v1
	s_xor_b32 s18, exec_lo, s18
	s_cbranch_execz .LBB214_1141
; %bb.1122:
	s_mov_b32 s17, -1
	s_mov_b32 s19, exec_lo
	v_cmpx_eq_u16_e32 0x80, v1
; %bb.1123:
	s_xor_b32 s17, exec_lo, -1
; %bb.1124:
	s_or_b32 exec_lo, exec_lo, s19
	s_delay_alu instid0(SALU_CYCLE_1)
	s_and_b32 s17, s17, exec_lo
	s_or_saveexec_b32 s18, s18
	v_mov_b64_e32 v[2:3], 0x7ff8000020000000
	s_xor_b32 exec_lo, exec_lo, s18
	s_cbranch_execnz .LBB214_1142
.LBB214_1125:
	s_or_b32 exec_lo, exec_lo, s18
	s_and_saveexec_b32 s18, s17
	s_cbranch_execz .LBB214_1127
.LBB214_1126:
	v_and_b32_e32 v2, 0xffff, v1
	s_delay_alu instid0(VALU_DEP_1) | instskip(SKIP_1) | instid1(VALU_DEP_2)
	v_dual_lshlrev_b32 v1, 24, v1 :: v_dual_bitop2_b32 v3, 7, v2 bitop3:0x40
	v_bfe_u32 v8, v2, 3, 4
	v_and_b32_e32 v1, 0x80000000, v1
	s_delay_alu instid0(VALU_DEP_3) | instskip(NEXT) | instid1(VALU_DEP_3)
	v_clz_i32_u32_e32 v6, v3
	v_cmp_eq_u32_e32 vcc_lo, 0, v8
	s_delay_alu instid0(VALU_DEP_2) | instskip(NEXT) | instid1(VALU_DEP_1)
	v_min_u32_e32 v6, 32, v6
	v_subrev_nc_u32_e32 v7, 28, v6
	v_sub_nc_u32_e32 v6, 29, v6
	s_delay_alu instid0(VALU_DEP_2) | instskip(NEXT) | instid1(VALU_DEP_2)
	v_lshlrev_b32_e32 v2, v7, v2
	v_cndmask_b32_e32 v6, v8, v6, vcc_lo
	s_delay_alu instid0(VALU_DEP_2) | instskip(NEXT) | instid1(VALU_DEP_1)
	v_and_b32_e32 v2, 7, v2
	v_cndmask_b32_e32 v2, v3, v2, vcc_lo
	s_delay_alu instid0(VALU_DEP_3) | instskip(NEXT) | instid1(VALU_DEP_2)
	v_lshl_add_u32 v3, v6, 23, 0x3b800000
	v_lshlrev_b32_e32 v2, 20, v2
	s_delay_alu instid0(VALU_DEP_1) | instskip(NEXT) | instid1(VALU_DEP_1)
	v_or3_b32 v1, v1, v3, v2
	v_cvt_f64_f32_e32 v[2:3], v1
.LBB214_1127:
	s_or_b32 exec_lo, exec_lo, s18
.LBB214_1128:
	s_mov_b32 s17, -1
.LBB214_1129:
	s_branch .LBB214_1161
.LBB214_1130:
	s_cmp_gt_i32 s0, 22
	s_cbranch_scc0 .LBB214_1140
; %bb.1131:
	s_cmp_lt_i32 s0, 24
	s_cbranch_scc1 .LBB214_1143
; %bb.1132:
	s_cmp_gt_i32 s0, 24
	s_cbranch_scc0 .LBB214_1144
; %bb.1133:
	global_load_u8 v1, v[4:5], off
	s_mov_b32 s17, exec_lo
	s_wait_loadcnt 0x0
	v_cmpx_lt_i16_e32 0x7f, v1
	s_xor_b32 s17, exec_lo, s17
	s_cbranch_execz .LBB214_1155
; %bb.1134:
	s_mov_b32 s3, -1
	s_mov_b32 s18, exec_lo
	v_cmpx_eq_u16_e32 0x80, v1
; %bb.1135:
	s_xor_b32 s3, exec_lo, -1
; %bb.1136:
	s_or_b32 exec_lo, exec_lo, s18
	s_delay_alu instid0(SALU_CYCLE_1)
	s_and_b32 s3, s3, exec_lo
	s_or_saveexec_b32 s17, s17
	v_mov_b64_e32 v[2:3], 0x7ff8000020000000
	s_xor_b32 exec_lo, exec_lo, s17
	s_cbranch_execnz .LBB214_1156
.LBB214_1137:
	s_or_b32 exec_lo, exec_lo, s17
	s_and_saveexec_b32 s17, s3
	s_cbranch_execz .LBB214_1139
.LBB214_1138:
	v_and_b32_e32 v2, 0xffff, v1
	s_delay_alu instid0(VALU_DEP_1) | instskip(SKIP_1) | instid1(VALU_DEP_2)
	v_dual_lshlrev_b32 v1, 24, v1 :: v_dual_bitop2_b32 v3, 3, v2 bitop3:0x40
	v_bfe_u32 v8, v2, 2, 5
	v_and_b32_e32 v1, 0x80000000, v1
	s_delay_alu instid0(VALU_DEP_3) | instskip(NEXT) | instid1(VALU_DEP_3)
	v_clz_i32_u32_e32 v6, v3
	v_cmp_eq_u32_e32 vcc_lo, 0, v8
	s_delay_alu instid0(VALU_DEP_2) | instskip(NEXT) | instid1(VALU_DEP_1)
	v_min_u32_e32 v6, 32, v6
	v_subrev_nc_u32_e32 v7, 29, v6
	v_sub_nc_u32_e32 v6, 30, v6
	s_delay_alu instid0(VALU_DEP_2) | instskip(NEXT) | instid1(VALU_DEP_2)
	v_lshlrev_b32_e32 v2, v7, v2
	v_cndmask_b32_e32 v6, v8, v6, vcc_lo
	s_delay_alu instid0(VALU_DEP_2) | instskip(NEXT) | instid1(VALU_DEP_1)
	v_and_b32_e32 v2, 3, v2
	v_cndmask_b32_e32 v2, v3, v2, vcc_lo
	s_delay_alu instid0(VALU_DEP_3) | instskip(NEXT) | instid1(VALU_DEP_2)
	v_lshl_add_u32 v3, v6, 23, 0x37800000
	v_lshlrev_b32_e32 v2, 21, v2
	s_delay_alu instid0(VALU_DEP_1) | instskip(NEXT) | instid1(VALU_DEP_1)
	v_or3_b32 v1, v1, v3, v2
	v_cvt_f64_f32_e32 v[2:3], v1
.LBB214_1139:
	s_or_b32 exec_lo, exec_lo, s17
	s_mov_b32 s3, 0
	s_branch .LBB214_1145
.LBB214_1140:
                                        ; implicit-def: $vgpr2_vgpr3
	s_mov_b32 s3, 0
	s_branch .LBB214_1151
.LBB214_1141:
	s_or_saveexec_b32 s18, s18
	v_mov_b64_e32 v[2:3], 0x7ff8000020000000
	s_xor_b32 exec_lo, exec_lo, s18
	s_cbranch_execz .LBB214_1125
.LBB214_1142:
	v_cmp_ne_u16_e32 vcc_lo, 0, v1
	v_mov_b64_e32 v[2:3], 0
	s_and_not1_b32 s17, s17, exec_lo
	s_and_b32 s19, vcc_lo, exec_lo
	s_delay_alu instid0(SALU_CYCLE_1)
	s_or_b32 s17, s17, s19
	s_or_b32 exec_lo, exec_lo, s18
	s_and_saveexec_b32 s18, s17
	s_cbranch_execnz .LBB214_1126
	s_branch .LBB214_1127
.LBB214_1143:
	s_mov_b32 s3, -1
                                        ; implicit-def: $vgpr2_vgpr3
	s_branch .LBB214_1148
.LBB214_1144:
	s_mov_b32 s3, -1
                                        ; implicit-def: $vgpr2_vgpr3
.LBB214_1145:
	s_delay_alu instid0(SALU_CYCLE_1)
	s_and_b32 vcc_lo, exec_lo, s3
	s_cbranch_vccz .LBB214_1147
; %bb.1146:
	global_load_u8 v1, v[4:5], off
	s_wait_loadcnt 0x0
	v_lshlrev_b32_e32 v1, 24, v1
	s_delay_alu instid0(VALU_DEP_1) | instskip(NEXT) | instid1(VALU_DEP_1)
	v_and_b32_e32 v2, 0x7f000000, v1
	v_clz_i32_u32_e32 v3, v2
	v_cmp_ne_u32_e32 vcc_lo, 0, v2
	v_add_nc_u32_e32 v7, 0x1000000, v2
	s_delay_alu instid0(VALU_DEP_3) | instskip(NEXT) | instid1(VALU_DEP_1)
	v_min_u32_e32 v3, 32, v3
	v_sub_nc_u32_e64 v3, v3, 4 clamp
	s_delay_alu instid0(VALU_DEP_1) | instskip(NEXT) | instid1(VALU_DEP_1)
	v_dual_lshlrev_b32 v6, v3, v2 :: v_dual_lshlrev_b32 v3, 23, v3
	v_lshrrev_b32_e32 v6, 4, v6
	s_delay_alu instid0(VALU_DEP_1) | instskip(SKIP_1) | instid1(VALU_DEP_2)
	v_sub_nc_u32_e32 v3, v6, v3
	v_ashrrev_i32_e32 v6, 8, v7
	v_add_nc_u32_e32 v3, 0x3c000000, v3
	s_delay_alu instid0(VALU_DEP_1) | instskip(NEXT) | instid1(VALU_DEP_1)
	v_and_or_b32 v3, 0x7f800000, v6, v3
	v_cndmask_b32_e32 v2, 0, v3, vcc_lo
	s_delay_alu instid0(VALU_DEP_1) | instskip(NEXT) | instid1(VALU_DEP_1)
	v_and_or_b32 v1, 0x80000000, v1, v2
	v_cvt_f64_f32_e32 v[2:3], v1
.LBB214_1147:
	s_mov_b32 s3, 0
.LBB214_1148:
	s_delay_alu instid0(SALU_CYCLE_1)
	s_and_not1_b32 vcc_lo, exec_lo, s3
	s_cbranch_vccnz .LBB214_1150
; %bb.1149:
	global_load_u8 v1, v[4:5], off
	s_wait_loadcnt 0x0
	v_lshlrev_b32_e32 v2, 25, v1
	v_lshlrev_b16 v1, 8, v1
	s_delay_alu instid0(VALU_DEP_1) | instskip(SKIP_1) | instid1(VALU_DEP_2)
	v_and_or_b32 v6, 0x7f00, v1, 0.5
	v_bfe_i32 v1, v1, 0, 16
	v_add_f32_e32 v6, -0.5, v6
	v_lshrrev_b32_e32 v3, 4, v2
	v_cmp_gt_u32_e32 vcc_lo, 0x8000000, v2
	s_delay_alu instid0(VALU_DEP_2) | instskip(NEXT) | instid1(VALU_DEP_1)
	v_or_b32_e32 v3, 0x70000000, v3
	v_mul_f32_e32 v3, 0x7800000, v3
	s_delay_alu instid0(VALU_DEP_1) | instskip(NEXT) | instid1(VALU_DEP_1)
	v_cndmask_b32_e32 v2, v3, v6, vcc_lo
	v_and_or_b32 v1, 0x80000000, v1, v2
	s_delay_alu instid0(VALU_DEP_1)
	v_cvt_f64_f32_e32 v[2:3], v1
.LBB214_1150:
	s_mov_b32 s17, -1
	s_mov_b32 s3, 0
	s_cbranch_execnz .LBB214_1161
.LBB214_1151:
	s_cmp_gt_i32 s0, 14
	s_cbranch_scc0 .LBB214_1154
; %bb.1152:
	s_cmp_eq_u32 s0, 15
	s_cbranch_scc0 .LBB214_1157
; %bb.1153:
	global_load_u16 v1, v[4:5], off
	s_mov_b32 s1, 0
	s_mov_b32 s17, -1
	s_wait_loadcnt 0x0
	v_lshlrev_b32_e32 v1, 16, v1
	s_delay_alu instid0(VALU_DEP_1)
	v_cvt_f64_f32_e32 v[2:3], v1
	s_branch .LBB214_1159
.LBB214_1154:
	s_mov_b32 s3, -1
	s_branch .LBB214_1158
.LBB214_1155:
	s_or_saveexec_b32 s17, s17
	v_mov_b64_e32 v[2:3], 0x7ff8000020000000
	s_xor_b32 exec_lo, exec_lo, s17
	s_cbranch_execz .LBB214_1137
.LBB214_1156:
	v_cmp_ne_u16_e32 vcc_lo, 0, v1
	v_mov_b64_e32 v[2:3], 0
	s_and_not1_b32 s3, s3, exec_lo
	s_and_b32 s18, vcc_lo, exec_lo
	s_delay_alu instid0(SALU_CYCLE_1)
	s_or_b32 s3, s3, s18
	s_or_b32 exec_lo, exec_lo, s17
	s_and_saveexec_b32 s17, s3
	s_cbranch_execnz .LBB214_1138
	s_branch .LBB214_1139
.LBB214_1157:
	s_mov_b32 s1, -1
.LBB214_1158:
                                        ; implicit-def: $vgpr2_vgpr3
.LBB214_1159:
	s_and_b32 vcc_lo, exec_lo, s3
	s_mov_b32 s3, 0
	s_cbranch_vccz .LBB214_1161
; %bb.1160:
	s_cmp_lg_u32 s0, 11
	s_mov_b32 s3, -1
	s_cselect_b32 s1, -1, 0
.LBB214_1161:
	s_delay_alu instid0(SALU_CYCLE_1)
	s_and_b32 vcc_lo, exec_lo, s1
	s_mov_b32 s1, s16
	s_cbranch_vccnz .LBB214_1235
; %bb.1162:
	s_and_not1_b32 vcc_lo, exec_lo, s3
	s_cbranch_vccnz .LBB214_1164
.LBB214_1163:
	global_load_u8 v1, v[4:5], off
	v_mov_b32_e32 v2, 0
	s_mov_b32 s17, -1
	s_wait_loadcnt 0x0
	v_cmp_ne_u16_e32 vcc_lo, 0, v1
	v_cndmask_b32_e64 v3, 0, 0x3ff00000, vcc_lo
.LBB214_1164:
	s_branch .LBB214_1093
.LBB214_1165:
	s_cmp_lt_i32 s0, 5
	s_cbranch_scc1 .LBB214_1170
; %bb.1166:
	s_cmp_lt_i32 s0, 8
	s_cbranch_scc1 .LBB214_1171
; %bb.1167:
	;; [unrolled: 3-line block ×3, first 2 shown]
	s_cmp_gt_i32 s0, 9
	s_cbranch_scc0 .LBB214_1173
; %bb.1169:
	global_load_b64 v[2:3], v[4:5], off
	s_mov_b32 s3, 0
	s_branch .LBB214_1174
.LBB214_1170:
                                        ; implicit-def: $vgpr2_vgpr3
	s_branch .LBB214_1191
.LBB214_1171:
                                        ; implicit-def: $vgpr2_vgpr3
	s_branch .LBB214_1180
.LBB214_1172:
	s_mov_b32 s3, -1
                                        ; implicit-def: $vgpr2_vgpr3
	s_branch .LBB214_1177
.LBB214_1173:
	s_mov_b32 s3, -1
                                        ; implicit-def: $vgpr2_vgpr3
.LBB214_1174:
	s_delay_alu instid0(SALU_CYCLE_1)
	s_and_not1_b32 vcc_lo, exec_lo, s3
	s_cbranch_vccnz .LBB214_1176
; %bb.1175:
	global_load_b32 v1, v[4:5], off
	s_wait_loadcnt 0x0
	v_cvt_f64_f32_e32 v[2:3], v1
.LBB214_1176:
	s_mov_b32 s3, 0
.LBB214_1177:
	s_delay_alu instid0(SALU_CYCLE_1)
	s_and_not1_b32 vcc_lo, exec_lo, s3
	s_cbranch_vccnz .LBB214_1179
; %bb.1178:
	global_load_b32 v1, v[4:5], off
	s_wait_loadcnt 0x0
	v_cvt_f32_f16_e32 v1, v1
	s_delay_alu instid0(VALU_DEP_1)
	v_cvt_f64_f32_e32 v[2:3], v1
.LBB214_1179:
	s_cbranch_execnz .LBB214_1190
.LBB214_1180:
	s_cmp_lt_i32 s0, 6
	s_cbranch_scc1 .LBB214_1183
; %bb.1181:
	s_cmp_gt_i32 s0, 6
	s_cbranch_scc0 .LBB214_1184
; %bb.1182:
	s_wait_loadcnt 0x0
	global_load_b64 v[2:3], v[4:5], off
	s_mov_b32 s3, 0
	s_branch .LBB214_1185
.LBB214_1183:
	s_mov_b32 s3, -1
                                        ; implicit-def: $vgpr2_vgpr3
	s_branch .LBB214_1188
.LBB214_1184:
	s_mov_b32 s3, -1
                                        ; implicit-def: $vgpr2_vgpr3
.LBB214_1185:
	s_delay_alu instid0(SALU_CYCLE_1)
	s_and_not1_b32 vcc_lo, exec_lo, s3
	s_cbranch_vccnz .LBB214_1187
; %bb.1186:
	global_load_b32 v1, v[4:5], off
	s_wait_loadcnt 0x0
	v_cvt_f64_f32_e32 v[2:3], v1
.LBB214_1187:
	s_mov_b32 s3, 0
.LBB214_1188:
	s_delay_alu instid0(SALU_CYCLE_1)
	s_and_not1_b32 vcc_lo, exec_lo, s3
	s_cbranch_vccnz .LBB214_1190
; %bb.1189:
	global_load_u16 v1, v[4:5], off
	s_wait_loadcnt 0x0
	v_cvt_f32_f16_e32 v1, v1
	s_delay_alu instid0(VALU_DEP_1)
	v_cvt_f64_f32_e32 v[2:3], v1
.LBB214_1190:
	s_cbranch_execnz .LBB214_1209
.LBB214_1191:
	s_cmp_lt_i32 s0, 2
	s_cbranch_scc1 .LBB214_1195
; %bb.1192:
	s_cmp_lt_i32 s0, 3
	s_cbranch_scc1 .LBB214_1196
; %bb.1193:
	s_cmp_gt_i32 s0, 3
	s_cbranch_scc0 .LBB214_1197
; %bb.1194:
	s_wait_loadcnt 0x0
	global_load_b64 v[2:3], v[4:5], off
	s_mov_b32 s3, 0
	s_wait_loadcnt 0x0
	v_cvt_f64_i32_e32 v[6:7], v3
	v_cvt_f64_u32_e32 v[2:3], v2
	s_delay_alu instid0(VALU_DEP_2) | instskip(NEXT) | instid1(VALU_DEP_1)
	v_ldexp_f64 v[6:7], v[6:7], 32
	v_add_f64_e32 v[2:3], v[6:7], v[2:3]
	s_branch .LBB214_1198
.LBB214_1195:
                                        ; implicit-def: $vgpr2_vgpr3
	s_branch .LBB214_1204
.LBB214_1196:
	s_mov_b32 s3, -1
                                        ; implicit-def: $vgpr2_vgpr3
	s_branch .LBB214_1201
.LBB214_1197:
	s_mov_b32 s3, -1
                                        ; implicit-def: $vgpr2_vgpr3
.LBB214_1198:
	s_delay_alu instid0(SALU_CYCLE_1)
	s_and_not1_b32 vcc_lo, exec_lo, s3
	s_cbranch_vccnz .LBB214_1200
; %bb.1199:
	global_load_b32 v1, v[4:5], off
	s_wait_loadcnt 0x0
	v_cvt_f64_i32_e32 v[2:3], v1
.LBB214_1200:
	s_mov_b32 s3, 0
.LBB214_1201:
	s_delay_alu instid0(SALU_CYCLE_1)
	s_and_not1_b32 vcc_lo, exec_lo, s3
	s_cbranch_vccnz .LBB214_1203
; %bb.1202:
	global_load_i16 v1, v[4:5], off
	s_wait_loadcnt 0x0
	v_cvt_f64_i32_e32 v[2:3], v1
.LBB214_1203:
	s_cbranch_execnz .LBB214_1209
.LBB214_1204:
	s_cmp_gt_i32 s0, 0
	s_mov_b32 s3, 0
	s_cbranch_scc0 .LBB214_1206
; %bb.1205:
	global_load_i8 v1, v[4:5], off
	s_wait_loadcnt 0x0
	v_cvt_f64_i32_e32 v[2:3], v1
	s_branch .LBB214_1207
.LBB214_1206:
	s_mov_b32 s3, -1
                                        ; implicit-def: $vgpr2_vgpr3
.LBB214_1207:
	s_delay_alu instid0(SALU_CYCLE_1)
	s_and_not1_b32 vcc_lo, exec_lo, s3
	s_cbranch_vccnz .LBB214_1209
; %bb.1208:
	global_load_u8 v1, v[4:5], off
	s_wait_loadcnt 0x0
	v_cvt_f64_u32_e32 v[2:3], v1
.LBB214_1209:
.LBB214_1210:
	s_mov_b32 s3, exec_lo
	s_wait_loadcnt 0x0
	s_delay_alu instid0(VALU_DEP_1)
	v_cmpx_o_f64_e32 v[2:3], v[2:3]
	s_cbranch_execz .LBB214_1223
; %bb.1211:
	s_cmp_lt_i32 s14, 1
	s_mov_b32 s17, 0
	s_cbranch_scc1 .LBB214_1214
; %bb.1212:
	s_cmp_eq_u32 s14, 1
	s_cbranch_scc0 .LBB214_1215
; %bb.1213:
	v_max_num_f64_e64 v[4:5], s[8:9], s[8:9]
	v_max_num_f64_e32 v[6:7], v[2:3], v[2:3]
	s_mov_b32 s18, 0
	s_delay_alu instid0(VALU_DEP_1)
	v_min_num_f64_e32 v[4:5], v[6:7], v[4:5]
	s_branch .LBB214_1216
.LBB214_1214:
	s_mov_b32 s18, 0
                                        ; implicit-def: $vgpr4_vgpr5
	s_cbranch_execnz .LBB214_1217
	s_branch .LBB214_1218
.LBB214_1215:
	s_mov_b32 s18, -1
                                        ; implicit-def: $vgpr4_vgpr5
.LBB214_1216:
	s_branch .LBB214_1218
.LBB214_1217:
	s_cmp_lg_u32 s14, 0
	s_mov_b32 s17, -1
	s_cselect_b32 s18, -1, 0
.LBB214_1218:
	v_max_num_f64_e32 v[2:3], v[2:3], v[2:3]
	s_and_not1_b32 vcc_lo, exec_lo, s18
	s_cbranch_vccnz .LBB214_1220
; %bb.1219:
	v_max_num_f64_e64 v[4:5], s[8:9], s[8:9]
	v_max_num_f64_e64 v[6:7], s[10:11], s[10:11]
	s_delay_alu instid0(VALU_DEP_2) | instskip(NEXT) | instid1(VALU_DEP_1)
	v_max_num_f64_e32 v[4:5], v[2:3], v[4:5]
	v_min_num_f64_e32 v[4:5], v[4:5], v[6:7]
	s_cbranch_execz .LBB214_1221
	s_branch .LBB214_1222
.LBB214_1220:
	s_and_not1_b32 vcc_lo, exec_lo, s17
	s_cbranch_vccnz .LBB214_1222
.LBB214_1221:
	v_max_num_f64_e64 v[4:5], s[8:9], s[8:9]
	s_delay_alu instid0(VALU_DEP_1)
	v_max_num_f64_e32 v[4:5], v[2:3], v[4:5]
.LBB214_1222:
	s_delay_alu instid0(VALU_DEP_1)
	v_mov_b64_e32 v[2:3], v[4:5]
.LBB214_1223:
	s_or_b32 exec_lo, exec_lo, s3
	s_lshl_b32 s3, s13, 7
	s_cmp_lt_i32 s0, 11
	v_add_nc_u32_e32 v0, s3, v0
	s_delay_alu instid0(VALU_DEP_1) | instskip(NEXT) | instid1(VALU_DEP_1)
	v_ashrrev_i32_e32 v1, 31, v0
	v_add_nc_u64_e32 v[4:5], s[6:7], v[0:1]
	s_cbranch_scc1 .LBB214_1230
; %bb.1224:
	s_cmp_gt_i32 s0, 25
	s_mov_b32 s17, 0
	s_cbranch_scc0 .LBB214_1232
; %bb.1225:
	s_cmp_gt_i32 s0, 28
	s_cbranch_scc0 .LBB214_1233
; %bb.1226:
	s_cmp_gt_i32 s0, 43
	;; [unrolled: 3-line block ×3, first 2 shown]
	s_cbranch_scc0 .LBB214_1236
; %bb.1228:
	s_cmp_eq_u32 s0, 46
	s_mov_b32 s19, 0
	s_cbranch_scc0 .LBB214_1239
; %bb.1229:
	global_load_b32 v1, v[4:5], off
	s_mov_b32 s13, 0
	s_mov_b32 s18, -1
	s_wait_loadcnt 0x0
	v_lshlrev_b32_e32 v1, 16, v1
	s_delay_alu instid0(VALU_DEP_1)
	v_cvt_f64_f32_e32 v[6:7], v1
	s_branch .LBB214_1241
.LBB214_1230:
	s_mov_b32 s18, 0
                                        ; implicit-def: $vgpr6_vgpr7
	s_cbranch_execnz .LBB214_1306
.LBB214_1231:
	s_and_not1_b32 vcc_lo, exec_lo, s18
	s_cbranch_vccnz .LBB214_1645
	s_branch .LBB214_1353
.LBB214_1232:
	s_mov_b32 s18, 0
	s_mov_b32 s13, 0
                                        ; implicit-def: $vgpr6_vgpr7
	s_cbranch_execnz .LBB214_1270
	s_branch .LBB214_1302
.LBB214_1233:
	s_mov_b32 s19, -1
	s_mov_b32 s18, 0
	s_mov_b32 s13, 0
                                        ; implicit-def: $vgpr6_vgpr7
	s_branch .LBB214_1251
.LBB214_1234:
	s_mov_b32 s19, -1
	s_mov_b32 s18, 0
	s_mov_b32 s13, 0
                                        ; implicit-def: $vgpr6_vgpr7
	s_branch .LBB214_1246
.LBB214_1235:
	s_or_b32 s1, s16, exec_lo
	s_trap 2
	s_cbranch_execz .LBB214_1163
	s_branch .LBB214_1164
.LBB214_1236:
	s_mov_b32 s19, -1
	s_mov_b32 s18, 0
	s_mov_b32 s13, 0
	s_branch .LBB214_1240
.LBB214_1237:
	s_and_not1_saveexec_b32 s24, s24
	s_cbranch_execz .LBB214_1009
.LBB214_1238:
	v_add_f32_e64 v3, 0x42800000, |v2|
	s_and_not1_b32 s23, s23, exec_lo
	s_delay_alu instid0(VALU_DEP_1) | instskip(NEXT) | instid1(VALU_DEP_1)
	v_and_b32_e32 v3, 0xff, v3
	v_cmp_ne_u32_e32 vcc_lo, 0, v3
	s_and_b32 s25, vcc_lo, exec_lo
	s_delay_alu instid0(SALU_CYCLE_1)
	s_or_b32 s23, s23, s25
	s_or_b32 exec_lo, exec_lo, s24
	v_mov_b32_e32 v6, 0
	s_and_saveexec_b32 s24, s23
	s_cbranch_execnz .LBB214_1010
	s_branch .LBB214_1011
.LBB214_1239:
	s_mov_b32 s13, -1
	s_mov_b32 s18, 0
.LBB214_1240:
                                        ; implicit-def: $vgpr6_vgpr7
.LBB214_1241:
	s_and_b32 vcc_lo, exec_lo, s19
	s_cbranch_vccz .LBB214_1245
; %bb.1242:
	s_cmp_eq_u32 s0, 44
	s_cbranch_scc0 .LBB214_1244
; %bb.1243:
	global_load_u8 v1, v[4:5], off
	s_mov_b32 s13, 0
	s_mov_b32 s18, -1
	s_wait_loadcnt 0x0
	v_cmp_ne_u32_e32 vcc_lo, 0xff, v1
	v_lshlrev_b32_e32 v6, 23, v1
	s_delay_alu instid0(VALU_DEP_1) | instskip(NEXT) | instid1(VALU_DEP_1)
	v_cvt_f64_f32_e32 v[6:7], v6
	v_cndmask_b32_e32 v6, 0x20000000, v6, vcc_lo
	s_delay_alu instid0(VALU_DEP_2) | instskip(SKIP_1) | instid1(VALU_DEP_2)
	v_cndmask_b32_e32 v7, 0x7ff80000, v7, vcc_lo
	v_cmp_ne_u32_e32 vcc_lo, 0, v1
	v_cndmask_b32_e32 v7, 0x38000000, v7, vcc_lo
	s_delay_alu instid0(VALU_DEP_4)
	v_cndmask_b32_e32 v6, 0, v6, vcc_lo
	s_branch .LBB214_1245
.LBB214_1244:
	s_mov_b32 s13, -1
                                        ; implicit-def: $vgpr6_vgpr7
.LBB214_1245:
	s_mov_b32 s19, 0
.LBB214_1246:
	s_delay_alu instid0(SALU_CYCLE_1)
	s_and_b32 vcc_lo, exec_lo, s19
	s_cbranch_vccz .LBB214_1250
; %bb.1247:
	s_cmp_eq_u32 s0, 29
	s_cbranch_scc0 .LBB214_1249
; %bb.1248:
	global_load_b64 v[6:7], v[4:5], off
	s_mov_b32 s13, 0
	s_mov_b32 s18, -1
	s_mov_b32 s19, 0
	s_wait_loadcnt 0x0
	v_cvt_f64_u32_e32 v[8:9], v7
	v_cvt_f64_u32_e32 v[6:7], v6
	s_delay_alu instid0(VALU_DEP_2) | instskip(NEXT) | instid1(VALU_DEP_1)
	v_ldexp_f64 v[8:9], v[8:9], 32
	v_add_f64_e32 v[6:7], v[8:9], v[6:7]
	s_branch .LBB214_1251
.LBB214_1249:
	s_mov_b32 s13, -1
                                        ; implicit-def: $vgpr6_vgpr7
.LBB214_1250:
	s_mov_b32 s19, 0
.LBB214_1251:
	s_delay_alu instid0(SALU_CYCLE_1)
	s_and_b32 vcc_lo, exec_lo, s19
	s_cbranch_vccz .LBB214_1269
; %bb.1252:
	s_cmp_lt_i32 s0, 27
	s_cbranch_scc1 .LBB214_1255
; %bb.1253:
	s_cmp_gt_i32 s0, 27
	s_cbranch_scc0 .LBB214_1256
; %bb.1254:
	global_load_b32 v1, v[4:5], off
	s_mov_b32 s18, 0
	s_wait_loadcnt 0x0
	v_cvt_f64_u32_e32 v[6:7], v1
	s_branch .LBB214_1257
.LBB214_1255:
	s_mov_b32 s18, -1
                                        ; implicit-def: $vgpr6_vgpr7
	s_branch .LBB214_1260
.LBB214_1256:
	s_mov_b32 s18, -1
                                        ; implicit-def: $vgpr6_vgpr7
.LBB214_1257:
	s_delay_alu instid0(SALU_CYCLE_1)
	s_and_not1_b32 vcc_lo, exec_lo, s18
	s_cbranch_vccnz .LBB214_1259
; %bb.1258:
	global_load_u16 v1, v[4:5], off
	s_wait_loadcnt 0x0
	v_cvt_f64_u32_e32 v[6:7], v1
.LBB214_1259:
	s_mov_b32 s18, 0
.LBB214_1260:
	s_delay_alu instid0(SALU_CYCLE_1)
	s_and_not1_b32 vcc_lo, exec_lo, s18
	s_cbranch_vccnz .LBB214_1268
; %bb.1261:
	global_load_u8 v1, v[4:5], off
	s_mov_b32 s18, 0
	s_mov_b32 s19, exec_lo
	s_wait_loadcnt 0x0
	v_cmpx_lt_i16_e32 0x7f, v1
	s_xor_b32 s19, exec_lo, s19
	s_cbranch_execz .LBB214_1281
; %bb.1262:
	s_mov_b32 s18, -1
	s_mov_b32 s20, exec_lo
	v_cmpx_eq_u16_e32 0x80, v1
; %bb.1263:
	s_xor_b32 s18, exec_lo, -1
; %bb.1264:
	s_or_b32 exec_lo, exec_lo, s20
	s_delay_alu instid0(SALU_CYCLE_1)
	s_and_b32 s18, s18, exec_lo
	s_or_saveexec_b32 s19, s19
	v_mov_b64_e32 v[6:7], 0x7ff8000020000000
	s_xor_b32 exec_lo, exec_lo, s19
	s_cbranch_execnz .LBB214_1282
.LBB214_1265:
	s_or_b32 exec_lo, exec_lo, s19
	s_and_saveexec_b32 s19, s18
	s_cbranch_execz .LBB214_1267
.LBB214_1266:
	v_and_b32_e32 v6, 0xffff, v1
	s_delay_alu instid0(VALU_DEP_1) | instskip(SKIP_1) | instid1(VALU_DEP_2)
	v_and_b32_e32 v7, 7, v6
	v_bfe_u32 v10, v6, 3, 4
	v_clz_i32_u32_e32 v8, v7
	s_delay_alu instid0(VALU_DEP_2) | instskip(NEXT) | instid1(VALU_DEP_2)
	v_cmp_eq_u32_e32 vcc_lo, 0, v10
	v_min_u32_e32 v8, 32, v8
	s_delay_alu instid0(VALU_DEP_1) | instskip(NEXT) | instid1(VALU_DEP_1)
	v_subrev_nc_u32_e32 v9, 28, v8
	v_dual_lshlrev_b32 v6, v9, v6 :: v_dual_sub_nc_u32 v8, 29, v8
	s_delay_alu instid0(VALU_DEP_1) | instskip(NEXT) | instid1(VALU_DEP_1)
	v_dual_lshlrev_b32 v1, 24, v1 :: v_dual_bitop2_b32 v6, 7, v6 bitop3:0x40
	v_dual_cndmask_b32 v8, v10, v8, vcc_lo :: v_dual_cndmask_b32 v6, v7, v6, vcc_lo
	s_delay_alu instid0(VALU_DEP_2) | instskip(NEXT) | instid1(VALU_DEP_2)
	v_and_b32_e32 v1, 0x80000000, v1
	v_lshl_add_u32 v7, v8, 23, 0x3b800000
	s_delay_alu instid0(VALU_DEP_3) | instskip(NEXT) | instid1(VALU_DEP_1)
	v_lshlrev_b32_e32 v6, 20, v6
	v_or3_b32 v1, v1, v7, v6
	s_delay_alu instid0(VALU_DEP_1)
	v_cvt_f64_f32_e32 v[6:7], v1
.LBB214_1267:
	s_or_b32 exec_lo, exec_lo, s19
.LBB214_1268:
	s_mov_b32 s18, -1
.LBB214_1269:
	s_branch .LBB214_1302
.LBB214_1270:
	s_cmp_gt_i32 s0, 22
	s_cbranch_scc0 .LBB214_1280
; %bb.1271:
	s_cmp_lt_i32 s0, 24
	s_cbranch_scc1 .LBB214_1283
; %bb.1272:
	s_cmp_gt_i32 s0, 24
	s_cbranch_scc0 .LBB214_1284
; %bb.1273:
	global_load_u8 v1, v[4:5], off
	s_mov_b32 s18, exec_lo
	s_wait_loadcnt 0x0
	v_cmpx_lt_i16_e32 0x7f, v1
	s_xor_b32 s18, exec_lo, s18
	s_cbranch_execz .LBB214_1296
; %bb.1274:
	s_mov_b32 s17, -1
	s_mov_b32 s19, exec_lo
	v_cmpx_eq_u16_e32 0x80, v1
; %bb.1275:
	s_xor_b32 s17, exec_lo, -1
; %bb.1276:
	s_or_b32 exec_lo, exec_lo, s19
	s_delay_alu instid0(SALU_CYCLE_1)
	s_and_b32 s17, s17, exec_lo
	s_or_saveexec_b32 s18, s18
	v_mov_b64_e32 v[6:7], 0x7ff8000020000000
	s_xor_b32 exec_lo, exec_lo, s18
	s_cbranch_execnz .LBB214_1297
.LBB214_1277:
	s_or_b32 exec_lo, exec_lo, s18
	s_and_saveexec_b32 s18, s17
	s_cbranch_execz .LBB214_1279
.LBB214_1278:
	v_and_b32_e32 v6, 0xffff, v1
	s_delay_alu instid0(VALU_DEP_1) | instskip(SKIP_1) | instid1(VALU_DEP_2)
	v_and_b32_e32 v7, 3, v6
	v_bfe_u32 v10, v6, 2, 5
	v_clz_i32_u32_e32 v8, v7
	s_delay_alu instid0(VALU_DEP_2) | instskip(NEXT) | instid1(VALU_DEP_2)
	v_cmp_eq_u32_e32 vcc_lo, 0, v10
	v_min_u32_e32 v8, 32, v8
	s_delay_alu instid0(VALU_DEP_1) | instskip(NEXT) | instid1(VALU_DEP_1)
	v_subrev_nc_u32_e32 v9, 29, v8
	v_dual_lshlrev_b32 v6, v9, v6 :: v_dual_sub_nc_u32 v8, 30, v8
	s_delay_alu instid0(VALU_DEP_1) | instskip(NEXT) | instid1(VALU_DEP_1)
	v_dual_lshlrev_b32 v1, 24, v1 :: v_dual_bitop2_b32 v6, 3, v6 bitop3:0x40
	v_dual_cndmask_b32 v8, v10, v8, vcc_lo :: v_dual_cndmask_b32 v6, v7, v6, vcc_lo
	s_delay_alu instid0(VALU_DEP_2) | instskip(NEXT) | instid1(VALU_DEP_2)
	v_and_b32_e32 v1, 0x80000000, v1
	v_lshl_add_u32 v7, v8, 23, 0x37800000
	s_delay_alu instid0(VALU_DEP_3) | instskip(NEXT) | instid1(VALU_DEP_1)
	v_lshlrev_b32_e32 v6, 21, v6
	v_or3_b32 v1, v1, v7, v6
	s_delay_alu instid0(VALU_DEP_1)
	v_cvt_f64_f32_e32 v[6:7], v1
.LBB214_1279:
	s_or_b32 exec_lo, exec_lo, s18
	s_mov_b32 s17, 0
	s_branch .LBB214_1285
.LBB214_1280:
	s_mov_b32 s17, -1
                                        ; implicit-def: $vgpr6_vgpr7
	s_branch .LBB214_1291
.LBB214_1281:
	s_or_saveexec_b32 s19, s19
	v_mov_b64_e32 v[6:7], 0x7ff8000020000000
	s_xor_b32 exec_lo, exec_lo, s19
	s_cbranch_execz .LBB214_1265
.LBB214_1282:
	v_cmp_ne_u16_e32 vcc_lo, 0, v1
	v_mov_b64_e32 v[6:7], 0
	s_and_not1_b32 s18, s18, exec_lo
	s_and_b32 s20, vcc_lo, exec_lo
	s_delay_alu instid0(SALU_CYCLE_1)
	s_or_b32 s18, s18, s20
	s_or_b32 exec_lo, exec_lo, s19
	s_and_saveexec_b32 s19, s18
	s_cbranch_execnz .LBB214_1266
	s_branch .LBB214_1267
.LBB214_1283:
	s_mov_b32 s17, -1
                                        ; implicit-def: $vgpr6_vgpr7
	s_branch .LBB214_1288
.LBB214_1284:
	s_mov_b32 s17, -1
                                        ; implicit-def: $vgpr6_vgpr7
.LBB214_1285:
	s_delay_alu instid0(SALU_CYCLE_1)
	s_and_b32 vcc_lo, exec_lo, s17
	s_cbranch_vccz .LBB214_1287
; %bb.1286:
	global_load_u8 v1, v[4:5], off
	s_wait_loadcnt 0x0
	v_lshlrev_b32_e32 v1, 24, v1
	s_delay_alu instid0(VALU_DEP_1) | instskip(NEXT) | instid1(VALU_DEP_1)
	v_and_b32_e32 v6, 0x7f000000, v1
	v_clz_i32_u32_e32 v7, v6
	v_cmp_ne_u32_e32 vcc_lo, 0, v6
	v_add_nc_u32_e32 v9, 0x1000000, v6
	s_delay_alu instid0(VALU_DEP_3) | instskip(NEXT) | instid1(VALU_DEP_1)
	v_min_u32_e32 v7, 32, v7
	v_sub_nc_u32_e64 v7, v7, 4 clamp
	s_delay_alu instid0(VALU_DEP_1) | instskip(NEXT) | instid1(VALU_DEP_1)
	v_dual_lshlrev_b32 v8, v7, v6 :: v_dual_lshlrev_b32 v7, 23, v7
	v_lshrrev_b32_e32 v8, 4, v8
	s_delay_alu instid0(VALU_DEP_1) | instskip(NEXT) | instid1(VALU_DEP_1)
	v_dual_sub_nc_u32 v7, v8, v7 :: v_dual_ashrrev_i32 v8, 8, v9
	v_add_nc_u32_e32 v7, 0x3c000000, v7
	s_delay_alu instid0(VALU_DEP_1) | instskip(NEXT) | instid1(VALU_DEP_1)
	v_and_or_b32 v7, 0x7f800000, v8, v7
	v_cndmask_b32_e32 v6, 0, v7, vcc_lo
	s_delay_alu instid0(VALU_DEP_1) | instskip(NEXT) | instid1(VALU_DEP_1)
	v_and_or_b32 v1, 0x80000000, v1, v6
	v_cvt_f64_f32_e32 v[6:7], v1
.LBB214_1287:
	s_mov_b32 s17, 0
.LBB214_1288:
	s_delay_alu instid0(SALU_CYCLE_1)
	s_and_not1_b32 vcc_lo, exec_lo, s17
	s_cbranch_vccnz .LBB214_1290
; %bb.1289:
	global_load_u8 v1, v[4:5], off
	s_wait_loadcnt 0x0
	v_lshlrev_b32_e32 v6, 25, v1
	v_lshlrev_b16 v1, 8, v1
	s_delay_alu instid0(VALU_DEP_1) | instskip(SKIP_1) | instid1(VALU_DEP_2)
	v_and_or_b32 v8, 0x7f00, v1, 0.5
	v_bfe_i32 v1, v1, 0, 16
	v_dual_add_f32 v8, -0.5, v8 :: v_dual_lshrrev_b32 v7, 4, v6
	v_cmp_gt_u32_e32 vcc_lo, 0x8000000, v6
	s_delay_alu instid0(VALU_DEP_2) | instskip(NEXT) | instid1(VALU_DEP_1)
	v_or_b32_e32 v7, 0x70000000, v7
	v_mul_f32_e32 v7, 0x7800000, v7
	s_delay_alu instid0(VALU_DEP_1) | instskip(NEXT) | instid1(VALU_DEP_1)
	v_cndmask_b32_e32 v6, v7, v8, vcc_lo
	v_and_or_b32 v1, 0x80000000, v1, v6
	s_delay_alu instid0(VALU_DEP_1)
	v_cvt_f64_f32_e32 v[6:7], v1
.LBB214_1290:
	s_mov_b32 s17, 0
	s_mov_b32 s18, -1
.LBB214_1291:
	s_and_not1_b32 vcc_lo, exec_lo, s17
	s_mov_b32 s17, 0
	s_cbranch_vccnz .LBB214_1302
; %bb.1292:
	s_cmp_gt_i32 s0, 14
	s_cbranch_scc0 .LBB214_1295
; %bb.1293:
	s_cmp_eq_u32 s0, 15
	s_cbranch_scc0 .LBB214_1298
; %bb.1294:
	global_load_u16 v1, v[4:5], off
	s_mov_b32 s13, 0
	s_mov_b32 s18, -1
	s_wait_loadcnt 0x0
	v_lshlrev_b32_e32 v1, 16, v1
	s_delay_alu instid0(VALU_DEP_1)
	v_cvt_f64_f32_e32 v[6:7], v1
	s_branch .LBB214_1300
.LBB214_1295:
	s_mov_b32 s17, -1
	s_branch .LBB214_1299
.LBB214_1296:
	s_or_saveexec_b32 s18, s18
	v_mov_b64_e32 v[6:7], 0x7ff8000020000000
	s_xor_b32 exec_lo, exec_lo, s18
	s_cbranch_execz .LBB214_1277
.LBB214_1297:
	v_cmp_ne_u16_e32 vcc_lo, 0, v1
	v_mov_b64_e32 v[6:7], 0
	s_and_not1_b32 s17, s17, exec_lo
	s_and_b32 s19, vcc_lo, exec_lo
	s_delay_alu instid0(SALU_CYCLE_1)
	s_or_b32 s17, s17, s19
	s_or_b32 exec_lo, exec_lo, s18
	s_and_saveexec_b32 s18, s17
	s_cbranch_execnz .LBB214_1278
	s_branch .LBB214_1279
.LBB214_1298:
	s_mov_b32 s13, -1
.LBB214_1299:
                                        ; implicit-def: $vgpr6_vgpr7
.LBB214_1300:
	s_and_b32 vcc_lo, exec_lo, s17
	s_mov_b32 s17, 0
	s_cbranch_vccz .LBB214_1302
; %bb.1301:
	s_cmp_lg_u32 s0, 11
	s_mov_b32 s17, -1
	s_cselect_b32 s13, -1, 0
.LBB214_1302:
	s_delay_alu instid0(SALU_CYCLE_1)
	s_and_b32 vcc_lo, exec_lo, s13
	s_cbranch_vccnz .LBB214_1378
; %bb.1303:
	s_and_not1_b32 vcc_lo, exec_lo, s17
	s_cbranch_vccnz .LBB214_1305
.LBB214_1304:
	global_load_u8 v1, v[4:5], off
	v_mov_b32_e32 v6, 0
	s_mov_b32 s18, -1
	s_wait_loadcnt 0x0
	v_cmp_ne_u16_e32 vcc_lo, 0, v1
	v_cndmask_b32_e64 v7, 0, 0x3ff00000, vcc_lo
.LBB214_1305:
	s_branch .LBB214_1231
.LBB214_1306:
	s_cmp_lt_i32 s0, 5
	s_cbranch_scc1 .LBB214_1311
; %bb.1307:
	s_cmp_lt_i32 s0, 8
	s_cbranch_scc1 .LBB214_1312
; %bb.1308:
	;; [unrolled: 3-line block ×3, first 2 shown]
	s_cmp_gt_i32 s0, 9
	s_cbranch_scc0 .LBB214_1314
; %bb.1310:
	global_load_b64 v[6:7], v[4:5], off
	s_mov_b32 s13, 0
	s_branch .LBB214_1315
.LBB214_1311:
                                        ; implicit-def: $vgpr6_vgpr7
	s_branch .LBB214_1333
.LBB214_1312:
	s_mov_b32 s13, -1
                                        ; implicit-def: $vgpr6_vgpr7
	s_branch .LBB214_1321
.LBB214_1313:
	s_mov_b32 s13, -1
                                        ; implicit-def: $vgpr6_vgpr7
	s_branch .LBB214_1318
.LBB214_1314:
	s_mov_b32 s13, -1
                                        ; implicit-def: $vgpr6_vgpr7
.LBB214_1315:
	s_delay_alu instid0(SALU_CYCLE_1)
	s_and_not1_b32 vcc_lo, exec_lo, s13
	s_cbranch_vccnz .LBB214_1317
; %bb.1316:
	global_load_b32 v1, v[4:5], off
	s_wait_loadcnt 0x0
	v_cvt_f64_f32_e32 v[6:7], v1
.LBB214_1317:
	s_mov_b32 s13, 0
.LBB214_1318:
	s_delay_alu instid0(SALU_CYCLE_1)
	s_and_not1_b32 vcc_lo, exec_lo, s13
	s_cbranch_vccnz .LBB214_1320
; %bb.1319:
	global_load_b32 v1, v[4:5], off
	s_wait_loadcnt 0x0
	v_cvt_f32_f16_e32 v1, v1
	s_delay_alu instid0(VALU_DEP_1)
	v_cvt_f64_f32_e32 v[6:7], v1
.LBB214_1320:
	s_mov_b32 s13, 0
.LBB214_1321:
	s_delay_alu instid0(SALU_CYCLE_1)
	s_and_not1_b32 vcc_lo, exec_lo, s13
	s_cbranch_vccnz .LBB214_1332
; %bb.1322:
	s_cmp_lt_i32 s0, 6
	s_cbranch_scc1 .LBB214_1325
; %bb.1323:
	s_cmp_gt_i32 s0, 6
	s_cbranch_scc0 .LBB214_1326
; %bb.1324:
	s_wait_loadcnt 0x0
	global_load_b64 v[6:7], v[4:5], off
	s_mov_b32 s13, 0
	s_branch .LBB214_1327
.LBB214_1325:
	s_mov_b32 s13, -1
                                        ; implicit-def: $vgpr6_vgpr7
	s_branch .LBB214_1330
.LBB214_1326:
	s_mov_b32 s13, -1
                                        ; implicit-def: $vgpr6_vgpr7
.LBB214_1327:
	s_delay_alu instid0(SALU_CYCLE_1)
	s_and_not1_b32 vcc_lo, exec_lo, s13
	s_cbranch_vccnz .LBB214_1329
; %bb.1328:
	global_load_b32 v1, v[4:5], off
	s_wait_loadcnt 0x0
	v_cvt_f64_f32_e32 v[6:7], v1
.LBB214_1329:
	s_mov_b32 s13, 0
.LBB214_1330:
	s_delay_alu instid0(SALU_CYCLE_1)
	s_and_not1_b32 vcc_lo, exec_lo, s13
	s_cbranch_vccnz .LBB214_1332
; %bb.1331:
	global_load_u16 v1, v[4:5], off
	s_wait_loadcnt 0x0
	v_cvt_f32_f16_e32 v1, v1
	s_delay_alu instid0(VALU_DEP_1)
	v_cvt_f64_f32_e32 v[6:7], v1
.LBB214_1332:
	s_cbranch_execnz .LBB214_1352
.LBB214_1333:
	s_cmp_lt_i32 s0, 2
	s_cbranch_scc1 .LBB214_1337
; %bb.1334:
	s_cmp_lt_i32 s0, 3
	s_cbranch_scc1 .LBB214_1338
; %bb.1335:
	s_cmp_gt_i32 s0, 3
	s_cbranch_scc0 .LBB214_1339
; %bb.1336:
	s_wait_loadcnt 0x0
	global_load_b64 v[6:7], v[4:5], off
	s_mov_b32 s13, 0
	s_wait_loadcnt 0x0
	v_cvt_f64_i32_e32 v[8:9], v7
	v_cvt_f64_u32_e32 v[6:7], v6
	s_delay_alu instid0(VALU_DEP_2) | instskip(NEXT) | instid1(VALU_DEP_1)
	v_ldexp_f64 v[8:9], v[8:9], 32
	v_add_f64_e32 v[6:7], v[8:9], v[6:7]
	s_branch .LBB214_1340
.LBB214_1337:
	s_mov_b32 s13, -1
                                        ; implicit-def: $vgpr6_vgpr7
	s_branch .LBB214_1346
.LBB214_1338:
	s_mov_b32 s13, -1
                                        ; implicit-def: $vgpr6_vgpr7
	s_branch .LBB214_1343
.LBB214_1339:
	s_mov_b32 s13, -1
                                        ; implicit-def: $vgpr6_vgpr7
.LBB214_1340:
	s_delay_alu instid0(SALU_CYCLE_1)
	s_and_not1_b32 vcc_lo, exec_lo, s13
	s_cbranch_vccnz .LBB214_1342
; %bb.1341:
	global_load_b32 v1, v[4:5], off
	s_wait_loadcnt 0x0
	v_cvt_f64_i32_e32 v[6:7], v1
.LBB214_1342:
	s_mov_b32 s13, 0
.LBB214_1343:
	s_delay_alu instid0(SALU_CYCLE_1)
	s_and_not1_b32 vcc_lo, exec_lo, s13
	s_cbranch_vccnz .LBB214_1345
; %bb.1344:
	global_load_i16 v1, v[4:5], off
	s_wait_loadcnt 0x0
	v_cvt_f64_i32_e32 v[6:7], v1
.LBB214_1345:
	s_mov_b32 s13, 0
.LBB214_1346:
	s_delay_alu instid0(SALU_CYCLE_1)
	s_and_not1_b32 vcc_lo, exec_lo, s13
	s_cbranch_vccnz .LBB214_1352
; %bb.1347:
	s_cmp_gt_i32 s0, 0
	s_mov_b32 s13, 0
	s_cbranch_scc0 .LBB214_1349
; %bb.1348:
	global_load_i8 v1, v[4:5], off
	s_wait_loadcnt 0x0
	v_cvt_f64_i32_e32 v[6:7], v1
	s_branch .LBB214_1350
.LBB214_1349:
	s_mov_b32 s13, -1
                                        ; implicit-def: $vgpr6_vgpr7
.LBB214_1350:
	s_delay_alu instid0(SALU_CYCLE_1)
	s_and_not1_b32 vcc_lo, exec_lo, s13
	s_cbranch_vccnz .LBB214_1352
; %bb.1351:
	global_load_u8 v1, v[4:5], off
	s_wait_loadcnt 0x0
	v_cvt_f64_u32_e32 v[6:7], v1
.LBB214_1352:
.LBB214_1353:
	s_mov_b32 s13, exec_lo
	s_wait_loadcnt 0x0
	s_delay_alu instid0(VALU_DEP_1)
	v_cmpx_o_f64_e32 v[6:7], v[6:7]
	s_cbranch_execz .LBB214_1366
; %bb.1354:
	s_cmp_lt_i32 s14, 1
	s_mov_b32 s17, 0
	s_cbranch_scc1 .LBB214_1357
; %bb.1355:
	s_cmp_eq_u32 s14, 1
	s_cbranch_scc0 .LBB214_1360
; %bb.1356:
	v_max_num_f64_e64 v[4:5], s[8:9], s[8:9]
	v_max_num_f64_e32 v[8:9], v[6:7], v[6:7]
	s_mov_b32 s18, 0
	s_delay_alu instid0(VALU_DEP_1)
	v_min_num_f64_e32 v[4:5], v[8:9], v[4:5]
	s_branch .LBB214_1361
.LBB214_1357:
	s_mov_b32 s18, 0
                                        ; implicit-def: $vgpr4_vgpr5
	s_cbranch_execnz .LBB214_1362
.LBB214_1358:
	v_max_num_f64_e32 v[6:7], v[6:7], v[6:7]
	s_and_not1_b32 vcc_lo, exec_lo, s18
	s_cbranch_vccnz .LBB214_1363
.LBB214_1359:
	v_max_num_f64_e64 v[4:5], s[8:9], s[8:9]
	v_max_num_f64_e64 v[8:9], s[10:11], s[10:11]
	s_delay_alu instid0(VALU_DEP_2) | instskip(NEXT) | instid1(VALU_DEP_1)
	v_max_num_f64_e32 v[4:5], v[6:7], v[4:5]
	v_min_num_f64_e32 v[4:5], v[4:5], v[8:9]
	s_cbranch_execz .LBB214_1364
	s_branch .LBB214_1365
.LBB214_1360:
	s_mov_b32 s18, -1
                                        ; implicit-def: $vgpr4_vgpr5
.LBB214_1361:
	s_branch .LBB214_1358
.LBB214_1362:
	s_cmp_lg_u32 s14, 0
	s_mov_b32 s17, -1
	s_cselect_b32 s18, -1, 0
	v_max_num_f64_e32 v[6:7], v[6:7], v[6:7]
	s_and_not1_b32 vcc_lo, exec_lo, s18
	s_cbranch_vccz .LBB214_1359
.LBB214_1363:
	s_and_not1_b32 vcc_lo, exec_lo, s17
	s_cbranch_vccnz .LBB214_1365
.LBB214_1364:
	v_max_num_f64_e64 v[4:5], s[8:9], s[8:9]
	s_delay_alu instid0(VALU_DEP_1)
	v_max_num_f64_e32 v[4:5], v[6:7], v[4:5]
.LBB214_1365:
	s_delay_alu instid0(VALU_DEP_1)
	v_mov_b64_e32 v[6:7], v[4:5]
.LBB214_1366:
	s_or_b32 exec_lo, exec_lo, s13
	v_add_nc_u32_e32 v0, s3, v0
	s_cmp_lt_i32 s0, 11
	s_delay_alu instid0(VALU_DEP_1) | instskip(NEXT) | instid1(VALU_DEP_1)
	v_ashrrev_i32_e32 v1, 31, v0
	v_add_nc_u64_e32 v[4:5], s[6:7], v[0:1]
	s_cbranch_scc1 .LBB214_1373
; %bb.1367:
	s_cmp_gt_i32 s0, 25
	s_mov_b32 s17, 0
	s_cbranch_scc0 .LBB214_1375
; %bb.1368:
	s_cmp_gt_i32 s0, 28
	s_cbranch_scc0 .LBB214_1376
; %bb.1369:
	s_cmp_gt_i32 s0, 43
	;; [unrolled: 3-line block ×3, first 2 shown]
	s_cbranch_scc0 .LBB214_1379
; %bb.1371:
	s_cmp_eq_u32 s0, 46
	s_mov_b32 s19, 0
	s_cbranch_scc0 .LBB214_1380
; %bb.1372:
	global_load_b32 v1, v[4:5], off
	s_mov_b32 s13, 0
	s_mov_b32 s18, -1
	s_wait_loadcnt 0x0
	v_lshlrev_b32_e32 v1, 16, v1
	s_delay_alu instid0(VALU_DEP_1)
	v_cvt_f64_f32_e32 v[10:11], v1
	s_branch .LBB214_1382
.LBB214_1373:
	s_mov_b32 s18, 0
                                        ; implicit-def: $vgpr10_vgpr11
	s_cbranch_execnz .LBB214_1448
.LBB214_1374:
	s_and_not1_b32 vcc_lo, exec_lo, s18
	s_cbranch_vccnz .LBB214_1645
	s_branch .LBB214_1496
.LBB214_1375:
	s_mov_b32 s19, -1
	s_mov_b32 s18, 0
	s_mov_b32 s13, 0
                                        ; implicit-def: $vgpr10_vgpr11
	s_branch .LBB214_1411
.LBB214_1376:
	s_mov_b32 s19, -1
	s_mov_b32 s18, 0
	s_mov_b32 s13, 0
                                        ; implicit-def: $vgpr10_vgpr11
	s_branch .LBB214_1392
.LBB214_1377:
	s_mov_b32 s19, -1
	s_mov_b32 s18, 0
	s_mov_b32 s13, 0
                                        ; implicit-def: $vgpr10_vgpr11
	s_branch .LBB214_1387
.LBB214_1378:
	s_or_b32 s1, s1, exec_lo
	s_trap 2
	s_cbranch_execz .LBB214_1304
	s_branch .LBB214_1305
.LBB214_1379:
	s_mov_b32 s19, -1
	s_mov_b32 s18, 0
	s_mov_b32 s13, 0
	s_branch .LBB214_1381
.LBB214_1380:
	s_mov_b32 s13, -1
	s_mov_b32 s18, 0
.LBB214_1381:
                                        ; implicit-def: $vgpr10_vgpr11
.LBB214_1382:
	s_and_b32 vcc_lo, exec_lo, s19
	s_cbranch_vccz .LBB214_1386
; %bb.1383:
	s_cmp_eq_u32 s0, 44
	s_cbranch_scc0 .LBB214_1385
; %bb.1384:
	global_load_u8 v1, v[4:5], off
	s_mov_b32 s13, 0
	s_mov_b32 s18, -1
	s_wait_loadcnt 0x0
	v_lshlrev_b32_e32 v8, 23, v1
	v_cmp_ne_u32_e32 vcc_lo, 0xff, v1
	s_delay_alu instid0(VALU_DEP_2) | instskip(NEXT) | instid1(VALU_DEP_1)
	v_cvt_f64_f32_e32 v[8:9], v8
	v_cndmask_b32_e32 v8, 0x20000000, v8, vcc_lo
	s_delay_alu instid0(VALU_DEP_2) | instskip(SKIP_1) | instid1(VALU_DEP_2)
	v_cndmask_b32_e32 v9, 0x7ff80000, v9, vcc_lo
	v_cmp_ne_u32_e32 vcc_lo, 0, v1
	v_cndmask_b32_e32 v11, 0x38000000, v9, vcc_lo
	s_delay_alu instid0(VALU_DEP_4)
	v_cndmask_b32_e32 v10, 0, v8, vcc_lo
	s_branch .LBB214_1386
.LBB214_1385:
	s_mov_b32 s13, -1
                                        ; implicit-def: $vgpr10_vgpr11
.LBB214_1386:
	s_mov_b32 s19, 0
.LBB214_1387:
	s_delay_alu instid0(SALU_CYCLE_1)
	s_and_b32 vcc_lo, exec_lo, s19
	s_cbranch_vccz .LBB214_1391
; %bb.1388:
	s_cmp_eq_u32 s0, 29
	s_cbranch_scc0 .LBB214_1390
; %bb.1389:
	global_load_b64 v[8:9], v[4:5], off
	s_mov_b32 s13, 0
	s_mov_b32 s18, -1
	s_mov_b32 s19, 0
	s_wait_loadcnt 0x0
	v_cvt_f64_u32_e32 v[10:11], v9
	v_cvt_f64_u32_e32 v[8:9], v8
	s_delay_alu instid0(VALU_DEP_2) | instskip(NEXT) | instid1(VALU_DEP_1)
	v_ldexp_f64 v[10:11], v[10:11], 32
	v_add_f64_e32 v[10:11], v[10:11], v[8:9]
	s_branch .LBB214_1392
.LBB214_1390:
	s_mov_b32 s13, -1
                                        ; implicit-def: $vgpr10_vgpr11
.LBB214_1391:
	s_mov_b32 s19, 0
.LBB214_1392:
	s_delay_alu instid0(SALU_CYCLE_1)
	s_and_b32 vcc_lo, exec_lo, s19
	s_cbranch_vccz .LBB214_1410
; %bb.1393:
	s_cmp_lt_i32 s0, 27
	s_cbranch_scc1 .LBB214_1396
; %bb.1394:
	s_cmp_gt_i32 s0, 27
	s_cbranch_scc0 .LBB214_1397
; %bb.1395:
	global_load_b32 v1, v[4:5], off
	s_mov_b32 s18, 0
	s_wait_loadcnt 0x0
	v_cvt_f64_u32_e32 v[10:11], v1
	s_branch .LBB214_1398
.LBB214_1396:
	s_mov_b32 s18, -1
                                        ; implicit-def: $vgpr10_vgpr11
	s_branch .LBB214_1401
.LBB214_1397:
	s_mov_b32 s18, -1
                                        ; implicit-def: $vgpr10_vgpr11
.LBB214_1398:
	s_delay_alu instid0(SALU_CYCLE_1)
	s_and_not1_b32 vcc_lo, exec_lo, s18
	s_cbranch_vccnz .LBB214_1400
; %bb.1399:
	global_load_u16 v1, v[4:5], off
	s_wait_loadcnt 0x0
	v_cvt_f64_u32_e32 v[10:11], v1
.LBB214_1400:
	s_mov_b32 s18, 0
.LBB214_1401:
	s_delay_alu instid0(SALU_CYCLE_1)
	s_and_not1_b32 vcc_lo, exec_lo, s18
	s_cbranch_vccnz .LBB214_1409
; %bb.1402:
	global_load_u8 v1, v[4:5], off
	s_mov_b32 s18, 0
	s_mov_b32 s19, exec_lo
	s_wait_loadcnt 0x0
	v_cmpx_lt_i16_e32 0x7f, v1
	s_xor_b32 s19, exec_lo, s19
	s_cbranch_execz .LBB214_1423
; %bb.1403:
	s_mov_b32 s18, -1
	s_mov_b32 s20, exec_lo
	v_cmpx_eq_u16_e32 0x80, v1
; %bb.1404:
	s_xor_b32 s18, exec_lo, -1
; %bb.1405:
	s_or_b32 exec_lo, exec_lo, s20
	s_delay_alu instid0(SALU_CYCLE_1)
	s_and_b32 s18, s18, exec_lo
	s_or_saveexec_b32 s19, s19
	v_mov_b64_e32 v[10:11], 0x7ff8000020000000
	s_xor_b32 exec_lo, exec_lo, s19
	s_cbranch_execnz .LBB214_1424
.LBB214_1406:
	s_or_b32 exec_lo, exec_lo, s19
	s_and_saveexec_b32 s19, s18
	s_cbranch_execz .LBB214_1408
.LBB214_1407:
	v_and_b32_e32 v8, 0xffff, v1
	s_delay_alu instid0(VALU_DEP_1) | instskip(SKIP_1) | instid1(VALU_DEP_2)
	v_and_b32_e32 v9, 7, v8
	v_bfe_u32 v12, v8, 3, 4
	v_clz_i32_u32_e32 v10, v9
	s_delay_alu instid0(VALU_DEP_2) | instskip(NEXT) | instid1(VALU_DEP_2)
	v_cmp_eq_u32_e32 vcc_lo, 0, v12
	v_min_u32_e32 v10, 32, v10
	s_delay_alu instid0(VALU_DEP_1) | instskip(NEXT) | instid1(VALU_DEP_1)
	v_subrev_nc_u32_e32 v11, 28, v10
	v_dual_lshlrev_b32 v8, v11, v8 :: v_dual_sub_nc_u32 v10, 29, v10
	s_delay_alu instid0(VALU_DEP_1) | instskip(NEXT) | instid1(VALU_DEP_1)
	v_dual_lshlrev_b32 v1, 24, v1 :: v_dual_bitop2_b32 v8, 7, v8 bitop3:0x40
	v_dual_cndmask_b32 v10, v12, v10, vcc_lo :: v_dual_cndmask_b32 v8, v9, v8, vcc_lo
	s_delay_alu instid0(VALU_DEP_2) | instskip(NEXT) | instid1(VALU_DEP_2)
	v_and_b32_e32 v1, 0x80000000, v1
	v_lshl_add_u32 v9, v10, 23, 0x3b800000
	s_delay_alu instid0(VALU_DEP_3) | instskip(NEXT) | instid1(VALU_DEP_1)
	v_lshlrev_b32_e32 v8, 20, v8
	v_or3_b32 v1, v1, v9, v8
	s_delay_alu instid0(VALU_DEP_1)
	v_cvt_f64_f32_e32 v[10:11], v1
.LBB214_1408:
	s_or_b32 exec_lo, exec_lo, s19
.LBB214_1409:
	s_mov_b32 s18, -1
.LBB214_1410:
	s_mov_b32 s19, 0
.LBB214_1411:
	s_delay_alu instid0(SALU_CYCLE_1)
	s_and_b32 vcc_lo, exec_lo, s19
	s_cbranch_vccz .LBB214_1444
; %bb.1412:
	s_cmp_gt_i32 s0, 22
	s_cbranch_scc0 .LBB214_1422
; %bb.1413:
	s_cmp_lt_i32 s0, 24
	s_cbranch_scc1 .LBB214_1425
; %bb.1414:
	s_cmp_gt_i32 s0, 24
	s_cbranch_scc0 .LBB214_1426
; %bb.1415:
	global_load_u8 v1, v[4:5], off
	s_mov_b32 s18, exec_lo
	s_wait_loadcnt 0x0
	v_cmpx_lt_i16_e32 0x7f, v1
	s_xor_b32 s18, exec_lo, s18
	s_cbranch_execz .LBB214_1438
; %bb.1416:
	s_mov_b32 s17, -1
	s_mov_b32 s19, exec_lo
	v_cmpx_eq_u16_e32 0x80, v1
; %bb.1417:
	s_xor_b32 s17, exec_lo, -1
; %bb.1418:
	s_or_b32 exec_lo, exec_lo, s19
	s_delay_alu instid0(SALU_CYCLE_1)
	s_and_b32 s17, s17, exec_lo
	s_or_saveexec_b32 s18, s18
	v_mov_b64_e32 v[10:11], 0x7ff8000020000000
	s_xor_b32 exec_lo, exec_lo, s18
	s_cbranch_execnz .LBB214_1439
.LBB214_1419:
	s_or_b32 exec_lo, exec_lo, s18
	s_and_saveexec_b32 s18, s17
	s_cbranch_execz .LBB214_1421
.LBB214_1420:
	v_and_b32_e32 v8, 0xffff, v1
	s_delay_alu instid0(VALU_DEP_1) | instskip(SKIP_1) | instid1(VALU_DEP_2)
	v_and_b32_e32 v9, 3, v8
	v_bfe_u32 v12, v8, 2, 5
	v_clz_i32_u32_e32 v10, v9
	s_delay_alu instid0(VALU_DEP_2) | instskip(NEXT) | instid1(VALU_DEP_2)
	v_cmp_eq_u32_e32 vcc_lo, 0, v12
	v_min_u32_e32 v10, 32, v10
	s_delay_alu instid0(VALU_DEP_1) | instskip(NEXT) | instid1(VALU_DEP_1)
	v_subrev_nc_u32_e32 v11, 29, v10
	v_dual_lshlrev_b32 v8, v11, v8 :: v_dual_sub_nc_u32 v10, 30, v10
	s_delay_alu instid0(VALU_DEP_1) | instskip(NEXT) | instid1(VALU_DEP_1)
	v_dual_lshlrev_b32 v1, 24, v1 :: v_dual_bitop2_b32 v8, 3, v8 bitop3:0x40
	v_dual_cndmask_b32 v10, v12, v10, vcc_lo :: v_dual_cndmask_b32 v8, v9, v8, vcc_lo
	s_delay_alu instid0(VALU_DEP_2) | instskip(NEXT) | instid1(VALU_DEP_2)
	v_and_b32_e32 v1, 0x80000000, v1
	v_lshl_add_u32 v9, v10, 23, 0x37800000
	s_delay_alu instid0(VALU_DEP_3) | instskip(NEXT) | instid1(VALU_DEP_1)
	v_lshlrev_b32_e32 v8, 21, v8
	v_or3_b32 v1, v1, v9, v8
	s_delay_alu instid0(VALU_DEP_1)
	v_cvt_f64_f32_e32 v[10:11], v1
.LBB214_1421:
	s_or_b32 exec_lo, exec_lo, s18
	s_mov_b32 s17, 0
	s_branch .LBB214_1427
.LBB214_1422:
	s_mov_b32 s17, -1
                                        ; implicit-def: $vgpr10_vgpr11
	s_branch .LBB214_1433
.LBB214_1423:
	s_or_saveexec_b32 s19, s19
	v_mov_b64_e32 v[10:11], 0x7ff8000020000000
	s_xor_b32 exec_lo, exec_lo, s19
	s_cbranch_execz .LBB214_1406
.LBB214_1424:
	v_cmp_ne_u16_e32 vcc_lo, 0, v1
	v_mov_b64_e32 v[10:11], 0
	s_and_not1_b32 s18, s18, exec_lo
	s_and_b32 s20, vcc_lo, exec_lo
	s_delay_alu instid0(SALU_CYCLE_1)
	s_or_b32 s18, s18, s20
	s_or_b32 exec_lo, exec_lo, s19
	s_and_saveexec_b32 s19, s18
	s_cbranch_execnz .LBB214_1407
	s_branch .LBB214_1408
.LBB214_1425:
	s_mov_b32 s17, -1
                                        ; implicit-def: $vgpr10_vgpr11
	s_branch .LBB214_1430
.LBB214_1426:
	s_mov_b32 s17, -1
                                        ; implicit-def: $vgpr10_vgpr11
.LBB214_1427:
	s_delay_alu instid0(SALU_CYCLE_1)
	s_and_b32 vcc_lo, exec_lo, s17
	s_cbranch_vccz .LBB214_1429
; %bb.1428:
	global_load_u8 v1, v[4:5], off
	s_wait_loadcnt 0x0
	v_lshlrev_b32_e32 v1, 24, v1
	s_delay_alu instid0(VALU_DEP_1) | instskip(NEXT) | instid1(VALU_DEP_1)
	v_and_b32_e32 v8, 0x7f000000, v1
	v_clz_i32_u32_e32 v9, v8
	v_cmp_ne_u32_e32 vcc_lo, 0, v8
	v_add_nc_u32_e32 v11, 0x1000000, v8
	s_delay_alu instid0(VALU_DEP_3) | instskip(NEXT) | instid1(VALU_DEP_1)
	v_min_u32_e32 v9, 32, v9
	v_sub_nc_u32_e64 v9, v9, 4 clamp
	s_delay_alu instid0(VALU_DEP_1) | instskip(NEXT) | instid1(VALU_DEP_1)
	v_dual_lshlrev_b32 v10, v9, v8 :: v_dual_lshlrev_b32 v9, 23, v9
	v_lshrrev_b32_e32 v10, 4, v10
	s_delay_alu instid0(VALU_DEP_1) | instskip(NEXT) | instid1(VALU_DEP_1)
	v_dual_sub_nc_u32 v9, v10, v9 :: v_dual_ashrrev_i32 v10, 8, v11
	v_add_nc_u32_e32 v9, 0x3c000000, v9
	s_delay_alu instid0(VALU_DEP_1) | instskip(NEXT) | instid1(VALU_DEP_1)
	v_and_or_b32 v9, 0x7f800000, v10, v9
	v_cndmask_b32_e32 v8, 0, v9, vcc_lo
	s_delay_alu instid0(VALU_DEP_1) | instskip(NEXT) | instid1(VALU_DEP_1)
	v_and_or_b32 v1, 0x80000000, v1, v8
	v_cvt_f64_f32_e32 v[10:11], v1
.LBB214_1429:
	s_mov_b32 s17, 0
.LBB214_1430:
	s_delay_alu instid0(SALU_CYCLE_1)
	s_and_not1_b32 vcc_lo, exec_lo, s17
	s_cbranch_vccnz .LBB214_1432
; %bb.1431:
	global_load_u8 v1, v[4:5], off
	s_wait_loadcnt 0x0
	v_lshlrev_b32_e32 v8, 25, v1
	v_lshlrev_b16 v1, 8, v1
	s_delay_alu instid0(VALU_DEP_1) | instskip(SKIP_1) | instid1(VALU_DEP_2)
	v_and_or_b32 v10, 0x7f00, v1, 0.5
	v_bfe_i32 v1, v1, 0, 16
	v_dual_add_f32 v10, -0.5, v10 :: v_dual_lshrrev_b32 v9, 4, v8
	v_cmp_gt_u32_e32 vcc_lo, 0x8000000, v8
	s_delay_alu instid0(VALU_DEP_2) | instskip(NEXT) | instid1(VALU_DEP_1)
	v_or_b32_e32 v9, 0x70000000, v9
	v_mul_f32_e32 v9, 0x7800000, v9
	s_delay_alu instid0(VALU_DEP_1) | instskip(NEXT) | instid1(VALU_DEP_1)
	v_cndmask_b32_e32 v8, v9, v10, vcc_lo
	v_and_or_b32 v1, 0x80000000, v1, v8
	s_delay_alu instid0(VALU_DEP_1)
	v_cvt_f64_f32_e32 v[10:11], v1
.LBB214_1432:
	s_mov_b32 s17, 0
	s_mov_b32 s18, -1
.LBB214_1433:
	s_and_not1_b32 vcc_lo, exec_lo, s17
	s_mov_b32 s17, 0
	s_cbranch_vccnz .LBB214_1444
; %bb.1434:
	s_cmp_gt_i32 s0, 14
	s_cbranch_scc0 .LBB214_1437
; %bb.1435:
	s_cmp_eq_u32 s0, 15
	s_cbranch_scc0 .LBB214_1440
; %bb.1436:
	global_load_u16 v1, v[4:5], off
	s_mov_b32 s13, 0
	s_mov_b32 s18, -1
	s_wait_loadcnt 0x0
	v_lshlrev_b32_e32 v1, 16, v1
	s_delay_alu instid0(VALU_DEP_1)
	v_cvt_f64_f32_e32 v[10:11], v1
	s_branch .LBB214_1442
.LBB214_1437:
	s_mov_b32 s17, -1
	s_branch .LBB214_1441
.LBB214_1438:
	s_or_saveexec_b32 s18, s18
	v_mov_b64_e32 v[10:11], 0x7ff8000020000000
	s_xor_b32 exec_lo, exec_lo, s18
	s_cbranch_execz .LBB214_1419
.LBB214_1439:
	v_cmp_ne_u16_e32 vcc_lo, 0, v1
	v_mov_b64_e32 v[10:11], 0
	s_and_not1_b32 s17, s17, exec_lo
	s_and_b32 s19, vcc_lo, exec_lo
	s_delay_alu instid0(SALU_CYCLE_1)
	s_or_b32 s17, s17, s19
	s_or_b32 exec_lo, exec_lo, s18
	s_and_saveexec_b32 s18, s17
	s_cbranch_execnz .LBB214_1420
	s_branch .LBB214_1421
.LBB214_1440:
	s_mov_b32 s13, -1
.LBB214_1441:
                                        ; implicit-def: $vgpr10_vgpr11
.LBB214_1442:
	s_and_b32 vcc_lo, exec_lo, s17
	s_mov_b32 s17, 0
	s_cbranch_vccz .LBB214_1444
; %bb.1443:
	s_cmp_lg_u32 s0, 11
	s_mov_b32 s17, -1
	s_cselect_b32 s13, -1, 0
.LBB214_1444:
	s_delay_alu instid0(SALU_CYCLE_1)
	s_and_b32 vcc_lo, exec_lo, s13
	s_cbranch_vccnz .LBB214_1521
; %bb.1445:
	s_and_not1_b32 vcc_lo, exec_lo, s17
	s_cbranch_vccnz .LBB214_1447
.LBB214_1446:
	global_load_u8 v1, v[4:5], off
	v_mov_b32_e32 v10, 0
	s_mov_b32 s18, -1
	s_wait_loadcnt 0x0
	v_cmp_ne_u16_e32 vcc_lo, 0, v1
	v_cndmask_b32_e64 v11, 0, 0x3ff00000, vcc_lo
.LBB214_1447:
	s_branch .LBB214_1374
.LBB214_1448:
	s_cmp_lt_i32 s0, 5
	s_cbranch_scc1 .LBB214_1453
; %bb.1449:
	s_cmp_lt_i32 s0, 8
	s_cbranch_scc1 .LBB214_1454
; %bb.1450:
	;; [unrolled: 3-line block ×3, first 2 shown]
	s_cmp_gt_i32 s0, 9
	s_cbranch_scc0 .LBB214_1456
; %bb.1452:
	global_load_b64 v[10:11], v[4:5], off
	s_mov_b32 s13, 0
	s_branch .LBB214_1457
.LBB214_1453:
	s_mov_b32 s13, -1
                                        ; implicit-def: $vgpr10_vgpr11
	s_branch .LBB214_1475
.LBB214_1454:
	s_mov_b32 s13, -1
                                        ; implicit-def: $vgpr10_vgpr11
	s_branch .LBB214_1463
.LBB214_1455:
	s_mov_b32 s13, -1
                                        ; implicit-def: $vgpr10_vgpr11
	s_branch .LBB214_1460
.LBB214_1456:
	s_mov_b32 s13, -1
                                        ; implicit-def: $vgpr10_vgpr11
.LBB214_1457:
	s_delay_alu instid0(SALU_CYCLE_1)
	s_and_not1_b32 vcc_lo, exec_lo, s13
	s_cbranch_vccnz .LBB214_1459
; %bb.1458:
	global_load_b32 v1, v[4:5], off
	s_wait_loadcnt 0x0
	v_cvt_f64_f32_e32 v[10:11], v1
.LBB214_1459:
	s_mov_b32 s13, 0
.LBB214_1460:
	s_delay_alu instid0(SALU_CYCLE_1)
	s_and_not1_b32 vcc_lo, exec_lo, s13
	s_cbranch_vccnz .LBB214_1462
; %bb.1461:
	global_load_b32 v1, v[4:5], off
	s_wait_loadcnt 0x0
	v_cvt_f32_f16_e32 v1, v1
	s_delay_alu instid0(VALU_DEP_1)
	v_cvt_f64_f32_e32 v[10:11], v1
.LBB214_1462:
	s_mov_b32 s13, 0
.LBB214_1463:
	s_delay_alu instid0(SALU_CYCLE_1)
	s_and_not1_b32 vcc_lo, exec_lo, s13
	s_cbranch_vccnz .LBB214_1474
; %bb.1464:
	s_cmp_lt_i32 s0, 6
	s_cbranch_scc1 .LBB214_1467
; %bb.1465:
	s_cmp_gt_i32 s0, 6
	s_cbranch_scc0 .LBB214_1468
; %bb.1466:
	s_wait_loadcnt 0x0
	global_load_b64 v[10:11], v[4:5], off
	s_mov_b32 s13, 0
	s_branch .LBB214_1469
.LBB214_1467:
	s_mov_b32 s13, -1
                                        ; implicit-def: $vgpr10_vgpr11
	s_branch .LBB214_1472
.LBB214_1468:
	s_mov_b32 s13, -1
                                        ; implicit-def: $vgpr10_vgpr11
.LBB214_1469:
	s_delay_alu instid0(SALU_CYCLE_1)
	s_and_not1_b32 vcc_lo, exec_lo, s13
	s_cbranch_vccnz .LBB214_1471
; %bb.1470:
	global_load_b32 v1, v[4:5], off
	s_wait_loadcnt 0x0
	v_cvt_f64_f32_e32 v[10:11], v1
.LBB214_1471:
	s_mov_b32 s13, 0
.LBB214_1472:
	s_delay_alu instid0(SALU_CYCLE_1)
	s_and_not1_b32 vcc_lo, exec_lo, s13
	s_cbranch_vccnz .LBB214_1474
; %bb.1473:
	global_load_u16 v1, v[4:5], off
	s_wait_loadcnt 0x0
	v_cvt_f32_f16_e32 v1, v1
	s_delay_alu instid0(VALU_DEP_1)
	v_cvt_f64_f32_e32 v[10:11], v1
.LBB214_1474:
	s_mov_b32 s13, 0
.LBB214_1475:
	s_delay_alu instid0(SALU_CYCLE_1)
	s_and_not1_b32 vcc_lo, exec_lo, s13
	s_cbranch_vccnz .LBB214_1495
; %bb.1476:
	s_cmp_lt_i32 s0, 2
	s_cbranch_scc1 .LBB214_1480
; %bb.1477:
	s_cmp_lt_i32 s0, 3
	s_cbranch_scc1 .LBB214_1481
; %bb.1478:
	s_cmp_gt_i32 s0, 3
	s_cbranch_scc0 .LBB214_1482
; %bb.1479:
	global_load_b64 v[8:9], v[4:5], off
	s_mov_b32 s13, 0
	s_wait_loadcnt 0x0
	v_cvt_f64_i32_e32 v[10:11], v9
	v_cvt_f64_u32_e32 v[8:9], v8
	s_delay_alu instid0(VALU_DEP_2) | instskip(NEXT) | instid1(VALU_DEP_1)
	v_ldexp_f64 v[10:11], v[10:11], 32
	v_add_f64_e32 v[10:11], v[10:11], v[8:9]
	s_branch .LBB214_1483
.LBB214_1480:
	s_mov_b32 s13, -1
                                        ; implicit-def: $vgpr10_vgpr11
	s_branch .LBB214_1489
.LBB214_1481:
	s_mov_b32 s13, -1
                                        ; implicit-def: $vgpr10_vgpr11
	s_branch .LBB214_1486
.LBB214_1482:
	s_mov_b32 s13, -1
                                        ; implicit-def: $vgpr10_vgpr11
.LBB214_1483:
	s_delay_alu instid0(SALU_CYCLE_1)
	s_and_not1_b32 vcc_lo, exec_lo, s13
	s_cbranch_vccnz .LBB214_1485
; %bb.1484:
	global_load_b32 v1, v[4:5], off
	s_wait_loadcnt 0x0
	v_cvt_f64_i32_e32 v[10:11], v1
.LBB214_1485:
	s_mov_b32 s13, 0
.LBB214_1486:
	s_delay_alu instid0(SALU_CYCLE_1)
	s_and_not1_b32 vcc_lo, exec_lo, s13
	s_cbranch_vccnz .LBB214_1488
; %bb.1487:
	global_load_i16 v1, v[4:5], off
	s_wait_loadcnt 0x0
	v_cvt_f64_i32_e32 v[10:11], v1
.LBB214_1488:
	s_mov_b32 s13, 0
.LBB214_1489:
	s_delay_alu instid0(SALU_CYCLE_1)
	s_and_not1_b32 vcc_lo, exec_lo, s13
	s_cbranch_vccnz .LBB214_1495
; %bb.1490:
	s_cmp_gt_i32 s0, 0
	s_mov_b32 s13, 0
	s_cbranch_scc0 .LBB214_1492
; %bb.1491:
	global_load_i8 v1, v[4:5], off
	s_wait_loadcnt 0x0
	v_cvt_f64_i32_e32 v[10:11], v1
	s_branch .LBB214_1493
.LBB214_1492:
	s_mov_b32 s13, -1
                                        ; implicit-def: $vgpr10_vgpr11
.LBB214_1493:
	s_delay_alu instid0(SALU_CYCLE_1)
	s_and_not1_b32 vcc_lo, exec_lo, s13
	s_cbranch_vccnz .LBB214_1495
; %bb.1494:
	global_load_u8 v1, v[4:5], off
	s_wait_loadcnt 0x0
	v_cvt_f64_u32_e32 v[10:11], v1
.LBB214_1495:
.LBB214_1496:
	s_mov_b32 s13, exec_lo
	s_wait_loadcnt 0x0
	s_delay_alu instid0(VALU_DEP_1)
	v_cmpx_o_f64_e32 v[10:11], v[10:11]
	s_cbranch_execz .LBB214_1508
; %bb.1497:
	s_cmp_lt_i32 s14, 1
	s_mov_b32 s17, 0
	s_cbranch_scc1 .LBB214_1500
; %bb.1498:
	s_cmp_eq_u32 s14, 1
	s_cbranch_scc0 .LBB214_1501
; %bb.1499:
	v_max_num_f64_e64 v[4:5], s[8:9], s[8:9]
	v_max_num_f64_e32 v[8:9], v[10:11], v[10:11]
	s_mov_b32 s18, 0
	s_delay_alu instid0(VALU_DEP_1)
	v_min_num_f64_e32 v[4:5], v[8:9], v[4:5]
	s_branch .LBB214_1502
.LBB214_1500:
	s_mov_b32 s19, -1
	s_mov_b32 s18, 0
                                        ; implicit-def: $vgpr4_vgpr5
	s_branch .LBB214_1503
.LBB214_1501:
	s_mov_b32 s18, -1
                                        ; implicit-def: $vgpr4_vgpr5
.LBB214_1502:
	s_mov_b32 s19, 0
.LBB214_1503:
	s_delay_alu instid0(SALU_CYCLE_1)
	s_and_b32 vcc_lo, exec_lo, s19
	s_cbranch_vccz .LBB214_1515
; %bb.1504:
	s_cmp_lg_u32 s14, 0
	s_mov_b32 s17, -1
	s_cselect_b32 s18, -1, 0
	v_max_num_f64_e32 v[8:9], v[10:11], v[10:11]
	s_and_not1_b32 vcc_lo, exec_lo, s18
	s_cbranch_vccz .LBB214_1516
.LBB214_1505:
	s_and_not1_b32 vcc_lo, exec_lo, s17
	s_cbranch_vccnz .LBB214_1507
.LBB214_1506:
	v_max_num_f64_e64 v[4:5], s[8:9], s[8:9]
	s_delay_alu instid0(VALU_DEP_1)
	v_max_num_f64_e32 v[4:5], v[8:9], v[4:5]
.LBB214_1507:
	s_delay_alu instid0(VALU_DEP_1)
	v_mov_b64_e32 v[10:11], v[4:5]
.LBB214_1508:
	s_or_b32 exec_lo, exec_lo, s13
	v_add_nc_u32_e32 v0, s3, v0
	s_cmp_lt_i32 s0, 11
	s_delay_alu instid0(VALU_DEP_1) | instskip(NEXT) | instid1(VALU_DEP_1)
	v_ashrrev_i32_e32 v1, 31, v0
	v_add_nc_u64_e32 v[4:5], s[6:7], v[0:1]
	s_cbranch_scc1 .LBB214_1517
; %bb.1509:
	s_cmp_gt_i32 s0, 25
	s_mov_b32 s6, 0
	s_cbranch_scc0 .LBB214_1518
; %bb.1510:
	s_cmp_gt_i32 s0, 28
	s_cbranch_scc0 .LBB214_1519
; %bb.1511:
	s_cmp_gt_i32 s0, 43
	;; [unrolled: 3-line block ×3, first 2 shown]
	s_cbranch_scc0 .LBB214_1522
; %bb.1513:
	s_cmp_eq_u32 s0, 46
	s_mov_b32 s13, 0
	s_cbranch_scc0 .LBB214_1523
; %bb.1514:
	global_load_b32 v0, v[4:5], off
	s_mov_b32 s3, 0
	s_mov_b32 s7, -1
	s_wait_loadcnt 0x0
	v_lshlrev_b32_e32 v0, 16, v0
	s_delay_alu instid0(VALU_DEP_1)
	v_cvt_f64_f32_e32 v[0:1], v0
	s_branch .LBB214_1525
.LBB214_1515:
	v_max_num_f64_e32 v[8:9], v[10:11], v[10:11]
	s_and_not1_b32 vcc_lo, exec_lo, s18
	s_cbranch_vccnz .LBB214_1505
.LBB214_1516:
	v_max_num_f64_e64 v[4:5], s[8:9], s[8:9]
	v_max_num_f64_e64 v[10:11], s[10:11], s[10:11]
	s_delay_alu instid0(VALU_DEP_2) | instskip(NEXT) | instid1(VALU_DEP_1)
	v_max_num_f64_e32 v[4:5], v[8:9], v[4:5]
	v_min_num_f64_e32 v[4:5], v[4:5], v[10:11]
	s_cbranch_execz .LBB214_1506
	s_branch .LBB214_1507
.LBB214_1517:
	s_mov_b32 s3, -1
	s_mov_b32 s7, 0
                                        ; implicit-def: $vgpr0_vgpr1
	s_branch .LBB214_1591
.LBB214_1518:
	s_mov_b32 s13, -1
	s_mov_b32 s7, 0
	s_mov_b32 s3, 0
                                        ; implicit-def: $vgpr0_vgpr1
	s_branch .LBB214_1554
.LBB214_1519:
	s_mov_b32 s13, -1
	s_mov_b32 s7, 0
	s_mov_b32 s3, 0
                                        ; implicit-def: $vgpr0_vgpr1
	s_branch .LBB214_1535
.LBB214_1520:
	s_mov_b32 s13, -1
	s_mov_b32 s7, 0
	s_mov_b32 s3, 0
                                        ; implicit-def: $vgpr0_vgpr1
	s_branch .LBB214_1530
.LBB214_1521:
	s_or_b32 s1, s1, exec_lo
	s_trap 2
	s_cbranch_execz .LBB214_1446
	s_branch .LBB214_1447
.LBB214_1522:
	s_mov_b32 s13, -1
	s_mov_b32 s7, 0
	s_mov_b32 s3, 0
	s_branch .LBB214_1524
.LBB214_1523:
	s_mov_b32 s3, -1
	s_mov_b32 s7, 0
.LBB214_1524:
                                        ; implicit-def: $vgpr0_vgpr1
.LBB214_1525:
	s_and_b32 vcc_lo, exec_lo, s13
	s_cbranch_vccz .LBB214_1529
; %bb.1526:
	s_cmp_eq_u32 s0, 44
	s_cbranch_scc0 .LBB214_1528
; %bb.1527:
	global_load_u8 v8, v[4:5], off
	s_mov_b32 s3, 0
	s_mov_b32 s7, -1
	s_wait_loadcnt 0x0
	v_cmp_ne_u32_e32 vcc_lo, 0xff, v8
	v_lshlrev_b32_e32 v0, 23, v8
	s_delay_alu instid0(VALU_DEP_1) | instskip(NEXT) | instid1(VALU_DEP_1)
	v_cvt_f64_f32_e32 v[0:1], v0
	v_cndmask_b32_e32 v0, 0x20000000, v0, vcc_lo
	s_delay_alu instid0(VALU_DEP_2) | instskip(SKIP_1) | instid1(VALU_DEP_2)
	v_cndmask_b32_e32 v1, 0x7ff80000, v1, vcc_lo
	v_cmp_ne_u32_e32 vcc_lo, 0, v8
	v_cndmask_b32_e32 v1, 0x38000000, v1, vcc_lo
	s_delay_alu instid0(VALU_DEP_4)
	v_cndmask_b32_e32 v0, 0, v0, vcc_lo
	s_branch .LBB214_1529
.LBB214_1528:
	s_mov_b32 s3, -1
                                        ; implicit-def: $vgpr0_vgpr1
.LBB214_1529:
	s_mov_b32 s13, 0
.LBB214_1530:
	s_delay_alu instid0(SALU_CYCLE_1)
	s_and_b32 vcc_lo, exec_lo, s13
	s_cbranch_vccz .LBB214_1534
; %bb.1531:
	s_cmp_eq_u32 s0, 29
	s_cbranch_scc0 .LBB214_1533
; %bb.1532:
	global_load_b64 v[0:1], v[4:5], off
	s_mov_b32 s3, 0
	s_mov_b32 s7, -1
	s_mov_b32 s13, 0
	s_wait_loadcnt 0x0
	v_cvt_f64_u32_e32 v[8:9], v1
	v_cvt_f64_u32_e32 v[0:1], v0
	s_delay_alu instid0(VALU_DEP_2) | instskip(NEXT) | instid1(VALU_DEP_1)
	v_ldexp_f64 v[8:9], v[8:9], 32
	v_add_f64_e32 v[0:1], v[8:9], v[0:1]
	s_branch .LBB214_1535
.LBB214_1533:
	s_mov_b32 s3, -1
                                        ; implicit-def: $vgpr0_vgpr1
.LBB214_1534:
	s_mov_b32 s13, 0
.LBB214_1535:
	s_delay_alu instid0(SALU_CYCLE_1)
	s_and_b32 vcc_lo, exec_lo, s13
	s_cbranch_vccz .LBB214_1553
; %bb.1536:
	s_cmp_lt_i32 s0, 27
	s_cbranch_scc1 .LBB214_1539
; %bb.1537:
	s_cmp_gt_i32 s0, 27
	s_cbranch_scc0 .LBB214_1540
; %bb.1538:
	global_load_b32 v0, v[4:5], off
	s_mov_b32 s7, 0
	s_wait_loadcnt 0x0
	v_cvt_f64_u32_e32 v[0:1], v0
	s_branch .LBB214_1541
.LBB214_1539:
	s_mov_b32 s7, -1
                                        ; implicit-def: $vgpr0_vgpr1
	s_branch .LBB214_1544
.LBB214_1540:
	s_mov_b32 s7, -1
                                        ; implicit-def: $vgpr0_vgpr1
.LBB214_1541:
	s_delay_alu instid0(SALU_CYCLE_1)
	s_and_not1_b32 vcc_lo, exec_lo, s7
	s_cbranch_vccnz .LBB214_1543
; %bb.1542:
	global_load_u16 v0, v[4:5], off
	s_wait_loadcnt 0x0
	v_cvt_f64_u32_e32 v[0:1], v0
.LBB214_1543:
	s_mov_b32 s7, 0
.LBB214_1544:
	s_delay_alu instid0(SALU_CYCLE_1)
	s_and_not1_b32 vcc_lo, exec_lo, s7
	s_cbranch_vccnz .LBB214_1552
; %bb.1545:
	global_load_u8 v8, v[4:5], off
	s_mov_b32 s7, 0
	s_mov_b32 s13, exec_lo
	s_wait_loadcnt 0x0
	v_cmpx_lt_i16_e32 0x7f, v8
	s_xor_b32 s13, exec_lo, s13
	s_cbranch_execz .LBB214_1566
; %bb.1546:
	s_mov_b32 s7, -1
	s_mov_b32 s17, exec_lo
	v_cmpx_eq_u16_e32 0x80, v8
; %bb.1547:
	s_xor_b32 s7, exec_lo, -1
; %bb.1548:
	s_or_b32 exec_lo, exec_lo, s17
	s_delay_alu instid0(SALU_CYCLE_1)
	s_and_b32 s7, s7, exec_lo
	s_or_saveexec_b32 s13, s13
	v_mov_b64_e32 v[0:1], 0x7ff8000020000000
	s_xor_b32 exec_lo, exec_lo, s13
	s_cbranch_execnz .LBB214_1567
.LBB214_1549:
	s_or_b32 exec_lo, exec_lo, s13
	s_and_saveexec_b32 s13, s7
	s_cbranch_execz .LBB214_1551
.LBB214_1550:
	v_and_b32_e32 v0, 0xffff, v8
	s_delay_alu instid0(VALU_DEP_1) | instskip(SKIP_1) | instid1(VALU_DEP_2)
	v_and_b32_e32 v1, 7, v0
	v_bfe_u32 v13, v0, 3, 4
	v_clz_i32_u32_e32 v9, v1
	s_delay_alu instid0(VALU_DEP_2) | instskip(NEXT) | instid1(VALU_DEP_2)
	v_cmp_eq_u32_e32 vcc_lo, 0, v13
	v_min_u32_e32 v9, 32, v9
	s_delay_alu instid0(VALU_DEP_1) | instskip(NEXT) | instid1(VALU_DEP_1)
	v_subrev_nc_u32_e32 v12, 28, v9
	v_dual_lshlrev_b32 v0, v12, v0 :: v_dual_sub_nc_u32 v9, 29, v9
	s_delay_alu instid0(VALU_DEP_1) | instskip(NEXT) | instid1(VALU_DEP_2)
	v_and_b32_e32 v0, 7, v0
	v_dual_cndmask_b32 v9, v13, v9 :: v_dual_lshlrev_b32 v8, 24, v8
	s_delay_alu instid0(VALU_DEP_2) | instskip(NEXT) | instid1(VALU_DEP_2)
	v_cndmask_b32_e32 v0, v1, v0, vcc_lo
	v_and_b32_e32 v1, 0x80000000, v8
	s_delay_alu instid0(VALU_DEP_3) | instskip(NEXT) | instid1(VALU_DEP_3)
	v_lshl_add_u32 v8, v9, 23, 0x3b800000
	v_lshlrev_b32_e32 v0, 20, v0
	s_delay_alu instid0(VALU_DEP_1) | instskip(NEXT) | instid1(VALU_DEP_1)
	v_or3_b32 v0, v1, v8, v0
	v_cvt_f64_f32_e32 v[0:1], v0
.LBB214_1551:
	s_or_b32 exec_lo, exec_lo, s13
.LBB214_1552:
	s_mov_b32 s7, -1
.LBB214_1553:
	s_mov_b32 s13, 0
.LBB214_1554:
	s_delay_alu instid0(SALU_CYCLE_1)
	s_and_b32 vcc_lo, exec_lo, s13
	s_cbranch_vccz .LBB214_1587
; %bb.1555:
	s_cmp_gt_i32 s0, 22
	s_cbranch_scc0 .LBB214_1565
; %bb.1556:
	s_cmp_lt_i32 s0, 24
	s_cbranch_scc1 .LBB214_1568
; %bb.1557:
	s_cmp_gt_i32 s0, 24
	s_cbranch_scc0 .LBB214_1569
; %bb.1558:
	global_load_u8 v8, v[4:5], off
	s_mov_b32 s7, exec_lo
	s_wait_loadcnt 0x0
	v_cmpx_lt_i16_e32 0x7f, v8
	s_xor_b32 s7, exec_lo, s7
	s_cbranch_execz .LBB214_1581
; %bb.1559:
	s_mov_b32 s6, -1
	s_mov_b32 s13, exec_lo
	v_cmpx_eq_u16_e32 0x80, v8
; %bb.1560:
	s_xor_b32 s6, exec_lo, -1
; %bb.1561:
	s_or_b32 exec_lo, exec_lo, s13
	s_delay_alu instid0(SALU_CYCLE_1)
	s_and_b32 s6, s6, exec_lo
	s_or_saveexec_b32 s7, s7
	v_mov_b64_e32 v[0:1], 0x7ff8000020000000
	s_xor_b32 exec_lo, exec_lo, s7
	s_cbranch_execnz .LBB214_1582
.LBB214_1562:
	s_or_b32 exec_lo, exec_lo, s7
	s_and_saveexec_b32 s7, s6
	s_cbranch_execz .LBB214_1564
.LBB214_1563:
	v_and_b32_e32 v0, 0xffff, v8
	s_delay_alu instid0(VALU_DEP_1) | instskip(SKIP_1) | instid1(VALU_DEP_2)
	v_and_b32_e32 v1, 3, v0
	v_bfe_u32 v13, v0, 2, 5
	v_clz_i32_u32_e32 v9, v1
	s_delay_alu instid0(VALU_DEP_2) | instskip(NEXT) | instid1(VALU_DEP_2)
	v_cmp_eq_u32_e32 vcc_lo, 0, v13
	v_min_u32_e32 v9, 32, v9
	s_delay_alu instid0(VALU_DEP_1) | instskip(NEXT) | instid1(VALU_DEP_1)
	v_subrev_nc_u32_e32 v12, 29, v9
	v_dual_lshlrev_b32 v0, v12, v0 :: v_dual_sub_nc_u32 v9, 30, v9
	s_delay_alu instid0(VALU_DEP_1) | instskip(NEXT) | instid1(VALU_DEP_2)
	v_and_b32_e32 v0, 3, v0
	v_dual_cndmask_b32 v9, v13, v9 :: v_dual_lshlrev_b32 v8, 24, v8
	s_delay_alu instid0(VALU_DEP_2) | instskip(NEXT) | instid1(VALU_DEP_2)
	v_cndmask_b32_e32 v0, v1, v0, vcc_lo
	v_and_b32_e32 v1, 0x80000000, v8
	s_delay_alu instid0(VALU_DEP_3) | instskip(NEXT) | instid1(VALU_DEP_3)
	v_lshl_add_u32 v8, v9, 23, 0x37800000
	v_lshlrev_b32_e32 v0, 21, v0
	s_delay_alu instid0(VALU_DEP_1) | instskip(NEXT) | instid1(VALU_DEP_1)
	v_or3_b32 v0, v1, v8, v0
	v_cvt_f64_f32_e32 v[0:1], v0
.LBB214_1564:
	s_or_b32 exec_lo, exec_lo, s7
	s_mov_b32 s6, 0
	s_branch .LBB214_1570
.LBB214_1565:
	s_mov_b32 s6, -1
                                        ; implicit-def: $vgpr0_vgpr1
	s_branch .LBB214_1576
.LBB214_1566:
	s_or_saveexec_b32 s13, s13
	v_mov_b64_e32 v[0:1], 0x7ff8000020000000
	s_xor_b32 exec_lo, exec_lo, s13
	s_cbranch_execz .LBB214_1549
.LBB214_1567:
	v_cmp_ne_u16_e32 vcc_lo, 0, v8
	v_mov_b64_e32 v[0:1], 0
	s_and_not1_b32 s7, s7, exec_lo
	s_and_b32 s17, vcc_lo, exec_lo
	s_delay_alu instid0(SALU_CYCLE_1)
	s_or_b32 s7, s7, s17
	s_or_b32 exec_lo, exec_lo, s13
	s_and_saveexec_b32 s13, s7
	s_cbranch_execnz .LBB214_1550
	s_branch .LBB214_1551
.LBB214_1568:
	s_mov_b32 s6, -1
                                        ; implicit-def: $vgpr0_vgpr1
	s_branch .LBB214_1573
.LBB214_1569:
	s_mov_b32 s6, -1
                                        ; implicit-def: $vgpr0_vgpr1
.LBB214_1570:
	s_delay_alu instid0(SALU_CYCLE_1)
	s_and_b32 vcc_lo, exec_lo, s6
	s_cbranch_vccz .LBB214_1572
; %bb.1571:
	global_load_u8 v0, v[4:5], off
	s_wait_loadcnt 0x0
	v_lshlrev_b32_e32 v0, 24, v0
	s_delay_alu instid0(VALU_DEP_1) | instskip(NEXT) | instid1(VALU_DEP_1)
	v_and_b32_e32 v1, 0x7f000000, v0
	v_clz_i32_u32_e32 v8, v1
	v_cmp_ne_u32_e32 vcc_lo, 0, v1
	v_add_nc_u32_e32 v12, 0x1000000, v1
	s_delay_alu instid0(VALU_DEP_3) | instskip(NEXT) | instid1(VALU_DEP_1)
	v_min_u32_e32 v8, 32, v8
	v_sub_nc_u32_e64 v8, v8, 4 clamp
	s_delay_alu instid0(VALU_DEP_1) | instskip(NEXT) | instid1(VALU_DEP_1)
	v_dual_lshlrev_b32 v9, v8, v1 :: v_dual_lshlrev_b32 v8, 23, v8
	v_lshrrev_b32_e32 v9, 4, v9
	s_delay_alu instid0(VALU_DEP_1) | instskip(SKIP_1) | instid1(VALU_DEP_2)
	v_sub_nc_u32_e32 v8, v9, v8
	v_ashrrev_i32_e32 v9, 8, v12
	v_add_nc_u32_e32 v8, 0x3c000000, v8
	s_delay_alu instid0(VALU_DEP_1) | instskip(NEXT) | instid1(VALU_DEP_1)
	v_and_or_b32 v8, 0x7f800000, v9, v8
	v_cndmask_b32_e32 v1, 0, v8, vcc_lo
	s_delay_alu instid0(VALU_DEP_1) | instskip(NEXT) | instid1(VALU_DEP_1)
	v_and_or_b32 v0, 0x80000000, v0, v1
	v_cvt_f64_f32_e32 v[0:1], v0
.LBB214_1572:
	s_mov_b32 s6, 0
.LBB214_1573:
	s_delay_alu instid0(SALU_CYCLE_1)
	s_and_not1_b32 vcc_lo, exec_lo, s6
	s_cbranch_vccnz .LBB214_1575
; %bb.1574:
	global_load_u8 v0, v[4:5], off
	s_wait_loadcnt 0x0
	v_lshlrev_b32_e32 v1, 25, v0
	v_lshlrev_b16 v0, 8, v0
	s_delay_alu instid0(VALU_DEP_1) | instskip(SKIP_1) | instid1(VALU_DEP_2)
	v_and_or_b32 v9, 0x7f00, v0, 0.5
	v_bfe_i32 v0, v0, 0, 16
	v_add_f32_e32 v9, -0.5, v9
	v_lshrrev_b32_e32 v8, 4, v1
	v_cmp_gt_u32_e32 vcc_lo, 0x8000000, v1
	s_delay_alu instid0(VALU_DEP_2) | instskip(NEXT) | instid1(VALU_DEP_1)
	v_or_b32_e32 v8, 0x70000000, v8
	v_mul_f32_e32 v8, 0x7800000, v8
	s_delay_alu instid0(VALU_DEP_1) | instskip(NEXT) | instid1(VALU_DEP_1)
	v_cndmask_b32_e32 v1, v8, v9, vcc_lo
	v_and_or_b32 v0, 0x80000000, v0, v1
	s_delay_alu instid0(VALU_DEP_1)
	v_cvt_f64_f32_e32 v[0:1], v0
.LBB214_1575:
	s_mov_b32 s6, 0
	s_mov_b32 s7, -1
.LBB214_1576:
	s_and_not1_b32 vcc_lo, exec_lo, s6
	s_mov_b32 s6, 0
	s_cbranch_vccnz .LBB214_1587
; %bb.1577:
	s_cmp_gt_i32 s0, 14
	s_cbranch_scc0 .LBB214_1580
; %bb.1578:
	s_cmp_eq_u32 s0, 15
	s_cbranch_scc0 .LBB214_1583
; %bb.1579:
	global_load_u16 v0, v[4:5], off
	s_mov_b32 s3, 0
	s_mov_b32 s7, -1
	s_wait_loadcnt 0x0
	v_lshlrev_b32_e32 v0, 16, v0
	s_delay_alu instid0(VALU_DEP_1)
	v_cvt_f64_f32_e32 v[0:1], v0
	s_branch .LBB214_1585
.LBB214_1580:
	s_mov_b32 s6, -1
	s_branch .LBB214_1584
.LBB214_1581:
	s_or_saveexec_b32 s7, s7
	v_mov_b64_e32 v[0:1], 0x7ff8000020000000
	s_xor_b32 exec_lo, exec_lo, s7
	s_cbranch_execz .LBB214_1562
.LBB214_1582:
	v_cmp_ne_u16_e32 vcc_lo, 0, v8
	v_mov_b64_e32 v[0:1], 0
	s_and_not1_b32 s6, s6, exec_lo
	s_and_b32 s13, vcc_lo, exec_lo
	s_delay_alu instid0(SALU_CYCLE_1)
	s_or_b32 s6, s6, s13
	s_or_b32 exec_lo, exec_lo, s7
	s_and_saveexec_b32 s7, s6
	s_cbranch_execnz .LBB214_1563
	s_branch .LBB214_1564
.LBB214_1583:
	s_mov_b32 s3, -1
.LBB214_1584:
                                        ; implicit-def: $vgpr0_vgpr1
.LBB214_1585:
	s_and_b32 vcc_lo, exec_lo, s6
	s_mov_b32 s6, 0
	s_cbranch_vccz .LBB214_1587
; %bb.1586:
	s_cmp_lg_u32 s0, 11
	s_mov_b32 s6, -1
	s_cselect_b32 s3, -1, 0
.LBB214_1587:
	s_delay_alu instid0(SALU_CYCLE_1)
	s_and_b32 vcc_lo, exec_lo, s3
	s_cbranch_vccnz .LBB214_2135
; %bb.1588:
	s_and_not1_b32 vcc_lo, exec_lo, s6
	s_cbranch_vccnz .LBB214_1590
.LBB214_1589:
	global_load_u8 v0, v[4:5], off
	s_mov_b32 s7, -1
	s_wait_loadcnt 0x0
	v_cmp_ne_u16_e32 vcc_lo, 0, v0
	v_mov_b32_e32 v0, 0
	v_cndmask_b32_e64 v1, 0, 0x3ff00000, vcc_lo
.LBB214_1590:
	s_mov_b32 s3, 0
.LBB214_1591:
	s_delay_alu instid0(SALU_CYCLE_1)
	s_and_b32 vcc_lo, exec_lo, s3
	s_cbranch_vccz .LBB214_1640
; %bb.1592:
	s_cmp_lt_i32 s0, 5
	s_cbranch_scc1 .LBB214_1597
; %bb.1593:
	s_cmp_lt_i32 s0, 8
	s_cbranch_scc1 .LBB214_1598
	;; [unrolled: 3-line block ×3, first 2 shown]
; %bb.1595:
	s_cmp_gt_i32 s0, 9
	s_cbranch_scc0 .LBB214_1600
; %bb.1596:
	global_load_b64 v[0:1], v[4:5], off
	s_mov_b32 s3, 0
	s_branch .LBB214_1601
.LBB214_1597:
	s_mov_b32 s3, -1
                                        ; implicit-def: $vgpr0_vgpr1
	s_branch .LBB214_1619
.LBB214_1598:
	s_mov_b32 s3, -1
                                        ; implicit-def: $vgpr0_vgpr1
	s_branch .LBB214_1607
.LBB214_1599:
	s_mov_b32 s3, -1
                                        ; implicit-def: $vgpr0_vgpr1
	s_branch .LBB214_1604
.LBB214_1600:
	s_mov_b32 s3, -1
                                        ; implicit-def: $vgpr0_vgpr1
.LBB214_1601:
	s_delay_alu instid0(SALU_CYCLE_1)
	s_and_not1_b32 vcc_lo, exec_lo, s3
	s_cbranch_vccnz .LBB214_1603
; %bb.1602:
	s_wait_loadcnt 0x0
	global_load_b32 v0, v[4:5], off
	s_wait_loadcnt 0x0
	v_cvt_f64_f32_e32 v[0:1], v0
.LBB214_1603:
	s_mov_b32 s3, 0
.LBB214_1604:
	s_delay_alu instid0(SALU_CYCLE_1)
	s_and_not1_b32 vcc_lo, exec_lo, s3
	s_cbranch_vccnz .LBB214_1606
; %bb.1605:
	s_wait_loadcnt 0x0
	global_load_b32 v0, v[4:5], off
	s_wait_loadcnt 0x0
	v_cvt_f32_f16_e32 v0, v0
	s_delay_alu instid0(VALU_DEP_1)
	v_cvt_f64_f32_e32 v[0:1], v0
.LBB214_1606:
	s_mov_b32 s3, 0
.LBB214_1607:
	s_delay_alu instid0(SALU_CYCLE_1)
	s_and_not1_b32 vcc_lo, exec_lo, s3
	s_cbranch_vccnz .LBB214_1618
; %bb.1608:
	s_cmp_lt_i32 s0, 6
	s_cbranch_scc1 .LBB214_1611
; %bb.1609:
	s_cmp_gt_i32 s0, 6
	s_cbranch_scc0 .LBB214_1612
; %bb.1610:
	s_wait_loadcnt 0x0
	global_load_b64 v[0:1], v[4:5], off
	s_mov_b32 s3, 0
	s_branch .LBB214_1613
.LBB214_1611:
	s_mov_b32 s3, -1
                                        ; implicit-def: $vgpr0_vgpr1
	s_branch .LBB214_1616
.LBB214_1612:
	s_mov_b32 s3, -1
                                        ; implicit-def: $vgpr0_vgpr1
.LBB214_1613:
	s_delay_alu instid0(SALU_CYCLE_1)
	s_and_not1_b32 vcc_lo, exec_lo, s3
	s_cbranch_vccnz .LBB214_1615
; %bb.1614:
	s_wait_loadcnt 0x0
	global_load_b32 v0, v[4:5], off
	s_wait_loadcnt 0x0
	v_cvt_f64_f32_e32 v[0:1], v0
.LBB214_1615:
	s_mov_b32 s3, 0
.LBB214_1616:
	s_delay_alu instid0(SALU_CYCLE_1)
	s_and_not1_b32 vcc_lo, exec_lo, s3
	s_cbranch_vccnz .LBB214_1618
; %bb.1617:
	s_wait_loadcnt 0x0
	global_load_u16 v0, v[4:5], off
	s_wait_loadcnt 0x0
	v_cvt_f32_f16_e32 v0, v0
	s_delay_alu instid0(VALU_DEP_1)
	v_cvt_f64_f32_e32 v[0:1], v0
.LBB214_1618:
	s_mov_b32 s3, 0
.LBB214_1619:
	s_delay_alu instid0(SALU_CYCLE_1)
	s_and_not1_b32 vcc_lo, exec_lo, s3
	s_cbranch_vccnz .LBB214_1639
; %bb.1620:
	s_cmp_lt_i32 s0, 2
	s_cbranch_scc1 .LBB214_1624
; %bb.1621:
	s_cmp_lt_i32 s0, 3
	s_cbranch_scc1 .LBB214_1625
; %bb.1622:
	s_cmp_gt_i32 s0, 3
	s_cbranch_scc0 .LBB214_1626
; %bb.1623:
	s_wait_loadcnt 0x0
	global_load_b64 v[0:1], v[4:5], off
	s_mov_b32 s3, 0
	s_wait_loadcnt 0x0
	v_cvt_f64_i32_e32 v[8:9], v1
	v_cvt_f64_u32_e32 v[0:1], v0
	s_delay_alu instid0(VALU_DEP_2) | instskip(NEXT) | instid1(VALU_DEP_1)
	v_ldexp_f64 v[8:9], v[8:9], 32
	v_add_f64_e32 v[0:1], v[8:9], v[0:1]
	s_branch .LBB214_1627
.LBB214_1624:
	s_mov_b32 s3, -1
                                        ; implicit-def: $vgpr0_vgpr1
	s_branch .LBB214_1633
.LBB214_1625:
	s_mov_b32 s3, -1
                                        ; implicit-def: $vgpr0_vgpr1
	s_branch .LBB214_1630
.LBB214_1626:
	s_mov_b32 s3, -1
                                        ; implicit-def: $vgpr0_vgpr1
.LBB214_1627:
	s_delay_alu instid0(SALU_CYCLE_1)
	s_and_not1_b32 vcc_lo, exec_lo, s3
	s_cbranch_vccnz .LBB214_1629
; %bb.1628:
	s_wait_loadcnt 0x0
	global_load_b32 v0, v[4:5], off
	s_wait_loadcnt 0x0
	v_cvt_f64_i32_e32 v[0:1], v0
.LBB214_1629:
	s_mov_b32 s3, 0
.LBB214_1630:
	s_delay_alu instid0(SALU_CYCLE_1)
	s_and_not1_b32 vcc_lo, exec_lo, s3
	s_cbranch_vccnz .LBB214_1632
; %bb.1631:
	s_wait_loadcnt 0x0
	global_load_i16 v0, v[4:5], off
	s_wait_loadcnt 0x0
	v_cvt_f64_i32_e32 v[0:1], v0
.LBB214_1632:
	s_mov_b32 s3, 0
.LBB214_1633:
	s_delay_alu instid0(SALU_CYCLE_1)
	s_and_not1_b32 vcc_lo, exec_lo, s3
	s_cbranch_vccnz .LBB214_1639
; %bb.1634:
	s_cmp_gt_i32 s0, 0
	s_mov_b32 s0, 0
	s_cbranch_scc0 .LBB214_1636
; %bb.1635:
	s_wait_loadcnt 0x0
	global_load_i8 v0, v[4:5], off
	s_wait_loadcnt 0x0
	v_cvt_f64_i32_e32 v[0:1], v0
	s_branch .LBB214_1637
.LBB214_1636:
	s_mov_b32 s0, -1
                                        ; implicit-def: $vgpr0_vgpr1
.LBB214_1637:
	s_delay_alu instid0(SALU_CYCLE_1)
	s_and_not1_b32 vcc_lo, exec_lo, s0
	s_cbranch_vccnz .LBB214_1639
; %bb.1638:
	s_wait_loadcnt 0x0
	global_load_u8 v0, v[4:5], off
	s_wait_loadcnt 0x0
	v_cvt_f64_u32_e32 v[0:1], v0
.LBB214_1639:
	s_mov_b32 s7, -1
.LBB214_1640:
	s_delay_alu instid0(SALU_CYCLE_1)
	s_and_not1_b32 vcc_lo, exec_lo, s7
	s_cbranch_vccnz .LBB214_1645
; %bb.1641:
	s_mov_b32 s0, exec_lo
	s_wait_loadcnt 0x0
	s_delay_alu instid0(VALU_DEP_1)
	v_cmpx_o_f64_e32 v[0:1], v[0:1]
	s_cbranch_execz .LBB214_1700
; %bb.1642:
	s_cmp_lt_i32 s14, 1
	s_mov_b32 s3, 0
	s_cbranch_scc1 .LBB214_1690
; %bb.1643:
	s_cmp_eq_u32 s14, 1
	s_cbranch_scc0 .LBB214_1691
; %bb.1644:
	v_max_num_f64_e64 v[4:5], s[8:9], s[8:9]
	v_max_num_f64_e32 v[8:9], v[0:1], v[0:1]
	s_mov_b32 s6, 0
	s_delay_alu instid0(VALU_DEP_1)
	v_min_num_f64_e32 v[4:5], v[8:9], v[4:5]
	s_branch .LBB214_1692
.LBB214_1645:
	s_mov_b32 s0, 0
	s_mov_b32 s3, 0
                                        ; implicit-def: $sgpr17
                                        ; implicit-def: $vgpr4_vgpr5
                                        ; implicit-def: $vgpr0_vgpr1
.LBB214_1646:
	s_and_not1_b32 s2, s16, exec_lo
	s_and_b32 s4, s1, exec_lo
	s_and_b32 s0, s0, exec_lo
	;; [unrolled: 1-line block ×3, first 2 shown]
	s_or_b32 s16, s2, s4
.LBB214_1647:
	s_wait_xcnt 0x0
	s_or_b32 exec_lo, exec_lo, s15
	s_and_saveexec_b32 s2, s16
	s_cbranch_execz .LBB214_1650
; %bb.1648:
	; divergent unreachable
	s_or_b32 exec_lo, exec_lo, s2
	s_and_saveexec_b32 s2, s1
	s_delay_alu instid0(SALU_CYCLE_1)
	s_xor_b32 s1, exec_lo, s2
	s_cbranch_execnz .LBB214_1651
.LBB214_1649:
	s_or_b32 exec_lo, exec_lo, s1
	s_and_saveexec_b32 s1, s0
	s_cbranch_execnz .LBB214_1652
	s_branch .LBB214_1689
.LBB214_1650:
	s_or_b32 exec_lo, exec_lo, s2
	s_and_saveexec_b32 s2, s1
	s_delay_alu instid0(SALU_CYCLE_1)
	s_xor_b32 s1, exec_lo, s2
	s_cbranch_execz .LBB214_1649
.LBB214_1651:
	s_wait_loadcnt 0x0
	s_delay_alu instid0(VALU_DEP_1)
	v_cmp_neq_f64_e32 vcc_lo, 0, v[0:1]
	v_cndmask_b32_e64 v2, 0, 1, vcc_lo
	global_store_b8 v[4:5], v2, off
	s_wait_xcnt 0x0
	s_or_b32 exec_lo, exec_lo, s1
	s_and_saveexec_b32 s1, s0
	s_cbranch_execz .LBB214_1689
.LBB214_1652:
	s_sext_i32_i16 s1, s17
	s_mov_b32 s0, -1
	s_cmp_lt_i32 s1, 5
	s_cbranch_scc1 .LBB214_1673
; %bb.1653:
	s_cmp_lt_i32 s1, 8
	s_cbranch_scc1 .LBB214_1663
; %bb.1654:
	;; [unrolled: 3-line block ×3, first 2 shown]
	s_cmp_gt_i32 s1, 9
	s_cbranch_scc0 .LBB214_1657
; %bb.1656:
	s_wait_loadcnt 0x0
	v_mov_b32_e32 v2, 0
	s_mov_b32 s0, 0
	s_delay_alu instid0(VALU_DEP_1)
	v_mov_b32_e32 v3, v2
	global_store_b128 v[4:5], v[0:3], off
.LBB214_1657:
	s_and_not1_b32 vcc_lo, exec_lo, s0
	s_cbranch_vccnz .LBB214_1659
; %bb.1658:
	s_wait_loadcnt 0x0
	v_cvt_f32_f64_e32 v2, v[0:1]
	v_mov_b32_e32 v3, 0
	global_store_b64 v[4:5], v[2:3], off
.LBB214_1659:
	s_mov_b32 s0, 0
.LBB214_1660:
	s_delay_alu instid0(SALU_CYCLE_1)
	s_and_not1_b32 vcc_lo, exec_lo, s0
	s_cbranch_vccnz .LBB214_1662
; %bb.1661:
	s_wait_loadcnt 0x0
	v_and_or_b32 v2, 0x1ff, v1, v0
	v_lshrrev_b32_e32 v3, 8, v1
	v_bfe_u32 v6, v1, 20, 11
	s_delay_alu instid0(VALU_DEP_3) | instskip(NEXT) | instid1(VALU_DEP_2)
	v_cmp_ne_u32_e32 vcc_lo, 0, v2
	v_sub_nc_u32_e32 v7, 0x3f1, v6
	v_cndmask_b32_e64 v2, 0, 1, vcc_lo
	s_delay_alu instid0(VALU_DEP_1) | instskip(NEXT) | instid1(VALU_DEP_3)
	v_and_or_b32 v2, 0xffe, v3, v2
	v_med3_i32 v3, v7, 0, 13
	s_delay_alu instid0(VALU_DEP_2) | instskip(NEXT) | instid1(VALU_DEP_1)
	v_or_b32_e32 v7, 0x1000, v2
	v_lshrrev_b32_e32 v8, v3, v7
	s_delay_alu instid0(VALU_DEP_1) | instskip(NEXT) | instid1(VALU_DEP_1)
	v_lshlrev_b32_e32 v3, v3, v8
	v_cmp_ne_u32_e32 vcc_lo, v3, v7
	v_cndmask_b32_e64 v3, 0, 1, vcc_lo
	s_delay_alu instid0(VALU_DEP_1) | instskip(SKIP_1) | instid1(VALU_DEP_1)
	v_or_b32_e32 v3, v8, v3
	v_add_nc_u32_e32 v6, 0xfffffc10, v6
	v_lshl_or_b32 v7, v6, 12, v2
	v_cmp_gt_i32_e32 vcc_lo, 1, v6
	s_delay_alu instid0(VALU_DEP_2) | instskip(NEXT) | instid1(VALU_DEP_1)
	v_cndmask_b32_e32 v3, v7, v3, vcc_lo
	v_dual_lshrrev_b32 v3, 2, v3 :: v_dual_bitop2_b32 v7, 7, v3 bitop3:0x40
	s_delay_alu instid0(VALU_DEP_1) | instskip(SKIP_4) | instid1(VALU_DEP_2)
	v_cmp_lt_i32_e32 vcc_lo, 5, v7
	v_cndmask_b32_e64 v8, 0, 1, vcc_lo
	v_cmp_eq_u32_e32 vcc_lo, 3, v7
	v_cndmask_b32_e64 v7, 0, 1, vcc_lo
	v_cmp_ne_u32_e32 vcc_lo, 0, v2
	v_or_b32_e32 v7, v7, v8
	s_delay_alu instid0(VALU_DEP_1) | instskip(NEXT) | instid1(VALU_DEP_1)
	v_dual_mov_b32 v8, 0x7e00 :: v_dual_add_nc_u32 v3, v3, v7
	v_cndmask_b32_e32 v2, 0x7c00, v8, vcc_lo
	v_cmp_gt_i32_e32 vcc_lo, 31, v6
	v_lshrrev_b32_e32 v7, 16, v1
	s_delay_alu instid0(VALU_DEP_4) | instskip(SKIP_1) | instid1(VALU_DEP_2)
	v_cndmask_b32_e32 v3, 0x7c00, v3, vcc_lo
	v_cmp_eq_u32_e32 vcc_lo, 0x40f, v6
	v_cndmask_b32_e32 v2, v3, v2, vcc_lo
	s_delay_alu instid0(VALU_DEP_4) | instskip(NEXT) | instid1(VALU_DEP_1)
	v_and_b32_e32 v3, 0x8000, v7
	v_bitop3_b32 v2, v3, 0xffff, v2 bitop3:0xc8
	global_store_b32 v[4:5], v2, off
.LBB214_1662:
	s_mov_b32 s0, 0
.LBB214_1663:
	s_delay_alu instid0(SALU_CYCLE_1)
	s_and_not1_b32 vcc_lo, exec_lo, s0
	s_cbranch_vccnz .LBB214_1672
; %bb.1664:
	s_sext_i32_i16 s1, s17
	s_mov_b32 s0, -1
	s_cmp_lt_i32 s1, 6
	s_cbranch_scc1 .LBB214_1670
; %bb.1665:
	s_cmp_gt_i32 s1, 6
	s_cbranch_scc0 .LBB214_1667
; %bb.1666:
	s_mov_b32 s0, 0
	s_wait_loadcnt 0x0
	global_store_b64 v[4:5], v[0:1], off
.LBB214_1667:
	s_and_not1_b32 vcc_lo, exec_lo, s0
	s_cbranch_vccnz .LBB214_1669
; %bb.1668:
	s_wait_loadcnt 0x0
	v_cvt_f32_f64_e32 v2, v[0:1]
	global_store_b32 v[4:5], v2, off
.LBB214_1669:
	s_mov_b32 s0, 0
.LBB214_1670:
	s_delay_alu instid0(SALU_CYCLE_1)
	s_and_not1_b32 vcc_lo, exec_lo, s0
	s_cbranch_vccnz .LBB214_1672
; %bb.1671:
	s_wait_loadcnt 0x0
	v_and_or_b32 v2, 0x1ff, v1, v0
	v_lshrrev_b32_e32 v3, 8, v1
	v_bfe_u32 v6, v1, 20, 11
	s_delay_alu instid0(VALU_DEP_3) | instskip(NEXT) | instid1(VALU_DEP_2)
	v_cmp_ne_u32_e32 vcc_lo, 0, v2
	v_sub_nc_u32_e32 v7, 0x3f1, v6
	v_cndmask_b32_e64 v2, 0, 1, vcc_lo
	s_delay_alu instid0(VALU_DEP_1) | instskip(NEXT) | instid1(VALU_DEP_3)
	v_and_or_b32 v2, 0xffe, v3, v2
	v_med3_i32 v3, v7, 0, 13
	s_delay_alu instid0(VALU_DEP_2) | instskip(NEXT) | instid1(VALU_DEP_1)
	v_or_b32_e32 v7, 0x1000, v2
	v_lshrrev_b32_e32 v8, v3, v7
	s_delay_alu instid0(VALU_DEP_1) | instskip(NEXT) | instid1(VALU_DEP_1)
	v_lshlrev_b32_e32 v3, v3, v8
	v_cmp_ne_u32_e32 vcc_lo, v3, v7
	v_cndmask_b32_e64 v3, 0, 1, vcc_lo
	s_delay_alu instid0(VALU_DEP_1) | instskip(SKIP_1) | instid1(VALU_DEP_1)
	v_or_b32_e32 v3, v8, v3
	v_add_nc_u32_e32 v6, 0xfffffc10, v6
	v_lshl_or_b32 v7, v6, 12, v2
	v_cmp_gt_i32_e32 vcc_lo, 1, v6
	s_delay_alu instid0(VALU_DEP_2) | instskip(NEXT) | instid1(VALU_DEP_1)
	v_cndmask_b32_e32 v3, v7, v3, vcc_lo
	v_dual_lshrrev_b32 v3, 2, v3 :: v_dual_bitop2_b32 v7, 7, v3 bitop3:0x40
	s_delay_alu instid0(VALU_DEP_1) | instskip(SKIP_4) | instid1(VALU_DEP_2)
	v_cmp_lt_i32_e32 vcc_lo, 5, v7
	v_cndmask_b32_e64 v8, 0, 1, vcc_lo
	v_cmp_eq_u32_e32 vcc_lo, 3, v7
	v_cndmask_b32_e64 v7, 0, 1, vcc_lo
	v_cmp_ne_u32_e32 vcc_lo, 0, v2
	v_or_b32_e32 v7, v7, v8
	s_delay_alu instid0(VALU_DEP_1) | instskip(NEXT) | instid1(VALU_DEP_1)
	v_dual_mov_b32 v8, 0x7e00 :: v_dual_add_nc_u32 v3, v3, v7
	v_cndmask_b32_e32 v2, 0x7c00, v8, vcc_lo
	v_cmp_gt_i32_e32 vcc_lo, 31, v6
	s_delay_alu instid0(VALU_DEP_3) | instskip(SKIP_1) | instid1(VALU_DEP_2)
	v_cndmask_b32_e32 v3, 0x7c00, v3, vcc_lo
	v_cmp_eq_u32_e32 vcc_lo, 0x40f, v6
	v_dual_cndmask_b32 v2, v3, v2 :: v_dual_lshrrev_b32 v3, 16, v1
	s_delay_alu instid0(VALU_DEP_1)
	v_and_or_b32 v2, 0x8000, v3, v2
	global_store_b16 v[4:5], v2, off
.LBB214_1672:
	s_mov_b32 s0, 0
.LBB214_1673:
	s_delay_alu instid0(SALU_CYCLE_1)
	s_and_not1_b32 vcc_lo, exec_lo, s0
	s_cbranch_vccnz .LBB214_1689
; %bb.1674:
	s_sext_i32_i16 s1, s17
	s_mov_b32 s0, -1
	s_cmp_lt_i32 s1, 2
	s_cbranch_scc1 .LBB214_1684
; %bb.1675:
	s_cmp_lt_i32 s1, 3
	s_cbranch_scc1 .LBB214_1681
; %bb.1676:
	s_cmp_gt_i32 s1, 3
	s_cbranch_scc0 .LBB214_1678
; %bb.1677:
	s_wait_loadcnt 0x0
	v_trunc_f64_e32 v[2:3], v[0:1]
	s_mov_b32 s0, 0
	s_delay_alu instid0(VALU_DEP_1) | instskip(NEXT) | instid1(VALU_DEP_1)
	v_ldexp_f64 v[6:7], v[2:3], 0xffffffe0
	v_floor_f64_e32 v[6:7], v[6:7]
	s_delay_alu instid0(VALU_DEP_1) | instskip(SKIP_1) | instid1(VALU_DEP_2)
	v_fmamk_f64 v[2:3], v[6:7], 0xc1f00000, v[2:3]
	v_cvt_i32_f64_e32 v7, v[6:7]
	v_cvt_u32_f64_e32 v6, v[2:3]
	global_store_b64 v[4:5], v[6:7], off
.LBB214_1678:
	s_and_not1_b32 vcc_lo, exec_lo, s0
	s_cbranch_vccnz .LBB214_1680
; %bb.1679:
	s_wait_loadcnt 0x0
	v_cvt_i32_f64_e32 v2, v[0:1]
	global_store_b32 v[4:5], v2, off
.LBB214_1680:
	s_mov_b32 s0, 0
.LBB214_1681:
	s_delay_alu instid0(SALU_CYCLE_1)
	s_and_not1_b32 vcc_lo, exec_lo, s0
	s_cbranch_vccnz .LBB214_1683
; %bb.1682:
	s_wait_loadcnt 0x0
	v_cvt_i32_f64_e32 v2, v[0:1]
	global_store_b16 v[4:5], v2, off
.LBB214_1683:
	s_mov_b32 s0, 0
.LBB214_1684:
	s_delay_alu instid0(SALU_CYCLE_1)
	s_and_not1_b32 vcc_lo, exec_lo, s0
	s_cbranch_vccnz .LBB214_1689
; %bb.1685:
	s_sext_i32_i16 s0, s17
	s_delay_alu instid0(SALU_CYCLE_1)
	s_cmp_gt_i32 s0, 0
	s_mov_b32 s0, -1
	s_cbranch_scc0 .LBB214_1687
; %bb.1686:
	s_wait_loadcnt 0x0
	v_cvt_i32_f64_e32 v2, v[0:1]
	s_mov_b32 s0, 0
	global_store_b8 v[4:5], v2, off
.LBB214_1687:
	s_and_not1_b32 vcc_lo, exec_lo, s0
	s_cbranch_vccnz .LBB214_1689
; %bb.1688:
	s_wait_loadcnt 0x0
	v_trunc_f64_e32 v[0:1], v[0:1]
	s_delay_alu instid0(VALU_DEP_1) | instskip(NEXT) | instid1(VALU_DEP_1)
	v_ldexp_f64 v[2:3], v[0:1], 0xffffffe0
	v_floor_f64_e32 v[2:3], v[2:3]
	s_delay_alu instid0(VALU_DEP_1) | instskip(NEXT) | instid1(VALU_DEP_1)
	v_fmamk_f64 v[0:1], v[2:3], 0xc1f00000, v[0:1]
	v_cvt_u32_f64_e32 v0, v[0:1]
	global_store_b8 v[4:5], v0, off
	s_endpgm
.LBB214_1689:
	s_endpgm
.LBB214_1690:
	s_mov_b32 s7, -1
	s_mov_b32 s6, 0
                                        ; implicit-def: $vgpr4_vgpr5
	s_branch .LBB214_1693
.LBB214_1691:
	s_mov_b32 s6, -1
                                        ; implicit-def: $vgpr4_vgpr5
.LBB214_1692:
	s_mov_b32 s7, 0
.LBB214_1693:
	s_delay_alu instid0(SALU_CYCLE_1)
	s_and_b32 vcc_lo, exec_lo, s7
	s_cbranch_vccz .LBB214_1695
; %bb.1694:
	s_cmp_lg_u32 s14, 0
	s_mov_b32 s3, -1
	s_cselect_b32 s6, -1, 0
.LBB214_1695:
	v_max_num_f64_e64 v[8:9], s[8:9], s[8:9]
	v_max_num_f64_e32 v[12:13], v[0:1], v[0:1]
	s_and_not1_b32 vcc_lo, exec_lo, s6
	s_delay_alu instid0(VALU_DEP_1)
	v_max_num_f64_e32 v[0:1], v[12:13], v[8:9]
	s_cbranch_vccnz .LBB214_1697
; %bb.1696:
	v_max_num_f64_e32 v[4:5], v[12:13], v[8:9]
	v_max_num_f64_e64 v[8:9], s[10:11], s[10:11]
	s_mov_b32 s3, 0
	s_delay_alu instid0(VALU_DEP_1)
	v_min_num_f64_e32 v[4:5], v[4:5], v[8:9]
.LBB214_1697:
	s_and_not1_b32 vcc_lo, exec_lo, s3
	s_cbranch_vccnz .LBB214_1699
; %bb.1698:
	s_delay_alu instid0(VALU_DEP_1)
	v_mov_b64_e32 v[4:5], v[0:1]
.LBB214_1699:
	s_delay_alu instid0(VALU_DEP_1)
	v_mov_b64_e32 v[0:1], v[4:5]
.LBB214_1700:
	s_or_b32 exec_lo, exec_lo, s0
	v_mul_lo_u32 v8, s12, v14
	s_and_b32 s17, s2, 0xff
	s_delay_alu instid0(SALU_CYCLE_1) | instskip(NEXT) | instid1(VALU_DEP_1)
	s_cmp_lt_i32 s17, 11
	v_ashrrev_i32_e32 v9, 31, v8
	s_delay_alu instid0(VALU_DEP_1)
	v_add_nc_u64_e32 v[12:13], s[4:5], v[8:9]
	s_cbranch_scc1 .LBB214_1778
; %bb.1701:
	s_and_b32 s2, 0xffff, s17
	s_mov_b32 s7, -1
	s_mov_b32 s3, 0
	s_cmp_gt_i32 s2, 25
	s_mov_b32 s6, 0
	s_mov_b32 s0, 0
	s_cbranch_scc0 .LBB214_1734
; %bb.1702:
	s_cmp_gt_i32 s2, 28
	s_cbranch_scc0 .LBB214_1717
; %bb.1703:
	s_cmp_gt_i32 s2, 43
	;; [unrolled: 3-line block ×3, first 2 shown]
	s_cbranch_scc0 .LBB214_1707
; %bb.1705:
	s_mov_b32 s0, -1
	s_mov_b32 s7, 0
	s_cmp_eq_u32 s2, 46
	s_cbranch_scc0 .LBB214_1707
; %bb.1706:
	v_cvt_f32_f64_e32 v4, v[2:3]
	s_mov_b32 s0, 0
	s_mov_b32 s6, -1
	s_delay_alu instid0(VALU_DEP_1) | instskip(SKIP_1) | instid1(VALU_DEP_2)
	v_bfe_u32 v5, v4, 16, 1
	v_cmp_o_f32_e32 vcc_lo, v4, v4
	v_add3_u32 v5, v4, v5, 0x7fff
	s_delay_alu instid0(VALU_DEP_1) | instskip(NEXT) | instid1(VALU_DEP_1)
	v_lshrrev_b32_e32 v5, 16, v5
	v_cndmask_b32_e32 v4, 0x7fc0, v5, vcc_lo
	global_store_b32 v[12:13], v4, off
.LBB214_1707:
	s_and_b32 vcc_lo, exec_lo, s7
	s_cbranch_vccz .LBB214_1712
; %bb.1708:
	s_cmp_eq_u32 s2, 44
	s_mov_b32 s0, -1
	s_cbranch_scc0 .LBB214_1712
; %bb.1709:
	s_wait_xcnt 0x0
	v_cvt_f32_f64_e32 v4, v[2:3]
	v_mov_b32_e32 v5, 0xff
	s_mov_b32 s6, exec_lo
	s_delay_alu instid0(VALU_DEP_2) | instskip(NEXT) | instid1(VALU_DEP_1)
	v_bfe_u32 v9, v4, 23, 8
	v_cmpx_ne_u32_e32 0xff, v9
	s_cbranch_execz .LBB214_1711
; %bb.1710:
	v_and_b32_e32 v5, 0x400000, v4
	v_and_or_b32 v9, 0x3fffff, v4, v9
	v_lshrrev_b32_e32 v4, 23, v4
	s_delay_alu instid0(VALU_DEP_3) | instskip(NEXT) | instid1(VALU_DEP_3)
	v_cmp_ne_u32_e32 vcc_lo, 0, v5
	v_cmp_ne_u32_e64 s0, 0, v9
	s_and_b32 s0, vcc_lo, s0
	s_delay_alu instid0(SALU_CYCLE_1) | instskip(NEXT) | instid1(VALU_DEP_1)
	v_cndmask_b32_e64 v5, 0, 1, s0
	v_add_nc_u32_e32 v5, v4, v5
.LBB214_1711:
	s_or_b32 exec_lo, exec_lo, s6
	s_mov_b32 s0, 0
	s_mov_b32 s6, -1
	global_store_b8 v[12:13], v5, off
.LBB214_1712:
	s_mov_b32 s7, 0
.LBB214_1713:
	s_delay_alu instid0(SALU_CYCLE_1)
	s_and_b32 vcc_lo, exec_lo, s7
	s_cbranch_vccz .LBB214_1716
; %bb.1714:
	s_cmp_eq_u32 s2, 29
	s_mov_b32 s0, -1
	s_cbranch_scc0 .LBB214_1716
; %bb.1715:
	s_wait_xcnt 0x0
	v_trunc_f64_e32 v[4:5], v[2:3]
	s_mov_b32 s0, 0
	s_mov_b32 s6, -1
	s_delay_alu instid0(VALU_DEP_1) | instskip(NEXT) | instid1(VALU_DEP_1)
	v_ldexp_f64 v[14:15], v[4:5], 0xffffffe0
	v_floor_f64_e32 v[14:15], v[14:15]
	s_delay_alu instid0(VALU_DEP_1) | instskip(SKIP_1) | instid1(VALU_DEP_2)
	v_fmamk_f64 v[4:5], v[14:15], 0xc1f00000, v[4:5]
	v_cvt_u32_f64_e32 v15, v[14:15]
	v_cvt_u32_f64_e32 v14, v[4:5]
	global_store_b64 v[12:13], v[14:15], off
.LBB214_1716:
	s_mov_b32 s7, 0
.LBB214_1717:
	s_delay_alu instid0(SALU_CYCLE_1)
	s_and_b32 vcc_lo, exec_lo, s7
	s_cbranch_vccz .LBB214_1733
; %bb.1718:
	s_cmp_lt_i32 s2, 27
	s_mov_b32 s6, -1
	s_cbranch_scc1 .LBB214_1724
; %bb.1719:
	s_wait_xcnt 0x0
	v_cvt_u32_f64_e32 v4, v[2:3]
	s_cmp_gt_i32 s2, 27
	s_cbranch_scc0 .LBB214_1721
; %bb.1720:
	s_mov_b32 s6, 0
	global_store_b32 v[12:13], v4, off
.LBB214_1721:
	s_and_not1_b32 vcc_lo, exec_lo, s6
	s_cbranch_vccnz .LBB214_1723
; %bb.1722:
	global_store_b16 v[12:13], v4, off
.LBB214_1723:
	s_mov_b32 s6, 0
.LBB214_1724:
	s_delay_alu instid0(SALU_CYCLE_1)
	s_and_not1_b32 vcc_lo, exec_lo, s6
	s_cbranch_vccnz .LBB214_1732
; %bb.1725:
	s_wait_xcnt 0x0
	v_cvt_f32_f64_e32 v4, v[2:3]
	v_mov_b32_e32 v9, 0x80
	s_mov_b32 s6, exec_lo
	s_delay_alu instid0(VALU_DEP_2) | instskip(NEXT) | instid1(VALU_DEP_1)
	v_and_b32_e32 v5, 0x7fffffff, v4
	v_cmpx_gt_u32_e32 0x43800000, v5
	s_cbranch_execz .LBB214_1731
; %bb.1726:
	v_cmp_lt_u32_e32 vcc_lo, 0x3bffffff, v5
	s_mov_b32 s7, 0
                                        ; implicit-def: $vgpr5
	s_and_saveexec_b32 s8, vcc_lo
	s_delay_alu instid0(SALU_CYCLE_1)
	s_xor_b32 s8, exec_lo, s8
	s_cbranch_execz .LBB214_2136
; %bb.1727:
	v_bfe_u32 v5, v4, 20, 1
	s_mov_b32 s7, exec_lo
	s_delay_alu instid0(VALU_DEP_1) | instskip(NEXT) | instid1(VALU_DEP_1)
	v_add3_u32 v5, v4, v5, 0x487ffff
	v_lshrrev_b32_e32 v5, 20, v5
	s_and_not1_saveexec_b32 s8, s8
	s_cbranch_execnz .LBB214_2137
.LBB214_1728:
	s_or_b32 exec_lo, exec_lo, s8
	v_mov_b32_e32 v9, 0
	s_and_saveexec_b32 s8, s7
.LBB214_1729:
	v_lshrrev_b32_e32 v4, 24, v4
	s_delay_alu instid0(VALU_DEP_1)
	v_and_or_b32 v9, 0x80, v4, v5
.LBB214_1730:
	s_or_b32 exec_lo, exec_lo, s8
.LBB214_1731:
	s_delay_alu instid0(SALU_CYCLE_1)
	s_or_b32 exec_lo, exec_lo, s6
	global_store_b8 v[12:13], v9, off
.LBB214_1732:
	s_mov_b32 s6, -1
.LBB214_1733:
	s_mov_b32 s7, 0
.LBB214_1734:
	s_delay_alu instid0(SALU_CYCLE_1)
	s_and_b32 vcc_lo, exec_lo, s7
	s_cbranch_vccz .LBB214_1774
; %bb.1735:
	s_cmp_gt_i32 s2, 22
	s_mov_b32 s3, -1
	s_cbranch_scc0 .LBB214_1767
; %bb.1736:
	s_cmp_lt_i32 s2, 24
	s_cbranch_scc1 .LBB214_1756
; %bb.1737:
	s_cmp_gt_i32 s2, 24
	s_cbranch_scc0 .LBB214_1745
; %bb.1738:
	s_wait_xcnt 0x0
	v_cvt_f32_f64_e32 v4, v[2:3]
	v_mov_b32_e32 v9, 0x80
	s_mov_b32 s3, exec_lo
	s_delay_alu instid0(VALU_DEP_2) | instskip(NEXT) | instid1(VALU_DEP_1)
	v_and_b32_e32 v5, 0x7fffffff, v4
	v_cmpx_gt_u32_e32 0x47800000, v5
	s_cbranch_execz .LBB214_1744
; %bb.1739:
	v_cmp_lt_u32_e32 vcc_lo, 0x37ffffff, v5
	s_mov_b32 s6, 0
                                        ; implicit-def: $vgpr5
	s_and_saveexec_b32 s7, vcc_lo
	s_delay_alu instid0(SALU_CYCLE_1)
	s_xor_b32 s7, exec_lo, s7
	s_cbranch_execz .LBB214_2139
; %bb.1740:
	v_bfe_u32 v5, v4, 21, 1
	s_mov_b32 s6, exec_lo
	s_delay_alu instid0(VALU_DEP_1) | instskip(NEXT) | instid1(VALU_DEP_1)
	v_add3_u32 v5, v4, v5, 0x88fffff
	v_lshrrev_b32_e32 v5, 21, v5
	s_and_not1_saveexec_b32 s7, s7
	s_cbranch_execnz .LBB214_2140
.LBB214_1741:
	s_or_b32 exec_lo, exec_lo, s7
	v_mov_b32_e32 v9, 0
	s_and_saveexec_b32 s7, s6
.LBB214_1742:
	v_lshrrev_b32_e32 v4, 24, v4
	s_delay_alu instid0(VALU_DEP_1)
	v_and_or_b32 v9, 0x80, v4, v5
.LBB214_1743:
	s_or_b32 exec_lo, exec_lo, s7
.LBB214_1744:
	s_delay_alu instid0(SALU_CYCLE_1)
	s_or_b32 exec_lo, exec_lo, s3
	s_mov_b32 s3, 0
	global_store_b8 v[12:13], v9, off
.LBB214_1745:
	s_and_b32 vcc_lo, exec_lo, s3
	s_cbranch_vccz .LBB214_1755
; %bb.1746:
	s_wait_xcnt 0x0
	v_cvt_f32_f64_e32 v4, v[2:3]
	s_mov_b32 s3, exec_lo
                                        ; implicit-def: $vgpr5
	s_delay_alu instid0(VALU_DEP_1) | instskip(NEXT) | instid1(VALU_DEP_1)
	v_and_b32_e32 v9, 0x7fffffff, v4
	v_cmpx_gt_u32_e32 0x43f00000, v9
	s_xor_b32 s3, exec_lo, s3
	s_cbranch_execz .LBB214_1752
; %bb.1747:
	s_mov_b32 s6, exec_lo
                                        ; implicit-def: $vgpr5
	v_cmpx_lt_u32_e32 0x3c7fffff, v9
	s_xor_b32 s6, exec_lo, s6
; %bb.1748:
	v_bfe_u32 v5, v4, 20, 1
	s_delay_alu instid0(VALU_DEP_1) | instskip(NEXT) | instid1(VALU_DEP_1)
	v_add3_u32 v5, v4, v5, 0x407ffff
	v_and_b32_e32 v9, 0xff00000, v5
	v_lshrrev_b32_e32 v5, 20, v5
	s_delay_alu instid0(VALU_DEP_2) | instskip(NEXT) | instid1(VALU_DEP_2)
	v_cmp_ne_u32_e32 vcc_lo, 0x7f00000, v9
	v_cndmask_b32_e32 v5, 0x7e, v5, vcc_lo
; %bb.1749:
	s_and_not1_saveexec_b32 s6, s6
; %bb.1750:
	v_add_f32_e64 v5, 0x46800000, |v4|
; %bb.1751:
	s_or_b32 exec_lo, exec_lo, s6
                                        ; implicit-def: $vgpr9
.LBB214_1752:
	s_and_not1_saveexec_b32 s3, s3
; %bb.1753:
	v_mov_b32_e32 v5, 0x7f
	v_cmp_lt_u32_e32 vcc_lo, 0x7f800000, v9
	s_delay_alu instid0(VALU_DEP_2)
	v_cndmask_b32_e32 v5, 0x7e, v5, vcc_lo
; %bb.1754:
	s_or_b32 exec_lo, exec_lo, s3
	v_lshrrev_b32_e32 v4, 24, v4
	s_delay_alu instid0(VALU_DEP_1)
	v_and_or_b32 v4, 0x80, v4, v5
	global_store_b8 v[12:13], v4, off
.LBB214_1755:
	s_mov_b32 s3, 0
.LBB214_1756:
	s_delay_alu instid0(SALU_CYCLE_1)
	s_and_not1_b32 vcc_lo, exec_lo, s3
	s_cbranch_vccnz .LBB214_1766
; %bb.1757:
	s_wait_xcnt 0x0
	v_cvt_f32_f64_e32 v4, v[2:3]
	s_mov_b32 s3, exec_lo
                                        ; implicit-def: $vgpr5
	s_delay_alu instid0(VALU_DEP_1) | instskip(NEXT) | instid1(VALU_DEP_1)
	v_and_b32_e32 v9, 0x7fffffff, v4
	v_cmpx_gt_u32_e32 0x47800000, v9
	s_xor_b32 s3, exec_lo, s3
	s_cbranch_execz .LBB214_1763
; %bb.1758:
	s_mov_b32 s6, exec_lo
                                        ; implicit-def: $vgpr5
	v_cmpx_lt_u32_e32 0x387fffff, v9
	s_xor_b32 s6, exec_lo, s6
; %bb.1759:
	v_bfe_u32 v5, v4, 21, 1
	s_delay_alu instid0(VALU_DEP_1) | instskip(NEXT) | instid1(VALU_DEP_1)
	v_add3_u32 v5, v4, v5, 0x80fffff
	v_lshrrev_b32_e32 v5, 21, v5
; %bb.1760:
	s_and_not1_saveexec_b32 s6, s6
; %bb.1761:
	v_add_f32_e64 v5, 0x43000000, |v4|
; %bb.1762:
	s_or_b32 exec_lo, exec_lo, s6
                                        ; implicit-def: $vgpr9
.LBB214_1763:
	s_and_not1_saveexec_b32 s3, s3
; %bb.1764:
	v_mov_b32_e32 v5, 0x7f
	v_cmp_lt_u32_e32 vcc_lo, 0x7f800000, v9
	s_delay_alu instid0(VALU_DEP_2)
	v_cndmask_b32_e32 v5, 0x7c, v5, vcc_lo
; %bb.1765:
	s_or_b32 exec_lo, exec_lo, s3
	v_lshrrev_b32_e32 v4, 24, v4
	s_delay_alu instid0(VALU_DEP_1)
	v_and_or_b32 v4, 0x80, v4, v5
	global_store_b8 v[12:13], v4, off
.LBB214_1766:
	s_mov_b32 s3, 0
	s_mov_b32 s6, -1
.LBB214_1767:
	s_and_not1_b32 vcc_lo, exec_lo, s3
	s_mov_b32 s3, 0
	s_cbranch_vccnz .LBB214_1774
; %bb.1768:
	s_cmp_gt_i32 s2, 14
	s_mov_b32 s3, -1
	s_cbranch_scc0 .LBB214_1772
; %bb.1769:
	s_cmp_eq_u32 s2, 15
	s_mov_b32 s0, -1
	s_cbranch_scc0 .LBB214_1771
; %bb.1770:
	s_wait_xcnt 0x0
	v_cvt_f32_f64_e32 v4, v[2:3]
	s_mov_b32 s0, 0
	s_mov_b32 s6, -1
	s_delay_alu instid0(VALU_DEP_1) | instskip(SKIP_1) | instid1(VALU_DEP_2)
	v_bfe_u32 v5, v4, 16, 1
	v_cmp_o_f32_e32 vcc_lo, v4, v4
	v_add3_u32 v5, v4, v5, 0x7fff
	s_delay_alu instid0(VALU_DEP_1) | instskip(NEXT) | instid1(VALU_DEP_1)
	v_lshrrev_b32_e32 v5, 16, v5
	v_cndmask_b32_e32 v4, 0x7fc0, v5, vcc_lo
	global_store_b16 v[12:13], v4, off
.LBB214_1771:
	s_mov_b32 s3, 0
.LBB214_1772:
	s_delay_alu instid0(SALU_CYCLE_1)
	s_and_b32 vcc_lo, exec_lo, s3
	s_mov_b32 s3, 0
	s_cbranch_vccz .LBB214_1774
; %bb.1773:
	s_cmp_lg_u32 s2, 11
	s_mov_b32 s3, -1
	s_cselect_b32 s0, -1, 0
.LBB214_1774:
	s_delay_alu instid0(SALU_CYCLE_1)
	s_and_b32 vcc_lo, exec_lo, s0
	s_cbranch_vccnz .LBB214_2138
; %bb.1775:
	s_and_not1_b32 vcc_lo, exec_lo, s3
	s_cbranch_vccnz .LBB214_1777
.LBB214_1776:
	v_cmp_neq_f64_e32 vcc_lo, 0, v[2:3]
	s_mov_b32 s6, -1
	s_wait_xcnt 0x0
	v_cndmask_b32_e64 v4, 0, 1, vcc_lo
	global_store_b8 v[12:13], v4, off
.LBB214_1777:
	s_mov_b32 s0, 0
	s_branch .LBB214_1779
.LBB214_1778:
	s_mov_b32 s0, -1
	s_mov_b32 s6, 0
.LBB214_1779:
	s_and_b32 vcc_lo, exec_lo, s0
	s_cbranch_vccz .LBB214_1818
; %bb.1780:
	s_and_b32 s0, 0xffff, s17
	s_mov_b32 s2, -1
	s_cmp_lt_i32 s0, 5
	s_cbranch_scc1 .LBB214_1801
; %bb.1781:
	s_cmp_lt_i32 s0, 8
	s_cbranch_scc1 .LBB214_1791
; %bb.1782:
	;; [unrolled: 3-line block ×3, first 2 shown]
	s_cmp_gt_i32 s0, 9
	s_cbranch_scc0 .LBB214_1785
; %bb.1784:
	s_wait_xcnt 0x0
	v_mov_b32_e32 v4, 0
	s_mov_b32 s2, 0
	s_delay_alu instid0(VALU_DEP_1)
	v_mov_b32_e32 v5, v4
	global_store_b128 v[12:13], v[2:5], off
.LBB214_1785:
	s_and_not1_b32 vcc_lo, exec_lo, s2
	s_cbranch_vccnz .LBB214_1787
; %bb.1786:
	s_wait_xcnt 0x0
	v_cvt_f32_f64_e32 v4, v[2:3]
	v_mov_b32_e32 v5, 0
	global_store_b64 v[12:13], v[4:5], off
.LBB214_1787:
	s_mov_b32 s2, 0
.LBB214_1788:
	s_delay_alu instid0(SALU_CYCLE_1)
	s_and_not1_b32 vcc_lo, exec_lo, s2
	s_cbranch_vccnz .LBB214_1790
; %bb.1789:
	s_wait_xcnt 0x0
	v_and_or_b32 v4, 0x1ff, v3, v2
	v_lshrrev_b32_e32 v5, 8, v3
	v_bfe_u32 v9, v3, 20, 11
	s_delay_alu instid0(VALU_DEP_3) | instskip(NEXT) | instid1(VALU_DEP_2)
	v_cmp_ne_u32_e32 vcc_lo, 0, v4
	v_sub_nc_u32_e32 v14, 0x3f1, v9
	v_add_nc_u32_e32 v9, 0xfffffc10, v9
	v_cndmask_b32_e64 v4, 0, 1, vcc_lo
	s_delay_alu instid0(VALU_DEP_1) | instskip(NEXT) | instid1(VALU_DEP_4)
	v_and_or_b32 v4, 0xffe, v5, v4
	v_med3_i32 v5, v14, 0, 13
	s_delay_alu instid0(VALU_DEP_2) | instskip(NEXT) | instid1(VALU_DEP_1)
	v_or_b32_e32 v14, 0x1000, v4
	v_lshrrev_b32_e32 v15, v5, v14
	s_delay_alu instid0(VALU_DEP_1) | instskip(NEXT) | instid1(VALU_DEP_1)
	v_lshlrev_b32_e32 v5, v5, v15
	v_cmp_ne_u32_e32 vcc_lo, v5, v14
	v_lshl_or_b32 v14, v9, 12, v4
	v_cndmask_b32_e64 v5, 0, 1, vcc_lo
	v_cmp_gt_i32_e32 vcc_lo, 1, v9
	s_delay_alu instid0(VALU_DEP_2) | instskip(NEXT) | instid1(VALU_DEP_1)
	v_or_b32_e32 v5, v15, v5
	v_cndmask_b32_e32 v5, v14, v5, vcc_lo
	s_delay_alu instid0(VALU_DEP_1) | instskip(NEXT) | instid1(VALU_DEP_1)
	v_dual_lshrrev_b32 v5, 2, v5 :: v_dual_bitop2_b32 v14, 7, v5 bitop3:0x40
	v_cmp_lt_i32_e32 vcc_lo, 5, v14
	v_cndmask_b32_e64 v15, 0, 1, vcc_lo
	v_cmp_eq_u32_e32 vcc_lo, 3, v14
	v_cndmask_b32_e64 v14, 0, 1, vcc_lo
	v_cmp_ne_u32_e32 vcc_lo, 0, v4
	s_delay_alu instid0(VALU_DEP_2) | instskip(SKIP_1) | instid1(VALU_DEP_1)
	v_or_b32_e32 v14, v14, v15
	v_mov_b32_e32 v15, 0x7e00
	v_dual_cndmask_b32 v4, 0x7c00, v15 :: v_dual_add_nc_u32 v5, v5, v14
	v_cmp_gt_i32_e32 vcc_lo, 31, v9
	s_delay_alu instid0(VALU_DEP_2) | instskip(SKIP_1) | instid1(VALU_DEP_2)
	v_dual_cndmask_b32 v5, 0x7c00, v5 :: v_dual_lshrrev_b32 v14, 16, v3
	v_cmp_eq_u32_e32 vcc_lo, 0x40f, v9
	v_cndmask_b32_e32 v4, v5, v4, vcc_lo
	s_delay_alu instid0(VALU_DEP_3) | instskip(NEXT) | instid1(VALU_DEP_1)
	v_and_b32_e32 v5, 0x8000, v14
	v_bitop3_b32 v4, v5, 0xffff, v4 bitop3:0xc8
	global_store_b32 v[12:13], v4, off
.LBB214_1790:
	s_mov_b32 s2, 0
.LBB214_1791:
	s_delay_alu instid0(SALU_CYCLE_1)
	s_and_not1_b32 vcc_lo, exec_lo, s2
	s_cbranch_vccnz .LBB214_1800
; %bb.1792:
	s_cmp_lt_i32 s0, 6
	s_mov_b32 s2, -1
	s_cbranch_scc1 .LBB214_1798
; %bb.1793:
	s_cmp_gt_i32 s0, 6
	s_cbranch_scc0 .LBB214_1795
; %bb.1794:
	s_mov_b32 s2, 0
	global_store_b64 v[12:13], v[2:3], off
.LBB214_1795:
	s_and_not1_b32 vcc_lo, exec_lo, s2
	s_cbranch_vccnz .LBB214_1797
; %bb.1796:
	s_wait_xcnt 0x0
	v_cvt_f32_f64_e32 v4, v[2:3]
	global_store_b32 v[12:13], v4, off
.LBB214_1797:
	s_mov_b32 s2, 0
.LBB214_1798:
	s_delay_alu instid0(SALU_CYCLE_1)
	s_and_not1_b32 vcc_lo, exec_lo, s2
	s_cbranch_vccnz .LBB214_1800
; %bb.1799:
	s_wait_xcnt 0x0
	v_and_or_b32 v4, 0x1ff, v3, v2
	v_lshrrev_b32_e32 v5, 8, v3
	v_bfe_u32 v9, v3, 20, 11
	s_delay_alu instid0(VALU_DEP_3) | instskip(NEXT) | instid1(VALU_DEP_2)
	v_cmp_ne_u32_e32 vcc_lo, 0, v4
	v_sub_nc_u32_e32 v14, 0x3f1, v9
	v_add_nc_u32_e32 v9, 0xfffffc10, v9
	v_cndmask_b32_e64 v4, 0, 1, vcc_lo
	s_delay_alu instid0(VALU_DEP_1) | instskip(NEXT) | instid1(VALU_DEP_4)
	v_and_or_b32 v4, 0xffe, v5, v4
	v_med3_i32 v5, v14, 0, 13
	s_delay_alu instid0(VALU_DEP_2) | instskip(NEXT) | instid1(VALU_DEP_1)
	v_or_b32_e32 v14, 0x1000, v4
	v_lshrrev_b32_e32 v15, v5, v14
	s_delay_alu instid0(VALU_DEP_1) | instskip(NEXT) | instid1(VALU_DEP_1)
	v_lshlrev_b32_e32 v5, v5, v15
	v_cmp_ne_u32_e32 vcc_lo, v5, v14
	v_lshl_or_b32 v14, v9, 12, v4
	v_cndmask_b32_e64 v5, 0, 1, vcc_lo
	v_cmp_gt_i32_e32 vcc_lo, 1, v9
	s_delay_alu instid0(VALU_DEP_2) | instskip(NEXT) | instid1(VALU_DEP_1)
	v_or_b32_e32 v5, v15, v5
	v_cndmask_b32_e32 v5, v14, v5, vcc_lo
	s_delay_alu instid0(VALU_DEP_1) | instskip(NEXT) | instid1(VALU_DEP_1)
	v_dual_lshrrev_b32 v5, 2, v5 :: v_dual_bitop2_b32 v14, 7, v5 bitop3:0x40
	v_cmp_lt_i32_e32 vcc_lo, 5, v14
	v_cndmask_b32_e64 v15, 0, 1, vcc_lo
	v_cmp_eq_u32_e32 vcc_lo, 3, v14
	v_cndmask_b32_e64 v14, 0, 1, vcc_lo
	v_cmp_ne_u32_e32 vcc_lo, 0, v4
	s_delay_alu instid0(VALU_DEP_2) | instskip(SKIP_1) | instid1(VALU_DEP_1)
	v_or_b32_e32 v14, v14, v15
	v_mov_b32_e32 v15, 0x7e00
	v_dual_cndmask_b32 v4, 0x7c00, v15 :: v_dual_add_nc_u32 v5, v5, v14
	v_cmp_gt_i32_e32 vcc_lo, 31, v9
	s_delay_alu instid0(VALU_DEP_2) | instskip(SKIP_1) | instid1(VALU_DEP_2)
	v_cndmask_b32_e32 v5, 0x7c00, v5, vcc_lo
	v_cmp_eq_u32_e32 vcc_lo, 0x40f, v9
	v_dual_cndmask_b32 v4, v5, v4 :: v_dual_lshrrev_b32 v5, 16, v3
	s_delay_alu instid0(VALU_DEP_1)
	v_and_or_b32 v4, 0x8000, v5, v4
	global_store_b16 v[12:13], v4, off
.LBB214_1800:
	s_mov_b32 s2, 0
.LBB214_1801:
	s_delay_alu instid0(SALU_CYCLE_1)
	s_and_not1_b32 vcc_lo, exec_lo, s2
	s_cbranch_vccnz .LBB214_1817
; %bb.1802:
	s_cmp_lt_i32 s0, 2
	s_mov_b32 s2, -1
	s_cbranch_scc1 .LBB214_1812
; %bb.1803:
	s_cmp_lt_i32 s0, 3
	s_cbranch_scc1 .LBB214_1809
; %bb.1804:
	s_cmp_gt_i32 s0, 3
	s_cbranch_scc0 .LBB214_1806
; %bb.1805:
	s_wait_xcnt 0x0
	v_trunc_f64_e32 v[4:5], v[2:3]
	s_mov_b32 s2, 0
	s_delay_alu instid0(VALU_DEP_1) | instskip(NEXT) | instid1(VALU_DEP_1)
	v_ldexp_f64 v[14:15], v[4:5], 0xffffffe0
	v_floor_f64_e32 v[14:15], v[14:15]
	s_delay_alu instid0(VALU_DEP_1) | instskip(SKIP_1) | instid1(VALU_DEP_2)
	v_fmamk_f64 v[4:5], v[14:15], 0xc1f00000, v[4:5]
	v_cvt_i32_f64_e32 v15, v[14:15]
	v_cvt_u32_f64_e32 v14, v[4:5]
	global_store_b64 v[12:13], v[14:15], off
.LBB214_1806:
	s_and_not1_b32 vcc_lo, exec_lo, s2
	s_cbranch_vccnz .LBB214_1808
; %bb.1807:
	s_wait_xcnt 0x0
	v_cvt_i32_f64_e32 v4, v[2:3]
	global_store_b32 v[12:13], v4, off
.LBB214_1808:
	s_mov_b32 s2, 0
.LBB214_1809:
	s_delay_alu instid0(SALU_CYCLE_1)
	s_and_not1_b32 vcc_lo, exec_lo, s2
	s_cbranch_vccnz .LBB214_1811
; %bb.1810:
	s_wait_xcnt 0x0
	v_cvt_i32_f64_e32 v4, v[2:3]
	global_store_b16 v[12:13], v4, off
.LBB214_1811:
	s_mov_b32 s2, 0
.LBB214_1812:
	s_delay_alu instid0(SALU_CYCLE_1)
	s_and_not1_b32 vcc_lo, exec_lo, s2
	s_cbranch_vccnz .LBB214_1817
; %bb.1813:
	s_cmp_gt_i32 s0, 0
	s_mov_b32 s0, -1
	s_cbranch_scc0 .LBB214_1815
; %bb.1814:
	s_wait_xcnt 0x0
	v_cvt_i32_f64_e32 v4, v[2:3]
	s_mov_b32 s0, 0
	global_store_b8 v[12:13], v4, off
.LBB214_1815:
	s_and_not1_b32 vcc_lo, exec_lo, s0
	s_cbranch_vccnz .LBB214_1817
; %bb.1816:
	s_wait_xcnt 0x0
	v_trunc_f64_e32 v[2:3], v[2:3]
	s_delay_alu instid0(VALU_DEP_1) | instskip(NEXT) | instid1(VALU_DEP_1)
	v_ldexp_f64 v[4:5], v[2:3], 0xffffffe0
	v_floor_f64_e32 v[4:5], v[4:5]
	s_delay_alu instid0(VALU_DEP_1) | instskip(NEXT) | instid1(VALU_DEP_1)
	v_fmamk_f64 v[2:3], v[4:5], 0xc1f00000, v[2:3]
	v_cvt_u32_f64_e32 v2, v[2:3]
	global_store_b8 v[12:13], v2, off
.LBB214_1817:
	s_mov_b32 s6, -1
.LBB214_1818:
	s_delay_alu instid0(SALU_CYCLE_1)
	s_and_not1_b32 vcc_lo, exec_lo, s6
	s_cbranch_vccnz .LBB214_2133
; %bb.1819:
	s_lshl_b32 s2, s12, 7
	s_cmp_lt_i32 s17, 11
	s_wait_xcnt 0x0
	v_add_nc_u32_e32 v2, s2, v8
	s_delay_alu instid0(VALU_DEP_1) | instskip(NEXT) | instid1(VALU_DEP_1)
	v_ashrrev_i32_e32 v3, 31, v2
	v_add_nc_u64_e32 v[4:5], s[4:5], v[2:3]
	s_cbranch_scc1 .LBB214_1897
; %bb.1820:
	s_and_b32 s3, 0xffff, s17
	s_mov_b32 s8, -1
	s_mov_b32 s6, 0
	s_cmp_gt_i32 s3, 25
	s_mov_b32 s7, 0
	s_mov_b32 s0, 0
	s_cbranch_scc0 .LBB214_1853
; %bb.1821:
	s_cmp_gt_i32 s3, 28
	s_cbranch_scc0 .LBB214_1836
; %bb.1822:
	s_cmp_gt_i32 s3, 43
	;; [unrolled: 3-line block ×3, first 2 shown]
	s_cbranch_scc0 .LBB214_1826
; %bb.1824:
	s_mov_b32 s0, -1
	s_mov_b32 s8, 0
	s_cmp_eq_u32 s3, 46
	s_cbranch_scc0 .LBB214_1826
; %bb.1825:
	v_cvt_f32_f64_e32 v3, v[6:7]
	s_mov_b32 s0, 0
	s_mov_b32 s7, -1
	s_delay_alu instid0(VALU_DEP_1) | instskip(SKIP_1) | instid1(VALU_DEP_2)
	v_bfe_u32 v8, v3, 16, 1
	v_cmp_o_f32_e32 vcc_lo, v3, v3
	v_add3_u32 v8, v3, v8, 0x7fff
	s_delay_alu instid0(VALU_DEP_1) | instskip(NEXT) | instid1(VALU_DEP_1)
	v_lshrrev_b32_e32 v8, 16, v8
	v_cndmask_b32_e32 v3, 0x7fc0, v8, vcc_lo
	global_store_b32 v[4:5], v3, off
.LBB214_1826:
	s_and_b32 vcc_lo, exec_lo, s8
	s_cbranch_vccz .LBB214_1831
; %bb.1827:
	s_cmp_eq_u32 s3, 44
	s_mov_b32 s0, -1
	s_cbranch_scc0 .LBB214_1831
; %bb.1828:
	s_wait_xcnt 0x0
	v_cvt_f32_f64_e32 v3, v[6:7]
	v_mov_b32_e32 v8, 0xff
	s_mov_b32 s7, exec_lo
	s_delay_alu instid0(VALU_DEP_2) | instskip(NEXT) | instid1(VALU_DEP_1)
	v_bfe_u32 v9, v3, 23, 8
	v_cmpx_ne_u32_e32 0xff, v9
	s_cbranch_execz .LBB214_1830
; %bb.1829:
	v_and_b32_e32 v8, 0x400000, v3
	v_and_or_b32 v9, 0x3fffff, v3, v9
	v_lshrrev_b32_e32 v3, 23, v3
	s_delay_alu instid0(VALU_DEP_3) | instskip(NEXT) | instid1(VALU_DEP_3)
	v_cmp_ne_u32_e32 vcc_lo, 0, v8
	v_cmp_ne_u32_e64 s0, 0, v9
	s_and_b32 s0, vcc_lo, s0
	s_delay_alu instid0(SALU_CYCLE_1) | instskip(NEXT) | instid1(VALU_DEP_1)
	v_cndmask_b32_e64 v8, 0, 1, s0
	v_add_nc_u32_e32 v8, v3, v8
.LBB214_1830:
	s_or_b32 exec_lo, exec_lo, s7
	s_mov_b32 s0, 0
	s_mov_b32 s7, -1
	global_store_b8 v[4:5], v8, off
.LBB214_1831:
	s_mov_b32 s8, 0
.LBB214_1832:
	s_delay_alu instid0(SALU_CYCLE_1)
	s_and_b32 vcc_lo, exec_lo, s8
	s_cbranch_vccz .LBB214_1835
; %bb.1833:
	s_cmp_eq_u32 s3, 29
	s_mov_b32 s0, -1
	s_cbranch_scc0 .LBB214_1835
; %bb.1834:
	s_wait_xcnt 0x0
	v_trunc_f64_e32 v[8:9], v[6:7]
	s_mov_b32 s0, 0
	s_mov_b32 s7, -1
	s_delay_alu instid0(VALU_DEP_1) | instskip(NEXT) | instid1(VALU_DEP_1)
	v_ldexp_f64 v[12:13], v[8:9], 0xffffffe0
	v_floor_f64_e32 v[12:13], v[12:13]
	s_delay_alu instid0(VALU_DEP_1) | instskip(SKIP_1) | instid1(VALU_DEP_2)
	v_fmamk_f64 v[8:9], v[12:13], 0xc1f00000, v[8:9]
	v_cvt_u32_f64_e32 v13, v[12:13]
	v_cvt_u32_f64_e32 v12, v[8:9]
	global_store_b64 v[4:5], v[12:13], off
.LBB214_1835:
	s_mov_b32 s8, 0
.LBB214_1836:
	s_delay_alu instid0(SALU_CYCLE_1)
	s_and_b32 vcc_lo, exec_lo, s8
	s_cbranch_vccz .LBB214_1852
; %bb.1837:
	s_cmp_lt_i32 s3, 27
	s_mov_b32 s7, -1
	s_cbranch_scc1 .LBB214_1843
; %bb.1838:
	s_wait_xcnt 0x0
	v_cvt_u32_f64_e32 v3, v[6:7]
	s_cmp_gt_i32 s3, 27
	s_cbranch_scc0 .LBB214_1840
; %bb.1839:
	s_mov_b32 s7, 0
	global_store_b32 v[4:5], v3, off
.LBB214_1840:
	s_and_not1_b32 vcc_lo, exec_lo, s7
	s_cbranch_vccnz .LBB214_1842
; %bb.1841:
	global_store_b16 v[4:5], v3, off
.LBB214_1842:
	s_mov_b32 s7, 0
.LBB214_1843:
	s_delay_alu instid0(SALU_CYCLE_1)
	s_and_not1_b32 vcc_lo, exec_lo, s7
	s_cbranch_vccnz .LBB214_1851
; %bb.1844:
	s_wait_xcnt 0x0
	v_cvt_f32_f64_e32 v3, v[6:7]
	v_mov_b32_e32 v9, 0x80
	s_mov_b32 s7, exec_lo
	s_delay_alu instid0(VALU_DEP_2) | instskip(NEXT) | instid1(VALU_DEP_1)
	v_and_b32_e32 v8, 0x7fffffff, v3
	v_cmpx_gt_u32_e32 0x43800000, v8
	s_cbranch_execz .LBB214_1850
; %bb.1845:
	v_cmp_lt_u32_e32 vcc_lo, 0x3bffffff, v8
	s_mov_b32 s8, 0
                                        ; implicit-def: $vgpr8
	s_and_saveexec_b32 s9, vcc_lo
	s_delay_alu instid0(SALU_CYCLE_1)
	s_xor_b32 s9, exec_lo, s9
	s_cbranch_execz .LBB214_2141
; %bb.1846:
	v_bfe_u32 v8, v3, 20, 1
	s_mov_b32 s8, exec_lo
	s_delay_alu instid0(VALU_DEP_1) | instskip(NEXT) | instid1(VALU_DEP_1)
	v_add3_u32 v8, v3, v8, 0x487ffff
	v_lshrrev_b32_e32 v8, 20, v8
	s_and_not1_saveexec_b32 s9, s9
	s_cbranch_execnz .LBB214_2142
.LBB214_1847:
	s_or_b32 exec_lo, exec_lo, s9
	v_mov_b32_e32 v9, 0
	s_and_saveexec_b32 s9, s8
.LBB214_1848:
	v_lshrrev_b32_e32 v3, 24, v3
	s_delay_alu instid0(VALU_DEP_1)
	v_and_or_b32 v9, 0x80, v3, v8
.LBB214_1849:
	s_or_b32 exec_lo, exec_lo, s9
.LBB214_1850:
	s_delay_alu instid0(SALU_CYCLE_1)
	s_or_b32 exec_lo, exec_lo, s7
	global_store_b8 v[4:5], v9, off
.LBB214_1851:
	s_mov_b32 s7, -1
.LBB214_1852:
	s_mov_b32 s8, 0
.LBB214_1853:
	s_delay_alu instid0(SALU_CYCLE_1)
	s_and_b32 vcc_lo, exec_lo, s8
	s_cbranch_vccz .LBB214_1893
; %bb.1854:
	s_cmp_gt_i32 s3, 22
	s_mov_b32 s6, -1
	s_cbranch_scc0 .LBB214_1886
; %bb.1855:
	s_cmp_lt_i32 s3, 24
	s_cbranch_scc1 .LBB214_1875
; %bb.1856:
	s_cmp_gt_i32 s3, 24
	s_cbranch_scc0 .LBB214_1864
; %bb.1857:
	s_wait_xcnt 0x0
	v_cvt_f32_f64_e32 v3, v[6:7]
	v_mov_b32_e32 v9, 0x80
	s_mov_b32 s6, exec_lo
	s_delay_alu instid0(VALU_DEP_2) | instskip(NEXT) | instid1(VALU_DEP_1)
	v_and_b32_e32 v8, 0x7fffffff, v3
	v_cmpx_gt_u32_e32 0x47800000, v8
	s_cbranch_execz .LBB214_1863
; %bb.1858:
	v_cmp_lt_u32_e32 vcc_lo, 0x37ffffff, v8
	s_mov_b32 s7, 0
                                        ; implicit-def: $vgpr8
	s_and_saveexec_b32 s8, vcc_lo
	s_delay_alu instid0(SALU_CYCLE_1)
	s_xor_b32 s8, exec_lo, s8
	s_cbranch_execz .LBB214_2144
; %bb.1859:
	v_bfe_u32 v8, v3, 21, 1
	s_mov_b32 s7, exec_lo
	s_delay_alu instid0(VALU_DEP_1) | instskip(NEXT) | instid1(VALU_DEP_1)
	v_add3_u32 v8, v3, v8, 0x88fffff
	v_lshrrev_b32_e32 v8, 21, v8
	s_and_not1_saveexec_b32 s8, s8
	s_cbranch_execnz .LBB214_2145
.LBB214_1860:
	s_or_b32 exec_lo, exec_lo, s8
	v_mov_b32_e32 v9, 0
	s_and_saveexec_b32 s8, s7
.LBB214_1861:
	v_lshrrev_b32_e32 v3, 24, v3
	s_delay_alu instid0(VALU_DEP_1)
	v_and_or_b32 v9, 0x80, v3, v8
.LBB214_1862:
	s_or_b32 exec_lo, exec_lo, s8
.LBB214_1863:
	s_delay_alu instid0(SALU_CYCLE_1)
	s_or_b32 exec_lo, exec_lo, s6
	s_mov_b32 s6, 0
	global_store_b8 v[4:5], v9, off
.LBB214_1864:
	s_and_b32 vcc_lo, exec_lo, s6
	s_cbranch_vccz .LBB214_1874
; %bb.1865:
	s_wait_xcnt 0x0
	v_cvt_f32_f64_e32 v3, v[6:7]
	s_mov_b32 s6, exec_lo
                                        ; implicit-def: $vgpr8
	s_delay_alu instid0(VALU_DEP_1) | instskip(NEXT) | instid1(VALU_DEP_1)
	v_and_b32_e32 v9, 0x7fffffff, v3
	v_cmpx_gt_u32_e32 0x43f00000, v9
	s_xor_b32 s6, exec_lo, s6
	s_cbranch_execz .LBB214_1871
; %bb.1866:
	s_mov_b32 s7, exec_lo
                                        ; implicit-def: $vgpr8
	v_cmpx_lt_u32_e32 0x3c7fffff, v9
	s_xor_b32 s7, exec_lo, s7
; %bb.1867:
	v_bfe_u32 v8, v3, 20, 1
	s_delay_alu instid0(VALU_DEP_1) | instskip(NEXT) | instid1(VALU_DEP_1)
	v_add3_u32 v8, v3, v8, 0x407ffff
	v_and_b32_e32 v9, 0xff00000, v8
	v_lshrrev_b32_e32 v8, 20, v8
	s_delay_alu instid0(VALU_DEP_2) | instskip(NEXT) | instid1(VALU_DEP_2)
	v_cmp_ne_u32_e32 vcc_lo, 0x7f00000, v9
	v_cndmask_b32_e32 v8, 0x7e, v8, vcc_lo
; %bb.1868:
	s_and_not1_saveexec_b32 s7, s7
; %bb.1869:
	v_add_f32_e64 v8, 0x46800000, |v3|
; %bb.1870:
	s_or_b32 exec_lo, exec_lo, s7
                                        ; implicit-def: $vgpr9
.LBB214_1871:
	s_and_not1_saveexec_b32 s6, s6
; %bb.1872:
	v_mov_b32_e32 v8, 0x7f
	v_cmp_lt_u32_e32 vcc_lo, 0x7f800000, v9
	s_delay_alu instid0(VALU_DEP_2)
	v_cndmask_b32_e32 v8, 0x7e, v8, vcc_lo
; %bb.1873:
	s_or_b32 exec_lo, exec_lo, s6
	v_lshrrev_b32_e32 v3, 24, v3
	s_delay_alu instid0(VALU_DEP_1)
	v_and_or_b32 v3, 0x80, v3, v8
	global_store_b8 v[4:5], v3, off
.LBB214_1874:
	s_mov_b32 s6, 0
.LBB214_1875:
	s_delay_alu instid0(SALU_CYCLE_1)
	s_and_not1_b32 vcc_lo, exec_lo, s6
	s_cbranch_vccnz .LBB214_1885
; %bb.1876:
	s_wait_xcnt 0x0
	v_cvt_f32_f64_e32 v3, v[6:7]
	s_mov_b32 s6, exec_lo
                                        ; implicit-def: $vgpr8
	s_delay_alu instid0(VALU_DEP_1) | instskip(NEXT) | instid1(VALU_DEP_1)
	v_and_b32_e32 v9, 0x7fffffff, v3
	v_cmpx_gt_u32_e32 0x47800000, v9
	s_xor_b32 s6, exec_lo, s6
	s_cbranch_execz .LBB214_1882
; %bb.1877:
	s_mov_b32 s7, exec_lo
                                        ; implicit-def: $vgpr8
	v_cmpx_lt_u32_e32 0x387fffff, v9
	s_xor_b32 s7, exec_lo, s7
; %bb.1878:
	v_bfe_u32 v8, v3, 21, 1
	s_delay_alu instid0(VALU_DEP_1) | instskip(NEXT) | instid1(VALU_DEP_1)
	v_add3_u32 v8, v3, v8, 0x80fffff
	v_lshrrev_b32_e32 v8, 21, v8
; %bb.1879:
	s_and_not1_saveexec_b32 s7, s7
; %bb.1880:
	v_add_f32_e64 v8, 0x43000000, |v3|
; %bb.1881:
	s_or_b32 exec_lo, exec_lo, s7
                                        ; implicit-def: $vgpr9
.LBB214_1882:
	s_and_not1_saveexec_b32 s6, s6
; %bb.1883:
	v_mov_b32_e32 v8, 0x7f
	v_cmp_lt_u32_e32 vcc_lo, 0x7f800000, v9
	s_delay_alu instid0(VALU_DEP_2)
	v_cndmask_b32_e32 v8, 0x7c, v8, vcc_lo
; %bb.1884:
	s_or_b32 exec_lo, exec_lo, s6
	v_lshrrev_b32_e32 v3, 24, v3
	s_delay_alu instid0(VALU_DEP_1)
	v_and_or_b32 v3, 0x80, v3, v8
	global_store_b8 v[4:5], v3, off
.LBB214_1885:
	s_mov_b32 s6, 0
	s_mov_b32 s7, -1
.LBB214_1886:
	s_and_not1_b32 vcc_lo, exec_lo, s6
	s_mov_b32 s6, 0
	s_cbranch_vccnz .LBB214_1893
; %bb.1887:
	s_cmp_gt_i32 s3, 14
	s_mov_b32 s6, -1
	s_cbranch_scc0 .LBB214_1891
; %bb.1888:
	s_cmp_eq_u32 s3, 15
	s_mov_b32 s0, -1
	s_cbranch_scc0 .LBB214_1890
; %bb.1889:
	s_wait_xcnt 0x0
	v_cvt_f32_f64_e32 v3, v[6:7]
	s_mov_b32 s0, 0
	s_mov_b32 s7, -1
	s_delay_alu instid0(VALU_DEP_1) | instskip(SKIP_1) | instid1(VALU_DEP_2)
	v_bfe_u32 v8, v3, 16, 1
	v_cmp_o_f32_e32 vcc_lo, v3, v3
	v_add3_u32 v8, v3, v8, 0x7fff
	s_delay_alu instid0(VALU_DEP_1) | instskip(NEXT) | instid1(VALU_DEP_1)
	v_lshrrev_b32_e32 v8, 16, v8
	v_cndmask_b32_e32 v3, 0x7fc0, v8, vcc_lo
	global_store_b16 v[4:5], v3, off
.LBB214_1890:
	s_mov_b32 s6, 0
.LBB214_1891:
	s_delay_alu instid0(SALU_CYCLE_1)
	s_and_b32 vcc_lo, exec_lo, s6
	s_mov_b32 s6, 0
	s_cbranch_vccz .LBB214_1893
; %bb.1892:
	s_cmp_lg_u32 s3, 11
	s_mov_b32 s6, -1
	s_cselect_b32 s0, -1, 0
.LBB214_1893:
	s_delay_alu instid0(SALU_CYCLE_1)
	s_and_b32 vcc_lo, exec_lo, s0
	s_cbranch_vccnz .LBB214_2143
; %bb.1894:
	s_and_not1_b32 vcc_lo, exec_lo, s6
	s_cbranch_vccnz .LBB214_1896
.LBB214_1895:
	v_cmp_neq_f64_e32 vcc_lo, 0, v[6:7]
	s_mov_b32 s7, -1
	s_wait_xcnt 0x0
	v_cndmask_b32_e64 v3, 0, 1, vcc_lo
	global_store_b8 v[4:5], v3, off
.LBB214_1896:
	s_mov_b32 s0, 0
	s_branch .LBB214_1898
.LBB214_1897:
	s_mov_b32 s0, -1
	s_mov_b32 s7, 0
.LBB214_1898:
	s_and_b32 vcc_lo, exec_lo, s0
	s_cbranch_vccz .LBB214_1937
; %bb.1899:
	s_and_b32 s0, 0xffff, s17
	s_mov_b32 s3, -1
	s_cmp_lt_i32 s0, 5
	s_cbranch_scc1 .LBB214_1920
; %bb.1900:
	s_cmp_lt_i32 s0, 8
	s_cbranch_scc1 .LBB214_1910
; %bb.1901:
	;; [unrolled: 3-line block ×3, first 2 shown]
	s_cmp_gt_i32 s0, 9
	s_cbranch_scc0 .LBB214_1904
; %bb.1903:
	s_wait_xcnt 0x0
	v_mov_b32_e32 v8, 0
	s_mov_b32 s3, 0
	s_delay_alu instid0(VALU_DEP_1)
	v_mov_b32_e32 v9, v8
	global_store_b128 v[4:5], v[6:9], off
.LBB214_1904:
	s_and_not1_b32 vcc_lo, exec_lo, s3
	s_cbranch_vccnz .LBB214_1906
; %bb.1905:
	s_wait_xcnt 0x0
	v_cvt_f32_f64_e32 v8, v[6:7]
	v_mov_b32_e32 v9, 0
	global_store_b64 v[4:5], v[8:9], off
.LBB214_1906:
	s_mov_b32 s3, 0
.LBB214_1907:
	s_delay_alu instid0(SALU_CYCLE_1)
	s_and_not1_b32 vcc_lo, exec_lo, s3
	s_cbranch_vccnz .LBB214_1909
; %bb.1908:
	s_wait_xcnt 0x0
	v_and_or_b32 v3, 0x1ff, v7, v6
	v_lshrrev_b32_e32 v8, 8, v7
	v_bfe_u32 v9, v7, 20, 11
	s_delay_alu instid0(VALU_DEP_3) | instskip(NEXT) | instid1(VALU_DEP_2)
	v_cmp_ne_u32_e32 vcc_lo, 0, v3
	v_sub_nc_u32_e32 v12, 0x3f1, v9
	v_cndmask_b32_e64 v3, 0, 1, vcc_lo
	s_delay_alu instid0(VALU_DEP_1) | instskip(NEXT) | instid1(VALU_DEP_3)
	v_and_or_b32 v3, 0xffe, v8, v3
	v_med3_i32 v8, v12, 0, 13
	s_delay_alu instid0(VALU_DEP_2) | instskip(NEXT) | instid1(VALU_DEP_1)
	v_or_b32_e32 v12, 0x1000, v3
	v_lshrrev_b32_e32 v13, v8, v12
	s_delay_alu instid0(VALU_DEP_1) | instskip(NEXT) | instid1(VALU_DEP_1)
	v_lshlrev_b32_e32 v8, v8, v13
	v_cmp_ne_u32_e32 vcc_lo, v8, v12
	v_cndmask_b32_e64 v8, 0, 1, vcc_lo
	s_delay_alu instid0(VALU_DEP_1) | instskip(SKIP_1) | instid1(VALU_DEP_1)
	v_or_b32_e32 v8, v13, v8
	v_add_nc_u32_e32 v9, 0xfffffc10, v9
	v_lshl_or_b32 v12, v9, 12, v3
	v_cmp_gt_i32_e32 vcc_lo, 1, v9
	s_delay_alu instid0(VALU_DEP_2) | instskip(NEXT) | instid1(VALU_DEP_1)
	v_cndmask_b32_e32 v8, v12, v8, vcc_lo
	v_dual_lshrrev_b32 v8, 2, v8 :: v_dual_bitop2_b32 v12, 7, v8 bitop3:0x40
	s_delay_alu instid0(VALU_DEP_1) | instskip(SKIP_4) | instid1(VALU_DEP_2)
	v_cmp_lt_i32_e32 vcc_lo, 5, v12
	v_cndmask_b32_e64 v13, 0, 1, vcc_lo
	v_cmp_eq_u32_e32 vcc_lo, 3, v12
	v_cndmask_b32_e64 v12, 0, 1, vcc_lo
	v_cmp_ne_u32_e32 vcc_lo, 0, v3
	v_or_b32_e32 v12, v12, v13
	s_delay_alu instid0(VALU_DEP_1) | instskip(NEXT) | instid1(VALU_DEP_1)
	v_dual_mov_b32 v13, 0x7e00 :: v_dual_add_nc_u32 v8, v8, v12
	v_cndmask_b32_e32 v3, 0x7c00, v13, vcc_lo
	v_cmp_gt_i32_e32 vcc_lo, 31, v9
	v_lshrrev_b32_e32 v12, 16, v7
	s_delay_alu instid0(VALU_DEP_4) | instskip(SKIP_1) | instid1(VALU_DEP_2)
	v_cndmask_b32_e32 v8, 0x7c00, v8, vcc_lo
	v_cmp_eq_u32_e32 vcc_lo, 0x40f, v9
	v_cndmask_b32_e32 v3, v8, v3, vcc_lo
	s_delay_alu instid0(VALU_DEP_4) | instskip(NEXT) | instid1(VALU_DEP_1)
	v_and_b32_e32 v8, 0x8000, v12
	v_bitop3_b32 v3, v8, 0xffff, v3 bitop3:0xc8
	global_store_b32 v[4:5], v3, off
.LBB214_1909:
	s_mov_b32 s3, 0
.LBB214_1910:
	s_delay_alu instid0(SALU_CYCLE_1)
	s_and_not1_b32 vcc_lo, exec_lo, s3
	s_cbranch_vccnz .LBB214_1919
; %bb.1911:
	s_cmp_lt_i32 s0, 6
	s_mov_b32 s3, -1
	s_cbranch_scc1 .LBB214_1917
; %bb.1912:
	s_cmp_gt_i32 s0, 6
	s_cbranch_scc0 .LBB214_1914
; %bb.1913:
	s_mov_b32 s3, 0
	global_store_b64 v[4:5], v[6:7], off
.LBB214_1914:
	s_and_not1_b32 vcc_lo, exec_lo, s3
	s_cbranch_vccnz .LBB214_1916
; %bb.1915:
	s_wait_xcnt 0x0
	v_cvt_f32_f64_e32 v3, v[6:7]
	global_store_b32 v[4:5], v3, off
.LBB214_1916:
	s_mov_b32 s3, 0
.LBB214_1917:
	s_delay_alu instid0(SALU_CYCLE_1)
	s_and_not1_b32 vcc_lo, exec_lo, s3
	s_cbranch_vccnz .LBB214_1919
; %bb.1918:
	s_wait_xcnt 0x0
	v_and_or_b32 v3, 0x1ff, v7, v6
	v_lshrrev_b32_e32 v8, 8, v7
	v_bfe_u32 v9, v7, 20, 11
	s_delay_alu instid0(VALU_DEP_3) | instskip(NEXT) | instid1(VALU_DEP_2)
	v_cmp_ne_u32_e32 vcc_lo, 0, v3
	v_sub_nc_u32_e32 v12, 0x3f1, v9
	v_cndmask_b32_e64 v3, 0, 1, vcc_lo
	s_delay_alu instid0(VALU_DEP_1) | instskip(NEXT) | instid1(VALU_DEP_3)
	v_and_or_b32 v3, 0xffe, v8, v3
	v_med3_i32 v8, v12, 0, 13
	s_delay_alu instid0(VALU_DEP_2) | instskip(NEXT) | instid1(VALU_DEP_1)
	v_or_b32_e32 v12, 0x1000, v3
	v_lshrrev_b32_e32 v13, v8, v12
	s_delay_alu instid0(VALU_DEP_1) | instskip(NEXT) | instid1(VALU_DEP_1)
	v_lshlrev_b32_e32 v8, v8, v13
	v_cmp_ne_u32_e32 vcc_lo, v8, v12
	v_cndmask_b32_e64 v8, 0, 1, vcc_lo
	s_delay_alu instid0(VALU_DEP_1) | instskip(SKIP_1) | instid1(VALU_DEP_1)
	v_or_b32_e32 v8, v13, v8
	v_add_nc_u32_e32 v9, 0xfffffc10, v9
	v_lshl_or_b32 v12, v9, 12, v3
	v_cmp_gt_i32_e32 vcc_lo, 1, v9
	s_delay_alu instid0(VALU_DEP_2) | instskip(NEXT) | instid1(VALU_DEP_1)
	v_cndmask_b32_e32 v8, v12, v8, vcc_lo
	v_dual_lshrrev_b32 v8, 2, v8 :: v_dual_bitop2_b32 v12, 7, v8 bitop3:0x40
	s_delay_alu instid0(VALU_DEP_1) | instskip(SKIP_4) | instid1(VALU_DEP_2)
	v_cmp_lt_i32_e32 vcc_lo, 5, v12
	v_cndmask_b32_e64 v13, 0, 1, vcc_lo
	v_cmp_eq_u32_e32 vcc_lo, 3, v12
	v_cndmask_b32_e64 v12, 0, 1, vcc_lo
	v_cmp_ne_u32_e32 vcc_lo, 0, v3
	v_or_b32_e32 v12, v12, v13
	s_delay_alu instid0(VALU_DEP_1) | instskip(NEXT) | instid1(VALU_DEP_1)
	v_dual_mov_b32 v13, 0x7e00 :: v_dual_add_nc_u32 v8, v8, v12
	v_cndmask_b32_e32 v3, 0x7c00, v13, vcc_lo
	v_cmp_gt_i32_e32 vcc_lo, 31, v9
	s_delay_alu instid0(VALU_DEP_3) | instskip(SKIP_1) | instid1(VALU_DEP_2)
	v_cndmask_b32_e32 v8, 0x7c00, v8, vcc_lo
	v_cmp_eq_u32_e32 vcc_lo, 0x40f, v9
	v_cndmask_b32_e32 v3, v8, v3, vcc_lo
	v_lshrrev_b32_e32 v8, 16, v7
	s_delay_alu instid0(VALU_DEP_1)
	v_and_or_b32 v3, 0x8000, v8, v3
	global_store_b16 v[4:5], v3, off
.LBB214_1919:
	s_mov_b32 s3, 0
.LBB214_1920:
	s_delay_alu instid0(SALU_CYCLE_1)
	s_and_not1_b32 vcc_lo, exec_lo, s3
	s_cbranch_vccnz .LBB214_1936
; %bb.1921:
	s_cmp_lt_i32 s0, 2
	s_mov_b32 s3, -1
	s_cbranch_scc1 .LBB214_1931
; %bb.1922:
	s_cmp_lt_i32 s0, 3
	s_cbranch_scc1 .LBB214_1928
; %bb.1923:
	s_cmp_gt_i32 s0, 3
	s_cbranch_scc0 .LBB214_1925
; %bb.1924:
	s_wait_xcnt 0x0
	v_trunc_f64_e32 v[8:9], v[6:7]
	s_mov_b32 s3, 0
	s_delay_alu instid0(VALU_DEP_1) | instskip(NEXT) | instid1(VALU_DEP_1)
	v_ldexp_f64 v[12:13], v[8:9], 0xffffffe0
	v_floor_f64_e32 v[12:13], v[12:13]
	s_delay_alu instid0(VALU_DEP_1) | instskip(SKIP_1) | instid1(VALU_DEP_2)
	v_fmamk_f64 v[8:9], v[12:13], 0xc1f00000, v[8:9]
	v_cvt_i32_f64_e32 v13, v[12:13]
	v_cvt_u32_f64_e32 v12, v[8:9]
	global_store_b64 v[4:5], v[12:13], off
.LBB214_1925:
	s_and_not1_b32 vcc_lo, exec_lo, s3
	s_cbranch_vccnz .LBB214_1927
; %bb.1926:
	s_wait_xcnt 0x0
	v_cvt_i32_f64_e32 v3, v[6:7]
	global_store_b32 v[4:5], v3, off
.LBB214_1927:
	s_mov_b32 s3, 0
.LBB214_1928:
	s_delay_alu instid0(SALU_CYCLE_1)
	s_and_not1_b32 vcc_lo, exec_lo, s3
	s_cbranch_vccnz .LBB214_1930
; %bb.1929:
	s_wait_xcnt 0x0
	v_cvt_i32_f64_e32 v3, v[6:7]
	global_store_b16 v[4:5], v3, off
.LBB214_1930:
	s_mov_b32 s3, 0
.LBB214_1931:
	s_delay_alu instid0(SALU_CYCLE_1)
	s_and_not1_b32 vcc_lo, exec_lo, s3
	s_cbranch_vccnz .LBB214_1936
; %bb.1932:
	s_cmp_gt_i32 s0, 0
	s_mov_b32 s0, -1
	s_cbranch_scc0 .LBB214_1934
; %bb.1933:
	s_wait_xcnt 0x0
	v_cvt_i32_f64_e32 v3, v[6:7]
	s_mov_b32 s0, 0
	global_store_b8 v[4:5], v3, off
.LBB214_1934:
	s_and_not1_b32 vcc_lo, exec_lo, s0
	s_cbranch_vccnz .LBB214_1936
; %bb.1935:
	s_wait_xcnt 0x0
	v_trunc_f64_e32 v[6:7], v[6:7]
	s_delay_alu instid0(VALU_DEP_1) | instskip(NEXT) | instid1(VALU_DEP_1)
	v_ldexp_f64 v[8:9], v[6:7], 0xffffffe0
	v_floor_f64_e32 v[8:9], v[8:9]
	s_delay_alu instid0(VALU_DEP_1) | instskip(NEXT) | instid1(VALU_DEP_1)
	v_fmamk_f64 v[6:7], v[8:9], 0xc1f00000, v[6:7]
	v_cvt_u32_f64_e32 v3, v[6:7]
	global_store_b8 v[4:5], v3, off
.LBB214_1936:
	s_mov_b32 s7, -1
.LBB214_1937:
	s_delay_alu instid0(SALU_CYCLE_1)
	s_and_not1_b32 vcc_lo, exec_lo, s7
	s_cbranch_vccnz .LBB214_2133
; %bb.1938:
	v_add_nc_u32_e32 v2, s2, v2
	s_cmp_lt_i32 s17, 11
	s_wait_xcnt 0x0
	s_delay_alu instid0(VALU_DEP_1) | instskip(NEXT) | instid1(VALU_DEP_1)
	v_ashrrev_i32_e32 v3, 31, v2
	v_add_nc_u64_e32 v[4:5], s[4:5], v[2:3]
	s_cbranch_scc1 .LBB214_2016
; %bb.1939:
	s_and_b32 s3, 0xffff, s17
	s_mov_b32 s8, -1
	s_mov_b32 s6, 0
	s_cmp_gt_i32 s3, 25
	s_mov_b32 s7, 0
	s_mov_b32 s0, 0
	s_cbranch_scc0 .LBB214_1972
; %bb.1940:
	s_cmp_gt_i32 s3, 28
	s_cbranch_scc0 .LBB214_1955
; %bb.1941:
	s_cmp_gt_i32 s3, 43
	;; [unrolled: 3-line block ×3, first 2 shown]
	s_cbranch_scc0 .LBB214_1945
; %bb.1943:
	s_mov_b32 s0, -1
	s_mov_b32 s8, 0
	s_cmp_eq_u32 s3, 46
	s_cbranch_scc0 .LBB214_1945
; %bb.1944:
	v_cvt_f32_f64_e32 v3, v[10:11]
	s_mov_b32 s0, 0
	s_mov_b32 s7, -1
	s_delay_alu instid0(VALU_DEP_1) | instskip(SKIP_1) | instid1(VALU_DEP_2)
	v_bfe_u32 v6, v3, 16, 1
	v_cmp_o_f32_e32 vcc_lo, v3, v3
	v_add3_u32 v6, v3, v6, 0x7fff
	s_delay_alu instid0(VALU_DEP_1) | instskip(NEXT) | instid1(VALU_DEP_1)
	v_lshrrev_b32_e32 v6, 16, v6
	v_cndmask_b32_e32 v3, 0x7fc0, v6, vcc_lo
	global_store_b32 v[4:5], v3, off
.LBB214_1945:
	s_and_b32 vcc_lo, exec_lo, s8
	s_cbranch_vccz .LBB214_1950
; %bb.1946:
	s_cmp_eq_u32 s3, 44
	s_mov_b32 s0, -1
	s_cbranch_scc0 .LBB214_1950
; %bb.1947:
	s_wait_xcnt 0x0
	v_cvt_f32_f64_e32 v3, v[10:11]
	v_mov_b32_e32 v6, 0xff
	s_mov_b32 s7, exec_lo
	s_delay_alu instid0(VALU_DEP_2) | instskip(NEXT) | instid1(VALU_DEP_1)
	v_bfe_u32 v7, v3, 23, 8
	v_cmpx_ne_u32_e32 0xff, v7
	s_cbranch_execz .LBB214_1949
; %bb.1948:
	v_and_b32_e32 v6, 0x400000, v3
	v_and_or_b32 v7, 0x3fffff, v3, v7
	v_lshrrev_b32_e32 v3, 23, v3
	s_delay_alu instid0(VALU_DEP_3) | instskip(NEXT) | instid1(VALU_DEP_3)
	v_cmp_ne_u32_e32 vcc_lo, 0, v6
	v_cmp_ne_u32_e64 s0, 0, v7
	s_and_b32 s0, vcc_lo, s0
	s_delay_alu instid0(SALU_CYCLE_1) | instskip(NEXT) | instid1(VALU_DEP_1)
	v_cndmask_b32_e64 v6, 0, 1, s0
	v_add_nc_u32_e32 v6, v3, v6
.LBB214_1949:
	s_or_b32 exec_lo, exec_lo, s7
	s_mov_b32 s0, 0
	s_mov_b32 s7, -1
	global_store_b8 v[4:5], v6, off
.LBB214_1950:
	s_mov_b32 s8, 0
.LBB214_1951:
	s_delay_alu instid0(SALU_CYCLE_1)
	s_and_b32 vcc_lo, exec_lo, s8
	s_cbranch_vccz .LBB214_1954
; %bb.1952:
	s_cmp_eq_u32 s3, 29
	s_mov_b32 s0, -1
	s_cbranch_scc0 .LBB214_1954
; %bb.1953:
	s_wait_xcnt 0x0
	v_trunc_f64_e32 v[6:7], v[10:11]
	s_mov_b32 s0, 0
	s_mov_b32 s7, -1
	s_delay_alu instid0(VALU_DEP_1) | instskip(NEXT) | instid1(VALU_DEP_1)
	v_ldexp_f64 v[8:9], v[6:7], 0xffffffe0
	v_floor_f64_e32 v[8:9], v[8:9]
	s_delay_alu instid0(VALU_DEP_1) | instskip(SKIP_1) | instid1(VALU_DEP_2)
	v_fmamk_f64 v[6:7], v[8:9], 0xc1f00000, v[6:7]
	v_cvt_u32_f64_e32 v9, v[8:9]
	v_cvt_u32_f64_e32 v8, v[6:7]
	global_store_b64 v[4:5], v[8:9], off
.LBB214_1954:
	s_mov_b32 s8, 0
.LBB214_1955:
	s_delay_alu instid0(SALU_CYCLE_1)
	s_and_b32 vcc_lo, exec_lo, s8
	s_cbranch_vccz .LBB214_1971
; %bb.1956:
	s_cmp_lt_i32 s3, 27
	s_mov_b32 s7, -1
	s_cbranch_scc1 .LBB214_1962
; %bb.1957:
	s_wait_xcnt 0x0
	v_cvt_u32_f64_e32 v3, v[10:11]
	s_cmp_gt_i32 s3, 27
	s_cbranch_scc0 .LBB214_1959
; %bb.1958:
	s_mov_b32 s7, 0
	global_store_b32 v[4:5], v3, off
.LBB214_1959:
	s_and_not1_b32 vcc_lo, exec_lo, s7
	s_cbranch_vccnz .LBB214_1961
; %bb.1960:
	global_store_b16 v[4:5], v3, off
.LBB214_1961:
	s_mov_b32 s7, 0
.LBB214_1962:
	s_delay_alu instid0(SALU_CYCLE_1)
	s_and_not1_b32 vcc_lo, exec_lo, s7
	s_cbranch_vccnz .LBB214_1970
; %bb.1963:
	s_wait_xcnt 0x0
	v_cvt_f32_f64_e32 v3, v[10:11]
	v_mov_b32_e32 v7, 0x80
	s_mov_b32 s7, exec_lo
	s_delay_alu instid0(VALU_DEP_2) | instskip(NEXT) | instid1(VALU_DEP_1)
	v_and_b32_e32 v6, 0x7fffffff, v3
	v_cmpx_gt_u32_e32 0x43800000, v6
	s_cbranch_execz .LBB214_1969
; %bb.1964:
	v_cmp_lt_u32_e32 vcc_lo, 0x3bffffff, v6
	s_mov_b32 s8, 0
                                        ; implicit-def: $vgpr6
	s_and_saveexec_b32 s9, vcc_lo
	s_delay_alu instid0(SALU_CYCLE_1)
	s_xor_b32 s9, exec_lo, s9
	s_cbranch_execz .LBB214_2146
; %bb.1965:
	v_bfe_u32 v6, v3, 20, 1
	s_mov_b32 s8, exec_lo
	s_delay_alu instid0(VALU_DEP_1) | instskip(NEXT) | instid1(VALU_DEP_1)
	v_add3_u32 v6, v3, v6, 0x487ffff
	v_lshrrev_b32_e32 v6, 20, v6
	s_and_not1_saveexec_b32 s9, s9
	s_cbranch_execnz .LBB214_2147
.LBB214_1966:
	s_or_b32 exec_lo, exec_lo, s9
	v_mov_b32_e32 v7, 0
	s_and_saveexec_b32 s9, s8
.LBB214_1967:
	v_lshrrev_b32_e32 v3, 24, v3
	s_delay_alu instid0(VALU_DEP_1)
	v_and_or_b32 v7, 0x80, v3, v6
.LBB214_1968:
	s_or_b32 exec_lo, exec_lo, s9
.LBB214_1969:
	s_delay_alu instid0(SALU_CYCLE_1)
	s_or_b32 exec_lo, exec_lo, s7
	global_store_b8 v[4:5], v7, off
.LBB214_1970:
	s_mov_b32 s7, -1
.LBB214_1971:
	s_mov_b32 s8, 0
.LBB214_1972:
	s_delay_alu instid0(SALU_CYCLE_1)
	s_and_b32 vcc_lo, exec_lo, s8
	s_cbranch_vccz .LBB214_2012
; %bb.1973:
	s_cmp_gt_i32 s3, 22
	s_mov_b32 s6, -1
	s_cbranch_scc0 .LBB214_2005
; %bb.1974:
	s_cmp_lt_i32 s3, 24
	s_cbranch_scc1 .LBB214_1994
; %bb.1975:
	s_cmp_gt_i32 s3, 24
	s_cbranch_scc0 .LBB214_1983
; %bb.1976:
	s_wait_xcnt 0x0
	v_cvt_f32_f64_e32 v3, v[10:11]
	v_mov_b32_e32 v7, 0x80
	s_mov_b32 s6, exec_lo
	s_delay_alu instid0(VALU_DEP_2) | instskip(NEXT) | instid1(VALU_DEP_1)
	v_and_b32_e32 v6, 0x7fffffff, v3
	v_cmpx_gt_u32_e32 0x47800000, v6
	s_cbranch_execz .LBB214_1982
; %bb.1977:
	v_cmp_lt_u32_e32 vcc_lo, 0x37ffffff, v6
	s_mov_b32 s7, 0
                                        ; implicit-def: $vgpr6
	s_and_saveexec_b32 s8, vcc_lo
	s_delay_alu instid0(SALU_CYCLE_1)
	s_xor_b32 s8, exec_lo, s8
	s_cbranch_execz .LBB214_2149
; %bb.1978:
	v_bfe_u32 v6, v3, 21, 1
	s_mov_b32 s7, exec_lo
	s_delay_alu instid0(VALU_DEP_1) | instskip(NEXT) | instid1(VALU_DEP_1)
	v_add3_u32 v6, v3, v6, 0x88fffff
	v_lshrrev_b32_e32 v6, 21, v6
	s_and_not1_saveexec_b32 s8, s8
	s_cbranch_execnz .LBB214_2150
.LBB214_1979:
	s_or_b32 exec_lo, exec_lo, s8
	v_mov_b32_e32 v7, 0
	s_and_saveexec_b32 s8, s7
.LBB214_1980:
	v_lshrrev_b32_e32 v3, 24, v3
	s_delay_alu instid0(VALU_DEP_1)
	v_and_or_b32 v7, 0x80, v3, v6
.LBB214_1981:
	s_or_b32 exec_lo, exec_lo, s8
.LBB214_1982:
	s_delay_alu instid0(SALU_CYCLE_1)
	s_or_b32 exec_lo, exec_lo, s6
	s_mov_b32 s6, 0
	global_store_b8 v[4:5], v7, off
.LBB214_1983:
	s_and_b32 vcc_lo, exec_lo, s6
	s_cbranch_vccz .LBB214_1993
; %bb.1984:
	s_wait_xcnt 0x0
	v_cvt_f32_f64_e32 v3, v[10:11]
	s_mov_b32 s6, exec_lo
                                        ; implicit-def: $vgpr6
	s_delay_alu instid0(VALU_DEP_1) | instskip(NEXT) | instid1(VALU_DEP_1)
	v_and_b32_e32 v7, 0x7fffffff, v3
	v_cmpx_gt_u32_e32 0x43f00000, v7
	s_xor_b32 s6, exec_lo, s6
	s_cbranch_execz .LBB214_1990
; %bb.1985:
	s_mov_b32 s7, exec_lo
                                        ; implicit-def: $vgpr6
	v_cmpx_lt_u32_e32 0x3c7fffff, v7
	s_xor_b32 s7, exec_lo, s7
; %bb.1986:
	v_bfe_u32 v6, v3, 20, 1
	s_delay_alu instid0(VALU_DEP_1) | instskip(NEXT) | instid1(VALU_DEP_1)
	v_add3_u32 v6, v3, v6, 0x407ffff
	v_and_b32_e32 v7, 0xff00000, v6
	v_lshrrev_b32_e32 v6, 20, v6
	s_delay_alu instid0(VALU_DEP_2) | instskip(NEXT) | instid1(VALU_DEP_2)
	v_cmp_ne_u32_e32 vcc_lo, 0x7f00000, v7
	v_cndmask_b32_e32 v6, 0x7e, v6, vcc_lo
; %bb.1987:
	s_and_not1_saveexec_b32 s7, s7
; %bb.1988:
	v_add_f32_e64 v6, 0x46800000, |v3|
; %bb.1989:
	s_or_b32 exec_lo, exec_lo, s7
                                        ; implicit-def: $vgpr7
.LBB214_1990:
	s_and_not1_saveexec_b32 s6, s6
; %bb.1991:
	v_mov_b32_e32 v6, 0x7f
	v_cmp_lt_u32_e32 vcc_lo, 0x7f800000, v7
	s_delay_alu instid0(VALU_DEP_2)
	v_cndmask_b32_e32 v6, 0x7e, v6, vcc_lo
; %bb.1992:
	s_or_b32 exec_lo, exec_lo, s6
	v_lshrrev_b32_e32 v3, 24, v3
	s_delay_alu instid0(VALU_DEP_1)
	v_and_or_b32 v3, 0x80, v3, v6
	global_store_b8 v[4:5], v3, off
.LBB214_1993:
	s_mov_b32 s6, 0
.LBB214_1994:
	s_delay_alu instid0(SALU_CYCLE_1)
	s_and_not1_b32 vcc_lo, exec_lo, s6
	s_cbranch_vccnz .LBB214_2004
; %bb.1995:
	s_wait_xcnt 0x0
	v_cvt_f32_f64_e32 v3, v[10:11]
	s_mov_b32 s6, exec_lo
                                        ; implicit-def: $vgpr6
	s_delay_alu instid0(VALU_DEP_1) | instskip(NEXT) | instid1(VALU_DEP_1)
	v_and_b32_e32 v7, 0x7fffffff, v3
	v_cmpx_gt_u32_e32 0x47800000, v7
	s_xor_b32 s6, exec_lo, s6
	s_cbranch_execz .LBB214_2001
; %bb.1996:
	s_mov_b32 s7, exec_lo
                                        ; implicit-def: $vgpr6
	v_cmpx_lt_u32_e32 0x387fffff, v7
	s_xor_b32 s7, exec_lo, s7
; %bb.1997:
	v_bfe_u32 v6, v3, 21, 1
	s_delay_alu instid0(VALU_DEP_1) | instskip(NEXT) | instid1(VALU_DEP_1)
	v_add3_u32 v6, v3, v6, 0x80fffff
	v_lshrrev_b32_e32 v6, 21, v6
; %bb.1998:
	s_and_not1_saveexec_b32 s7, s7
; %bb.1999:
	v_add_f32_e64 v6, 0x43000000, |v3|
; %bb.2000:
	s_or_b32 exec_lo, exec_lo, s7
                                        ; implicit-def: $vgpr7
.LBB214_2001:
	s_and_not1_saveexec_b32 s6, s6
; %bb.2002:
	v_mov_b32_e32 v6, 0x7f
	v_cmp_lt_u32_e32 vcc_lo, 0x7f800000, v7
	s_delay_alu instid0(VALU_DEP_2)
	v_cndmask_b32_e32 v6, 0x7c, v6, vcc_lo
; %bb.2003:
	s_or_b32 exec_lo, exec_lo, s6
	v_lshrrev_b32_e32 v3, 24, v3
	s_delay_alu instid0(VALU_DEP_1)
	v_and_or_b32 v3, 0x80, v3, v6
	global_store_b8 v[4:5], v3, off
.LBB214_2004:
	s_mov_b32 s6, 0
	s_mov_b32 s7, -1
.LBB214_2005:
	s_and_not1_b32 vcc_lo, exec_lo, s6
	s_mov_b32 s6, 0
	s_cbranch_vccnz .LBB214_2012
; %bb.2006:
	s_cmp_gt_i32 s3, 14
	s_mov_b32 s6, -1
	s_cbranch_scc0 .LBB214_2010
; %bb.2007:
	s_cmp_eq_u32 s3, 15
	s_mov_b32 s0, -1
	s_cbranch_scc0 .LBB214_2009
; %bb.2008:
	s_wait_xcnt 0x0
	v_cvt_f32_f64_e32 v3, v[10:11]
	s_mov_b32 s0, 0
	s_mov_b32 s7, -1
	s_delay_alu instid0(VALU_DEP_1) | instskip(SKIP_1) | instid1(VALU_DEP_2)
	v_bfe_u32 v6, v3, 16, 1
	v_cmp_o_f32_e32 vcc_lo, v3, v3
	v_add3_u32 v6, v3, v6, 0x7fff
	s_delay_alu instid0(VALU_DEP_1) | instskip(NEXT) | instid1(VALU_DEP_1)
	v_lshrrev_b32_e32 v6, 16, v6
	v_cndmask_b32_e32 v3, 0x7fc0, v6, vcc_lo
	global_store_b16 v[4:5], v3, off
.LBB214_2009:
	s_mov_b32 s6, 0
.LBB214_2010:
	s_delay_alu instid0(SALU_CYCLE_1)
	s_and_b32 vcc_lo, exec_lo, s6
	s_mov_b32 s6, 0
	s_cbranch_vccz .LBB214_2012
; %bb.2011:
	s_cmp_lg_u32 s3, 11
	s_mov_b32 s6, -1
	s_cselect_b32 s0, -1, 0
.LBB214_2012:
	s_delay_alu instid0(SALU_CYCLE_1)
	s_and_b32 vcc_lo, exec_lo, s0
	s_cbranch_vccnz .LBB214_2148
; %bb.2013:
	s_and_not1_b32 vcc_lo, exec_lo, s6
	s_cbranch_vccnz .LBB214_2015
.LBB214_2014:
	v_cmp_neq_f64_e32 vcc_lo, 0, v[10:11]
	s_mov_b32 s7, -1
	s_wait_xcnt 0x0
	v_cndmask_b32_e64 v3, 0, 1, vcc_lo
	global_store_b8 v[4:5], v3, off
.LBB214_2015:
	s_mov_b32 s0, 0
	s_branch .LBB214_2017
.LBB214_2016:
	s_mov_b32 s0, -1
	s_mov_b32 s7, 0
.LBB214_2017:
	s_and_b32 vcc_lo, exec_lo, s0
	s_cbranch_vccz .LBB214_2056
; %bb.2018:
	s_and_b32 s0, 0xffff, s17
	s_mov_b32 s3, -1
	s_cmp_lt_i32 s0, 5
	s_cbranch_scc1 .LBB214_2039
; %bb.2019:
	s_cmp_lt_i32 s0, 8
	s_cbranch_scc1 .LBB214_2029
; %bb.2020:
	;; [unrolled: 3-line block ×3, first 2 shown]
	s_cmp_gt_i32 s0, 9
	s_cbranch_scc0 .LBB214_2023
; %bb.2022:
	v_mov_b32_e32 v12, 0
	s_mov_b32 s3, 0
	s_delay_alu instid0(VALU_DEP_1)
	v_mov_b32_e32 v13, v12
	global_store_b128 v[4:5], v[10:13], off
.LBB214_2023:
	s_and_not1_b32 vcc_lo, exec_lo, s3
	s_cbranch_vccnz .LBB214_2025
; %bb.2024:
	s_wait_xcnt 0x0
	v_cvt_f32_f64_e32 v6, v[10:11]
	v_mov_b32_e32 v7, 0
	global_store_b64 v[4:5], v[6:7], off
.LBB214_2025:
	s_mov_b32 s3, 0
.LBB214_2026:
	s_delay_alu instid0(SALU_CYCLE_1)
	s_and_not1_b32 vcc_lo, exec_lo, s3
	s_cbranch_vccnz .LBB214_2028
; %bb.2027:
	s_wait_xcnt 0x0
	v_and_or_b32 v3, 0x1ff, v11, v10
	v_lshrrev_b32_e32 v6, 8, v11
	v_bfe_u32 v7, v11, 20, 11
	s_delay_alu instid0(VALU_DEP_3) | instskip(NEXT) | instid1(VALU_DEP_2)
	v_cmp_ne_u32_e32 vcc_lo, 0, v3
	v_sub_nc_u32_e32 v8, 0x3f1, v7
	v_add_nc_u32_e32 v7, 0xfffffc10, v7
	v_cndmask_b32_e64 v3, 0, 1, vcc_lo
	s_delay_alu instid0(VALU_DEP_1) | instskip(NEXT) | instid1(VALU_DEP_4)
	v_and_or_b32 v3, 0xffe, v6, v3
	v_med3_i32 v6, v8, 0, 13
	s_delay_alu instid0(VALU_DEP_2) | instskip(NEXT) | instid1(VALU_DEP_1)
	v_or_b32_e32 v8, 0x1000, v3
	v_lshrrev_b32_e32 v9, v6, v8
	s_delay_alu instid0(VALU_DEP_1) | instskip(NEXT) | instid1(VALU_DEP_1)
	v_lshlrev_b32_e32 v6, v6, v9
	v_cmp_ne_u32_e32 vcc_lo, v6, v8
	v_lshl_or_b32 v8, v7, 12, v3
	v_cndmask_b32_e64 v6, 0, 1, vcc_lo
	v_cmp_gt_i32_e32 vcc_lo, 1, v7
	s_delay_alu instid0(VALU_DEP_2) | instskip(NEXT) | instid1(VALU_DEP_1)
	v_or_b32_e32 v6, v9, v6
	v_cndmask_b32_e32 v6, v8, v6, vcc_lo
	s_delay_alu instid0(VALU_DEP_1) | instskip(NEXT) | instid1(VALU_DEP_1)
	v_dual_lshrrev_b32 v6, 2, v6 :: v_dual_bitop2_b32 v8, 7, v6 bitop3:0x40
	v_cmp_lt_i32_e32 vcc_lo, 5, v8
	v_cndmask_b32_e64 v9, 0, 1, vcc_lo
	v_cmp_eq_u32_e32 vcc_lo, 3, v8
	v_cndmask_b32_e64 v8, 0, 1, vcc_lo
	v_cmp_ne_u32_e32 vcc_lo, 0, v3
	s_delay_alu instid0(VALU_DEP_2) | instskip(NEXT) | instid1(VALU_DEP_1)
	v_or_b32_e32 v8, v8, v9
	v_dual_mov_b32 v9, 0x7e00 :: v_dual_add_nc_u32 v6, v6, v8
	s_delay_alu instid0(VALU_DEP_1) | instskip(SKIP_2) | instid1(VALU_DEP_4)
	v_cndmask_b32_e32 v3, 0x7c00, v9, vcc_lo
	v_cmp_gt_i32_e32 vcc_lo, 31, v7
	v_lshrrev_b32_e32 v8, 16, v11
	v_cndmask_b32_e32 v6, 0x7c00, v6, vcc_lo
	v_cmp_eq_u32_e32 vcc_lo, 0x40f, v7
	s_delay_alu instid0(VALU_DEP_2) | instskip(NEXT) | instid1(VALU_DEP_4)
	v_cndmask_b32_e32 v3, v6, v3, vcc_lo
	v_and_b32_e32 v6, 0x8000, v8
	s_delay_alu instid0(VALU_DEP_1)
	v_bitop3_b32 v3, v6, 0xffff, v3 bitop3:0xc8
	global_store_b32 v[4:5], v3, off
.LBB214_2028:
	s_mov_b32 s3, 0
.LBB214_2029:
	s_delay_alu instid0(SALU_CYCLE_1)
	s_and_not1_b32 vcc_lo, exec_lo, s3
	s_cbranch_vccnz .LBB214_2038
; %bb.2030:
	s_cmp_lt_i32 s0, 6
	s_mov_b32 s3, -1
	s_cbranch_scc1 .LBB214_2036
; %bb.2031:
	s_cmp_gt_i32 s0, 6
	s_cbranch_scc0 .LBB214_2033
; %bb.2032:
	s_mov_b32 s3, 0
	global_store_b64 v[4:5], v[10:11], off
.LBB214_2033:
	s_and_not1_b32 vcc_lo, exec_lo, s3
	s_cbranch_vccnz .LBB214_2035
; %bb.2034:
	s_wait_xcnt 0x0
	v_cvt_f32_f64_e32 v3, v[10:11]
	global_store_b32 v[4:5], v3, off
.LBB214_2035:
	s_mov_b32 s3, 0
.LBB214_2036:
	s_delay_alu instid0(SALU_CYCLE_1)
	s_and_not1_b32 vcc_lo, exec_lo, s3
	s_cbranch_vccnz .LBB214_2038
; %bb.2037:
	s_wait_xcnt 0x0
	v_and_or_b32 v3, 0x1ff, v11, v10
	v_lshrrev_b32_e32 v6, 8, v11
	v_bfe_u32 v7, v11, 20, 11
	s_delay_alu instid0(VALU_DEP_3) | instskip(NEXT) | instid1(VALU_DEP_2)
	v_cmp_ne_u32_e32 vcc_lo, 0, v3
	v_sub_nc_u32_e32 v8, 0x3f1, v7
	v_add_nc_u32_e32 v7, 0xfffffc10, v7
	v_cndmask_b32_e64 v3, 0, 1, vcc_lo
	s_delay_alu instid0(VALU_DEP_1) | instskip(NEXT) | instid1(VALU_DEP_4)
	v_and_or_b32 v3, 0xffe, v6, v3
	v_med3_i32 v6, v8, 0, 13
	s_delay_alu instid0(VALU_DEP_2) | instskip(NEXT) | instid1(VALU_DEP_1)
	v_or_b32_e32 v8, 0x1000, v3
	v_lshrrev_b32_e32 v9, v6, v8
	s_delay_alu instid0(VALU_DEP_1) | instskip(NEXT) | instid1(VALU_DEP_1)
	v_lshlrev_b32_e32 v6, v6, v9
	v_cmp_ne_u32_e32 vcc_lo, v6, v8
	v_lshl_or_b32 v8, v7, 12, v3
	v_cndmask_b32_e64 v6, 0, 1, vcc_lo
	v_cmp_gt_i32_e32 vcc_lo, 1, v7
	s_delay_alu instid0(VALU_DEP_2) | instskip(NEXT) | instid1(VALU_DEP_1)
	v_or_b32_e32 v6, v9, v6
	v_cndmask_b32_e32 v6, v8, v6, vcc_lo
	s_delay_alu instid0(VALU_DEP_1) | instskip(NEXT) | instid1(VALU_DEP_1)
	v_dual_lshrrev_b32 v6, 2, v6 :: v_dual_bitop2_b32 v8, 7, v6 bitop3:0x40
	v_cmp_lt_i32_e32 vcc_lo, 5, v8
	v_cndmask_b32_e64 v9, 0, 1, vcc_lo
	v_cmp_eq_u32_e32 vcc_lo, 3, v8
	v_cndmask_b32_e64 v8, 0, 1, vcc_lo
	v_cmp_ne_u32_e32 vcc_lo, 0, v3
	s_delay_alu instid0(VALU_DEP_2) | instskip(NEXT) | instid1(VALU_DEP_1)
	v_or_b32_e32 v8, v8, v9
	v_dual_mov_b32 v9, 0x7e00 :: v_dual_add_nc_u32 v6, v6, v8
	s_delay_alu instid0(VALU_DEP_1) | instskip(SKIP_1) | instid1(VALU_DEP_3)
	v_cndmask_b32_e32 v3, 0x7c00, v9, vcc_lo
	v_cmp_gt_i32_e32 vcc_lo, 31, v7
	v_cndmask_b32_e32 v6, 0x7c00, v6, vcc_lo
	v_cmp_eq_u32_e32 vcc_lo, 0x40f, v7
	s_delay_alu instid0(VALU_DEP_2) | instskip(SKIP_1) | instid1(VALU_DEP_1)
	v_cndmask_b32_e32 v3, v6, v3, vcc_lo
	v_lshrrev_b32_e32 v6, 16, v11
	v_and_or_b32 v3, 0x8000, v6, v3
	global_store_b16 v[4:5], v3, off
.LBB214_2038:
	s_mov_b32 s3, 0
.LBB214_2039:
	s_delay_alu instid0(SALU_CYCLE_1)
	s_and_not1_b32 vcc_lo, exec_lo, s3
	s_cbranch_vccnz .LBB214_2055
; %bb.2040:
	s_cmp_lt_i32 s0, 2
	s_mov_b32 s3, -1
	s_cbranch_scc1 .LBB214_2050
; %bb.2041:
	s_cmp_lt_i32 s0, 3
	s_cbranch_scc1 .LBB214_2047
; %bb.2042:
	s_cmp_gt_i32 s0, 3
	s_cbranch_scc0 .LBB214_2044
; %bb.2043:
	s_wait_xcnt 0x0
	v_trunc_f64_e32 v[6:7], v[10:11]
	s_mov_b32 s3, 0
	s_delay_alu instid0(VALU_DEP_1) | instskip(NEXT) | instid1(VALU_DEP_1)
	v_ldexp_f64 v[8:9], v[6:7], 0xffffffe0
	v_floor_f64_e32 v[8:9], v[8:9]
	s_delay_alu instid0(VALU_DEP_1) | instskip(SKIP_1) | instid1(VALU_DEP_2)
	v_fmamk_f64 v[6:7], v[8:9], 0xc1f00000, v[6:7]
	v_cvt_i32_f64_e32 v9, v[8:9]
	v_cvt_u32_f64_e32 v8, v[6:7]
	global_store_b64 v[4:5], v[8:9], off
.LBB214_2044:
	s_and_not1_b32 vcc_lo, exec_lo, s3
	s_cbranch_vccnz .LBB214_2046
; %bb.2045:
	s_wait_xcnt 0x0
	v_cvt_i32_f64_e32 v3, v[10:11]
	global_store_b32 v[4:5], v3, off
.LBB214_2046:
	s_mov_b32 s3, 0
.LBB214_2047:
	s_delay_alu instid0(SALU_CYCLE_1)
	s_and_not1_b32 vcc_lo, exec_lo, s3
	s_cbranch_vccnz .LBB214_2049
; %bb.2048:
	s_wait_xcnt 0x0
	v_cvt_i32_f64_e32 v3, v[10:11]
	global_store_b16 v[4:5], v3, off
.LBB214_2049:
	s_mov_b32 s3, 0
.LBB214_2050:
	s_delay_alu instid0(SALU_CYCLE_1)
	s_and_not1_b32 vcc_lo, exec_lo, s3
	s_cbranch_vccnz .LBB214_2055
; %bb.2051:
	s_cmp_gt_i32 s0, 0
	s_mov_b32 s0, -1
	s_cbranch_scc0 .LBB214_2053
; %bb.2052:
	s_wait_xcnt 0x0
	v_cvt_i32_f64_e32 v3, v[10:11]
	s_mov_b32 s0, 0
	global_store_b8 v[4:5], v3, off
.LBB214_2053:
	s_and_not1_b32 vcc_lo, exec_lo, s0
	s_cbranch_vccnz .LBB214_2055
; %bb.2054:
	s_wait_xcnt 0x0
	v_trunc_f64_e32 v[6:7], v[10:11]
	s_delay_alu instid0(VALU_DEP_1) | instskip(NEXT) | instid1(VALU_DEP_1)
	v_ldexp_f64 v[8:9], v[6:7], 0xffffffe0
	v_floor_f64_e32 v[8:9], v[8:9]
	s_delay_alu instid0(VALU_DEP_1) | instskip(NEXT) | instid1(VALU_DEP_1)
	v_fmamk_f64 v[6:7], v[8:9], 0xc1f00000, v[6:7]
	v_cvt_u32_f64_e32 v3, v[6:7]
	global_store_b8 v[4:5], v3, off
.LBB214_2055:
	s_mov_b32 s7, -1
.LBB214_2056:
	s_delay_alu instid0(SALU_CYCLE_1)
	s_and_not1_b32 vcc_lo, exec_lo, s7
	s_cbranch_vccnz .LBB214_2133
; %bb.2057:
	v_add_nc_u32_e32 v2, s2, v2
	s_cmp_lt_i32 s17, 11
	s_wait_xcnt 0x0
	s_delay_alu instid0(VALU_DEP_1) | instskip(NEXT) | instid1(VALU_DEP_1)
	v_ashrrev_i32_e32 v3, 31, v2
	v_add_nc_u64_e32 v[4:5], s[4:5], v[2:3]
	s_cbranch_scc1 .LBB214_2134
; %bb.2058:
	s_and_b32 s2, 0xffff, s17
	s_mov_b32 s4, -1
	s_mov_b32 s3, 0
	s_cmp_gt_i32 s2, 25
	s_mov_b32 s0, 0
	s_cbranch_scc0 .LBB214_2091
; %bb.2059:
	s_cmp_gt_i32 s2, 28
	s_cbranch_scc0 .LBB214_2075
; %bb.2060:
	s_cmp_gt_i32 s2, 43
	;; [unrolled: 3-line block ×3, first 2 shown]
	s_cbranch_scc0 .LBB214_2065
; %bb.2062:
	s_cmp_eq_u32 s2, 46
	s_mov_b32 s0, -1
	s_cbranch_scc0 .LBB214_2064
; %bb.2063:
	v_cvt_f32_f64_e32 v2, v[0:1]
	s_mov_b32 s0, 0
	s_delay_alu instid0(VALU_DEP_1) | instskip(SKIP_1) | instid1(VALU_DEP_2)
	v_bfe_u32 v3, v2, 16, 1
	v_cmp_o_f32_e32 vcc_lo, v2, v2
	v_add3_u32 v3, v2, v3, 0x7fff
	s_delay_alu instid0(VALU_DEP_1) | instskip(NEXT) | instid1(VALU_DEP_1)
	v_lshrrev_b32_e32 v3, 16, v3
	v_cndmask_b32_e32 v2, 0x7fc0, v3, vcc_lo
	global_store_b32 v[4:5], v2, off
.LBB214_2064:
	s_mov_b32 s4, 0
.LBB214_2065:
	s_delay_alu instid0(SALU_CYCLE_1)
	s_and_b32 vcc_lo, exec_lo, s4
	s_cbranch_vccz .LBB214_2070
; %bb.2066:
	s_cmp_eq_u32 s2, 44
	s_mov_b32 s0, -1
	s_cbranch_scc0 .LBB214_2070
; %bb.2067:
	s_wait_xcnt 0x0
	v_cvt_f32_f64_e32 v2, v[0:1]
	v_mov_b32_e32 v3, 0xff
	s_mov_b32 s4, exec_lo
	s_delay_alu instid0(VALU_DEP_2) | instskip(NEXT) | instid1(VALU_DEP_1)
	v_bfe_u32 v6, v2, 23, 8
	v_cmpx_ne_u32_e32 0xff, v6
	s_cbranch_execz .LBB214_2069
; %bb.2068:
	v_and_b32_e32 v3, 0x400000, v2
	v_and_or_b32 v6, 0x3fffff, v2, v6
	v_lshrrev_b32_e32 v2, 23, v2
	s_delay_alu instid0(VALU_DEP_3) | instskip(NEXT) | instid1(VALU_DEP_3)
	v_cmp_ne_u32_e32 vcc_lo, 0, v3
	v_cmp_ne_u32_e64 s0, 0, v6
	s_and_b32 s0, vcc_lo, s0
	s_delay_alu instid0(SALU_CYCLE_1) | instskip(NEXT) | instid1(VALU_DEP_1)
	v_cndmask_b32_e64 v3, 0, 1, s0
	v_add_nc_u32_e32 v3, v2, v3
.LBB214_2069:
	s_or_b32 exec_lo, exec_lo, s4
	s_mov_b32 s0, 0
	global_store_b8 v[4:5], v3, off
.LBB214_2070:
	s_mov_b32 s4, 0
.LBB214_2071:
	s_delay_alu instid0(SALU_CYCLE_1)
	s_and_b32 vcc_lo, exec_lo, s4
	s_cbranch_vccz .LBB214_2074
; %bb.2072:
	s_cmp_eq_u32 s2, 29
	s_mov_b32 s0, -1
	s_cbranch_scc0 .LBB214_2074
; %bb.2073:
	s_wait_xcnt 0x0
	v_trunc_f64_e32 v[2:3], v[0:1]
	s_mov_b32 s0, 0
	s_delay_alu instid0(VALU_DEP_1) | instskip(NEXT) | instid1(VALU_DEP_1)
	v_ldexp_f64 v[6:7], v[2:3], 0xffffffe0
	v_floor_f64_e32 v[6:7], v[6:7]
	s_delay_alu instid0(VALU_DEP_1) | instskip(SKIP_1) | instid1(VALU_DEP_2)
	v_fmamk_f64 v[2:3], v[6:7], 0xc1f00000, v[2:3]
	v_cvt_u32_f64_e32 v7, v[6:7]
	v_cvt_u32_f64_e32 v6, v[2:3]
	global_store_b64 v[4:5], v[6:7], off
.LBB214_2074:
	s_mov_b32 s4, 0
.LBB214_2075:
	s_delay_alu instid0(SALU_CYCLE_1)
	s_and_b32 vcc_lo, exec_lo, s4
	s_cbranch_vccz .LBB214_2090
; %bb.2076:
	s_cmp_lt_i32 s2, 27
	s_mov_b32 s4, -1
	s_cbranch_scc1 .LBB214_2082
; %bb.2077:
	s_wait_xcnt 0x0
	v_cvt_u32_f64_e32 v2, v[0:1]
	s_cmp_gt_i32 s2, 27
	s_cbranch_scc0 .LBB214_2079
; %bb.2078:
	s_mov_b32 s4, 0
	global_store_b32 v[4:5], v2, off
.LBB214_2079:
	s_and_not1_b32 vcc_lo, exec_lo, s4
	s_cbranch_vccnz .LBB214_2081
; %bb.2080:
	global_store_b16 v[4:5], v2, off
.LBB214_2081:
	s_mov_b32 s4, 0
.LBB214_2082:
	s_delay_alu instid0(SALU_CYCLE_1)
	s_and_not1_b32 vcc_lo, exec_lo, s4
	s_cbranch_vccnz .LBB214_2090
; %bb.2083:
	s_wait_xcnt 0x0
	v_cvt_f32_f64_e32 v2, v[0:1]
	v_mov_b32_e32 v6, 0x80
	s_mov_b32 s4, exec_lo
	s_delay_alu instid0(VALU_DEP_2) | instskip(NEXT) | instid1(VALU_DEP_1)
	v_and_b32_e32 v3, 0x7fffffff, v2
	v_cmpx_gt_u32_e32 0x43800000, v3
	s_cbranch_execz .LBB214_2089
; %bb.2084:
	v_cmp_lt_u32_e32 vcc_lo, 0x3bffffff, v3
	s_mov_b32 s5, 0
                                        ; implicit-def: $vgpr3
	s_and_saveexec_b32 s6, vcc_lo
	s_delay_alu instid0(SALU_CYCLE_1)
	s_xor_b32 s6, exec_lo, s6
	s_cbranch_execz .LBB214_2151
; %bb.2085:
	v_bfe_u32 v3, v2, 20, 1
	s_mov_b32 s5, exec_lo
	s_delay_alu instid0(VALU_DEP_1) | instskip(NEXT) | instid1(VALU_DEP_1)
	v_add3_u32 v3, v2, v3, 0x487ffff
	v_lshrrev_b32_e32 v3, 20, v3
	s_and_not1_saveexec_b32 s6, s6
	s_cbranch_execnz .LBB214_2152
.LBB214_2086:
	s_or_b32 exec_lo, exec_lo, s6
	v_mov_b32_e32 v6, 0
	s_and_saveexec_b32 s6, s5
.LBB214_2087:
	v_lshrrev_b32_e32 v2, 24, v2
	s_delay_alu instid0(VALU_DEP_1)
	v_and_or_b32 v6, 0x80, v2, v3
.LBB214_2088:
	s_or_b32 exec_lo, exec_lo, s6
.LBB214_2089:
	s_delay_alu instid0(SALU_CYCLE_1)
	s_or_b32 exec_lo, exec_lo, s4
	global_store_b8 v[4:5], v6, off
.LBB214_2090:
	s_mov_b32 s4, 0
.LBB214_2091:
	s_delay_alu instid0(SALU_CYCLE_1)
	s_and_b32 vcc_lo, exec_lo, s4
	s_cbranch_vccz .LBB214_2131
; %bb.2092:
	s_cmp_gt_i32 s2, 22
	s_mov_b32 s3, -1
	s_cbranch_scc0 .LBB214_2124
; %bb.2093:
	s_cmp_lt_i32 s2, 24
	s_cbranch_scc1 .LBB214_2113
; %bb.2094:
	s_cmp_gt_i32 s2, 24
	s_cbranch_scc0 .LBB214_2102
; %bb.2095:
	s_wait_xcnt 0x0
	v_cvt_f32_f64_e32 v2, v[0:1]
	v_mov_b32_e32 v6, 0x80
	s_mov_b32 s3, exec_lo
	s_delay_alu instid0(VALU_DEP_2) | instskip(NEXT) | instid1(VALU_DEP_1)
	v_and_b32_e32 v3, 0x7fffffff, v2
	v_cmpx_gt_u32_e32 0x47800000, v3
	s_cbranch_execz .LBB214_2101
; %bb.2096:
	v_cmp_lt_u32_e32 vcc_lo, 0x37ffffff, v3
	s_mov_b32 s4, 0
                                        ; implicit-def: $vgpr3
	s_and_saveexec_b32 s5, vcc_lo
	s_delay_alu instid0(SALU_CYCLE_1)
	s_xor_b32 s5, exec_lo, s5
	s_cbranch_execz .LBB214_2154
; %bb.2097:
	v_bfe_u32 v3, v2, 21, 1
	s_mov_b32 s4, exec_lo
	s_delay_alu instid0(VALU_DEP_1) | instskip(NEXT) | instid1(VALU_DEP_1)
	v_add3_u32 v3, v2, v3, 0x88fffff
	v_lshrrev_b32_e32 v3, 21, v3
	s_and_not1_saveexec_b32 s5, s5
	s_cbranch_execnz .LBB214_2155
.LBB214_2098:
	s_or_b32 exec_lo, exec_lo, s5
	v_mov_b32_e32 v6, 0
	s_and_saveexec_b32 s5, s4
.LBB214_2099:
	v_lshrrev_b32_e32 v2, 24, v2
	s_delay_alu instid0(VALU_DEP_1)
	v_and_or_b32 v6, 0x80, v2, v3
.LBB214_2100:
	s_or_b32 exec_lo, exec_lo, s5
.LBB214_2101:
	s_delay_alu instid0(SALU_CYCLE_1)
	s_or_b32 exec_lo, exec_lo, s3
	s_mov_b32 s3, 0
	global_store_b8 v[4:5], v6, off
.LBB214_2102:
	s_and_b32 vcc_lo, exec_lo, s3
	s_cbranch_vccz .LBB214_2112
; %bb.2103:
	s_wait_xcnt 0x0
	v_cvt_f32_f64_e32 v2, v[0:1]
	s_mov_b32 s3, exec_lo
                                        ; implicit-def: $vgpr3
	s_delay_alu instid0(VALU_DEP_1) | instskip(NEXT) | instid1(VALU_DEP_1)
	v_and_b32_e32 v6, 0x7fffffff, v2
	v_cmpx_gt_u32_e32 0x43f00000, v6
	s_xor_b32 s3, exec_lo, s3
	s_cbranch_execz .LBB214_2109
; %bb.2104:
	s_mov_b32 s4, exec_lo
                                        ; implicit-def: $vgpr3
	v_cmpx_lt_u32_e32 0x3c7fffff, v6
	s_xor_b32 s4, exec_lo, s4
; %bb.2105:
	v_bfe_u32 v3, v2, 20, 1
	s_delay_alu instid0(VALU_DEP_1) | instskip(NEXT) | instid1(VALU_DEP_1)
	v_add3_u32 v3, v2, v3, 0x407ffff
	v_and_b32_e32 v6, 0xff00000, v3
	v_lshrrev_b32_e32 v3, 20, v3
	s_delay_alu instid0(VALU_DEP_2) | instskip(NEXT) | instid1(VALU_DEP_2)
	v_cmp_ne_u32_e32 vcc_lo, 0x7f00000, v6
	v_cndmask_b32_e32 v3, 0x7e, v3, vcc_lo
; %bb.2106:
	s_and_not1_saveexec_b32 s4, s4
; %bb.2107:
	v_add_f32_e64 v3, 0x46800000, |v2|
; %bb.2108:
	s_or_b32 exec_lo, exec_lo, s4
                                        ; implicit-def: $vgpr6
.LBB214_2109:
	s_and_not1_saveexec_b32 s3, s3
; %bb.2110:
	v_mov_b32_e32 v3, 0x7f
	v_cmp_lt_u32_e32 vcc_lo, 0x7f800000, v6
	s_delay_alu instid0(VALU_DEP_2)
	v_cndmask_b32_e32 v3, 0x7e, v3, vcc_lo
; %bb.2111:
	s_or_b32 exec_lo, exec_lo, s3
	v_lshrrev_b32_e32 v2, 24, v2
	s_delay_alu instid0(VALU_DEP_1)
	v_and_or_b32 v2, 0x80, v2, v3
	global_store_b8 v[4:5], v2, off
.LBB214_2112:
	s_mov_b32 s3, 0
.LBB214_2113:
	s_delay_alu instid0(SALU_CYCLE_1)
	s_and_not1_b32 vcc_lo, exec_lo, s3
	s_cbranch_vccnz .LBB214_2123
; %bb.2114:
	s_wait_xcnt 0x0
	v_cvt_f32_f64_e32 v2, v[0:1]
	s_mov_b32 s3, exec_lo
                                        ; implicit-def: $vgpr3
	s_delay_alu instid0(VALU_DEP_1) | instskip(NEXT) | instid1(VALU_DEP_1)
	v_and_b32_e32 v6, 0x7fffffff, v2
	v_cmpx_gt_u32_e32 0x47800000, v6
	s_xor_b32 s3, exec_lo, s3
	s_cbranch_execz .LBB214_2120
; %bb.2115:
	s_mov_b32 s4, exec_lo
                                        ; implicit-def: $vgpr3
	v_cmpx_lt_u32_e32 0x387fffff, v6
	s_xor_b32 s4, exec_lo, s4
; %bb.2116:
	v_bfe_u32 v3, v2, 21, 1
	s_delay_alu instid0(VALU_DEP_1) | instskip(NEXT) | instid1(VALU_DEP_1)
	v_add3_u32 v3, v2, v3, 0x80fffff
	v_lshrrev_b32_e32 v3, 21, v3
; %bb.2117:
	s_and_not1_saveexec_b32 s4, s4
; %bb.2118:
	v_add_f32_e64 v3, 0x43000000, |v2|
; %bb.2119:
	s_or_b32 exec_lo, exec_lo, s4
                                        ; implicit-def: $vgpr6
.LBB214_2120:
	s_and_not1_saveexec_b32 s3, s3
; %bb.2121:
	v_mov_b32_e32 v3, 0x7f
	v_cmp_lt_u32_e32 vcc_lo, 0x7f800000, v6
	s_delay_alu instid0(VALU_DEP_2)
	v_cndmask_b32_e32 v3, 0x7c, v3, vcc_lo
; %bb.2122:
	s_or_b32 exec_lo, exec_lo, s3
	v_lshrrev_b32_e32 v2, 24, v2
	s_delay_alu instid0(VALU_DEP_1)
	v_and_or_b32 v2, 0x80, v2, v3
	global_store_b8 v[4:5], v2, off
.LBB214_2123:
	s_mov_b32 s3, 0
.LBB214_2124:
	s_delay_alu instid0(SALU_CYCLE_1)
	s_and_not1_b32 vcc_lo, exec_lo, s3
	s_mov_b32 s3, 0
	s_cbranch_vccnz .LBB214_2131
; %bb.2125:
	s_cmp_gt_i32 s2, 14
	s_mov_b32 s3, -1
	s_cbranch_scc0 .LBB214_2129
; %bb.2126:
	s_cmp_eq_u32 s2, 15
	s_mov_b32 s0, -1
	s_cbranch_scc0 .LBB214_2128
; %bb.2127:
	s_wait_xcnt 0x0
	v_cvt_f32_f64_e32 v2, v[0:1]
	s_mov_b32 s0, 0
	s_delay_alu instid0(VALU_DEP_1) | instskip(SKIP_1) | instid1(VALU_DEP_2)
	v_bfe_u32 v3, v2, 16, 1
	v_cmp_o_f32_e32 vcc_lo, v2, v2
	v_add3_u32 v3, v2, v3, 0x7fff
	s_delay_alu instid0(VALU_DEP_1) | instskip(NEXT) | instid1(VALU_DEP_1)
	v_lshrrev_b32_e32 v3, 16, v3
	v_cndmask_b32_e32 v2, 0x7fc0, v3, vcc_lo
	global_store_b16 v[4:5], v2, off
.LBB214_2128:
	s_mov_b32 s3, 0
.LBB214_2129:
	s_delay_alu instid0(SALU_CYCLE_1)
	s_and_b32 vcc_lo, exec_lo, s3
	s_mov_b32 s3, 0
	s_cbranch_vccz .LBB214_2131
; %bb.2130:
	s_cmp_lg_u32 s2, 11
	s_mov_b32 s3, -1
	s_cselect_b32 s0, -1, 0
.LBB214_2131:
	s_delay_alu instid0(SALU_CYCLE_1)
	s_and_b32 vcc_lo, exec_lo, s0
	s_cbranch_vccnz .LBB214_2153
.LBB214_2132:
	s_mov_b32 s0, 0
	s_branch .LBB214_1646
.LBB214_2133:
	s_mov_b32 s0, 0
	s_mov_b32 s3, 0
                                        ; implicit-def: $sgpr17
                                        ; implicit-def: $vgpr4_vgpr5
	s_branch .LBB214_1646
.LBB214_2134:
	s_mov_b32 s3, 0
	s_mov_b32 s0, -1
	s_branch .LBB214_1646
.LBB214_2135:
	s_or_b32 s1, s1, exec_lo
	s_trap 2
	s_cbranch_execz .LBB214_1589
	s_branch .LBB214_1590
.LBB214_2136:
	s_and_not1_saveexec_b32 s8, s8
	s_cbranch_execz .LBB214_1728
.LBB214_2137:
	v_add_f32_e64 v5, 0x46000000, |v4|
	s_and_not1_b32 s7, s7, exec_lo
	s_delay_alu instid0(VALU_DEP_1) | instskip(NEXT) | instid1(VALU_DEP_1)
	v_and_b32_e32 v5, 0xff, v5
	v_cmp_ne_u32_e32 vcc_lo, 0, v5
	s_and_b32 s9, vcc_lo, exec_lo
	s_delay_alu instid0(SALU_CYCLE_1)
	s_or_b32 s7, s7, s9
	s_or_b32 exec_lo, exec_lo, s8
	v_mov_b32_e32 v9, 0
	s_and_saveexec_b32 s8, s7
	s_cbranch_execnz .LBB214_1729
	s_branch .LBB214_1730
.LBB214_2138:
	s_or_b32 s1, s1, exec_lo
	s_trap 2
	s_cbranch_execz .LBB214_1776
	s_branch .LBB214_1777
.LBB214_2139:
	s_and_not1_saveexec_b32 s7, s7
	s_cbranch_execz .LBB214_1741
.LBB214_2140:
	v_add_f32_e64 v5, 0x42800000, |v4|
	s_and_not1_b32 s6, s6, exec_lo
	s_delay_alu instid0(VALU_DEP_1) | instskip(NEXT) | instid1(VALU_DEP_1)
	v_and_b32_e32 v5, 0xff, v5
	v_cmp_ne_u32_e32 vcc_lo, 0, v5
	s_and_b32 s8, vcc_lo, exec_lo
	s_delay_alu instid0(SALU_CYCLE_1)
	s_or_b32 s6, s6, s8
	s_or_b32 exec_lo, exec_lo, s7
	v_mov_b32_e32 v9, 0
	s_and_saveexec_b32 s7, s6
	s_cbranch_execnz .LBB214_1742
	s_branch .LBB214_1743
.LBB214_2141:
	s_and_not1_saveexec_b32 s9, s9
	s_cbranch_execz .LBB214_1847
.LBB214_2142:
	v_add_f32_e64 v8, 0x46000000, |v3|
	s_and_not1_b32 s8, s8, exec_lo
	s_delay_alu instid0(VALU_DEP_1) | instskip(NEXT) | instid1(VALU_DEP_1)
	v_and_b32_e32 v8, 0xff, v8
	v_cmp_ne_u32_e32 vcc_lo, 0, v8
	s_and_b32 s10, vcc_lo, exec_lo
	s_delay_alu instid0(SALU_CYCLE_1)
	s_or_b32 s8, s8, s10
	s_or_b32 exec_lo, exec_lo, s9
	v_mov_b32_e32 v9, 0
	s_and_saveexec_b32 s9, s8
	s_cbranch_execnz .LBB214_1848
	s_branch .LBB214_1849
.LBB214_2143:
	s_or_b32 s1, s1, exec_lo
	s_trap 2
	s_cbranch_execz .LBB214_1895
	s_branch .LBB214_1896
.LBB214_2144:
	s_and_not1_saveexec_b32 s8, s8
	s_cbranch_execz .LBB214_1860
.LBB214_2145:
	v_add_f32_e64 v8, 0x42800000, |v3|
	s_and_not1_b32 s7, s7, exec_lo
	s_delay_alu instid0(VALU_DEP_1) | instskip(NEXT) | instid1(VALU_DEP_1)
	v_and_b32_e32 v8, 0xff, v8
	v_cmp_ne_u32_e32 vcc_lo, 0, v8
	s_and_b32 s9, vcc_lo, exec_lo
	s_delay_alu instid0(SALU_CYCLE_1)
	s_or_b32 s7, s7, s9
	s_or_b32 exec_lo, exec_lo, s8
	v_mov_b32_e32 v9, 0
	s_and_saveexec_b32 s8, s7
	s_cbranch_execnz .LBB214_1861
	s_branch .LBB214_1862
.LBB214_2146:
	s_and_not1_saveexec_b32 s9, s9
	s_cbranch_execz .LBB214_1966
.LBB214_2147:
	v_add_f32_e64 v6, 0x46000000, |v3|
	s_and_not1_b32 s8, s8, exec_lo
	s_delay_alu instid0(VALU_DEP_1) | instskip(NEXT) | instid1(VALU_DEP_1)
	v_and_b32_e32 v6, 0xff, v6
	v_cmp_ne_u32_e32 vcc_lo, 0, v6
	s_and_b32 s10, vcc_lo, exec_lo
	s_delay_alu instid0(SALU_CYCLE_1)
	s_or_b32 s8, s8, s10
	s_or_b32 exec_lo, exec_lo, s9
	v_mov_b32_e32 v7, 0
	s_and_saveexec_b32 s9, s8
	s_cbranch_execnz .LBB214_1967
	s_branch .LBB214_1968
.LBB214_2148:
	s_or_b32 s1, s1, exec_lo
	s_trap 2
	s_cbranch_execz .LBB214_2014
	s_branch .LBB214_2015
.LBB214_2149:
	s_and_not1_saveexec_b32 s8, s8
	s_cbranch_execz .LBB214_1979
.LBB214_2150:
	v_add_f32_e64 v6, 0x42800000, |v3|
	s_and_not1_b32 s7, s7, exec_lo
	s_delay_alu instid0(VALU_DEP_1) | instskip(NEXT) | instid1(VALU_DEP_1)
	v_and_b32_e32 v6, 0xff, v6
	v_cmp_ne_u32_e32 vcc_lo, 0, v6
	s_and_b32 s9, vcc_lo, exec_lo
	s_delay_alu instid0(SALU_CYCLE_1)
	s_or_b32 s7, s7, s9
	s_or_b32 exec_lo, exec_lo, s8
	v_mov_b32_e32 v7, 0
	s_and_saveexec_b32 s8, s7
	s_cbranch_execnz .LBB214_1980
	s_branch .LBB214_1981
.LBB214_2151:
	s_and_not1_saveexec_b32 s6, s6
	s_cbranch_execz .LBB214_2086
.LBB214_2152:
	v_add_f32_e64 v3, 0x46000000, |v2|
	s_and_not1_b32 s5, s5, exec_lo
	s_delay_alu instid0(VALU_DEP_1) | instskip(NEXT) | instid1(VALU_DEP_1)
	v_and_b32_e32 v3, 0xff, v3
	v_cmp_ne_u32_e32 vcc_lo, 0, v3
	s_and_b32 s7, vcc_lo, exec_lo
	s_delay_alu instid0(SALU_CYCLE_1)
	s_or_b32 s5, s5, s7
	s_or_b32 exec_lo, exec_lo, s6
	v_mov_b32_e32 v6, 0
	s_and_saveexec_b32 s6, s5
	s_cbranch_execnz .LBB214_2087
	s_branch .LBB214_2088
.LBB214_2153:
	s_mov_b32 s3, 0
	s_or_b32 s1, s1, exec_lo
	s_trap 2
	s_branch .LBB214_2132
.LBB214_2154:
	s_and_not1_saveexec_b32 s5, s5
	s_cbranch_execz .LBB214_2098
.LBB214_2155:
	v_add_f32_e64 v3, 0x42800000, |v2|
	s_and_not1_b32 s4, s4, exec_lo
	s_delay_alu instid0(VALU_DEP_1) | instskip(NEXT) | instid1(VALU_DEP_1)
	v_and_b32_e32 v3, 0xff, v3
	v_cmp_ne_u32_e32 vcc_lo, 0, v3
	s_and_b32 s6, vcc_lo, exec_lo
	s_delay_alu instid0(SALU_CYCLE_1)
	s_or_b32 s4, s4, s6
	s_or_b32 exec_lo, exec_lo, s5
	v_mov_b32_e32 v6, 0
	s_and_saveexec_b32 s5, s4
	s_cbranch_execnz .LBB214_2099
	s_branch .LBB214_2100
	.section	.rodata,"a",@progbits
	.p2align	6, 0x0
	.amdhsa_kernel _ZN2at6native32elementwise_kernel_manual_unrollILi128ELi4EZNS0_15gpu_kernel_implIZZZNS0_12_GLOBAL__N_119launch_clamp_scalarERNS_18TensorIteratorBaseEN3c106ScalarES7_NS0_6detail11ClampLimitsEENKUlvE_clEvENKUlvE4_clEvEUldE_EEvS5_RKT_EUlibE_EEviT1_
		.amdhsa_group_segment_fixed_size 0
		.amdhsa_private_segment_fixed_size 0
		.amdhsa_kernarg_size 64
		.amdhsa_user_sgpr_count 2
		.amdhsa_user_sgpr_dispatch_ptr 0
		.amdhsa_user_sgpr_queue_ptr 0
		.amdhsa_user_sgpr_kernarg_segment_ptr 1
		.amdhsa_user_sgpr_dispatch_id 0
		.amdhsa_user_sgpr_kernarg_preload_length 0
		.amdhsa_user_sgpr_kernarg_preload_offset 0
		.amdhsa_user_sgpr_private_segment_size 0
		.amdhsa_wavefront_size32 1
		.amdhsa_uses_dynamic_stack 0
		.amdhsa_enable_private_segment 0
		.amdhsa_system_sgpr_workgroup_id_x 1
		.amdhsa_system_sgpr_workgroup_id_y 0
		.amdhsa_system_sgpr_workgroup_id_z 0
		.amdhsa_system_sgpr_workgroup_info 0
		.amdhsa_system_vgpr_workitem_id 0
		.amdhsa_next_free_vgpr 16
		.amdhsa_next_free_sgpr 31
		.amdhsa_named_barrier_count 0
		.amdhsa_reserve_vcc 1
		.amdhsa_float_round_mode_32 0
		.amdhsa_float_round_mode_16_64 0
		.amdhsa_float_denorm_mode_32 3
		.amdhsa_float_denorm_mode_16_64 3
		.amdhsa_fp16_overflow 0
		.amdhsa_memory_ordered 1
		.amdhsa_forward_progress 1
		.amdhsa_inst_pref_size 255
		.amdhsa_round_robin_scheduling 0
		.amdhsa_exception_fp_ieee_invalid_op 0
		.amdhsa_exception_fp_denorm_src 0
		.amdhsa_exception_fp_ieee_div_zero 0
		.amdhsa_exception_fp_ieee_overflow 0
		.amdhsa_exception_fp_ieee_underflow 0
		.amdhsa_exception_fp_ieee_inexact 0
		.amdhsa_exception_int_div_zero 0
	.end_amdhsa_kernel
	.section	.text._ZN2at6native32elementwise_kernel_manual_unrollILi128ELi4EZNS0_15gpu_kernel_implIZZZNS0_12_GLOBAL__N_119launch_clamp_scalarERNS_18TensorIteratorBaseEN3c106ScalarES7_NS0_6detail11ClampLimitsEENKUlvE_clEvENKUlvE4_clEvEUldE_EEvS5_RKT_EUlibE_EEviT1_,"axG",@progbits,_ZN2at6native32elementwise_kernel_manual_unrollILi128ELi4EZNS0_15gpu_kernel_implIZZZNS0_12_GLOBAL__N_119launch_clamp_scalarERNS_18TensorIteratorBaseEN3c106ScalarES7_NS0_6detail11ClampLimitsEENKUlvE_clEvENKUlvE4_clEvEUldE_EEvS5_RKT_EUlibE_EEviT1_,comdat
.Lfunc_end214:
	.size	_ZN2at6native32elementwise_kernel_manual_unrollILi128ELi4EZNS0_15gpu_kernel_implIZZZNS0_12_GLOBAL__N_119launch_clamp_scalarERNS_18TensorIteratorBaseEN3c106ScalarES7_NS0_6detail11ClampLimitsEENKUlvE_clEvENKUlvE4_clEvEUldE_EEvS5_RKT_EUlibE_EEviT1_, .Lfunc_end214-_ZN2at6native32elementwise_kernel_manual_unrollILi128ELi4EZNS0_15gpu_kernel_implIZZZNS0_12_GLOBAL__N_119launch_clamp_scalarERNS_18TensorIteratorBaseEN3c106ScalarES7_NS0_6detail11ClampLimitsEENKUlvE_clEvENKUlvE4_clEvEUldE_EEvS5_RKT_EUlibE_EEviT1_
                                        ; -- End function
	.set _ZN2at6native32elementwise_kernel_manual_unrollILi128ELi4EZNS0_15gpu_kernel_implIZZZNS0_12_GLOBAL__N_119launch_clamp_scalarERNS_18TensorIteratorBaseEN3c106ScalarES7_NS0_6detail11ClampLimitsEENKUlvE_clEvENKUlvE4_clEvEUldE_EEvS5_RKT_EUlibE_EEviT1_.num_vgpr, 16
	.set _ZN2at6native32elementwise_kernel_manual_unrollILi128ELi4EZNS0_15gpu_kernel_implIZZZNS0_12_GLOBAL__N_119launch_clamp_scalarERNS_18TensorIteratorBaseEN3c106ScalarES7_NS0_6detail11ClampLimitsEENKUlvE_clEvENKUlvE4_clEvEUldE_EEvS5_RKT_EUlibE_EEviT1_.num_agpr, 0
	.set _ZN2at6native32elementwise_kernel_manual_unrollILi128ELi4EZNS0_15gpu_kernel_implIZZZNS0_12_GLOBAL__N_119launch_clamp_scalarERNS_18TensorIteratorBaseEN3c106ScalarES7_NS0_6detail11ClampLimitsEENKUlvE_clEvENKUlvE4_clEvEUldE_EEvS5_RKT_EUlibE_EEviT1_.numbered_sgpr, 31
	.set _ZN2at6native32elementwise_kernel_manual_unrollILi128ELi4EZNS0_15gpu_kernel_implIZZZNS0_12_GLOBAL__N_119launch_clamp_scalarERNS_18TensorIteratorBaseEN3c106ScalarES7_NS0_6detail11ClampLimitsEENKUlvE_clEvENKUlvE4_clEvEUldE_EEvS5_RKT_EUlibE_EEviT1_.num_named_barrier, 0
	.set _ZN2at6native32elementwise_kernel_manual_unrollILi128ELi4EZNS0_15gpu_kernel_implIZZZNS0_12_GLOBAL__N_119launch_clamp_scalarERNS_18TensorIteratorBaseEN3c106ScalarES7_NS0_6detail11ClampLimitsEENKUlvE_clEvENKUlvE4_clEvEUldE_EEvS5_RKT_EUlibE_EEviT1_.private_seg_size, 0
	.set _ZN2at6native32elementwise_kernel_manual_unrollILi128ELi4EZNS0_15gpu_kernel_implIZZZNS0_12_GLOBAL__N_119launch_clamp_scalarERNS_18TensorIteratorBaseEN3c106ScalarES7_NS0_6detail11ClampLimitsEENKUlvE_clEvENKUlvE4_clEvEUldE_EEvS5_RKT_EUlibE_EEviT1_.uses_vcc, 1
	.set _ZN2at6native32elementwise_kernel_manual_unrollILi128ELi4EZNS0_15gpu_kernel_implIZZZNS0_12_GLOBAL__N_119launch_clamp_scalarERNS_18TensorIteratorBaseEN3c106ScalarES7_NS0_6detail11ClampLimitsEENKUlvE_clEvENKUlvE4_clEvEUldE_EEvS5_RKT_EUlibE_EEviT1_.uses_flat_scratch, 0
	.set _ZN2at6native32elementwise_kernel_manual_unrollILi128ELi4EZNS0_15gpu_kernel_implIZZZNS0_12_GLOBAL__N_119launch_clamp_scalarERNS_18TensorIteratorBaseEN3c106ScalarES7_NS0_6detail11ClampLimitsEENKUlvE_clEvENKUlvE4_clEvEUldE_EEvS5_RKT_EUlibE_EEviT1_.has_dyn_sized_stack, 0
	.set _ZN2at6native32elementwise_kernel_manual_unrollILi128ELi4EZNS0_15gpu_kernel_implIZZZNS0_12_GLOBAL__N_119launch_clamp_scalarERNS_18TensorIteratorBaseEN3c106ScalarES7_NS0_6detail11ClampLimitsEENKUlvE_clEvENKUlvE4_clEvEUldE_EEvS5_RKT_EUlibE_EEviT1_.has_recursion, 0
	.set _ZN2at6native32elementwise_kernel_manual_unrollILi128ELi4EZNS0_15gpu_kernel_implIZZZNS0_12_GLOBAL__N_119launch_clamp_scalarERNS_18TensorIteratorBaseEN3c106ScalarES7_NS0_6detail11ClampLimitsEENKUlvE_clEvENKUlvE4_clEvEUldE_EEvS5_RKT_EUlibE_EEviT1_.has_indirect_call, 0
	.section	.AMDGPU.csdata,"",@progbits
; Kernel info:
; codeLenInByte = 42948
; TotalNumSgprs: 33
; NumVgprs: 16
; ScratchSize: 0
; MemoryBound: 1
; FloatMode: 240
; IeeeMode: 1
; LDSByteSize: 0 bytes/workgroup (compile time only)
; SGPRBlocks: 0
; VGPRBlocks: 0
; NumSGPRsForWavesPerEU: 33
; NumVGPRsForWavesPerEU: 16
; NamedBarCnt: 0
; Occupancy: 16
; WaveLimiterHint : 0
; COMPUTE_PGM_RSRC2:SCRATCH_EN: 0
; COMPUTE_PGM_RSRC2:USER_SGPR: 2
; COMPUTE_PGM_RSRC2:TRAP_HANDLER: 0
; COMPUTE_PGM_RSRC2:TGID_X_EN: 1
; COMPUTE_PGM_RSRC2:TGID_Y_EN: 0
; COMPUTE_PGM_RSRC2:TGID_Z_EN: 0
; COMPUTE_PGM_RSRC2:TIDIG_COMP_CNT: 0
	.section	.text._ZN2at6native32elementwise_kernel_manual_unrollILi128ELi4EZNS0_15gpu_kernel_implIZZZNS0_12_GLOBAL__N_119launch_clamp_scalarERNS_18TensorIteratorBaseEN3c106ScalarES7_NS0_6detail11ClampLimitsEENKUlvE_clEvENKUlvE4_clEvEUldE_EEvS5_RKT_EUlibE0_EEviT1_,"axG",@progbits,_ZN2at6native32elementwise_kernel_manual_unrollILi128ELi4EZNS0_15gpu_kernel_implIZZZNS0_12_GLOBAL__N_119launch_clamp_scalarERNS_18TensorIteratorBaseEN3c106ScalarES7_NS0_6detail11ClampLimitsEENKUlvE_clEvENKUlvE4_clEvEUldE_EEvS5_RKT_EUlibE0_EEviT1_,comdat
	.globl	_ZN2at6native32elementwise_kernel_manual_unrollILi128ELi4EZNS0_15gpu_kernel_implIZZZNS0_12_GLOBAL__N_119launch_clamp_scalarERNS_18TensorIteratorBaseEN3c106ScalarES7_NS0_6detail11ClampLimitsEENKUlvE_clEvENKUlvE4_clEvEUldE_EEvS5_RKT_EUlibE0_EEviT1_ ; -- Begin function _ZN2at6native32elementwise_kernel_manual_unrollILi128ELi4EZNS0_15gpu_kernel_implIZZZNS0_12_GLOBAL__N_119launch_clamp_scalarERNS_18TensorIteratorBaseEN3c106ScalarES7_NS0_6detail11ClampLimitsEENKUlvE_clEvENKUlvE4_clEvEUldE_EEvS5_RKT_EUlibE0_EEviT1_
	.p2align	8
	.type	_ZN2at6native32elementwise_kernel_manual_unrollILi128ELi4EZNS0_15gpu_kernel_implIZZZNS0_12_GLOBAL__N_119launch_clamp_scalarERNS_18TensorIteratorBaseEN3c106ScalarES7_NS0_6detail11ClampLimitsEENKUlvE_clEvENKUlvE4_clEvEUldE_EEvS5_RKT_EUlibE0_EEviT1_,@function
_ZN2at6native32elementwise_kernel_manual_unrollILi128ELi4EZNS0_15gpu_kernel_implIZZZNS0_12_GLOBAL__N_119launch_clamp_scalarERNS_18TensorIteratorBaseEN3c106ScalarES7_NS0_6detail11ClampLimitsEENKUlvE_clEvENKUlvE4_clEvEUldE_EEvS5_RKT_EUlibE0_EEviT1_: ; @_ZN2at6native32elementwise_kernel_manual_unrollILi128ELi4EZNS0_15gpu_kernel_implIZZZNS0_12_GLOBAL__N_119launch_clamp_scalarERNS_18TensorIteratorBaseEN3c106ScalarES7_NS0_6detail11ClampLimitsEENKUlvE_clEvENKUlvE4_clEvEUldE_EEvS5_RKT_EUlibE0_EEviT1_
; %bb.0:
	s_clause 0x1
	s_load_b32 s33, s[0:1], 0x8
	s_load_b32 s41, s[0:1], 0x0
	s_bfe_u32 s2, ttmp6, 0x4000c
	s_and_b32 s3, ttmp6, 15
	s_add_co_i32 s2, s2, 1
	s_getreg_b32 s4, hwreg(HW_REG_IB_STS2, 6, 4)
	s_mul_i32 s2, ttmp9, s2
	s_mov_b32 s35, 0
	s_add_co_i32 s3, s3, s2
	s_cmp_eq_u32 s4, 0
	s_mov_b32 s27, -1
	s_cselect_b32 s2, ttmp9, s3
	s_mov_b32 s8, 0
	v_lshl_or_b32 v4, s2, 9, v0
	s_add_nc_u64 s[2:3], s[0:1], 8
	s_wait_xcnt 0x0
	s_mov_b32 s0, exec_lo
	s_delay_alu instid0(VALU_DEP_1) | instskip(SKIP_2) | instid1(SALU_CYCLE_1)
	v_or_b32_e32 v3, 0x180, v4
	s_wait_kmcnt 0x0
	s_add_co_i32 s34, s33, -1
	s_cmp_gt_u32 s34, 1
	s_cselect_b32 s36, -1, 0
	v_cmpx_le_i32_e64 s41, v3
	s_xor_b32 s37, exec_lo, s0
	s_cbranch_execz .LBB215_1149
; %bb.1:
	s_clause 0x6
	s_load_b128 s[12:15], s[2:3], 0x4
	s_load_b64 s[0:1], s[2:3], 0x14
	s_load_b32 s38, s[2:3], 0x170
	s_load_b128 s[16:19], s[2:3], 0xc4
	s_load_b128 s[4:7], s[2:3], 0x148
	s_load_b32 s39, s[2:3], 0x158
	s_load_b128 s[8:11], s[2:3], 0x160
	s_cmp_lg_u32 s33, 0
	s_mov_b32 s21, 0
	s_cselect_b32 s43, -1, 0
	s_min_u32 s42, s34, 15
	s_cmp_gt_u32 s33, 1
	s_add_nc_u64 s[24:25], s[2:3], 0xc4
	s_mov_b32 s23, s21
	s_mov_b32 s45, s21
	s_cselect_b32 s40, -1, 0
	s_mov_b32 s44, s21
	s_mov_b32 s46, exec_lo
	s_wait_kmcnt 0x0
	s_mov_b32 s20, s13
	s_mov_b32 s22, s0
	s_bfe_u32 s13, s38, 0x80008
	v_cmpx_gt_i32_e64 s41, v4
	s_cbranch_execz .LBB215_280
; %bb.2:
	s_and_not1_b32 vcc_lo, exec_lo, s36
	s_cbranch_vccnz .LBB215_8
; %bb.3:
	s_and_not1_b32 vcc_lo, exec_lo, s43
	s_cbranch_vccnz .LBB215_9
; %bb.4:
	s_add_co_i32 s0, s42, 1
	s_cmp_eq_u32 s34, 2
	s_cbranch_scc1 .LBB215_10
; %bb.5:
	v_dual_mov_b32 v2, 0 :: v_dual_mov_b32 v0, 0
	v_mov_b32_e32 v1, v4
	s_and_b32 s26, s0, 28
	s_mov_b32 s27, 0
	s_mov_b64 s[28:29], s[2:3]
	s_mov_b64 s[30:31], s[24:25]
.LBB215_6:                              ; =>This Inner Loop Header: Depth=1
	s_clause 0x1
	s_load_b256 s[48:55], s[28:29], 0x4
	s_load_b128 s[64:67], s[28:29], 0x24
	s_load_b256 s[56:63], s[30:31], 0x0
	s_add_co_i32 s27, s27, 4
	s_wait_xcnt 0x0
	s_add_nc_u64 s[28:29], s[28:29], 48
	s_cmp_lg_u32 s26, s27
	s_add_nc_u64 s[30:31], s[30:31], 32
	s_wait_kmcnt 0x0
	v_mul_hi_u32 v3, s49, v1
	s_delay_alu instid0(VALU_DEP_1) | instskip(NEXT) | instid1(VALU_DEP_1)
	v_add_nc_u32_e32 v3, v1, v3
	v_lshrrev_b32_e32 v3, s50, v3
	s_delay_alu instid0(VALU_DEP_1) | instskip(NEXT) | instid1(VALU_DEP_1)
	v_mul_hi_u32 v5, s52, v3
	v_add_nc_u32_e32 v5, v3, v5
	s_delay_alu instid0(VALU_DEP_1) | instskip(NEXT) | instid1(VALU_DEP_1)
	v_lshrrev_b32_e32 v5, s53, v5
	v_mul_hi_u32 v6, s55, v5
	s_delay_alu instid0(VALU_DEP_1) | instskip(SKIP_1) | instid1(VALU_DEP_1)
	v_add_nc_u32_e32 v6, v5, v6
	v_mul_lo_u32 v7, v3, s48
	v_sub_nc_u32_e32 v1, v1, v7
	v_mul_lo_u32 v7, v5, s51
	s_delay_alu instid0(VALU_DEP_4) | instskip(NEXT) | instid1(VALU_DEP_3)
	v_lshrrev_b32_e32 v6, s64, v6
	v_mad_u32 v0, v1, s57, v0
	v_mad_u32 v1, v1, s56, v2
	s_delay_alu instid0(VALU_DEP_4) | instskip(NEXT) | instid1(VALU_DEP_4)
	v_sub_nc_u32_e32 v2, v3, v7
	v_mul_hi_u32 v8, s66, v6
	v_mul_lo_u32 v3, v6, s54
	s_delay_alu instid0(VALU_DEP_3) | instskip(SKIP_1) | instid1(VALU_DEP_3)
	v_mad_u32 v0, v2, s59, v0
	v_mad_u32 v2, v2, s58, v1
	v_dual_add_nc_u32 v7, v6, v8 :: v_dual_sub_nc_u32 v3, v5, v3
	s_delay_alu instid0(VALU_DEP_1) | instskip(NEXT) | instid1(VALU_DEP_2)
	v_lshrrev_b32_e32 v1, s67, v7
	v_mad_u32 v0, v3, s61, v0
	s_delay_alu instid0(VALU_DEP_4) | instskip(NEXT) | instid1(VALU_DEP_3)
	v_mad_u32 v2, v3, s60, v2
	v_mul_lo_u32 v5, v1, s65
	s_delay_alu instid0(VALU_DEP_1) | instskip(NEXT) | instid1(VALU_DEP_1)
	v_sub_nc_u32_e32 v3, v6, v5
	v_mad_u32 v0, v3, s63, v0
	s_delay_alu instid0(VALU_DEP_4)
	v_mad_u32 v2, v3, s62, v2
	s_cbranch_scc1 .LBB215_6
; %bb.7:
	s_delay_alu instid0(VALU_DEP_2)
	v_mov_b32_e32 v3, v0
	s_and_b32 s0, s0, 3
	s_mov_b32 s27, 0
	s_cmp_eq_u32 s0, 0
	s_cbranch_scc0 .LBB215_11
	s_branch .LBB215_14
.LBB215_8:
                                        ; implicit-def: $vgpr0
                                        ; implicit-def: $vgpr2
	s_branch .LBB215_15
.LBB215_9:
	v_dual_mov_b32 v0, 0 :: v_dual_mov_b32 v2, 0
	s_branch .LBB215_14
.LBB215_10:
	v_mov_b64_e32 v[2:3], 0
	v_mov_b32_e32 v1, v4
	s_mov_b32 s26, 0
                                        ; implicit-def: $vgpr0
	s_and_b32 s0, s0, 3
	s_mov_b32 s27, 0
	s_cmp_eq_u32 s0, 0
	s_cbranch_scc1 .LBB215_14
.LBB215_11:
	s_lshl_b32 s28, s26, 3
	s_mov_b32 s29, s27
	s_mul_u64 s[30:31], s[26:27], 12
	s_add_nc_u64 s[28:29], s[2:3], s[28:29]
	s_delay_alu instid0(SALU_CYCLE_1)
	s_add_nc_u64 s[26:27], s[28:29], 0xc4
	s_add_nc_u64 s[28:29], s[2:3], s[30:31]
.LBB215_12:                             ; =>This Inner Loop Header: Depth=1
	s_load_b96 s[48:50], s[28:29], 0x4
	s_load_b64 s[30:31], s[26:27], 0x0
	s_add_co_i32 s0, s0, -1
	s_wait_xcnt 0x0
	s_add_nc_u64 s[28:29], s[28:29], 12
	s_cmp_lg_u32 s0, 0
	s_add_nc_u64 s[26:27], s[26:27], 8
	s_wait_kmcnt 0x0
	v_mul_hi_u32 v0, s49, v1
	s_delay_alu instid0(VALU_DEP_1) | instskip(NEXT) | instid1(VALU_DEP_1)
	v_add_nc_u32_e32 v0, v1, v0
	v_lshrrev_b32_e32 v0, s50, v0
	s_delay_alu instid0(VALU_DEP_1) | instskip(NEXT) | instid1(VALU_DEP_1)
	v_mul_lo_u32 v5, v0, s48
	v_sub_nc_u32_e32 v1, v1, v5
	s_delay_alu instid0(VALU_DEP_1)
	v_mad_u32 v3, v1, s31, v3
	v_mad_u32 v2, v1, s30, v2
	v_mov_b32_e32 v1, v0
	s_cbranch_scc1 .LBB215_12
; %bb.13:
	s_delay_alu instid0(VALU_DEP_3)
	v_mov_b32_e32 v0, v3
.LBB215_14:
	s_cbranch_execnz .LBB215_17
.LBB215_15:
	v_mov_b32_e32 v5, 0
	s_and_not1_b32 vcc_lo, exec_lo, s40
	s_delay_alu instid0(VALU_DEP_1) | instskip(NEXT) | instid1(VALU_DEP_1)
	v_mul_u64_e32 v[0:1], s[20:21], v[4:5]
	v_add_nc_u32_e32 v0, v4, v1
	s_delay_alu instid0(VALU_DEP_1) | instskip(NEXT) | instid1(VALU_DEP_1)
	v_lshrrev_b32_e32 v6, s14, v0
	v_mul_lo_u32 v0, v6, s12
	s_delay_alu instid0(VALU_DEP_1) | instskip(NEXT) | instid1(VALU_DEP_1)
	v_sub_nc_u32_e32 v1, v4, v0
	v_mul_lo_u32 v0, v1, s17
	v_mul_lo_u32 v2, v1, s16
	s_cbranch_vccnz .LBB215_17
; %bb.16:
	v_mov_b32_e32 v7, v5
	s_delay_alu instid0(VALU_DEP_1) | instskip(NEXT) | instid1(VALU_DEP_1)
	v_mul_u64_e32 v[8:9], s[22:23], v[6:7]
	v_add_nc_u32_e32 v1, v6, v9
	s_delay_alu instid0(VALU_DEP_1) | instskip(NEXT) | instid1(VALU_DEP_1)
	v_lshrrev_b32_e32 v1, s1, v1
	v_mul_lo_u32 v1, v1, s15
	s_delay_alu instid0(VALU_DEP_1) | instskip(NEXT) | instid1(VALU_DEP_1)
	v_sub_nc_u32_e32 v1, v6, v1
	v_mad_u32 v2, v1, s18, v2
	v_mad_u32 v0, v1, s19, v0
.LBB215_17:
	v_mov_b32_e32 v1, 0
	s_and_b32 s0, 0xffff, s13
	s_delay_alu instid0(SALU_CYCLE_1) | instskip(NEXT) | instid1(VALU_DEP_1)
	s_cmp_lt_i32 s0, 11
	v_add_nc_u64_e32 v[6:7], s[6:7], v[0:1]
	s_cbranch_scc1 .LBB215_24
; %bb.18:
	s_cmp_gt_i32 s0, 25
	s_cbranch_scc0 .LBB215_30
; %bb.19:
	s_cmp_gt_i32 s0, 28
	s_cbranch_scc0 .LBB215_31
	;; [unrolled: 3-line block ×4, first 2 shown]
; %bb.22:
	s_cmp_eq_u32 s0, 46
	s_mov_b32 s28, 0
	s_cbranch_scc0 .LBB215_55
; %bb.23:
	global_load_b32 v0, v[6:7], off
	s_mov_b32 s27, -1
	s_mov_b32 s26, 0
	s_wait_loadcnt 0x0
	v_lshlrev_b32_e32 v0, 16, v0
	s_delay_alu instid0(VALU_DEP_1)
	v_cvt_f64_f32_e32 v[0:1], v0
	s_branch .LBB215_57
.LBB215_24:
	s_mov_b32 s26, 0
	s_mov_b32 s27, 0
                                        ; implicit-def: $vgpr0_vgpr1
	s_cbranch_execnz .LBB215_230
.LBB215_25:
	s_and_not1_b32 vcc_lo, exec_lo, s27
	s_cbranch_vccnz .LBB215_277
.LBB215_26:
	s_mov_b32 s0, exec_lo
	s_wait_loadcnt 0x0
	s_delay_alu instid0(VALU_DEP_1)
	v_cmpx_o_f64_e32 v[0:1], v[0:1]
	s_cbranch_execz .LBB215_42
; %bb.27:
	s_cmp_lt_i32 s39, 1
	s_mov_b32 s27, 0
	s_cbranch_scc1 .LBB215_32
; %bb.28:
	s_cmp_eq_u32 s39, 1
	s_cbranch_scc0 .LBB215_36
; %bb.29:
	v_max_num_f64_e64 v[6:7], s[8:9], s[8:9]
	v_max_num_f64_e32 v[8:9], v[0:1], v[0:1]
	s_mov_b32 s28, 0
	s_delay_alu instid0(VALU_DEP_1)
	v_min_num_f64_e32 v[6:7], v[8:9], v[6:7]
	s_branch .LBB215_37
.LBB215_30:
	s_mov_b32 s26, 0
	s_mov_b32 s27, 0
                                        ; implicit-def: $vgpr0_vgpr1
	s_cbranch_execnz .LBB215_195
	s_branch .LBB215_229
.LBB215_31:
	s_mov_b32 s28, -1
	s_mov_b32 s26, 0
	s_mov_b32 s27, 0
                                        ; implicit-def: $vgpr0_vgpr1
	s_branch .LBB215_176
.LBB215_32:
	s_mov_b32 s28, 0
                                        ; implicit-def: $vgpr6_vgpr7
	s_cbranch_execnz .LBB215_38
.LBB215_33:
	s_and_not1_b32 vcc_lo, exec_lo, s28
	s_cbranch_vccnz .LBB215_39
.LBB215_34:
	v_max_num_f64_e64 v[6:7], s[8:9], s[8:9]
	v_max_num_f64_e32 v[8:9], v[0:1], v[0:1]
	s_delay_alu instid0(VALU_DEP_1) | instskip(SKIP_1) | instid1(VALU_DEP_1)
	v_max_num_f64_e32 v[6:7], v[8:9], v[6:7]
	v_max_num_f64_e64 v[8:9], s[10:11], s[10:11]
	v_min_num_f64_e32 v[6:7], v[6:7], v[8:9]
	s_cbranch_execz .LBB215_40
	s_branch .LBB215_41
.LBB215_35:
	s_mov_b32 s28, -1
	s_mov_b32 s26, 0
	s_mov_b32 s27, 0
                                        ; implicit-def: $vgpr0_vgpr1
	s_branch .LBB215_171
.LBB215_36:
	s_mov_b32 s28, -1
                                        ; implicit-def: $vgpr6_vgpr7
.LBB215_37:
	s_branch .LBB215_33
.LBB215_38:
	s_cmp_lg_u32 s39, 0
	s_mov_b32 s27, -1
	s_cselect_b32 s28, -1, 0
	s_delay_alu instid0(SALU_CYCLE_1)
	s_and_not1_b32 vcc_lo, exec_lo, s28
	s_cbranch_vccz .LBB215_34
.LBB215_39:
	s_and_not1_b32 vcc_lo, exec_lo, s27
	s_cbranch_vccnz .LBB215_41
.LBB215_40:
	v_max_num_f64_e64 v[6:7], s[8:9], s[8:9]
	v_max_num_f64_e32 v[0:1], v[0:1], v[0:1]
	s_delay_alu instid0(VALU_DEP_1)
	v_max_num_f64_e32 v[6:7], v[0:1], v[6:7]
.LBB215_41:
	s_delay_alu instid0(VALU_DEP_1)
	v_mov_b64_e32 v[0:1], v[6:7]
.LBB215_42:
	s_or_b32 exec_lo, exec_lo, s0
	v_mov_b32_e32 v3, 0
	s_and_b32 s27, s38, 0xff
	s_delay_alu instid0(SALU_CYCLE_1) | instskip(NEXT) | instid1(VALU_DEP_1)
	s_cmp_lt_i32 s27, 11
	v_add_nc_u64_e32 v[6:7], s[4:5], v[2:3]
	s_cbranch_scc1 .LBB215_49
; %bb.43:
	s_and_b32 s28, 0xffff, s27
	s_delay_alu instid0(SALU_CYCLE_1)
	s_cmp_gt_i32 s28, 25
	s_cbranch_scc0 .LBB215_51
; %bb.44:
	s_cmp_gt_i32 s28, 28
	s_cbranch_scc0 .LBB215_52
; %bb.45:
	;; [unrolled: 3-line block ×4, first 2 shown]
	s_mov_b32 s30, 0
	s_mov_b32 s0, -1
	s_cmp_eq_u32 s28, 46
	s_mov_b32 s29, 0
	s_cbranch_scc0 .LBB215_61
; %bb.48:
	v_cvt_f32_f64_e32 v2, v[0:1]
	s_mov_b32 s29, -1
	s_mov_b32 s0, 0
	s_delay_alu instid0(VALU_DEP_1) | instskip(SKIP_1) | instid1(VALU_DEP_2)
	v_bfe_u32 v3, v2, 16, 1
	v_cmp_o_f32_e32 vcc_lo, v2, v2
	v_add3_u32 v3, v2, v3, 0x7fff
	s_delay_alu instid0(VALU_DEP_1) | instskip(NEXT) | instid1(VALU_DEP_1)
	v_lshrrev_b32_e32 v3, 16, v3
	v_cndmask_b32_e32 v2, 0x7fc0, v3, vcc_lo
	global_store_b32 v[6:7], v2, off
	s_branch .LBB215_61
.LBB215_49:
	s_mov_b32 s0, 0
	s_mov_b32 s29, 0
	s_cbranch_execnz .LBB215_130
.LBB215_50:
	s_and_not1_b32 vcc_lo, exec_lo, s29
	s_cbranch_vccz .LBB215_168
	s_branch .LBB215_278
.LBB215_51:
	s_mov_b32 s30, -1
	s_mov_b32 s0, 0
	s_mov_b32 s29, 0
	s_branch .LBB215_88
.LBB215_52:
	s_mov_b32 s30, -1
	s_mov_b32 s0, 0
	s_mov_b32 s29, 0
	s_branch .LBB215_71
.LBB215_53:
	s_mov_b32 s28, -1
	s_mov_b32 s26, 0
	s_branch .LBB215_56
.LBB215_54:
	s_mov_b32 s30, -1
	s_mov_b32 s0, 0
	s_mov_b32 s29, 0
	s_branch .LBB215_67
.LBB215_55:
	s_mov_b32 s26, -1
.LBB215_56:
	s_mov_b32 s27, 0
                                        ; implicit-def: $vgpr0_vgpr1
.LBB215_57:
	s_and_b32 vcc_lo, exec_lo, s28
	s_cbranch_vccz .LBB215_170
; %bb.58:
	s_cmp_eq_u32 s0, 44
	s_cbranch_scc0 .LBB215_169
; %bb.59:
	global_load_u8 v3, v[6:7], off
	s_mov_b32 s26, 0
	s_mov_b32 s27, -1
	s_wait_loadcnt 0x0
	v_cmp_ne_u32_e32 vcc_lo, 0xff, v3
	v_lshlrev_b32_e32 v0, 23, v3
	s_delay_alu instid0(VALU_DEP_1) | instskip(NEXT) | instid1(VALU_DEP_1)
	v_cvt_f64_f32_e32 v[0:1], v0
	v_cndmask_b32_e32 v0, 0x20000000, v0, vcc_lo
	s_delay_alu instid0(VALU_DEP_2) | instskip(SKIP_1) | instid1(VALU_DEP_2)
	v_cndmask_b32_e32 v1, 0x7ff80000, v1, vcc_lo
	v_cmp_ne_u32_e32 vcc_lo, 0, v3
	v_cndmask_b32_e32 v1, 0x38000000, v1, vcc_lo
	s_delay_alu instid0(VALU_DEP_4)
	v_cndmask_b32_e32 v0, 0, v0, vcc_lo
	s_branch .LBB215_170
.LBB215_60:
	s_mov_b32 s30, -1
	s_mov_b32 s0, 0
	s_mov_b32 s29, 0
.LBB215_61:
	s_and_b32 vcc_lo, exec_lo, s30
	s_cbranch_vccz .LBB215_66
; %bb.62:
	s_cmp_eq_u32 s28, 44
	s_mov_b32 s0, -1
	s_cbranch_scc0 .LBB215_66
; %bb.63:
	s_wait_xcnt 0x0
	v_cvt_f32_f64_e32 v2, v[0:1]
	v_mov_b32_e32 v3, 0xff
	s_mov_b32 s29, exec_lo
	s_delay_alu instid0(VALU_DEP_2) | instskip(NEXT) | instid1(VALU_DEP_1)
	v_bfe_u32 v5, v2, 23, 8
	v_cmpx_ne_u32_e32 0xff, v5
	s_cbranch_execz .LBB215_65
; %bb.64:
	v_and_b32_e32 v3, 0x400000, v2
	v_and_or_b32 v5, 0x3fffff, v2, v5
	v_lshrrev_b32_e32 v2, 23, v2
	s_delay_alu instid0(VALU_DEP_3) | instskip(NEXT) | instid1(VALU_DEP_3)
	v_cmp_ne_u32_e32 vcc_lo, 0, v3
	v_cmp_ne_u32_e64 s0, 0, v5
	s_and_b32 s0, vcc_lo, s0
	s_delay_alu instid0(SALU_CYCLE_1) | instskip(NEXT) | instid1(VALU_DEP_1)
	v_cndmask_b32_e64 v3, 0, 1, s0
	v_add_nc_u32_e32 v3, v2, v3
.LBB215_65:
	s_or_b32 exec_lo, exec_lo, s29
	s_mov_b32 s29, -1
	s_mov_b32 s0, 0
	global_store_b8 v[6:7], v3, off
.LBB215_66:
	s_mov_b32 s30, 0
.LBB215_67:
	s_delay_alu instid0(SALU_CYCLE_1)
	s_and_b32 vcc_lo, exec_lo, s30
	s_cbranch_vccz .LBB215_70
; %bb.68:
	s_cmp_eq_u32 s28, 29
	s_mov_b32 s0, -1
	s_cbranch_scc0 .LBB215_70
; %bb.69:
	s_wait_xcnt 0x0
	v_trunc_f64_e32 v[2:3], v[0:1]
	s_mov_b32 s29, -1
	s_mov_b32 s0, 0
	s_mov_b32 s30, 0
	s_delay_alu instid0(VALU_DEP_1) | instskip(NEXT) | instid1(VALU_DEP_1)
	v_ldexp_f64 v[8:9], v[2:3], 0xffffffe0
	v_floor_f64_e32 v[8:9], v[8:9]
	s_delay_alu instid0(VALU_DEP_1) | instskip(SKIP_1) | instid1(VALU_DEP_2)
	v_fmamk_f64 v[2:3], v[8:9], 0xc1f00000, v[2:3]
	v_cvt_u32_f64_e32 v9, v[8:9]
	v_cvt_u32_f64_e32 v8, v[2:3]
	global_store_b64 v[6:7], v[8:9], off
	s_branch .LBB215_71
.LBB215_70:
	s_mov_b32 s30, 0
.LBB215_71:
	s_delay_alu instid0(SALU_CYCLE_1)
	s_and_b32 vcc_lo, exec_lo, s30
	s_cbranch_vccz .LBB215_87
; %bb.72:
	s_cmp_lt_i32 s28, 27
	s_mov_b32 s29, -1
	s_cbranch_scc1 .LBB215_78
; %bb.73:
	s_wait_xcnt 0x0
	v_cvt_u32_f64_e32 v2, v[0:1]
	s_cmp_gt_i32 s28, 27
	s_cbranch_scc0 .LBB215_75
; %bb.74:
	s_mov_b32 s29, 0
	global_store_b32 v[6:7], v2, off
.LBB215_75:
	s_and_not1_b32 vcc_lo, exec_lo, s29
	s_cbranch_vccnz .LBB215_77
; %bb.76:
	global_store_b16 v[6:7], v2, off
.LBB215_77:
	s_mov_b32 s29, 0
.LBB215_78:
	s_delay_alu instid0(SALU_CYCLE_1)
	s_and_not1_b32 vcc_lo, exec_lo, s29
	s_cbranch_vccnz .LBB215_86
; %bb.79:
	s_wait_xcnt 0x0
	v_cvt_f32_f64_e32 v2, v[0:1]
	v_mov_b32_e32 v5, 0x80
	s_mov_b32 s29, exec_lo
	s_delay_alu instid0(VALU_DEP_2) | instskip(NEXT) | instid1(VALU_DEP_1)
	v_and_b32_e32 v3, 0x7fffffff, v2
	v_cmpx_gt_u32_e32 0x43800000, v3
	s_cbranch_execz .LBB215_85
; %bb.80:
	v_cmp_lt_u32_e32 vcc_lo, 0x3bffffff, v3
	s_mov_b32 s30, 0
                                        ; implicit-def: $vgpr3
	s_and_saveexec_b32 s31, vcc_lo
	s_delay_alu instid0(SALU_CYCLE_1)
	s_xor_b32 s31, exec_lo, s31
	s_cbranch_execz .LBB215_337
; %bb.81:
	v_bfe_u32 v3, v2, 20, 1
	s_mov_b32 s30, exec_lo
	s_delay_alu instid0(VALU_DEP_1) | instskip(NEXT) | instid1(VALU_DEP_1)
	v_add3_u32 v3, v2, v3, 0x487ffff
	v_lshrrev_b32_e32 v3, 20, v3
	s_and_not1_saveexec_b32 s31, s31
	s_cbranch_execnz .LBB215_338
.LBB215_82:
	s_or_b32 exec_lo, exec_lo, s31
	v_mov_b32_e32 v5, 0
	s_and_saveexec_b32 s31, s30
.LBB215_83:
	v_lshrrev_b32_e32 v2, 24, v2
	s_delay_alu instid0(VALU_DEP_1)
	v_and_or_b32 v5, 0x80, v2, v3
.LBB215_84:
	s_or_b32 exec_lo, exec_lo, s31
.LBB215_85:
	s_delay_alu instid0(SALU_CYCLE_1)
	s_or_b32 exec_lo, exec_lo, s29
	global_store_b8 v[6:7], v5, off
.LBB215_86:
	s_mov_b32 s29, -1
.LBB215_87:
	s_mov_b32 s30, 0
.LBB215_88:
	s_delay_alu instid0(SALU_CYCLE_1)
	s_and_b32 vcc_lo, exec_lo, s30
	s_cbranch_vccz .LBB215_129
; %bb.89:
	s_cmp_gt_i32 s28, 22
	s_mov_b32 s30, -1
	s_cbranch_scc0 .LBB215_121
; %bb.90:
	s_cmp_lt_i32 s28, 24
	s_mov_b32 s29, -1
	s_cbranch_scc1 .LBB215_110
; %bb.91:
	s_cmp_gt_i32 s28, 24
	s_cbranch_scc0 .LBB215_99
; %bb.92:
	s_wait_xcnt 0x0
	v_cvt_f32_f64_e32 v2, v[0:1]
	v_mov_b32_e32 v5, 0x80
	s_mov_b32 s29, exec_lo
	s_delay_alu instid0(VALU_DEP_2) | instskip(NEXT) | instid1(VALU_DEP_1)
	v_and_b32_e32 v3, 0x7fffffff, v2
	v_cmpx_gt_u32_e32 0x47800000, v3
	s_cbranch_execz .LBB215_98
; %bb.93:
	v_cmp_lt_u32_e32 vcc_lo, 0x37ffffff, v3
	s_mov_b32 s30, 0
                                        ; implicit-def: $vgpr3
	s_and_saveexec_b32 s31, vcc_lo
	s_delay_alu instid0(SALU_CYCLE_1)
	s_xor_b32 s31, exec_lo, s31
	s_cbranch_execz .LBB215_341
; %bb.94:
	v_bfe_u32 v3, v2, 21, 1
	s_mov_b32 s30, exec_lo
	s_delay_alu instid0(VALU_DEP_1) | instskip(NEXT) | instid1(VALU_DEP_1)
	v_add3_u32 v3, v2, v3, 0x88fffff
	v_lshrrev_b32_e32 v3, 21, v3
	s_and_not1_saveexec_b32 s31, s31
	s_cbranch_execnz .LBB215_342
.LBB215_95:
	s_or_b32 exec_lo, exec_lo, s31
	v_mov_b32_e32 v5, 0
	s_and_saveexec_b32 s31, s30
.LBB215_96:
	v_lshrrev_b32_e32 v2, 24, v2
	s_delay_alu instid0(VALU_DEP_1)
	v_and_or_b32 v5, 0x80, v2, v3
.LBB215_97:
	s_or_b32 exec_lo, exec_lo, s31
.LBB215_98:
	s_delay_alu instid0(SALU_CYCLE_1)
	s_or_b32 exec_lo, exec_lo, s29
	s_mov_b32 s29, 0
	global_store_b8 v[6:7], v5, off
.LBB215_99:
	s_and_b32 vcc_lo, exec_lo, s29
	s_cbranch_vccz .LBB215_109
; %bb.100:
	s_wait_xcnt 0x0
	v_cvt_f32_f64_e32 v2, v[0:1]
	s_mov_b32 s29, exec_lo
                                        ; implicit-def: $vgpr3
	s_delay_alu instid0(VALU_DEP_1) | instskip(NEXT) | instid1(VALU_DEP_1)
	v_and_b32_e32 v5, 0x7fffffff, v2
	v_cmpx_gt_u32_e32 0x43f00000, v5
	s_xor_b32 s29, exec_lo, s29
	s_cbranch_execz .LBB215_106
; %bb.101:
	s_mov_b32 s30, exec_lo
                                        ; implicit-def: $vgpr3
	v_cmpx_lt_u32_e32 0x3c7fffff, v5
	s_xor_b32 s30, exec_lo, s30
; %bb.102:
	v_bfe_u32 v3, v2, 20, 1
	s_delay_alu instid0(VALU_DEP_1) | instskip(NEXT) | instid1(VALU_DEP_1)
	v_add3_u32 v3, v2, v3, 0x407ffff
	v_and_b32_e32 v5, 0xff00000, v3
	v_lshrrev_b32_e32 v3, 20, v3
	s_delay_alu instid0(VALU_DEP_2) | instskip(NEXT) | instid1(VALU_DEP_2)
	v_cmp_ne_u32_e32 vcc_lo, 0x7f00000, v5
	v_cndmask_b32_e32 v3, 0x7e, v3, vcc_lo
; %bb.103:
	s_and_not1_saveexec_b32 s30, s30
; %bb.104:
	v_add_f32_e64 v3, 0x46800000, |v2|
; %bb.105:
	s_or_b32 exec_lo, exec_lo, s30
                                        ; implicit-def: $vgpr5
.LBB215_106:
	s_and_not1_saveexec_b32 s29, s29
; %bb.107:
	v_mov_b32_e32 v3, 0x7f
	v_cmp_lt_u32_e32 vcc_lo, 0x7f800000, v5
	s_delay_alu instid0(VALU_DEP_2)
	v_cndmask_b32_e32 v3, 0x7e, v3, vcc_lo
; %bb.108:
	s_or_b32 exec_lo, exec_lo, s29
	v_lshrrev_b32_e32 v2, 24, v2
	s_delay_alu instid0(VALU_DEP_1)
	v_and_or_b32 v2, 0x80, v2, v3
	global_store_b8 v[6:7], v2, off
.LBB215_109:
	s_mov_b32 s29, 0
.LBB215_110:
	s_delay_alu instid0(SALU_CYCLE_1)
	s_and_not1_b32 vcc_lo, exec_lo, s29
	s_cbranch_vccnz .LBB215_120
; %bb.111:
	s_wait_xcnt 0x0
	v_cvt_f32_f64_e32 v2, v[0:1]
	s_mov_b32 s29, exec_lo
                                        ; implicit-def: $vgpr3
	s_delay_alu instid0(VALU_DEP_1) | instskip(NEXT) | instid1(VALU_DEP_1)
	v_and_b32_e32 v5, 0x7fffffff, v2
	v_cmpx_gt_u32_e32 0x47800000, v5
	s_xor_b32 s29, exec_lo, s29
	s_cbranch_execz .LBB215_117
; %bb.112:
	s_mov_b32 s30, exec_lo
                                        ; implicit-def: $vgpr3
	v_cmpx_lt_u32_e32 0x387fffff, v5
	s_xor_b32 s30, exec_lo, s30
; %bb.113:
	v_bfe_u32 v3, v2, 21, 1
	s_delay_alu instid0(VALU_DEP_1) | instskip(NEXT) | instid1(VALU_DEP_1)
	v_add3_u32 v3, v2, v3, 0x80fffff
	v_lshrrev_b32_e32 v3, 21, v3
; %bb.114:
	s_and_not1_saveexec_b32 s30, s30
; %bb.115:
	v_add_f32_e64 v3, 0x43000000, |v2|
; %bb.116:
	s_or_b32 exec_lo, exec_lo, s30
                                        ; implicit-def: $vgpr5
.LBB215_117:
	s_and_not1_saveexec_b32 s29, s29
; %bb.118:
	v_mov_b32_e32 v3, 0x7f
	v_cmp_lt_u32_e32 vcc_lo, 0x7f800000, v5
	s_delay_alu instid0(VALU_DEP_2)
	v_cndmask_b32_e32 v3, 0x7c, v3, vcc_lo
; %bb.119:
	s_or_b32 exec_lo, exec_lo, s29
	v_lshrrev_b32_e32 v2, 24, v2
	s_delay_alu instid0(VALU_DEP_1)
	v_and_or_b32 v2, 0x80, v2, v3
	global_store_b8 v[6:7], v2, off
.LBB215_120:
	s_mov_b32 s30, 0
	s_mov_b32 s29, -1
.LBB215_121:
	s_and_not1_b32 vcc_lo, exec_lo, s30
	s_cbranch_vccnz .LBB215_129
; %bb.122:
	s_cmp_gt_i32 s28, 14
	s_mov_b32 s30, -1
	s_cbranch_scc0 .LBB215_126
; %bb.123:
	s_cmp_eq_u32 s28, 15
	s_mov_b32 s0, -1
	s_cbranch_scc0 .LBB215_125
; %bb.124:
	s_wait_xcnt 0x0
	v_cvt_f32_f64_e32 v2, v[0:1]
	s_mov_b32 s29, -1
	s_mov_b32 s0, 0
	s_delay_alu instid0(VALU_DEP_1) | instskip(SKIP_1) | instid1(VALU_DEP_2)
	v_bfe_u32 v3, v2, 16, 1
	v_cmp_o_f32_e32 vcc_lo, v2, v2
	v_add3_u32 v3, v2, v3, 0x7fff
	s_delay_alu instid0(VALU_DEP_1) | instskip(NEXT) | instid1(VALU_DEP_1)
	v_lshrrev_b32_e32 v3, 16, v3
	v_cndmask_b32_e32 v2, 0x7fc0, v3, vcc_lo
	global_store_b16 v[6:7], v2, off
.LBB215_125:
	s_mov_b32 s30, 0
.LBB215_126:
	s_delay_alu instid0(SALU_CYCLE_1)
	s_and_b32 vcc_lo, exec_lo, s30
	s_cbranch_vccz .LBB215_129
; %bb.127:
	s_cmp_eq_u32 s28, 11
	s_mov_b32 s0, -1
	s_cbranch_scc0 .LBB215_129
; %bb.128:
	v_cmp_neq_f64_e32 vcc_lo, 0, v[0:1]
	s_mov_b32 s29, -1
	s_mov_b32 s0, 0
	s_wait_xcnt 0x0
	v_cndmask_b32_e64 v2, 0, 1, vcc_lo
	global_store_b8 v[6:7], v2, off
.LBB215_129:
	s_branch .LBB215_50
.LBB215_130:
	s_and_b32 s27, 0xffff, s27
	s_mov_b32 s28, -1
	s_cmp_lt_i32 s27, 5
	s_cbranch_scc1 .LBB215_151
; %bb.131:
	s_cmp_lt_i32 s27, 8
	s_cbranch_scc1 .LBB215_141
; %bb.132:
	;; [unrolled: 3-line block ×3, first 2 shown]
	s_cmp_gt_i32 s27, 9
	s_cbranch_scc0 .LBB215_135
; %bb.134:
	s_wait_xcnt 0x0
	v_mov_b32_e32 v2, 0
	s_mov_b32 s28, 0
	s_delay_alu instid0(VALU_DEP_1)
	v_mov_b32_e32 v3, v2
	global_store_b128 v[6:7], v[0:3], off
.LBB215_135:
	s_and_not1_b32 vcc_lo, exec_lo, s28
	s_cbranch_vccnz .LBB215_137
; %bb.136:
	s_wait_xcnt 0x0
	v_cvt_f32_f64_e32 v2, v[0:1]
	v_mov_b32_e32 v3, 0
	global_store_b64 v[6:7], v[2:3], off
.LBB215_137:
	s_mov_b32 s28, 0
.LBB215_138:
	s_delay_alu instid0(SALU_CYCLE_1)
	s_and_not1_b32 vcc_lo, exec_lo, s28
	s_cbranch_vccnz .LBB215_140
; %bb.139:
	s_wait_xcnt 0x0
	v_and_or_b32 v2, 0x1ff, v1, v0
	v_lshrrev_b32_e32 v3, 8, v1
	v_bfe_u32 v5, v1, 20, 11
	s_delay_alu instid0(VALU_DEP_3) | instskip(NEXT) | instid1(VALU_DEP_2)
	v_cmp_ne_u32_e32 vcc_lo, 0, v2
	v_sub_nc_u32_e32 v8, 0x3f1, v5
	v_add_nc_u32_e32 v5, 0xfffffc10, v5
	v_cndmask_b32_e64 v2, 0, 1, vcc_lo
	s_delay_alu instid0(VALU_DEP_1) | instskip(NEXT) | instid1(VALU_DEP_4)
	v_and_or_b32 v2, 0xffe, v3, v2
	v_med3_i32 v3, v8, 0, 13
	s_delay_alu instid0(VALU_DEP_2) | instskip(NEXT) | instid1(VALU_DEP_1)
	v_or_b32_e32 v8, 0x1000, v2
	v_lshrrev_b32_e32 v9, v3, v8
	s_delay_alu instid0(VALU_DEP_1) | instskip(NEXT) | instid1(VALU_DEP_1)
	v_lshlrev_b32_e32 v3, v3, v9
	v_cmp_ne_u32_e32 vcc_lo, v3, v8
	v_lshl_or_b32 v8, v5, 12, v2
	v_cndmask_b32_e64 v3, 0, 1, vcc_lo
	v_cmp_gt_i32_e32 vcc_lo, 1, v5
	s_delay_alu instid0(VALU_DEP_2) | instskip(NEXT) | instid1(VALU_DEP_1)
	v_or_b32_e32 v3, v9, v3
	v_cndmask_b32_e32 v3, v8, v3, vcc_lo
	s_delay_alu instid0(VALU_DEP_1) | instskip(NEXT) | instid1(VALU_DEP_1)
	v_dual_lshrrev_b32 v3, 2, v3 :: v_dual_bitop2_b32 v8, 7, v3 bitop3:0x40
	v_cmp_lt_i32_e32 vcc_lo, 5, v8
	v_cndmask_b32_e64 v9, 0, 1, vcc_lo
	v_cmp_eq_u32_e32 vcc_lo, 3, v8
	v_cndmask_b32_e64 v8, 0, 1, vcc_lo
	v_cmp_ne_u32_e32 vcc_lo, 0, v2
	s_delay_alu instid0(VALU_DEP_2) | instskip(SKIP_1) | instid1(VALU_DEP_1)
	v_or_b32_e32 v8, v8, v9
	v_mov_b32_e32 v9, 0x7e00
	v_dual_cndmask_b32 v2, 0x7c00, v9 :: v_dual_add_nc_u32 v3, v3, v8
	v_cmp_gt_i32_e32 vcc_lo, 31, v5
	s_delay_alu instid0(VALU_DEP_2) | instskip(SKIP_1) | instid1(VALU_DEP_2)
	v_dual_cndmask_b32 v3, 0x7c00, v3 :: v_dual_lshrrev_b32 v8, 16, v1
	v_cmp_eq_u32_e32 vcc_lo, 0x40f, v5
	v_cndmask_b32_e32 v2, v3, v2, vcc_lo
	s_delay_alu instid0(VALU_DEP_3) | instskip(NEXT) | instid1(VALU_DEP_1)
	v_and_b32_e32 v3, 0x8000, v8
	v_bitop3_b32 v2, v3, 0xffff, v2 bitop3:0xc8
	global_store_b32 v[6:7], v2, off
.LBB215_140:
	s_mov_b32 s28, 0
.LBB215_141:
	s_delay_alu instid0(SALU_CYCLE_1)
	s_and_not1_b32 vcc_lo, exec_lo, s28
	s_cbranch_vccnz .LBB215_150
; %bb.142:
	s_cmp_lt_i32 s27, 6
	s_mov_b32 s28, -1
	s_cbranch_scc1 .LBB215_148
; %bb.143:
	s_cmp_gt_i32 s27, 6
	s_cbranch_scc0 .LBB215_145
; %bb.144:
	s_mov_b32 s28, 0
	global_store_b64 v[6:7], v[0:1], off
.LBB215_145:
	s_and_not1_b32 vcc_lo, exec_lo, s28
	s_cbranch_vccnz .LBB215_147
; %bb.146:
	s_wait_xcnt 0x0
	v_cvt_f32_f64_e32 v2, v[0:1]
	global_store_b32 v[6:7], v2, off
.LBB215_147:
	s_mov_b32 s28, 0
.LBB215_148:
	s_delay_alu instid0(SALU_CYCLE_1)
	s_and_not1_b32 vcc_lo, exec_lo, s28
	s_cbranch_vccnz .LBB215_150
; %bb.149:
	s_wait_xcnt 0x0
	v_and_or_b32 v2, 0x1ff, v1, v0
	v_lshrrev_b32_e32 v3, 8, v1
	v_bfe_u32 v5, v1, 20, 11
	s_delay_alu instid0(VALU_DEP_3) | instskip(NEXT) | instid1(VALU_DEP_2)
	v_cmp_ne_u32_e32 vcc_lo, 0, v2
	v_sub_nc_u32_e32 v8, 0x3f1, v5
	v_add_nc_u32_e32 v5, 0xfffffc10, v5
	v_cndmask_b32_e64 v2, 0, 1, vcc_lo
	s_delay_alu instid0(VALU_DEP_1) | instskip(NEXT) | instid1(VALU_DEP_4)
	v_and_or_b32 v2, 0xffe, v3, v2
	v_med3_i32 v3, v8, 0, 13
	s_delay_alu instid0(VALU_DEP_2) | instskip(NEXT) | instid1(VALU_DEP_1)
	v_or_b32_e32 v8, 0x1000, v2
	v_lshrrev_b32_e32 v9, v3, v8
	s_delay_alu instid0(VALU_DEP_1) | instskip(NEXT) | instid1(VALU_DEP_1)
	v_lshlrev_b32_e32 v3, v3, v9
	v_cmp_ne_u32_e32 vcc_lo, v3, v8
	v_lshl_or_b32 v8, v5, 12, v2
	v_cndmask_b32_e64 v3, 0, 1, vcc_lo
	v_cmp_gt_i32_e32 vcc_lo, 1, v5
	s_delay_alu instid0(VALU_DEP_2) | instskip(NEXT) | instid1(VALU_DEP_1)
	v_or_b32_e32 v3, v9, v3
	v_cndmask_b32_e32 v3, v8, v3, vcc_lo
	s_delay_alu instid0(VALU_DEP_1) | instskip(NEXT) | instid1(VALU_DEP_1)
	v_dual_lshrrev_b32 v3, 2, v3 :: v_dual_bitop2_b32 v8, 7, v3 bitop3:0x40
	v_cmp_lt_i32_e32 vcc_lo, 5, v8
	v_cndmask_b32_e64 v9, 0, 1, vcc_lo
	v_cmp_eq_u32_e32 vcc_lo, 3, v8
	v_cndmask_b32_e64 v8, 0, 1, vcc_lo
	v_cmp_ne_u32_e32 vcc_lo, 0, v2
	s_delay_alu instid0(VALU_DEP_2) | instskip(SKIP_1) | instid1(VALU_DEP_1)
	v_or_b32_e32 v8, v8, v9
	v_mov_b32_e32 v9, 0x7e00
	v_dual_cndmask_b32 v2, 0x7c00, v9 :: v_dual_add_nc_u32 v3, v3, v8
	v_cmp_gt_i32_e32 vcc_lo, 31, v5
	s_delay_alu instid0(VALU_DEP_2) | instskip(SKIP_1) | instid1(VALU_DEP_2)
	v_cndmask_b32_e32 v3, 0x7c00, v3, vcc_lo
	v_cmp_eq_u32_e32 vcc_lo, 0x40f, v5
	v_dual_cndmask_b32 v2, v3, v2 :: v_dual_lshrrev_b32 v3, 16, v1
	s_delay_alu instid0(VALU_DEP_1)
	v_and_or_b32 v2, 0x8000, v3, v2
	global_store_b16 v[6:7], v2, off
.LBB215_150:
	s_mov_b32 s28, 0
.LBB215_151:
	s_delay_alu instid0(SALU_CYCLE_1)
	s_and_not1_b32 vcc_lo, exec_lo, s28
	s_cbranch_vccnz .LBB215_167
; %bb.152:
	s_cmp_lt_i32 s27, 2
	s_mov_b32 s28, -1
	s_cbranch_scc1 .LBB215_162
; %bb.153:
	s_cmp_lt_i32 s27, 3
	s_cbranch_scc1 .LBB215_159
; %bb.154:
	s_cmp_gt_i32 s27, 3
	s_cbranch_scc0 .LBB215_156
; %bb.155:
	s_wait_xcnt 0x0
	v_trunc_f64_e32 v[2:3], v[0:1]
	s_mov_b32 s28, 0
	s_delay_alu instid0(VALU_DEP_1) | instskip(NEXT) | instid1(VALU_DEP_1)
	v_ldexp_f64 v[8:9], v[2:3], 0xffffffe0
	v_floor_f64_e32 v[8:9], v[8:9]
	s_delay_alu instid0(VALU_DEP_1) | instskip(SKIP_1) | instid1(VALU_DEP_2)
	v_fmamk_f64 v[2:3], v[8:9], 0xc1f00000, v[2:3]
	v_cvt_i32_f64_e32 v9, v[8:9]
	v_cvt_u32_f64_e32 v8, v[2:3]
	global_store_b64 v[6:7], v[8:9], off
.LBB215_156:
	s_and_not1_b32 vcc_lo, exec_lo, s28
	s_cbranch_vccnz .LBB215_158
; %bb.157:
	s_wait_xcnt 0x0
	v_cvt_i32_f64_e32 v2, v[0:1]
	global_store_b32 v[6:7], v2, off
.LBB215_158:
	s_mov_b32 s28, 0
.LBB215_159:
	s_delay_alu instid0(SALU_CYCLE_1)
	s_and_not1_b32 vcc_lo, exec_lo, s28
	s_cbranch_vccnz .LBB215_161
; %bb.160:
	s_wait_xcnt 0x0
	v_cvt_i32_f64_e32 v2, v[0:1]
	global_store_b16 v[6:7], v2, off
.LBB215_161:
	s_mov_b32 s28, 0
.LBB215_162:
	s_delay_alu instid0(SALU_CYCLE_1)
	s_and_not1_b32 vcc_lo, exec_lo, s28
	s_cbranch_vccnz .LBB215_167
; %bb.163:
	s_cmp_gt_i32 s27, 0
	s_mov_b32 s27, -1
	s_cbranch_scc0 .LBB215_165
; %bb.164:
	s_wait_xcnt 0x0
	v_cvt_i32_f64_e32 v2, v[0:1]
	s_mov_b32 s27, 0
	global_store_b8 v[6:7], v2, off
.LBB215_165:
	s_and_not1_b32 vcc_lo, exec_lo, s27
	s_cbranch_vccnz .LBB215_167
; %bb.166:
	s_wait_xcnt 0x0
	v_trunc_f64_e32 v[0:1], v[0:1]
	s_delay_alu instid0(VALU_DEP_1) | instskip(NEXT) | instid1(VALU_DEP_1)
	v_ldexp_f64 v[2:3], v[0:1], 0xffffffe0
	v_floor_f64_e32 v[2:3], v[2:3]
	s_delay_alu instid0(VALU_DEP_1) | instskip(NEXT) | instid1(VALU_DEP_1)
	v_fmamk_f64 v[0:1], v[2:3], 0xc1f00000, v[0:1]
	v_cvt_u32_f64_e32 v0, v[0:1]
	global_store_b8 v[6:7], v0, off
.LBB215_167:
.LBB215_168:
	v_add_nc_u32_e32 v4, 0x80, v4
	s_mov_b32 s27, -1
	s_branch .LBB215_279
.LBB215_169:
	s_mov_b32 s26, -1
                                        ; implicit-def: $vgpr0_vgpr1
.LBB215_170:
	s_mov_b32 s28, 0
.LBB215_171:
	s_delay_alu instid0(SALU_CYCLE_1)
	s_and_b32 vcc_lo, exec_lo, s28
	s_cbranch_vccz .LBB215_175
; %bb.172:
	s_cmp_eq_u32 s0, 29
	s_cbranch_scc0 .LBB215_174
; %bb.173:
	global_load_b64 v[0:1], v[6:7], off
	s_mov_b32 s27, -1
	s_mov_b32 s26, 0
	s_mov_b32 s28, 0
	s_wait_loadcnt 0x0
	v_cvt_f64_u32_e32 v[8:9], v1
	v_cvt_f64_u32_e32 v[0:1], v0
	s_delay_alu instid0(VALU_DEP_2) | instskip(NEXT) | instid1(VALU_DEP_1)
	v_ldexp_f64 v[8:9], v[8:9], 32
	v_add_f64_e32 v[0:1], v[8:9], v[0:1]
	s_branch .LBB215_176
.LBB215_174:
	s_mov_b32 s26, -1
                                        ; implicit-def: $vgpr0_vgpr1
.LBB215_175:
	s_mov_b32 s28, 0
.LBB215_176:
	s_delay_alu instid0(SALU_CYCLE_1)
	s_and_b32 vcc_lo, exec_lo, s28
	s_cbranch_vccz .LBB215_194
; %bb.177:
	s_cmp_lt_i32 s0, 27
	s_cbranch_scc1 .LBB215_180
; %bb.178:
	s_cmp_gt_i32 s0, 27
	s_cbranch_scc0 .LBB215_181
; %bb.179:
	global_load_b32 v0, v[6:7], off
	s_mov_b32 s27, 0
	s_wait_loadcnt 0x0
	v_cvt_f64_u32_e32 v[0:1], v0
	s_branch .LBB215_182
.LBB215_180:
	s_mov_b32 s27, -1
                                        ; implicit-def: $vgpr0_vgpr1
	s_branch .LBB215_185
.LBB215_181:
	s_mov_b32 s27, -1
                                        ; implicit-def: $vgpr0_vgpr1
.LBB215_182:
	s_delay_alu instid0(SALU_CYCLE_1)
	s_and_not1_b32 vcc_lo, exec_lo, s27
	s_cbranch_vccnz .LBB215_184
; %bb.183:
	global_load_u16 v0, v[6:7], off
	s_wait_loadcnt 0x0
	v_cvt_f64_u32_e32 v[0:1], v0
.LBB215_184:
	s_mov_b32 s27, 0
.LBB215_185:
	s_delay_alu instid0(SALU_CYCLE_1)
	s_and_not1_b32 vcc_lo, exec_lo, s27
	s_cbranch_vccnz .LBB215_193
; %bb.186:
	global_load_u8 v3, v[6:7], off
	s_mov_b32 s27, 0
	s_mov_b32 s28, exec_lo
	s_wait_loadcnt 0x0
	v_cmpx_lt_i16_e32 0x7f, v3
	s_xor_b32 s28, exec_lo, s28
	s_cbranch_execz .LBB215_206
; %bb.187:
	s_mov_b32 s27, -1
	s_mov_b32 s29, exec_lo
	v_cmpx_eq_u16_e32 0x80, v3
; %bb.188:
	s_xor_b32 s27, exec_lo, -1
; %bb.189:
	s_or_b32 exec_lo, exec_lo, s29
	s_delay_alu instid0(SALU_CYCLE_1)
	s_and_b32 s27, s27, exec_lo
	s_or_saveexec_b32 s28, s28
	v_mov_b64_e32 v[0:1], 0x7ff8000020000000
	s_xor_b32 exec_lo, exec_lo, s28
	s_cbranch_execnz .LBB215_207
.LBB215_190:
	s_or_b32 exec_lo, exec_lo, s28
	s_and_saveexec_b32 s28, s27
	s_cbranch_execz .LBB215_192
.LBB215_191:
	v_and_b32_e32 v0, 0xffff, v3
	s_delay_alu instid0(VALU_DEP_1) | instskip(SKIP_1) | instid1(VALU_DEP_2)
	v_and_b32_e32 v1, 7, v0
	v_bfe_u32 v9, v0, 3, 4
	v_clz_i32_u32_e32 v5, v1
	s_delay_alu instid0(VALU_DEP_2) | instskip(NEXT) | instid1(VALU_DEP_2)
	v_cmp_eq_u32_e32 vcc_lo, 0, v9
	v_min_u32_e32 v5, 32, v5
	s_delay_alu instid0(VALU_DEP_1) | instskip(NEXT) | instid1(VALU_DEP_1)
	v_subrev_nc_u32_e32 v8, 28, v5
	v_dual_lshlrev_b32 v0, v8, v0 :: v_dual_sub_nc_u32 v5, 29, v5
	s_delay_alu instid0(VALU_DEP_1) | instskip(NEXT) | instid1(VALU_DEP_2)
	v_dual_lshlrev_b32 v3, 24, v3 :: v_dual_bitop2_b32 v0, 7, v0 bitop3:0x40
	v_cndmask_b32_e32 v5, v9, v5, vcc_lo
	s_delay_alu instid0(VALU_DEP_2) | instskip(NEXT) | instid1(VALU_DEP_3)
	v_cndmask_b32_e32 v0, v1, v0, vcc_lo
	v_and_b32_e32 v1, 0x80000000, v3
	s_delay_alu instid0(VALU_DEP_3) | instskip(NEXT) | instid1(VALU_DEP_3)
	v_lshl_add_u32 v3, v5, 23, 0x3b800000
	v_lshlrev_b32_e32 v0, 20, v0
	s_delay_alu instid0(VALU_DEP_1) | instskip(NEXT) | instid1(VALU_DEP_1)
	v_or3_b32 v0, v1, v3, v0
	v_cvt_f64_f32_e32 v[0:1], v0
.LBB215_192:
	s_or_b32 exec_lo, exec_lo, s28
.LBB215_193:
	s_mov_b32 s27, -1
.LBB215_194:
	s_branch .LBB215_229
.LBB215_195:
	s_cmp_gt_i32 s0, 22
	s_cbranch_scc0 .LBB215_205
; %bb.196:
	s_cmp_lt_i32 s0, 24
	s_cbranch_scc1 .LBB215_208
; %bb.197:
	s_cmp_gt_i32 s0, 24
	s_cbranch_scc0 .LBB215_209
; %bb.198:
	global_load_u8 v3, v[6:7], off
	s_mov_b32 s27, 0
	s_mov_b32 s28, exec_lo
	s_wait_loadcnt 0x0
	v_cmpx_lt_i16_e32 0x7f, v3
	s_xor_b32 s28, exec_lo, s28
	s_cbranch_execz .LBB215_221
; %bb.199:
	s_mov_b32 s27, -1
	s_mov_b32 s29, exec_lo
	v_cmpx_eq_u16_e32 0x80, v3
; %bb.200:
	s_xor_b32 s27, exec_lo, -1
; %bb.201:
	s_or_b32 exec_lo, exec_lo, s29
	s_delay_alu instid0(SALU_CYCLE_1)
	s_and_b32 s27, s27, exec_lo
	s_or_saveexec_b32 s28, s28
	v_mov_b64_e32 v[0:1], 0x7ff8000020000000
	s_xor_b32 exec_lo, exec_lo, s28
	s_cbranch_execnz .LBB215_222
.LBB215_202:
	s_or_b32 exec_lo, exec_lo, s28
	s_and_saveexec_b32 s28, s27
	s_cbranch_execz .LBB215_204
.LBB215_203:
	v_and_b32_e32 v0, 0xffff, v3
	s_delay_alu instid0(VALU_DEP_1) | instskip(SKIP_1) | instid1(VALU_DEP_2)
	v_and_b32_e32 v1, 3, v0
	v_bfe_u32 v9, v0, 2, 5
	v_clz_i32_u32_e32 v5, v1
	s_delay_alu instid0(VALU_DEP_2) | instskip(NEXT) | instid1(VALU_DEP_2)
	v_cmp_eq_u32_e32 vcc_lo, 0, v9
	v_min_u32_e32 v5, 32, v5
	s_delay_alu instid0(VALU_DEP_1) | instskip(NEXT) | instid1(VALU_DEP_1)
	v_subrev_nc_u32_e32 v8, 29, v5
	v_dual_lshlrev_b32 v0, v8, v0 :: v_dual_sub_nc_u32 v5, 30, v5
	s_delay_alu instid0(VALU_DEP_1) | instskip(NEXT) | instid1(VALU_DEP_2)
	v_dual_lshlrev_b32 v3, 24, v3 :: v_dual_bitop2_b32 v0, 3, v0 bitop3:0x40
	v_cndmask_b32_e32 v5, v9, v5, vcc_lo
	s_delay_alu instid0(VALU_DEP_2) | instskip(NEXT) | instid1(VALU_DEP_3)
	v_cndmask_b32_e32 v0, v1, v0, vcc_lo
	v_and_b32_e32 v1, 0x80000000, v3
	s_delay_alu instid0(VALU_DEP_3) | instskip(NEXT) | instid1(VALU_DEP_3)
	v_lshl_add_u32 v3, v5, 23, 0x37800000
	v_lshlrev_b32_e32 v0, 21, v0
	s_delay_alu instid0(VALU_DEP_1) | instskip(NEXT) | instid1(VALU_DEP_1)
	v_or3_b32 v0, v1, v3, v0
	v_cvt_f64_f32_e32 v[0:1], v0
.LBB215_204:
	s_or_b32 exec_lo, exec_lo, s28
	s_mov_b32 s27, 0
	s_branch .LBB215_210
.LBB215_205:
	s_mov_b32 s28, -1
                                        ; implicit-def: $vgpr0_vgpr1
	s_branch .LBB215_216
.LBB215_206:
	s_or_saveexec_b32 s28, s28
	v_mov_b64_e32 v[0:1], 0x7ff8000020000000
	s_xor_b32 exec_lo, exec_lo, s28
	s_cbranch_execz .LBB215_190
.LBB215_207:
	v_cmp_ne_u16_e32 vcc_lo, 0, v3
	v_mov_b64_e32 v[0:1], 0
	s_and_not1_b32 s27, s27, exec_lo
	s_and_b32 s29, vcc_lo, exec_lo
	s_delay_alu instid0(SALU_CYCLE_1)
	s_or_b32 s27, s27, s29
	s_or_b32 exec_lo, exec_lo, s28
	s_and_saveexec_b32 s28, s27
	s_cbranch_execnz .LBB215_191
	s_branch .LBB215_192
.LBB215_208:
	s_mov_b32 s27, -1
                                        ; implicit-def: $vgpr0_vgpr1
	s_branch .LBB215_213
.LBB215_209:
	s_mov_b32 s27, -1
                                        ; implicit-def: $vgpr0_vgpr1
.LBB215_210:
	s_delay_alu instid0(SALU_CYCLE_1)
	s_and_b32 vcc_lo, exec_lo, s27
	s_cbranch_vccz .LBB215_212
; %bb.211:
	global_load_u8 v0, v[6:7], off
	s_wait_loadcnt 0x0
	v_lshlrev_b32_e32 v0, 24, v0
	s_delay_alu instid0(VALU_DEP_1) | instskip(NEXT) | instid1(VALU_DEP_1)
	v_and_b32_e32 v1, 0x7f000000, v0
	v_clz_i32_u32_e32 v3, v1
	v_cmp_ne_u32_e32 vcc_lo, 0, v1
	v_add_nc_u32_e32 v8, 0x1000000, v1
	s_delay_alu instid0(VALU_DEP_3) | instskip(NEXT) | instid1(VALU_DEP_1)
	v_min_u32_e32 v3, 32, v3
	v_sub_nc_u32_e64 v3, v3, 4 clamp
	s_delay_alu instid0(VALU_DEP_1) | instskip(NEXT) | instid1(VALU_DEP_1)
	v_dual_lshlrev_b32 v5, v3, v1 :: v_dual_lshlrev_b32 v3, 23, v3
	v_lshrrev_b32_e32 v5, 4, v5
	s_delay_alu instid0(VALU_DEP_1) | instskip(NEXT) | instid1(VALU_DEP_1)
	v_dual_sub_nc_u32 v3, v5, v3 :: v_dual_ashrrev_i32 v5, 8, v8
	v_add_nc_u32_e32 v3, 0x3c000000, v3
	s_delay_alu instid0(VALU_DEP_1) | instskip(NEXT) | instid1(VALU_DEP_1)
	v_and_or_b32 v3, 0x7f800000, v5, v3
	v_cndmask_b32_e32 v1, 0, v3, vcc_lo
	s_delay_alu instid0(VALU_DEP_1) | instskip(NEXT) | instid1(VALU_DEP_1)
	v_and_or_b32 v0, 0x80000000, v0, v1
	v_cvt_f64_f32_e32 v[0:1], v0
.LBB215_212:
	s_mov_b32 s27, 0
.LBB215_213:
	s_delay_alu instid0(SALU_CYCLE_1)
	s_and_not1_b32 vcc_lo, exec_lo, s27
	s_cbranch_vccnz .LBB215_215
; %bb.214:
	global_load_u8 v0, v[6:7], off
	s_wait_loadcnt 0x0
	v_lshlrev_b32_e32 v1, 25, v0
	v_lshlrev_b16 v0, 8, v0
	s_delay_alu instid0(VALU_DEP_1) | instskip(SKIP_1) | instid1(VALU_DEP_2)
	v_and_or_b32 v5, 0x7f00, v0, 0.5
	v_bfe_i32 v0, v0, 0, 16
	v_add_f32_e32 v5, -0.5, v5
	v_lshrrev_b32_e32 v3, 4, v1
	v_cmp_gt_u32_e32 vcc_lo, 0x8000000, v1
	s_delay_alu instid0(VALU_DEP_2) | instskip(NEXT) | instid1(VALU_DEP_1)
	v_or_b32_e32 v3, 0x70000000, v3
	v_mul_f32_e32 v3, 0x7800000, v3
	s_delay_alu instid0(VALU_DEP_1) | instskip(NEXT) | instid1(VALU_DEP_1)
	v_cndmask_b32_e32 v1, v3, v5, vcc_lo
	v_and_or_b32 v0, 0x80000000, v0, v1
	s_delay_alu instid0(VALU_DEP_1)
	v_cvt_f64_f32_e32 v[0:1], v0
.LBB215_215:
	s_mov_b32 s28, 0
	s_mov_b32 s27, -1
.LBB215_216:
	s_and_not1_b32 vcc_lo, exec_lo, s28
	s_cbranch_vccnz .LBB215_229
; %bb.217:
	s_cmp_gt_i32 s0, 14
	s_cbranch_scc0 .LBB215_220
; %bb.218:
	s_cmp_eq_u32 s0, 15
	s_cbranch_scc0 .LBB215_223
; %bb.219:
	global_load_u16 v0, v[6:7], off
	s_mov_b32 s27, -1
	s_mov_b32 s26, 0
	s_wait_loadcnt 0x0
	v_lshlrev_b32_e32 v0, 16, v0
	s_delay_alu instid0(VALU_DEP_1)
	v_cvt_f64_f32_e32 v[0:1], v0
	s_branch .LBB215_224
.LBB215_220:
	s_mov_b32 s28, -1
                                        ; implicit-def: $vgpr0_vgpr1
	s_branch .LBB215_225
.LBB215_221:
	s_or_saveexec_b32 s28, s28
	v_mov_b64_e32 v[0:1], 0x7ff8000020000000
	s_xor_b32 exec_lo, exec_lo, s28
	s_cbranch_execz .LBB215_202
.LBB215_222:
	v_cmp_ne_u16_e32 vcc_lo, 0, v3
	v_mov_b64_e32 v[0:1], 0
	s_and_not1_b32 s27, s27, exec_lo
	s_and_b32 s29, vcc_lo, exec_lo
	s_delay_alu instid0(SALU_CYCLE_1)
	s_or_b32 s27, s27, s29
	s_or_b32 exec_lo, exec_lo, s28
	s_and_saveexec_b32 s28, s27
	s_cbranch_execnz .LBB215_203
	s_branch .LBB215_204
.LBB215_223:
	s_mov_b32 s26, -1
                                        ; implicit-def: $vgpr0_vgpr1
.LBB215_224:
	s_mov_b32 s28, 0
.LBB215_225:
	s_delay_alu instid0(SALU_CYCLE_1)
	s_and_b32 vcc_lo, exec_lo, s28
	s_cbranch_vccz .LBB215_229
; %bb.226:
	s_cmp_eq_u32 s0, 11
	s_cbranch_scc0 .LBB215_228
; %bb.227:
	global_load_u8 v0, v[6:7], off
	s_mov_b32 s26, 0
	s_mov_b32 s27, -1
	s_wait_loadcnt 0x0
	v_cmp_ne_u16_e32 vcc_lo, 0, v0
	v_mov_b32_e32 v0, 0
	v_cndmask_b32_e64 v1, 0, 0x3ff00000, vcc_lo
	s_branch .LBB215_229
.LBB215_228:
	s_mov_b32 s26, -1
                                        ; implicit-def: $vgpr0_vgpr1
.LBB215_229:
	s_branch .LBB215_25
.LBB215_230:
	s_cmp_lt_i32 s0, 5
	s_cbranch_scc1 .LBB215_235
; %bb.231:
	s_cmp_lt_i32 s0, 8
	s_cbranch_scc1 .LBB215_236
; %bb.232:
	;; [unrolled: 3-line block ×3, first 2 shown]
	s_cmp_gt_i32 s0, 9
	s_cbranch_scc0 .LBB215_238
; %bb.234:
	global_load_b64 v[0:1], v[6:7], off
	s_mov_b32 s27, 0
	s_branch .LBB215_239
.LBB215_235:
                                        ; implicit-def: $vgpr0_vgpr1
	s_branch .LBB215_257
.LBB215_236:
	s_mov_b32 s27, -1
                                        ; implicit-def: $vgpr0_vgpr1
	s_branch .LBB215_245
.LBB215_237:
	s_mov_b32 s27, -1
                                        ; implicit-def: $vgpr0_vgpr1
	s_branch .LBB215_242
.LBB215_238:
	s_mov_b32 s27, -1
                                        ; implicit-def: $vgpr0_vgpr1
.LBB215_239:
	s_delay_alu instid0(SALU_CYCLE_1)
	s_and_not1_b32 vcc_lo, exec_lo, s27
	s_cbranch_vccnz .LBB215_241
; %bb.240:
	s_wait_loadcnt 0x0
	global_load_b32 v0, v[6:7], off
	s_wait_loadcnt 0x0
	v_cvt_f64_f32_e32 v[0:1], v0
.LBB215_241:
	s_mov_b32 s27, 0
.LBB215_242:
	s_delay_alu instid0(SALU_CYCLE_1)
	s_and_not1_b32 vcc_lo, exec_lo, s27
	s_cbranch_vccnz .LBB215_244
; %bb.243:
	s_wait_loadcnt 0x0
	global_load_b32 v0, v[6:7], off
	s_wait_loadcnt 0x0
	v_cvt_f32_f16_e32 v0, v0
	s_delay_alu instid0(VALU_DEP_1)
	v_cvt_f64_f32_e32 v[0:1], v0
.LBB215_244:
	s_mov_b32 s27, 0
.LBB215_245:
	s_delay_alu instid0(SALU_CYCLE_1)
	s_and_not1_b32 vcc_lo, exec_lo, s27
	s_cbranch_vccnz .LBB215_256
; %bb.246:
	s_cmp_lt_i32 s0, 6
	s_cbranch_scc1 .LBB215_249
; %bb.247:
	s_cmp_gt_i32 s0, 6
	s_cbranch_scc0 .LBB215_250
; %bb.248:
	s_wait_loadcnt 0x0
	global_load_b64 v[0:1], v[6:7], off
	s_mov_b32 s27, 0
	s_branch .LBB215_251
.LBB215_249:
	s_mov_b32 s27, -1
                                        ; implicit-def: $vgpr0_vgpr1
	s_branch .LBB215_254
.LBB215_250:
	s_mov_b32 s27, -1
                                        ; implicit-def: $vgpr0_vgpr1
.LBB215_251:
	s_delay_alu instid0(SALU_CYCLE_1)
	s_and_not1_b32 vcc_lo, exec_lo, s27
	s_cbranch_vccnz .LBB215_253
; %bb.252:
	s_wait_loadcnt 0x0
	global_load_b32 v0, v[6:7], off
	s_wait_loadcnt 0x0
	v_cvt_f64_f32_e32 v[0:1], v0
.LBB215_253:
	s_mov_b32 s27, 0
.LBB215_254:
	s_delay_alu instid0(SALU_CYCLE_1)
	s_and_not1_b32 vcc_lo, exec_lo, s27
	s_cbranch_vccnz .LBB215_256
; %bb.255:
	s_wait_loadcnt 0x0
	global_load_u16 v0, v[6:7], off
	s_wait_loadcnt 0x0
	v_cvt_f32_f16_e32 v0, v0
	s_delay_alu instid0(VALU_DEP_1)
	v_cvt_f64_f32_e32 v[0:1], v0
.LBB215_256:
	s_cbranch_execnz .LBB215_276
.LBB215_257:
	s_cmp_lt_i32 s0, 2
	s_cbranch_scc1 .LBB215_261
; %bb.258:
	s_cmp_lt_i32 s0, 3
	s_cbranch_scc1 .LBB215_262
; %bb.259:
	s_cmp_gt_i32 s0, 3
	s_cbranch_scc0 .LBB215_263
; %bb.260:
	s_wait_loadcnt 0x0
	global_load_b64 v[0:1], v[6:7], off
	s_mov_b32 s27, 0
	s_wait_loadcnt 0x0
	v_cvt_f64_i32_e32 v[8:9], v1
	v_cvt_f64_u32_e32 v[0:1], v0
	s_delay_alu instid0(VALU_DEP_2) | instskip(NEXT) | instid1(VALU_DEP_1)
	v_ldexp_f64 v[8:9], v[8:9], 32
	v_add_f64_e32 v[0:1], v[8:9], v[0:1]
	s_branch .LBB215_264
.LBB215_261:
	s_mov_b32 s27, -1
                                        ; implicit-def: $vgpr0_vgpr1
	s_branch .LBB215_270
.LBB215_262:
	s_mov_b32 s27, -1
                                        ; implicit-def: $vgpr0_vgpr1
	s_branch .LBB215_267
.LBB215_263:
	s_mov_b32 s27, -1
                                        ; implicit-def: $vgpr0_vgpr1
.LBB215_264:
	s_delay_alu instid0(SALU_CYCLE_1)
	s_and_not1_b32 vcc_lo, exec_lo, s27
	s_cbranch_vccnz .LBB215_266
; %bb.265:
	s_wait_loadcnt 0x0
	global_load_b32 v0, v[6:7], off
	s_wait_loadcnt 0x0
	v_cvt_f64_i32_e32 v[0:1], v0
.LBB215_266:
	s_mov_b32 s27, 0
.LBB215_267:
	s_delay_alu instid0(SALU_CYCLE_1)
	s_and_not1_b32 vcc_lo, exec_lo, s27
	s_cbranch_vccnz .LBB215_269
; %bb.268:
	s_wait_loadcnt 0x0
	global_load_i16 v0, v[6:7], off
	s_wait_loadcnt 0x0
	v_cvt_f64_i32_e32 v[0:1], v0
.LBB215_269:
	s_mov_b32 s27, 0
.LBB215_270:
	s_delay_alu instid0(SALU_CYCLE_1)
	s_and_not1_b32 vcc_lo, exec_lo, s27
	s_cbranch_vccnz .LBB215_276
; %bb.271:
	s_cmp_gt_i32 s0, 0
	s_mov_b32 s0, 0
	s_cbranch_scc0 .LBB215_273
; %bb.272:
	s_wait_loadcnt 0x0
	global_load_i8 v0, v[6:7], off
	s_wait_loadcnt 0x0
	v_cvt_f64_i32_e32 v[0:1], v0
	s_branch .LBB215_274
.LBB215_273:
	s_mov_b32 s0, -1
                                        ; implicit-def: $vgpr0_vgpr1
.LBB215_274:
	s_delay_alu instid0(SALU_CYCLE_1)
	s_and_not1_b32 vcc_lo, exec_lo, s0
	s_cbranch_vccnz .LBB215_276
; %bb.275:
	s_wait_loadcnt 0x0
	global_load_u8 v0, v[6:7], off
	s_wait_loadcnt 0x0
	v_cvt_f64_u32_e32 v[0:1], v0
.LBB215_276:
	s_branch .LBB215_26
.LBB215_277:
	s_mov_b32 s0, 0
.LBB215_278:
	s_mov_b32 s27, 0
                                        ; implicit-def: $vgpr4
.LBB215_279:
	s_and_b32 s44, s0, exec_lo
	s_and_b32 s45, s26, exec_lo
	s_or_not1_b32 s27, s27, exec_lo
.LBB215_280:
	s_wait_xcnt 0x0
	s_or_b32 exec_lo, exec_lo, s46
	s_mov_b32 s26, 0
	s_mov_b32 s0, 0
                                        ; implicit-def: $vgpr6_vgpr7
                                        ; implicit-def: $vgpr2
                                        ; implicit-def: $vgpr0_vgpr1
	s_and_saveexec_b32 s46, s27
	s_cbranch_execz .LBB215_288
; %bb.281:
	s_mov_b32 s0, -1
	s_mov_b32 s47, s45
	s_mov_b32 s48, s44
	s_mov_b32 s49, exec_lo
	v_cmpx_gt_i32_e64 s41, v4
	s_cbranch_execz .LBB215_573
; %bb.282:
	s_and_not1_b32 vcc_lo, exec_lo, s36
	s_cbranch_vccnz .LBB215_291
; %bb.283:
	s_and_not1_b32 vcc_lo, exec_lo, s43
	s_cbranch_vccnz .LBB215_292
; %bb.284:
	s_add_co_i32 s0, s42, 1
	s_cmp_eq_u32 s34, 2
	s_cbranch_scc1 .LBB215_293
; %bb.285:
	s_wait_loadcnt 0x0
	v_dual_mov_b32 v2, 0 :: v_dual_mov_b32 v0, 0
	v_mov_b32_e32 v1, v4
	s_and_b32 s26, s0, 28
	s_mov_b32 s27, 0
	s_mov_b64 s[28:29], s[2:3]
	s_mov_b64 s[30:31], s[24:25]
.LBB215_286:                            ; =>This Inner Loop Header: Depth=1
	s_clause 0x1
	s_load_b256 s[52:59], s[28:29], 0x4
	s_load_b128 s[68:71], s[28:29], 0x24
	s_load_b256 s[60:67], s[30:31], 0x0
	s_add_co_i32 s27, s27, 4
	s_wait_xcnt 0x0
	s_add_nc_u64 s[28:29], s[28:29], 48
	s_cmp_eq_u32 s26, s27
	s_add_nc_u64 s[30:31], s[30:31], 32
	s_wait_kmcnt 0x0
	v_mul_hi_u32 v3, s53, v1
	s_delay_alu instid0(VALU_DEP_1) | instskip(NEXT) | instid1(VALU_DEP_1)
	v_add_nc_u32_e32 v3, v1, v3
	v_lshrrev_b32_e32 v3, s54, v3
	s_delay_alu instid0(VALU_DEP_1) | instskip(NEXT) | instid1(VALU_DEP_1)
	v_mul_hi_u32 v5, s56, v3
	v_add_nc_u32_e32 v5, v3, v5
	s_delay_alu instid0(VALU_DEP_1) | instskip(NEXT) | instid1(VALU_DEP_1)
	v_lshrrev_b32_e32 v5, s57, v5
	v_mul_hi_u32 v6, s59, v5
	s_delay_alu instid0(VALU_DEP_1) | instskip(SKIP_1) | instid1(VALU_DEP_1)
	v_add_nc_u32_e32 v6, v5, v6
	v_mul_lo_u32 v7, v3, s52
	v_sub_nc_u32_e32 v1, v1, v7
	v_mul_lo_u32 v7, v5, s55
	s_delay_alu instid0(VALU_DEP_4) | instskip(NEXT) | instid1(VALU_DEP_3)
	v_lshrrev_b32_e32 v6, s68, v6
	v_mad_u32 v0, v1, s61, v0
	v_mad_u32 v1, v1, s60, v2
	s_delay_alu instid0(VALU_DEP_4) | instskip(NEXT) | instid1(VALU_DEP_4)
	v_sub_nc_u32_e32 v2, v3, v7
	v_mul_hi_u32 v8, s70, v6
	v_mul_lo_u32 v3, v6, s58
	s_delay_alu instid0(VALU_DEP_3) | instskip(SKIP_1) | instid1(VALU_DEP_3)
	v_mad_u32 v0, v2, s63, v0
	v_mad_u32 v2, v2, s62, v1
	v_dual_add_nc_u32 v7, v6, v8 :: v_dual_sub_nc_u32 v3, v5, v3
	s_delay_alu instid0(VALU_DEP_1) | instskip(NEXT) | instid1(VALU_DEP_2)
	v_lshrrev_b32_e32 v1, s71, v7
	v_mad_u32 v0, v3, s65, v0
	s_delay_alu instid0(VALU_DEP_4) | instskip(NEXT) | instid1(VALU_DEP_3)
	v_mad_u32 v2, v3, s64, v2
	v_mul_lo_u32 v5, v1, s69
	s_delay_alu instid0(VALU_DEP_1) | instskip(NEXT) | instid1(VALU_DEP_1)
	v_sub_nc_u32_e32 v3, v6, v5
	v_mad_u32 v0, v3, s67, v0
	s_delay_alu instid0(VALU_DEP_4)
	v_mad_u32 v2, v3, s66, v2
	s_cbranch_scc0 .LBB215_286
; %bb.287:
	s_delay_alu instid0(VALU_DEP_2)
	v_mov_b32_e32 v3, v0
	s_branch .LBB215_294
.LBB215_288:
	s_or_b32 exec_lo, exec_lo, s46
	s_mov_b32 s1, 0
	s_and_saveexec_b32 s6, s45
	s_cbranch_execnz .LBB215_969
.LBB215_289:
	s_or_b32 exec_lo, exec_lo, s6
	s_and_saveexec_b32 s6, s21
	s_delay_alu instid0(SALU_CYCLE_1)
	s_xor_b32 s6, exec_lo, s6
	s_cbranch_execz .LBB215_970
.LBB215_290:
	s_wait_loadcnt 0x0
	global_load_u8 v0, v[6:7], off
	s_or_b32 s0, s0, exec_lo
	s_wait_loadcnt 0x0
	v_cmp_ne_u16_e32 vcc_lo, 0, v0
	v_mov_b32_e32 v0, 0
	v_cndmask_b32_e64 v1, 0, 0x3ff00000, vcc_lo
	s_wait_xcnt 0x0
	s_or_b32 exec_lo, exec_lo, s6
	s_and_saveexec_b32 s6, s26
	s_cbranch_execz .LBB215_1016
	s_branch .LBB215_971
.LBB215_291:
                                        ; implicit-def: $vgpr0
                                        ; implicit-def: $vgpr2
	s_and_not1_b32 vcc_lo, exec_lo, s0
	s_cbranch_vccnz .LBB215_301
	s_branch .LBB215_299
.LBB215_292:
	s_wait_loadcnt 0x0
	v_dual_mov_b32 v0, 0 :: v_dual_mov_b32 v2, 0
	s_branch .LBB215_298
.LBB215_293:
	v_mov_b64_e32 v[2:3], 0
	s_wait_loadcnt 0x0
	v_mov_b32_e32 v1, v4
                                        ; implicit-def: $vgpr0
.LBB215_294:
	s_and_b32 s0, s0, 3
	s_mov_b32 s27, 0
	s_cmp_eq_u32 s0, 0
	s_cbranch_scc1 .LBB215_298
; %bb.295:
	s_lshl_b32 s28, s26, 3
	s_mov_b32 s29, s27
	s_mul_u64 s[30:31], s[26:27], 12
	s_add_nc_u64 s[28:29], s[2:3], s[28:29]
	s_delay_alu instid0(SALU_CYCLE_1)
	s_add_nc_u64 s[26:27], s[28:29], 0xc4
	s_add_nc_u64 s[28:29], s[2:3], s[30:31]
.LBB215_296:                            ; =>This Inner Loop Header: Depth=1
	s_load_b96 s[52:54], s[28:29], 0x4
	s_load_b64 s[30:31], s[26:27], 0x0
	s_add_co_i32 s0, s0, -1
	s_wait_xcnt 0x0
	s_add_nc_u64 s[28:29], s[28:29], 12
	s_cmp_lg_u32 s0, 0
	s_add_nc_u64 s[26:27], s[26:27], 8
	s_wait_kmcnt 0x0
	v_mul_hi_u32 v0, s53, v1
	s_delay_alu instid0(VALU_DEP_1) | instskip(NEXT) | instid1(VALU_DEP_1)
	v_add_nc_u32_e32 v0, v1, v0
	v_lshrrev_b32_e32 v0, s54, v0
	s_delay_alu instid0(VALU_DEP_1) | instskip(NEXT) | instid1(VALU_DEP_1)
	v_mul_lo_u32 v5, v0, s52
	v_sub_nc_u32_e32 v1, v1, v5
	s_delay_alu instid0(VALU_DEP_1)
	v_mad_u32 v3, v1, s31, v3
	v_mad_u32 v2, v1, s30, v2
	v_mov_b32_e32 v1, v0
	s_cbranch_scc1 .LBB215_296
; %bb.297:
	s_delay_alu instid0(VALU_DEP_3)
	v_mov_b32_e32 v0, v3
.LBB215_298:
	s_cbranch_execnz .LBB215_301
.LBB215_299:
	v_mov_b32_e32 v5, 0
	s_and_not1_b32 vcc_lo, exec_lo, s40
	s_wait_loadcnt 0x0
	s_delay_alu instid0(VALU_DEP_1) | instskip(NEXT) | instid1(VALU_DEP_1)
	v_mul_u64_e32 v[0:1], s[20:21], v[4:5]
	v_add_nc_u32_e32 v0, v4, v1
	s_delay_alu instid0(VALU_DEP_1) | instskip(NEXT) | instid1(VALU_DEP_1)
	v_lshrrev_b32_e32 v6, s14, v0
	v_mul_lo_u32 v0, v6, s12
	s_delay_alu instid0(VALU_DEP_1) | instskip(NEXT) | instid1(VALU_DEP_1)
	v_sub_nc_u32_e32 v1, v4, v0
	v_mul_lo_u32 v0, v1, s17
	v_mul_lo_u32 v2, v1, s16
	s_cbranch_vccnz .LBB215_301
; %bb.300:
	v_mov_b32_e32 v7, v5
	s_delay_alu instid0(VALU_DEP_1) | instskip(NEXT) | instid1(VALU_DEP_1)
	v_mul_u64_e32 v[8:9], s[22:23], v[6:7]
	v_add_nc_u32_e32 v1, v6, v9
	s_delay_alu instid0(VALU_DEP_1) | instskip(NEXT) | instid1(VALU_DEP_1)
	v_lshrrev_b32_e32 v1, s1, v1
	v_mul_lo_u32 v1, v1, s15
	s_delay_alu instid0(VALU_DEP_1) | instskip(NEXT) | instid1(VALU_DEP_1)
	v_sub_nc_u32_e32 v1, v6, v1
	v_mad_u32 v2, v1, s18, v2
	v_mad_u32 v0, v1, s19, v0
.LBB215_301:
	s_wait_loadcnt 0x0
	v_mov_b32_e32 v1, 0
	s_and_b32 s0, 0xffff, s13
	s_delay_alu instid0(SALU_CYCLE_1) | instskip(NEXT) | instid1(VALU_DEP_1)
	s_cmp_lt_i32 s0, 11
	v_add_nc_u64_e32 v[6:7], s[6:7], v[0:1]
	s_cbranch_scc1 .LBB215_308
; %bb.302:
	s_cmp_gt_i32 s0, 25
	s_cbranch_scc0 .LBB215_314
; %bb.303:
	s_cmp_gt_i32 s0, 28
	s_cbranch_scc0 .LBB215_315
	;; [unrolled: 3-line block ×4, first 2 shown]
; %bb.306:
	s_cmp_eq_u32 s0, 46
	s_mov_b32 s28, 0
	s_cbranch_scc0 .LBB215_343
; %bb.307:
	global_load_b32 v0, v[6:7], off
	s_mov_b32 s27, -1
	s_mov_b32 s26, 0
	s_wait_loadcnt 0x0
	v_lshlrev_b32_e32 v0, 16, v0
	s_delay_alu instid0(VALU_DEP_1)
	v_cvt_f64_f32_e32 v[0:1], v0
	s_branch .LBB215_345
.LBB215_308:
	s_mov_b32 s27, 0
	s_mov_b32 s26, s45
                                        ; implicit-def: $vgpr0_vgpr1
	s_cbranch_execnz .LBB215_522
.LBB215_309:
	s_and_not1_b32 vcc_lo, exec_lo, s27
	s_cbranch_vccnz .LBB215_570
.LBB215_310:
	s_mov_b32 s0, exec_lo
	s_wait_loadcnt 0x0
	s_delay_alu instid0(VALU_DEP_1)
	v_cmpx_o_f64_e32 v[0:1], v[0:1]
	s_cbranch_execz .LBB215_325
; %bb.311:
	s_cmp_lt_i32 s39, 1
	s_mov_b32 s27, 0
	s_cbranch_scc1 .LBB215_316
; %bb.312:
	s_cmp_eq_u32 s39, 1
	s_cbranch_scc0 .LBB215_318
; %bb.313:
	v_max_num_f64_e64 v[6:7], s[8:9], s[8:9]
	v_max_num_f64_e32 v[8:9], v[0:1], v[0:1]
	s_mov_b32 s28, 0
	s_delay_alu instid0(VALU_DEP_1)
	v_min_num_f64_e32 v[6:7], v[8:9], v[6:7]
	s_branch .LBB215_319
.LBB215_314:
	s_mov_b32 s28, -1
	s_mov_b32 s27, 0
	s_mov_b32 s26, s45
                                        ; implicit-def: $vgpr0_vgpr1
	s_branch .LBB215_486
.LBB215_315:
	s_mov_b32 s28, -1
	s_mov_b32 s27, 0
	s_mov_b32 s26, s45
                                        ; implicit-def: $vgpr0_vgpr1
	s_branch .LBB215_467
.LBB215_316:
	s_mov_b32 s29, -1
	s_mov_b32 s28, 0
                                        ; implicit-def: $vgpr6_vgpr7
	s_branch .LBB215_320
.LBB215_317:
	s_mov_b32 s28, -1
	s_mov_b32 s27, 0
	s_mov_b32 s26, s45
                                        ; implicit-def: $vgpr0_vgpr1
	s_branch .LBB215_462
.LBB215_318:
	s_mov_b32 s28, -1
                                        ; implicit-def: $vgpr6_vgpr7
.LBB215_319:
	s_mov_b32 s29, 0
.LBB215_320:
	s_delay_alu instid0(SALU_CYCLE_1)
	s_and_b32 vcc_lo, exec_lo, s29
	s_cbranch_vccz .LBB215_332
; %bb.321:
	s_cmp_lg_u32 s39, 0
	s_mov_b32 s27, -1
	s_cselect_b32 s28, -1, 0
	s_delay_alu instid0(SALU_CYCLE_1)
	s_and_not1_b32 vcc_lo, exec_lo, s28
	s_cbranch_vccz .LBB215_333
.LBB215_322:
	s_and_not1_b32 vcc_lo, exec_lo, s27
	s_cbranch_vccnz .LBB215_324
.LBB215_323:
	v_max_num_f64_e64 v[6:7], s[8:9], s[8:9]
	v_max_num_f64_e32 v[0:1], v[0:1], v[0:1]
	s_delay_alu instid0(VALU_DEP_1)
	v_max_num_f64_e32 v[6:7], v[0:1], v[6:7]
.LBB215_324:
	s_delay_alu instid0(VALU_DEP_1)
	v_mov_b64_e32 v[0:1], v[6:7]
.LBB215_325:
	s_or_b32 exec_lo, exec_lo, s0
	v_mov_b32_e32 v3, 0
	s_and_b32 s27, s38, 0xff
	s_delay_alu instid0(SALU_CYCLE_1) | instskip(NEXT) | instid1(VALU_DEP_1)
	s_cmp_lt_i32 s27, 11
	v_add_nc_u64_e32 v[6:7], s[4:5], v[2:3]
	s_cbranch_scc1 .LBB215_334
; %bb.326:
	s_and_b32 s28, 0xffff, s27
	s_delay_alu instid0(SALU_CYCLE_1)
	s_cmp_gt_i32 s28, 25
	s_cbranch_scc0 .LBB215_335
; %bb.327:
	s_cmp_gt_i32 s28, 28
	s_cbranch_scc0 .LBB215_336
; %bb.328:
	;; [unrolled: 3-line block ×4, first 2 shown]
	s_mov_b32 s30, 0
	s_mov_b32 s0, -1
	s_cmp_eq_u32 s28, 46
	s_mov_b32 s29, 0
	s_cbranch_scc0 .LBB215_349
; %bb.331:
	v_cvt_f32_f64_e32 v2, v[0:1]
	s_mov_b32 s29, -1
	s_mov_b32 s0, 0
	s_delay_alu instid0(VALU_DEP_1) | instskip(SKIP_1) | instid1(VALU_DEP_2)
	v_bfe_u32 v3, v2, 16, 1
	v_cmp_o_f32_e32 vcc_lo, v2, v2
	v_add3_u32 v3, v2, v3, 0x7fff
	s_delay_alu instid0(VALU_DEP_1) | instskip(NEXT) | instid1(VALU_DEP_1)
	v_lshrrev_b32_e32 v3, 16, v3
	v_cndmask_b32_e32 v2, 0x7fc0, v3, vcc_lo
	global_store_b32 v[6:7], v2, off
	s_branch .LBB215_349
.LBB215_332:
	s_and_not1_b32 vcc_lo, exec_lo, s28
	s_cbranch_vccnz .LBB215_322
.LBB215_333:
	v_max_num_f64_e64 v[6:7], s[8:9], s[8:9]
	v_max_num_f64_e32 v[8:9], v[0:1], v[0:1]
	s_delay_alu instid0(VALU_DEP_1) | instskip(SKIP_1) | instid1(VALU_DEP_1)
	v_max_num_f64_e32 v[6:7], v[8:9], v[6:7]
	v_max_num_f64_e64 v[8:9], s[10:11], s[10:11]
	v_min_num_f64_e32 v[6:7], v[6:7], v[8:9]
	s_cbranch_execz .LBB215_323
	s_branch .LBB215_324
.LBB215_334:
	s_mov_b32 s28, -1
	s_mov_b32 s29, 0
	s_mov_b32 s0, s44
	s_branch .LBB215_418
.LBB215_335:
	s_mov_b32 s30, -1
	s_mov_b32 s29, 0
	s_mov_b32 s0, s44
	s_branch .LBB215_376
.LBB215_336:
	s_mov_b32 s30, -1
	s_mov_b32 s29, 0
	s_mov_b32 s0, s44
	s_branch .LBB215_359
.LBB215_337:
	s_and_not1_saveexec_b32 s31, s31
	s_cbranch_execz .LBB215_82
.LBB215_338:
	v_add_f32_e64 v3, 0x46000000, |v2|
	s_and_not1_b32 s30, s30, exec_lo
	s_delay_alu instid0(VALU_DEP_1) | instskip(NEXT) | instid1(VALU_DEP_1)
	v_and_b32_e32 v3, 0xff, v3
	v_cmp_ne_u32_e32 vcc_lo, 0, v3
	s_and_b32 s44, vcc_lo, exec_lo
	s_delay_alu instid0(SALU_CYCLE_1)
	s_or_b32 s30, s30, s44
	s_or_b32 exec_lo, exec_lo, s31
	v_mov_b32_e32 v5, 0
	s_and_saveexec_b32 s31, s30
	s_cbranch_execnz .LBB215_83
	s_branch .LBB215_84
.LBB215_339:
	s_mov_b32 s28, -1
	s_mov_b32 s27, 0
	s_mov_b32 s26, s45
	s_branch .LBB215_344
.LBB215_340:
	s_mov_b32 s30, -1
	s_mov_b32 s29, 0
	s_mov_b32 s0, s44
	s_branch .LBB215_355
.LBB215_341:
	s_and_not1_saveexec_b32 s31, s31
	s_cbranch_execz .LBB215_95
.LBB215_342:
	v_add_f32_e64 v3, 0x42800000, |v2|
	s_and_not1_b32 s30, s30, exec_lo
	s_delay_alu instid0(VALU_DEP_1) | instskip(NEXT) | instid1(VALU_DEP_1)
	v_and_b32_e32 v3, 0xff, v3
	v_cmp_ne_u32_e32 vcc_lo, 0, v3
	s_and_b32 s44, vcc_lo, exec_lo
	s_delay_alu instid0(SALU_CYCLE_1)
	s_or_b32 s30, s30, s44
	s_or_b32 exec_lo, exec_lo, s31
	v_mov_b32_e32 v5, 0
	s_and_saveexec_b32 s31, s30
	s_cbranch_execnz .LBB215_96
	s_branch .LBB215_97
.LBB215_343:
	s_mov_b32 s26, -1
	s_mov_b32 s27, 0
.LBB215_344:
                                        ; implicit-def: $vgpr0_vgpr1
.LBB215_345:
	s_and_b32 vcc_lo, exec_lo, s28
	s_cbranch_vccz .LBB215_461
; %bb.346:
	s_cmp_eq_u32 s0, 44
	s_cbranch_scc0 .LBB215_460
; %bb.347:
	global_load_u8 v3, v[6:7], off
	s_mov_b32 s26, 0
	s_mov_b32 s27, -1
	s_wait_loadcnt 0x0
	v_cmp_ne_u32_e32 vcc_lo, 0xff, v3
	v_lshlrev_b32_e32 v0, 23, v3
	s_delay_alu instid0(VALU_DEP_1) | instskip(NEXT) | instid1(VALU_DEP_1)
	v_cvt_f64_f32_e32 v[0:1], v0
	v_cndmask_b32_e32 v0, 0x20000000, v0, vcc_lo
	s_delay_alu instid0(VALU_DEP_2) | instskip(SKIP_1) | instid1(VALU_DEP_2)
	v_cndmask_b32_e32 v1, 0x7ff80000, v1, vcc_lo
	v_cmp_ne_u32_e32 vcc_lo, 0, v3
	v_cndmask_b32_e32 v1, 0x38000000, v1, vcc_lo
	s_delay_alu instid0(VALU_DEP_4)
	v_cndmask_b32_e32 v0, 0, v0, vcc_lo
	s_branch .LBB215_461
.LBB215_348:
	s_mov_b32 s30, -1
	s_mov_b32 s29, 0
	s_mov_b32 s0, s44
.LBB215_349:
	s_and_b32 vcc_lo, exec_lo, s30
	s_cbranch_vccz .LBB215_354
; %bb.350:
	s_cmp_eq_u32 s28, 44
	s_mov_b32 s0, -1
	s_cbranch_scc0 .LBB215_354
; %bb.351:
	s_wait_xcnt 0x0
	v_cvt_f32_f64_e32 v2, v[0:1]
	v_mov_b32_e32 v3, 0xff
	s_mov_b32 s29, exec_lo
	s_delay_alu instid0(VALU_DEP_2) | instskip(NEXT) | instid1(VALU_DEP_1)
	v_bfe_u32 v5, v2, 23, 8
	v_cmpx_ne_u32_e32 0xff, v5
	s_cbranch_execz .LBB215_353
; %bb.352:
	v_and_b32_e32 v3, 0x400000, v2
	v_and_or_b32 v5, 0x3fffff, v2, v5
	v_lshrrev_b32_e32 v2, 23, v2
	s_delay_alu instid0(VALU_DEP_3) | instskip(NEXT) | instid1(VALU_DEP_3)
	v_cmp_ne_u32_e32 vcc_lo, 0, v3
	v_cmp_ne_u32_e64 s0, 0, v5
	s_and_b32 s0, vcc_lo, s0
	s_delay_alu instid0(SALU_CYCLE_1) | instskip(NEXT) | instid1(VALU_DEP_1)
	v_cndmask_b32_e64 v3, 0, 1, s0
	v_add_nc_u32_e32 v3, v2, v3
.LBB215_353:
	s_or_b32 exec_lo, exec_lo, s29
	s_mov_b32 s29, -1
	s_mov_b32 s0, 0
	global_store_b8 v[6:7], v3, off
.LBB215_354:
	s_mov_b32 s30, 0
.LBB215_355:
	s_delay_alu instid0(SALU_CYCLE_1)
	s_and_b32 vcc_lo, exec_lo, s30
	s_cbranch_vccz .LBB215_358
; %bb.356:
	s_cmp_eq_u32 s28, 29
	s_mov_b32 s0, -1
	s_cbranch_scc0 .LBB215_358
; %bb.357:
	s_wait_xcnt 0x0
	v_trunc_f64_e32 v[2:3], v[0:1]
	s_mov_b32 s29, -1
	s_mov_b32 s0, 0
	s_mov_b32 s30, 0
	s_delay_alu instid0(VALU_DEP_1) | instskip(NEXT) | instid1(VALU_DEP_1)
	v_ldexp_f64 v[8:9], v[2:3], 0xffffffe0
	v_floor_f64_e32 v[8:9], v[8:9]
	s_delay_alu instid0(VALU_DEP_1) | instskip(SKIP_1) | instid1(VALU_DEP_2)
	v_fmamk_f64 v[2:3], v[8:9], 0xc1f00000, v[2:3]
	v_cvt_u32_f64_e32 v9, v[8:9]
	v_cvt_u32_f64_e32 v8, v[2:3]
	global_store_b64 v[6:7], v[8:9], off
	s_branch .LBB215_359
.LBB215_358:
	s_mov_b32 s30, 0
.LBB215_359:
	s_delay_alu instid0(SALU_CYCLE_1)
	s_and_b32 vcc_lo, exec_lo, s30
	s_cbranch_vccz .LBB215_375
; %bb.360:
	s_cmp_lt_i32 s28, 27
	s_mov_b32 s29, -1
	s_cbranch_scc1 .LBB215_366
; %bb.361:
	s_wait_xcnt 0x0
	v_cvt_u32_f64_e32 v2, v[0:1]
	s_cmp_gt_i32 s28, 27
	s_cbranch_scc0 .LBB215_363
; %bb.362:
	s_mov_b32 s29, 0
	global_store_b32 v[6:7], v2, off
.LBB215_363:
	s_and_not1_b32 vcc_lo, exec_lo, s29
	s_cbranch_vccnz .LBB215_365
; %bb.364:
	global_store_b16 v[6:7], v2, off
.LBB215_365:
	s_mov_b32 s29, 0
.LBB215_366:
	s_delay_alu instid0(SALU_CYCLE_1)
	s_and_not1_b32 vcc_lo, exec_lo, s29
	s_cbranch_vccnz .LBB215_374
; %bb.367:
	s_wait_xcnt 0x0
	v_cvt_f32_f64_e32 v2, v[0:1]
	v_mov_b32_e32 v5, 0x80
	s_mov_b32 s29, exec_lo
	s_delay_alu instid0(VALU_DEP_2) | instskip(NEXT) | instid1(VALU_DEP_1)
	v_and_b32_e32 v3, 0x7fffffff, v2
	v_cmpx_gt_u32_e32 0x43800000, v3
	s_cbranch_execz .LBB215_373
; %bb.368:
	v_cmp_lt_u32_e32 vcc_lo, 0x3bffffff, v3
	s_mov_b32 s30, 0
                                        ; implicit-def: $vgpr3
	s_and_saveexec_b32 s31, vcc_lo
	s_delay_alu instid0(SALU_CYCLE_1)
	s_xor_b32 s31, exec_lo, s31
	s_cbranch_execz .LBB215_603
; %bb.369:
	v_bfe_u32 v3, v2, 20, 1
	s_mov_b32 s30, exec_lo
	s_delay_alu instid0(VALU_DEP_1) | instskip(NEXT) | instid1(VALU_DEP_1)
	v_add3_u32 v3, v2, v3, 0x487ffff
	v_lshrrev_b32_e32 v3, 20, v3
	s_and_not1_saveexec_b32 s31, s31
	s_cbranch_execnz .LBB215_604
.LBB215_370:
	s_or_b32 exec_lo, exec_lo, s31
	v_mov_b32_e32 v5, 0
	s_and_saveexec_b32 s31, s30
.LBB215_371:
	v_lshrrev_b32_e32 v2, 24, v2
	s_delay_alu instid0(VALU_DEP_1)
	v_and_or_b32 v5, 0x80, v2, v3
.LBB215_372:
	s_or_b32 exec_lo, exec_lo, s31
.LBB215_373:
	s_delay_alu instid0(SALU_CYCLE_1)
	s_or_b32 exec_lo, exec_lo, s29
	global_store_b8 v[6:7], v5, off
.LBB215_374:
	s_mov_b32 s29, -1
.LBB215_375:
	s_mov_b32 s30, 0
.LBB215_376:
	s_delay_alu instid0(SALU_CYCLE_1)
	s_and_b32 vcc_lo, exec_lo, s30
	s_cbranch_vccz .LBB215_417
; %bb.377:
	s_cmp_gt_i32 s28, 22
	s_mov_b32 s30, -1
	s_cbranch_scc0 .LBB215_409
; %bb.378:
	s_cmp_lt_i32 s28, 24
	s_mov_b32 s29, -1
	s_cbranch_scc1 .LBB215_398
; %bb.379:
	s_cmp_gt_i32 s28, 24
	s_cbranch_scc0 .LBB215_387
; %bb.380:
	s_wait_xcnt 0x0
	v_cvt_f32_f64_e32 v2, v[0:1]
	v_mov_b32_e32 v5, 0x80
	s_mov_b32 s29, exec_lo
	s_delay_alu instid0(VALU_DEP_2) | instskip(NEXT) | instid1(VALU_DEP_1)
	v_and_b32_e32 v3, 0x7fffffff, v2
	v_cmpx_gt_u32_e32 0x47800000, v3
	s_cbranch_execz .LBB215_386
; %bb.381:
	v_cmp_lt_u32_e32 vcc_lo, 0x37ffffff, v3
	s_mov_b32 s30, 0
                                        ; implicit-def: $vgpr3
	s_and_saveexec_b32 s31, vcc_lo
	s_delay_alu instid0(SALU_CYCLE_1)
	s_xor_b32 s31, exec_lo, s31
	s_cbranch_execz .LBB215_606
; %bb.382:
	v_bfe_u32 v3, v2, 21, 1
	s_mov_b32 s30, exec_lo
	s_delay_alu instid0(VALU_DEP_1) | instskip(NEXT) | instid1(VALU_DEP_1)
	v_add3_u32 v3, v2, v3, 0x88fffff
	v_lshrrev_b32_e32 v3, 21, v3
	s_and_not1_saveexec_b32 s31, s31
	s_cbranch_execnz .LBB215_607
.LBB215_383:
	s_or_b32 exec_lo, exec_lo, s31
	v_mov_b32_e32 v5, 0
	s_and_saveexec_b32 s31, s30
.LBB215_384:
	v_lshrrev_b32_e32 v2, 24, v2
	s_delay_alu instid0(VALU_DEP_1)
	v_and_or_b32 v5, 0x80, v2, v3
.LBB215_385:
	s_or_b32 exec_lo, exec_lo, s31
.LBB215_386:
	s_delay_alu instid0(SALU_CYCLE_1)
	s_or_b32 exec_lo, exec_lo, s29
	s_mov_b32 s29, 0
	global_store_b8 v[6:7], v5, off
.LBB215_387:
	s_and_b32 vcc_lo, exec_lo, s29
	s_cbranch_vccz .LBB215_397
; %bb.388:
	s_wait_xcnt 0x0
	v_cvt_f32_f64_e32 v2, v[0:1]
	s_mov_b32 s29, exec_lo
                                        ; implicit-def: $vgpr3
	s_delay_alu instid0(VALU_DEP_1) | instskip(NEXT) | instid1(VALU_DEP_1)
	v_and_b32_e32 v5, 0x7fffffff, v2
	v_cmpx_gt_u32_e32 0x43f00000, v5
	s_xor_b32 s29, exec_lo, s29
	s_cbranch_execz .LBB215_394
; %bb.389:
	s_mov_b32 s30, exec_lo
                                        ; implicit-def: $vgpr3
	v_cmpx_lt_u32_e32 0x3c7fffff, v5
	s_xor_b32 s30, exec_lo, s30
; %bb.390:
	v_bfe_u32 v3, v2, 20, 1
	s_delay_alu instid0(VALU_DEP_1) | instskip(NEXT) | instid1(VALU_DEP_1)
	v_add3_u32 v3, v2, v3, 0x407ffff
	v_and_b32_e32 v5, 0xff00000, v3
	v_lshrrev_b32_e32 v3, 20, v3
	s_delay_alu instid0(VALU_DEP_2) | instskip(NEXT) | instid1(VALU_DEP_2)
	v_cmp_ne_u32_e32 vcc_lo, 0x7f00000, v5
	v_cndmask_b32_e32 v3, 0x7e, v3, vcc_lo
; %bb.391:
	s_and_not1_saveexec_b32 s30, s30
; %bb.392:
	v_add_f32_e64 v3, 0x46800000, |v2|
; %bb.393:
	s_or_b32 exec_lo, exec_lo, s30
                                        ; implicit-def: $vgpr5
.LBB215_394:
	s_and_not1_saveexec_b32 s29, s29
; %bb.395:
	v_mov_b32_e32 v3, 0x7f
	v_cmp_lt_u32_e32 vcc_lo, 0x7f800000, v5
	s_delay_alu instid0(VALU_DEP_2)
	v_cndmask_b32_e32 v3, 0x7e, v3, vcc_lo
; %bb.396:
	s_or_b32 exec_lo, exec_lo, s29
	v_lshrrev_b32_e32 v2, 24, v2
	s_delay_alu instid0(VALU_DEP_1)
	v_and_or_b32 v2, 0x80, v2, v3
	global_store_b8 v[6:7], v2, off
.LBB215_397:
	s_mov_b32 s29, 0
.LBB215_398:
	s_delay_alu instid0(SALU_CYCLE_1)
	s_and_not1_b32 vcc_lo, exec_lo, s29
	s_cbranch_vccnz .LBB215_408
; %bb.399:
	s_wait_xcnt 0x0
	v_cvt_f32_f64_e32 v2, v[0:1]
	s_mov_b32 s29, exec_lo
                                        ; implicit-def: $vgpr3
	s_delay_alu instid0(VALU_DEP_1) | instskip(NEXT) | instid1(VALU_DEP_1)
	v_and_b32_e32 v5, 0x7fffffff, v2
	v_cmpx_gt_u32_e32 0x47800000, v5
	s_xor_b32 s29, exec_lo, s29
	s_cbranch_execz .LBB215_405
; %bb.400:
	s_mov_b32 s30, exec_lo
                                        ; implicit-def: $vgpr3
	v_cmpx_lt_u32_e32 0x387fffff, v5
	s_xor_b32 s30, exec_lo, s30
; %bb.401:
	v_bfe_u32 v3, v2, 21, 1
	s_delay_alu instid0(VALU_DEP_1) | instskip(NEXT) | instid1(VALU_DEP_1)
	v_add3_u32 v3, v2, v3, 0x80fffff
	v_lshrrev_b32_e32 v3, 21, v3
; %bb.402:
	s_and_not1_saveexec_b32 s30, s30
; %bb.403:
	v_add_f32_e64 v3, 0x43000000, |v2|
; %bb.404:
	s_or_b32 exec_lo, exec_lo, s30
                                        ; implicit-def: $vgpr5
.LBB215_405:
	s_and_not1_saveexec_b32 s29, s29
; %bb.406:
	v_mov_b32_e32 v3, 0x7f
	v_cmp_lt_u32_e32 vcc_lo, 0x7f800000, v5
	s_delay_alu instid0(VALU_DEP_2)
	v_cndmask_b32_e32 v3, 0x7c, v3, vcc_lo
; %bb.407:
	s_or_b32 exec_lo, exec_lo, s29
	v_lshrrev_b32_e32 v2, 24, v2
	s_delay_alu instid0(VALU_DEP_1)
	v_and_or_b32 v2, 0x80, v2, v3
	global_store_b8 v[6:7], v2, off
.LBB215_408:
	s_mov_b32 s30, 0
	s_mov_b32 s29, -1
.LBB215_409:
	s_and_not1_b32 vcc_lo, exec_lo, s30
	s_cbranch_vccnz .LBB215_417
; %bb.410:
	s_cmp_gt_i32 s28, 14
	s_mov_b32 s30, -1
	s_cbranch_scc0 .LBB215_414
; %bb.411:
	s_cmp_eq_u32 s28, 15
	s_mov_b32 s0, -1
	s_cbranch_scc0 .LBB215_413
; %bb.412:
	s_wait_xcnt 0x0
	v_cvt_f32_f64_e32 v2, v[0:1]
	s_mov_b32 s29, -1
	s_mov_b32 s0, 0
	s_delay_alu instid0(VALU_DEP_1) | instskip(SKIP_1) | instid1(VALU_DEP_2)
	v_bfe_u32 v3, v2, 16, 1
	v_cmp_o_f32_e32 vcc_lo, v2, v2
	v_add3_u32 v3, v2, v3, 0x7fff
	s_delay_alu instid0(VALU_DEP_1) | instskip(NEXT) | instid1(VALU_DEP_1)
	v_lshrrev_b32_e32 v3, 16, v3
	v_cndmask_b32_e32 v2, 0x7fc0, v3, vcc_lo
	global_store_b16 v[6:7], v2, off
.LBB215_413:
	s_mov_b32 s30, 0
.LBB215_414:
	s_delay_alu instid0(SALU_CYCLE_1)
	s_and_b32 vcc_lo, exec_lo, s30
	s_cbranch_vccz .LBB215_417
; %bb.415:
	s_cmp_eq_u32 s28, 11
	s_mov_b32 s0, -1
	s_cbranch_scc0 .LBB215_417
; %bb.416:
	v_cmp_neq_f64_e32 vcc_lo, 0, v[0:1]
	s_mov_b32 s29, -1
	s_mov_b32 s0, 0
	s_wait_xcnt 0x0
	v_cndmask_b32_e64 v2, 0, 1, vcc_lo
	global_store_b8 v[6:7], v2, off
.LBB215_417:
	s_mov_b32 s28, 0
.LBB215_418:
	s_delay_alu instid0(SALU_CYCLE_1)
	s_and_b32 vcc_lo, exec_lo, s28
	s_cbranch_vccz .LBB215_457
; %bb.419:
	s_and_b32 s27, 0xffff, s27
	s_mov_b32 s28, -1
	s_cmp_lt_i32 s27, 5
	s_cbranch_scc1 .LBB215_440
; %bb.420:
	s_cmp_lt_i32 s27, 8
	s_cbranch_scc1 .LBB215_430
; %bb.421:
	;; [unrolled: 3-line block ×3, first 2 shown]
	s_cmp_gt_i32 s27, 9
	s_cbranch_scc0 .LBB215_424
; %bb.423:
	s_wait_xcnt 0x0
	v_mov_b32_e32 v2, 0
	s_mov_b32 s28, 0
	s_delay_alu instid0(VALU_DEP_1)
	v_mov_b32_e32 v3, v2
	global_store_b128 v[6:7], v[0:3], off
.LBB215_424:
	s_and_not1_b32 vcc_lo, exec_lo, s28
	s_cbranch_vccnz .LBB215_426
; %bb.425:
	s_wait_xcnt 0x0
	v_cvt_f32_f64_e32 v2, v[0:1]
	v_mov_b32_e32 v3, 0
	global_store_b64 v[6:7], v[2:3], off
.LBB215_426:
	s_mov_b32 s28, 0
.LBB215_427:
	s_delay_alu instid0(SALU_CYCLE_1)
	s_and_not1_b32 vcc_lo, exec_lo, s28
	s_cbranch_vccnz .LBB215_429
; %bb.428:
	s_wait_xcnt 0x0
	v_and_or_b32 v2, 0x1ff, v1, v0
	v_lshrrev_b32_e32 v3, 8, v1
	v_bfe_u32 v5, v1, 20, 11
	s_delay_alu instid0(VALU_DEP_3) | instskip(NEXT) | instid1(VALU_DEP_2)
	v_cmp_ne_u32_e32 vcc_lo, 0, v2
	v_sub_nc_u32_e32 v8, 0x3f1, v5
	v_add_nc_u32_e32 v5, 0xfffffc10, v5
	v_cndmask_b32_e64 v2, 0, 1, vcc_lo
	s_delay_alu instid0(VALU_DEP_1) | instskip(NEXT) | instid1(VALU_DEP_4)
	v_and_or_b32 v2, 0xffe, v3, v2
	v_med3_i32 v3, v8, 0, 13
	s_delay_alu instid0(VALU_DEP_2) | instskip(NEXT) | instid1(VALU_DEP_1)
	v_or_b32_e32 v8, 0x1000, v2
	v_lshrrev_b32_e32 v9, v3, v8
	s_delay_alu instid0(VALU_DEP_1) | instskip(NEXT) | instid1(VALU_DEP_1)
	v_lshlrev_b32_e32 v3, v3, v9
	v_cmp_ne_u32_e32 vcc_lo, v3, v8
	v_lshl_or_b32 v8, v5, 12, v2
	v_cndmask_b32_e64 v3, 0, 1, vcc_lo
	v_cmp_gt_i32_e32 vcc_lo, 1, v5
	s_delay_alu instid0(VALU_DEP_2) | instskip(NEXT) | instid1(VALU_DEP_1)
	v_or_b32_e32 v3, v9, v3
	v_cndmask_b32_e32 v3, v8, v3, vcc_lo
	s_delay_alu instid0(VALU_DEP_1) | instskip(NEXT) | instid1(VALU_DEP_1)
	v_dual_lshrrev_b32 v3, 2, v3 :: v_dual_bitop2_b32 v8, 7, v3 bitop3:0x40
	v_cmp_lt_i32_e32 vcc_lo, 5, v8
	v_cndmask_b32_e64 v9, 0, 1, vcc_lo
	v_cmp_eq_u32_e32 vcc_lo, 3, v8
	v_cndmask_b32_e64 v8, 0, 1, vcc_lo
	v_cmp_ne_u32_e32 vcc_lo, 0, v2
	s_delay_alu instid0(VALU_DEP_2) | instskip(SKIP_1) | instid1(VALU_DEP_1)
	v_or_b32_e32 v8, v8, v9
	v_mov_b32_e32 v9, 0x7e00
	v_dual_cndmask_b32 v2, 0x7c00, v9 :: v_dual_add_nc_u32 v3, v3, v8
	v_cmp_gt_i32_e32 vcc_lo, 31, v5
	s_delay_alu instid0(VALU_DEP_2) | instskip(SKIP_1) | instid1(VALU_DEP_2)
	v_dual_cndmask_b32 v3, 0x7c00, v3 :: v_dual_lshrrev_b32 v8, 16, v1
	v_cmp_eq_u32_e32 vcc_lo, 0x40f, v5
	v_cndmask_b32_e32 v2, v3, v2, vcc_lo
	s_delay_alu instid0(VALU_DEP_3) | instskip(NEXT) | instid1(VALU_DEP_1)
	v_and_b32_e32 v3, 0x8000, v8
	v_bitop3_b32 v2, v3, 0xffff, v2 bitop3:0xc8
	global_store_b32 v[6:7], v2, off
.LBB215_429:
	s_mov_b32 s28, 0
.LBB215_430:
	s_delay_alu instid0(SALU_CYCLE_1)
	s_and_not1_b32 vcc_lo, exec_lo, s28
	s_cbranch_vccnz .LBB215_439
; %bb.431:
	s_cmp_lt_i32 s27, 6
	s_mov_b32 s28, -1
	s_cbranch_scc1 .LBB215_437
; %bb.432:
	s_cmp_gt_i32 s27, 6
	s_cbranch_scc0 .LBB215_434
; %bb.433:
	s_mov_b32 s28, 0
	global_store_b64 v[6:7], v[0:1], off
.LBB215_434:
	s_and_not1_b32 vcc_lo, exec_lo, s28
	s_cbranch_vccnz .LBB215_436
; %bb.435:
	s_wait_xcnt 0x0
	v_cvt_f32_f64_e32 v2, v[0:1]
	global_store_b32 v[6:7], v2, off
.LBB215_436:
	s_mov_b32 s28, 0
.LBB215_437:
	s_delay_alu instid0(SALU_CYCLE_1)
	s_and_not1_b32 vcc_lo, exec_lo, s28
	s_cbranch_vccnz .LBB215_439
; %bb.438:
	s_wait_xcnt 0x0
	v_and_or_b32 v2, 0x1ff, v1, v0
	v_lshrrev_b32_e32 v3, 8, v1
	v_bfe_u32 v5, v1, 20, 11
	s_delay_alu instid0(VALU_DEP_3) | instskip(NEXT) | instid1(VALU_DEP_2)
	v_cmp_ne_u32_e32 vcc_lo, 0, v2
	v_sub_nc_u32_e32 v8, 0x3f1, v5
	v_add_nc_u32_e32 v5, 0xfffffc10, v5
	v_cndmask_b32_e64 v2, 0, 1, vcc_lo
	s_delay_alu instid0(VALU_DEP_1) | instskip(NEXT) | instid1(VALU_DEP_4)
	v_and_or_b32 v2, 0xffe, v3, v2
	v_med3_i32 v3, v8, 0, 13
	s_delay_alu instid0(VALU_DEP_2) | instskip(NEXT) | instid1(VALU_DEP_1)
	v_or_b32_e32 v8, 0x1000, v2
	v_lshrrev_b32_e32 v9, v3, v8
	s_delay_alu instid0(VALU_DEP_1) | instskip(NEXT) | instid1(VALU_DEP_1)
	v_lshlrev_b32_e32 v3, v3, v9
	v_cmp_ne_u32_e32 vcc_lo, v3, v8
	v_lshl_or_b32 v8, v5, 12, v2
	v_cndmask_b32_e64 v3, 0, 1, vcc_lo
	v_cmp_gt_i32_e32 vcc_lo, 1, v5
	s_delay_alu instid0(VALU_DEP_2) | instskip(NEXT) | instid1(VALU_DEP_1)
	v_or_b32_e32 v3, v9, v3
	v_cndmask_b32_e32 v3, v8, v3, vcc_lo
	s_delay_alu instid0(VALU_DEP_1) | instskip(NEXT) | instid1(VALU_DEP_1)
	v_dual_lshrrev_b32 v3, 2, v3 :: v_dual_bitop2_b32 v8, 7, v3 bitop3:0x40
	v_cmp_lt_i32_e32 vcc_lo, 5, v8
	v_cndmask_b32_e64 v9, 0, 1, vcc_lo
	v_cmp_eq_u32_e32 vcc_lo, 3, v8
	v_cndmask_b32_e64 v8, 0, 1, vcc_lo
	v_cmp_ne_u32_e32 vcc_lo, 0, v2
	s_delay_alu instid0(VALU_DEP_2) | instskip(SKIP_1) | instid1(VALU_DEP_1)
	v_or_b32_e32 v8, v8, v9
	v_mov_b32_e32 v9, 0x7e00
	v_dual_cndmask_b32 v2, 0x7c00, v9 :: v_dual_add_nc_u32 v3, v3, v8
	v_cmp_gt_i32_e32 vcc_lo, 31, v5
	s_delay_alu instid0(VALU_DEP_2) | instskip(SKIP_1) | instid1(VALU_DEP_2)
	v_cndmask_b32_e32 v3, 0x7c00, v3, vcc_lo
	v_cmp_eq_u32_e32 vcc_lo, 0x40f, v5
	v_dual_cndmask_b32 v2, v3, v2 :: v_dual_lshrrev_b32 v3, 16, v1
	s_delay_alu instid0(VALU_DEP_1)
	v_and_or_b32 v2, 0x8000, v3, v2
	global_store_b16 v[6:7], v2, off
.LBB215_439:
	s_mov_b32 s28, 0
.LBB215_440:
	s_delay_alu instid0(SALU_CYCLE_1)
	s_and_not1_b32 vcc_lo, exec_lo, s28
	s_cbranch_vccnz .LBB215_456
; %bb.441:
	s_cmp_lt_i32 s27, 2
	s_mov_b32 s28, -1
	s_cbranch_scc1 .LBB215_451
; %bb.442:
	s_cmp_lt_i32 s27, 3
	s_cbranch_scc1 .LBB215_448
; %bb.443:
	s_cmp_gt_i32 s27, 3
	s_cbranch_scc0 .LBB215_445
; %bb.444:
	s_wait_xcnt 0x0
	v_trunc_f64_e32 v[2:3], v[0:1]
	s_mov_b32 s28, 0
	s_delay_alu instid0(VALU_DEP_1) | instskip(NEXT) | instid1(VALU_DEP_1)
	v_ldexp_f64 v[8:9], v[2:3], 0xffffffe0
	v_floor_f64_e32 v[8:9], v[8:9]
	s_delay_alu instid0(VALU_DEP_1) | instskip(SKIP_1) | instid1(VALU_DEP_2)
	v_fmamk_f64 v[2:3], v[8:9], 0xc1f00000, v[2:3]
	v_cvt_i32_f64_e32 v9, v[8:9]
	v_cvt_u32_f64_e32 v8, v[2:3]
	global_store_b64 v[6:7], v[8:9], off
.LBB215_445:
	s_and_not1_b32 vcc_lo, exec_lo, s28
	s_cbranch_vccnz .LBB215_447
; %bb.446:
	s_wait_xcnt 0x0
	v_cvt_i32_f64_e32 v2, v[0:1]
	global_store_b32 v[6:7], v2, off
.LBB215_447:
	s_mov_b32 s28, 0
.LBB215_448:
	s_delay_alu instid0(SALU_CYCLE_1)
	s_and_not1_b32 vcc_lo, exec_lo, s28
	s_cbranch_vccnz .LBB215_450
; %bb.449:
	s_wait_xcnt 0x0
	v_cvt_i32_f64_e32 v2, v[0:1]
	global_store_b16 v[6:7], v2, off
.LBB215_450:
	s_mov_b32 s28, 0
.LBB215_451:
	s_delay_alu instid0(SALU_CYCLE_1)
	s_and_not1_b32 vcc_lo, exec_lo, s28
	s_cbranch_vccnz .LBB215_456
; %bb.452:
	s_cmp_gt_i32 s27, 0
	s_mov_b32 s27, -1
	s_cbranch_scc0 .LBB215_454
; %bb.453:
	s_wait_xcnt 0x0
	v_cvt_i32_f64_e32 v2, v[0:1]
	s_mov_b32 s27, 0
	global_store_b8 v[6:7], v2, off
.LBB215_454:
	s_and_not1_b32 vcc_lo, exec_lo, s27
	s_cbranch_vccnz .LBB215_456
; %bb.455:
	s_wait_xcnt 0x0
	v_trunc_f64_e32 v[0:1], v[0:1]
	s_delay_alu instid0(VALU_DEP_1) | instskip(NEXT) | instid1(VALU_DEP_1)
	v_ldexp_f64 v[2:3], v[0:1], 0xffffffe0
	v_floor_f64_e32 v[2:3], v[2:3]
	s_delay_alu instid0(VALU_DEP_1) | instskip(NEXT) | instid1(VALU_DEP_1)
	v_fmamk_f64 v[0:1], v[2:3], 0xc1f00000, v[0:1]
	v_cvt_u32_f64_e32 v0, v[0:1]
	global_store_b8 v[6:7], v0, off
.LBB215_456:
	s_mov_b32 s29, -1
.LBB215_457:
	s_delay_alu instid0(SALU_CYCLE_1)
	s_and_not1_b32 vcc_lo, exec_lo, s29
	s_cbranch_vccnz .LBB215_459
; %bb.458:
	v_add_nc_u32_e32 v4, 0x80, v4
	s_mov_b32 s27, -1
	s_branch .LBB215_572
.LBB215_459:
	s_mov_b32 s27, 0
	s_branch .LBB215_571
.LBB215_460:
	s_mov_b32 s26, -1
                                        ; implicit-def: $vgpr0_vgpr1
.LBB215_461:
	s_mov_b32 s28, 0
.LBB215_462:
	s_delay_alu instid0(SALU_CYCLE_1)
	s_and_b32 vcc_lo, exec_lo, s28
	s_cbranch_vccz .LBB215_466
; %bb.463:
	s_cmp_eq_u32 s0, 29
	s_cbranch_scc0 .LBB215_465
; %bb.464:
	global_load_b64 v[0:1], v[6:7], off
	s_mov_b32 s27, -1
	s_mov_b32 s26, 0
	s_mov_b32 s28, 0
	s_wait_loadcnt 0x0
	v_cvt_f64_u32_e32 v[8:9], v1
	v_cvt_f64_u32_e32 v[0:1], v0
	s_delay_alu instid0(VALU_DEP_2) | instskip(NEXT) | instid1(VALU_DEP_1)
	v_ldexp_f64 v[8:9], v[8:9], 32
	v_add_f64_e32 v[0:1], v[8:9], v[0:1]
	s_branch .LBB215_467
.LBB215_465:
	s_mov_b32 s26, -1
                                        ; implicit-def: $vgpr0_vgpr1
.LBB215_466:
	s_mov_b32 s28, 0
.LBB215_467:
	s_delay_alu instid0(SALU_CYCLE_1)
	s_and_b32 vcc_lo, exec_lo, s28
	s_cbranch_vccz .LBB215_485
; %bb.468:
	s_cmp_lt_i32 s0, 27
	s_cbranch_scc1 .LBB215_471
; %bb.469:
	s_cmp_gt_i32 s0, 27
	s_cbranch_scc0 .LBB215_472
; %bb.470:
	global_load_b32 v0, v[6:7], off
	s_mov_b32 s27, 0
	s_wait_loadcnt 0x0
	v_cvt_f64_u32_e32 v[0:1], v0
	s_branch .LBB215_473
.LBB215_471:
	s_mov_b32 s27, -1
                                        ; implicit-def: $vgpr0_vgpr1
	s_branch .LBB215_476
.LBB215_472:
	s_mov_b32 s27, -1
                                        ; implicit-def: $vgpr0_vgpr1
.LBB215_473:
	s_delay_alu instid0(SALU_CYCLE_1)
	s_and_not1_b32 vcc_lo, exec_lo, s27
	s_cbranch_vccnz .LBB215_475
; %bb.474:
	global_load_u16 v0, v[6:7], off
	s_wait_loadcnt 0x0
	v_cvt_f64_u32_e32 v[0:1], v0
.LBB215_475:
	s_mov_b32 s27, 0
.LBB215_476:
	s_delay_alu instid0(SALU_CYCLE_1)
	s_and_not1_b32 vcc_lo, exec_lo, s27
	s_cbranch_vccnz .LBB215_484
; %bb.477:
	global_load_u8 v3, v[6:7], off
	s_mov_b32 s27, 0
	s_mov_b32 s28, exec_lo
	s_wait_loadcnt 0x0
	v_cmpx_lt_i16_e32 0x7f, v3
	s_xor_b32 s28, exec_lo, s28
	s_cbranch_execz .LBB215_498
; %bb.478:
	s_mov_b32 s27, -1
	s_mov_b32 s29, exec_lo
	v_cmpx_eq_u16_e32 0x80, v3
; %bb.479:
	s_xor_b32 s27, exec_lo, -1
; %bb.480:
	s_or_b32 exec_lo, exec_lo, s29
	s_delay_alu instid0(SALU_CYCLE_1)
	s_and_b32 s27, s27, exec_lo
	s_or_saveexec_b32 s28, s28
	v_mov_b64_e32 v[0:1], 0x7ff8000020000000
	s_xor_b32 exec_lo, exec_lo, s28
	s_cbranch_execnz .LBB215_499
.LBB215_481:
	s_or_b32 exec_lo, exec_lo, s28
	s_and_saveexec_b32 s28, s27
	s_cbranch_execz .LBB215_483
.LBB215_482:
	v_and_b32_e32 v0, 0xffff, v3
	s_delay_alu instid0(VALU_DEP_1) | instskip(SKIP_1) | instid1(VALU_DEP_2)
	v_and_b32_e32 v1, 7, v0
	v_bfe_u32 v9, v0, 3, 4
	v_clz_i32_u32_e32 v5, v1
	s_delay_alu instid0(VALU_DEP_2) | instskip(NEXT) | instid1(VALU_DEP_2)
	v_cmp_eq_u32_e32 vcc_lo, 0, v9
	v_min_u32_e32 v5, 32, v5
	s_delay_alu instid0(VALU_DEP_1) | instskip(NEXT) | instid1(VALU_DEP_1)
	v_subrev_nc_u32_e32 v8, 28, v5
	v_dual_lshlrev_b32 v0, v8, v0 :: v_dual_sub_nc_u32 v5, 29, v5
	s_delay_alu instid0(VALU_DEP_1) | instskip(NEXT) | instid1(VALU_DEP_2)
	v_dual_lshlrev_b32 v3, 24, v3 :: v_dual_bitop2_b32 v0, 7, v0 bitop3:0x40
	v_cndmask_b32_e32 v5, v9, v5, vcc_lo
	s_delay_alu instid0(VALU_DEP_2) | instskip(NEXT) | instid1(VALU_DEP_3)
	v_cndmask_b32_e32 v0, v1, v0, vcc_lo
	v_and_b32_e32 v1, 0x80000000, v3
	s_delay_alu instid0(VALU_DEP_3) | instskip(NEXT) | instid1(VALU_DEP_3)
	v_lshl_add_u32 v3, v5, 23, 0x3b800000
	v_lshlrev_b32_e32 v0, 20, v0
	s_delay_alu instid0(VALU_DEP_1) | instskip(NEXT) | instid1(VALU_DEP_1)
	v_or3_b32 v0, v1, v3, v0
	v_cvt_f64_f32_e32 v[0:1], v0
.LBB215_483:
	s_or_b32 exec_lo, exec_lo, s28
.LBB215_484:
	s_mov_b32 s27, -1
.LBB215_485:
	s_mov_b32 s28, 0
.LBB215_486:
	s_delay_alu instid0(SALU_CYCLE_1)
	s_and_b32 vcc_lo, exec_lo, s28
	s_cbranch_vccz .LBB215_521
; %bb.487:
	s_cmp_gt_i32 s0, 22
	s_cbranch_scc0 .LBB215_497
; %bb.488:
	s_cmp_lt_i32 s0, 24
	s_cbranch_scc1 .LBB215_500
; %bb.489:
	s_cmp_gt_i32 s0, 24
	s_cbranch_scc0 .LBB215_501
; %bb.490:
	global_load_u8 v3, v[6:7], off
	s_mov_b32 s27, 0
	s_mov_b32 s28, exec_lo
	s_wait_loadcnt 0x0
	v_cmpx_lt_i16_e32 0x7f, v3
	s_xor_b32 s28, exec_lo, s28
	s_cbranch_execz .LBB215_513
; %bb.491:
	s_mov_b32 s27, -1
	s_mov_b32 s29, exec_lo
	v_cmpx_eq_u16_e32 0x80, v3
; %bb.492:
	s_xor_b32 s27, exec_lo, -1
; %bb.493:
	s_or_b32 exec_lo, exec_lo, s29
	s_delay_alu instid0(SALU_CYCLE_1)
	s_and_b32 s27, s27, exec_lo
	s_or_saveexec_b32 s28, s28
	v_mov_b64_e32 v[0:1], 0x7ff8000020000000
	s_xor_b32 exec_lo, exec_lo, s28
	s_cbranch_execnz .LBB215_514
.LBB215_494:
	s_or_b32 exec_lo, exec_lo, s28
	s_and_saveexec_b32 s28, s27
	s_cbranch_execz .LBB215_496
.LBB215_495:
	v_and_b32_e32 v0, 0xffff, v3
	s_delay_alu instid0(VALU_DEP_1) | instskip(SKIP_1) | instid1(VALU_DEP_2)
	v_and_b32_e32 v1, 3, v0
	v_bfe_u32 v9, v0, 2, 5
	v_clz_i32_u32_e32 v5, v1
	s_delay_alu instid0(VALU_DEP_2) | instskip(NEXT) | instid1(VALU_DEP_2)
	v_cmp_eq_u32_e32 vcc_lo, 0, v9
	v_min_u32_e32 v5, 32, v5
	s_delay_alu instid0(VALU_DEP_1) | instskip(NEXT) | instid1(VALU_DEP_1)
	v_subrev_nc_u32_e32 v8, 29, v5
	v_dual_lshlrev_b32 v0, v8, v0 :: v_dual_sub_nc_u32 v5, 30, v5
	s_delay_alu instid0(VALU_DEP_1) | instskip(NEXT) | instid1(VALU_DEP_2)
	v_dual_lshlrev_b32 v3, 24, v3 :: v_dual_bitop2_b32 v0, 3, v0 bitop3:0x40
	v_cndmask_b32_e32 v5, v9, v5, vcc_lo
	s_delay_alu instid0(VALU_DEP_2) | instskip(NEXT) | instid1(VALU_DEP_3)
	v_cndmask_b32_e32 v0, v1, v0, vcc_lo
	v_and_b32_e32 v1, 0x80000000, v3
	s_delay_alu instid0(VALU_DEP_3) | instskip(NEXT) | instid1(VALU_DEP_3)
	v_lshl_add_u32 v3, v5, 23, 0x37800000
	v_lshlrev_b32_e32 v0, 21, v0
	s_delay_alu instid0(VALU_DEP_1) | instskip(NEXT) | instid1(VALU_DEP_1)
	v_or3_b32 v0, v1, v3, v0
	v_cvt_f64_f32_e32 v[0:1], v0
.LBB215_496:
	s_or_b32 exec_lo, exec_lo, s28
	s_mov_b32 s27, 0
	s_branch .LBB215_502
.LBB215_497:
	s_mov_b32 s28, -1
                                        ; implicit-def: $vgpr0_vgpr1
	s_branch .LBB215_508
.LBB215_498:
	s_or_saveexec_b32 s28, s28
	v_mov_b64_e32 v[0:1], 0x7ff8000020000000
	s_xor_b32 exec_lo, exec_lo, s28
	s_cbranch_execz .LBB215_481
.LBB215_499:
	v_cmp_ne_u16_e32 vcc_lo, 0, v3
	v_mov_b64_e32 v[0:1], 0
	s_and_not1_b32 s27, s27, exec_lo
	s_and_b32 s29, vcc_lo, exec_lo
	s_delay_alu instid0(SALU_CYCLE_1)
	s_or_b32 s27, s27, s29
	s_or_b32 exec_lo, exec_lo, s28
	s_and_saveexec_b32 s28, s27
	s_cbranch_execnz .LBB215_482
	s_branch .LBB215_483
.LBB215_500:
	s_mov_b32 s27, -1
                                        ; implicit-def: $vgpr0_vgpr1
	s_branch .LBB215_505
.LBB215_501:
	s_mov_b32 s27, -1
                                        ; implicit-def: $vgpr0_vgpr1
.LBB215_502:
	s_delay_alu instid0(SALU_CYCLE_1)
	s_and_b32 vcc_lo, exec_lo, s27
	s_cbranch_vccz .LBB215_504
; %bb.503:
	global_load_u8 v0, v[6:7], off
	s_wait_loadcnt 0x0
	v_lshlrev_b32_e32 v0, 24, v0
	s_delay_alu instid0(VALU_DEP_1) | instskip(NEXT) | instid1(VALU_DEP_1)
	v_and_b32_e32 v1, 0x7f000000, v0
	v_clz_i32_u32_e32 v3, v1
	v_cmp_ne_u32_e32 vcc_lo, 0, v1
	v_add_nc_u32_e32 v8, 0x1000000, v1
	s_delay_alu instid0(VALU_DEP_3) | instskip(NEXT) | instid1(VALU_DEP_1)
	v_min_u32_e32 v3, 32, v3
	v_sub_nc_u32_e64 v3, v3, 4 clamp
	s_delay_alu instid0(VALU_DEP_1) | instskip(NEXT) | instid1(VALU_DEP_1)
	v_dual_lshlrev_b32 v5, v3, v1 :: v_dual_lshlrev_b32 v3, 23, v3
	v_lshrrev_b32_e32 v5, 4, v5
	s_delay_alu instid0(VALU_DEP_1) | instskip(NEXT) | instid1(VALU_DEP_1)
	v_dual_sub_nc_u32 v3, v5, v3 :: v_dual_ashrrev_i32 v5, 8, v8
	v_add_nc_u32_e32 v3, 0x3c000000, v3
	s_delay_alu instid0(VALU_DEP_1) | instskip(NEXT) | instid1(VALU_DEP_1)
	v_and_or_b32 v3, 0x7f800000, v5, v3
	v_cndmask_b32_e32 v1, 0, v3, vcc_lo
	s_delay_alu instid0(VALU_DEP_1) | instskip(NEXT) | instid1(VALU_DEP_1)
	v_and_or_b32 v0, 0x80000000, v0, v1
	v_cvt_f64_f32_e32 v[0:1], v0
.LBB215_504:
	s_mov_b32 s27, 0
.LBB215_505:
	s_delay_alu instid0(SALU_CYCLE_1)
	s_and_not1_b32 vcc_lo, exec_lo, s27
	s_cbranch_vccnz .LBB215_507
; %bb.506:
	global_load_u8 v0, v[6:7], off
	s_wait_loadcnt 0x0
	v_lshlrev_b32_e32 v1, 25, v0
	v_lshlrev_b16 v0, 8, v0
	s_delay_alu instid0(VALU_DEP_1) | instskip(SKIP_1) | instid1(VALU_DEP_2)
	v_and_or_b32 v5, 0x7f00, v0, 0.5
	v_bfe_i32 v0, v0, 0, 16
	v_add_f32_e32 v5, -0.5, v5
	v_lshrrev_b32_e32 v3, 4, v1
	v_cmp_gt_u32_e32 vcc_lo, 0x8000000, v1
	s_delay_alu instid0(VALU_DEP_2) | instskip(NEXT) | instid1(VALU_DEP_1)
	v_or_b32_e32 v3, 0x70000000, v3
	v_mul_f32_e32 v3, 0x7800000, v3
	s_delay_alu instid0(VALU_DEP_1) | instskip(NEXT) | instid1(VALU_DEP_1)
	v_cndmask_b32_e32 v1, v3, v5, vcc_lo
	v_and_or_b32 v0, 0x80000000, v0, v1
	s_delay_alu instid0(VALU_DEP_1)
	v_cvt_f64_f32_e32 v[0:1], v0
.LBB215_507:
	s_mov_b32 s28, 0
	s_mov_b32 s27, -1
.LBB215_508:
	s_and_not1_b32 vcc_lo, exec_lo, s28
	s_cbranch_vccnz .LBB215_521
; %bb.509:
	s_cmp_gt_i32 s0, 14
	s_cbranch_scc0 .LBB215_512
; %bb.510:
	s_cmp_eq_u32 s0, 15
	s_cbranch_scc0 .LBB215_515
; %bb.511:
	global_load_u16 v0, v[6:7], off
	s_mov_b32 s27, -1
	s_mov_b32 s26, 0
	s_wait_loadcnt 0x0
	v_lshlrev_b32_e32 v0, 16, v0
	s_delay_alu instid0(VALU_DEP_1)
	v_cvt_f64_f32_e32 v[0:1], v0
	s_branch .LBB215_516
.LBB215_512:
	s_mov_b32 s28, -1
                                        ; implicit-def: $vgpr0_vgpr1
	s_branch .LBB215_517
.LBB215_513:
	s_or_saveexec_b32 s28, s28
	v_mov_b64_e32 v[0:1], 0x7ff8000020000000
	s_xor_b32 exec_lo, exec_lo, s28
	s_cbranch_execz .LBB215_494
.LBB215_514:
	v_cmp_ne_u16_e32 vcc_lo, 0, v3
	v_mov_b64_e32 v[0:1], 0
	s_and_not1_b32 s27, s27, exec_lo
	s_and_b32 s29, vcc_lo, exec_lo
	s_delay_alu instid0(SALU_CYCLE_1)
	s_or_b32 s27, s27, s29
	s_or_b32 exec_lo, exec_lo, s28
	s_and_saveexec_b32 s28, s27
	s_cbranch_execnz .LBB215_495
	s_branch .LBB215_496
.LBB215_515:
	s_mov_b32 s26, -1
                                        ; implicit-def: $vgpr0_vgpr1
.LBB215_516:
	s_mov_b32 s28, 0
.LBB215_517:
	s_delay_alu instid0(SALU_CYCLE_1)
	s_and_b32 vcc_lo, exec_lo, s28
	s_cbranch_vccz .LBB215_521
; %bb.518:
	s_cmp_eq_u32 s0, 11
	s_cbranch_scc0 .LBB215_520
; %bb.519:
	global_load_u8 v0, v[6:7], off
	s_mov_b32 s26, 0
	s_mov_b32 s27, -1
	s_wait_loadcnt 0x0
	v_cmp_ne_u16_e32 vcc_lo, 0, v0
	v_mov_b32_e32 v0, 0
	v_cndmask_b32_e64 v1, 0, 0x3ff00000, vcc_lo
	s_branch .LBB215_521
.LBB215_520:
	s_mov_b32 s26, -1
                                        ; implicit-def: $vgpr0_vgpr1
.LBB215_521:
	s_branch .LBB215_309
.LBB215_522:
	s_cmp_lt_i32 s0, 5
	s_cbranch_scc1 .LBB215_527
; %bb.523:
	s_cmp_lt_i32 s0, 8
	s_cbranch_scc1 .LBB215_528
; %bb.524:
	;; [unrolled: 3-line block ×3, first 2 shown]
	s_cmp_gt_i32 s0, 9
	s_cbranch_scc0 .LBB215_530
; %bb.526:
	global_load_b64 v[0:1], v[6:7], off
	s_mov_b32 s27, 0
	s_branch .LBB215_531
.LBB215_527:
	s_mov_b32 s27, -1
                                        ; implicit-def: $vgpr0_vgpr1
	s_branch .LBB215_549
.LBB215_528:
	s_mov_b32 s27, -1
                                        ; implicit-def: $vgpr0_vgpr1
	s_branch .LBB215_537
.LBB215_529:
	s_mov_b32 s27, -1
                                        ; implicit-def: $vgpr0_vgpr1
	s_branch .LBB215_534
.LBB215_530:
	s_mov_b32 s27, -1
                                        ; implicit-def: $vgpr0_vgpr1
.LBB215_531:
	s_delay_alu instid0(SALU_CYCLE_1)
	s_and_not1_b32 vcc_lo, exec_lo, s27
	s_cbranch_vccnz .LBB215_533
; %bb.532:
	s_wait_loadcnt 0x0
	global_load_b32 v0, v[6:7], off
	s_wait_loadcnt 0x0
	v_cvt_f64_f32_e32 v[0:1], v0
.LBB215_533:
	s_mov_b32 s27, 0
.LBB215_534:
	s_delay_alu instid0(SALU_CYCLE_1)
	s_and_not1_b32 vcc_lo, exec_lo, s27
	s_cbranch_vccnz .LBB215_536
; %bb.535:
	s_wait_loadcnt 0x0
	global_load_b32 v0, v[6:7], off
	s_wait_loadcnt 0x0
	v_cvt_f32_f16_e32 v0, v0
	s_delay_alu instid0(VALU_DEP_1)
	v_cvt_f64_f32_e32 v[0:1], v0
.LBB215_536:
	s_mov_b32 s27, 0
.LBB215_537:
	s_delay_alu instid0(SALU_CYCLE_1)
	s_and_not1_b32 vcc_lo, exec_lo, s27
	s_cbranch_vccnz .LBB215_548
; %bb.538:
	s_cmp_lt_i32 s0, 6
	s_cbranch_scc1 .LBB215_541
; %bb.539:
	s_cmp_gt_i32 s0, 6
	s_cbranch_scc0 .LBB215_542
; %bb.540:
	s_wait_loadcnt 0x0
	global_load_b64 v[0:1], v[6:7], off
	s_mov_b32 s27, 0
	s_branch .LBB215_543
.LBB215_541:
	s_mov_b32 s27, -1
                                        ; implicit-def: $vgpr0_vgpr1
	s_branch .LBB215_546
.LBB215_542:
	s_mov_b32 s27, -1
                                        ; implicit-def: $vgpr0_vgpr1
.LBB215_543:
	s_delay_alu instid0(SALU_CYCLE_1)
	s_and_not1_b32 vcc_lo, exec_lo, s27
	s_cbranch_vccnz .LBB215_545
; %bb.544:
	s_wait_loadcnt 0x0
	global_load_b32 v0, v[6:7], off
	s_wait_loadcnt 0x0
	v_cvt_f64_f32_e32 v[0:1], v0
.LBB215_545:
	s_mov_b32 s27, 0
.LBB215_546:
	s_delay_alu instid0(SALU_CYCLE_1)
	s_and_not1_b32 vcc_lo, exec_lo, s27
	s_cbranch_vccnz .LBB215_548
; %bb.547:
	s_wait_loadcnt 0x0
	global_load_u16 v0, v[6:7], off
	s_wait_loadcnt 0x0
	v_cvt_f32_f16_e32 v0, v0
	s_delay_alu instid0(VALU_DEP_1)
	v_cvt_f64_f32_e32 v[0:1], v0
.LBB215_548:
	s_mov_b32 s27, 0
.LBB215_549:
	s_delay_alu instid0(SALU_CYCLE_1)
	s_and_not1_b32 vcc_lo, exec_lo, s27
	s_cbranch_vccnz .LBB215_569
; %bb.550:
	s_cmp_lt_i32 s0, 2
	s_cbranch_scc1 .LBB215_554
; %bb.551:
	s_cmp_lt_i32 s0, 3
	s_cbranch_scc1 .LBB215_555
; %bb.552:
	s_cmp_gt_i32 s0, 3
	s_cbranch_scc0 .LBB215_556
; %bb.553:
	s_wait_loadcnt 0x0
	global_load_b64 v[0:1], v[6:7], off
	s_mov_b32 s27, 0
	s_wait_loadcnt 0x0
	v_cvt_f64_i32_e32 v[8:9], v1
	v_cvt_f64_u32_e32 v[0:1], v0
	s_delay_alu instid0(VALU_DEP_2) | instskip(NEXT) | instid1(VALU_DEP_1)
	v_ldexp_f64 v[8:9], v[8:9], 32
	v_add_f64_e32 v[0:1], v[8:9], v[0:1]
	s_branch .LBB215_557
.LBB215_554:
	s_mov_b32 s27, -1
                                        ; implicit-def: $vgpr0_vgpr1
	s_branch .LBB215_563
.LBB215_555:
	s_mov_b32 s27, -1
                                        ; implicit-def: $vgpr0_vgpr1
	s_branch .LBB215_560
.LBB215_556:
	s_mov_b32 s27, -1
                                        ; implicit-def: $vgpr0_vgpr1
.LBB215_557:
	s_delay_alu instid0(SALU_CYCLE_1)
	s_and_not1_b32 vcc_lo, exec_lo, s27
	s_cbranch_vccnz .LBB215_559
; %bb.558:
	s_wait_loadcnt 0x0
	global_load_b32 v0, v[6:7], off
	s_wait_loadcnt 0x0
	v_cvt_f64_i32_e32 v[0:1], v0
.LBB215_559:
	s_mov_b32 s27, 0
.LBB215_560:
	s_delay_alu instid0(SALU_CYCLE_1)
	s_and_not1_b32 vcc_lo, exec_lo, s27
	s_cbranch_vccnz .LBB215_562
; %bb.561:
	s_wait_loadcnt 0x0
	global_load_i16 v0, v[6:7], off
	s_wait_loadcnt 0x0
	v_cvt_f64_i32_e32 v[0:1], v0
.LBB215_562:
	s_mov_b32 s27, 0
.LBB215_563:
	s_delay_alu instid0(SALU_CYCLE_1)
	s_and_not1_b32 vcc_lo, exec_lo, s27
	s_cbranch_vccnz .LBB215_569
; %bb.564:
	s_cmp_gt_i32 s0, 0
	s_mov_b32 s0, 0
	s_cbranch_scc0 .LBB215_566
; %bb.565:
	s_wait_loadcnt 0x0
	global_load_i8 v0, v[6:7], off
	s_wait_loadcnt 0x0
	v_cvt_f64_i32_e32 v[0:1], v0
	s_branch .LBB215_567
.LBB215_566:
	s_mov_b32 s0, -1
                                        ; implicit-def: $vgpr0_vgpr1
.LBB215_567:
	s_delay_alu instid0(SALU_CYCLE_1)
	s_and_not1_b32 vcc_lo, exec_lo, s0
	s_cbranch_vccnz .LBB215_569
; %bb.568:
	s_wait_loadcnt 0x0
	global_load_u8 v0, v[6:7], off
	s_wait_loadcnt 0x0
	v_cvt_f64_u32_e32 v[0:1], v0
.LBB215_569:
	s_branch .LBB215_310
.LBB215_570:
	s_mov_b32 s27, 0
	s_mov_b32 s0, s44
.LBB215_571:
                                        ; implicit-def: $vgpr4
.LBB215_572:
	s_and_not1_b32 s28, s44, exec_lo
	s_and_b32 s0, s0, exec_lo
	s_and_not1_b32 s29, s45, exec_lo
	s_and_b32 s26, s26, exec_lo
	s_or_b32 s48, s28, s0
	s_or_b32 s47, s29, s26
	s_or_not1_b32 s0, s27, exec_lo
.LBB215_573:
	s_wait_xcnt 0x0
	s_or_b32 exec_lo, exec_lo, s49
	s_mov_b32 s27, 0
	s_mov_b32 s26, 0
	;; [unrolled: 1-line block ×3, first 2 shown]
                                        ; implicit-def: $vgpr6_vgpr7
                                        ; implicit-def: $vgpr2
                                        ; implicit-def: $vgpr0_vgpr1
	s_and_saveexec_b32 s49, s0
	s_cbranch_execz .LBB215_968
; %bb.574:
	s_mov_b32 s29, -1
	s_mov_b32 s0, s47
	s_mov_b32 s30, s48
	s_mov_b32 s50, exec_lo
	v_cmpx_gt_i32_e64 s41, v4
	s_cbranch_execz .LBB215_865
; %bb.575:
	s_and_not1_b32 vcc_lo, exec_lo, s36
	s_cbranch_vccnz .LBB215_581
; %bb.576:
	s_and_not1_b32 vcc_lo, exec_lo, s43
	s_cbranch_vccnz .LBB215_582
; %bb.577:
	s_add_co_i32 s0, s42, 1
	s_cmp_eq_u32 s34, 2
	s_cbranch_scc1 .LBB215_583
; %bb.578:
	s_wait_loadcnt 0x0
	v_dual_mov_b32 v2, 0 :: v_dual_mov_b32 v0, 0
	v_mov_b32_e32 v1, v4
	s_and_b32 s26, s0, 28
	s_mov_b64 s[28:29], s[2:3]
	s_mov_b64 s[30:31], s[24:25]
.LBB215_579:                            ; =>This Inner Loop Header: Depth=1
	s_clause 0x1
	s_load_b256 s[52:59], s[28:29], 0x4
	s_load_b128 s[68:71], s[28:29], 0x24
	s_load_b256 s[60:67], s[30:31], 0x0
	s_add_co_i32 s27, s27, 4
	s_wait_xcnt 0x0
	s_add_nc_u64 s[28:29], s[28:29], 48
	s_cmp_eq_u32 s26, s27
	s_add_nc_u64 s[30:31], s[30:31], 32
	s_wait_kmcnt 0x0
	v_mul_hi_u32 v3, s53, v1
	s_delay_alu instid0(VALU_DEP_1) | instskip(NEXT) | instid1(VALU_DEP_1)
	v_add_nc_u32_e32 v3, v1, v3
	v_lshrrev_b32_e32 v3, s54, v3
	s_delay_alu instid0(VALU_DEP_1) | instskip(NEXT) | instid1(VALU_DEP_1)
	v_mul_hi_u32 v5, s56, v3
	v_add_nc_u32_e32 v5, v3, v5
	s_delay_alu instid0(VALU_DEP_1) | instskip(NEXT) | instid1(VALU_DEP_1)
	v_lshrrev_b32_e32 v5, s57, v5
	v_mul_hi_u32 v6, s59, v5
	s_delay_alu instid0(VALU_DEP_1) | instskip(SKIP_1) | instid1(VALU_DEP_1)
	v_add_nc_u32_e32 v6, v5, v6
	v_mul_lo_u32 v7, v3, s52
	v_sub_nc_u32_e32 v1, v1, v7
	v_mul_lo_u32 v7, v5, s55
	s_delay_alu instid0(VALU_DEP_4) | instskip(NEXT) | instid1(VALU_DEP_3)
	v_lshrrev_b32_e32 v6, s68, v6
	v_mad_u32 v0, v1, s61, v0
	v_mad_u32 v1, v1, s60, v2
	s_delay_alu instid0(VALU_DEP_4) | instskip(NEXT) | instid1(VALU_DEP_4)
	v_sub_nc_u32_e32 v2, v3, v7
	v_mul_hi_u32 v8, s70, v6
	v_mul_lo_u32 v3, v6, s58
	s_delay_alu instid0(VALU_DEP_3) | instskip(SKIP_1) | instid1(VALU_DEP_3)
	v_mad_u32 v0, v2, s63, v0
	v_mad_u32 v2, v2, s62, v1
	v_dual_add_nc_u32 v7, v6, v8 :: v_dual_sub_nc_u32 v3, v5, v3
	s_delay_alu instid0(VALU_DEP_1) | instskip(NEXT) | instid1(VALU_DEP_2)
	v_lshrrev_b32_e32 v1, s71, v7
	v_mad_u32 v0, v3, s65, v0
	s_delay_alu instid0(VALU_DEP_4) | instskip(NEXT) | instid1(VALU_DEP_3)
	v_mad_u32 v2, v3, s64, v2
	v_mul_lo_u32 v5, v1, s69
	s_delay_alu instid0(VALU_DEP_1) | instskip(NEXT) | instid1(VALU_DEP_1)
	v_sub_nc_u32_e32 v3, v6, v5
	v_mad_u32 v0, v3, s67, v0
	s_delay_alu instid0(VALU_DEP_4)
	v_mad_u32 v2, v3, s66, v2
	s_cbranch_scc0 .LBB215_579
; %bb.580:
	s_delay_alu instid0(VALU_DEP_2)
	v_mov_b32_e32 v3, v0
	s_branch .LBB215_584
.LBB215_581:
	s_mov_b32 s0, -1
                                        ; implicit-def: $vgpr0
                                        ; implicit-def: $vgpr2
	s_branch .LBB215_589
.LBB215_582:
	s_wait_loadcnt 0x0
	v_dual_mov_b32 v0, 0 :: v_dual_mov_b32 v2, 0
	s_branch .LBB215_588
.LBB215_583:
	v_mov_b64_e32 v[2:3], 0
	s_wait_loadcnt 0x0
	v_mov_b32_e32 v1, v4
                                        ; implicit-def: $vgpr0
.LBB215_584:
	s_and_b32 s0, s0, 3
	s_mov_b32 s27, 0
	s_cmp_eq_u32 s0, 0
	s_cbranch_scc1 .LBB215_588
; %bb.585:
	s_lshl_b32 s28, s26, 3
	s_mov_b32 s29, s27
	s_mul_u64 s[30:31], s[26:27], 12
	s_add_nc_u64 s[28:29], s[2:3], s[28:29]
	s_delay_alu instid0(SALU_CYCLE_1)
	s_add_nc_u64 s[26:27], s[28:29], 0xc4
	s_add_nc_u64 s[28:29], s[2:3], s[30:31]
.LBB215_586:                            ; =>This Inner Loop Header: Depth=1
	s_load_b96 s[52:54], s[28:29], 0x4
	s_load_b64 s[30:31], s[26:27], 0x0
	s_add_co_i32 s0, s0, -1
	s_wait_xcnt 0x0
	s_add_nc_u64 s[28:29], s[28:29], 12
	s_cmp_lg_u32 s0, 0
	s_add_nc_u64 s[26:27], s[26:27], 8
	s_wait_kmcnt 0x0
	v_mul_hi_u32 v0, s53, v1
	s_delay_alu instid0(VALU_DEP_1) | instskip(NEXT) | instid1(VALU_DEP_1)
	v_add_nc_u32_e32 v0, v1, v0
	v_lshrrev_b32_e32 v0, s54, v0
	s_delay_alu instid0(VALU_DEP_1) | instskip(NEXT) | instid1(VALU_DEP_1)
	v_mul_lo_u32 v5, v0, s52
	v_sub_nc_u32_e32 v1, v1, v5
	s_delay_alu instid0(VALU_DEP_1)
	v_mad_u32 v3, v1, s31, v3
	v_mad_u32 v2, v1, s30, v2
	v_mov_b32_e32 v1, v0
	s_cbranch_scc1 .LBB215_586
; %bb.587:
	s_delay_alu instid0(VALU_DEP_3)
	v_mov_b32_e32 v0, v3
.LBB215_588:
	s_mov_b32 s0, 0
.LBB215_589:
	s_delay_alu instid0(SALU_CYCLE_1)
	s_and_not1_b32 vcc_lo, exec_lo, s0
	s_cbranch_vccnz .LBB215_592
; %bb.590:
	v_mov_b32_e32 v5, 0
	s_and_not1_b32 vcc_lo, exec_lo, s40
	s_wait_loadcnt 0x0
	s_delay_alu instid0(VALU_DEP_1) | instskip(NEXT) | instid1(VALU_DEP_1)
	v_mul_u64_e32 v[0:1], s[20:21], v[4:5]
	v_add_nc_u32_e32 v0, v4, v1
	s_delay_alu instid0(VALU_DEP_1) | instskip(NEXT) | instid1(VALU_DEP_1)
	v_lshrrev_b32_e32 v6, s14, v0
	v_mul_lo_u32 v0, v6, s12
	s_delay_alu instid0(VALU_DEP_1) | instskip(NEXT) | instid1(VALU_DEP_1)
	v_sub_nc_u32_e32 v1, v4, v0
	v_mul_lo_u32 v0, v1, s17
	v_mul_lo_u32 v2, v1, s16
	s_cbranch_vccnz .LBB215_592
; %bb.591:
	v_mov_b32_e32 v7, v5
	s_delay_alu instid0(VALU_DEP_1) | instskip(NEXT) | instid1(VALU_DEP_1)
	v_mul_u64_e32 v[8:9], s[22:23], v[6:7]
	v_add_nc_u32_e32 v1, v6, v9
	s_delay_alu instid0(VALU_DEP_1) | instskip(NEXT) | instid1(VALU_DEP_1)
	v_lshrrev_b32_e32 v1, s1, v1
	v_mul_lo_u32 v1, v1, s15
	s_delay_alu instid0(VALU_DEP_1) | instskip(NEXT) | instid1(VALU_DEP_1)
	v_sub_nc_u32_e32 v1, v6, v1
	v_mad_u32 v2, v1, s18, v2
	v_mad_u32 v0, v1, s19, v0
.LBB215_592:
	s_wait_loadcnt 0x0
	v_mov_b32_e32 v1, 0
	s_and_b32 s0, 0xffff, s13
	s_delay_alu instid0(SALU_CYCLE_1) | instskip(NEXT) | instid1(VALU_DEP_1)
	s_cmp_lt_i32 s0, 11
	v_add_nc_u64_e32 v[6:7], s[6:7], v[0:1]
	s_cbranch_scc1 .LBB215_599
; %bb.593:
	s_cmp_gt_i32 s0, 25
	s_cbranch_scc0 .LBB215_600
; %bb.594:
	s_cmp_gt_i32 s0, 28
	s_cbranch_scc0 .LBB215_601
	;; [unrolled: 3-line block ×4, first 2 shown]
; %bb.597:
	s_cmp_eq_u32 s0, 46
	s_mov_b32 s28, 0
	s_cbranch_scc0 .LBB215_608
; %bb.598:
	global_load_b32 v0, v[6:7], off
	s_mov_b32 s27, -1
	s_mov_b32 s26, 0
	s_wait_loadcnt 0x0
	v_lshlrev_b32_e32 v0, 16, v0
	s_delay_alu instid0(VALU_DEP_1)
	v_cvt_f64_f32_e32 v[0:1], v0
	s_branch .LBB215_610
.LBB215_599:
	s_mov_b32 s28, -1
	s_mov_b32 s27, 0
	s_mov_b32 s26, s47
                                        ; implicit-def: $vgpr0_vgpr1
	s_branch .LBB215_675
.LBB215_600:
	s_mov_b32 s28, -1
	s_mov_b32 s27, 0
	s_mov_b32 s26, s47
                                        ; implicit-def: $vgpr0_vgpr1
	s_branch .LBB215_639
.LBB215_601:
	s_mov_b32 s28, -1
	s_mov_b32 s27, 0
	s_mov_b32 s26, s47
                                        ; implicit-def: $vgpr0_vgpr1
	s_branch .LBB215_620
.LBB215_602:
	s_mov_b32 s28, -1
	s_mov_b32 s27, 0
	s_mov_b32 s26, s47
                                        ; implicit-def: $vgpr0_vgpr1
	s_branch .LBB215_615
.LBB215_603:
	s_and_not1_saveexec_b32 s31, s31
	s_cbranch_execz .LBB215_370
.LBB215_604:
	v_add_f32_e64 v3, 0x46000000, |v2|
	s_and_not1_b32 s30, s30, exec_lo
	s_delay_alu instid0(VALU_DEP_1) | instskip(NEXT) | instid1(VALU_DEP_1)
	v_and_b32_e32 v3, 0xff, v3
	v_cmp_ne_u32_e32 vcc_lo, 0, v3
	s_and_b32 s47, vcc_lo, exec_lo
	s_delay_alu instid0(SALU_CYCLE_1)
	s_or_b32 s30, s30, s47
	s_or_b32 exec_lo, exec_lo, s31
	v_mov_b32_e32 v5, 0
	s_and_saveexec_b32 s31, s30
	s_cbranch_execnz .LBB215_371
	s_branch .LBB215_372
.LBB215_605:
	s_mov_b32 s28, -1
	s_mov_b32 s27, 0
	s_mov_b32 s26, s47
	s_branch .LBB215_609
.LBB215_606:
	s_and_not1_saveexec_b32 s31, s31
	s_cbranch_execz .LBB215_383
.LBB215_607:
	v_add_f32_e64 v3, 0x42800000, |v2|
	s_and_not1_b32 s30, s30, exec_lo
	s_delay_alu instid0(VALU_DEP_1) | instskip(NEXT) | instid1(VALU_DEP_1)
	v_and_b32_e32 v3, 0xff, v3
	v_cmp_ne_u32_e32 vcc_lo, 0, v3
	s_and_b32 s47, vcc_lo, exec_lo
	s_delay_alu instid0(SALU_CYCLE_1)
	s_or_b32 s30, s30, s47
	s_or_b32 exec_lo, exec_lo, s31
	v_mov_b32_e32 v5, 0
	s_and_saveexec_b32 s31, s30
	s_cbranch_execnz .LBB215_384
	s_branch .LBB215_385
.LBB215_608:
	s_mov_b32 s26, -1
	s_mov_b32 s27, 0
.LBB215_609:
                                        ; implicit-def: $vgpr0_vgpr1
.LBB215_610:
	s_and_b32 vcc_lo, exec_lo, s28
	s_cbranch_vccz .LBB215_614
; %bb.611:
	s_cmp_eq_u32 s0, 44
	s_cbranch_scc0 .LBB215_613
; %bb.612:
	global_load_u8 v3, v[6:7], off
	s_mov_b32 s26, 0
	s_mov_b32 s27, -1
	s_wait_loadcnt 0x0
	v_cmp_ne_u32_e32 vcc_lo, 0xff, v3
	v_lshlrev_b32_e32 v0, 23, v3
	s_delay_alu instid0(VALU_DEP_1) | instskip(NEXT) | instid1(VALU_DEP_1)
	v_cvt_f64_f32_e32 v[0:1], v0
	v_cndmask_b32_e32 v0, 0x20000000, v0, vcc_lo
	s_delay_alu instid0(VALU_DEP_2) | instskip(SKIP_1) | instid1(VALU_DEP_2)
	v_cndmask_b32_e32 v1, 0x7ff80000, v1, vcc_lo
	v_cmp_ne_u32_e32 vcc_lo, 0, v3
	v_cndmask_b32_e32 v1, 0x38000000, v1, vcc_lo
	s_delay_alu instid0(VALU_DEP_4)
	v_cndmask_b32_e32 v0, 0, v0, vcc_lo
	s_branch .LBB215_614
.LBB215_613:
	s_mov_b32 s26, -1
                                        ; implicit-def: $vgpr0_vgpr1
.LBB215_614:
	s_mov_b32 s28, 0
.LBB215_615:
	s_delay_alu instid0(SALU_CYCLE_1)
	s_and_b32 vcc_lo, exec_lo, s28
	s_cbranch_vccz .LBB215_619
; %bb.616:
	s_cmp_eq_u32 s0, 29
	s_cbranch_scc0 .LBB215_618
; %bb.617:
	global_load_b64 v[0:1], v[6:7], off
	s_mov_b32 s27, -1
	s_mov_b32 s26, 0
	s_mov_b32 s28, 0
	s_wait_loadcnt 0x0
	v_cvt_f64_u32_e32 v[8:9], v1
	v_cvt_f64_u32_e32 v[0:1], v0
	s_delay_alu instid0(VALU_DEP_2) | instskip(NEXT) | instid1(VALU_DEP_1)
	v_ldexp_f64 v[8:9], v[8:9], 32
	v_add_f64_e32 v[0:1], v[8:9], v[0:1]
	s_branch .LBB215_620
.LBB215_618:
	s_mov_b32 s26, -1
                                        ; implicit-def: $vgpr0_vgpr1
.LBB215_619:
	s_mov_b32 s28, 0
.LBB215_620:
	s_delay_alu instid0(SALU_CYCLE_1)
	s_and_b32 vcc_lo, exec_lo, s28
	s_cbranch_vccz .LBB215_638
; %bb.621:
	s_cmp_lt_i32 s0, 27
	s_cbranch_scc1 .LBB215_624
; %bb.622:
	s_cmp_gt_i32 s0, 27
	s_cbranch_scc0 .LBB215_625
; %bb.623:
	global_load_b32 v0, v[6:7], off
	s_mov_b32 s27, 0
	s_wait_loadcnt 0x0
	v_cvt_f64_u32_e32 v[0:1], v0
	s_branch .LBB215_626
.LBB215_624:
	s_mov_b32 s27, -1
                                        ; implicit-def: $vgpr0_vgpr1
	s_branch .LBB215_629
.LBB215_625:
	s_mov_b32 s27, -1
                                        ; implicit-def: $vgpr0_vgpr1
.LBB215_626:
	s_delay_alu instid0(SALU_CYCLE_1)
	s_and_not1_b32 vcc_lo, exec_lo, s27
	s_cbranch_vccnz .LBB215_628
; %bb.627:
	global_load_u16 v0, v[6:7], off
	s_wait_loadcnt 0x0
	v_cvt_f64_u32_e32 v[0:1], v0
.LBB215_628:
	s_mov_b32 s27, 0
.LBB215_629:
	s_delay_alu instid0(SALU_CYCLE_1)
	s_and_not1_b32 vcc_lo, exec_lo, s27
	s_cbranch_vccnz .LBB215_637
; %bb.630:
	global_load_u8 v3, v[6:7], off
	s_mov_b32 s27, 0
	s_mov_b32 s28, exec_lo
	s_wait_loadcnt 0x0
	v_cmpx_lt_i16_e32 0x7f, v3
	s_xor_b32 s28, exec_lo, s28
	s_cbranch_execz .LBB215_651
; %bb.631:
	s_mov_b32 s27, -1
	s_mov_b32 s29, exec_lo
	v_cmpx_eq_u16_e32 0x80, v3
; %bb.632:
	s_xor_b32 s27, exec_lo, -1
; %bb.633:
	s_or_b32 exec_lo, exec_lo, s29
	s_delay_alu instid0(SALU_CYCLE_1)
	s_and_b32 s27, s27, exec_lo
	s_or_saveexec_b32 s28, s28
	v_mov_b64_e32 v[0:1], 0x7ff8000020000000
	s_xor_b32 exec_lo, exec_lo, s28
	s_cbranch_execnz .LBB215_652
.LBB215_634:
	s_or_b32 exec_lo, exec_lo, s28
	s_and_saveexec_b32 s28, s27
	s_cbranch_execz .LBB215_636
.LBB215_635:
	v_and_b32_e32 v0, 0xffff, v3
	s_delay_alu instid0(VALU_DEP_1) | instskip(SKIP_1) | instid1(VALU_DEP_2)
	v_and_b32_e32 v1, 7, v0
	v_bfe_u32 v9, v0, 3, 4
	v_clz_i32_u32_e32 v5, v1
	s_delay_alu instid0(VALU_DEP_2) | instskip(NEXT) | instid1(VALU_DEP_2)
	v_cmp_eq_u32_e32 vcc_lo, 0, v9
	v_min_u32_e32 v5, 32, v5
	s_delay_alu instid0(VALU_DEP_1) | instskip(NEXT) | instid1(VALU_DEP_1)
	v_subrev_nc_u32_e32 v8, 28, v5
	v_dual_lshlrev_b32 v0, v8, v0 :: v_dual_sub_nc_u32 v5, 29, v5
	s_delay_alu instid0(VALU_DEP_1) | instskip(NEXT) | instid1(VALU_DEP_2)
	v_dual_lshlrev_b32 v3, 24, v3 :: v_dual_bitop2_b32 v0, 7, v0 bitop3:0x40
	v_cndmask_b32_e32 v5, v9, v5, vcc_lo
	s_delay_alu instid0(VALU_DEP_2) | instskip(NEXT) | instid1(VALU_DEP_3)
	v_cndmask_b32_e32 v0, v1, v0, vcc_lo
	v_and_b32_e32 v1, 0x80000000, v3
	s_delay_alu instid0(VALU_DEP_3) | instskip(NEXT) | instid1(VALU_DEP_3)
	v_lshl_add_u32 v3, v5, 23, 0x3b800000
	v_lshlrev_b32_e32 v0, 20, v0
	s_delay_alu instid0(VALU_DEP_1) | instskip(NEXT) | instid1(VALU_DEP_1)
	v_or3_b32 v0, v1, v3, v0
	v_cvt_f64_f32_e32 v[0:1], v0
.LBB215_636:
	s_or_b32 exec_lo, exec_lo, s28
.LBB215_637:
	s_mov_b32 s27, -1
.LBB215_638:
	s_mov_b32 s28, 0
.LBB215_639:
	s_delay_alu instid0(SALU_CYCLE_1)
	s_and_b32 vcc_lo, exec_lo, s28
	s_cbranch_vccz .LBB215_674
; %bb.640:
	s_cmp_gt_i32 s0, 22
	s_cbranch_scc0 .LBB215_650
; %bb.641:
	s_cmp_lt_i32 s0, 24
	s_cbranch_scc1 .LBB215_653
; %bb.642:
	s_cmp_gt_i32 s0, 24
	s_cbranch_scc0 .LBB215_654
; %bb.643:
	global_load_u8 v3, v[6:7], off
	s_mov_b32 s27, 0
	s_mov_b32 s28, exec_lo
	s_wait_loadcnt 0x0
	v_cmpx_lt_i16_e32 0x7f, v3
	s_xor_b32 s28, exec_lo, s28
	s_cbranch_execz .LBB215_666
; %bb.644:
	s_mov_b32 s27, -1
	s_mov_b32 s29, exec_lo
	v_cmpx_eq_u16_e32 0x80, v3
; %bb.645:
	s_xor_b32 s27, exec_lo, -1
; %bb.646:
	s_or_b32 exec_lo, exec_lo, s29
	s_delay_alu instid0(SALU_CYCLE_1)
	s_and_b32 s27, s27, exec_lo
	s_or_saveexec_b32 s28, s28
	v_mov_b64_e32 v[0:1], 0x7ff8000020000000
	s_xor_b32 exec_lo, exec_lo, s28
	s_cbranch_execnz .LBB215_667
.LBB215_647:
	s_or_b32 exec_lo, exec_lo, s28
	s_and_saveexec_b32 s28, s27
	s_cbranch_execz .LBB215_649
.LBB215_648:
	v_and_b32_e32 v0, 0xffff, v3
	s_delay_alu instid0(VALU_DEP_1) | instskip(SKIP_1) | instid1(VALU_DEP_2)
	v_and_b32_e32 v1, 3, v0
	v_bfe_u32 v9, v0, 2, 5
	v_clz_i32_u32_e32 v5, v1
	s_delay_alu instid0(VALU_DEP_2) | instskip(NEXT) | instid1(VALU_DEP_2)
	v_cmp_eq_u32_e32 vcc_lo, 0, v9
	v_min_u32_e32 v5, 32, v5
	s_delay_alu instid0(VALU_DEP_1) | instskip(NEXT) | instid1(VALU_DEP_1)
	v_subrev_nc_u32_e32 v8, 29, v5
	v_dual_lshlrev_b32 v0, v8, v0 :: v_dual_sub_nc_u32 v5, 30, v5
	s_delay_alu instid0(VALU_DEP_1) | instskip(NEXT) | instid1(VALU_DEP_2)
	v_dual_lshlrev_b32 v3, 24, v3 :: v_dual_bitop2_b32 v0, 3, v0 bitop3:0x40
	v_cndmask_b32_e32 v5, v9, v5, vcc_lo
	s_delay_alu instid0(VALU_DEP_2) | instskip(NEXT) | instid1(VALU_DEP_3)
	v_cndmask_b32_e32 v0, v1, v0, vcc_lo
	v_and_b32_e32 v1, 0x80000000, v3
	s_delay_alu instid0(VALU_DEP_3) | instskip(NEXT) | instid1(VALU_DEP_3)
	v_lshl_add_u32 v3, v5, 23, 0x37800000
	v_lshlrev_b32_e32 v0, 21, v0
	s_delay_alu instid0(VALU_DEP_1) | instskip(NEXT) | instid1(VALU_DEP_1)
	v_or3_b32 v0, v1, v3, v0
	v_cvt_f64_f32_e32 v[0:1], v0
.LBB215_649:
	s_or_b32 exec_lo, exec_lo, s28
	s_mov_b32 s27, 0
	s_branch .LBB215_655
.LBB215_650:
	s_mov_b32 s28, -1
                                        ; implicit-def: $vgpr0_vgpr1
	s_branch .LBB215_661
.LBB215_651:
	s_or_saveexec_b32 s28, s28
	v_mov_b64_e32 v[0:1], 0x7ff8000020000000
	s_xor_b32 exec_lo, exec_lo, s28
	s_cbranch_execz .LBB215_634
.LBB215_652:
	v_cmp_ne_u16_e32 vcc_lo, 0, v3
	v_mov_b64_e32 v[0:1], 0
	s_and_not1_b32 s27, s27, exec_lo
	s_and_b32 s29, vcc_lo, exec_lo
	s_delay_alu instid0(SALU_CYCLE_1)
	s_or_b32 s27, s27, s29
	s_or_b32 exec_lo, exec_lo, s28
	s_and_saveexec_b32 s28, s27
	s_cbranch_execnz .LBB215_635
	s_branch .LBB215_636
.LBB215_653:
	s_mov_b32 s27, -1
                                        ; implicit-def: $vgpr0_vgpr1
	s_branch .LBB215_658
.LBB215_654:
	s_mov_b32 s27, -1
                                        ; implicit-def: $vgpr0_vgpr1
.LBB215_655:
	s_delay_alu instid0(SALU_CYCLE_1)
	s_and_b32 vcc_lo, exec_lo, s27
	s_cbranch_vccz .LBB215_657
; %bb.656:
	global_load_u8 v0, v[6:7], off
	s_wait_loadcnt 0x0
	v_lshlrev_b32_e32 v0, 24, v0
	s_delay_alu instid0(VALU_DEP_1) | instskip(NEXT) | instid1(VALU_DEP_1)
	v_and_b32_e32 v1, 0x7f000000, v0
	v_clz_i32_u32_e32 v3, v1
	v_cmp_ne_u32_e32 vcc_lo, 0, v1
	v_add_nc_u32_e32 v8, 0x1000000, v1
	s_delay_alu instid0(VALU_DEP_3) | instskip(NEXT) | instid1(VALU_DEP_1)
	v_min_u32_e32 v3, 32, v3
	v_sub_nc_u32_e64 v3, v3, 4 clamp
	s_delay_alu instid0(VALU_DEP_1) | instskip(NEXT) | instid1(VALU_DEP_1)
	v_dual_lshlrev_b32 v5, v3, v1 :: v_dual_lshlrev_b32 v3, 23, v3
	v_lshrrev_b32_e32 v5, 4, v5
	s_delay_alu instid0(VALU_DEP_1) | instskip(NEXT) | instid1(VALU_DEP_1)
	v_dual_sub_nc_u32 v3, v5, v3 :: v_dual_ashrrev_i32 v5, 8, v8
	v_add_nc_u32_e32 v3, 0x3c000000, v3
	s_delay_alu instid0(VALU_DEP_1) | instskip(NEXT) | instid1(VALU_DEP_1)
	v_and_or_b32 v3, 0x7f800000, v5, v3
	v_cndmask_b32_e32 v1, 0, v3, vcc_lo
	s_delay_alu instid0(VALU_DEP_1) | instskip(NEXT) | instid1(VALU_DEP_1)
	v_and_or_b32 v0, 0x80000000, v0, v1
	v_cvt_f64_f32_e32 v[0:1], v0
.LBB215_657:
	s_mov_b32 s27, 0
.LBB215_658:
	s_delay_alu instid0(SALU_CYCLE_1)
	s_and_not1_b32 vcc_lo, exec_lo, s27
	s_cbranch_vccnz .LBB215_660
; %bb.659:
	global_load_u8 v0, v[6:7], off
	s_wait_loadcnt 0x0
	v_lshlrev_b32_e32 v1, 25, v0
	v_lshlrev_b16 v0, 8, v0
	s_delay_alu instid0(VALU_DEP_1) | instskip(SKIP_1) | instid1(VALU_DEP_2)
	v_and_or_b32 v5, 0x7f00, v0, 0.5
	v_bfe_i32 v0, v0, 0, 16
	v_add_f32_e32 v5, -0.5, v5
	v_lshrrev_b32_e32 v3, 4, v1
	v_cmp_gt_u32_e32 vcc_lo, 0x8000000, v1
	s_delay_alu instid0(VALU_DEP_2) | instskip(NEXT) | instid1(VALU_DEP_1)
	v_or_b32_e32 v3, 0x70000000, v3
	v_mul_f32_e32 v3, 0x7800000, v3
	s_delay_alu instid0(VALU_DEP_1) | instskip(NEXT) | instid1(VALU_DEP_1)
	v_cndmask_b32_e32 v1, v3, v5, vcc_lo
	v_and_or_b32 v0, 0x80000000, v0, v1
	s_delay_alu instid0(VALU_DEP_1)
	v_cvt_f64_f32_e32 v[0:1], v0
.LBB215_660:
	s_mov_b32 s28, 0
	s_mov_b32 s27, -1
.LBB215_661:
	s_and_not1_b32 vcc_lo, exec_lo, s28
	s_cbranch_vccnz .LBB215_674
; %bb.662:
	s_cmp_gt_i32 s0, 14
	s_cbranch_scc0 .LBB215_665
; %bb.663:
	s_cmp_eq_u32 s0, 15
	s_cbranch_scc0 .LBB215_668
; %bb.664:
	global_load_u16 v0, v[6:7], off
	s_mov_b32 s27, -1
	s_mov_b32 s26, 0
	s_wait_loadcnt 0x0
	v_lshlrev_b32_e32 v0, 16, v0
	s_delay_alu instid0(VALU_DEP_1)
	v_cvt_f64_f32_e32 v[0:1], v0
	s_branch .LBB215_669
.LBB215_665:
	s_mov_b32 s28, -1
                                        ; implicit-def: $vgpr0_vgpr1
	s_branch .LBB215_670
.LBB215_666:
	s_or_saveexec_b32 s28, s28
	v_mov_b64_e32 v[0:1], 0x7ff8000020000000
	s_xor_b32 exec_lo, exec_lo, s28
	s_cbranch_execz .LBB215_647
.LBB215_667:
	v_cmp_ne_u16_e32 vcc_lo, 0, v3
	v_mov_b64_e32 v[0:1], 0
	s_and_not1_b32 s27, s27, exec_lo
	s_and_b32 s29, vcc_lo, exec_lo
	s_delay_alu instid0(SALU_CYCLE_1)
	s_or_b32 s27, s27, s29
	s_or_b32 exec_lo, exec_lo, s28
	s_and_saveexec_b32 s28, s27
	s_cbranch_execnz .LBB215_648
	s_branch .LBB215_649
.LBB215_668:
	s_mov_b32 s26, -1
                                        ; implicit-def: $vgpr0_vgpr1
.LBB215_669:
	s_mov_b32 s28, 0
.LBB215_670:
	s_delay_alu instid0(SALU_CYCLE_1)
	s_and_b32 vcc_lo, exec_lo, s28
	s_cbranch_vccz .LBB215_674
; %bb.671:
	s_cmp_eq_u32 s0, 11
	s_cbranch_scc0 .LBB215_673
; %bb.672:
	global_load_u8 v0, v[6:7], off
	s_mov_b32 s26, 0
	s_mov_b32 s27, -1
	s_wait_loadcnt 0x0
	v_cmp_ne_u16_e32 vcc_lo, 0, v0
	v_mov_b32_e32 v0, 0
	v_cndmask_b32_e64 v1, 0, 0x3ff00000, vcc_lo
	s_branch .LBB215_674
.LBB215_673:
	s_mov_b32 s26, -1
                                        ; implicit-def: $vgpr0_vgpr1
.LBB215_674:
	s_mov_b32 s28, 0
.LBB215_675:
	s_delay_alu instid0(SALU_CYCLE_1)
	s_and_b32 vcc_lo, exec_lo, s28
	s_cbranch_vccz .LBB215_724
; %bb.676:
	s_cmp_lt_i32 s0, 5
	s_cbranch_scc1 .LBB215_681
; %bb.677:
	s_cmp_lt_i32 s0, 8
	s_cbranch_scc1 .LBB215_682
	;; [unrolled: 3-line block ×3, first 2 shown]
; %bb.679:
	s_cmp_gt_i32 s0, 9
	s_cbranch_scc0 .LBB215_684
; %bb.680:
	global_load_b64 v[0:1], v[6:7], off
	s_mov_b32 s27, 0
	s_branch .LBB215_685
.LBB215_681:
	s_mov_b32 s27, -1
                                        ; implicit-def: $vgpr0_vgpr1
	s_branch .LBB215_703
.LBB215_682:
	s_mov_b32 s27, -1
                                        ; implicit-def: $vgpr0_vgpr1
	s_branch .LBB215_691
.LBB215_683:
	s_mov_b32 s27, -1
                                        ; implicit-def: $vgpr0_vgpr1
	s_branch .LBB215_688
.LBB215_684:
	s_mov_b32 s27, -1
                                        ; implicit-def: $vgpr0_vgpr1
.LBB215_685:
	s_delay_alu instid0(SALU_CYCLE_1)
	s_and_not1_b32 vcc_lo, exec_lo, s27
	s_cbranch_vccnz .LBB215_687
; %bb.686:
	s_wait_loadcnt 0x0
	global_load_b32 v0, v[6:7], off
	s_wait_loadcnt 0x0
	v_cvt_f64_f32_e32 v[0:1], v0
.LBB215_687:
	s_mov_b32 s27, 0
.LBB215_688:
	s_delay_alu instid0(SALU_CYCLE_1)
	s_and_not1_b32 vcc_lo, exec_lo, s27
	s_cbranch_vccnz .LBB215_690
; %bb.689:
	s_wait_loadcnt 0x0
	global_load_b32 v0, v[6:7], off
	s_wait_loadcnt 0x0
	v_cvt_f32_f16_e32 v0, v0
	s_delay_alu instid0(VALU_DEP_1)
	v_cvt_f64_f32_e32 v[0:1], v0
.LBB215_690:
	s_mov_b32 s27, 0
.LBB215_691:
	s_delay_alu instid0(SALU_CYCLE_1)
	s_and_not1_b32 vcc_lo, exec_lo, s27
	s_cbranch_vccnz .LBB215_702
; %bb.692:
	s_cmp_lt_i32 s0, 6
	s_cbranch_scc1 .LBB215_695
; %bb.693:
	s_cmp_gt_i32 s0, 6
	s_cbranch_scc0 .LBB215_696
; %bb.694:
	s_wait_loadcnt 0x0
	global_load_b64 v[0:1], v[6:7], off
	s_mov_b32 s27, 0
	s_branch .LBB215_697
.LBB215_695:
	s_mov_b32 s27, -1
                                        ; implicit-def: $vgpr0_vgpr1
	s_branch .LBB215_700
.LBB215_696:
	s_mov_b32 s27, -1
                                        ; implicit-def: $vgpr0_vgpr1
.LBB215_697:
	s_delay_alu instid0(SALU_CYCLE_1)
	s_and_not1_b32 vcc_lo, exec_lo, s27
	s_cbranch_vccnz .LBB215_699
; %bb.698:
	s_wait_loadcnt 0x0
	global_load_b32 v0, v[6:7], off
	s_wait_loadcnt 0x0
	v_cvt_f64_f32_e32 v[0:1], v0
.LBB215_699:
	s_mov_b32 s27, 0
.LBB215_700:
	s_delay_alu instid0(SALU_CYCLE_1)
	s_and_not1_b32 vcc_lo, exec_lo, s27
	s_cbranch_vccnz .LBB215_702
; %bb.701:
	s_wait_loadcnt 0x0
	global_load_u16 v0, v[6:7], off
	s_wait_loadcnt 0x0
	v_cvt_f32_f16_e32 v0, v0
	s_delay_alu instid0(VALU_DEP_1)
	v_cvt_f64_f32_e32 v[0:1], v0
.LBB215_702:
	s_mov_b32 s27, 0
.LBB215_703:
	s_delay_alu instid0(SALU_CYCLE_1)
	s_and_not1_b32 vcc_lo, exec_lo, s27
	s_cbranch_vccnz .LBB215_723
; %bb.704:
	s_cmp_lt_i32 s0, 2
	s_cbranch_scc1 .LBB215_708
; %bb.705:
	s_cmp_lt_i32 s0, 3
	s_cbranch_scc1 .LBB215_709
; %bb.706:
	s_cmp_gt_i32 s0, 3
	s_cbranch_scc0 .LBB215_710
; %bb.707:
	s_wait_loadcnt 0x0
	global_load_b64 v[0:1], v[6:7], off
	s_mov_b32 s27, 0
	s_wait_loadcnt 0x0
	v_cvt_f64_i32_e32 v[8:9], v1
	v_cvt_f64_u32_e32 v[0:1], v0
	s_delay_alu instid0(VALU_DEP_2) | instskip(NEXT) | instid1(VALU_DEP_1)
	v_ldexp_f64 v[8:9], v[8:9], 32
	v_add_f64_e32 v[0:1], v[8:9], v[0:1]
	s_branch .LBB215_711
.LBB215_708:
	s_mov_b32 s27, -1
                                        ; implicit-def: $vgpr0_vgpr1
	s_branch .LBB215_717
.LBB215_709:
	s_mov_b32 s27, -1
                                        ; implicit-def: $vgpr0_vgpr1
	s_branch .LBB215_714
.LBB215_710:
	s_mov_b32 s27, -1
                                        ; implicit-def: $vgpr0_vgpr1
.LBB215_711:
	s_delay_alu instid0(SALU_CYCLE_1)
	s_and_not1_b32 vcc_lo, exec_lo, s27
	s_cbranch_vccnz .LBB215_713
; %bb.712:
	s_wait_loadcnt 0x0
	global_load_b32 v0, v[6:7], off
	s_wait_loadcnt 0x0
	v_cvt_f64_i32_e32 v[0:1], v0
.LBB215_713:
	s_mov_b32 s27, 0
.LBB215_714:
	s_delay_alu instid0(SALU_CYCLE_1)
	s_and_not1_b32 vcc_lo, exec_lo, s27
	s_cbranch_vccnz .LBB215_716
; %bb.715:
	s_wait_loadcnt 0x0
	global_load_i16 v0, v[6:7], off
	s_wait_loadcnt 0x0
	v_cvt_f64_i32_e32 v[0:1], v0
.LBB215_716:
	s_mov_b32 s27, 0
.LBB215_717:
	s_delay_alu instid0(SALU_CYCLE_1)
	s_and_not1_b32 vcc_lo, exec_lo, s27
	s_cbranch_vccnz .LBB215_723
; %bb.718:
	s_cmp_gt_i32 s0, 0
	s_mov_b32 s0, 0
	s_cbranch_scc0 .LBB215_720
; %bb.719:
	s_wait_loadcnt 0x0
	global_load_i8 v0, v[6:7], off
	s_wait_loadcnt 0x0
	v_cvt_f64_i32_e32 v[0:1], v0
	s_branch .LBB215_721
.LBB215_720:
	s_mov_b32 s0, -1
                                        ; implicit-def: $vgpr0_vgpr1
.LBB215_721:
	s_delay_alu instid0(SALU_CYCLE_1)
	s_and_not1_b32 vcc_lo, exec_lo, s0
	s_cbranch_vccnz .LBB215_723
; %bb.722:
	s_wait_loadcnt 0x0
	global_load_u8 v0, v[6:7], off
	s_wait_loadcnt 0x0
	v_cvt_f64_u32_e32 v[0:1], v0
.LBB215_723:
	s_mov_b32 s27, -1
.LBB215_724:
	s_delay_alu instid0(SALU_CYCLE_1)
	s_and_not1_b32 vcc_lo, exec_lo, s27
	s_cbranch_vccnz .LBB215_729
; %bb.725:
	s_mov_b32 s0, exec_lo
	s_wait_loadcnt 0x0
	s_delay_alu instid0(VALU_DEP_1)
	v_cmpx_o_f64_e32 v[0:1], v[0:1]
	s_cbranch_execz .LBB215_738
; %bb.726:
	s_cmp_lt_i32 s39, 1
	s_mov_b32 s27, 0
	s_cbranch_scc1 .LBB215_730
; %bb.727:
	s_cmp_eq_u32 s39, 1
	s_cbranch_scc0 .LBB215_731
; %bb.728:
	v_max_num_f64_e64 v[6:7], s[8:9], s[8:9]
	v_max_num_f64_e32 v[8:9], v[0:1], v[0:1]
	s_mov_b32 s28, 0
	s_delay_alu instid0(VALU_DEP_1)
	v_min_num_f64_e32 v[6:7], v[8:9], v[6:7]
	s_branch .LBB215_732
.LBB215_729:
	s_mov_b32 s27, 0
	s_mov_b32 s0, s48
	s_branch .LBB215_863
.LBB215_730:
	s_mov_b32 s29, -1
	s_mov_b32 s28, 0
                                        ; implicit-def: $vgpr6_vgpr7
	s_branch .LBB215_733
.LBB215_731:
	s_mov_b32 s28, -1
                                        ; implicit-def: $vgpr6_vgpr7
.LBB215_732:
	s_mov_b32 s29, 0
.LBB215_733:
	s_delay_alu instid0(SALU_CYCLE_1)
	s_and_b32 vcc_lo, exec_lo, s29
	s_cbranch_vccz .LBB215_745
; %bb.734:
	s_cmp_lg_u32 s39, 0
	s_mov_b32 s27, -1
	s_cselect_b32 s28, -1, 0
	s_delay_alu instid0(SALU_CYCLE_1)
	s_and_not1_b32 vcc_lo, exec_lo, s28
	s_cbranch_vccz .LBB215_746
.LBB215_735:
	s_and_not1_b32 vcc_lo, exec_lo, s27
	s_cbranch_vccnz .LBB215_737
.LBB215_736:
	v_max_num_f64_e64 v[6:7], s[8:9], s[8:9]
	v_max_num_f64_e32 v[0:1], v[0:1], v[0:1]
	s_delay_alu instid0(VALU_DEP_1)
	v_max_num_f64_e32 v[6:7], v[0:1], v[6:7]
.LBB215_737:
	s_delay_alu instid0(VALU_DEP_1)
	v_mov_b64_e32 v[0:1], v[6:7]
.LBB215_738:
	s_or_b32 exec_lo, exec_lo, s0
	v_mov_b32_e32 v3, 0
	s_and_b32 s27, s38, 0xff
	s_delay_alu instid0(SALU_CYCLE_1) | instskip(NEXT) | instid1(VALU_DEP_1)
	s_cmp_lt_i32 s27, 11
	v_add_nc_u64_e32 v[6:7], s[4:5], v[2:3]
	s_cbranch_scc1 .LBB215_747
; %bb.739:
	s_and_b32 s28, 0xffff, s27
	s_delay_alu instid0(SALU_CYCLE_1)
	s_cmp_gt_i32 s28, 25
	s_cbranch_scc0 .LBB215_748
; %bb.740:
	s_cmp_gt_i32 s28, 28
	s_cbranch_scc0 .LBB215_749
; %bb.741:
	;; [unrolled: 3-line block ×4, first 2 shown]
	s_mov_b32 s30, 0
	s_mov_b32 s0, -1
	s_cmp_eq_u32 s28, 46
	s_mov_b32 s29, 0
	s_cbranch_scc0 .LBB215_752
; %bb.744:
	v_cvt_f32_f64_e32 v2, v[0:1]
	s_mov_b32 s29, -1
	s_mov_b32 s0, 0
	s_delay_alu instid0(VALU_DEP_1) | instskip(SKIP_1) | instid1(VALU_DEP_2)
	v_bfe_u32 v3, v2, 16, 1
	v_cmp_o_f32_e32 vcc_lo, v2, v2
	v_add3_u32 v3, v2, v3, 0x7fff
	s_delay_alu instid0(VALU_DEP_1) | instskip(NEXT) | instid1(VALU_DEP_1)
	v_lshrrev_b32_e32 v3, 16, v3
	v_cndmask_b32_e32 v2, 0x7fc0, v3, vcc_lo
	global_store_b32 v[6:7], v2, off
	s_branch .LBB215_752
.LBB215_745:
	s_and_not1_b32 vcc_lo, exec_lo, s28
	s_cbranch_vccnz .LBB215_735
.LBB215_746:
	v_max_num_f64_e64 v[6:7], s[8:9], s[8:9]
	v_max_num_f64_e32 v[8:9], v[0:1], v[0:1]
	s_delay_alu instid0(VALU_DEP_1) | instskip(SKIP_1) | instid1(VALU_DEP_1)
	v_max_num_f64_e32 v[6:7], v[8:9], v[6:7]
	v_max_num_f64_e64 v[8:9], s[10:11], s[10:11]
	v_min_num_f64_e32 v[6:7], v[6:7], v[8:9]
	s_cbranch_execz .LBB215_736
	s_branch .LBB215_737
.LBB215_747:
	s_mov_b32 s28, -1
	s_mov_b32 s29, 0
	s_mov_b32 s0, s48
	s_branch .LBB215_821
.LBB215_748:
	s_mov_b32 s30, -1
	s_mov_b32 s29, 0
	s_mov_b32 s0, s48
	s_branch .LBB215_779
.LBB215_749:
	s_mov_b32 s30, -1
	s_mov_b32 s29, 0
	s_mov_b32 s0, s48
	s_branch .LBB215_762
.LBB215_750:
	s_mov_b32 s30, -1
	s_mov_b32 s29, 0
	s_mov_b32 s0, s48
	s_branch .LBB215_758
.LBB215_751:
	s_mov_b32 s30, -1
	s_mov_b32 s29, 0
	s_mov_b32 s0, s48
.LBB215_752:
	s_and_b32 vcc_lo, exec_lo, s30
	s_cbranch_vccz .LBB215_757
; %bb.753:
	s_cmp_eq_u32 s28, 44
	s_mov_b32 s0, -1
	s_cbranch_scc0 .LBB215_757
; %bb.754:
	s_wait_xcnt 0x0
	v_cvt_f32_f64_e32 v2, v[0:1]
	v_mov_b32_e32 v3, 0xff
	s_mov_b32 s29, exec_lo
	s_delay_alu instid0(VALU_DEP_2) | instskip(NEXT) | instid1(VALU_DEP_1)
	v_bfe_u32 v5, v2, 23, 8
	v_cmpx_ne_u32_e32 0xff, v5
	s_cbranch_execz .LBB215_756
; %bb.755:
	v_and_b32_e32 v3, 0x400000, v2
	v_and_or_b32 v5, 0x3fffff, v2, v5
	v_lshrrev_b32_e32 v2, 23, v2
	s_delay_alu instid0(VALU_DEP_3) | instskip(NEXT) | instid1(VALU_DEP_3)
	v_cmp_ne_u32_e32 vcc_lo, 0, v3
	v_cmp_ne_u32_e64 s0, 0, v5
	s_and_b32 s0, vcc_lo, s0
	s_delay_alu instid0(SALU_CYCLE_1) | instskip(NEXT) | instid1(VALU_DEP_1)
	v_cndmask_b32_e64 v3, 0, 1, s0
	v_add_nc_u32_e32 v3, v2, v3
.LBB215_756:
	s_or_b32 exec_lo, exec_lo, s29
	s_mov_b32 s29, -1
	s_mov_b32 s0, 0
	global_store_b8 v[6:7], v3, off
.LBB215_757:
	s_mov_b32 s30, 0
.LBB215_758:
	s_delay_alu instid0(SALU_CYCLE_1)
	s_and_b32 vcc_lo, exec_lo, s30
	s_cbranch_vccz .LBB215_761
; %bb.759:
	s_cmp_eq_u32 s28, 29
	s_mov_b32 s0, -1
	s_cbranch_scc0 .LBB215_761
; %bb.760:
	s_wait_xcnt 0x0
	v_trunc_f64_e32 v[2:3], v[0:1]
	s_mov_b32 s29, -1
	s_mov_b32 s0, 0
	s_mov_b32 s30, 0
	s_delay_alu instid0(VALU_DEP_1) | instskip(NEXT) | instid1(VALU_DEP_1)
	v_ldexp_f64 v[8:9], v[2:3], 0xffffffe0
	v_floor_f64_e32 v[8:9], v[8:9]
	s_delay_alu instid0(VALU_DEP_1) | instskip(SKIP_1) | instid1(VALU_DEP_2)
	v_fmamk_f64 v[2:3], v[8:9], 0xc1f00000, v[2:3]
	v_cvt_u32_f64_e32 v9, v[8:9]
	v_cvt_u32_f64_e32 v8, v[2:3]
	global_store_b64 v[6:7], v[8:9], off
	s_branch .LBB215_762
.LBB215_761:
	s_mov_b32 s30, 0
.LBB215_762:
	s_delay_alu instid0(SALU_CYCLE_1)
	s_and_b32 vcc_lo, exec_lo, s30
	s_cbranch_vccz .LBB215_778
; %bb.763:
	s_cmp_lt_i32 s28, 27
	s_mov_b32 s29, -1
	s_cbranch_scc1 .LBB215_769
; %bb.764:
	s_wait_xcnt 0x0
	v_cvt_u32_f64_e32 v2, v[0:1]
	s_cmp_gt_i32 s28, 27
	s_cbranch_scc0 .LBB215_766
; %bb.765:
	s_mov_b32 s29, 0
	global_store_b32 v[6:7], v2, off
.LBB215_766:
	s_and_not1_b32 vcc_lo, exec_lo, s29
	s_cbranch_vccnz .LBB215_768
; %bb.767:
	global_store_b16 v[6:7], v2, off
.LBB215_768:
	s_mov_b32 s29, 0
.LBB215_769:
	s_delay_alu instid0(SALU_CYCLE_1)
	s_and_not1_b32 vcc_lo, exec_lo, s29
	s_cbranch_vccnz .LBB215_777
; %bb.770:
	s_wait_xcnt 0x0
	v_cvt_f32_f64_e32 v2, v[0:1]
	v_mov_b32_e32 v5, 0x80
	s_mov_b32 s29, exec_lo
	s_delay_alu instid0(VALU_DEP_2) | instskip(NEXT) | instid1(VALU_DEP_1)
	v_and_b32_e32 v3, 0x7fffffff, v2
	v_cmpx_gt_u32_e32 0x43800000, v3
	s_cbranch_execz .LBB215_776
; %bb.771:
	v_cmp_lt_u32_e32 vcc_lo, 0x3bffffff, v3
	s_mov_b32 s30, 0
                                        ; implicit-def: $vgpr3
	s_and_saveexec_b32 s31, vcc_lo
	s_delay_alu instid0(SALU_CYCLE_1)
	s_xor_b32 s31, exec_lo, s31
	s_cbranch_execz .LBB215_895
; %bb.772:
	v_bfe_u32 v3, v2, 20, 1
	s_mov_b32 s30, exec_lo
	s_delay_alu instid0(VALU_DEP_1) | instskip(NEXT) | instid1(VALU_DEP_1)
	v_add3_u32 v3, v2, v3, 0x487ffff
	v_lshrrev_b32_e32 v3, 20, v3
	s_and_not1_saveexec_b32 s31, s31
	s_cbranch_execnz .LBB215_896
.LBB215_773:
	s_or_b32 exec_lo, exec_lo, s31
	v_mov_b32_e32 v5, 0
	s_and_saveexec_b32 s31, s30
.LBB215_774:
	v_lshrrev_b32_e32 v2, 24, v2
	s_delay_alu instid0(VALU_DEP_1)
	v_and_or_b32 v5, 0x80, v2, v3
.LBB215_775:
	s_or_b32 exec_lo, exec_lo, s31
.LBB215_776:
	s_delay_alu instid0(SALU_CYCLE_1)
	s_or_b32 exec_lo, exec_lo, s29
	global_store_b8 v[6:7], v5, off
.LBB215_777:
	s_mov_b32 s29, -1
.LBB215_778:
	s_mov_b32 s30, 0
.LBB215_779:
	s_delay_alu instid0(SALU_CYCLE_1)
	s_and_b32 vcc_lo, exec_lo, s30
	s_cbranch_vccz .LBB215_820
; %bb.780:
	s_cmp_gt_i32 s28, 22
	s_mov_b32 s30, -1
	s_cbranch_scc0 .LBB215_812
; %bb.781:
	s_cmp_lt_i32 s28, 24
	s_mov_b32 s29, -1
	s_cbranch_scc1 .LBB215_801
; %bb.782:
	s_cmp_gt_i32 s28, 24
	s_cbranch_scc0 .LBB215_790
; %bb.783:
	s_wait_xcnt 0x0
	v_cvt_f32_f64_e32 v2, v[0:1]
	v_mov_b32_e32 v5, 0x80
	s_mov_b32 s29, exec_lo
	s_delay_alu instid0(VALU_DEP_2) | instskip(NEXT) | instid1(VALU_DEP_1)
	v_and_b32_e32 v3, 0x7fffffff, v2
	v_cmpx_gt_u32_e32 0x47800000, v3
	s_cbranch_execz .LBB215_789
; %bb.784:
	v_cmp_lt_u32_e32 vcc_lo, 0x37ffffff, v3
	s_mov_b32 s30, 0
                                        ; implicit-def: $vgpr3
	s_and_saveexec_b32 s31, vcc_lo
	s_delay_alu instid0(SALU_CYCLE_1)
	s_xor_b32 s31, exec_lo, s31
	s_cbranch_execz .LBB215_898
; %bb.785:
	v_bfe_u32 v3, v2, 21, 1
	s_mov_b32 s30, exec_lo
	s_delay_alu instid0(VALU_DEP_1) | instskip(NEXT) | instid1(VALU_DEP_1)
	v_add3_u32 v3, v2, v3, 0x88fffff
	v_lshrrev_b32_e32 v3, 21, v3
	s_and_not1_saveexec_b32 s31, s31
	s_cbranch_execnz .LBB215_899
.LBB215_786:
	s_or_b32 exec_lo, exec_lo, s31
	v_mov_b32_e32 v5, 0
	s_and_saveexec_b32 s31, s30
.LBB215_787:
	v_lshrrev_b32_e32 v2, 24, v2
	s_delay_alu instid0(VALU_DEP_1)
	v_and_or_b32 v5, 0x80, v2, v3
.LBB215_788:
	s_or_b32 exec_lo, exec_lo, s31
.LBB215_789:
	s_delay_alu instid0(SALU_CYCLE_1)
	s_or_b32 exec_lo, exec_lo, s29
	s_mov_b32 s29, 0
	global_store_b8 v[6:7], v5, off
.LBB215_790:
	s_and_b32 vcc_lo, exec_lo, s29
	s_cbranch_vccz .LBB215_800
; %bb.791:
	s_wait_xcnt 0x0
	v_cvt_f32_f64_e32 v2, v[0:1]
	s_mov_b32 s29, exec_lo
                                        ; implicit-def: $vgpr3
	s_delay_alu instid0(VALU_DEP_1) | instskip(NEXT) | instid1(VALU_DEP_1)
	v_and_b32_e32 v5, 0x7fffffff, v2
	v_cmpx_gt_u32_e32 0x43f00000, v5
	s_xor_b32 s29, exec_lo, s29
	s_cbranch_execz .LBB215_797
; %bb.792:
	s_mov_b32 s30, exec_lo
                                        ; implicit-def: $vgpr3
	v_cmpx_lt_u32_e32 0x3c7fffff, v5
	s_xor_b32 s30, exec_lo, s30
; %bb.793:
	v_bfe_u32 v3, v2, 20, 1
	s_delay_alu instid0(VALU_DEP_1) | instskip(NEXT) | instid1(VALU_DEP_1)
	v_add3_u32 v3, v2, v3, 0x407ffff
	v_and_b32_e32 v5, 0xff00000, v3
	v_lshrrev_b32_e32 v3, 20, v3
	s_delay_alu instid0(VALU_DEP_2) | instskip(NEXT) | instid1(VALU_DEP_2)
	v_cmp_ne_u32_e32 vcc_lo, 0x7f00000, v5
	v_cndmask_b32_e32 v3, 0x7e, v3, vcc_lo
; %bb.794:
	s_and_not1_saveexec_b32 s30, s30
; %bb.795:
	v_add_f32_e64 v3, 0x46800000, |v2|
; %bb.796:
	s_or_b32 exec_lo, exec_lo, s30
                                        ; implicit-def: $vgpr5
.LBB215_797:
	s_and_not1_saveexec_b32 s29, s29
; %bb.798:
	v_mov_b32_e32 v3, 0x7f
	v_cmp_lt_u32_e32 vcc_lo, 0x7f800000, v5
	s_delay_alu instid0(VALU_DEP_2)
	v_cndmask_b32_e32 v3, 0x7e, v3, vcc_lo
; %bb.799:
	s_or_b32 exec_lo, exec_lo, s29
	v_lshrrev_b32_e32 v2, 24, v2
	s_delay_alu instid0(VALU_DEP_1)
	v_and_or_b32 v2, 0x80, v2, v3
	global_store_b8 v[6:7], v2, off
.LBB215_800:
	s_mov_b32 s29, 0
.LBB215_801:
	s_delay_alu instid0(SALU_CYCLE_1)
	s_and_not1_b32 vcc_lo, exec_lo, s29
	s_cbranch_vccnz .LBB215_811
; %bb.802:
	s_wait_xcnt 0x0
	v_cvt_f32_f64_e32 v2, v[0:1]
	s_mov_b32 s29, exec_lo
                                        ; implicit-def: $vgpr3
	s_delay_alu instid0(VALU_DEP_1) | instskip(NEXT) | instid1(VALU_DEP_1)
	v_and_b32_e32 v5, 0x7fffffff, v2
	v_cmpx_gt_u32_e32 0x47800000, v5
	s_xor_b32 s29, exec_lo, s29
	s_cbranch_execz .LBB215_808
; %bb.803:
	s_mov_b32 s30, exec_lo
                                        ; implicit-def: $vgpr3
	v_cmpx_lt_u32_e32 0x387fffff, v5
	s_xor_b32 s30, exec_lo, s30
; %bb.804:
	v_bfe_u32 v3, v2, 21, 1
	s_delay_alu instid0(VALU_DEP_1) | instskip(NEXT) | instid1(VALU_DEP_1)
	v_add3_u32 v3, v2, v3, 0x80fffff
	v_lshrrev_b32_e32 v3, 21, v3
; %bb.805:
	s_and_not1_saveexec_b32 s30, s30
; %bb.806:
	v_add_f32_e64 v3, 0x43000000, |v2|
; %bb.807:
	s_or_b32 exec_lo, exec_lo, s30
                                        ; implicit-def: $vgpr5
.LBB215_808:
	s_and_not1_saveexec_b32 s29, s29
; %bb.809:
	v_mov_b32_e32 v3, 0x7f
	v_cmp_lt_u32_e32 vcc_lo, 0x7f800000, v5
	s_delay_alu instid0(VALU_DEP_2)
	v_cndmask_b32_e32 v3, 0x7c, v3, vcc_lo
; %bb.810:
	s_or_b32 exec_lo, exec_lo, s29
	v_lshrrev_b32_e32 v2, 24, v2
	s_delay_alu instid0(VALU_DEP_1)
	v_and_or_b32 v2, 0x80, v2, v3
	global_store_b8 v[6:7], v2, off
.LBB215_811:
	s_mov_b32 s30, 0
	s_mov_b32 s29, -1
.LBB215_812:
	s_and_not1_b32 vcc_lo, exec_lo, s30
	s_cbranch_vccnz .LBB215_820
; %bb.813:
	s_cmp_gt_i32 s28, 14
	s_mov_b32 s30, -1
	s_cbranch_scc0 .LBB215_817
; %bb.814:
	s_cmp_eq_u32 s28, 15
	s_mov_b32 s0, -1
	s_cbranch_scc0 .LBB215_816
; %bb.815:
	s_wait_xcnt 0x0
	v_cvt_f32_f64_e32 v2, v[0:1]
	s_mov_b32 s29, -1
	s_mov_b32 s0, 0
	s_delay_alu instid0(VALU_DEP_1) | instskip(SKIP_1) | instid1(VALU_DEP_2)
	v_bfe_u32 v3, v2, 16, 1
	v_cmp_o_f32_e32 vcc_lo, v2, v2
	v_add3_u32 v3, v2, v3, 0x7fff
	s_delay_alu instid0(VALU_DEP_1) | instskip(NEXT) | instid1(VALU_DEP_1)
	v_lshrrev_b32_e32 v3, 16, v3
	v_cndmask_b32_e32 v2, 0x7fc0, v3, vcc_lo
	global_store_b16 v[6:7], v2, off
.LBB215_816:
	s_mov_b32 s30, 0
.LBB215_817:
	s_delay_alu instid0(SALU_CYCLE_1)
	s_and_b32 vcc_lo, exec_lo, s30
	s_cbranch_vccz .LBB215_820
; %bb.818:
	s_cmp_eq_u32 s28, 11
	s_mov_b32 s0, -1
	s_cbranch_scc0 .LBB215_820
; %bb.819:
	v_cmp_neq_f64_e32 vcc_lo, 0, v[0:1]
	s_mov_b32 s29, -1
	s_mov_b32 s0, 0
	s_wait_xcnt 0x0
	v_cndmask_b32_e64 v2, 0, 1, vcc_lo
	global_store_b8 v[6:7], v2, off
.LBB215_820:
	s_mov_b32 s28, 0
.LBB215_821:
	s_delay_alu instid0(SALU_CYCLE_1)
	s_and_b32 vcc_lo, exec_lo, s28
	s_cbranch_vccz .LBB215_860
; %bb.822:
	s_and_b32 s27, 0xffff, s27
	s_mov_b32 s28, -1
	s_cmp_lt_i32 s27, 5
	s_cbranch_scc1 .LBB215_843
; %bb.823:
	s_cmp_lt_i32 s27, 8
	s_cbranch_scc1 .LBB215_833
; %bb.824:
	;; [unrolled: 3-line block ×3, first 2 shown]
	s_cmp_gt_i32 s27, 9
	s_cbranch_scc0 .LBB215_827
; %bb.826:
	s_wait_xcnt 0x0
	v_mov_b32_e32 v2, 0
	s_mov_b32 s28, 0
	s_delay_alu instid0(VALU_DEP_1)
	v_mov_b32_e32 v3, v2
	global_store_b128 v[6:7], v[0:3], off
.LBB215_827:
	s_and_not1_b32 vcc_lo, exec_lo, s28
	s_cbranch_vccnz .LBB215_829
; %bb.828:
	s_wait_xcnt 0x0
	v_cvt_f32_f64_e32 v2, v[0:1]
	v_mov_b32_e32 v3, 0
	global_store_b64 v[6:7], v[2:3], off
.LBB215_829:
	s_mov_b32 s28, 0
.LBB215_830:
	s_delay_alu instid0(SALU_CYCLE_1)
	s_and_not1_b32 vcc_lo, exec_lo, s28
	s_cbranch_vccnz .LBB215_832
; %bb.831:
	s_wait_xcnt 0x0
	v_and_or_b32 v2, 0x1ff, v1, v0
	v_lshrrev_b32_e32 v3, 8, v1
	v_bfe_u32 v5, v1, 20, 11
	s_delay_alu instid0(VALU_DEP_3) | instskip(NEXT) | instid1(VALU_DEP_2)
	v_cmp_ne_u32_e32 vcc_lo, 0, v2
	v_sub_nc_u32_e32 v8, 0x3f1, v5
	v_add_nc_u32_e32 v5, 0xfffffc10, v5
	v_cndmask_b32_e64 v2, 0, 1, vcc_lo
	s_delay_alu instid0(VALU_DEP_1) | instskip(NEXT) | instid1(VALU_DEP_4)
	v_and_or_b32 v2, 0xffe, v3, v2
	v_med3_i32 v3, v8, 0, 13
	s_delay_alu instid0(VALU_DEP_2) | instskip(NEXT) | instid1(VALU_DEP_1)
	v_or_b32_e32 v8, 0x1000, v2
	v_lshrrev_b32_e32 v9, v3, v8
	s_delay_alu instid0(VALU_DEP_1) | instskip(NEXT) | instid1(VALU_DEP_1)
	v_lshlrev_b32_e32 v3, v3, v9
	v_cmp_ne_u32_e32 vcc_lo, v3, v8
	v_lshl_or_b32 v8, v5, 12, v2
	v_cndmask_b32_e64 v3, 0, 1, vcc_lo
	v_cmp_gt_i32_e32 vcc_lo, 1, v5
	s_delay_alu instid0(VALU_DEP_2) | instskip(NEXT) | instid1(VALU_DEP_1)
	v_or_b32_e32 v3, v9, v3
	v_cndmask_b32_e32 v3, v8, v3, vcc_lo
	s_delay_alu instid0(VALU_DEP_1) | instskip(NEXT) | instid1(VALU_DEP_1)
	v_dual_lshrrev_b32 v3, 2, v3 :: v_dual_bitop2_b32 v8, 7, v3 bitop3:0x40
	v_cmp_lt_i32_e32 vcc_lo, 5, v8
	v_cndmask_b32_e64 v9, 0, 1, vcc_lo
	v_cmp_eq_u32_e32 vcc_lo, 3, v8
	v_cndmask_b32_e64 v8, 0, 1, vcc_lo
	v_cmp_ne_u32_e32 vcc_lo, 0, v2
	s_delay_alu instid0(VALU_DEP_2) | instskip(SKIP_1) | instid1(VALU_DEP_1)
	v_or_b32_e32 v8, v8, v9
	v_mov_b32_e32 v9, 0x7e00
	v_dual_cndmask_b32 v2, 0x7c00, v9 :: v_dual_add_nc_u32 v3, v3, v8
	v_cmp_gt_i32_e32 vcc_lo, 31, v5
	s_delay_alu instid0(VALU_DEP_2) | instskip(SKIP_1) | instid1(VALU_DEP_2)
	v_dual_cndmask_b32 v3, 0x7c00, v3 :: v_dual_lshrrev_b32 v8, 16, v1
	v_cmp_eq_u32_e32 vcc_lo, 0x40f, v5
	v_cndmask_b32_e32 v2, v3, v2, vcc_lo
	s_delay_alu instid0(VALU_DEP_3) | instskip(NEXT) | instid1(VALU_DEP_1)
	v_and_b32_e32 v3, 0x8000, v8
	v_bitop3_b32 v2, v3, 0xffff, v2 bitop3:0xc8
	global_store_b32 v[6:7], v2, off
.LBB215_832:
	s_mov_b32 s28, 0
.LBB215_833:
	s_delay_alu instid0(SALU_CYCLE_1)
	s_and_not1_b32 vcc_lo, exec_lo, s28
	s_cbranch_vccnz .LBB215_842
; %bb.834:
	s_cmp_lt_i32 s27, 6
	s_mov_b32 s28, -1
	s_cbranch_scc1 .LBB215_840
; %bb.835:
	s_cmp_gt_i32 s27, 6
	s_cbranch_scc0 .LBB215_837
; %bb.836:
	s_mov_b32 s28, 0
	global_store_b64 v[6:7], v[0:1], off
.LBB215_837:
	s_and_not1_b32 vcc_lo, exec_lo, s28
	s_cbranch_vccnz .LBB215_839
; %bb.838:
	s_wait_xcnt 0x0
	v_cvt_f32_f64_e32 v2, v[0:1]
	global_store_b32 v[6:7], v2, off
.LBB215_839:
	s_mov_b32 s28, 0
.LBB215_840:
	s_delay_alu instid0(SALU_CYCLE_1)
	s_and_not1_b32 vcc_lo, exec_lo, s28
	s_cbranch_vccnz .LBB215_842
; %bb.841:
	s_wait_xcnt 0x0
	v_and_or_b32 v2, 0x1ff, v1, v0
	v_lshrrev_b32_e32 v3, 8, v1
	v_bfe_u32 v5, v1, 20, 11
	s_delay_alu instid0(VALU_DEP_3) | instskip(NEXT) | instid1(VALU_DEP_2)
	v_cmp_ne_u32_e32 vcc_lo, 0, v2
	v_sub_nc_u32_e32 v8, 0x3f1, v5
	v_add_nc_u32_e32 v5, 0xfffffc10, v5
	v_cndmask_b32_e64 v2, 0, 1, vcc_lo
	s_delay_alu instid0(VALU_DEP_1) | instskip(NEXT) | instid1(VALU_DEP_4)
	v_and_or_b32 v2, 0xffe, v3, v2
	v_med3_i32 v3, v8, 0, 13
	s_delay_alu instid0(VALU_DEP_2) | instskip(NEXT) | instid1(VALU_DEP_1)
	v_or_b32_e32 v8, 0x1000, v2
	v_lshrrev_b32_e32 v9, v3, v8
	s_delay_alu instid0(VALU_DEP_1) | instskip(NEXT) | instid1(VALU_DEP_1)
	v_lshlrev_b32_e32 v3, v3, v9
	v_cmp_ne_u32_e32 vcc_lo, v3, v8
	v_lshl_or_b32 v8, v5, 12, v2
	v_cndmask_b32_e64 v3, 0, 1, vcc_lo
	v_cmp_gt_i32_e32 vcc_lo, 1, v5
	s_delay_alu instid0(VALU_DEP_2) | instskip(NEXT) | instid1(VALU_DEP_1)
	v_or_b32_e32 v3, v9, v3
	v_cndmask_b32_e32 v3, v8, v3, vcc_lo
	s_delay_alu instid0(VALU_DEP_1) | instskip(NEXT) | instid1(VALU_DEP_1)
	v_dual_lshrrev_b32 v3, 2, v3 :: v_dual_bitop2_b32 v8, 7, v3 bitop3:0x40
	v_cmp_lt_i32_e32 vcc_lo, 5, v8
	v_cndmask_b32_e64 v9, 0, 1, vcc_lo
	v_cmp_eq_u32_e32 vcc_lo, 3, v8
	v_cndmask_b32_e64 v8, 0, 1, vcc_lo
	v_cmp_ne_u32_e32 vcc_lo, 0, v2
	s_delay_alu instid0(VALU_DEP_2) | instskip(SKIP_1) | instid1(VALU_DEP_1)
	v_or_b32_e32 v8, v8, v9
	v_mov_b32_e32 v9, 0x7e00
	v_dual_cndmask_b32 v2, 0x7c00, v9 :: v_dual_add_nc_u32 v3, v3, v8
	v_cmp_gt_i32_e32 vcc_lo, 31, v5
	s_delay_alu instid0(VALU_DEP_2) | instskip(SKIP_1) | instid1(VALU_DEP_2)
	v_cndmask_b32_e32 v3, 0x7c00, v3, vcc_lo
	v_cmp_eq_u32_e32 vcc_lo, 0x40f, v5
	v_dual_cndmask_b32 v2, v3, v2 :: v_dual_lshrrev_b32 v3, 16, v1
	s_delay_alu instid0(VALU_DEP_1)
	v_and_or_b32 v2, 0x8000, v3, v2
	global_store_b16 v[6:7], v2, off
.LBB215_842:
	s_mov_b32 s28, 0
.LBB215_843:
	s_delay_alu instid0(SALU_CYCLE_1)
	s_and_not1_b32 vcc_lo, exec_lo, s28
	s_cbranch_vccnz .LBB215_859
; %bb.844:
	s_cmp_lt_i32 s27, 2
	s_mov_b32 s28, -1
	s_cbranch_scc1 .LBB215_854
; %bb.845:
	s_cmp_lt_i32 s27, 3
	s_cbranch_scc1 .LBB215_851
; %bb.846:
	s_cmp_gt_i32 s27, 3
	s_cbranch_scc0 .LBB215_848
; %bb.847:
	s_wait_xcnt 0x0
	v_trunc_f64_e32 v[2:3], v[0:1]
	s_mov_b32 s28, 0
	s_delay_alu instid0(VALU_DEP_1) | instskip(NEXT) | instid1(VALU_DEP_1)
	v_ldexp_f64 v[8:9], v[2:3], 0xffffffe0
	v_floor_f64_e32 v[8:9], v[8:9]
	s_delay_alu instid0(VALU_DEP_1) | instskip(SKIP_1) | instid1(VALU_DEP_2)
	v_fmamk_f64 v[2:3], v[8:9], 0xc1f00000, v[2:3]
	v_cvt_i32_f64_e32 v9, v[8:9]
	v_cvt_u32_f64_e32 v8, v[2:3]
	global_store_b64 v[6:7], v[8:9], off
.LBB215_848:
	s_and_not1_b32 vcc_lo, exec_lo, s28
	s_cbranch_vccnz .LBB215_850
; %bb.849:
	s_wait_xcnt 0x0
	v_cvt_i32_f64_e32 v2, v[0:1]
	global_store_b32 v[6:7], v2, off
.LBB215_850:
	s_mov_b32 s28, 0
.LBB215_851:
	s_delay_alu instid0(SALU_CYCLE_1)
	s_and_not1_b32 vcc_lo, exec_lo, s28
	s_cbranch_vccnz .LBB215_853
; %bb.852:
	s_wait_xcnt 0x0
	v_cvt_i32_f64_e32 v2, v[0:1]
	global_store_b16 v[6:7], v2, off
.LBB215_853:
	s_mov_b32 s28, 0
.LBB215_854:
	s_delay_alu instid0(SALU_CYCLE_1)
	s_and_not1_b32 vcc_lo, exec_lo, s28
	s_cbranch_vccnz .LBB215_859
; %bb.855:
	s_cmp_gt_i32 s27, 0
	s_mov_b32 s27, -1
	s_cbranch_scc0 .LBB215_857
; %bb.856:
	s_wait_xcnt 0x0
	v_cvt_i32_f64_e32 v2, v[0:1]
	s_mov_b32 s27, 0
	global_store_b8 v[6:7], v2, off
.LBB215_857:
	s_and_not1_b32 vcc_lo, exec_lo, s27
	s_cbranch_vccnz .LBB215_859
; %bb.858:
	s_wait_xcnt 0x0
	v_trunc_f64_e32 v[0:1], v[0:1]
	s_delay_alu instid0(VALU_DEP_1) | instskip(NEXT) | instid1(VALU_DEP_1)
	v_ldexp_f64 v[2:3], v[0:1], 0xffffffe0
	v_floor_f64_e32 v[2:3], v[2:3]
	s_delay_alu instid0(VALU_DEP_1) | instskip(NEXT) | instid1(VALU_DEP_1)
	v_fmamk_f64 v[0:1], v[2:3], 0xc1f00000, v[0:1]
	v_cvt_u32_f64_e32 v0, v[0:1]
	global_store_b8 v[6:7], v0, off
.LBB215_859:
	s_mov_b32 s29, -1
.LBB215_860:
	s_delay_alu instid0(SALU_CYCLE_1)
	s_and_not1_b32 vcc_lo, exec_lo, s29
	s_cbranch_vccnz .LBB215_862
; %bb.861:
	v_add_nc_u32_e32 v4, 0x80, v4
	s_mov_b32 s27, -1
	s_branch .LBB215_864
.LBB215_862:
	s_mov_b32 s27, 0
.LBB215_863:
                                        ; implicit-def: $vgpr4
.LBB215_864:
	s_and_not1_b32 s28, s48, exec_lo
	s_and_b32 s0, s0, exec_lo
	s_and_not1_b32 s29, s47, exec_lo
	s_and_b32 s26, s26, exec_lo
	s_or_b32 s30, s28, s0
	s_or_b32 s0, s29, s26
	s_or_not1_b32 s29, s27, exec_lo
.LBB215_865:
	s_wait_xcnt 0x0
	s_or_b32 exec_lo, exec_lo, s50
	s_mov_b32 s27, 0
	s_mov_b32 s26, 0
	;; [unrolled: 1-line block ×3, first 2 shown]
                                        ; implicit-def: $vgpr6_vgpr7
                                        ; implicit-def: $vgpr2
                                        ; implicit-def: $vgpr0_vgpr1
	s_and_saveexec_b32 s31, s29
	s_cbranch_execz .LBB215_967
; %bb.866:
	v_cmp_gt_i32_e32 vcc_lo, s41, v4
	s_mov_b32 s29, s0
                                        ; implicit-def: $vgpr6_vgpr7
                                        ; implicit-def: $vgpr2
                                        ; implicit-def: $vgpr0_vgpr1
	s_and_saveexec_b32 s41, vcc_lo
	s_cbranch_execz .LBB215_966
; %bb.867:
	s_and_not1_b32 vcc_lo, exec_lo, s36
	s_cbranch_vccnz .LBB215_873
; %bb.868:
	s_and_not1_b32 vcc_lo, exec_lo, s43
	s_cbranch_vccnz .LBB215_874
; %bb.869:
	s_add_co_i32 s42, s42, 1
	s_cmp_eq_u32 s34, 2
	s_cbranch_scc1 .LBB215_875
; %bb.870:
	s_wait_loadcnt 0x0
	v_dual_mov_b32 v2, 0 :: v_dual_mov_b32 v0, 0
	v_mov_b32_e32 v1, v4
	s_and_b32 s26, s42, 28
	s_mov_b64 s[28:29], s[2:3]
.LBB215_871:                            ; =>This Inner Loop Header: Depth=1
	s_clause 0x1
	s_load_b256 s[52:59], s[28:29], 0x4
	s_load_b128 s[68:71], s[28:29], 0x24
	s_load_b256 s[60:67], s[24:25], 0x0
	s_add_co_i32 s27, s27, 4
	s_wait_xcnt 0x0
	s_add_nc_u64 s[28:29], s[28:29], 48
	s_cmp_eq_u32 s26, s27
	s_add_nc_u64 s[24:25], s[24:25], 32
	s_wait_kmcnt 0x0
	v_mul_hi_u32 v3, s53, v1
	s_delay_alu instid0(VALU_DEP_1) | instskip(NEXT) | instid1(VALU_DEP_1)
	v_add_nc_u32_e32 v3, v1, v3
	v_lshrrev_b32_e32 v3, s54, v3
	s_delay_alu instid0(VALU_DEP_1) | instskip(NEXT) | instid1(VALU_DEP_1)
	v_mul_hi_u32 v5, s56, v3
	v_add_nc_u32_e32 v5, v3, v5
	s_delay_alu instid0(VALU_DEP_1) | instskip(NEXT) | instid1(VALU_DEP_1)
	v_lshrrev_b32_e32 v5, s57, v5
	v_mul_hi_u32 v6, s59, v5
	s_delay_alu instid0(VALU_DEP_1) | instskip(SKIP_1) | instid1(VALU_DEP_1)
	v_add_nc_u32_e32 v6, v5, v6
	v_mul_lo_u32 v7, v3, s52
	v_sub_nc_u32_e32 v1, v1, v7
	v_mul_lo_u32 v7, v5, s55
	s_delay_alu instid0(VALU_DEP_4) | instskip(NEXT) | instid1(VALU_DEP_3)
	v_lshrrev_b32_e32 v6, s68, v6
	v_mad_u32 v0, v1, s61, v0
	v_mad_u32 v1, v1, s60, v2
	s_delay_alu instid0(VALU_DEP_4) | instskip(NEXT) | instid1(VALU_DEP_4)
	v_sub_nc_u32_e32 v2, v3, v7
	v_mul_hi_u32 v8, s70, v6
	v_mul_lo_u32 v3, v6, s58
	s_delay_alu instid0(VALU_DEP_3) | instskip(SKIP_1) | instid1(VALU_DEP_3)
	v_mad_u32 v0, v2, s63, v0
	v_mad_u32 v2, v2, s62, v1
	v_dual_add_nc_u32 v7, v6, v8 :: v_dual_sub_nc_u32 v3, v5, v3
	s_delay_alu instid0(VALU_DEP_1) | instskip(NEXT) | instid1(VALU_DEP_2)
	v_lshrrev_b32_e32 v1, s71, v7
	v_mad_u32 v0, v3, s65, v0
	s_delay_alu instid0(VALU_DEP_4) | instskip(NEXT) | instid1(VALU_DEP_3)
	v_mad_u32 v2, v3, s64, v2
	v_mul_lo_u32 v5, v1, s69
	s_delay_alu instid0(VALU_DEP_1) | instskip(NEXT) | instid1(VALU_DEP_1)
	v_sub_nc_u32_e32 v3, v6, v5
	v_mad_u32 v0, v3, s67, v0
	s_delay_alu instid0(VALU_DEP_4)
	v_mad_u32 v2, v3, s66, v2
	s_cbranch_scc0 .LBB215_871
; %bb.872:
	s_delay_alu instid0(VALU_DEP_2)
	v_mov_b32_e32 v3, v0
	s_branch .LBB215_876
.LBB215_873:
	s_mov_b32 s24, -1
                                        ; implicit-def: $vgpr0
                                        ; implicit-def: $vgpr2
	s_branch .LBB215_881
.LBB215_874:
	s_wait_loadcnt 0x0
	v_dual_mov_b32 v0, 0 :: v_dual_mov_b32 v2, 0
	s_branch .LBB215_880
.LBB215_875:
	v_mov_b64_e32 v[2:3], 0
	s_wait_loadcnt 0x0
	v_mov_b32_e32 v1, v4
                                        ; implicit-def: $vgpr0
.LBB215_876:
	s_and_b32 s28, s42, 3
	s_mov_b32 s27, 0
	s_cmp_eq_u32 s28, 0
	s_cbranch_scc1 .LBB215_880
; %bb.877:
	s_lshl_b32 s24, s26, 3
	s_mov_b32 s25, s27
	s_mul_u64 s[26:27], s[26:27], 12
	s_add_nc_u64 s[24:25], s[2:3], s[24:25]
	s_add_nc_u64 s[26:27], s[2:3], s[26:27]
	;; [unrolled: 1-line block ×3, first 2 shown]
.LBB215_878:                            ; =>This Inner Loop Header: Depth=1
	s_load_b96 s[52:54], s[26:27], 0x4
	s_load_b64 s[42:43], s[24:25], 0x0
	s_add_co_i32 s28, s28, -1
	s_wait_xcnt 0x0
	s_add_nc_u64 s[26:27], s[26:27], 12
	s_cmp_lg_u32 s28, 0
	s_add_nc_u64 s[24:25], s[24:25], 8
	s_wait_kmcnt 0x0
	v_mul_hi_u32 v0, s53, v1
	s_delay_alu instid0(VALU_DEP_1) | instskip(NEXT) | instid1(VALU_DEP_1)
	v_add_nc_u32_e32 v0, v1, v0
	v_lshrrev_b32_e32 v0, s54, v0
	s_delay_alu instid0(VALU_DEP_1) | instskip(NEXT) | instid1(VALU_DEP_1)
	v_mul_lo_u32 v5, v0, s52
	v_sub_nc_u32_e32 v1, v1, v5
	s_delay_alu instid0(VALU_DEP_1)
	v_mad_u32 v3, v1, s43, v3
	v_mad_u32 v2, v1, s42, v2
	v_mov_b32_e32 v1, v0
	s_cbranch_scc1 .LBB215_878
; %bb.879:
	s_delay_alu instid0(VALU_DEP_3)
	v_mov_b32_e32 v0, v3
.LBB215_880:
	s_mov_b32 s24, 0
.LBB215_881:
	s_delay_alu instid0(SALU_CYCLE_1)
	s_and_not1_b32 vcc_lo, exec_lo, s24
	s_cbranch_vccnz .LBB215_884
; %bb.882:
	v_mov_b32_e32 v5, 0
	s_and_not1_b32 vcc_lo, exec_lo, s40
	s_wait_loadcnt 0x0
	s_delay_alu instid0(VALU_DEP_1) | instskip(NEXT) | instid1(VALU_DEP_1)
	v_mul_u64_e32 v[0:1], s[20:21], v[4:5]
	v_add_nc_u32_e32 v0, v4, v1
	s_delay_alu instid0(VALU_DEP_1) | instskip(NEXT) | instid1(VALU_DEP_1)
	v_lshrrev_b32_e32 v6, s14, v0
	v_mul_lo_u32 v0, v6, s12
	s_delay_alu instid0(VALU_DEP_1) | instskip(NEXT) | instid1(VALU_DEP_1)
	v_sub_nc_u32_e32 v1, v4, v0
	v_mul_lo_u32 v0, v1, s17
	v_mul_lo_u32 v2, v1, s16
	s_cbranch_vccnz .LBB215_884
; %bb.883:
	v_mov_b32_e32 v7, v5
	s_delay_alu instid0(VALU_DEP_1) | instskip(NEXT) | instid1(VALU_DEP_1)
	v_mul_u64_e32 v[4:5], s[22:23], v[6:7]
	v_add_nc_u32_e32 v1, v6, v5
	s_delay_alu instid0(VALU_DEP_1) | instskip(NEXT) | instid1(VALU_DEP_1)
	v_lshrrev_b32_e32 v1, s1, v1
	v_mul_lo_u32 v1, v1, s15
	s_delay_alu instid0(VALU_DEP_1) | instskip(NEXT) | instid1(VALU_DEP_1)
	v_sub_nc_u32_e32 v1, v6, v1
	v_mad_u32 v2, v1, s18, v2
	v_mad_u32 v0, v1, s19, v0
.LBB215_884:
	s_wait_loadcnt 0x0
	v_mov_b32_e32 v1, 0
	s_and_b32 s1, 0xffff, s13
	s_delay_alu instid0(SALU_CYCLE_1) | instskip(NEXT) | instid1(VALU_DEP_1)
	s_cmp_lt_i32 s1, 11
	v_add_nc_u64_e32 v[6:7], s[6:7], v[0:1]
	s_cbranch_scc1 .LBB215_891
; %bb.885:
	s_cmp_gt_i32 s1, 25
	s_mov_b32 s7, 0
	s_cbranch_scc0 .LBB215_892
; %bb.886:
	s_cmp_gt_i32 s1, 28
	s_cbranch_scc0 .LBB215_893
; %bb.887:
	s_cmp_gt_i32 s1, 43
	;; [unrolled: 3-line block ×3, first 2 shown]
	s_cbranch_scc0 .LBB215_897
; %bb.889:
	s_cmp_eq_u32 s1, 46
	s_mov_b32 s14, 0
	s_cbranch_scc0 .LBB215_900
; %bb.890:
	global_load_b32 v0, v[6:7], off
	s_mov_b32 s6, 0
	s_mov_b32 s12, -1
	s_wait_loadcnt 0x0
	v_lshlrev_b32_e32 v0, 16, v0
	s_delay_alu instid0(VALU_DEP_1)
	v_cvt_f64_f32_e32 v[0:1], v0
	s_branch .LBB215_902
.LBB215_891:
	s_mov_b32 s1, -1
	s_mov_b32 s12, 0
	s_mov_b32 s7, 0
	;; [unrolled: 1-line block ×3, first 2 shown]
                                        ; implicit-def: $vgpr0_vgpr1
	s_branch .LBB215_965
.LBB215_892:
	s_mov_b32 s14, -1
	s_mov_b32 s12, 0
	s_mov_b32 s6, s0
                                        ; implicit-def: $vgpr0_vgpr1
	s_branch .LBB215_931
.LBB215_893:
	s_mov_b32 s14, -1
	s_mov_b32 s12, 0
	s_mov_b32 s6, s0
                                        ; implicit-def: $vgpr0_vgpr1
	s_branch .LBB215_912
.LBB215_894:
	s_mov_b32 s14, -1
	s_mov_b32 s12, 0
	s_mov_b32 s6, s0
                                        ; implicit-def: $vgpr0_vgpr1
	s_branch .LBB215_907
.LBB215_895:
	s_and_not1_saveexec_b32 s31, s31
	s_cbranch_execz .LBB215_773
.LBB215_896:
	v_add_f32_e64 v3, 0x46000000, |v2|
	s_and_not1_b32 s30, s30, exec_lo
	s_delay_alu instid0(VALU_DEP_1) | instskip(NEXT) | instid1(VALU_DEP_1)
	v_and_b32_e32 v3, 0xff, v3
	v_cmp_ne_u32_e32 vcc_lo, 0, v3
	s_and_b32 s51, vcc_lo, exec_lo
	s_delay_alu instid0(SALU_CYCLE_1)
	s_or_b32 s30, s30, s51
	s_or_b32 exec_lo, exec_lo, s31
	v_mov_b32_e32 v5, 0
	s_and_saveexec_b32 s31, s30
	s_cbranch_execnz .LBB215_774
	s_branch .LBB215_775
.LBB215_897:
	s_mov_b32 s14, -1
	s_mov_b32 s12, 0
	s_mov_b32 s6, s0
	s_branch .LBB215_901
.LBB215_898:
	s_and_not1_saveexec_b32 s31, s31
	s_cbranch_execz .LBB215_786
.LBB215_899:
	v_add_f32_e64 v3, 0x42800000, |v2|
	s_and_not1_b32 s30, s30, exec_lo
	s_delay_alu instid0(VALU_DEP_1) | instskip(NEXT) | instid1(VALU_DEP_1)
	v_and_b32_e32 v3, 0xff, v3
	v_cmp_ne_u32_e32 vcc_lo, 0, v3
	s_and_b32 s51, vcc_lo, exec_lo
	s_delay_alu instid0(SALU_CYCLE_1)
	s_or_b32 s30, s30, s51
	s_or_b32 exec_lo, exec_lo, s31
	v_mov_b32_e32 v5, 0
	s_and_saveexec_b32 s31, s30
	s_cbranch_execnz .LBB215_787
	s_branch .LBB215_788
.LBB215_900:
	s_mov_b32 s6, -1
	s_mov_b32 s12, 0
.LBB215_901:
                                        ; implicit-def: $vgpr0_vgpr1
.LBB215_902:
	s_and_b32 vcc_lo, exec_lo, s14
	s_cbranch_vccz .LBB215_906
; %bb.903:
	s_cmp_eq_u32 s1, 44
	s_cbranch_scc0 .LBB215_905
; %bb.904:
	global_load_u8 v3, v[6:7], off
	s_mov_b32 s6, 0
	s_mov_b32 s12, -1
	s_wait_loadcnt 0x0
	v_cmp_ne_u32_e32 vcc_lo, 0xff, v3
	v_lshlrev_b32_e32 v0, 23, v3
	s_delay_alu instid0(VALU_DEP_1) | instskip(NEXT) | instid1(VALU_DEP_1)
	v_cvt_f64_f32_e32 v[0:1], v0
	v_cndmask_b32_e32 v0, 0x20000000, v0, vcc_lo
	s_delay_alu instid0(VALU_DEP_2) | instskip(SKIP_1) | instid1(VALU_DEP_2)
	v_cndmask_b32_e32 v1, 0x7ff80000, v1, vcc_lo
	v_cmp_ne_u32_e32 vcc_lo, 0, v3
	v_cndmask_b32_e32 v1, 0x38000000, v1, vcc_lo
	s_delay_alu instid0(VALU_DEP_4)
	v_cndmask_b32_e32 v0, 0, v0, vcc_lo
	s_branch .LBB215_906
.LBB215_905:
	s_mov_b32 s6, -1
                                        ; implicit-def: $vgpr0_vgpr1
.LBB215_906:
	s_mov_b32 s14, 0
.LBB215_907:
	s_delay_alu instid0(SALU_CYCLE_1)
	s_and_b32 vcc_lo, exec_lo, s14
	s_cbranch_vccz .LBB215_911
; %bb.908:
	s_cmp_eq_u32 s1, 29
	s_cbranch_scc0 .LBB215_910
; %bb.909:
	global_load_b64 v[0:1], v[6:7], off
	s_mov_b32 s6, 0
	s_mov_b32 s12, -1
	s_mov_b32 s14, 0
	s_wait_loadcnt 0x0
	v_cvt_f64_u32_e32 v[4:5], v1
	v_cvt_f64_u32_e32 v[0:1], v0
	s_delay_alu instid0(VALU_DEP_2) | instskip(NEXT) | instid1(VALU_DEP_1)
	v_ldexp_f64 v[4:5], v[4:5], 32
	v_add_f64_e32 v[0:1], v[4:5], v[0:1]
	s_branch .LBB215_912
.LBB215_910:
	s_mov_b32 s6, -1
                                        ; implicit-def: $vgpr0_vgpr1
.LBB215_911:
	s_mov_b32 s14, 0
.LBB215_912:
	s_delay_alu instid0(SALU_CYCLE_1)
	s_and_b32 vcc_lo, exec_lo, s14
	s_cbranch_vccz .LBB215_930
; %bb.913:
	s_cmp_lt_i32 s1, 27
	s_cbranch_scc1 .LBB215_916
; %bb.914:
	s_cmp_gt_i32 s1, 27
	s_cbranch_scc0 .LBB215_917
; %bb.915:
	global_load_b32 v0, v[6:7], off
	s_mov_b32 s12, 0
	s_wait_loadcnt 0x0
	v_cvt_f64_u32_e32 v[0:1], v0
	s_branch .LBB215_918
.LBB215_916:
	s_mov_b32 s12, -1
                                        ; implicit-def: $vgpr0_vgpr1
	s_branch .LBB215_921
.LBB215_917:
	s_mov_b32 s12, -1
                                        ; implicit-def: $vgpr0_vgpr1
.LBB215_918:
	s_delay_alu instid0(SALU_CYCLE_1)
	s_and_not1_b32 vcc_lo, exec_lo, s12
	s_cbranch_vccnz .LBB215_920
; %bb.919:
	global_load_u16 v0, v[6:7], off
	s_wait_loadcnt 0x0
	v_cvt_f64_u32_e32 v[0:1], v0
.LBB215_920:
	s_mov_b32 s12, 0
.LBB215_921:
	s_delay_alu instid0(SALU_CYCLE_1)
	s_and_not1_b32 vcc_lo, exec_lo, s12
	s_cbranch_vccnz .LBB215_929
; %bb.922:
	global_load_u8 v3, v[6:7], off
	s_mov_b32 s12, 0
	s_mov_b32 s14, exec_lo
	s_wait_loadcnt 0x0
	v_cmpx_lt_i16_e32 0x7f, v3
	s_xor_b32 s14, exec_lo, s14
	s_cbranch_execz .LBB215_943
; %bb.923:
	s_mov_b32 s12, -1
	s_mov_b32 s15, exec_lo
	v_cmpx_eq_u16_e32 0x80, v3
; %bb.924:
	s_xor_b32 s12, exec_lo, -1
; %bb.925:
	s_or_b32 exec_lo, exec_lo, s15
	s_delay_alu instid0(SALU_CYCLE_1)
	s_and_b32 s12, s12, exec_lo
	s_or_saveexec_b32 s14, s14
	v_mov_b64_e32 v[0:1], 0x7ff8000020000000
	s_xor_b32 exec_lo, exec_lo, s14
	s_cbranch_execnz .LBB215_944
.LBB215_926:
	s_or_b32 exec_lo, exec_lo, s14
	s_and_saveexec_b32 s14, s12
	s_cbranch_execz .LBB215_928
.LBB215_927:
	v_and_b32_e32 v0, 0xffff, v3
	s_delay_alu instid0(VALU_DEP_1) | instskip(SKIP_1) | instid1(VALU_DEP_2)
	v_dual_lshlrev_b32 v3, 24, v3 :: v_dual_bitop2_b32 v1, 7, v0 bitop3:0x40
	v_bfe_u32 v8, v0, 3, 4
	v_clz_i32_u32_e32 v4, v1
	s_delay_alu instid0(VALU_DEP_2) | instskip(NEXT) | instid1(VALU_DEP_2)
	v_cmp_eq_u32_e32 vcc_lo, 0, v8
	v_min_u32_e32 v4, 32, v4
	s_delay_alu instid0(VALU_DEP_1) | instskip(SKIP_1) | instid1(VALU_DEP_2)
	v_subrev_nc_u32_e32 v5, 28, v4
	v_sub_nc_u32_e32 v4, 29, v4
	v_lshlrev_b32_e32 v0, v5, v0
	s_delay_alu instid0(VALU_DEP_2) | instskip(NEXT) | instid1(VALU_DEP_2)
	v_cndmask_b32_e32 v4, v8, v4, vcc_lo
	v_and_b32_e32 v0, 7, v0
	s_delay_alu instid0(VALU_DEP_1) | instskip(SKIP_1) | instid1(VALU_DEP_4)
	v_cndmask_b32_e32 v0, v1, v0, vcc_lo
	v_and_b32_e32 v1, 0x80000000, v3
	v_lshl_add_u32 v3, v4, 23, 0x3b800000
	s_delay_alu instid0(VALU_DEP_3) | instskip(NEXT) | instid1(VALU_DEP_1)
	v_lshlrev_b32_e32 v0, 20, v0
	v_or3_b32 v0, v1, v3, v0
	s_delay_alu instid0(VALU_DEP_1)
	v_cvt_f64_f32_e32 v[0:1], v0
.LBB215_928:
	s_or_b32 exec_lo, exec_lo, s14
.LBB215_929:
	s_mov_b32 s12, -1
.LBB215_930:
	s_mov_b32 s14, 0
.LBB215_931:
	s_delay_alu instid0(SALU_CYCLE_1)
	s_and_b32 vcc_lo, exec_lo, s14
	s_cbranch_vccz .LBB215_964
; %bb.932:
	s_cmp_gt_i32 s1, 22
	s_cbranch_scc0 .LBB215_942
; %bb.933:
	s_cmp_lt_i32 s1, 24
	s_cbranch_scc1 .LBB215_945
; %bb.934:
	s_cmp_gt_i32 s1, 24
	s_cbranch_scc0 .LBB215_946
; %bb.935:
	global_load_u8 v3, v[6:7], off
	s_mov_b32 s12, exec_lo
	s_wait_loadcnt 0x0
	v_cmpx_lt_i16_e32 0x7f, v3
	s_xor_b32 s12, exec_lo, s12
	s_cbranch_execz .LBB215_958
; %bb.936:
	s_mov_b32 s7, -1
	s_mov_b32 s14, exec_lo
	v_cmpx_eq_u16_e32 0x80, v3
; %bb.937:
	s_xor_b32 s7, exec_lo, -1
; %bb.938:
	s_or_b32 exec_lo, exec_lo, s14
	s_delay_alu instid0(SALU_CYCLE_1)
	s_and_b32 s7, s7, exec_lo
	s_or_saveexec_b32 s12, s12
	v_mov_b64_e32 v[0:1], 0x7ff8000020000000
	s_xor_b32 exec_lo, exec_lo, s12
	s_cbranch_execnz .LBB215_959
.LBB215_939:
	s_or_b32 exec_lo, exec_lo, s12
	s_and_saveexec_b32 s12, s7
	s_cbranch_execz .LBB215_941
.LBB215_940:
	v_and_b32_e32 v0, 0xffff, v3
	s_delay_alu instid0(VALU_DEP_1) | instskip(SKIP_1) | instid1(VALU_DEP_2)
	v_dual_lshlrev_b32 v3, 24, v3 :: v_dual_bitop2_b32 v1, 3, v0 bitop3:0x40
	v_bfe_u32 v8, v0, 2, 5
	v_clz_i32_u32_e32 v4, v1
	s_delay_alu instid0(VALU_DEP_2) | instskip(NEXT) | instid1(VALU_DEP_2)
	v_cmp_eq_u32_e32 vcc_lo, 0, v8
	v_min_u32_e32 v4, 32, v4
	s_delay_alu instid0(VALU_DEP_1) | instskip(SKIP_1) | instid1(VALU_DEP_2)
	v_subrev_nc_u32_e32 v5, 29, v4
	v_sub_nc_u32_e32 v4, 30, v4
	v_lshlrev_b32_e32 v0, v5, v0
	s_delay_alu instid0(VALU_DEP_2) | instskip(NEXT) | instid1(VALU_DEP_2)
	v_cndmask_b32_e32 v4, v8, v4, vcc_lo
	v_and_b32_e32 v0, 3, v0
	s_delay_alu instid0(VALU_DEP_1) | instskip(SKIP_1) | instid1(VALU_DEP_4)
	v_cndmask_b32_e32 v0, v1, v0, vcc_lo
	v_and_b32_e32 v1, 0x80000000, v3
	v_lshl_add_u32 v3, v4, 23, 0x37800000
	s_delay_alu instid0(VALU_DEP_3) | instskip(NEXT) | instid1(VALU_DEP_1)
	v_lshlrev_b32_e32 v0, 21, v0
	v_or3_b32 v0, v1, v3, v0
	s_delay_alu instid0(VALU_DEP_1)
	v_cvt_f64_f32_e32 v[0:1], v0
.LBB215_941:
	s_or_b32 exec_lo, exec_lo, s12
	s_mov_b32 s7, 0
	s_branch .LBB215_947
.LBB215_942:
	s_mov_b32 s7, -1
                                        ; implicit-def: $vgpr0_vgpr1
	s_branch .LBB215_953
.LBB215_943:
	s_or_saveexec_b32 s14, s14
	v_mov_b64_e32 v[0:1], 0x7ff8000020000000
	s_xor_b32 exec_lo, exec_lo, s14
	s_cbranch_execz .LBB215_926
.LBB215_944:
	v_cmp_ne_u16_e32 vcc_lo, 0, v3
	v_mov_b64_e32 v[0:1], 0
	s_and_not1_b32 s12, s12, exec_lo
	s_and_b32 s15, vcc_lo, exec_lo
	s_delay_alu instid0(SALU_CYCLE_1)
	s_or_b32 s12, s12, s15
	s_or_b32 exec_lo, exec_lo, s14
	s_and_saveexec_b32 s14, s12
	s_cbranch_execnz .LBB215_927
	s_branch .LBB215_928
.LBB215_945:
	s_mov_b32 s7, -1
                                        ; implicit-def: $vgpr0_vgpr1
	s_branch .LBB215_950
.LBB215_946:
	s_mov_b32 s7, -1
                                        ; implicit-def: $vgpr0_vgpr1
.LBB215_947:
	s_delay_alu instid0(SALU_CYCLE_1)
	s_and_b32 vcc_lo, exec_lo, s7
	s_cbranch_vccz .LBB215_949
; %bb.948:
	global_load_u8 v0, v[6:7], off
	s_wait_loadcnt 0x0
	v_lshlrev_b32_e32 v0, 24, v0
	s_delay_alu instid0(VALU_DEP_1) | instskip(NEXT) | instid1(VALU_DEP_1)
	v_and_b32_e32 v1, 0x7f000000, v0
	v_clz_i32_u32_e32 v3, v1
	v_add_nc_u32_e32 v5, 0x1000000, v1
	v_cmp_ne_u32_e32 vcc_lo, 0, v1
	s_delay_alu instid0(VALU_DEP_3) | instskip(NEXT) | instid1(VALU_DEP_1)
	v_min_u32_e32 v3, 32, v3
	v_sub_nc_u32_e64 v3, v3, 4 clamp
	s_delay_alu instid0(VALU_DEP_1) | instskip(NEXT) | instid1(VALU_DEP_1)
	v_dual_lshlrev_b32 v4, v3, v1 :: v_dual_lshlrev_b32 v3, 23, v3
	v_lshrrev_b32_e32 v4, 4, v4
	s_delay_alu instid0(VALU_DEP_1) | instskip(NEXT) | instid1(VALU_DEP_1)
	v_dual_sub_nc_u32 v3, v4, v3 :: v_dual_ashrrev_i32 v4, 8, v5
	v_add_nc_u32_e32 v3, 0x3c000000, v3
	s_delay_alu instid0(VALU_DEP_1) | instskip(NEXT) | instid1(VALU_DEP_1)
	v_and_or_b32 v3, 0x7f800000, v4, v3
	v_cndmask_b32_e32 v1, 0, v3, vcc_lo
	s_delay_alu instid0(VALU_DEP_1) | instskip(NEXT) | instid1(VALU_DEP_1)
	v_and_or_b32 v0, 0x80000000, v0, v1
	v_cvt_f64_f32_e32 v[0:1], v0
.LBB215_949:
	s_mov_b32 s7, 0
.LBB215_950:
	s_delay_alu instid0(SALU_CYCLE_1)
	s_and_not1_b32 vcc_lo, exec_lo, s7
	s_cbranch_vccnz .LBB215_952
; %bb.951:
	global_load_u8 v0, v[6:7], off
	s_wait_loadcnt 0x0
	v_lshlrev_b32_e32 v1, 25, v0
	v_lshlrev_b16 v0, 8, v0
	s_delay_alu instid0(VALU_DEP_2) | instskip(NEXT) | instid1(VALU_DEP_2)
	v_cmp_gt_u32_e32 vcc_lo, 0x8000000, v1
	v_and_or_b32 v4, 0x7f00, v0, 0.5
	v_lshrrev_b32_e32 v3, 4, v1
	v_bfe_i32 v0, v0, 0, 16
	s_delay_alu instid0(VALU_DEP_3) | instskip(NEXT) | instid1(VALU_DEP_3)
	v_add_f32_e32 v4, -0.5, v4
	v_or_b32_e32 v3, 0x70000000, v3
	s_delay_alu instid0(VALU_DEP_1) | instskip(NEXT) | instid1(VALU_DEP_1)
	v_mul_f32_e32 v3, 0x7800000, v3
	v_cndmask_b32_e32 v1, v3, v4, vcc_lo
	s_delay_alu instid0(VALU_DEP_1) | instskip(NEXT) | instid1(VALU_DEP_1)
	v_and_or_b32 v0, 0x80000000, v0, v1
	v_cvt_f64_f32_e32 v[0:1], v0
.LBB215_952:
	s_mov_b32 s7, 0
	s_mov_b32 s12, -1
.LBB215_953:
	s_and_not1_b32 vcc_lo, exec_lo, s7
	s_mov_b32 s7, 0
	s_cbranch_vccnz .LBB215_964
; %bb.954:
	s_cmp_gt_i32 s1, 14
	s_cbranch_scc0 .LBB215_957
; %bb.955:
	s_cmp_eq_u32 s1, 15
	s_cbranch_scc0 .LBB215_960
; %bb.956:
	global_load_u16 v0, v[6:7], off
	s_mov_b32 s6, 0
	s_mov_b32 s12, -1
	s_wait_loadcnt 0x0
	v_lshlrev_b32_e32 v0, 16, v0
	s_delay_alu instid0(VALU_DEP_1)
	v_cvt_f64_f32_e32 v[0:1], v0
	s_branch .LBB215_962
.LBB215_957:
	s_mov_b32 s7, -1
	s_branch .LBB215_961
.LBB215_958:
	s_or_saveexec_b32 s12, s12
	v_mov_b64_e32 v[0:1], 0x7ff8000020000000
	s_xor_b32 exec_lo, exec_lo, s12
	s_cbranch_execz .LBB215_939
.LBB215_959:
	v_cmp_ne_u16_e32 vcc_lo, 0, v3
	v_mov_b64_e32 v[0:1], 0
	s_and_not1_b32 s7, s7, exec_lo
	s_and_b32 s14, vcc_lo, exec_lo
	s_delay_alu instid0(SALU_CYCLE_1)
	s_or_b32 s7, s7, s14
	s_or_b32 exec_lo, exec_lo, s12
	s_and_saveexec_b32 s12, s7
	s_cbranch_execnz .LBB215_940
	s_branch .LBB215_941
.LBB215_960:
	s_mov_b32 s6, -1
.LBB215_961:
                                        ; implicit-def: $vgpr0_vgpr1
.LBB215_962:
	s_and_b32 vcc_lo, exec_lo, s7
	s_mov_b32 s7, 0
	s_cbranch_vccz .LBB215_964
; %bb.963:
	s_cmp_lg_u32 s1, 11
	s_mov_b32 s7, -1
	s_cselect_b32 s1, -1, 0
	s_and_not1_b32 s6, s6, exec_lo
	s_and_b32 s1, s1, exec_lo
	s_delay_alu instid0(SALU_CYCLE_1)
	s_or_b32 s6, s6, s1
.LBB215_964:
	s_mov_b32 s1, 0
.LBB215_965:
	s_delay_alu instid0(SALU_CYCLE_1)
	s_and_b32 s26, s1, exec_lo
	s_and_not1_b32 s1, s0, exec_lo
	s_and_b32 s6, s6, exec_lo
	s_and_b32 s28, s12, exec_lo
	;; [unrolled: 1-line block ×3, first 2 shown]
	s_or_b32 s29, s1, s6
.LBB215_966:
	s_wait_xcnt 0x0
	s_or_b32 exec_lo, exec_lo, s41
	s_delay_alu instid0(SALU_CYCLE_1)
	s_and_not1_b32 s0, s0, exec_lo
	s_and_b32 s1, s29, exec_lo
	s_and_b32 s28, s28, exec_lo
	;; [unrolled: 1-line block ×4, first 2 shown]
	s_or_b32 s0, s0, s1
.LBB215_967:
	s_or_b32 exec_lo, exec_lo, s31
	s_delay_alu instid0(SALU_CYCLE_1)
	s_and_not1_b32 s1, s48, exec_lo
	s_and_b32 s6, s30, exec_lo
	s_and_b32 s0, s0, exec_lo
	s_or_b32 s48, s1, s6
	s_and_not1_b32 s1, s47, exec_lo
	s_and_b32 s28, s28, exec_lo
	s_and_b32 s26, s26, exec_lo
	;; [unrolled: 1-line block ×3, first 2 shown]
	s_or_b32 s47, s1, s0
.LBB215_968:
	s_or_b32 exec_lo, exec_lo, s49
	s_delay_alu instid0(SALU_CYCLE_1)
	s_and_not1_b32 s0, s44, exec_lo
	s_and_b32 s1, s48, exec_lo
	s_and_b32 s6, s47, exec_lo
	s_or_b32 s44, s0, s1
	s_and_not1_b32 s1, s45, exec_lo
	s_and_b32 s0, s28, exec_lo
	s_and_b32 s26, s26, exec_lo
	;; [unrolled: 1-line block ×3, first 2 shown]
	s_or_b32 s45, s1, s6
	s_or_b32 exec_lo, exec_lo, s46
	s_mov_b32 s1, 0
	s_and_saveexec_b32 s6, s45
	s_cbranch_execz .LBB215_289
.LBB215_969:
	s_mov_b32 s1, exec_lo
	s_and_not1_b32 s21, s21, exec_lo
	s_trap 2
	s_or_b32 exec_lo, exec_lo, s6
	s_and_saveexec_b32 s6, s21
	s_delay_alu instid0(SALU_CYCLE_1)
	s_xor_b32 s6, exec_lo, s6
	s_cbranch_execnz .LBB215_290
.LBB215_970:
	s_or_b32 exec_lo, exec_lo, s6
	s_and_saveexec_b32 s6, s26
	s_cbranch_execz .LBB215_1016
.LBB215_971:
	s_sext_i32_i16 s7, s13
	s_delay_alu instid0(SALU_CYCLE_1)
	s_cmp_lt_i32 s7, 5
	s_cbranch_scc1 .LBB215_976
; %bb.972:
	s_cmp_lt_i32 s7, 8
	s_cbranch_scc1 .LBB215_977
; %bb.973:
	;; [unrolled: 3-line block ×3, first 2 shown]
	s_cmp_gt_i32 s7, 9
	s_cbranch_scc0 .LBB215_979
; %bb.975:
	s_wait_loadcnt 0x0
	global_load_b64 v[0:1], v[6:7], off
	s_mov_b32 s7, 0
	s_branch .LBB215_980
.LBB215_976:
                                        ; implicit-def: $vgpr0_vgpr1
	s_branch .LBB215_997
.LBB215_977:
                                        ; implicit-def: $vgpr0_vgpr1
	s_branch .LBB215_986
.LBB215_978:
	s_mov_b32 s7, -1
                                        ; implicit-def: $vgpr0_vgpr1
	s_branch .LBB215_983
.LBB215_979:
	s_mov_b32 s7, -1
                                        ; implicit-def: $vgpr0_vgpr1
.LBB215_980:
	s_delay_alu instid0(SALU_CYCLE_1)
	s_and_not1_b32 vcc_lo, exec_lo, s7
	s_cbranch_vccnz .LBB215_982
; %bb.981:
	s_wait_loadcnt 0x0
	global_load_b32 v0, v[6:7], off
	s_wait_loadcnt 0x0
	v_cvt_f64_f32_e32 v[0:1], v0
.LBB215_982:
	s_mov_b32 s7, 0
.LBB215_983:
	s_delay_alu instid0(SALU_CYCLE_1)
	s_and_not1_b32 vcc_lo, exec_lo, s7
	s_cbranch_vccnz .LBB215_985
; %bb.984:
	s_wait_loadcnt 0x0
	global_load_b32 v0, v[6:7], off
	s_wait_loadcnt 0x0
	v_cvt_f32_f16_e32 v0, v0
	s_delay_alu instid0(VALU_DEP_1)
	v_cvt_f64_f32_e32 v[0:1], v0
.LBB215_985:
	s_cbranch_execnz .LBB215_996
.LBB215_986:
	s_sext_i32_i16 s7, s13
	s_delay_alu instid0(SALU_CYCLE_1)
	s_cmp_lt_i32 s7, 6
	s_cbranch_scc1 .LBB215_989
; %bb.987:
	s_cmp_gt_i32 s7, 6
	s_cbranch_scc0 .LBB215_990
; %bb.988:
	s_wait_loadcnt 0x0
	global_load_b64 v[0:1], v[6:7], off
	s_mov_b32 s7, 0
	s_branch .LBB215_991
.LBB215_989:
	s_mov_b32 s7, -1
                                        ; implicit-def: $vgpr0_vgpr1
	s_branch .LBB215_994
.LBB215_990:
	s_mov_b32 s7, -1
                                        ; implicit-def: $vgpr0_vgpr1
.LBB215_991:
	s_delay_alu instid0(SALU_CYCLE_1)
	s_and_not1_b32 vcc_lo, exec_lo, s7
	s_cbranch_vccnz .LBB215_993
; %bb.992:
	s_wait_loadcnt 0x0
	global_load_b32 v0, v[6:7], off
	s_wait_loadcnt 0x0
	v_cvt_f64_f32_e32 v[0:1], v0
.LBB215_993:
	s_mov_b32 s7, 0
.LBB215_994:
	s_delay_alu instid0(SALU_CYCLE_1)
	s_and_not1_b32 vcc_lo, exec_lo, s7
	s_cbranch_vccnz .LBB215_996
; %bb.995:
	s_wait_loadcnt 0x0
	global_load_u16 v0, v[6:7], off
	s_wait_loadcnt 0x0
	v_cvt_f32_f16_e32 v0, v0
	s_delay_alu instid0(VALU_DEP_1)
	v_cvt_f64_f32_e32 v[0:1], v0
.LBB215_996:
	s_cbranch_execnz .LBB215_1015
.LBB215_997:
	s_sext_i32_i16 s7, s13
	s_delay_alu instid0(SALU_CYCLE_1)
	s_cmp_lt_i32 s7, 2
	s_cbranch_scc1 .LBB215_1001
; %bb.998:
	s_cmp_lt_i32 s7, 3
	s_cbranch_scc1 .LBB215_1002
; %bb.999:
	s_cmp_gt_i32 s7, 3
	s_cbranch_scc0 .LBB215_1003
; %bb.1000:
	s_wait_loadcnt 0x0
	global_load_b64 v[0:1], v[6:7], off
	s_mov_b32 s7, 0
	s_wait_loadcnt 0x0
	v_cvt_f64_i32_e32 v[4:5], v1
	v_cvt_f64_u32_e32 v[0:1], v0
	s_delay_alu instid0(VALU_DEP_2) | instskip(NEXT) | instid1(VALU_DEP_1)
	v_ldexp_f64 v[4:5], v[4:5], 32
	v_add_f64_e32 v[0:1], v[4:5], v[0:1]
	s_branch .LBB215_1004
.LBB215_1001:
                                        ; implicit-def: $vgpr0_vgpr1
	s_branch .LBB215_1010
.LBB215_1002:
	s_mov_b32 s7, -1
                                        ; implicit-def: $vgpr0_vgpr1
	s_branch .LBB215_1007
.LBB215_1003:
	s_mov_b32 s7, -1
                                        ; implicit-def: $vgpr0_vgpr1
.LBB215_1004:
	s_delay_alu instid0(SALU_CYCLE_1)
	s_and_not1_b32 vcc_lo, exec_lo, s7
	s_cbranch_vccnz .LBB215_1006
; %bb.1005:
	s_wait_loadcnt 0x0
	global_load_b32 v0, v[6:7], off
	s_wait_loadcnt 0x0
	v_cvt_f64_i32_e32 v[0:1], v0
.LBB215_1006:
	s_mov_b32 s7, 0
.LBB215_1007:
	s_delay_alu instid0(SALU_CYCLE_1)
	s_and_not1_b32 vcc_lo, exec_lo, s7
	s_cbranch_vccnz .LBB215_1009
; %bb.1008:
	s_wait_loadcnt 0x0
	global_load_i16 v0, v[6:7], off
	s_wait_loadcnt 0x0
	v_cvt_f64_i32_e32 v[0:1], v0
.LBB215_1009:
	s_cbranch_execnz .LBB215_1015
.LBB215_1010:
	s_sext_i32_i16 s7, s13
	s_delay_alu instid0(SALU_CYCLE_1)
	s_cmp_gt_i32 s7, 0
	s_mov_b32 s7, 0
	s_cbranch_scc0 .LBB215_1012
; %bb.1011:
	s_wait_loadcnt 0x0
	global_load_i8 v0, v[6:7], off
	s_wait_loadcnt 0x0
	v_cvt_f64_i32_e32 v[0:1], v0
	s_branch .LBB215_1013
.LBB215_1012:
	s_mov_b32 s7, -1
                                        ; implicit-def: $vgpr0_vgpr1
.LBB215_1013:
	s_delay_alu instid0(SALU_CYCLE_1)
	s_and_not1_b32 vcc_lo, exec_lo, s7
	s_cbranch_vccnz .LBB215_1015
; %bb.1014:
	s_wait_loadcnt 0x0
	global_load_u8 v0, v[6:7], off
	s_wait_loadcnt 0x0
	v_cvt_f64_u32_e32 v[0:1], v0
.LBB215_1015:
	s_or_b32 s0, s0, exec_lo
.LBB215_1016:
	s_wait_xcnt 0x0
	s_or_b32 exec_lo, exec_lo, s6
	s_mov_b32 s13, 0
	s_mov_b32 s12, 0
                                        ; implicit-def: $sgpr6
                                        ; implicit-def: $vgpr4_vgpr5
	s_and_saveexec_b32 s7, s0
	s_cbranch_execz .LBB215_1023
; %bb.1017:
	s_mov_b32 s0, exec_lo
	s_wait_loadcnt 0x0
	s_delay_alu instid0(VALU_DEP_1)
	v_cmpx_o_f64_e32 v[0:1], v[0:1]
	s_cbranch_execz .LBB215_1032
; %bb.1018:
	s_cmp_lt_i32 s39, 1
	s_mov_b32 s6, 0
	s_cbranch_scc1 .LBB215_1026
; %bb.1019:
	s_cmp_eq_u32 s39, 1
	s_cbranch_scc0 .LBB215_1027
; %bb.1020:
	v_max_num_f64_e64 v[4:5], s[8:9], s[8:9]
	v_max_num_f64_e32 v[6:7], v[0:1], v[0:1]
	s_delay_alu instid0(VALU_DEP_1)
	v_min_num_f64_e32 v[4:5], v[6:7], v[4:5]
	s_and_b32 vcc_lo, exec_lo, s13
	s_cbranch_vccnz .LBB215_1028
.LBB215_1021:
	s_and_not1_b32 vcc_lo, exec_lo, s12
	s_cbranch_vccnz .LBB215_1029
.LBB215_1022:
	v_max_num_f64_e64 v[4:5], s[8:9], s[8:9]
	v_max_num_f64_e32 v[6:7], v[0:1], v[0:1]
	s_delay_alu instid0(VALU_DEP_1) | instskip(SKIP_1) | instid1(VALU_DEP_1)
	v_max_num_f64_e32 v[4:5], v[6:7], v[4:5]
	v_max_num_f64_e64 v[6:7], s[10:11], s[10:11]
	v_min_num_f64_e32 v[4:5], v[4:5], v[6:7]
	s_cbranch_execz .LBB215_1030
	s_branch .LBB215_1031
.LBB215_1023:
	s_or_b32 exec_lo, exec_lo, s7
	s_and_saveexec_b32 s0, s44
	s_cbranch_execnz .LBB215_1109
.LBB215_1024:
	s_or_b32 exec_lo, exec_lo, s0
	s_and_saveexec_b32 s0, s13
	s_delay_alu instid0(SALU_CYCLE_1)
	s_xor_b32 s0, exec_lo, s0
	s_cbranch_execz .LBB215_1110
.LBB215_1025:
	s_wait_loadcnt 0x0
	s_delay_alu instid0(VALU_DEP_1)
	v_cmp_neq_f64_e32 vcc_lo, 0, v[0:1]
	v_cndmask_b32_e64 v2, 0, 1, vcc_lo
	global_store_b8 v[4:5], v2, off
	s_wait_xcnt 0x0
	s_or_b32 exec_lo, exec_lo, s0
	s_and_saveexec_b32 s0, s12
	s_delay_alu instid0(SALU_CYCLE_1)
	s_xor_b32 s0, exec_lo, s0
	s_cbranch_execz .LBB215_1148
	s_branch .LBB215_1111
.LBB215_1026:
                                        ; implicit-def: $vgpr4_vgpr5
	s_cbranch_execnz .LBB215_1028
	s_branch .LBB215_1021
.LBB215_1027:
	s_mov_b32 s12, -1
                                        ; implicit-def: $vgpr4_vgpr5
	s_and_b32 vcc_lo, exec_lo, s13
	s_cbranch_vccz .LBB215_1021
.LBB215_1028:
	s_cmp_lg_u32 s39, 0
	s_mov_b32 s6, -1
	s_cselect_b32 s12, -1, 0
	s_delay_alu instid0(SALU_CYCLE_1)
	s_and_not1_b32 vcc_lo, exec_lo, s12
	s_cbranch_vccz .LBB215_1022
.LBB215_1029:
	s_and_not1_b32 vcc_lo, exec_lo, s6
	s_cbranch_vccnz .LBB215_1031
.LBB215_1030:
	v_max_num_f64_e64 v[4:5], s[8:9], s[8:9]
	v_max_num_f64_e32 v[0:1], v[0:1], v[0:1]
	s_delay_alu instid0(VALU_DEP_1)
	v_max_num_f64_e32 v[4:5], v[0:1], v[4:5]
.LBB215_1031:
	s_delay_alu instid0(VALU_DEP_1)
	v_mov_b64_e32 v[0:1], v[4:5]
.LBB215_1032:
	s_or_b32 exec_lo, exec_lo, s0
	v_mov_b32_e32 v3, 0
	s_and_b32 s6, s38, 0xff
	s_delay_alu instid0(SALU_CYCLE_1) | instskip(NEXT) | instid1(VALU_DEP_1)
	s_cmp_lt_i32 s6, 11
	v_add_nc_u64_e32 v[4:5], s[4:5], v[2:3]
	s_cbranch_scc1 .LBB215_1039
; %bb.1033:
	s_and_b32 s4, 0xffff, s6
	s_mov_b32 s5, -1
	s_cmp_gt_i32 s4, 25
	s_mov_b32 s0, s44
	s_cbranch_scc0 .LBB215_1067
; %bb.1034:
	s_cmp_gt_i32 s4, 28
	s_mov_b32 s0, s44
	s_cbranch_scc0 .LBB215_1051
; %bb.1035:
	;; [unrolled: 4-line block ×4, first 2 shown]
	s_cmp_eq_u32 s4, 46
	s_mov_b32 s0, -1
	s_cbranch_scc0 .LBB215_1040
; %bb.1038:
	v_cvt_f32_f64_e32 v2, v[0:1]
	s_mov_b32 s0, 0
	s_mov_b32 s5, 0
	s_delay_alu instid0(VALU_DEP_1) | instskip(SKIP_1) | instid1(VALU_DEP_2)
	v_bfe_u32 v3, v2, 16, 1
	v_cmp_o_f32_e32 vcc_lo, v2, v2
	v_add3_u32 v3, v2, v3, 0x7fff
	s_delay_alu instid0(VALU_DEP_1) | instskip(NEXT) | instid1(VALU_DEP_1)
	v_lshrrev_b32_e32 v3, 16, v3
	v_cndmask_b32_e32 v2, 0x7fc0, v3, vcc_lo
	global_store_b32 v[4:5], v2, off
	s_branch .LBB215_1041
.LBB215_1039:
	s_mov_b32 s8, 0
	s_mov_b32 s5, -1
	s_mov_b32 s0, s44
	s_branch .LBB215_1108
.LBB215_1040:
	s_mov_b32 s5, 0
.LBB215_1041:
	s_delay_alu instid0(SALU_CYCLE_1)
	s_and_b32 vcc_lo, exec_lo, s5
	s_cbranch_vccz .LBB215_1046
; %bb.1042:
	s_cmp_eq_u32 s4, 44
	s_mov_b32 s0, -1
	s_cbranch_scc0 .LBB215_1046
; %bb.1043:
	s_wait_xcnt 0x0
	v_cvt_f32_f64_e32 v2, v[0:1]
	v_mov_b32_e32 v3, 0xff
	s_mov_b32 s5, exec_lo
	s_delay_alu instid0(VALU_DEP_2) | instskip(NEXT) | instid1(VALU_DEP_1)
	v_bfe_u32 v6, v2, 23, 8
	v_cmpx_ne_u32_e32 0xff, v6
	s_cbranch_execz .LBB215_1045
; %bb.1044:
	v_and_b32_e32 v3, 0x400000, v2
	v_and_or_b32 v6, 0x3fffff, v2, v6
	v_lshrrev_b32_e32 v2, 23, v2
	s_delay_alu instid0(VALU_DEP_3) | instskip(NEXT) | instid1(VALU_DEP_3)
	v_cmp_ne_u32_e32 vcc_lo, 0, v3
	v_cmp_ne_u32_e64 s0, 0, v6
	s_and_b32 s0, vcc_lo, s0
	s_delay_alu instid0(SALU_CYCLE_1) | instskip(NEXT) | instid1(VALU_DEP_1)
	v_cndmask_b32_e64 v3, 0, 1, s0
	v_add_nc_u32_e32 v3, v2, v3
.LBB215_1045:
	s_or_b32 exec_lo, exec_lo, s5
	s_mov_b32 s0, 0
	global_store_b8 v[4:5], v3, off
.LBB215_1046:
	s_mov_b32 s5, 0
.LBB215_1047:
	s_delay_alu instid0(SALU_CYCLE_1)
	s_and_b32 vcc_lo, exec_lo, s5
	s_cbranch_vccz .LBB215_1050
; %bb.1048:
	s_cmp_eq_u32 s4, 29
	s_mov_b32 s0, -1
	s_cbranch_scc0 .LBB215_1050
; %bb.1049:
	s_wait_xcnt 0x0
	v_trunc_f64_e32 v[2:3], v[0:1]
	s_mov_b32 s0, 0
	s_mov_b32 s5, 0
	s_delay_alu instid0(VALU_DEP_1) | instskip(NEXT) | instid1(VALU_DEP_1)
	v_ldexp_f64 v[6:7], v[2:3], 0xffffffe0
	v_floor_f64_e32 v[6:7], v[6:7]
	s_delay_alu instid0(VALU_DEP_1) | instskip(SKIP_1) | instid1(VALU_DEP_2)
	v_fmamk_f64 v[2:3], v[6:7], 0xc1f00000, v[2:3]
	v_cvt_u32_f64_e32 v7, v[6:7]
	v_cvt_u32_f64_e32 v6, v[2:3]
	global_store_b64 v[4:5], v[6:7], off
	s_branch .LBB215_1051
.LBB215_1050:
	s_mov_b32 s5, 0
.LBB215_1051:
	s_delay_alu instid0(SALU_CYCLE_1)
	s_and_b32 vcc_lo, exec_lo, s5
	s_cbranch_vccz .LBB215_1066
; %bb.1052:
	s_cmp_lt_i32 s4, 27
	s_mov_b32 s5, -1
	s_cbranch_scc1 .LBB215_1058
; %bb.1053:
	s_cmp_gt_i32 s4, 27
	s_cbranch_scc0 .LBB215_1055
; %bb.1054:
	s_wait_xcnt 0x0
	v_cvt_u32_f64_e32 v2, v[0:1]
	s_mov_b32 s5, 0
	global_store_b32 v[4:5], v2, off
.LBB215_1055:
	s_and_not1_b32 vcc_lo, exec_lo, s5
	s_cbranch_vccnz .LBB215_1057
; %bb.1056:
	s_wait_xcnt 0x0
	v_cvt_u32_f64_e32 v2, v[0:1]
	global_store_b16 v[4:5], v2, off
.LBB215_1057:
	s_mov_b32 s5, 0
.LBB215_1058:
	s_delay_alu instid0(SALU_CYCLE_1)
	s_and_not1_b32 vcc_lo, exec_lo, s5
	s_cbranch_vccnz .LBB215_1066
; %bb.1059:
	s_wait_xcnt 0x0
	v_cvt_f32_f64_e32 v2, v[0:1]
	v_mov_b32_e32 v6, 0x80
	s_mov_b32 s5, exec_lo
	s_delay_alu instid0(VALU_DEP_2) | instskip(NEXT) | instid1(VALU_DEP_1)
	v_and_b32_e32 v3, 0x7fffffff, v2
	v_cmpx_gt_u32_e32 0x43800000, v3
	s_cbranch_execz .LBB215_1065
; %bb.1060:
	v_cmp_lt_u32_e32 vcc_lo, 0x3bffffff, v3
	s_mov_b32 s8, 0
                                        ; implicit-def: $vgpr3
	s_and_saveexec_b32 s9, vcc_lo
	s_delay_alu instid0(SALU_CYCLE_1)
	s_xor_b32 s9, exec_lo, s9
	s_cbranch_execz .LBB215_1223
; %bb.1061:
	v_bfe_u32 v3, v2, 20, 1
	s_mov_b32 s8, exec_lo
	s_delay_alu instid0(VALU_DEP_1) | instskip(NEXT) | instid1(VALU_DEP_1)
	v_add3_u32 v3, v2, v3, 0x487ffff
	v_lshrrev_b32_e32 v3, 20, v3
	s_and_not1_saveexec_b32 s9, s9
	s_cbranch_execnz .LBB215_1224
.LBB215_1062:
	s_or_b32 exec_lo, exec_lo, s9
	v_mov_b32_e32 v6, 0
	s_and_saveexec_b32 s9, s8
.LBB215_1063:
	v_lshrrev_b32_e32 v2, 24, v2
	s_delay_alu instid0(VALU_DEP_1)
	v_and_or_b32 v6, 0x80, v2, v3
.LBB215_1064:
	s_or_b32 exec_lo, exec_lo, s9
.LBB215_1065:
	s_delay_alu instid0(SALU_CYCLE_1)
	s_or_b32 exec_lo, exec_lo, s5
	global_store_b8 v[4:5], v6, off
.LBB215_1066:
	s_mov_b32 s5, 0
.LBB215_1067:
	s_delay_alu instid0(SALU_CYCLE_1)
	s_and_b32 vcc_lo, exec_lo, s5
	s_mov_b32 s5, 0
	s_cbranch_vccz .LBB215_1107
; %bb.1068:
	s_cmp_gt_i32 s4, 22
	s_mov_b32 s8, -1
	s_cbranch_scc0 .LBB215_1100
; %bb.1069:
	s_cmp_lt_i32 s4, 24
	s_cbranch_scc1 .LBB215_1089
; %bb.1070:
	s_cmp_gt_i32 s4, 24
	s_cbranch_scc0 .LBB215_1078
; %bb.1071:
	s_wait_xcnt 0x0
	v_cvt_f32_f64_e32 v2, v[0:1]
	v_mov_b32_e32 v6, 0x80
	s_mov_b32 s8, exec_lo
	s_delay_alu instid0(VALU_DEP_2) | instskip(NEXT) | instid1(VALU_DEP_1)
	v_and_b32_e32 v3, 0x7fffffff, v2
	v_cmpx_gt_u32_e32 0x47800000, v3
	s_cbranch_execz .LBB215_1077
; %bb.1072:
	v_cmp_lt_u32_e32 vcc_lo, 0x37ffffff, v3
	s_mov_b32 s9, 0
                                        ; implicit-def: $vgpr3
	s_and_saveexec_b32 s10, vcc_lo
	s_delay_alu instid0(SALU_CYCLE_1)
	s_xor_b32 s10, exec_lo, s10
	s_cbranch_execz .LBB215_1362
; %bb.1073:
	v_bfe_u32 v3, v2, 21, 1
	s_mov_b32 s9, exec_lo
	s_delay_alu instid0(VALU_DEP_1) | instskip(NEXT) | instid1(VALU_DEP_1)
	v_add3_u32 v3, v2, v3, 0x88fffff
	v_lshrrev_b32_e32 v3, 21, v3
	s_and_not1_saveexec_b32 s10, s10
	s_cbranch_execnz .LBB215_1363
.LBB215_1074:
	s_or_b32 exec_lo, exec_lo, s10
	v_mov_b32_e32 v6, 0
	s_and_saveexec_b32 s10, s9
.LBB215_1075:
	v_lshrrev_b32_e32 v2, 24, v2
	s_delay_alu instid0(VALU_DEP_1)
	v_and_or_b32 v6, 0x80, v2, v3
.LBB215_1076:
	s_or_b32 exec_lo, exec_lo, s10
.LBB215_1077:
	s_delay_alu instid0(SALU_CYCLE_1)
	s_or_b32 exec_lo, exec_lo, s8
	s_mov_b32 s8, 0
	global_store_b8 v[4:5], v6, off
.LBB215_1078:
	s_and_b32 vcc_lo, exec_lo, s8
	s_cbranch_vccz .LBB215_1088
; %bb.1079:
	s_wait_xcnt 0x0
	v_cvt_f32_f64_e32 v2, v[0:1]
	s_mov_b32 s8, exec_lo
                                        ; implicit-def: $vgpr3
	s_delay_alu instid0(VALU_DEP_1) | instskip(NEXT) | instid1(VALU_DEP_1)
	v_and_b32_e32 v6, 0x7fffffff, v2
	v_cmpx_gt_u32_e32 0x43f00000, v6
	s_xor_b32 s8, exec_lo, s8
	s_cbranch_execz .LBB215_1085
; %bb.1080:
	s_mov_b32 s9, exec_lo
                                        ; implicit-def: $vgpr3
	v_cmpx_lt_u32_e32 0x3c7fffff, v6
	s_xor_b32 s9, exec_lo, s9
; %bb.1081:
	v_bfe_u32 v3, v2, 20, 1
	s_delay_alu instid0(VALU_DEP_1) | instskip(NEXT) | instid1(VALU_DEP_1)
	v_add3_u32 v3, v2, v3, 0x407ffff
	v_and_b32_e32 v6, 0xff00000, v3
	v_lshrrev_b32_e32 v3, 20, v3
	s_delay_alu instid0(VALU_DEP_2) | instskip(NEXT) | instid1(VALU_DEP_2)
	v_cmp_ne_u32_e32 vcc_lo, 0x7f00000, v6
	v_cndmask_b32_e32 v3, 0x7e, v3, vcc_lo
; %bb.1082:
	s_and_not1_saveexec_b32 s9, s9
; %bb.1083:
	v_add_f32_e64 v3, 0x46800000, |v2|
; %bb.1084:
	s_or_b32 exec_lo, exec_lo, s9
                                        ; implicit-def: $vgpr6
.LBB215_1085:
	s_and_not1_saveexec_b32 s8, s8
; %bb.1086:
	v_mov_b32_e32 v3, 0x7f
	v_cmp_lt_u32_e32 vcc_lo, 0x7f800000, v6
	s_delay_alu instid0(VALU_DEP_2)
	v_cndmask_b32_e32 v3, 0x7e, v3, vcc_lo
; %bb.1087:
	s_or_b32 exec_lo, exec_lo, s8
	v_lshrrev_b32_e32 v2, 24, v2
	s_delay_alu instid0(VALU_DEP_1)
	v_and_or_b32 v2, 0x80, v2, v3
	global_store_b8 v[4:5], v2, off
.LBB215_1088:
	s_mov_b32 s8, 0
.LBB215_1089:
	s_delay_alu instid0(SALU_CYCLE_1)
	s_and_not1_b32 vcc_lo, exec_lo, s8
	s_cbranch_vccnz .LBB215_1099
; %bb.1090:
	s_wait_xcnt 0x0
	v_cvt_f32_f64_e32 v2, v[0:1]
	s_mov_b32 s8, exec_lo
                                        ; implicit-def: $vgpr3
	s_delay_alu instid0(VALU_DEP_1) | instskip(NEXT) | instid1(VALU_DEP_1)
	v_and_b32_e32 v6, 0x7fffffff, v2
	v_cmpx_gt_u32_e32 0x47800000, v6
	s_xor_b32 s8, exec_lo, s8
	s_cbranch_execz .LBB215_1096
; %bb.1091:
	s_mov_b32 s9, exec_lo
                                        ; implicit-def: $vgpr3
	v_cmpx_lt_u32_e32 0x387fffff, v6
	s_xor_b32 s9, exec_lo, s9
; %bb.1092:
	v_bfe_u32 v3, v2, 21, 1
	s_delay_alu instid0(VALU_DEP_1) | instskip(NEXT) | instid1(VALU_DEP_1)
	v_add3_u32 v3, v2, v3, 0x80fffff
	v_lshrrev_b32_e32 v3, 21, v3
; %bb.1093:
	s_and_not1_saveexec_b32 s9, s9
; %bb.1094:
	v_add_f32_e64 v3, 0x43000000, |v2|
; %bb.1095:
	s_or_b32 exec_lo, exec_lo, s9
                                        ; implicit-def: $vgpr6
.LBB215_1096:
	s_and_not1_saveexec_b32 s8, s8
; %bb.1097:
	v_mov_b32_e32 v3, 0x7f
	v_cmp_lt_u32_e32 vcc_lo, 0x7f800000, v6
	s_delay_alu instid0(VALU_DEP_2)
	v_cndmask_b32_e32 v3, 0x7c, v3, vcc_lo
; %bb.1098:
	s_or_b32 exec_lo, exec_lo, s8
	v_lshrrev_b32_e32 v2, 24, v2
	s_delay_alu instid0(VALU_DEP_1)
	v_and_or_b32 v2, 0x80, v2, v3
	global_store_b8 v[4:5], v2, off
.LBB215_1099:
	s_mov_b32 s8, 0
.LBB215_1100:
	s_delay_alu instid0(SALU_CYCLE_1)
	s_and_not1_b32 vcc_lo, exec_lo, s8
	s_mov_b32 s8, 0
	s_cbranch_vccnz .LBB215_1108
; %bb.1101:
	s_cmp_gt_i32 s4, 14
	s_mov_b32 s8, -1
	s_cbranch_scc0 .LBB215_1105
; %bb.1102:
	s_cmp_eq_u32 s4, 15
	s_mov_b32 s0, -1
	s_cbranch_scc0 .LBB215_1104
; %bb.1103:
	s_wait_xcnt 0x0
	v_cvt_f32_f64_e32 v2, v[0:1]
	s_mov_b32 s0, 0
	s_delay_alu instid0(VALU_DEP_1) | instskip(SKIP_1) | instid1(VALU_DEP_2)
	v_bfe_u32 v3, v2, 16, 1
	v_cmp_o_f32_e32 vcc_lo, v2, v2
	v_add3_u32 v3, v2, v3, 0x7fff
	s_delay_alu instid0(VALU_DEP_1) | instskip(NEXT) | instid1(VALU_DEP_1)
	v_lshrrev_b32_e32 v3, 16, v3
	v_cndmask_b32_e32 v2, 0x7fc0, v3, vcc_lo
	global_store_b16 v[4:5], v2, off
.LBB215_1104:
	s_mov_b32 s8, 0
.LBB215_1105:
	s_delay_alu instid0(SALU_CYCLE_1)
	s_and_b32 vcc_lo, exec_lo, s8
	s_mov_b32 s8, 0
	s_cbranch_vccz .LBB215_1108
; %bb.1106:
	s_cmp_lg_u32 s4, 11
	s_mov_b32 s8, -1
	s_cselect_b32 s4, -1, 0
	s_and_not1_b32 s0, s0, exec_lo
	s_and_b32 s4, s4, exec_lo
	s_delay_alu instid0(SALU_CYCLE_1)
	s_or_b32 s0, s0, s4
	s_branch .LBB215_1108
.LBB215_1107:
	s_mov_b32 s8, 0
.LBB215_1108:
	s_and_not1_b32 s4, s44, exec_lo
	s_and_b32 s0, s0, exec_lo
	s_and_b32 s12, s5, exec_lo
	;; [unrolled: 1-line block ×3, first 2 shown]
	s_or_b32 s44, s4, s0
	s_wait_xcnt 0x0
	s_or_b32 exec_lo, exec_lo, s7
	s_and_saveexec_b32 s0, s44
	s_cbranch_execz .LBB215_1024
.LBB215_1109:
	s_or_b32 s1, s1, exec_lo
	s_and_not1_b32 s13, s13, exec_lo
	s_trap 2
	s_or_b32 exec_lo, exec_lo, s0
	s_and_saveexec_b32 s0, s13
	s_delay_alu instid0(SALU_CYCLE_1)
	s_xor_b32 s0, exec_lo, s0
	s_cbranch_execnz .LBB215_1025
.LBB215_1110:
	s_or_b32 exec_lo, exec_lo, s0
	s_and_saveexec_b32 s0, s12
	s_delay_alu instid0(SALU_CYCLE_1)
	s_xor_b32 s0, exec_lo, s0
	s_cbranch_execz .LBB215_1148
.LBB215_1111:
	s_sext_i32_i16 s5, s6
	s_mov_b32 s4, -1
	s_cmp_lt_i32 s5, 5
	s_cbranch_scc1 .LBB215_1132
; %bb.1112:
	s_cmp_lt_i32 s5, 8
	s_cbranch_scc1 .LBB215_1122
; %bb.1113:
	;; [unrolled: 3-line block ×3, first 2 shown]
	s_cmp_gt_i32 s5, 9
	s_cbranch_scc0 .LBB215_1116
; %bb.1115:
	v_mov_b32_e32 v2, 0
	s_mov_b32 s4, 0
	s_delay_alu instid0(VALU_DEP_1)
	v_mov_b32_e32 v3, v2
	s_wait_loadcnt 0x0
	global_store_b128 v[4:5], v[0:3], off
.LBB215_1116:
	s_and_not1_b32 vcc_lo, exec_lo, s4
	s_cbranch_vccnz .LBB215_1118
; %bb.1117:
	s_wait_loadcnt 0x0
	v_cvt_f32_f64_e32 v2, v[0:1]
	v_mov_b32_e32 v3, 0
	global_store_b64 v[4:5], v[2:3], off
.LBB215_1118:
	s_mov_b32 s4, 0
.LBB215_1119:
	s_delay_alu instid0(SALU_CYCLE_1)
	s_and_not1_b32 vcc_lo, exec_lo, s4
	s_cbranch_vccnz .LBB215_1121
; %bb.1120:
	s_wait_loadcnt 0x0
	s_delay_alu instid0(VALU_DEP_1) | instskip(SKIP_2) | instid1(VALU_DEP_3)
	v_and_or_b32 v2, 0x1ff, v1, v0
	v_lshrrev_b32_e32 v3, 8, v1
	v_bfe_u32 v6, v1, 20, 11
	v_cmp_ne_u32_e32 vcc_lo, 0, v2
	s_delay_alu instid0(VALU_DEP_2) | instskip(SKIP_1) | instid1(VALU_DEP_1)
	v_sub_nc_u32_e32 v7, 0x3f1, v6
	v_cndmask_b32_e64 v2, 0, 1, vcc_lo
	v_and_or_b32 v2, 0xffe, v3, v2
	s_delay_alu instid0(VALU_DEP_3) | instskip(NEXT) | instid1(VALU_DEP_2)
	v_med3_i32 v3, v7, 0, 13
	v_or_b32_e32 v7, 0x1000, v2
	s_delay_alu instid0(VALU_DEP_1) | instskip(NEXT) | instid1(VALU_DEP_1)
	v_lshrrev_b32_e32 v8, v3, v7
	v_lshlrev_b32_e32 v3, v3, v8
	s_delay_alu instid0(VALU_DEP_1) | instskip(SKIP_1) | instid1(VALU_DEP_1)
	v_cmp_ne_u32_e32 vcc_lo, v3, v7
	v_cndmask_b32_e64 v3, 0, 1, vcc_lo
	v_or_b32_e32 v3, v8, v3
	v_add_nc_u32_e32 v6, 0xfffffc10, v6
	s_delay_alu instid0(VALU_DEP_1) | instskip(SKIP_1) | instid1(VALU_DEP_2)
	v_lshl_or_b32 v7, v6, 12, v2
	v_cmp_gt_i32_e32 vcc_lo, 1, v6
	v_cndmask_b32_e32 v3, v7, v3, vcc_lo
	s_delay_alu instid0(VALU_DEP_1) | instskip(NEXT) | instid1(VALU_DEP_1)
	v_dual_lshrrev_b32 v3, 2, v3 :: v_dual_bitop2_b32 v7, 7, v3 bitop3:0x40
	v_cmp_lt_i32_e32 vcc_lo, 5, v7
	v_cndmask_b32_e64 v8, 0, 1, vcc_lo
	v_cmp_eq_u32_e32 vcc_lo, 3, v7
	v_cndmask_b32_e64 v7, 0, 1, vcc_lo
	v_cmp_ne_u32_e32 vcc_lo, 0, v2
	s_delay_alu instid0(VALU_DEP_2) | instskip(NEXT) | instid1(VALU_DEP_1)
	v_or_b32_e32 v7, v7, v8
	v_dual_mov_b32 v8, 0x7e00 :: v_dual_add_nc_u32 v3, v3, v7
	s_delay_alu instid0(VALU_DEP_1) | instskip(SKIP_2) | instid1(VALU_DEP_4)
	v_cndmask_b32_e32 v2, 0x7c00, v8, vcc_lo
	v_cmp_gt_i32_e32 vcc_lo, 31, v6
	v_lshrrev_b32_e32 v7, 16, v1
	v_cndmask_b32_e32 v3, 0x7c00, v3, vcc_lo
	v_cmp_eq_u32_e32 vcc_lo, 0x40f, v6
	s_delay_alu instid0(VALU_DEP_2) | instskip(NEXT) | instid1(VALU_DEP_4)
	v_cndmask_b32_e32 v2, v3, v2, vcc_lo
	v_and_b32_e32 v3, 0x8000, v7
	s_delay_alu instid0(VALU_DEP_1)
	v_bitop3_b32 v2, v3, 0xffff, v2 bitop3:0xc8
	global_store_b32 v[4:5], v2, off
.LBB215_1121:
	s_mov_b32 s4, 0
.LBB215_1122:
	s_delay_alu instid0(SALU_CYCLE_1)
	s_and_not1_b32 vcc_lo, exec_lo, s4
	s_cbranch_vccnz .LBB215_1131
; %bb.1123:
	s_sext_i32_i16 s5, s6
	s_mov_b32 s4, -1
	s_cmp_lt_i32 s5, 6
	s_cbranch_scc1 .LBB215_1129
; %bb.1124:
	s_cmp_gt_i32 s5, 6
	s_cbranch_scc0 .LBB215_1126
; %bb.1125:
	s_mov_b32 s4, 0
	s_wait_loadcnt 0x0
	global_store_b64 v[4:5], v[0:1], off
.LBB215_1126:
	s_and_not1_b32 vcc_lo, exec_lo, s4
	s_cbranch_vccnz .LBB215_1128
; %bb.1127:
	s_wait_loadcnt 0x0
	v_cvt_f32_f64_e32 v2, v[0:1]
	global_store_b32 v[4:5], v2, off
.LBB215_1128:
	s_mov_b32 s4, 0
.LBB215_1129:
	s_delay_alu instid0(SALU_CYCLE_1)
	s_and_not1_b32 vcc_lo, exec_lo, s4
	s_cbranch_vccnz .LBB215_1131
; %bb.1130:
	s_wait_loadcnt 0x0
	v_and_or_b32 v2, 0x1ff, v1, v0
	v_lshrrev_b32_e32 v3, 8, v1
	v_bfe_u32 v6, v1, 20, 11
	s_delay_alu instid0(VALU_DEP_3) | instskip(NEXT) | instid1(VALU_DEP_2)
	v_cmp_ne_u32_e32 vcc_lo, 0, v2
	v_sub_nc_u32_e32 v7, 0x3f1, v6
	v_cndmask_b32_e64 v2, 0, 1, vcc_lo
	s_delay_alu instid0(VALU_DEP_1) | instskip(NEXT) | instid1(VALU_DEP_3)
	v_and_or_b32 v2, 0xffe, v3, v2
	v_med3_i32 v3, v7, 0, 13
	s_delay_alu instid0(VALU_DEP_2) | instskip(NEXT) | instid1(VALU_DEP_1)
	v_or_b32_e32 v7, 0x1000, v2
	v_lshrrev_b32_e32 v8, v3, v7
	s_delay_alu instid0(VALU_DEP_1) | instskip(NEXT) | instid1(VALU_DEP_1)
	v_lshlrev_b32_e32 v3, v3, v8
	v_cmp_ne_u32_e32 vcc_lo, v3, v7
	v_cndmask_b32_e64 v3, 0, 1, vcc_lo
	s_delay_alu instid0(VALU_DEP_1) | instskip(SKIP_1) | instid1(VALU_DEP_1)
	v_or_b32_e32 v3, v8, v3
	v_add_nc_u32_e32 v6, 0xfffffc10, v6
	v_lshl_or_b32 v7, v6, 12, v2
	v_cmp_gt_i32_e32 vcc_lo, 1, v6
	s_delay_alu instid0(VALU_DEP_2) | instskip(NEXT) | instid1(VALU_DEP_1)
	v_cndmask_b32_e32 v3, v7, v3, vcc_lo
	v_dual_lshrrev_b32 v3, 2, v3 :: v_dual_bitop2_b32 v7, 7, v3 bitop3:0x40
	s_delay_alu instid0(VALU_DEP_1) | instskip(SKIP_4) | instid1(VALU_DEP_2)
	v_cmp_lt_i32_e32 vcc_lo, 5, v7
	v_cndmask_b32_e64 v8, 0, 1, vcc_lo
	v_cmp_eq_u32_e32 vcc_lo, 3, v7
	v_cndmask_b32_e64 v7, 0, 1, vcc_lo
	v_cmp_ne_u32_e32 vcc_lo, 0, v2
	v_or_b32_e32 v7, v7, v8
	s_delay_alu instid0(VALU_DEP_1) | instskip(NEXT) | instid1(VALU_DEP_1)
	v_dual_mov_b32 v8, 0x7e00 :: v_dual_add_nc_u32 v3, v3, v7
	v_cndmask_b32_e32 v2, 0x7c00, v8, vcc_lo
	v_cmp_gt_i32_e32 vcc_lo, 31, v6
	s_delay_alu instid0(VALU_DEP_3) | instskip(SKIP_1) | instid1(VALU_DEP_2)
	v_cndmask_b32_e32 v3, 0x7c00, v3, vcc_lo
	v_cmp_eq_u32_e32 vcc_lo, 0x40f, v6
	v_dual_cndmask_b32 v2, v3, v2 :: v_dual_lshrrev_b32 v3, 16, v1
	s_delay_alu instid0(VALU_DEP_1)
	v_and_or_b32 v2, 0x8000, v3, v2
	global_store_b16 v[4:5], v2, off
.LBB215_1131:
	s_mov_b32 s4, 0
.LBB215_1132:
	s_delay_alu instid0(SALU_CYCLE_1)
	s_and_not1_b32 vcc_lo, exec_lo, s4
	s_cbranch_vccnz .LBB215_1148
; %bb.1133:
	s_sext_i32_i16 s5, s6
	s_mov_b32 s4, -1
	s_cmp_lt_i32 s5, 2
	s_cbranch_scc1 .LBB215_1143
; %bb.1134:
	s_cmp_lt_i32 s5, 3
	s_cbranch_scc1 .LBB215_1140
; %bb.1135:
	s_cmp_gt_i32 s5, 3
	s_cbranch_scc0 .LBB215_1137
; %bb.1136:
	s_wait_loadcnt 0x0
	v_trunc_f64_e32 v[2:3], v[0:1]
	s_mov_b32 s4, 0
	s_delay_alu instid0(VALU_DEP_1) | instskip(NEXT) | instid1(VALU_DEP_1)
	v_ldexp_f64 v[6:7], v[2:3], 0xffffffe0
	v_floor_f64_e32 v[6:7], v[6:7]
	s_delay_alu instid0(VALU_DEP_1) | instskip(SKIP_1) | instid1(VALU_DEP_2)
	v_fmamk_f64 v[2:3], v[6:7], 0xc1f00000, v[2:3]
	v_cvt_i32_f64_e32 v7, v[6:7]
	v_cvt_u32_f64_e32 v6, v[2:3]
	global_store_b64 v[4:5], v[6:7], off
.LBB215_1137:
	s_and_not1_b32 vcc_lo, exec_lo, s4
	s_cbranch_vccnz .LBB215_1139
; %bb.1138:
	s_wait_loadcnt 0x0
	v_cvt_i32_f64_e32 v2, v[0:1]
	global_store_b32 v[4:5], v2, off
.LBB215_1139:
	s_mov_b32 s4, 0
.LBB215_1140:
	s_delay_alu instid0(SALU_CYCLE_1)
	s_and_not1_b32 vcc_lo, exec_lo, s4
	s_cbranch_vccnz .LBB215_1142
; %bb.1141:
	s_wait_loadcnt 0x0
	v_cvt_i32_f64_e32 v2, v[0:1]
	global_store_b16 v[4:5], v2, off
.LBB215_1142:
	s_mov_b32 s4, 0
.LBB215_1143:
	s_delay_alu instid0(SALU_CYCLE_1)
	s_and_not1_b32 vcc_lo, exec_lo, s4
	s_cbranch_vccnz .LBB215_1148
; %bb.1144:
	s_sext_i32_i16 s4, s6
	s_delay_alu instid0(SALU_CYCLE_1)
	s_cmp_gt_i32 s4, 0
	s_mov_b32 s4, -1
	s_cbranch_scc0 .LBB215_1146
; %bb.1145:
	s_wait_loadcnt 0x0
	v_cvt_i32_f64_e32 v2, v[0:1]
	s_mov_b32 s4, 0
	global_store_b8 v[4:5], v2, off
.LBB215_1146:
	s_and_not1_b32 vcc_lo, exec_lo, s4
	s_cbranch_vccnz .LBB215_1148
; %bb.1147:
	s_wait_loadcnt 0x0
	v_trunc_f64_e32 v[0:1], v[0:1]
	s_delay_alu instid0(VALU_DEP_1) | instskip(NEXT) | instid1(VALU_DEP_1)
	v_ldexp_f64 v[2:3], v[0:1], 0xffffffe0
	v_floor_f64_e32 v[2:3], v[2:3]
	s_delay_alu instid0(VALU_DEP_1) | instskip(NEXT) | instid1(VALU_DEP_1)
	v_fmamk_f64 v[0:1], v[2:3], 0xc1f00000, v[0:1]
	v_cvt_u32_f64_e32 v0, v[0:1]
	global_store_b8 v[4:5], v0, off
.LBB215_1148:
	s_wait_xcnt 0x0
	s_or_b32 exec_lo, exec_lo, s0
	s_delay_alu instid0(SALU_CYCLE_1)
	s_and_b32 s8, s1, exec_lo
                                        ; implicit-def: $vgpr3
                                        ; implicit-def: $vgpr4
.LBB215_1149:
	s_or_saveexec_b32 s9, s37
	s_mov_b32 s0, 0
                                        ; implicit-def: $vgpr6_vgpr7
                                        ; implicit-def: $sgpr1
                                        ; implicit-def: $vgpr0_vgpr1
	s_xor_b32 exec_lo, exec_lo, s9
	s_cbranch_execz .LBB215_1772
; %bb.1150:
	s_wait_loadcnt 0x0
	v_cndmask_b32_e64 v0, 0, 1, s36
	s_and_not1_b32 vcc_lo, exec_lo, s36
	s_cbranch_vccnz .LBB215_1156
; %bb.1151:
	s_cmp_lg_u32 s33, 0
	s_mov_b32 s10, 0
	s_cbranch_scc0 .LBB215_1157
; %bb.1152:
	s_min_u32 s1, s34, 15
	s_delay_alu instid0(SALU_CYCLE_1)
	s_add_co_i32 s1, s1, 1
	s_cmp_eq_u32 s34, 2
	s_cbranch_scc1 .LBB215_1158
; %bb.1153:
	v_dual_mov_b32 v16, 0 :: v_dual_mov_b32 v2, 0
	v_mov_b32_e32 v1, v4
	s_and_b32 s0, s1, 28
	s_add_nc_u64 s[4:5], s[2:3], 0xc4
	s_mov_b32 s11, 0
	s_mov_b64 s[6:7], s[2:3]
.LBB215_1154:                           ; =>This Inner Loop Header: Depth=1
	s_clause 0x1
	s_load_b256 s[12:19], s[6:7], 0x4
	s_load_b128 s[28:31], s[6:7], 0x24
	s_load_b256 s[20:27], s[4:5], 0x0
	s_add_co_i32 s11, s11, 4
	s_wait_xcnt 0x0
	s_add_nc_u64 s[6:7], s[6:7], 48
	s_cmp_lg_u32 s0, s11
	s_add_nc_u64 s[4:5], s[4:5], 32
	s_wait_kmcnt 0x0
	v_mul_hi_u32 v5, s13, v1
	s_delay_alu instid0(VALU_DEP_1) | instskip(NEXT) | instid1(VALU_DEP_1)
	v_add_nc_u32_e32 v5, v1, v5
	v_lshrrev_b32_e32 v5, s14, v5
	s_delay_alu instid0(VALU_DEP_1) | instskip(NEXT) | instid1(VALU_DEP_1)
	v_mul_hi_u32 v6, s16, v5
	v_add_nc_u32_e32 v6, v5, v6
	s_delay_alu instid0(VALU_DEP_1) | instskip(NEXT) | instid1(VALU_DEP_1)
	v_lshrrev_b32_e32 v6, s17, v6
	v_mul_hi_u32 v7, s19, v6
	s_delay_alu instid0(VALU_DEP_1) | instskip(SKIP_1) | instid1(VALU_DEP_2)
	v_add_nc_u32_e32 v7, v6, v7
	v_mul_lo_u32 v8, v5, s12
	v_lshrrev_b32_e32 v7, s28, v7
	s_delay_alu instid0(VALU_DEP_1) | instskip(NEXT) | instid1(VALU_DEP_3)
	v_mul_hi_u32 v9, s30, v7
	v_sub_nc_u32_e32 v1, v1, v8
	v_mul_lo_u32 v8, v6, s15
	s_delay_alu instid0(VALU_DEP_3) | instskip(NEXT) | instid1(VALU_DEP_3)
	v_add_nc_u32_e32 v9, v7, v9
	v_mad_u32 v2, v1, s21, v2
	v_mad_u32 v1, v1, s20, v16
	s_delay_alu instid0(VALU_DEP_4) | instskip(SKIP_1) | instid1(VALU_DEP_2)
	v_sub_nc_u32_e32 v5, v5, v8
	v_mul_lo_u32 v8, v7, s18
	v_mad_u32 v2, v5, s23, v2
	s_delay_alu instid0(VALU_DEP_4) | instskip(NEXT) | instid1(VALU_DEP_3)
	v_mad_u32 v5, v5, s22, v1
	v_dual_lshrrev_b32 v1, s31, v9 :: v_dual_sub_nc_u32 v6, v6, v8
	s_delay_alu instid0(VALU_DEP_1) | instskip(NEXT) | instid1(VALU_DEP_2)
	v_mul_lo_u32 v8, v1, s29
	v_mad_u32 v2, v6, s25, v2
	s_delay_alu instid0(VALU_DEP_4) | instskip(NEXT) | instid1(VALU_DEP_3)
	v_mad_u32 v5, v6, s24, v5
	v_sub_nc_u32_e32 v6, v7, v8
	s_delay_alu instid0(VALU_DEP_1) | instskip(NEXT) | instid1(VALU_DEP_3)
	v_mad_u32 v2, v6, s27, v2
	v_mad_u32 v16, v6, s26, v5
	s_cbranch_scc1 .LBB215_1154
; %bb.1155:
	s_delay_alu instid0(VALU_DEP_2)
	v_mov_b32_e32 v17, v2
	s_and_b32 s6, s1, 3
	s_mov_b32 s1, 0
	s_cmp_eq_u32 s6, 0
	s_cbranch_scc0 .LBB215_1159
	s_branch .LBB215_1162
.LBB215_1156:
	s_mov_b32 s10, -1
                                        ; implicit-def: $vgpr2
                                        ; implicit-def: $vgpr16
	s_branch .LBB215_1162
.LBB215_1157:
	v_dual_mov_b32 v2, 0 :: v_dual_mov_b32 v16, 0
	s_branch .LBB215_1162
.LBB215_1158:
	v_mov_b64_e32 v[16:17], 0
	v_mov_b32_e32 v1, v4
                                        ; implicit-def: $vgpr2
	s_and_b32 s6, s1, 3
	s_mov_b32 s1, 0
	s_cmp_eq_u32 s6, 0
	s_cbranch_scc1 .LBB215_1162
.LBB215_1159:
	s_lshl_b32 s4, s0, 3
	s_mov_b32 s5, s1
	s_mul_u64 s[12:13], s[0:1], 12
	s_add_nc_u64 s[4:5], s[2:3], s[4:5]
	s_delay_alu instid0(SALU_CYCLE_1)
	s_add_nc_u64 s[0:1], s[4:5], 0xc4
	s_add_nc_u64 s[4:5], s[2:3], s[12:13]
.LBB215_1160:                           ; =>This Inner Loop Header: Depth=1
	s_load_b96 s[12:14], s[4:5], 0x4
	s_add_co_i32 s6, s6, -1
	s_wait_xcnt 0x0
	s_add_nc_u64 s[4:5], s[4:5], 12
	s_cmp_lg_u32 s6, 0
	s_wait_kmcnt 0x0
	v_mul_hi_u32 v2, s13, v1
	s_delay_alu instid0(VALU_DEP_1) | instskip(NEXT) | instid1(VALU_DEP_1)
	v_add_nc_u32_e32 v2, v1, v2
	v_lshrrev_b32_e32 v2, s14, v2
	s_load_b64 s[14:15], s[0:1], 0x0
	s_wait_xcnt 0x0
	s_add_nc_u64 s[0:1], s[0:1], 8
	s_delay_alu instid0(VALU_DEP_1) | instskip(NEXT) | instid1(VALU_DEP_1)
	v_mul_lo_u32 v5, v2, s12
	v_sub_nc_u32_e32 v1, v1, v5
	s_wait_kmcnt 0x0
	s_delay_alu instid0(VALU_DEP_1)
	v_mad_u32 v17, v1, s15, v17
	v_mad_u32 v16, v1, s14, v16
	v_mov_b32_e32 v1, v2
	s_cbranch_scc1 .LBB215_1160
; %bb.1161:
	s_delay_alu instid0(VALU_DEP_3)
	v_mov_b32_e32 v2, v17
.LBB215_1162:
	s_and_not1_b32 vcc_lo, exec_lo, s10
	s_cbranch_vccnz .LBB215_1165
; %bb.1163:
	s_clause 0x1
	s_load_b96 s[4:6], s[2:3], 0x4
	s_load_b64 s[0:1], s[2:3], 0xc4
	s_cmp_lt_u32 s33, 2
	s_wait_kmcnt 0x0
	v_mul_hi_u32 v1, s5, v4
	s_delay_alu instid0(VALU_DEP_1) | instskip(NEXT) | instid1(VALU_DEP_1)
	v_add_nc_u32_e32 v1, v4, v1
	v_lshrrev_b32_e32 v1, s6, v1
	s_delay_alu instid0(VALU_DEP_1) | instskip(NEXT) | instid1(VALU_DEP_1)
	v_mul_lo_u32 v2, v1, s4
	v_sub_nc_u32_e32 v5, v4, v2
	s_delay_alu instid0(VALU_DEP_1)
	v_mul_lo_u32 v2, v5, s1
	v_mul_lo_u32 v16, v5, s0
	s_cbranch_scc1 .LBB215_1165
; %bb.1164:
	s_clause 0x1
	s_load_b96 s[4:6], s[2:3], 0x10
	s_load_b64 s[0:1], s[2:3], 0xcc
	s_wait_kmcnt 0x0
	v_mul_hi_u32 v5, s5, v1
	s_delay_alu instid0(VALU_DEP_1) | instskip(NEXT) | instid1(VALU_DEP_1)
	v_add_nc_u32_e32 v5, v1, v5
	v_lshrrev_b32_e32 v5, s6, v5
	s_delay_alu instid0(VALU_DEP_1) | instskip(NEXT) | instid1(VALU_DEP_1)
	v_mul_lo_u32 v5, v5, s4
	v_sub_nc_u32_e32 v1, v1, v5
	s_delay_alu instid0(VALU_DEP_1)
	v_mad_u32 v16, v1, s0, v16
	v_mad_u32 v2, v1, s1, v2
.LBB215_1165:
	v_cmp_ne_u32_e32 vcc_lo, 1, v0
	v_add_nc_u32_e32 v1, 0x80, v4
	s_cbranch_vccnz .LBB215_1171
; %bb.1166:
	s_cmp_lg_u32 s33, 0
	s_mov_b32 s10, 0
	s_cbranch_scc0 .LBB215_1172
; %bb.1167:
	s_min_u32 s1, s34, 15
	s_delay_alu instid0(SALU_CYCLE_1)
	s_add_co_i32 s1, s1, 1
	s_cmp_eq_u32 s34, 2
	s_cbranch_scc1 .LBB215_1173
; %bb.1168:
	v_dual_mov_b32 v8, 0 :: v_dual_mov_b32 v6, 0
	v_mov_b32_e32 v5, v1
	s_and_b32 s0, s1, 28
	s_add_nc_u64 s[4:5], s[2:3], 0xc4
	s_mov_b32 s11, 0
	s_mov_b64 s[6:7], s[2:3]
.LBB215_1169:                           ; =>This Inner Loop Header: Depth=1
	s_clause 0x1
	s_load_b256 s[12:19], s[6:7], 0x4
	s_load_b128 s[28:31], s[6:7], 0x24
	s_load_b256 s[20:27], s[4:5], 0x0
	s_add_co_i32 s11, s11, 4
	s_wait_xcnt 0x0
	s_add_nc_u64 s[6:7], s[6:7], 48
	s_cmp_lg_u32 s0, s11
	s_add_nc_u64 s[4:5], s[4:5], 32
	s_wait_kmcnt 0x0
	v_mul_hi_u32 v7, s13, v5
	s_delay_alu instid0(VALU_DEP_1) | instskip(NEXT) | instid1(VALU_DEP_1)
	v_add_nc_u32_e32 v7, v5, v7
	v_lshrrev_b32_e32 v7, s14, v7
	s_delay_alu instid0(VALU_DEP_1) | instskip(NEXT) | instid1(VALU_DEP_1)
	v_mul_hi_u32 v9, s16, v7
	v_add_nc_u32_e32 v9, v7, v9
	s_delay_alu instid0(VALU_DEP_1) | instskip(NEXT) | instid1(VALU_DEP_1)
	v_lshrrev_b32_e32 v9, s17, v9
	v_mul_hi_u32 v10, s19, v9
	s_delay_alu instid0(VALU_DEP_1) | instskip(SKIP_1) | instid1(VALU_DEP_1)
	v_add_nc_u32_e32 v10, v9, v10
	v_mul_lo_u32 v11, v7, s12
	v_sub_nc_u32_e32 v5, v5, v11
	v_mul_lo_u32 v11, v9, s15
	s_delay_alu instid0(VALU_DEP_4) | instskip(NEXT) | instid1(VALU_DEP_3)
	v_lshrrev_b32_e32 v10, s28, v10
	v_mad_u32 v6, v5, s21, v6
	v_mad_u32 v5, v5, s20, v8
	s_delay_alu instid0(VALU_DEP_4) | instskip(NEXT) | instid1(VALU_DEP_4)
	v_sub_nc_u32_e32 v7, v7, v11
	v_mul_hi_u32 v12, s30, v10
	v_mul_lo_u32 v8, v10, s18
	s_delay_alu instid0(VALU_DEP_3) | instskip(SKIP_1) | instid1(VALU_DEP_4)
	v_mad_u32 v6, v7, s23, v6
	v_mad_u32 v7, v7, s22, v5
	v_add_nc_u32_e32 v11, v10, v12
	s_delay_alu instid0(VALU_DEP_1) | instskip(NEXT) | instid1(VALU_DEP_1)
	v_dual_sub_nc_u32 v8, v9, v8 :: v_dual_lshrrev_b32 v5, s31, v11
	v_mad_u32 v6, v8, s25, v6
	s_delay_alu instid0(VALU_DEP_4) | instskip(NEXT) | instid1(VALU_DEP_3)
	v_mad_u32 v7, v8, s24, v7
	v_mul_lo_u32 v9, v5, s29
	s_delay_alu instid0(VALU_DEP_1) | instskip(NEXT) | instid1(VALU_DEP_1)
	v_sub_nc_u32_e32 v8, v10, v9
	v_mad_u32 v6, v8, s27, v6
	s_delay_alu instid0(VALU_DEP_4)
	v_mad_u32 v8, v8, s26, v7
	s_cbranch_scc1 .LBB215_1169
; %bb.1170:
	s_delay_alu instid0(VALU_DEP_2)
	v_mov_b32_e32 v9, v6
	s_and_b32 s6, s1, 3
	s_mov_b32 s1, 0
	s_cmp_eq_u32 s6, 0
	s_cbranch_scc0 .LBB215_1174
	s_branch .LBB215_1177
.LBB215_1171:
	s_mov_b32 s10, -1
                                        ; implicit-def: $vgpr6
                                        ; implicit-def: $vgpr8
	s_branch .LBB215_1177
.LBB215_1172:
	v_dual_mov_b32 v6, 0 :: v_dual_mov_b32 v8, 0
	s_branch .LBB215_1177
.LBB215_1173:
	v_mov_b64_e32 v[8:9], 0
	v_mov_b32_e32 v5, v1
	s_mov_b32 s0, 0
                                        ; implicit-def: $vgpr6
	s_and_b32 s6, s1, 3
	s_mov_b32 s1, 0
	s_cmp_eq_u32 s6, 0
	s_cbranch_scc1 .LBB215_1177
.LBB215_1174:
	s_lshl_b32 s4, s0, 3
	s_mov_b32 s5, s1
	s_mul_u64 s[12:13], s[0:1], 12
	s_add_nc_u64 s[4:5], s[2:3], s[4:5]
	s_delay_alu instid0(SALU_CYCLE_1)
	s_add_nc_u64 s[0:1], s[4:5], 0xc4
	s_add_nc_u64 s[4:5], s[2:3], s[12:13]
.LBB215_1175:                           ; =>This Inner Loop Header: Depth=1
	s_load_b96 s[12:14], s[4:5], 0x4
	s_add_co_i32 s6, s6, -1
	s_wait_xcnt 0x0
	s_add_nc_u64 s[4:5], s[4:5], 12
	s_cmp_lg_u32 s6, 0
	s_wait_kmcnt 0x0
	v_mul_hi_u32 v6, s13, v5
	s_delay_alu instid0(VALU_DEP_1) | instskip(NEXT) | instid1(VALU_DEP_1)
	v_add_nc_u32_e32 v6, v5, v6
	v_lshrrev_b32_e32 v6, s14, v6
	s_load_b64 s[14:15], s[0:1], 0x0
	s_wait_xcnt 0x0
	s_add_nc_u64 s[0:1], s[0:1], 8
	s_delay_alu instid0(VALU_DEP_1) | instskip(NEXT) | instid1(VALU_DEP_1)
	v_mul_lo_u32 v7, v6, s12
	v_sub_nc_u32_e32 v5, v5, v7
	s_wait_kmcnt 0x0
	s_delay_alu instid0(VALU_DEP_1)
	v_mad_u32 v9, v5, s15, v9
	v_mad_u32 v8, v5, s14, v8
	v_mov_b32_e32 v5, v6
	s_cbranch_scc1 .LBB215_1175
; %bb.1176:
	s_delay_alu instid0(VALU_DEP_3)
	v_mov_b32_e32 v6, v9
.LBB215_1177:
	s_and_not1_b32 vcc_lo, exec_lo, s10
	s_cbranch_vccnz .LBB215_1180
; %bb.1178:
	s_clause 0x1
	s_load_b96 s[4:6], s[2:3], 0x4
	s_load_b64 s[0:1], s[2:3], 0xc4
	s_cmp_lt_u32 s33, 2
	s_wait_kmcnt 0x0
	v_mul_hi_u32 v5, s5, v1
	s_delay_alu instid0(VALU_DEP_1) | instskip(NEXT) | instid1(VALU_DEP_1)
	v_add_nc_u32_e32 v5, v1, v5
	v_lshrrev_b32_e32 v5, s6, v5
	s_delay_alu instid0(VALU_DEP_1) | instskip(NEXT) | instid1(VALU_DEP_1)
	v_mul_lo_u32 v6, v5, s4
	v_sub_nc_u32_e32 v1, v1, v6
	s_delay_alu instid0(VALU_DEP_1)
	v_mul_lo_u32 v6, v1, s1
	v_mul_lo_u32 v8, v1, s0
	s_cbranch_scc1 .LBB215_1180
; %bb.1179:
	s_clause 0x1
	s_load_b96 s[4:6], s[2:3], 0x10
	s_load_b64 s[0:1], s[2:3], 0xcc
	s_wait_kmcnt 0x0
	v_mul_hi_u32 v1, s5, v5
	s_delay_alu instid0(VALU_DEP_1) | instskip(NEXT) | instid1(VALU_DEP_1)
	v_add_nc_u32_e32 v1, v5, v1
	v_lshrrev_b32_e32 v1, s6, v1
	s_delay_alu instid0(VALU_DEP_1) | instskip(NEXT) | instid1(VALU_DEP_1)
	v_mul_lo_u32 v1, v1, s4
	v_sub_nc_u32_e32 v1, v5, v1
	s_delay_alu instid0(VALU_DEP_1)
	v_mad_u32 v8, v1, s0, v8
	v_mad_u32 v6, v1, s1, v6
.LBB215_1180:
	v_cmp_ne_u32_e32 vcc_lo, 1, v0
	v_add_nc_u32_e32 v1, 0x100, v4
	s_cbranch_vccnz .LBB215_1186
; %bb.1181:
	s_cmp_lg_u32 s33, 0
	s_mov_b32 s10, 0
	s_cbranch_scc0 .LBB215_1187
; %bb.1182:
	s_min_u32 s1, s34, 15
	s_delay_alu instid0(SALU_CYCLE_1)
	s_add_co_i32 s1, s1, 1
	s_cmp_eq_u32 s34, 2
	s_cbranch_scc1 .LBB215_1188
; %bb.1183:
	v_dual_mov_b32 v12, 0 :: v_dual_mov_b32 v4, 0
	v_mov_b32_e32 v5, v1
	s_and_b32 s0, s1, 28
	s_add_nc_u64 s[4:5], s[2:3], 0xc4
	s_mov_b32 s11, 0
	s_mov_b64 s[6:7], s[2:3]
.LBB215_1184:                           ; =>This Inner Loop Header: Depth=1
	s_clause 0x1
	s_load_b256 s[12:19], s[6:7], 0x4
	s_load_b128 s[28:31], s[6:7], 0x24
	s_load_b256 s[20:27], s[4:5], 0x0
	s_add_co_i32 s11, s11, 4
	s_wait_xcnt 0x0
	s_add_nc_u64 s[6:7], s[6:7], 48
	s_cmp_lg_u32 s0, s11
	s_add_nc_u64 s[4:5], s[4:5], 32
	s_wait_kmcnt 0x0
	v_mul_hi_u32 v7, s13, v5
	s_delay_alu instid0(VALU_DEP_1) | instskip(NEXT) | instid1(VALU_DEP_1)
	v_add_nc_u32_e32 v7, v5, v7
	v_lshrrev_b32_e32 v7, s14, v7
	s_delay_alu instid0(VALU_DEP_1) | instskip(NEXT) | instid1(VALU_DEP_1)
	v_mul_hi_u32 v9, s16, v7
	v_add_nc_u32_e32 v9, v7, v9
	s_delay_alu instid0(VALU_DEP_1) | instskip(NEXT) | instid1(VALU_DEP_1)
	v_lshrrev_b32_e32 v9, s17, v9
	v_mul_hi_u32 v10, s19, v9
	s_delay_alu instid0(VALU_DEP_1) | instskip(SKIP_1) | instid1(VALU_DEP_1)
	v_add_nc_u32_e32 v10, v9, v10
	v_mul_lo_u32 v11, v7, s12
	v_sub_nc_u32_e32 v5, v5, v11
	v_mul_lo_u32 v11, v9, s15
	s_delay_alu instid0(VALU_DEP_4) | instskip(NEXT) | instid1(VALU_DEP_3)
	v_lshrrev_b32_e32 v10, s28, v10
	v_mad_u32 v4, v5, s21, v4
	v_mad_u32 v5, v5, s20, v12
	s_delay_alu instid0(VALU_DEP_4) | instskip(NEXT) | instid1(VALU_DEP_4)
	v_sub_nc_u32_e32 v7, v7, v11
	v_mul_hi_u32 v13, s30, v10
	v_mul_lo_u32 v11, v10, s18
	s_delay_alu instid0(VALU_DEP_3) | instskip(SKIP_1) | instid1(VALU_DEP_3)
	v_mad_u32 v4, v7, s23, v4
	v_mad_u32 v7, v7, s22, v5
	v_dual_add_nc_u32 v12, v10, v13 :: v_dual_sub_nc_u32 v9, v9, v11
	s_delay_alu instid0(VALU_DEP_1) | instskip(NEXT) | instid1(VALU_DEP_2)
	v_lshrrev_b32_e32 v5, s31, v12
	v_mad_u32 v4, v9, s25, v4
	s_delay_alu instid0(VALU_DEP_4) | instskip(NEXT) | instid1(VALU_DEP_3)
	v_mad_u32 v7, v9, s24, v7
	v_mul_lo_u32 v11, v5, s29
	s_delay_alu instid0(VALU_DEP_1) | instskip(NEXT) | instid1(VALU_DEP_1)
	v_sub_nc_u32_e32 v9, v10, v11
	v_mad_u32 v4, v9, s27, v4
	s_delay_alu instid0(VALU_DEP_4)
	v_mad_u32 v12, v9, s26, v7
	s_cbranch_scc1 .LBB215_1184
; %bb.1185:
	s_delay_alu instid0(VALU_DEP_2)
	v_mov_b32_e32 v13, v4
	s_and_b32 s6, s1, 3
	s_mov_b32 s1, 0
	s_cmp_eq_u32 s6, 0
	s_cbranch_scc0 .LBB215_1189
	s_branch .LBB215_1192
.LBB215_1186:
	s_mov_b32 s10, -1
                                        ; implicit-def: $vgpr4
                                        ; implicit-def: $vgpr12
	s_branch .LBB215_1192
.LBB215_1187:
	v_dual_mov_b32 v4, 0 :: v_dual_mov_b32 v12, 0
	s_branch .LBB215_1192
.LBB215_1188:
	v_mov_b64_e32 v[12:13], 0
	v_mov_b32_e32 v5, v1
	s_mov_b32 s0, 0
                                        ; implicit-def: $vgpr4
	s_and_b32 s6, s1, 3
	s_mov_b32 s1, 0
	s_cmp_eq_u32 s6, 0
	s_cbranch_scc1 .LBB215_1192
.LBB215_1189:
	s_lshl_b32 s4, s0, 3
	s_mov_b32 s5, s1
	s_mul_u64 s[12:13], s[0:1], 12
	s_add_nc_u64 s[4:5], s[2:3], s[4:5]
	s_delay_alu instid0(SALU_CYCLE_1)
	s_add_nc_u64 s[0:1], s[4:5], 0xc4
	s_add_nc_u64 s[4:5], s[2:3], s[12:13]
.LBB215_1190:                           ; =>This Inner Loop Header: Depth=1
	s_load_b96 s[12:14], s[4:5], 0x4
	s_add_co_i32 s6, s6, -1
	s_wait_xcnt 0x0
	s_add_nc_u64 s[4:5], s[4:5], 12
	s_cmp_lg_u32 s6, 0
	s_wait_kmcnt 0x0
	v_mul_hi_u32 v4, s13, v5
	s_delay_alu instid0(VALU_DEP_1) | instskip(NEXT) | instid1(VALU_DEP_1)
	v_add_nc_u32_e32 v4, v5, v4
	v_lshrrev_b32_e32 v4, s14, v4
	s_load_b64 s[14:15], s[0:1], 0x0
	s_wait_xcnt 0x0
	s_add_nc_u64 s[0:1], s[0:1], 8
	s_delay_alu instid0(VALU_DEP_1) | instskip(NEXT) | instid1(VALU_DEP_1)
	v_mul_lo_u32 v7, v4, s12
	v_sub_nc_u32_e32 v5, v5, v7
	s_wait_kmcnt 0x0
	s_delay_alu instid0(VALU_DEP_1)
	v_mad_u32 v13, v5, s15, v13
	v_mad_u32 v12, v5, s14, v12
	v_mov_b32_e32 v5, v4
	s_cbranch_scc1 .LBB215_1190
; %bb.1191:
	s_delay_alu instid0(VALU_DEP_3)
	v_mov_b32_e32 v4, v13
.LBB215_1192:
	s_and_not1_b32 vcc_lo, exec_lo, s10
	s_cbranch_vccnz .LBB215_1195
; %bb.1193:
	s_clause 0x1
	s_load_b96 s[4:6], s[2:3], 0x4
	s_load_b64 s[0:1], s[2:3], 0xc4
	s_cmp_lt_u32 s33, 2
	s_wait_kmcnt 0x0
	v_mul_hi_u32 v4, s5, v1
	s_delay_alu instid0(VALU_DEP_1) | instskip(NEXT) | instid1(VALU_DEP_1)
	v_add_nc_u32_e32 v4, v1, v4
	v_lshrrev_b32_e32 v5, s6, v4
	s_delay_alu instid0(VALU_DEP_1) | instskip(NEXT) | instid1(VALU_DEP_1)
	v_mul_lo_u32 v4, v5, s4
	v_sub_nc_u32_e32 v1, v1, v4
	s_delay_alu instid0(VALU_DEP_1)
	v_mul_lo_u32 v4, v1, s1
	v_mul_lo_u32 v12, v1, s0
	s_cbranch_scc1 .LBB215_1195
; %bb.1194:
	s_clause 0x1
	s_load_b96 s[4:6], s[2:3], 0x10
	s_load_b64 s[0:1], s[2:3], 0xcc
	s_wait_kmcnt 0x0
	v_mul_hi_u32 v1, s5, v5
	s_delay_alu instid0(VALU_DEP_1) | instskip(NEXT) | instid1(VALU_DEP_1)
	v_add_nc_u32_e32 v1, v5, v1
	v_lshrrev_b32_e32 v1, s6, v1
	s_delay_alu instid0(VALU_DEP_1) | instskip(NEXT) | instid1(VALU_DEP_1)
	v_mul_lo_u32 v1, v1, s4
	v_sub_nc_u32_e32 v1, v5, v1
	s_delay_alu instid0(VALU_DEP_1)
	v_mad_u32 v12, v1, s0, v12
	v_mad_u32 v4, v1, s1, v4
.LBB215_1195:
	v_cmp_ne_u32_e32 vcc_lo, 1, v0
	s_cbranch_vccnz .LBB215_1201
; %bb.1196:
	s_cmp_lg_u32 s33, 0
	s_mov_b32 s10, 0
	s_cbranch_scc0 .LBB215_1202
; %bb.1197:
	s_min_u32 s1, s34, 15
	s_delay_alu instid0(SALU_CYCLE_1)
	s_add_co_i32 s1, s1, 1
	s_cmp_eq_u32 s34, 2
	s_cbranch_scc1 .LBB215_1203
; %bb.1198:
	v_dual_mov_b32 v14, 0 :: v_dual_mov_b32 v0, 0
	v_mov_b32_e32 v1, v3
	s_and_b32 s0, s1, 28
	s_add_nc_u64 s[4:5], s[2:3], 0xc4
	s_mov_b32 s11, 0
	s_mov_b64 s[6:7], s[2:3]
.LBB215_1199:                           ; =>This Inner Loop Header: Depth=1
	s_clause 0x1
	s_load_b256 s[12:19], s[6:7], 0x4
	s_load_b128 s[28:31], s[6:7], 0x24
	s_load_b256 s[20:27], s[4:5], 0x0
	s_add_co_i32 s11, s11, 4
	s_wait_xcnt 0x0
	s_add_nc_u64 s[6:7], s[6:7], 48
	s_cmp_lg_u32 s0, s11
	s_add_nc_u64 s[4:5], s[4:5], 32
	s_wait_kmcnt 0x0
	v_mul_hi_u32 v5, s13, v1
	s_delay_alu instid0(VALU_DEP_1) | instskip(NEXT) | instid1(VALU_DEP_1)
	v_add_nc_u32_e32 v5, v1, v5
	v_lshrrev_b32_e32 v5, s14, v5
	s_delay_alu instid0(VALU_DEP_1) | instskip(NEXT) | instid1(VALU_DEP_1)
	v_mul_lo_u32 v10, v5, s12
	v_sub_nc_u32_e32 v1, v1, v10
	v_mul_hi_u32 v7, s16, v5
	s_delay_alu instid0(VALU_DEP_2) | instskip(SKIP_1) | instid1(VALU_DEP_3)
	v_mad_u32 v0, v1, s21, v0
	v_mad_u32 v1, v1, s20, v14
	v_add_nc_u32_e32 v7, v5, v7
	s_delay_alu instid0(VALU_DEP_1) | instskip(NEXT) | instid1(VALU_DEP_1)
	v_lshrrev_b32_e32 v7, s17, v7
	v_mul_hi_u32 v9, s19, v7
	v_mul_lo_u32 v10, v7, s15
	s_delay_alu instid0(VALU_DEP_1) | instskip(NEXT) | instid1(VALU_DEP_1)
	v_dual_add_nc_u32 v9, v7, v9 :: v_dual_sub_nc_u32 v5, v5, v10
	v_lshrrev_b32_e32 v9, s28, v9
	s_delay_alu instid0(VALU_DEP_2) | instskip(SKIP_1) | instid1(VALU_DEP_3)
	v_mad_u32 v0, v5, s23, v0
	v_mad_u32 v5, v5, s22, v1
	v_mul_hi_u32 v11, s30, v9
	v_mul_lo_u32 v10, v9, s18
	s_delay_alu instid0(VALU_DEP_1) | instskip(NEXT) | instid1(VALU_DEP_1)
	v_dual_add_nc_u32 v11, v9, v11 :: v_dual_sub_nc_u32 v7, v7, v10
	v_lshrrev_b32_e32 v1, s31, v11
	s_delay_alu instid0(VALU_DEP_2) | instskip(SKIP_1) | instid1(VALU_DEP_3)
	v_mad_u32 v0, v7, s25, v0
	v_mad_u32 v5, v7, s24, v5
	v_mul_lo_u32 v10, v1, s29
	s_delay_alu instid0(VALU_DEP_1) | instskip(NEXT) | instid1(VALU_DEP_1)
	v_sub_nc_u32_e32 v7, v9, v10
	v_mad_u32 v0, v7, s27, v0
	s_delay_alu instid0(VALU_DEP_4)
	v_mad_u32 v14, v7, s26, v5
	s_cbranch_scc1 .LBB215_1199
; %bb.1200:
	s_delay_alu instid0(VALU_DEP_2)
	v_mov_b32_e32 v15, v0
	s_and_b32 s6, s1, 3
	s_mov_b32 s1, 0
	s_cmp_eq_u32 s6, 0
	s_cbranch_scc0 .LBB215_1204
	s_branch .LBB215_1207
.LBB215_1201:
	s_mov_b32 s10, -1
                                        ; implicit-def: $vgpr0
                                        ; implicit-def: $vgpr14
	s_branch .LBB215_1207
.LBB215_1202:
	v_dual_mov_b32 v0, 0 :: v_dual_mov_b32 v14, 0
	s_branch .LBB215_1207
.LBB215_1203:
	v_mov_b64_e32 v[14:15], 0
	v_mov_b32_e32 v1, v3
	s_mov_b32 s0, 0
                                        ; implicit-def: $vgpr0
	s_and_b32 s6, s1, 3
	s_mov_b32 s1, 0
	s_cmp_eq_u32 s6, 0
	s_cbranch_scc1 .LBB215_1207
.LBB215_1204:
	s_lshl_b32 s4, s0, 3
	s_mov_b32 s5, s1
	s_mul_u64 s[12:13], s[0:1], 12
	s_add_nc_u64 s[4:5], s[2:3], s[4:5]
	s_delay_alu instid0(SALU_CYCLE_1)
	s_add_nc_u64 s[0:1], s[4:5], 0xc4
	s_add_nc_u64 s[4:5], s[2:3], s[12:13]
.LBB215_1205:                           ; =>This Inner Loop Header: Depth=1
	s_load_b96 s[12:14], s[4:5], 0x4
	s_add_co_i32 s6, s6, -1
	s_wait_xcnt 0x0
	s_add_nc_u64 s[4:5], s[4:5], 12
	s_cmp_lg_u32 s6, 0
	s_wait_kmcnt 0x0
	v_mul_hi_u32 v0, s13, v1
	s_delay_alu instid0(VALU_DEP_1) | instskip(NEXT) | instid1(VALU_DEP_1)
	v_add_nc_u32_e32 v0, v1, v0
	v_lshrrev_b32_e32 v0, s14, v0
	s_load_b64 s[14:15], s[0:1], 0x0
	s_wait_xcnt 0x0
	s_add_nc_u64 s[0:1], s[0:1], 8
	s_delay_alu instid0(VALU_DEP_1) | instskip(NEXT) | instid1(VALU_DEP_1)
	v_mul_lo_u32 v5, v0, s12
	v_sub_nc_u32_e32 v1, v1, v5
	s_wait_kmcnt 0x0
	s_delay_alu instid0(VALU_DEP_1)
	v_mad_u32 v15, v1, s15, v15
	v_mad_u32 v14, v1, s14, v14
	v_mov_b32_e32 v1, v0
	s_cbranch_scc1 .LBB215_1205
; %bb.1206:
	s_delay_alu instid0(VALU_DEP_3)
	v_mov_b32_e32 v0, v15
.LBB215_1207:
	s_and_not1_b32 vcc_lo, exec_lo, s10
	s_cbranch_vccnz .LBB215_1210
; %bb.1208:
	s_clause 0x1
	s_load_b96 s[4:6], s[2:3], 0x4
	s_load_b64 s[0:1], s[2:3], 0xc4
	s_cmp_lt_u32 s33, 2
	s_wait_kmcnt 0x0
	v_mul_hi_u32 v0, s5, v3
	s_delay_alu instid0(VALU_DEP_1) | instskip(NEXT) | instid1(VALU_DEP_1)
	v_add_nc_u32_e32 v0, v3, v0
	v_lshrrev_b32_e32 v1, s6, v0
	s_delay_alu instid0(VALU_DEP_1) | instskip(NEXT) | instid1(VALU_DEP_1)
	v_mul_lo_u32 v0, v1, s4
	v_sub_nc_u32_e32 v3, v3, v0
	s_delay_alu instid0(VALU_DEP_1)
	v_mul_lo_u32 v0, v3, s1
	v_mul_lo_u32 v14, v3, s0
	s_cbranch_scc1 .LBB215_1210
; %bb.1209:
	s_clause 0x1
	s_load_b96 s[4:6], s[2:3], 0x10
	s_load_b64 s[0:1], s[2:3], 0xcc
	s_wait_kmcnt 0x0
	v_mul_hi_u32 v3, s5, v1
	s_delay_alu instid0(VALU_DEP_1) | instskip(NEXT) | instid1(VALU_DEP_1)
	v_add_nc_u32_e32 v3, v1, v3
	v_lshrrev_b32_e32 v3, s6, v3
	s_delay_alu instid0(VALU_DEP_1) | instskip(NEXT) | instid1(VALU_DEP_1)
	v_mul_lo_u32 v3, v3, s4
	v_sub_nc_u32_e32 v1, v1, v3
	s_delay_alu instid0(VALU_DEP_1)
	v_mad_u32 v14, v1, s0, v14
	v_mad_u32 v0, v1, s1, v0
.LBB215_1210:
	v_mov_b32_e32 v3, 0
	s_load_b128 s[4:7], s[2:3], 0x148
	global_load_u8 v1, v3, s[2:3] offset:369
	s_wait_kmcnt 0x0
	v_add_nc_u64_e32 v[10:11], s[6:7], v[2:3]
	s_wait_loadcnt 0x0
	v_and_b32_e32 v5, 0xffff, v1
	v_readfirstlane_b32 s11, v1
	s_delay_alu instid0(VALU_DEP_2)
	v_cmp_gt_i32_e32 vcc_lo, 11, v5
	s_cbranch_vccnz .LBB215_1217
; %bb.1211:
	s_and_b32 s0, 0xffff, s11
	s_mov_b32 s12, 0
	s_cmp_gt_i32 s0, 25
	s_cbranch_scc0 .LBB215_1219
; %bb.1212:
	s_cmp_gt_i32 s0, 28
	s_cbranch_scc0 .LBB215_1220
; %bb.1213:
	;; [unrolled: 3-line block ×4, first 2 shown]
	s_cmp_eq_u32 s0, 46
	s_mov_b32 s10, 0
	s_cbranch_scc0 .LBB215_1225
; %bb.1216:
	global_load_b32 v1, v[10:11], off
	s_mov_b32 s1, 0
	s_mov_b32 s13, -1
	s_wait_loadcnt 0x0
	v_lshlrev_b32_e32 v1, 16, v1
	s_wait_xcnt 0x1
	s_delay_alu instid0(VALU_DEP_1)
	v_cvt_f64_f32_e32 v[2:3], v1
	s_branch .LBB215_1227
.LBB215_1217:
	s_mov_b32 s13, 0
	s_mov_b32 s10, s8
                                        ; implicit-def: $vgpr2_vgpr3
	s_cbranch_execnz .LBB215_1290
.LBB215_1218:
	s_and_not1_b32 vcc_lo, exec_lo, s13
	s_cbranch_vccz .LBB215_1335
	s_branch .LBB215_1770
.LBB215_1219:
	s_mov_b32 s13, 0
	s_mov_b32 s1, 0
                                        ; implicit-def: $vgpr2_vgpr3
	s_cbranch_execnz .LBB215_1255
	s_branch .LBB215_1286
.LBB215_1220:
	s_mov_b32 s10, -1
	s_mov_b32 s13, 0
	s_mov_b32 s1, 0
                                        ; implicit-def: $vgpr2_vgpr3
	s_branch .LBB215_1236
.LBB215_1221:
	s_mov_b32 s13, 0
	s_mov_b32 s1, 0
                                        ; implicit-def: $vgpr2_vgpr3
	s_cbranch_execnz .LBB215_1232
	s_branch .LBB215_1235
.LBB215_1222:
	s_mov_b32 s10, -1
	s_mov_b32 s13, 0
	s_mov_b32 s1, 0
	s_branch .LBB215_1226
.LBB215_1223:
	s_and_not1_saveexec_b32 s9, s9
	s_cbranch_execz .LBB215_1062
.LBB215_1224:
	v_add_f32_e64 v3, 0x46000000, |v2|
	s_and_not1_b32 s8, s8, exec_lo
	s_delay_alu instid0(VALU_DEP_1) | instskip(NEXT) | instid1(VALU_DEP_1)
	v_and_b32_e32 v3, 0xff, v3
	v_cmp_ne_u32_e32 vcc_lo, 0, v3
	s_and_b32 s10, vcc_lo, exec_lo
	s_delay_alu instid0(SALU_CYCLE_1)
	s_or_b32 s8, s8, s10
	s_or_b32 exec_lo, exec_lo, s9
	v_mov_b32_e32 v6, 0
	s_and_saveexec_b32 s9, s8
	s_cbranch_execnz .LBB215_1063
	s_branch .LBB215_1064
.LBB215_1225:
	s_mov_b32 s1, -1
	s_mov_b32 s13, 0
.LBB215_1226:
                                        ; implicit-def: $vgpr2_vgpr3
.LBB215_1227:
	s_and_b32 vcc_lo, exec_lo, s10
	s_cbranch_vccz .LBB215_1230
; %bb.1228:
	s_cmp_eq_u32 s0, 44
	s_cbranch_scc0 .LBB215_1231
; %bb.1229:
	global_load_u8 v1, v[10:11], off
	s_mov_b32 s1, 0
	s_mov_b32 s13, -1
	s_wait_loadcnt 0x0
	v_cmp_ne_u32_e32 vcc_lo, 0xff, v1
	v_lshlrev_b32_e32 v2, 23, v1
	s_wait_xcnt 0x1
	s_delay_alu instid0(VALU_DEP_1) | instskip(NEXT) | instid1(VALU_DEP_1)
	v_cvt_f64_f32_e32 v[2:3], v2
	v_cndmask_b32_e32 v2, 0x20000000, v2, vcc_lo
	s_delay_alu instid0(VALU_DEP_2) | instskip(SKIP_1) | instid1(VALU_DEP_2)
	v_cndmask_b32_e32 v3, 0x7ff80000, v3, vcc_lo
	v_cmp_ne_u32_e32 vcc_lo, 0, v1
	v_cndmask_b32_e32 v3, 0x38000000, v3, vcc_lo
	s_delay_alu instid0(VALU_DEP_4)
	v_cndmask_b32_e32 v2, 0, v2, vcc_lo
.LBB215_1230:
	s_branch .LBB215_1235
.LBB215_1231:
	s_mov_b32 s1, -1
                                        ; implicit-def: $vgpr2_vgpr3
	s_branch .LBB215_1235
.LBB215_1232:
	s_cmp_eq_u32 s0, 29
	s_cbranch_scc0 .LBB215_1234
; %bb.1233:
	global_load_b64 v[2:3], v[10:11], off
	s_mov_b32 s1, 0
	s_mov_b32 s13, -1
	s_mov_b32 s10, 0
	s_wait_loadcnt 0x0
	v_cvt_f64_u32_e32 v[18:19], v3
	v_cvt_f64_u32_e32 v[2:3], v2
	s_delay_alu instid0(VALU_DEP_2) | instskip(NEXT) | instid1(VALU_DEP_1)
	v_ldexp_f64 v[18:19], v[18:19], 32
	v_add_f64_e32 v[2:3], v[18:19], v[2:3]
	s_branch .LBB215_1236
.LBB215_1234:
	s_mov_b32 s1, -1
                                        ; implicit-def: $vgpr2_vgpr3
.LBB215_1235:
	s_mov_b32 s10, 0
.LBB215_1236:
	s_delay_alu instid0(SALU_CYCLE_1)
	s_and_b32 vcc_lo, exec_lo, s10
	s_cbranch_vccz .LBB215_1254
; %bb.1237:
	s_cmp_lt_i32 s0, 27
	s_cbranch_scc1 .LBB215_1240
; %bb.1238:
	s_cmp_gt_i32 s0, 27
	s_cbranch_scc0 .LBB215_1241
; %bb.1239:
	global_load_b32 v1, v[10:11], off
	s_mov_b32 s10, 0
	s_wait_loadcnt 0x0
	s_wait_xcnt 0x1
	v_cvt_f64_u32_e32 v[2:3], v1
	s_branch .LBB215_1242
.LBB215_1240:
	s_mov_b32 s10, -1
                                        ; implicit-def: $vgpr2_vgpr3
	s_branch .LBB215_1245
.LBB215_1241:
	s_mov_b32 s10, -1
                                        ; implicit-def: $vgpr2_vgpr3
.LBB215_1242:
	s_delay_alu instid0(SALU_CYCLE_1)
	s_and_not1_b32 vcc_lo, exec_lo, s10
	s_cbranch_vccnz .LBB215_1244
; %bb.1243:
	global_load_u16 v1, v[10:11], off
	s_wait_loadcnt 0x0
	s_wait_xcnt 0x1
	v_cvt_f64_u32_e32 v[2:3], v1
.LBB215_1244:
	s_mov_b32 s10, 0
.LBB215_1245:
	s_delay_alu instid0(SALU_CYCLE_1)
	s_and_not1_b32 vcc_lo, exec_lo, s10
	s_cbranch_vccnz .LBB215_1253
; %bb.1246:
	global_load_u8 v1, v[10:11], off
	s_mov_b32 s10, 0
	s_mov_b32 s13, exec_lo
	s_wait_loadcnt 0x0
	v_cmpx_lt_i16_e32 0x7f, v1
	s_xor_b32 s13, exec_lo, s13
	s_cbranch_execz .LBB215_1266
; %bb.1247:
	s_mov_b32 s10, -1
	s_mov_b32 s14, exec_lo
	v_cmpx_eq_u16_e32 0x80, v1
; %bb.1248:
	s_xor_b32 s10, exec_lo, -1
; %bb.1249:
	s_or_b32 exec_lo, exec_lo, s14
	s_delay_alu instid0(SALU_CYCLE_1)
	s_and_b32 s10, s10, exec_lo
	s_or_saveexec_b32 s13, s13
	v_mov_b64_e32 v[2:3], 0x7ff8000020000000
	s_xor_b32 exec_lo, exec_lo, s13
	s_cbranch_execnz .LBB215_1267
.LBB215_1250:
	s_or_b32 exec_lo, exec_lo, s13
	s_and_saveexec_b32 s13, s10
	s_cbranch_execz .LBB215_1252
.LBB215_1251:
	v_and_b32_e32 v2, 0xffff, v1
	s_delay_alu instid0(VALU_DEP_1) | instskip(SKIP_1) | instid1(VALU_DEP_2)
	v_and_b32_e32 v3, 7, v2
	v_bfe_u32 v9, v2, 3, 4
	v_clz_i32_u32_e32 v5, v3
	s_delay_alu instid0(VALU_DEP_2) | instskip(NEXT) | instid1(VALU_DEP_2)
	v_cmp_eq_u32_e32 vcc_lo, 0, v9
	v_min_u32_e32 v5, 32, v5
	s_delay_alu instid0(VALU_DEP_1) | instskip(NEXT) | instid1(VALU_DEP_1)
	v_subrev_nc_u32_e32 v7, 28, v5
	v_dual_lshlrev_b32 v2, v7, v2 :: v_dual_sub_nc_u32 v5, 29, v5
	s_delay_alu instid0(VALU_DEP_1) | instskip(NEXT) | instid1(VALU_DEP_1)
	v_dual_lshlrev_b32 v1, 24, v1 :: v_dual_bitop2_b32 v2, 7, v2 bitop3:0x40
	v_dual_cndmask_b32 v2, v3, v2 :: v_dual_cndmask_b32 v5, v9, v5
	s_delay_alu instid0(VALU_DEP_2) | instskip(NEXT) | instid1(VALU_DEP_2)
	v_and_b32_e32 v1, 0x80000000, v1
	v_lshlrev_b32_e32 v2, 20, v2
	s_delay_alu instid0(VALU_DEP_3) | instskip(NEXT) | instid1(VALU_DEP_1)
	v_lshl_add_u32 v3, v5, 23, 0x3b800000
	v_or3_b32 v1, v1, v3, v2
	s_delay_alu instid0(VALU_DEP_1)
	v_cvt_f64_f32_e32 v[2:3], v1
.LBB215_1252:
	s_or_b32 exec_lo, exec_lo, s13
.LBB215_1253:
	s_mov_b32 s13, -1
.LBB215_1254:
	s_branch .LBB215_1286
.LBB215_1255:
	s_cmp_gt_i32 s0, 22
	s_cbranch_scc0 .LBB215_1265
; %bb.1256:
	s_cmp_lt_i32 s0, 24
	s_cbranch_scc1 .LBB215_1268
; %bb.1257:
	s_cmp_gt_i32 s0, 24
	s_cbranch_scc0 .LBB215_1269
; %bb.1258:
	global_load_u8 v1, v[10:11], off
	s_mov_b32 s10, 0
	s_mov_b32 s12, exec_lo
	s_wait_loadcnt 0x0
	v_cmpx_lt_i16_e32 0x7f, v1
	s_xor_b32 s12, exec_lo, s12
	s_cbranch_execz .LBB215_1280
; %bb.1259:
	s_mov_b32 s10, -1
	s_mov_b32 s13, exec_lo
	v_cmpx_eq_u16_e32 0x80, v1
; %bb.1260:
	s_xor_b32 s10, exec_lo, -1
; %bb.1261:
	s_or_b32 exec_lo, exec_lo, s13
	s_delay_alu instid0(SALU_CYCLE_1)
	s_and_b32 s10, s10, exec_lo
	s_or_saveexec_b32 s12, s12
	v_mov_b64_e32 v[2:3], 0x7ff8000020000000
	s_xor_b32 exec_lo, exec_lo, s12
	s_cbranch_execnz .LBB215_1281
.LBB215_1262:
	s_or_b32 exec_lo, exec_lo, s12
	s_and_saveexec_b32 s12, s10
	s_cbranch_execz .LBB215_1264
.LBB215_1263:
	v_and_b32_e32 v2, 0xffff, v1
	s_delay_alu instid0(VALU_DEP_1) | instskip(SKIP_1) | instid1(VALU_DEP_2)
	v_and_b32_e32 v3, 3, v2
	v_bfe_u32 v9, v2, 2, 5
	v_clz_i32_u32_e32 v5, v3
	s_delay_alu instid0(VALU_DEP_2) | instskip(NEXT) | instid1(VALU_DEP_2)
	v_cmp_eq_u32_e32 vcc_lo, 0, v9
	v_min_u32_e32 v5, 32, v5
	s_delay_alu instid0(VALU_DEP_1) | instskip(NEXT) | instid1(VALU_DEP_1)
	v_subrev_nc_u32_e32 v7, 29, v5
	v_dual_lshlrev_b32 v2, v7, v2 :: v_dual_sub_nc_u32 v5, 30, v5
	s_delay_alu instid0(VALU_DEP_1) | instskip(NEXT) | instid1(VALU_DEP_1)
	v_dual_lshlrev_b32 v1, 24, v1 :: v_dual_bitop2_b32 v2, 3, v2 bitop3:0x40
	v_dual_cndmask_b32 v2, v3, v2 :: v_dual_cndmask_b32 v5, v9, v5
	s_delay_alu instid0(VALU_DEP_2) | instskip(NEXT) | instid1(VALU_DEP_2)
	v_and_b32_e32 v1, 0x80000000, v1
	v_lshlrev_b32_e32 v2, 21, v2
	s_delay_alu instid0(VALU_DEP_3) | instskip(NEXT) | instid1(VALU_DEP_1)
	v_lshl_add_u32 v3, v5, 23, 0x37800000
	v_or3_b32 v1, v1, v3, v2
	s_delay_alu instid0(VALU_DEP_1)
	v_cvt_f64_f32_e32 v[2:3], v1
.LBB215_1264:
	s_or_b32 exec_lo, exec_lo, s12
	s_mov_b32 s10, 0
	s_branch .LBB215_1270
.LBB215_1265:
                                        ; implicit-def: $vgpr2_vgpr3
	s_mov_b32 s12, 0
	s_branch .LBB215_1276
.LBB215_1266:
	s_or_saveexec_b32 s13, s13
	v_mov_b64_e32 v[2:3], 0x7ff8000020000000
	s_xor_b32 exec_lo, exec_lo, s13
	s_cbranch_execz .LBB215_1250
.LBB215_1267:
	v_cmp_ne_u16_e32 vcc_lo, 0, v1
	v_mov_b64_e32 v[2:3], 0
	s_and_not1_b32 s10, s10, exec_lo
	s_and_b32 s14, vcc_lo, exec_lo
	s_delay_alu instid0(SALU_CYCLE_1)
	s_or_b32 s10, s10, s14
	s_or_b32 exec_lo, exec_lo, s13
	s_and_saveexec_b32 s13, s10
	s_cbranch_execnz .LBB215_1251
	s_branch .LBB215_1252
.LBB215_1268:
	s_mov_b32 s10, -1
                                        ; implicit-def: $vgpr2_vgpr3
	s_branch .LBB215_1273
.LBB215_1269:
	s_mov_b32 s10, -1
                                        ; implicit-def: $vgpr2_vgpr3
.LBB215_1270:
	s_delay_alu instid0(SALU_CYCLE_1)
	s_and_b32 vcc_lo, exec_lo, s10
	s_cbranch_vccz .LBB215_1272
; %bb.1271:
	global_load_u8 v1, v[10:11], off
	s_wait_loadcnt 0x0
	v_lshlrev_b32_e32 v1, 24, v1
	s_delay_alu instid0(VALU_DEP_1) | instskip(SKIP_1) | instid1(VALU_DEP_1)
	v_and_b32_e32 v2, 0x7f000000, v1
	s_wait_xcnt 0x1
	v_clz_i32_u32_e32 v3, v2
	v_cmp_ne_u32_e32 vcc_lo, 0, v2
	v_add_nc_u32_e32 v7, 0x1000000, v2
	s_delay_alu instid0(VALU_DEP_3) | instskip(NEXT) | instid1(VALU_DEP_1)
	v_min_u32_e32 v3, 32, v3
	v_sub_nc_u32_e64 v3, v3, 4 clamp
	s_delay_alu instid0(VALU_DEP_1) | instskip(NEXT) | instid1(VALU_DEP_1)
	v_dual_lshlrev_b32 v5, v3, v2 :: v_dual_lshlrev_b32 v3, 23, v3
	v_lshrrev_b32_e32 v5, 4, v5
	s_delay_alu instid0(VALU_DEP_1) | instskip(SKIP_1) | instid1(VALU_DEP_2)
	v_sub_nc_u32_e32 v3, v5, v3
	v_ashrrev_i32_e32 v5, 8, v7
	v_add_nc_u32_e32 v3, 0x3c000000, v3
	s_delay_alu instid0(VALU_DEP_1) | instskip(NEXT) | instid1(VALU_DEP_1)
	v_and_or_b32 v3, 0x7f800000, v5, v3
	v_cndmask_b32_e32 v2, 0, v3, vcc_lo
	s_delay_alu instid0(VALU_DEP_1) | instskip(NEXT) | instid1(VALU_DEP_1)
	v_and_or_b32 v1, 0x80000000, v1, v2
	v_cvt_f64_f32_e32 v[2:3], v1
.LBB215_1272:
	s_mov_b32 s10, 0
.LBB215_1273:
	s_delay_alu instid0(SALU_CYCLE_1)
	s_and_not1_b32 vcc_lo, exec_lo, s10
	s_cbranch_vccnz .LBB215_1275
; %bb.1274:
	global_load_u8 v1, v[10:11], off
	s_wait_loadcnt 0x0
	v_lshlrev_b32_e32 v2, 25, v1
	v_lshlrev_b16 v1, 8, v1
	s_delay_alu instid0(VALU_DEP_1) | instskip(SKIP_1) | instid1(VALU_DEP_3)
	v_and_or_b32 v5, 0x7f00, v1, 0.5
	s_wait_xcnt 0x1
	v_lshrrev_b32_e32 v3, 4, v2
	v_bfe_i32 v1, v1, 0, 16
	s_delay_alu instid0(VALU_DEP_3) | instskip(NEXT) | instid1(VALU_DEP_3)
	v_add_f32_e32 v5, -0.5, v5
	v_or_b32_e32 v3, 0x70000000, v3
	s_delay_alu instid0(VALU_DEP_1) | instskip(SKIP_1) | instid1(VALU_DEP_2)
	v_mul_f32_e32 v3, 0x7800000, v3
	v_cmp_gt_u32_e32 vcc_lo, 0x8000000, v2
	v_cndmask_b32_e32 v2, v3, v5, vcc_lo
	s_delay_alu instid0(VALU_DEP_1) | instskip(NEXT) | instid1(VALU_DEP_1)
	v_and_or_b32 v1, 0x80000000, v1, v2
	v_cvt_f64_f32_e32 v[2:3], v1
.LBB215_1275:
	s_mov_b32 s13, -1
	s_mov_b32 s12, 0
	s_cbranch_execnz .LBB215_1286
.LBB215_1276:
	s_cmp_gt_i32 s0, 14
	s_cbranch_scc0 .LBB215_1279
; %bb.1277:
	s_cmp_eq_u32 s0, 15
	s_cbranch_scc0 .LBB215_1282
; %bb.1278:
	global_load_u16 v1, v[10:11], off
	s_mov_b32 s1, 0
	s_mov_b32 s13, -1
	s_wait_loadcnt 0x0
	v_lshlrev_b32_e32 v1, 16, v1
	s_wait_xcnt 0x1
	s_delay_alu instid0(VALU_DEP_1)
	v_cvt_f64_f32_e32 v[2:3], v1
	s_branch .LBB215_1283
.LBB215_1279:
	s_mov_b32 s10, -1
                                        ; implicit-def: $vgpr2_vgpr3
	s_branch .LBB215_1284
.LBB215_1280:
	s_or_saveexec_b32 s12, s12
	v_mov_b64_e32 v[2:3], 0x7ff8000020000000
	s_xor_b32 exec_lo, exec_lo, s12
	s_cbranch_execz .LBB215_1262
.LBB215_1281:
	v_cmp_ne_u16_e32 vcc_lo, 0, v1
	v_mov_b64_e32 v[2:3], 0
	s_and_not1_b32 s10, s10, exec_lo
	s_and_b32 s13, vcc_lo, exec_lo
	s_delay_alu instid0(SALU_CYCLE_1)
	s_or_b32 s10, s10, s13
	s_or_b32 exec_lo, exec_lo, s12
	s_and_saveexec_b32 s12, s10
	s_cbranch_execnz .LBB215_1263
	s_branch .LBB215_1264
.LBB215_1282:
	s_mov_b32 s1, -1
                                        ; implicit-def: $vgpr2_vgpr3
.LBB215_1283:
	s_mov_b32 s10, 0
.LBB215_1284:
	s_delay_alu instid0(SALU_CYCLE_1)
	s_and_b32 vcc_lo, exec_lo, s10
	s_cbranch_vccz .LBB215_1286
; %bb.1285:
	s_cmp_lg_u32 s0, 11
	s_mov_b32 s12, -1
	s_cselect_b32 s1, -1, 0
.LBB215_1286:
	s_delay_alu instid0(SALU_CYCLE_1)
	s_and_b32 vcc_lo, exec_lo, s1
	s_mov_b32 s10, s8
	s_cbranch_vccnz .LBB215_1360
; %bb.1287:
	s_and_not1_b32 vcc_lo, exec_lo, s12
	s_cbranch_vccnz .LBB215_1289
.LBB215_1288:
	global_load_u8 v1, v[10:11], off
	v_mov_b32_e32 v2, 0
	s_mov_b32 s13, -1
	s_wait_loadcnt 0x0
	v_cmp_ne_u16_e32 vcc_lo, 0, v1
	s_wait_xcnt 0x1
	v_cndmask_b32_e64 v3, 0, 0x3ff00000, vcc_lo
.LBB215_1289:
	s_branch .LBB215_1218
.LBB215_1290:
	s_and_b32 s0, 0xffff, s11
	s_delay_alu instid0(SALU_CYCLE_1)
	s_cmp_lt_i32 s0, 5
	s_cbranch_scc1 .LBB215_1295
; %bb.1291:
	s_cmp_lt_i32 s0, 8
	s_cbranch_scc1 .LBB215_1296
; %bb.1292:
	;; [unrolled: 3-line block ×3, first 2 shown]
	s_cmp_gt_i32 s0, 9
	s_cbranch_scc0 .LBB215_1298
; %bb.1294:
	global_load_b64 v[2:3], v[10:11], off
	s_mov_b32 s1, 0
	s_branch .LBB215_1299
.LBB215_1295:
                                        ; implicit-def: $vgpr2_vgpr3
	s_branch .LBB215_1316
.LBB215_1296:
                                        ; implicit-def: $vgpr2_vgpr3
	s_branch .LBB215_1305
.LBB215_1297:
	s_mov_b32 s1, -1
                                        ; implicit-def: $vgpr2_vgpr3
	s_branch .LBB215_1302
.LBB215_1298:
	s_mov_b32 s1, -1
                                        ; implicit-def: $vgpr2_vgpr3
.LBB215_1299:
	s_delay_alu instid0(SALU_CYCLE_1)
	s_and_not1_b32 vcc_lo, exec_lo, s1
	s_cbranch_vccnz .LBB215_1301
; %bb.1300:
	global_load_b32 v1, v[10:11], off
	s_wait_loadcnt 0x0
	s_wait_xcnt 0x1
	v_cvt_f64_f32_e32 v[2:3], v1
.LBB215_1301:
	s_mov_b32 s1, 0
.LBB215_1302:
	s_delay_alu instid0(SALU_CYCLE_1)
	s_and_not1_b32 vcc_lo, exec_lo, s1
	s_cbranch_vccnz .LBB215_1304
; %bb.1303:
	global_load_b32 v1, v[10:11], off
	s_wait_loadcnt 0x0
	v_cvt_f32_f16_e32 v1, v1
	s_wait_xcnt 0x1
	s_delay_alu instid0(VALU_DEP_1)
	v_cvt_f64_f32_e32 v[2:3], v1
.LBB215_1304:
	s_cbranch_execnz .LBB215_1315
.LBB215_1305:
	s_cmp_lt_i32 s0, 6
	s_cbranch_scc1 .LBB215_1308
; %bb.1306:
	s_cmp_gt_i32 s0, 6
	s_cbranch_scc0 .LBB215_1309
; %bb.1307:
	s_wait_loadcnt 0x0
	global_load_b64 v[2:3], v[10:11], off
	s_mov_b32 s1, 0
	s_branch .LBB215_1310
.LBB215_1308:
	s_mov_b32 s1, -1
                                        ; implicit-def: $vgpr2_vgpr3
	s_branch .LBB215_1313
.LBB215_1309:
	s_mov_b32 s1, -1
                                        ; implicit-def: $vgpr2_vgpr3
.LBB215_1310:
	s_delay_alu instid0(SALU_CYCLE_1)
	s_and_not1_b32 vcc_lo, exec_lo, s1
	s_cbranch_vccnz .LBB215_1312
; %bb.1311:
	global_load_b32 v1, v[10:11], off
	s_wait_loadcnt 0x0
	s_wait_xcnt 0x1
	v_cvt_f64_f32_e32 v[2:3], v1
.LBB215_1312:
	s_mov_b32 s1, 0
.LBB215_1313:
	s_delay_alu instid0(SALU_CYCLE_1)
	s_and_not1_b32 vcc_lo, exec_lo, s1
	s_cbranch_vccnz .LBB215_1315
; %bb.1314:
	global_load_u16 v1, v[10:11], off
	s_wait_loadcnt 0x0
	v_cvt_f32_f16_e32 v1, v1
	s_wait_xcnt 0x1
	s_delay_alu instid0(VALU_DEP_1)
	v_cvt_f64_f32_e32 v[2:3], v1
.LBB215_1315:
	s_cbranch_execnz .LBB215_1334
.LBB215_1316:
	s_cmp_lt_i32 s0, 2
	s_cbranch_scc1 .LBB215_1320
; %bb.1317:
	s_cmp_lt_i32 s0, 3
	s_cbranch_scc1 .LBB215_1321
; %bb.1318:
	s_cmp_gt_i32 s0, 3
	s_cbranch_scc0 .LBB215_1322
; %bb.1319:
	s_wait_loadcnt 0x0
	global_load_b64 v[2:3], v[10:11], off
	s_mov_b32 s1, 0
	s_wait_loadcnt 0x0
	v_cvt_f64_i32_e32 v[18:19], v3
	v_cvt_f64_u32_e32 v[2:3], v2
	s_delay_alu instid0(VALU_DEP_2) | instskip(NEXT) | instid1(VALU_DEP_1)
	v_ldexp_f64 v[18:19], v[18:19], 32
	v_add_f64_e32 v[2:3], v[18:19], v[2:3]
	s_branch .LBB215_1323
.LBB215_1320:
                                        ; implicit-def: $vgpr2_vgpr3
	s_branch .LBB215_1329
.LBB215_1321:
	s_mov_b32 s1, -1
                                        ; implicit-def: $vgpr2_vgpr3
	s_branch .LBB215_1326
.LBB215_1322:
	s_mov_b32 s1, -1
                                        ; implicit-def: $vgpr2_vgpr3
.LBB215_1323:
	s_delay_alu instid0(SALU_CYCLE_1)
	s_and_not1_b32 vcc_lo, exec_lo, s1
	s_cbranch_vccnz .LBB215_1325
; %bb.1324:
	global_load_b32 v1, v[10:11], off
	s_wait_loadcnt 0x0
	s_wait_xcnt 0x1
	v_cvt_f64_i32_e32 v[2:3], v1
.LBB215_1325:
	s_mov_b32 s1, 0
.LBB215_1326:
	s_delay_alu instid0(SALU_CYCLE_1)
	s_and_not1_b32 vcc_lo, exec_lo, s1
	s_cbranch_vccnz .LBB215_1328
; %bb.1327:
	global_load_i16 v1, v[10:11], off
	s_wait_loadcnt 0x0
	s_wait_xcnt 0x1
	v_cvt_f64_i32_e32 v[2:3], v1
.LBB215_1328:
	s_cbranch_execnz .LBB215_1334
.LBB215_1329:
	s_cmp_gt_i32 s0, 0
	s_mov_b32 s0, 0
	s_cbranch_scc0 .LBB215_1331
; %bb.1330:
	global_load_i8 v1, v[10:11], off
	s_wait_loadcnt 0x0
	s_wait_xcnt 0x1
	v_cvt_f64_i32_e32 v[2:3], v1
	s_branch .LBB215_1332
.LBB215_1331:
	s_mov_b32 s0, -1
                                        ; implicit-def: $vgpr2_vgpr3
.LBB215_1332:
	s_delay_alu instid0(SALU_CYCLE_1)
	s_and_not1_b32 vcc_lo, exec_lo, s0
	s_cbranch_vccnz .LBB215_1334
; %bb.1333:
	global_load_u8 v1, v[10:11], off
	s_wait_loadcnt 0x0
	s_wait_xcnt 0x1
	v_cvt_f64_u32_e32 v[2:3], v1
.LBB215_1334:
.LBB215_1335:
	s_mov_b32 s12, exec_lo
	s_wait_loadcnt 0x0
	s_delay_alu instid0(VALU_DEP_1)
	v_cmpx_o_f64_e32 v[2:3], v[2:3]
	s_cbranch_execz .LBB215_1348
; %bb.1336:
	s_clause 0x1
	s_load_b32 s14, s[2:3], 0x158
	s_load_b64 s[0:1], s[2:3], 0x160
	s_mov_b32 s13, 0
	s_wait_kmcnt 0x0
	s_cmp_lt_i32 s14, 1
	s_cbranch_scc1 .LBB215_1339
; %bb.1337:
	s_cmp_eq_u32 s14, 1
	s_cbranch_scc0 .LBB215_1340
; %bb.1338:
	v_max_num_f64_e64 v[10:11], s[0:1], s[0:1]
	v_max_num_f64_e32 v[18:19], v[2:3], v[2:3]
	s_mov_b32 s15, 0
	s_delay_alu instid0(VALU_DEP_1)
	v_min_num_f64_e32 v[10:11], v[18:19], v[10:11]
	s_branch .LBB215_1341
.LBB215_1339:
	s_mov_b32 s15, 0
                                        ; implicit-def: $vgpr10_vgpr11
	s_cbranch_execnz .LBB215_1342
	s_branch .LBB215_1343
.LBB215_1340:
	s_mov_b32 s15, -1
                                        ; implicit-def: $vgpr10_vgpr11
.LBB215_1341:
	s_branch .LBB215_1343
.LBB215_1342:
	s_cmp_lg_u32 s14, 0
	s_mov_b32 s13, -1
	s_cselect_b32 s15, -1, 0
.LBB215_1343:
	s_delay_alu instid0(SALU_CYCLE_1)
	s_and_not1_b32 vcc_lo, exec_lo, s15
	s_cbranch_vccnz .LBB215_1345
; %bb.1344:
	v_max_num_f64_e64 v[10:11], s[0:1], s[0:1]
	v_max_num_f64_e32 v[18:19], v[2:3], v[2:3]
	s_load_b64 s[14:15], s[2:3], 0x168
	s_delay_alu instid0(VALU_DEP_1) | instskip(SKIP_2) | instid1(VALU_DEP_1)
	v_max_num_f64_e32 v[10:11], v[18:19], v[10:11]
	s_wait_kmcnt 0x0
	v_max_num_f64_e64 v[18:19], s[14:15], s[14:15]
	v_min_num_f64_e32 v[10:11], v[10:11], v[18:19]
	s_cbranch_execz .LBB215_1346
	s_branch .LBB215_1347
.LBB215_1345:
	s_and_not1_b32 vcc_lo, exec_lo, s13
	s_cbranch_vccnz .LBB215_1347
.LBB215_1346:
	v_max_num_f64_e64 v[10:11], s[0:1], s[0:1]
	v_max_num_f64_e32 v[2:3], v[2:3], v[2:3]
	s_delay_alu instid0(VALU_DEP_1)
	v_max_num_f64_e32 v[10:11], v[2:3], v[10:11]
.LBB215_1347:
	s_delay_alu instid0(VALU_DEP_1)
	v_mov_b64_e32 v[2:3], v[10:11]
.LBB215_1348:
	s_or_b32 exec_lo, exec_lo, s12
	v_mov_b32_e32 v7, 0
	s_and_b32 s11, 0xffff, s11
	s_delay_alu instid0(SALU_CYCLE_1) | instskip(NEXT) | instid1(VALU_DEP_1)
	s_cmp_lt_i32 s11, 11
	v_add_nc_u64_e32 v[10:11], s[6:7], v[6:7]
	s_cbranch_scc1 .LBB215_1355
; %bb.1349:
	s_cmp_gt_i32 s11, 25
	s_mov_b32 s1, 0
	s_cbranch_scc0 .LBB215_1357
; %bb.1350:
	s_cmp_gt_i32 s11, 28
	s_cbranch_scc0 .LBB215_1358
; %bb.1351:
	s_cmp_gt_i32 s11, 43
	;; [unrolled: 3-line block ×3, first 2 shown]
	s_cbranch_scc0 .LBB215_1361
; %bb.1353:
	s_cmp_eq_u32 s11, 46
	s_mov_b32 s13, 0
	s_cbranch_scc0 .LBB215_1364
; %bb.1354:
	global_load_b32 v1, v[10:11], off
	s_mov_b32 s0, 0
	s_mov_b32 s12, -1
	s_wait_loadcnt 0x0
	v_lshlrev_b32_e32 v1, 16, v1
	s_delay_alu instid0(VALU_DEP_1)
	v_cvt_f64_f32_e32 v[6:7], v1
	s_branch .LBB215_1366
.LBB215_1355:
	s_mov_b32 s12, 0
                                        ; implicit-def: $vgpr6_vgpr7
	s_cbranch_execnz .LBB215_1431
.LBB215_1356:
	s_and_not1_b32 vcc_lo, exec_lo, s12
	s_cbranch_vccnz .LBB215_1770
	s_branch .LBB215_1478
.LBB215_1357:
	s_mov_b32 s12, 0
	s_mov_b32 s0, 0
                                        ; implicit-def: $vgpr6_vgpr7
	s_cbranch_execnz .LBB215_1395
	s_branch .LBB215_1427
.LBB215_1358:
	s_mov_b32 s13, -1
	s_mov_b32 s12, 0
	s_mov_b32 s0, 0
                                        ; implicit-def: $vgpr6_vgpr7
	s_branch .LBB215_1376
.LBB215_1359:
	s_mov_b32 s13, -1
	s_mov_b32 s12, 0
	s_mov_b32 s0, 0
                                        ; implicit-def: $vgpr6_vgpr7
	s_branch .LBB215_1371
.LBB215_1360:
	s_or_b32 s10, s8, exec_lo
	s_trap 2
	s_cbranch_execz .LBB215_1288
	s_branch .LBB215_1289
.LBB215_1361:
	s_mov_b32 s13, -1
	s_mov_b32 s12, 0
	s_mov_b32 s0, 0
	s_branch .LBB215_1365
.LBB215_1362:
	s_and_not1_saveexec_b32 s10, s10
	s_cbranch_execz .LBB215_1074
.LBB215_1363:
	v_add_f32_e64 v3, 0x42800000, |v2|
	s_and_not1_b32 s9, s9, exec_lo
	s_delay_alu instid0(VALU_DEP_1) | instskip(NEXT) | instid1(VALU_DEP_1)
	v_and_b32_e32 v3, 0xff, v3
	v_cmp_ne_u32_e32 vcc_lo, 0, v3
	s_and_b32 s11, vcc_lo, exec_lo
	s_delay_alu instid0(SALU_CYCLE_1)
	s_or_b32 s9, s9, s11
	s_or_b32 exec_lo, exec_lo, s10
	v_mov_b32_e32 v6, 0
	s_and_saveexec_b32 s10, s9
	s_cbranch_execnz .LBB215_1075
	s_branch .LBB215_1076
.LBB215_1364:
	s_mov_b32 s0, -1
	s_mov_b32 s12, 0
.LBB215_1365:
                                        ; implicit-def: $vgpr6_vgpr7
.LBB215_1366:
	s_and_b32 vcc_lo, exec_lo, s13
	s_cbranch_vccz .LBB215_1370
; %bb.1367:
	s_cmp_eq_u32 s11, 44
	s_cbranch_scc0 .LBB215_1369
; %bb.1368:
	global_load_u8 v1, v[10:11], off
	s_mov_b32 s0, 0
	s_mov_b32 s12, -1
	s_wait_loadcnt 0x0
	v_cmp_ne_u32_e32 vcc_lo, 0xff, v1
	v_lshlrev_b32_e32 v5, 23, v1
	s_delay_alu instid0(VALU_DEP_1) | instskip(NEXT) | instid1(VALU_DEP_1)
	v_cvt_f64_f32_e32 v[6:7], v5
	v_cndmask_b32_e32 v5, 0x20000000, v6, vcc_lo
	s_delay_alu instid0(VALU_DEP_2) | instskip(SKIP_1) | instid1(VALU_DEP_2)
	v_cndmask_b32_e32 v6, 0x7ff80000, v7, vcc_lo
	v_cmp_ne_u32_e32 vcc_lo, 0, v1
	v_cndmask_b32_e32 v7, 0x38000000, v6, vcc_lo
	s_delay_alu instid0(VALU_DEP_4)
	v_cndmask_b32_e32 v6, 0, v5, vcc_lo
	s_branch .LBB215_1370
.LBB215_1369:
	s_mov_b32 s0, -1
                                        ; implicit-def: $vgpr6_vgpr7
.LBB215_1370:
	s_mov_b32 s13, 0
.LBB215_1371:
	s_delay_alu instid0(SALU_CYCLE_1)
	s_and_b32 vcc_lo, exec_lo, s13
	s_cbranch_vccz .LBB215_1375
; %bb.1372:
	s_cmp_eq_u32 s11, 29
	s_cbranch_scc0 .LBB215_1374
; %bb.1373:
	global_load_b64 v[6:7], v[10:11], off
	s_mov_b32 s0, 0
	s_mov_b32 s12, -1
	s_mov_b32 s13, 0
	s_wait_loadcnt 0x0
	v_cvt_f64_u32_e32 v[18:19], v7
	v_cvt_f64_u32_e32 v[6:7], v6
	s_delay_alu instid0(VALU_DEP_2) | instskip(NEXT) | instid1(VALU_DEP_1)
	v_ldexp_f64 v[18:19], v[18:19], 32
	v_add_f64_e32 v[6:7], v[18:19], v[6:7]
	s_branch .LBB215_1376
.LBB215_1374:
	s_mov_b32 s0, -1
                                        ; implicit-def: $vgpr6_vgpr7
.LBB215_1375:
	s_mov_b32 s13, 0
.LBB215_1376:
	s_delay_alu instid0(SALU_CYCLE_1)
	s_and_b32 vcc_lo, exec_lo, s13
	s_cbranch_vccz .LBB215_1394
; %bb.1377:
	s_cmp_lt_i32 s11, 27
	s_cbranch_scc1 .LBB215_1380
; %bb.1378:
	s_cmp_gt_i32 s11, 27
	s_cbranch_scc0 .LBB215_1381
; %bb.1379:
	global_load_b32 v1, v[10:11], off
	s_mov_b32 s12, 0
	s_wait_loadcnt 0x0
	v_cvt_f64_u32_e32 v[6:7], v1
	s_branch .LBB215_1382
.LBB215_1380:
	s_mov_b32 s12, -1
                                        ; implicit-def: $vgpr6_vgpr7
	s_branch .LBB215_1385
.LBB215_1381:
	s_mov_b32 s12, -1
                                        ; implicit-def: $vgpr6_vgpr7
.LBB215_1382:
	s_delay_alu instid0(SALU_CYCLE_1)
	s_and_not1_b32 vcc_lo, exec_lo, s12
	s_cbranch_vccnz .LBB215_1384
; %bb.1383:
	global_load_u16 v1, v[10:11], off
	s_wait_loadcnt 0x0
	v_cvt_f64_u32_e32 v[6:7], v1
.LBB215_1384:
	s_mov_b32 s12, 0
.LBB215_1385:
	s_delay_alu instid0(SALU_CYCLE_1)
	s_and_not1_b32 vcc_lo, exec_lo, s12
	s_cbranch_vccnz .LBB215_1393
; %bb.1386:
	global_load_u8 v1, v[10:11], off
	s_mov_b32 s12, 0
	s_mov_b32 s13, exec_lo
	s_wait_loadcnt 0x0
	v_cmpx_lt_i16_e32 0x7f, v1
	s_xor_b32 s13, exec_lo, s13
	s_cbranch_execz .LBB215_1406
; %bb.1387:
	s_mov_b32 s12, -1
	s_mov_b32 s14, exec_lo
	v_cmpx_eq_u16_e32 0x80, v1
; %bb.1388:
	s_xor_b32 s12, exec_lo, -1
; %bb.1389:
	s_or_b32 exec_lo, exec_lo, s14
	s_delay_alu instid0(SALU_CYCLE_1)
	s_and_b32 s12, s12, exec_lo
	s_or_saveexec_b32 s13, s13
	v_mov_b64_e32 v[6:7], 0x7ff8000020000000
	s_xor_b32 exec_lo, exec_lo, s13
	s_cbranch_execnz .LBB215_1407
.LBB215_1390:
	s_or_b32 exec_lo, exec_lo, s13
	s_and_saveexec_b32 s13, s12
	s_cbranch_execz .LBB215_1392
.LBB215_1391:
	v_and_b32_e32 v5, 0xffff, v1
	s_delay_alu instid0(VALU_DEP_1) | instskip(SKIP_1) | instid1(VALU_DEP_2)
	v_and_b32_e32 v6, 7, v5
	v_bfe_u32 v13, v5, 3, 4
	v_clz_i32_u32_e32 v7, v6
	s_delay_alu instid0(VALU_DEP_2) | instskip(NEXT) | instid1(VALU_DEP_2)
	v_cmp_eq_u32_e32 vcc_lo, 0, v13
	v_min_u32_e32 v7, 32, v7
	s_delay_alu instid0(VALU_DEP_1) | instskip(NEXT) | instid1(VALU_DEP_1)
	v_subrev_nc_u32_e32 v9, 28, v7
	v_dual_lshlrev_b32 v5, v9, v5 :: v_dual_sub_nc_u32 v7, 29, v7
	s_delay_alu instid0(VALU_DEP_1) | instskip(NEXT) | instid1(VALU_DEP_2)
	v_and_b32_e32 v5, 7, v5
	v_dual_lshlrev_b32 v1, 24, v1 :: v_dual_cndmask_b32 v7, v13, v7, vcc_lo
	s_delay_alu instid0(VALU_DEP_2) | instskip(NEXT) | instid1(VALU_DEP_2)
	v_cndmask_b32_e32 v5, v6, v5, vcc_lo
	v_and_b32_e32 v1, 0x80000000, v1
	s_delay_alu instid0(VALU_DEP_3) | instskip(NEXT) | instid1(VALU_DEP_3)
	v_lshl_add_u32 v6, v7, 23, 0x3b800000
	v_lshlrev_b32_e32 v5, 20, v5
	s_delay_alu instid0(VALU_DEP_1) | instskip(NEXT) | instid1(VALU_DEP_1)
	v_or3_b32 v1, v1, v6, v5
	v_cvt_f64_f32_e32 v[6:7], v1
.LBB215_1392:
	s_or_b32 exec_lo, exec_lo, s13
.LBB215_1393:
	s_mov_b32 s12, -1
.LBB215_1394:
	s_branch .LBB215_1427
.LBB215_1395:
	s_cmp_gt_i32 s11, 22
	s_cbranch_scc0 .LBB215_1405
; %bb.1396:
	s_cmp_lt_i32 s11, 24
	s_cbranch_scc1 .LBB215_1408
; %bb.1397:
	s_cmp_gt_i32 s11, 24
	s_cbranch_scc0 .LBB215_1409
; %bb.1398:
	global_load_u8 v1, v[10:11], off
	s_mov_b32 s12, exec_lo
	s_wait_loadcnt 0x0
	v_cmpx_lt_i16_e32 0x7f, v1
	s_xor_b32 s12, exec_lo, s12
	s_cbranch_execz .LBB215_1421
; %bb.1399:
	s_mov_b32 s1, -1
	s_mov_b32 s13, exec_lo
	v_cmpx_eq_u16_e32 0x80, v1
; %bb.1400:
	s_xor_b32 s1, exec_lo, -1
; %bb.1401:
	s_or_b32 exec_lo, exec_lo, s13
	s_delay_alu instid0(SALU_CYCLE_1)
	s_and_b32 s1, s1, exec_lo
	s_or_saveexec_b32 s12, s12
	v_mov_b64_e32 v[6:7], 0x7ff8000020000000
	s_xor_b32 exec_lo, exec_lo, s12
	s_cbranch_execnz .LBB215_1422
.LBB215_1402:
	s_or_b32 exec_lo, exec_lo, s12
	s_and_saveexec_b32 s12, s1
	s_cbranch_execz .LBB215_1404
.LBB215_1403:
	v_and_b32_e32 v5, 0xffff, v1
	s_delay_alu instid0(VALU_DEP_1) | instskip(SKIP_1) | instid1(VALU_DEP_2)
	v_and_b32_e32 v6, 3, v5
	v_bfe_u32 v13, v5, 2, 5
	v_clz_i32_u32_e32 v7, v6
	s_delay_alu instid0(VALU_DEP_2) | instskip(NEXT) | instid1(VALU_DEP_2)
	v_cmp_eq_u32_e32 vcc_lo, 0, v13
	v_min_u32_e32 v7, 32, v7
	s_delay_alu instid0(VALU_DEP_1) | instskip(NEXT) | instid1(VALU_DEP_1)
	v_subrev_nc_u32_e32 v9, 29, v7
	v_dual_lshlrev_b32 v5, v9, v5 :: v_dual_sub_nc_u32 v7, 30, v7
	s_delay_alu instid0(VALU_DEP_1) | instskip(NEXT) | instid1(VALU_DEP_2)
	v_and_b32_e32 v5, 3, v5
	v_dual_lshlrev_b32 v1, 24, v1 :: v_dual_cndmask_b32 v7, v13, v7, vcc_lo
	s_delay_alu instid0(VALU_DEP_2) | instskip(NEXT) | instid1(VALU_DEP_2)
	v_cndmask_b32_e32 v5, v6, v5, vcc_lo
	v_and_b32_e32 v1, 0x80000000, v1
	s_delay_alu instid0(VALU_DEP_3) | instskip(NEXT) | instid1(VALU_DEP_3)
	v_lshl_add_u32 v6, v7, 23, 0x37800000
	v_lshlrev_b32_e32 v5, 21, v5
	s_delay_alu instid0(VALU_DEP_1) | instskip(NEXT) | instid1(VALU_DEP_1)
	v_or3_b32 v1, v1, v6, v5
	v_cvt_f64_f32_e32 v[6:7], v1
.LBB215_1404:
	s_or_b32 exec_lo, exec_lo, s12
	s_mov_b32 s1, 0
	s_branch .LBB215_1410
.LBB215_1405:
	s_mov_b32 s1, -1
                                        ; implicit-def: $vgpr6_vgpr7
	s_branch .LBB215_1416
.LBB215_1406:
	s_or_saveexec_b32 s13, s13
	v_mov_b64_e32 v[6:7], 0x7ff8000020000000
	s_xor_b32 exec_lo, exec_lo, s13
	s_cbranch_execz .LBB215_1390
.LBB215_1407:
	v_cmp_ne_u16_e32 vcc_lo, 0, v1
	v_mov_b64_e32 v[6:7], 0
	s_and_not1_b32 s12, s12, exec_lo
	s_and_b32 s14, vcc_lo, exec_lo
	s_delay_alu instid0(SALU_CYCLE_1)
	s_or_b32 s12, s12, s14
	s_or_b32 exec_lo, exec_lo, s13
	s_and_saveexec_b32 s13, s12
	s_cbranch_execnz .LBB215_1391
	s_branch .LBB215_1392
.LBB215_1408:
	s_mov_b32 s1, -1
                                        ; implicit-def: $vgpr6_vgpr7
	s_branch .LBB215_1413
.LBB215_1409:
	s_mov_b32 s1, -1
                                        ; implicit-def: $vgpr6_vgpr7
.LBB215_1410:
	s_delay_alu instid0(SALU_CYCLE_1)
	s_and_b32 vcc_lo, exec_lo, s1
	s_cbranch_vccz .LBB215_1412
; %bb.1411:
	global_load_u8 v1, v[10:11], off
	s_wait_loadcnt 0x0
	v_lshlrev_b32_e32 v1, 24, v1
	s_delay_alu instid0(VALU_DEP_1) | instskip(NEXT) | instid1(VALU_DEP_1)
	v_and_b32_e32 v5, 0x7f000000, v1
	v_clz_i32_u32_e32 v6, v5
	v_add_nc_u32_e32 v9, 0x1000000, v5
	v_cmp_ne_u32_e32 vcc_lo, 0, v5
	s_delay_alu instid0(VALU_DEP_3) | instskip(NEXT) | instid1(VALU_DEP_1)
	v_min_u32_e32 v6, 32, v6
	v_sub_nc_u32_e64 v6, v6, 4 clamp
	s_delay_alu instid0(VALU_DEP_1) | instskip(NEXT) | instid1(VALU_DEP_1)
	v_dual_lshlrev_b32 v7, v6, v5 :: v_dual_lshlrev_b32 v6, 23, v6
	v_lshrrev_b32_e32 v7, 4, v7
	s_delay_alu instid0(VALU_DEP_1) | instskip(NEXT) | instid1(VALU_DEP_1)
	v_dual_sub_nc_u32 v6, v7, v6 :: v_dual_ashrrev_i32 v7, 8, v9
	v_add_nc_u32_e32 v6, 0x3c000000, v6
	s_delay_alu instid0(VALU_DEP_1) | instskip(NEXT) | instid1(VALU_DEP_1)
	v_and_or_b32 v6, 0x7f800000, v7, v6
	v_cndmask_b32_e32 v5, 0, v6, vcc_lo
	s_delay_alu instid0(VALU_DEP_1) | instskip(NEXT) | instid1(VALU_DEP_1)
	v_and_or_b32 v1, 0x80000000, v1, v5
	v_cvt_f64_f32_e32 v[6:7], v1
.LBB215_1412:
	s_mov_b32 s1, 0
.LBB215_1413:
	s_delay_alu instid0(SALU_CYCLE_1)
	s_and_not1_b32 vcc_lo, exec_lo, s1
	s_cbranch_vccnz .LBB215_1415
; %bb.1414:
	global_load_u8 v1, v[10:11], off
	s_wait_loadcnt 0x0
	v_lshlrev_b32_e32 v5, 25, v1
	v_lshlrev_b16 v1, 8, v1
	s_delay_alu instid0(VALU_DEP_1) | instskip(SKIP_1) | instid1(VALU_DEP_2)
	v_and_or_b32 v7, 0x7f00, v1, 0.5
	v_bfe_i32 v1, v1, 0, 16
	v_dual_add_f32 v7, -0.5, v7 :: v_dual_lshrrev_b32 v6, 4, v5
	v_cmp_gt_u32_e32 vcc_lo, 0x8000000, v5
	s_delay_alu instid0(VALU_DEP_2) | instskip(NEXT) | instid1(VALU_DEP_1)
	v_or_b32_e32 v6, 0x70000000, v6
	v_mul_f32_e32 v6, 0x7800000, v6
	s_delay_alu instid0(VALU_DEP_1) | instskip(NEXT) | instid1(VALU_DEP_1)
	v_cndmask_b32_e32 v5, v6, v7, vcc_lo
	v_and_or_b32 v1, 0x80000000, v1, v5
	s_delay_alu instid0(VALU_DEP_1)
	v_cvt_f64_f32_e32 v[6:7], v1
.LBB215_1415:
	s_mov_b32 s1, 0
	s_mov_b32 s12, -1
.LBB215_1416:
	s_and_not1_b32 vcc_lo, exec_lo, s1
	s_mov_b32 s1, 0
	s_cbranch_vccnz .LBB215_1427
; %bb.1417:
	s_cmp_gt_i32 s11, 14
	s_cbranch_scc0 .LBB215_1420
; %bb.1418:
	s_cmp_eq_u32 s11, 15
	s_cbranch_scc0 .LBB215_1423
; %bb.1419:
	global_load_u16 v1, v[10:11], off
	s_mov_b32 s0, 0
	s_mov_b32 s12, -1
	s_wait_loadcnt 0x0
	v_lshlrev_b32_e32 v1, 16, v1
	s_delay_alu instid0(VALU_DEP_1)
	v_cvt_f64_f32_e32 v[6:7], v1
	s_branch .LBB215_1425
.LBB215_1420:
	s_mov_b32 s1, -1
	s_branch .LBB215_1424
.LBB215_1421:
	s_or_saveexec_b32 s12, s12
	v_mov_b64_e32 v[6:7], 0x7ff8000020000000
	s_xor_b32 exec_lo, exec_lo, s12
	s_cbranch_execz .LBB215_1402
.LBB215_1422:
	v_cmp_ne_u16_e32 vcc_lo, 0, v1
	v_mov_b64_e32 v[6:7], 0
	s_and_not1_b32 s1, s1, exec_lo
	s_and_b32 s13, vcc_lo, exec_lo
	s_delay_alu instid0(SALU_CYCLE_1)
	s_or_b32 s1, s1, s13
	s_or_b32 exec_lo, exec_lo, s12
	s_and_saveexec_b32 s12, s1
	s_cbranch_execnz .LBB215_1403
	s_branch .LBB215_1404
.LBB215_1423:
	s_mov_b32 s0, -1
.LBB215_1424:
                                        ; implicit-def: $vgpr6_vgpr7
.LBB215_1425:
	s_and_b32 vcc_lo, exec_lo, s1
	s_mov_b32 s1, 0
	s_cbranch_vccz .LBB215_1427
; %bb.1426:
	s_cmp_lg_u32 s11, 11
	s_mov_b32 s1, -1
	s_cselect_b32 s0, -1, 0
.LBB215_1427:
	s_delay_alu instid0(SALU_CYCLE_1)
	s_and_b32 vcc_lo, exec_lo, s0
	s_cbranch_vccnz .LBB215_1503
; %bb.1428:
	s_and_not1_b32 vcc_lo, exec_lo, s1
	s_cbranch_vccnz .LBB215_1430
.LBB215_1429:
	global_load_u8 v1, v[10:11], off
	v_mov_b32_e32 v6, 0
	s_mov_b32 s12, -1
	s_wait_loadcnt 0x0
	v_cmp_ne_u16_e32 vcc_lo, 0, v1
	v_cndmask_b32_e64 v7, 0, 0x3ff00000, vcc_lo
.LBB215_1430:
	s_branch .LBB215_1356
.LBB215_1431:
	s_cmp_lt_i32 s11, 5
	s_cbranch_scc1 .LBB215_1436
; %bb.1432:
	s_cmp_lt_i32 s11, 8
	s_cbranch_scc1 .LBB215_1437
; %bb.1433:
	;; [unrolled: 3-line block ×3, first 2 shown]
	s_cmp_gt_i32 s11, 9
	s_cbranch_scc0 .LBB215_1439
; %bb.1435:
	global_load_b64 v[6:7], v[10:11], off
	s_mov_b32 s0, 0
	s_branch .LBB215_1440
.LBB215_1436:
                                        ; implicit-def: $vgpr6_vgpr7
	s_branch .LBB215_1458
.LBB215_1437:
	s_mov_b32 s0, -1
                                        ; implicit-def: $vgpr6_vgpr7
	s_branch .LBB215_1446
.LBB215_1438:
	s_mov_b32 s0, -1
                                        ; implicit-def: $vgpr6_vgpr7
	s_branch .LBB215_1443
.LBB215_1439:
	s_mov_b32 s0, -1
                                        ; implicit-def: $vgpr6_vgpr7
.LBB215_1440:
	s_delay_alu instid0(SALU_CYCLE_1)
	s_and_not1_b32 vcc_lo, exec_lo, s0
	s_cbranch_vccnz .LBB215_1442
; %bb.1441:
	global_load_b32 v1, v[10:11], off
	s_wait_loadcnt 0x0
	v_cvt_f64_f32_e32 v[6:7], v1
.LBB215_1442:
	s_mov_b32 s0, 0
.LBB215_1443:
	s_delay_alu instid0(SALU_CYCLE_1)
	s_and_not1_b32 vcc_lo, exec_lo, s0
	s_cbranch_vccnz .LBB215_1445
; %bb.1444:
	global_load_b32 v1, v[10:11], off
	s_wait_loadcnt 0x0
	v_cvt_f32_f16_e32 v1, v1
	s_delay_alu instid0(VALU_DEP_1)
	v_cvt_f64_f32_e32 v[6:7], v1
.LBB215_1445:
	s_mov_b32 s0, 0
.LBB215_1446:
	s_delay_alu instid0(SALU_CYCLE_1)
	s_and_not1_b32 vcc_lo, exec_lo, s0
	s_cbranch_vccnz .LBB215_1457
; %bb.1447:
	s_cmp_lt_i32 s11, 6
	s_cbranch_scc1 .LBB215_1450
; %bb.1448:
	s_cmp_gt_i32 s11, 6
	s_cbranch_scc0 .LBB215_1451
; %bb.1449:
	s_wait_loadcnt 0x0
	global_load_b64 v[6:7], v[10:11], off
	s_mov_b32 s0, 0
	s_branch .LBB215_1452
.LBB215_1450:
	s_mov_b32 s0, -1
                                        ; implicit-def: $vgpr6_vgpr7
	s_branch .LBB215_1455
.LBB215_1451:
	s_mov_b32 s0, -1
                                        ; implicit-def: $vgpr6_vgpr7
.LBB215_1452:
	s_delay_alu instid0(SALU_CYCLE_1)
	s_and_not1_b32 vcc_lo, exec_lo, s0
	s_cbranch_vccnz .LBB215_1454
; %bb.1453:
	global_load_b32 v1, v[10:11], off
	s_wait_loadcnt 0x0
	v_cvt_f64_f32_e32 v[6:7], v1
.LBB215_1454:
	s_mov_b32 s0, 0
.LBB215_1455:
	s_delay_alu instid0(SALU_CYCLE_1)
	s_and_not1_b32 vcc_lo, exec_lo, s0
	s_cbranch_vccnz .LBB215_1457
; %bb.1456:
	global_load_u16 v1, v[10:11], off
	s_wait_loadcnt 0x0
	v_cvt_f32_f16_e32 v1, v1
	s_delay_alu instid0(VALU_DEP_1)
	v_cvt_f64_f32_e32 v[6:7], v1
.LBB215_1457:
	s_cbranch_execnz .LBB215_1477
.LBB215_1458:
	s_cmp_lt_i32 s11, 2
	s_cbranch_scc1 .LBB215_1462
; %bb.1459:
	s_cmp_lt_i32 s11, 3
	s_cbranch_scc1 .LBB215_1463
; %bb.1460:
	s_cmp_gt_i32 s11, 3
	s_cbranch_scc0 .LBB215_1464
; %bb.1461:
	s_wait_loadcnt 0x0
	global_load_b64 v[6:7], v[10:11], off
	s_mov_b32 s0, 0
	s_wait_loadcnt 0x0
	v_cvt_f64_i32_e32 v[18:19], v7
	v_cvt_f64_u32_e32 v[6:7], v6
	s_delay_alu instid0(VALU_DEP_2) | instskip(NEXT) | instid1(VALU_DEP_1)
	v_ldexp_f64 v[18:19], v[18:19], 32
	v_add_f64_e32 v[6:7], v[18:19], v[6:7]
	s_branch .LBB215_1465
.LBB215_1462:
	s_mov_b32 s0, -1
                                        ; implicit-def: $vgpr6_vgpr7
	s_branch .LBB215_1471
.LBB215_1463:
	s_mov_b32 s0, -1
                                        ; implicit-def: $vgpr6_vgpr7
	s_branch .LBB215_1468
.LBB215_1464:
	s_mov_b32 s0, -1
                                        ; implicit-def: $vgpr6_vgpr7
.LBB215_1465:
	s_delay_alu instid0(SALU_CYCLE_1)
	s_and_not1_b32 vcc_lo, exec_lo, s0
	s_cbranch_vccnz .LBB215_1467
; %bb.1466:
	global_load_b32 v1, v[10:11], off
	s_wait_loadcnt 0x0
	v_cvt_f64_i32_e32 v[6:7], v1
.LBB215_1467:
	s_mov_b32 s0, 0
.LBB215_1468:
	s_delay_alu instid0(SALU_CYCLE_1)
	s_and_not1_b32 vcc_lo, exec_lo, s0
	s_cbranch_vccnz .LBB215_1470
; %bb.1469:
	global_load_i16 v1, v[10:11], off
	s_wait_loadcnt 0x0
	v_cvt_f64_i32_e32 v[6:7], v1
.LBB215_1470:
	s_mov_b32 s0, 0
.LBB215_1471:
	s_delay_alu instid0(SALU_CYCLE_1)
	s_and_not1_b32 vcc_lo, exec_lo, s0
	s_cbranch_vccnz .LBB215_1477
; %bb.1472:
	s_cmp_gt_i32 s11, 0
	s_mov_b32 s0, 0
	s_cbranch_scc0 .LBB215_1474
; %bb.1473:
	global_load_i8 v1, v[10:11], off
	s_wait_loadcnt 0x0
	v_cvt_f64_i32_e32 v[6:7], v1
	s_branch .LBB215_1475
.LBB215_1474:
	s_mov_b32 s0, -1
                                        ; implicit-def: $vgpr6_vgpr7
.LBB215_1475:
	s_delay_alu instid0(SALU_CYCLE_1)
	s_and_not1_b32 vcc_lo, exec_lo, s0
	s_cbranch_vccnz .LBB215_1477
; %bb.1476:
	global_load_u8 v1, v[10:11], off
	s_wait_loadcnt 0x0
	v_cvt_f64_u32_e32 v[6:7], v1
.LBB215_1477:
.LBB215_1478:
	s_mov_b32 s12, exec_lo
	s_wait_loadcnt 0x0
	s_delay_alu instid0(VALU_DEP_1)
	v_cmpx_o_f64_e32 v[6:7], v[6:7]
	s_cbranch_execz .LBB215_1491
; %bb.1479:
	s_clause 0x1
	s_load_b32 s14, s[2:3], 0x158
	s_load_b64 s[0:1], s[2:3], 0x160
	s_mov_b32 s13, 0
	s_wait_kmcnt 0x0
	s_cmp_lt_i32 s14, 1
	s_cbranch_scc1 .LBB215_1482
; %bb.1480:
	s_cmp_eq_u32 s14, 1
	s_cbranch_scc0 .LBB215_1485
; %bb.1481:
	v_max_num_f64_e64 v[10:11], s[0:1], s[0:1]
	v_max_num_f64_e32 v[18:19], v[6:7], v[6:7]
	s_mov_b32 s15, 0
	s_delay_alu instid0(VALU_DEP_1)
	v_min_num_f64_e32 v[10:11], v[18:19], v[10:11]
	s_branch .LBB215_1486
.LBB215_1482:
	s_mov_b32 s15, 0
                                        ; implicit-def: $vgpr10_vgpr11
	s_cbranch_execnz .LBB215_1487
.LBB215_1483:
	s_and_not1_b32 vcc_lo, exec_lo, s15
	s_cbranch_vccnz .LBB215_1488
.LBB215_1484:
	v_max_num_f64_e64 v[10:11], s[0:1], s[0:1]
	v_max_num_f64_e32 v[18:19], v[6:7], v[6:7]
	s_load_b64 s[14:15], s[2:3], 0x168
	s_delay_alu instid0(VALU_DEP_1) | instskip(SKIP_2) | instid1(VALU_DEP_1)
	v_max_num_f64_e32 v[10:11], v[18:19], v[10:11]
	s_wait_kmcnt 0x0
	v_max_num_f64_e64 v[18:19], s[14:15], s[14:15]
	v_min_num_f64_e32 v[10:11], v[10:11], v[18:19]
	s_cbranch_execz .LBB215_1489
	s_branch .LBB215_1490
.LBB215_1485:
	s_mov_b32 s15, -1
                                        ; implicit-def: $vgpr10_vgpr11
.LBB215_1486:
	s_branch .LBB215_1483
.LBB215_1487:
	s_cmp_lg_u32 s14, 0
	s_mov_b32 s13, -1
	s_cselect_b32 s15, -1, 0
	s_delay_alu instid0(SALU_CYCLE_1)
	s_and_not1_b32 vcc_lo, exec_lo, s15
	s_cbranch_vccz .LBB215_1484
.LBB215_1488:
	s_and_not1_b32 vcc_lo, exec_lo, s13
	s_cbranch_vccnz .LBB215_1490
.LBB215_1489:
	v_max_num_f64_e64 v[10:11], s[0:1], s[0:1]
	v_max_num_f64_e32 v[6:7], v[6:7], v[6:7]
	s_delay_alu instid0(VALU_DEP_1)
	v_max_num_f64_e32 v[10:11], v[6:7], v[10:11]
.LBB215_1490:
	s_delay_alu instid0(VALU_DEP_1)
	v_mov_b64_e32 v[6:7], v[10:11]
.LBB215_1491:
	s_or_b32 exec_lo, exec_lo, s12
	v_mov_b32_e32 v5, 0
	s_cmp_lt_i32 s11, 11
	s_delay_alu instid0(VALU_DEP_1)
	v_add_nc_u64_e32 v[4:5], s[6:7], v[4:5]
	s_cbranch_scc1 .LBB215_1498
; %bb.1492:
	s_cmp_gt_i32 s11, 25
	s_mov_b32 s1, 0
	s_cbranch_scc0 .LBB215_1500
; %bb.1493:
	s_cmp_gt_i32 s11, 28
	s_cbranch_scc0 .LBB215_1501
; %bb.1494:
	s_cmp_gt_i32 s11, 43
	;; [unrolled: 3-line block ×3, first 2 shown]
	s_cbranch_scc0 .LBB215_1504
; %bb.1496:
	s_cmp_eq_u32 s11, 46
	s_mov_b32 s13, 0
	s_cbranch_scc0 .LBB215_1505
; %bb.1497:
	global_load_b32 v1, v[4:5], off
	s_mov_b32 s0, 0
	s_mov_b32 s12, -1
	s_wait_loadcnt 0x0
	v_lshlrev_b32_e32 v1, 16, v1
	s_delay_alu instid0(VALU_DEP_1)
	v_cvt_f64_f32_e32 v[10:11], v1
	s_branch .LBB215_1507
.LBB215_1498:
	s_mov_b32 s12, 0
                                        ; implicit-def: $vgpr10_vgpr11
	s_cbranch_execnz .LBB215_1573
.LBB215_1499:
	s_and_not1_b32 vcc_lo, exec_lo, s12
	s_cbranch_vccnz .LBB215_1770
	s_branch .LBB215_1621
.LBB215_1500:
	s_mov_b32 s13, -1
	s_mov_b32 s12, 0
	s_mov_b32 s0, 0
                                        ; implicit-def: $vgpr10_vgpr11
	s_branch .LBB215_1536
.LBB215_1501:
	s_mov_b32 s13, -1
	s_mov_b32 s12, 0
	s_mov_b32 s0, 0
                                        ; implicit-def: $vgpr10_vgpr11
	s_branch .LBB215_1517
.LBB215_1502:
	s_mov_b32 s13, -1
	s_mov_b32 s12, 0
	s_mov_b32 s0, 0
                                        ; implicit-def: $vgpr10_vgpr11
	s_branch .LBB215_1512
.LBB215_1503:
	s_or_b32 s10, s10, exec_lo
	s_trap 2
	s_cbranch_execz .LBB215_1429
	s_branch .LBB215_1430
.LBB215_1504:
	s_mov_b32 s13, -1
	s_mov_b32 s12, 0
	s_mov_b32 s0, 0
	s_branch .LBB215_1506
.LBB215_1505:
	s_mov_b32 s0, -1
	s_mov_b32 s12, 0
.LBB215_1506:
                                        ; implicit-def: $vgpr10_vgpr11
.LBB215_1507:
	s_and_b32 vcc_lo, exec_lo, s13
	s_cbranch_vccz .LBB215_1511
; %bb.1508:
	s_cmp_eq_u32 s11, 44
	s_cbranch_scc0 .LBB215_1510
; %bb.1509:
	global_load_u8 v1, v[4:5], off
	s_mov_b32 s0, 0
	s_mov_b32 s12, -1
	s_wait_loadcnt 0x0
	v_cmp_ne_u32_e32 vcc_lo, 0xff, v1
	v_lshlrev_b32_e32 v9, 23, v1
	s_delay_alu instid0(VALU_DEP_1) | instskip(NEXT) | instid1(VALU_DEP_1)
	v_cvt_f64_f32_e32 v[10:11], v9
	v_cndmask_b32_e32 v9, 0x20000000, v10, vcc_lo
	s_delay_alu instid0(VALU_DEP_2) | instskip(SKIP_1) | instid1(VALU_DEP_2)
	v_cndmask_b32_e32 v10, 0x7ff80000, v11, vcc_lo
	v_cmp_ne_u32_e32 vcc_lo, 0, v1
	v_cndmask_b32_e32 v11, 0x38000000, v10, vcc_lo
	s_delay_alu instid0(VALU_DEP_4)
	v_cndmask_b32_e32 v10, 0, v9, vcc_lo
	s_branch .LBB215_1511
.LBB215_1510:
	s_mov_b32 s0, -1
                                        ; implicit-def: $vgpr10_vgpr11
.LBB215_1511:
	s_mov_b32 s13, 0
.LBB215_1512:
	s_delay_alu instid0(SALU_CYCLE_1)
	s_and_b32 vcc_lo, exec_lo, s13
	s_cbranch_vccz .LBB215_1516
; %bb.1513:
	s_cmp_eq_u32 s11, 29
	s_cbranch_scc0 .LBB215_1515
; %bb.1514:
	global_load_b64 v[10:11], v[4:5], off
	s_mov_b32 s0, 0
	s_mov_b32 s12, -1
	s_mov_b32 s13, 0
	s_wait_loadcnt 0x0
	v_cvt_f64_u32_e32 v[18:19], v11
	v_cvt_f64_u32_e32 v[10:11], v10
	s_delay_alu instid0(VALU_DEP_2) | instskip(NEXT) | instid1(VALU_DEP_1)
	v_ldexp_f64 v[18:19], v[18:19], 32
	v_add_f64_e32 v[10:11], v[18:19], v[10:11]
	s_branch .LBB215_1517
.LBB215_1515:
	s_mov_b32 s0, -1
                                        ; implicit-def: $vgpr10_vgpr11
.LBB215_1516:
	s_mov_b32 s13, 0
.LBB215_1517:
	s_delay_alu instid0(SALU_CYCLE_1)
	s_and_b32 vcc_lo, exec_lo, s13
	s_cbranch_vccz .LBB215_1535
; %bb.1518:
	s_cmp_lt_i32 s11, 27
	s_cbranch_scc1 .LBB215_1521
; %bb.1519:
	s_cmp_gt_i32 s11, 27
	s_cbranch_scc0 .LBB215_1522
; %bb.1520:
	global_load_b32 v1, v[4:5], off
	s_mov_b32 s12, 0
	s_wait_loadcnt 0x0
	v_cvt_f64_u32_e32 v[10:11], v1
	s_branch .LBB215_1523
.LBB215_1521:
	s_mov_b32 s12, -1
                                        ; implicit-def: $vgpr10_vgpr11
	s_branch .LBB215_1526
.LBB215_1522:
	s_mov_b32 s12, -1
                                        ; implicit-def: $vgpr10_vgpr11
.LBB215_1523:
	s_delay_alu instid0(SALU_CYCLE_1)
	s_and_not1_b32 vcc_lo, exec_lo, s12
	s_cbranch_vccnz .LBB215_1525
; %bb.1524:
	global_load_u16 v1, v[4:5], off
	s_wait_loadcnt 0x0
	v_cvt_f64_u32_e32 v[10:11], v1
.LBB215_1525:
	s_mov_b32 s12, 0
.LBB215_1526:
	s_delay_alu instid0(SALU_CYCLE_1)
	s_and_not1_b32 vcc_lo, exec_lo, s12
	s_cbranch_vccnz .LBB215_1534
; %bb.1527:
	global_load_u8 v1, v[4:5], off
	s_mov_b32 s12, 0
	s_mov_b32 s13, exec_lo
	s_wait_loadcnt 0x0
	v_cmpx_lt_i16_e32 0x7f, v1
	s_xor_b32 s13, exec_lo, s13
	s_cbranch_execz .LBB215_1548
; %bb.1528:
	s_mov_b32 s12, -1
	s_mov_b32 s14, exec_lo
	v_cmpx_eq_u16_e32 0x80, v1
; %bb.1529:
	s_xor_b32 s12, exec_lo, -1
; %bb.1530:
	s_or_b32 exec_lo, exec_lo, s14
	s_delay_alu instid0(SALU_CYCLE_1)
	s_and_b32 s12, s12, exec_lo
	s_or_saveexec_b32 s13, s13
	v_mov_b64_e32 v[10:11], 0x7ff8000020000000
	s_xor_b32 exec_lo, exec_lo, s13
	s_cbranch_execnz .LBB215_1549
.LBB215_1531:
	s_or_b32 exec_lo, exec_lo, s13
	s_and_saveexec_b32 s13, s12
	s_cbranch_execz .LBB215_1533
.LBB215_1532:
	v_and_b32_e32 v9, 0xffff, v1
	s_delay_alu instid0(VALU_DEP_1) | instskip(SKIP_1) | instid1(VALU_DEP_2)
	v_and_b32_e32 v10, 7, v9
	v_bfe_u32 v15, v9, 3, 4
	v_clz_i32_u32_e32 v11, v10
	s_delay_alu instid0(VALU_DEP_2) | instskip(NEXT) | instid1(VALU_DEP_2)
	v_cmp_eq_u32_e32 vcc_lo, 0, v15
	v_min_u32_e32 v11, 32, v11
	s_delay_alu instid0(VALU_DEP_1) | instskip(NEXT) | instid1(VALU_DEP_1)
	v_subrev_nc_u32_e32 v13, 28, v11
	v_dual_lshlrev_b32 v9, v13, v9 :: v_dual_sub_nc_u32 v11, 29, v11
	s_delay_alu instid0(VALU_DEP_1) | instskip(NEXT) | instid1(VALU_DEP_2)
	v_and_b32_e32 v9, 7, v9
	v_dual_lshlrev_b32 v1, 24, v1 :: v_dual_cndmask_b32 v11, v15, v11, vcc_lo
	s_delay_alu instid0(VALU_DEP_2) | instskip(NEXT) | instid1(VALU_DEP_2)
	v_cndmask_b32_e32 v9, v10, v9, vcc_lo
	v_and_b32_e32 v1, 0x80000000, v1
	s_delay_alu instid0(VALU_DEP_3) | instskip(NEXT) | instid1(VALU_DEP_3)
	v_lshl_add_u32 v10, v11, 23, 0x3b800000
	v_lshlrev_b32_e32 v9, 20, v9
	s_delay_alu instid0(VALU_DEP_1) | instskip(NEXT) | instid1(VALU_DEP_1)
	v_or3_b32 v1, v1, v10, v9
	v_cvt_f64_f32_e32 v[10:11], v1
.LBB215_1533:
	s_or_b32 exec_lo, exec_lo, s13
.LBB215_1534:
	s_mov_b32 s12, -1
.LBB215_1535:
	s_mov_b32 s13, 0
.LBB215_1536:
	s_delay_alu instid0(SALU_CYCLE_1)
	s_and_b32 vcc_lo, exec_lo, s13
	s_cbranch_vccz .LBB215_1569
; %bb.1537:
	s_cmp_gt_i32 s11, 22
	s_cbranch_scc0 .LBB215_1547
; %bb.1538:
	s_cmp_lt_i32 s11, 24
	s_cbranch_scc1 .LBB215_1550
; %bb.1539:
	s_cmp_gt_i32 s11, 24
	s_cbranch_scc0 .LBB215_1551
; %bb.1540:
	global_load_u8 v1, v[4:5], off
	s_mov_b32 s12, exec_lo
	s_wait_loadcnt 0x0
	v_cmpx_lt_i16_e32 0x7f, v1
	s_xor_b32 s12, exec_lo, s12
	s_cbranch_execz .LBB215_1563
; %bb.1541:
	s_mov_b32 s1, -1
	s_mov_b32 s13, exec_lo
	v_cmpx_eq_u16_e32 0x80, v1
; %bb.1542:
	s_xor_b32 s1, exec_lo, -1
; %bb.1543:
	s_or_b32 exec_lo, exec_lo, s13
	s_delay_alu instid0(SALU_CYCLE_1)
	s_and_b32 s1, s1, exec_lo
	s_or_saveexec_b32 s12, s12
	v_mov_b64_e32 v[10:11], 0x7ff8000020000000
	s_xor_b32 exec_lo, exec_lo, s12
	s_cbranch_execnz .LBB215_1564
.LBB215_1544:
	s_or_b32 exec_lo, exec_lo, s12
	s_and_saveexec_b32 s12, s1
	s_cbranch_execz .LBB215_1546
.LBB215_1545:
	v_and_b32_e32 v9, 0xffff, v1
	s_delay_alu instid0(VALU_DEP_1) | instskip(SKIP_1) | instid1(VALU_DEP_2)
	v_and_b32_e32 v10, 3, v9
	v_bfe_u32 v15, v9, 2, 5
	v_clz_i32_u32_e32 v11, v10
	s_delay_alu instid0(VALU_DEP_2) | instskip(NEXT) | instid1(VALU_DEP_2)
	v_cmp_eq_u32_e32 vcc_lo, 0, v15
	v_min_u32_e32 v11, 32, v11
	s_delay_alu instid0(VALU_DEP_1) | instskip(NEXT) | instid1(VALU_DEP_1)
	v_subrev_nc_u32_e32 v13, 29, v11
	v_dual_lshlrev_b32 v9, v13, v9 :: v_dual_sub_nc_u32 v11, 30, v11
	s_delay_alu instid0(VALU_DEP_1) | instskip(NEXT) | instid1(VALU_DEP_2)
	v_and_b32_e32 v9, 3, v9
	v_dual_lshlrev_b32 v1, 24, v1 :: v_dual_cndmask_b32 v11, v15, v11, vcc_lo
	s_delay_alu instid0(VALU_DEP_2) | instskip(NEXT) | instid1(VALU_DEP_2)
	v_cndmask_b32_e32 v9, v10, v9, vcc_lo
	v_and_b32_e32 v1, 0x80000000, v1
	s_delay_alu instid0(VALU_DEP_3) | instskip(NEXT) | instid1(VALU_DEP_3)
	v_lshl_add_u32 v10, v11, 23, 0x37800000
	v_lshlrev_b32_e32 v9, 21, v9
	s_delay_alu instid0(VALU_DEP_1) | instskip(NEXT) | instid1(VALU_DEP_1)
	v_or3_b32 v1, v1, v10, v9
	v_cvt_f64_f32_e32 v[10:11], v1
.LBB215_1546:
	s_or_b32 exec_lo, exec_lo, s12
	s_mov_b32 s1, 0
	s_branch .LBB215_1552
.LBB215_1547:
	s_mov_b32 s1, -1
                                        ; implicit-def: $vgpr10_vgpr11
	s_branch .LBB215_1558
.LBB215_1548:
	s_or_saveexec_b32 s13, s13
	v_mov_b64_e32 v[10:11], 0x7ff8000020000000
	s_xor_b32 exec_lo, exec_lo, s13
	s_cbranch_execz .LBB215_1531
.LBB215_1549:
	v_cmp_ne_u16_e32 vcc_lo, 0, v1
	v_mov_b64_e32 v[10:11], 0
	s_and_not1_b32 s12, s12, exec_lo
	s_and_b32 s14, vcc_lo, exec_lo
	s_delay_alu instid0(SALU_CYCLE_1)
	s_or_b32 s12, s12, s14
	s_or_b32 exec_lo, exec_lo, s13
	s_and_saveexec_b32 s13, s12
	s_cbranch_execnz .LBB215_1532
	s_branch .LBB215_1533
.LBB215_1550:
	s_mov_b32 s1, -1
                                        ; implicit-def: $vgpr10_vgpr11
	s_branch .LBB215_1555
.LBB215_1551:
	s_mov_b32 s1, -1
                                        ; implicit-def: $vgpr10_vgpr11
.LBB215_1552:
	s_delay_alu instid0(SALU_CYCLE_1)
	s_and_b32 vcc_lo, exec_lo, s1
	s_cbranch_vccz .LBB215_1554
; %bb.1553:
	global_load_u8 v1, v[4:5], off
	s_wait_loadcnt 0x0
	v_lshlrev_b32_e32 v1, 24, v1
	s_delay_alu instid0(VALU_DEP_1) | instskip(NEXT) | instid1(VALU_DEP_1)
	v_and_b32_e32 v9, 0x7f000000, v1
	v_clz_i32_u32_e32 v10, v9
	v_add_nc_u32_e32 v13, 0x1000000, v9
	v_cmp_ne_u32_e32 vcc_lo, 0, v9
	s_delay_alu instid0(VALU_DEP_3) | instskip(NEXT) | instid1(VALU_DEP_1)
	v_min_u32_e32 v10, 32, v10
	v_sub_nc_u32_e64 v10, v10, 4 clamp
	s_delay_alu instid0(VALU_DEP_1) | instskip(NEXT) | instid1(VALU_DEP_1)
	v_dual_lshlrev_b32 v11, v10, v9 :: v_dual_lshlrev_b32 v10, 23, v10
	v_lshrrev_b32_e32 v11, 4, v11
	s_delay_alu instid0(VALU_DEP_1) | instskip(NEXT) | instid1(VALU_DEP_1)
	v_dual_sub_nc_u32 v10, v11, v10 :: v_dual_ashrrev_i32 v11, 8, v13
	v_add_nc_u32_e32 v10, 0x3c000000, v10
	s_delay_alu instid0(VALU_DEP_1) | instskip(NEXT) | instid1(VALU_DEP_1)
	v_and_or_b32 v10, 0x7f800000, v11, v10
	v_cndmask_b32_e32 v9, 0, v10, vcc_lo
	s_delay_alu instid0(VALU_DEP_1) | instskip(NEXT) | instid1(VALU_DEP_1)
	v_and_or_b32 v1, 0x80000000, v1, v9
	v_cvt_f64_f32_e32 v[10:11], v1
.LBB215_1554:
	s_mov_b32 s1, 0
.LBB215_1555:
	s_delay_alu instid0(SALU_CYCLE_1)
	s_and_not1_b32 vcc_lo, exec_lo, s1
	s_cbranch_vccnz .LBB215_1557
; %bb.1556:
	global_load_u8 v1, v[4:5], off
	s_wait_loadcnt 0x0
	v_lshlrev_b32_e32 v9, 25, v1
	v_lshlrev_b16 v1, 8, v1
	s_delay_alu instid0(VALU_DEP_1) | instskip(SKIP_1) | instid1(VALU_DEP_2)
	v_and_or_b32 v11, 0x7f00, v1, 0.5
	v_bfe_i32 v1, v1, 0, 16
	v_dual_add_f32 v11, -0.5, v11 :: v_dual_lshrrev_b32 v10, 4, v9
	v_cmp_gt_u32_e32 vcc_lo, 0x8000000, v9
	s_delay_alu instid0(VALU_DEP_2) | instskip(NEXT) | instid1(VALU_DEP_1)
	v_or_b32_e32 v10, 0x70000000, v10
	v_mul_f32_e32 v10, 0x7800000, v10
	s_delay_alu instid0(VALU_DEP_1) | instskip(NEXT) | instid1(VALU_DEP_1)
	v_cndmask_b32_e32 v9, v10, v11, vcc_lo
	v_and_or_b32 v1, 0x80000000, v1, v9
	s_delay_alu instid0(VALU_DEP_1)
	v_cvt_f64_f32_e32 v[10:11], v1
.LBB215_1557:
	s_mov_b32 s1, 0
	s_mov_b32 s12, -1
.LBB215_1558:
	s_and_not1_b32 vcc_lo, exec_lo, s1
	s_mov_b32 s1, 0
	s_cbranch_vccnz .LBB215_1569
; %bb.1559:
	s_cmp_gt_i32 s11, 14
	s_cbranch_scc0 .LBB215_1562
; %bb.1560:
	s_cmp_eq_u32 s11, 15
	s_cbranch_scc0 .LBB215_1565
; %bb.1561:
	global_load_u16 v1, v[4:5], off
	s_mov_b32 s0, 0
	s_mov_b32 s12, -1
	s_wait_loadcnt 0x0
	v_lshlrev_b32_e32 v1, 16, v1
	s_delay_alu instid0(VALU_DEP_1)
	v_cvt_f64_f32_e32 v[10:11], v1
	s_branch .LBB215_1567
.LBB215_1562:
	s_mov_b32 s1, -1
	s_branch .LBB215_1566
.LBB215_1563:
	s_or_saveexec_b32 s12, s12
	v_mov_b64_e32 v[10:11], 0x7ff8000020000000
	s_xor_b32 exec_lo, exec_lo, s12
	s_cbranch_execz .LBB215_1544
.LBB215_1564:
	v_cmp_ne_u16_e32 vcc_lo, 0, v1
	v_mov_b64_e32 v[10:11], 0
	s_and_not1_b32 s1, s1, exec_lo
	s_and_b32 s13, vcc_lo, exec_lo
	s_delay_alu instid0(SALU_CYCLE_1)
	s_or_b32 s1, s1, s13
	s_or_b32 exec_lo, exec_lo, s12
	s_and_saveexec_b32 s12, s1
	s_cbranch_execnz .LBB215_1545
	s_branch .LBB215_1546
.LBB215_1565:
	s_mov_b32 s0, -1
.LBB215_1566:
                                        ; implicit-def: $vgpr10_vgpr11
.LBB215_1567:
	s_and_b32 vcc_lo, exec_lo, s1
	s_mov_b32 s1, 0
	s_cbranch_vccz .LBB215_1569
; %bb.1568:
	s_cmp_lg_u32 s11, 11
	s_mov_b32 s1, -1
	s_cselect_b32 s0, -1, 0
.LBB215_1569:
	s_delay_alu instid0(SALU_CYCLE_1)
	s_and_b32 vcc_lo, exec_lo, s0
	s_cbranch_vccnz .LBB215_1646
; %bb.1570:
	s_and_not1_b32 vcc_lo, exec_lo, s1
	s_cbranch_vccnz .LBB215_1572
.LBB215_1571:
	global_load_u8 v1, v[4:5], off
	v_mov_b32_e32 v10, 0
	s_mov_b32 s12, -1
	s_wait_loadcnt 0x0
	v_cmp_ne_u16_e32 vcc_lo, 0, v1
	v_cndmask_b32_e64 v11, 0, 0x3ff00000, vcc_lo
.LBB215_1572:
	s_branch .LBB215_1499
.LBB215_1573:
	s_cmp_lt_i32 s11, 5
	s_cbranch_scc1 .LBB215_1578
; %bb.1574:
	s_cmp_lt_i32 s11, 8
	s_cbranch_scc1 .LBB215_1579
; %bb.1575:
	;; [unrolled: 3-line block ×3, first 2 shown]
	s_cmp_gt_i32 s11, 9
	s_cbranch_scc0 .LBB215_1581
; %bb.1577:
	global_load_b64 v[10:11], v[4:5], off
	s_mov_b32 s0, 0
	s_branch .LBB215_1582
.LBB215_1578:
	s_mov_b32 s0, -1
                                        ; implicit-def: $vgpr10_vgpr11
	s_branch .LBB215_1600
.LBB215_1579:
	s_mov_b32 s0, -1
                                        ; implicit-def: $vgpr10_vgpr11
	s_branch .LBB215_1588
.LBB215_1580:
	s_mov_b32 s0, -1
                                        ; implicit-def: $vgpr10_vgpr11
	s_branch .LBB215_1585
.LBB215_1581:
	s_mov_b32 s0, -1
                                        ; implicit-def: $vgpr10_vgpr11
.LBB215_1582:
	s_delay_alu instid0(SALU_CYCLE_1)
	s_and_not1_b32 vcc_lo, exec_lo, s0
	s_cbranch_vccnz .LBB215_1584
; %bb.1583:
	global_load_b32 v1, v[4:5], off
	s_wait_loadcnt 0x0
	v_cvt_f64_f32_e32 v[10:11], v1
.LBB215_1584:
	s_mov_b32 s0, 0
.LBB215_1585:
	s_delay_alu instid0(SALU_CYCLE_1)
	s_and_not1_b32 vcc_lo, exec_lo, s0
	s_cbranch_vccnz .LBB215_1587
; %bb.1586:
	global_load_b32 v1, v[4:5], off
	s_wait_loadcnt 0x0
	v_cvt_f32_f16_e32 v1, v1
	s_delay_alu instid0(VALU_DEP_1)
	v_cvt_f64_f32_e32 v[10:11], v1
.LBB215_1587:
	s_mov_b32 s0, 0
.LBB215_1588:
	s_delay_alu instid0(SALU_CYCLE_1)
	s_and_not1_b32 vcc_lo, exec_lo, s0
	s_cbranch_vccnz .LBB215_1599
; %bb.1589:
	s_cmp_lt_i32 s11, 6
	s_cbranch_scc1 .LBB215_1592
; %bb.1590:
	s_cmp_gt_i32 s11, 6
	s_cbranch_scc0 .LBB215_1593
; %bb.1591:
	s_wait_loadcnt 0x0
	global_load_b64 v[10:11], v[4:5], off
	s_mov_b32 s0, 0
	s_branch .LBB215_1594
.LBB215_1592:
	s_mov_b32 s0, -1
                                        ; implicit-def: $vgpr10_vgpr11
	s_branch .LBB215_1597
.LBB215_1593:
	s_mov_b32 s0, -1
                                        ; implicit-def: $vgpr10_vgpr11
.LBB215_1594:
	s_delay_alu instid0(SALU_CYCLE_1)
	s_and_not1_b32 vcc_lo, exec_lo, s0
	s_cbranch_vccnz .LBB215_1596
; %bb.1595:
	global_load_b32 v1, v[4:5], off
	s_wait_loadcnt 0x0
	v_cvt_f64_f32_e32 v[10:11], v1
.LBB215_1596:
	s_mov_b32 s0, 0
.LBB215_1597:
	s_delay_alu instid0(SALU_CYCLE_1)
	s_and_not1_b32 vcc_lo, exec_lo, s0
	s_cbranch_vccnz .LBB215_1599
; %bb.1598:
	global_load_u16 v1, v[4:5], off
	s_wait_loadcnt 0x0
	v_cvt_f32_f16_e32 v1, v1
	s_delay_alu instid0(VALU_DEP_1)
	v_cvt_f64_f32_e32 v[10:11], v1
.LBB215_1599:
	s_mov_b32 s0, 0
.LBB215_1600:
	s_delay_alu instid0(SALU_CYCLE_1)
	s_and_not1_b32 vcc_lo, exec_lo, s0
	s_cbranch_vccnz .LBB215_1620
; %bb.1601:
	s_cmp_lt_i32 s11, 2
	s_cbranch_scc1 .LBB215_1605
; %bb.1602:
	s_cmp_lt_i32 s11, 3
	s_cbranch_scc1 .LBB215_1606
; %bb.1603:
	s_cmp_gt_i32 s11, 3
	s_cbranch_scc0 .LBB215_1607
; %bb.1604:
	s_wait_loadcnt 0x0
	global_load_b64 v[10:11], v[4:5], off
	s_mov_b32 s0, 0
	s_wait_loadcnt 0x0
	v_cvt_f64_i32_e32 v[18:19], v11
	v_cvt_f64_u32_e32 v[10:11], v10
	s_delay_alu instid0(VALU_DEP_2) | instskip(NEXT) | instid1(VALU_DEP_1)
	v_ldexp_f64 v[18:19], v[18:19], 32
	v_add_f64_e32 v[10:11], v[18:19], v[10:11]
	s_branch .LBB215_1608
.LBB215_1605:
	s_mov_b32 s0, -1
                                        ; implicit-def: $vgpr10_vgpr11
	s_branch .LBB215_1614
.LBB215_1606:
	s_mov_b32 s0, -1
                                        ; implicit-def: $vgpr10_vgpr11
	s_branch .LBB215_1611
.LBB215_1607:
	s_mov_b32 s0, -1
                                        ; implicit-def: $vgpr10_vgpr11
.LBB215_1608:
	s_delay_alu instid0(SALU_CYCLE_1)
	s_and_not1_b32 vcc_lo, exec_lo, s0
	s_cbranch_vccnz .LBB215_1610
; %bb.1609:
	global_load_b32 v1, v[4:5], off
	s_wait_loadcnt 0x0
	v_cvt_f64_i32_e32 v[10:11], v1
.LBB215_1610:
	s_mov_b32 s0, 0
.LBB215_1611:
	s_delay_alu instid0(SALU_CYCLE_1)
	s_and_not1_b32 vcc_lo, exec_lo, s0
	s_cbranch_vccnz .LBB215_1613
; %bb.1612:
	global_load_i16 v1, v[4:5], off
	s_wait_loadcnt 0x0
	v_cvt_f64_i32_e32 v[10:11], v1
.LBB215_1613:
	s_mov_b32 s0, 0
.LBB215_1614:
	s_delay_alu instid0(SALU_CYCLE_1)
	s_and_not1_b32 vcc_lo, exec_lo, s0
	s_cbranch_vccnz .LBB215_1620
; %bb.1615:
	s_cmp_gt_i32 s11, 0
	s_mov_b32 s0, 0
	s_cbranch_scc0 .LBB215_1617
; %bb.1616:
	global_load_i8 v1, v[4:5], off
	s_wait_loadcnt 0x0
	v_cvt_f64_i32_e32 v[10:11], v1
	s_branch .LBB215_1618
.LBB215_1617:
	s_mov_b32 s0, -1
                                        ; implicit-def: $vgpr10_vgpr11
.LBB215_1618:
	s_delay_alu instid0(SALU_CYCLE_1)
	s_and_not1_b32 vcc_lo, exec_lo, s0
	s_cbranch_vccnz .LBB215_1620
; %bb.1619:
	global_load_u8 v1, v[4:5], off
	s_wait_loadcnt 0x0
	v_cvt_f64_u32_e32 v[10:11], v1
.LBB215_1620:
.LBB215_1621:
	s_mov_b32 s12, exec_lo
	s_wait_loadcnt 0x0
	s_delay_alu instid0(VALU_DEP_1)
	v_cmpx_o_f64_e32 v[10:11], v[10:11]
	s_cbranch_execz .LBB215_1633
; %bb.1622:
	s_clause 0x1
	s_load_b32 s14, s[2:3], 0x158
	s_load_b64 s[0:1], s[2:3], 0x160
	s_mov_b32 s13, 0
	s_wait_kmcnt 0x0
	s_cmp_lt_i32 s14, 1
	s_cbranch_scc1 .LBB215_1625
; %bb.1623:
	s_cmp_eq_u32 s14, 1
	s_cbranch_scc0 .LBB215_1626
; %bb.1624:
	v_max_num_f64_e64 v[4:5], s[0:1], s[0:1]
	v_max_num_f64_e32 v[18:19], v[10:11], v[10:11]
	s_mov_b32 s15, 0
	s_delay_alu instid0(VALU_DEP_1)
	v_min_num_f64_e32 v[4:5], v[18:19], v[4:5]
	s_branch .LBB215_1627
.LBB215_1625:
	s_mov_b32 s16, -1
	s_mov_b32 s15, 0
                                        ; implicit-def: $vgpr4_vgpr5
	s_branch .LBB215_1628
.LBB215_1626:
	s_mov_b32 s15, -1
                                        ; implicit-def: $vgpr4_vgpr5
.LBB215_1627:
	s_mov_b32 s16, 0
.LBB215_1628:
	s_delay_alu instid0(SALU_CYCLE_1)
	s_and_b32 vcc_lo, exec_lo, s16
	s_cbranch_vccz .LBB215_1640
; %bb.1629:
	s_cmp_lg_u32 s14, 0
	s_mov_b32 s13, -1
	s_cselect_b32 s15, -1, 0
	s_delay_alu instid0(SALU_CYCLE_1)
	s_and_not1_b32 vcc_lo, exec_lo, s15
	s_cbranch_vccz .LBB215_1641
.LBB215_1630:
	s_and_not1_b32 vcc_lo, exec_lo, s13
	s_cbranch_vccnz .LBB215_1632
.LBB215_1631:
	v_max_num_f64_e64 v[4:5], s[0:1], s[0:1]
	v_max_num_f64_e32 v[10:11], v[10:11], v[10:11]
	s_delay_alu instid0(VALU_DEP_1)
	v_max_num_f64_e32 v[4:5], v[10:11], v[4:5]
.LBB215_1632:
	s_delay_alu instid0(VALU_DEP_1)
	v_mov_b64_e32 v[10:11], v[4:5]
.LBB215_1633:
	s_or_b32 exec_lo, exec_lo, s12
	v_mov_b32_e32 v1, 0
	s_cmp_lt_i32 s11, 11
	s_delay_alu instid0(VALU_DEP_1)
	v_add_nc_u64_e32 v[4:5], s[6:7], v[0:1]
	s_cbranch_scc1 .LBB215_1642
; %bb.1634:
	s_cmp_gt_i32 s11, 25
	s_mov_b32 s1, 0
	s_cbranch_scc0 .LBB215_1643
; %bb.1635:
	s_cmp_gt_i32 s11, 28
	s_cbranch_scc0 .LBB215_1644
; %bb.1636:
	s_cmp_gt_i32 s11, 43
	;; [unrolled: 3-line block ×3, first 2 shown]
	s_cbranch_scc0 .LBB215_1647
; %bb.1638:
	s_cmp_eq_u32 s11, 46
	s_mov_b32 s7, 0
	s_cbranch_scc0 .LBB215_1648
; %bb.1639:
	global_load_b32 v0, v[4:5], off
	s_mov_b32 s0, 0
	s_mov_b32 s6, -1
	s_wait_loadcnt 0x0
	v_lshlrev_b32_e32 v0, 16, v0
	s_delay_alu instid0(VALU_DEP_1)
	v_cvt_f64_f32_e32 v[0:1], v0
	s_branch .LBB215_1650
.LBB215_1640:
	s_and_not1_b32 vcc_lo, exec_lo, s15
	s_cbranch_vccnz .LBB215_1630
.LBB215_1641:
	v_max_num_f64_e64 v[4:5], s[0:1], s[0:1]
	v_max_num_f64_e32 v[18:19], v[10:11], v[10:11]
	s_load_b64 s[14:15], s[2:3], 0x168
	s_delay_alu instid0(VALU_DEP_1) | instskip(SKIP_2) | instid1(VALU_DEP_1)
	v_max_num_f64_e32 v[4:5], v[18:19], v[4:5]
	s_wait_kmcnt 0x0
	v_max_num_f64_e64 v[18:19], s[14:15], s[14:15]
	v_min_num_f64_e32 v[4:5], v[4:5], v[18:19]
	s_cbranch_execz .LBB215_1631
	s_branch .LBB215_1632
.LBB215_1642:
	s_mov_b32 s0, -1
	s_mov_b32 s6, 0
                                        ; implicit-def: $vgpr0_vgpr1
	s_branch .LBB215_1716
.LBB215_1643:
	s_mov_b32 s7, -1
	s_mov_b32 s6, 0
	s_mov_b32 s0, 0
                                        ; implicit-def: $vgpr0_vgpr1
	s_branch .LBB215_1679
.LBB215_1644:
	s_mov_b32 s7, -1
	s_mov_b32 s6, 0
	s_mov_b32 s0, 0
                                        ; implicit-def: $vgpr0_vgpr1
	s_branch .LBB215_1660
.LBB215_1645:
	s_mov_b32 s7, -1
	s_mov_b32 s6, 0
	s_mov_b32 s0, 0
                                        ; implicit-def: $vgpr0_vgpr1
	s_branch .LBB215_1655
.LBB215_1646:
	s_or_b32 s10, s10, exec_lo
	s_trap 2
	s_cbranch_execz .LBB215_1571
	s_branch .LBB215_1572
.LBB215_1647:
	s_mov_b32 s7, -1
	s_mov_b32 s6, 0
	s_mov_b32 s0, 0
	s_branch .LBB215_1649
.LBB215_1648:
	s_mov_b32 s0, -1
	s_mov_b32 s6, 0
.LBB215_1649:
                                        ; implicit-def: $vgpr0_vgpr1
.LBB215_1650:
	s_and_b32 vcc_lo, exec_lo, s7
	s_cbranch_vccz .LBB215_1654
; %bb.1651:
	s_cmp_eq_u32 s11, 44
	s_cbranch_scc0 .LBB215_1653
; %bb.1652:
	global_load_u8 v9, v[4:5], off
	s_mov_b32 s0, 0
	s_mov_b32 s6, -1
	s_wait_loadcnt 0x0
	v_lshlrev_b32_e32 v0, 23, v9
	v_cmp_ne_u32_e32 vcc_lo, 0xff, v9
	s_delay_alu instid0(VALU_DEP_2) | instskip(NEXT) | instid1(VALU_DEP_1)
	v_cvt_f64_f32_e32 v[0:1], v0
	v_cndmask_b32_e32 v0, 0x20000000, v0, vcc_lo
	s_delay_alu instid0(VALU_DEP_2) | instskip(SKIP_1) | instid1(VALU_DEP_2)
	v_cndmask_b32_e32 v1, 0x7ff80000, v1, vcc_lo
	v_cmp_ne_u32_e32 vcc_lo, 0, v9
	v_cndmask_b32_e32 v1, 0x38000000, v1, vcc_lo
	s_delay_alu instid0(VALU_DEP_4)
	v_cndmask_b32_e32 v0, 0, v0, vcc_lo
	s_branch .LBB215_1654
.LBB215_1653:
	s_mov_b32 s0, -1
                                        ; implicit-def: $vgpr0_vgpr1
.LBB215_1654:
	s_mov_b32 s7, 0
.LBB215_1655:
	s_delay_alu instid0(SALU_CYCLE_1)
	s_and_b32 vcc_lo, exec_lo, s7
	s_cbranch_vccz .LBB215_1659
; %bb.1656:
	s_cmp_eq_u32 s11, 29
	s_cbranch_scc0 .LBB215_1658
; %bb.1657:
	global_load_b64 v[0:1], v[4:5], off
	s_mov_b32 s0, 0
	s_mov_b32 s6, -1
	s_mov_b32 s7, 0
	s_wait_loadcnt 0x0
	v_cvt_f64_u32_e32 v[18:19], v1
	v_cvt_f64_u32_e32 v[0:1], v0
	s_delay_alu instid0(VALU_DEP_2) | instskip(NEXT) | instid1(VALU_DEP_1)
	v_ldexp_f64 v[18:19], v[18:19], 32
	v_add_f64_e32 v[0:1], v[18:19], v[0:1]
	s_branch .LBB215_1660
.LBB215_1658:
	s_mov_b32 s0, -1
                                        ; implicit-def: $vgpr0_vgpr1
.LBB215_1659:
	s_mov_b32 s7, 0
.LBB215_1660:
	s_delay_alu instid0(SALU_CYCLE_1)
	s_and_b32 vcc_lo, exec_lo, s7
	s_cbranch_vccz .LBB215_1678
; %bb.1661:
	s_cmp_lt_i32 s11, 27
	s_cbranch_scc1 .LBB215_1664
; %bb.1662:
	s_cmp_gt_i32 s11, 27
	s_cbranch_scc0 .LBB215_1665
; %bb.1663:
	global_load_b32 v0, v[4:5], off
	s_mov_b32 s6, 0
	s_wait_loadcnt 0x0
	v_cvt_f64_u32_e32 v[0:1], v0
	s_branch .LBB215_1666
.LBB215_1664:
	s_mov_b32 s6, -1
                                        ; implicit-def: $vgpr0_vgpr1
	s_branch .LBB215_1669
.LBB215_1665:
	s_mov_b32 s6, -1
                                        ; implicit-def: $vgpr0_vgpr1
.LBB215_1666:
	s_delay_alu instid0(SALU_CYCLE_1)
	s_and_not1_b32 vcc_lo, exec_lo, s6
	s_cbranch_vccnz .LBB215_1668
; %bb.1667:
	global_load_u16 v0, v[4:5], off
	s_wait_loadcnt 0x0
	v_cvt_f64_u32_e32 v[0:1], v0
.LBB215_1668:
	s_mov_b32 s6, 0
.LBB215_1669:
	s_delay_alu instid0(SALU_CYCLE_1)
	s_and_not1_b32 vcc_lo, exec_lo, s6
	s_cbranch_vccnz .LBB215_1677
; %bb.1670:
	global_load_u8 v9, v[4:5], off
	s_mov_b32 s6, 0
	s_mov_b32 s7, exec_lo
	s_wait_loadcnt 0x0
	v_cmpx_lt_i16_e32 0x7f, v9
	s_xor_b32 s7, exec_lo, s7
	s_cbranch_execz .LBB215_1691
; %bb.1671:
	s_mov_b32 s6, -1
	s_mov_b32 s12, exec_lo
	v_cmpx_eq_u16_e32 0x80, v9
; %bb.1672:
	s_xor_b32 s6, exec_lo, -1
; %bb.1673:
	s_or_b32 exec_lo, exec_lo, s12
	s_delay_alu instid0(SALU_CYCLE_1)
	s_and_b32 s6, s6, exec_lo
	s_or_saveexec_b32 s7, s7
	v_mov_b64_e32 v[0:1], 0x7ff8000020000000
	s_xor_b32 exec_lo, exec_lo, s7
	s_cbranch_execnz .LBB215_1692
.LBB215_1674:
	s_or_b32 exec_lo, exec_lo, s7
	s_and_saveexec_b32 s7, s6
	s_cbranch_execz .LBB215_1676
.LBB215_1675:
	v_and_b32_e32 v0, 0xffff, v9
	s_delay_alu instid0(VALU_DEP_1) | instskip(SKIP_1) | instid1(VALU_DEP_2)
	v_and_b32_e32 v1, 7, v0
	v_bfe_u32 v17, v0, 3, 4
	v_clz_i32_u32_e32 v13, v1
	s_delay_alu instid0(VALU_DEP_2) | instskip(NEXT) | instid1(VALU_DEP_2)
	v_cmp_eq_u32_e32 vcc_lo, 0, v17
	v_min_u32_e32 v13, 32, v13
	s_delay_alu instid0(VALU_DEP_1) | instskip(NEXT) | instid1(VALU_DEP_1)
	v_subrev_nc_u32_e32 v15, 28, v13
	v_dual_lshlrev_b32 v0, v15, v0 :: v_dual_sub_nc_u32 v13, 29, v13
	s_delay_alu instid0(VALU_DEP_1) | instskip(NEXT) | instid1(VALU_DEP_1)
	v_dual_lshlrev_b32 v9, 24, v9 :: v_dual_bitop2_b32 v0, 7, v0 bitop3:0x40
	v_cndmask_b32_e32 v0, v1, v0, vcc_lo
	s_delay_alu instid0(VALU_DEP_3) | instskip(NEXT) | instid1(VALU_DEP_3)
	v_cndmask_b32_e32 v13, v17, v13, vcc_lo
	v_and_b32_e32 v1, 0x80000000, v9
	s_delay_alu instid0(VALU_DEP_3) | instskip(NEXT) | instid1(VALU_DEP_3)
	v_lshlrev_b32_e32 v0, 20, v0
	v_lshl_add_u32 v9, v13, 23, 0x3b800000
	s_delay_alu instid0(VALU_DEP_1) | instskip(NEXT) | instid1(VALU_DEP_1)
	v_or3_b32 v0, v1, v9, v0
	v_cvt_f64_f32_e32 v[0:1], v0
.LBB215_1676:
	s_or_b32 exec_lo, exec_lo, s7
.LBB215_1677:
	s_mov_b32 s6, -1
.LBB215_1678:
	s_mov_b32 s7, 0
.LBB215_1679:
	s_delay_alu instid0(SALU_CYCLE_1)
	s_and_b32 vcc_lo, exec_lo, s7
	s_cbranch_vccz .LBB215_1712
; %bb.1680:
	s_cmp_gt_i32 s11, 22
	s_cbranch_scc0 .LBB215_1690
; %bb.1681:
	s_cmp_lt_i32 s11, 24
	s_cbranch_scc1 .LBB215_1693
; %bb.1682:
	s_cmp_gt_i32 s11, 24
	s_cbranch_scc0 .LBB215_1694
; %bb.1683:
	global_load_u8 v9, v[4:5], off
	s_mov_b32 s6, exec_lo
	s_wait_loadcnt 0x0
	v_cmpx_lt_i16_e32 0x7f, v9
	s_xor_b32 s6, exec_lo, s6
	s_cbranch_execz .LBB215_1706
; %bb.1684:
	s_mov_b32 s1, -1
	s_mov_b32 s7, exec_lo
	v_cmpx_eq_u16_e32 0x80, v9
; %bb.1685:
	s_xor_b32 s1, exec_lo, -1
; %bb.1686:
	s_or_b32 exec_lo, exec_lo, s7
	s_delay_alu instid0(SALU_CYCLE_1)
	s_and_b32 s1, s1, exec_lo
	s_or_saveexec_b32 s6, s6
	v_mov_b64_e32 v[0:1], 0x7ff8000020000000
	s_xor_b32 exec_lo, exec_lo, s6
	s_cbranch_execnz .LBB215_1707
.LBB215_1687:
	s_or_b32 exec_lo, exec_lo, s6
	s_and_saveexec_b32 s6, s1
	s_cbranch_execz .LBB215_1689
.LBB215_1688:
	v_and_b32_e32 v0, 0xffff, v9
	s_delay_alu instid0(VALU_DEP_1) | instskip(SKIP_1) | instid1(VALU_DEP_2)
	v_and_b32_e32 v1, 3, v0
	v_bfe_u32 v17, v0, 2, 5
	v_clz_i32_u32_e32 v13, v1
	s_delay_alu instid0(VALU_DEP_2) | instskip(NEXT) | instid1(VALU_DEP_2)
	v_cmp_eq_u32_e32 vcc_lo, 0, v17
	v_min_u32_e32 v13, 32, v13
	s_delay_alu instid0(VALU_DEP_1) | instskip(NEXT) | instid1(VALU_DEP_1)
	v_subrev_nc_u32_e32 v15, 29, v13
	v_dual_lshlrev_b32 v0, v15, v0 :: v_dual_sub_nc_u32 v13, 30, v13
	s_delay_alu instid0(VALU_DEP_1) | instskip(NEXT) | instid1(VALU_DEP_1)
	v_dual_lshlrev_b32 v9, 24, v9 :: v_dual_bitop2_b32 v0, 3, v0 bitop3:0x40
	v_cndmask_b32_e32 v0, v1, v0, vcc_lo
	s_delay_alu instid0(VALU_DEP_3) | instskip(NEXT) | instid1(VALU_DEP_3)
	v_cndmask_b32_e32 v13, v17, v13, vcc_lo
	v_and_b32_e32 v1, 0x80000000, v9
	s_delay_alu instid0(VALU_DEP_3) | instskip(NEXT) | instid1(VALU_DEP_3)
	v_lshlrev_b32_e32 v0, 21, v0
	v_lshl_add_u32 v9, v13, 23, 0x37800000
	s_delay_alu instid0(VALU_DEP_1) | instskip(NEXT) | instid1(VALU_DEP_1)
	v_or3_b32 v0, v1, v9, v0
	v_cvt_f64_f32_e32 v[0:1], v0
.LBB215_1689:
	s_or_b32 exec_lo, exec_lo, s6
	s_mov_b32 s1, 0
	s_branch .LBB215_1695
.LBB215_1690:
	s_mov_b32 s1, -1
                                        ; implicit-def: $vgpr0_vgpr1
	s_branch .LBB215_1701
.LBB215_1691:
	s_or_saveexec_b32 s7, s7
	v_mov_b64_e32 v[0:1], 0x7ff8000020000000
	s_xor_b32 exec_lo, exec_lo, s7
	s_cbranch_execz .LBB215_1674
.LBB215_1692:
	v_cmp_ne_u16_e32 vcc_lo, 0, v9
	v_mov_b64_e32 v[0:1], 0
	s_and_not1_b32 s6, s6, exec_lo
	s_and_b32 s12, vcc_lo, exec_lo
	s_delay_alu instid0(SALU_CYCLE_1)
	s_or_b32 s6, s6, s12
	s_or_b32 exec_lo, exec_lo, s7
	s_and_saveexec_b32 s7, s6
	s_cbranch_execnz .LBB215_1675
	s_branch .LBB215_1676
.LBB215_1693:
	s_mov_b32 s1, -1
                                        ; implicit-def: $vgpr0_vgpr1
	s_branch .LBB215_1698
.LBB215_1694:
	s_mov_b32 s1, -1
                                        ; implicit-def: $vgpr0_vgpr1
.LBB215_1695:
	s_delay_alu instid0(SALU_CYCLE_1)
	s_and_b32 vcc_lo, exec_lo, s1
	s_cbranch_vccz .LBB215_1697
; %bb.1696:
	global_load_u8 v0, v[4:5], off
	s_wait_loadcnt 0x0
	v_lshlrev_b32_e32 v0, 24, v0
	s_delay_alu instid0(VALU_DEP_1) | instskip(NEXT) | instid1(VALU_DEP_1)
	v_and_b32_e32 v1, 0x7f000000, v0
	v_clz_i32_u32_e32 v9, v1
	v_add_nc_u32_e32 v15, 0x1000000, v1
	v_cmp_ne_u32_e32 vcc_lo, 0, v1
	s_delay_alu instid0(VALU_DEP_3) | instskip(NEXT) | instid1(VALU_DEP_1)
	v_min_u32_e32 v9, 32, v9
	v_sub_nc_u32_e64 v9, v9, 4 clamp
	s_delay_alu instid0(VALU_DEP_1) | instskip(SKIP_1) | instid1(VALU_DEP_2)
	v_lshlrev_b32_e32 v13, v9, v1
	v_lshlrev_b32_e32 v9, 23, v9
	v_lshrrev_b32_e32 v13, 4, v13
	s_delay_alu instid0(VALU_DEP_1) | instskip(NEXT) | instid1(VALU_DEP_1)
	v_dual_sub_nc_u32 v9, v13, v9 :: v_dual_ashrrev_i32 v13, 8, v15
	v_add_nc_u32_e32 v9, 0x3c000000, v9
	s_delay_alu instid0(VALU_DEP_1) | instskip(NEXT) | instid1(VALU_DEP_1)
	v_and_or_b32 v9, 0x7f800000, v13, v9
	v_cndmask_b32_e32 v1, 0, v9, vcc_lo
	s_delay_alu instid0(VALU_DEP_1) | instskip(NEXT) | instid1(VALU_DEP_1)
	v_and_or_b32 v0, 0x80000000, v0, v1
	v_cvt_f64_f32_e32 v[0:1], v0
.LBB215_1697:
	s_mov_b32 s1, 0
.LBB215_1698:
	s_delay_alu instid0(SALU_CYCLE_1)
	s_and_not1_b32 vcc_lo, exec_lo, s1
	s_cbranch_vccnz .LBB215_1700
; %bb.1699:
	global_load_u8 v0, v[4:5], off
	s_wait_loadcnt 0x0
	v_lshlrev_b32_e32 v1, 25, v0
	v_lshlrev_b16 v0, 8, v0
	s_delay_alu instid0(VALU_DEP_1) | instskip(SKIP_1) | instid1(VALU_DEP_2)
	v_and_or_b32 v13, 0x7f00, v0, 0.5
	v_bfe_i32 v0, v0, 0, 16
	v_add_f32_e32 v13, -0.5, v13
	v_lshrrev_b32_e32 v9, 4, v1
	v_cmp_gt_u32_e32 vcc_lo, 0x8000000, v1
	s_delay_alu instid0(VALU_DEP_2) | instskip(NEXT) | instid1(VALU_DEP_1)
	v_or_b32_e32 v9, 0x70000000, v9
	v_mul_f32_e32 v9, 0x7800000, v9
	s_delay_alu instid0(VALU_DEP_1) | instskip(NEXT) | instid1(VALU_DEP_1)
	v_cndmask_b32_e32 v1, v9, v13, vcc_lo
	v_and_or_b32 v0, 0x80000000, v0, v1
	s_delay_alu instid0(VALU_DEP_1)
	v_cvt_f64_f32_e32 v[0:1], v0
.LBB215_1700:
	s_mov_b32 s1, 0
	s_mov_b32 s6, -1
.LBB215_1701:
	s_and_not1_b32 vcc_lo, exec_lo, s1
	s_mov_b32 s1, 0
	s_cbranch_vccnz .LBB215_1712
; %bb.1702:
	s_cmp_gt_i32 s11, 14
	s_cbranch_scc0 .LBB215_1705
; %bb.1703:
	s_cmp_eq_u32 s11, 15
	s_cbranch_scc0 .LBB215_1708
; %bb.1704:
	global_load_u16 v0, v[4:5], off
	s_mov_b32 s0, 0
	s_mov_b32 s6, -1
	s_wait_loadcnt 0x0
	v_lshlrev_b32_e32 v0, 16, v0
	s_delay_alu instid0(VALU_DEP_1)
	v_cvt_f64_f32_e32 v[0:1], v0
	s_branch .LBB215_1710
.LBB215_1705:
	s_mov_b32 s1, -1
	s_branch .LBB215_1709
.LBB215_1706:
	s_or_saveexec_b32 s6, s6
	v_mov_b64_e32 v[0:1], 0x7ff8000020000000
	s_xor_b32 exec_lo, exec_lo, s6
	s_cbranch_execz .LBB215_1687
.LBB215_1707:
	v_cmp_ne_u16_e32 vcc_lo, 0, v9
	v_mov_b64_e32 v[0:1], 0
	s_and_not1_b32 s1, s1, exec_lo
	s_and_b32 s7, vcc_lo, exec_lo
	s_delay_alu instid0(SALU_CYCLE_1)
	s_or_b32 s1, s1, s7
	s_or_b32 exec_lo, exec_lo, s6
	s_and_saveexec_b32 s6, s1
	s_cbranch_execnz .LBB215_1688
	s_branch .LBB215_1689
.LBB215_1708:
	s_mov_b32 s0, -1
.LBB215_1709:
                                        ; implicit-def: $vgpr0_vgpr1
.LBB215_1710:
	s_and_b32 vcc_lo, exec_lo, s1
	s_mov_b32 s1, 0
	s_cbranch_vccz .LBB215_1712
; %bb.1711:
	s_cmp_lg_u32 s11, 11
	s_mov_b32 s1, -1
	s_cselect_b32 s0, -1, 0
.LBB215_1712:
	s_delay_alu instid0(SALU_CYCLE_1)
	s_and_b32 vcc_lo, exec_lo, s0
	s_cbranch_vccnz .LBB215_2260
; %bb.1713:
	s_and_not1_b32 vcc_lo, exec_lo, s1
	s_cbranch_vccnz .LBB215_1715
.LBB215_1714:
	global_load_u8 v0, v[4:5], off
	s_mov_b32 s6, -1
	s_wait_loadcnt 0x0
	v_cmp_ne_u16_e32 vcc_lo, 0, v0
	v_mov_b32_e32 v0, 0
	v_cndmask_b32_e64 v1, 0, 0x3ff00000, vcc_lo
.LBB215_1715:
	s_mov_b32 s0, 0
.LBB215_1716:
	s_delay_alu instid0(SALU_CYCLE_1)
	s_and_b32 vcc_lo, exec_lo, s0
	s_cbranch_vccz .LBB215_1765
; %bb.1717:
	s_cmp_lt_i32 s11, 5
	s_cbranch_scc1 .LBB215_1722
; %bb.1718:
	s_cmp_lt_i32 s11, 8
	s_cbranch_scc1 .LBB215_1723
	;; [unrolled: 3-line block ×3, first 2 shown]
; %bb.1720:
	s_cmp_gt_i32 s11, 9
	s_cbranch_scc0 .LBB215_1725
; %bb.1721:
	global_load_b64 v[0:1], v[4:5], off
	s_mov_b32 s0, 0
	s_branch .LBB215_1726
.LBB215_1722:
	s_mov_b32 s0, -1
                                        ; implicit-def: $vgpr0_vgpr1
	s_branch .LBB215_1744
.LBB215_1723:
	s_mov_b32 s0, -1
                                        ; implicit-def: $vgpr0_vgpr1
	s_branch .LBB215_1732
.LBB215_1724:
	s_mov_b32 s0, -1
                                        ; implicit-def: $vgpr0_vgpr1
	s_branch .LBB215_1729
.LBB215_1725:
	s_mov_b32 s0, -1
                                        ; implicit-def: $vgpr0_vgpr1
.LBB215_1726:
	s_delay_alu instid0(SALU_CYCLE_1)
	s_and_not1_b32 vcc_lo, exec_lo, s0
	s_cbranch_vccnz .LBB215_1728
; %bb.1727:
	s_wait_loadcnt 0x0
	global_load_b32 v0, v[4:5], off
	s_wait_loadcnt 0x0
	v_cvt_f64_f32_e32 v[0:1], v0
.LBB215_1728:
	s_mov_b32 s0, 0
.LBB215_1729:
	s_delay_alu instid0(SALU_CYCLE_1)
	s_and_not1_b32 vcc_lo, exec_lo, s0
	s_cbranch_vccnz .LBB215_1731
; %bb.1730:
	s_wait_loadcnt 0x0
	global_load_b32 v0, v[4:5], off
	s_wait_loadcnt 0x0
	v_cvt_f32_f16_e32 v0, v0
	s_delay_alu instid0(VALU_DEP_1)
	v_cvt_f64_f32_e32 v[0:1], v0
.LBB215_1731:
	s_mov_b32 s0, 0
.LBB215_1732:
	s_delay_alu instid0(SALU_CYCLE_1)
	s_and_not1_b32 vcc_lo, exec_lo, s0
	s_cbranch_vccnz .LBB215_1743
; %bb.1733:
	s_cmp_lt_i32 s11, 6
	s_cbranch_scc1 .LBB215_1736
; %bb.1734:
	s_cmp_gt_i32 s11, 6
	s_cbranch_scc0 .LBB215_1737
; %bb.1735:
	s_wait_loadcnt 0x0
	global_load_b64 v[0:1], v[4:5], off
	s_mov_b32 s0, 0
	s_branch .LBB215_1738
.LBB215_1736:
	s_mov_b32 s0, -1
                                        ; implicit-def: $vgpr0_vgpr1
	s_branch .LBB215_1741
.LBB215_1737:
	s_mov_b32 s0, -1
                                        ; implicit-def: $vgpr0_vgpr1
.LBB215_1738:
	s_delay_alu instid0(SALU_CYCLE_1)
	s_and_not1_b32 vcc_lo, exec_lo, s0
	s_cbranch_vccnz .LBB215_1740
; %bb.1739:
	s_wait_loadcnt 0x0
	global_load_b32 v0, v[4:5], off
	s_wait_loadcnt 0x0
	v_cvt_f64_f32_e32 v[0:1], v0
.LBB215_1740:
	s_mov_b32 s0, 0
.LBB215_1741:
	s_delay_alu instid0(SALU_CYCLE_1)
	s_and_not1_b32 vcc_lo, exec_lo, s0
	s_cbranch_vccnz .LBB215_1743
; %bb.1742:
	s_wait_loadcnt 0x0
	global_load_u16 v0, v[4:5], off
	s_wait_loadcnt 0x0
	v_cvt_f32_f16_e32 v0, v0
	s_delay_alu instid0(VALU_DEP_1)
	v_cvt_f64_f32_e32 v[0:1], v0
.LBB215_1743:
	s_mov_b32 s0, 0
.LBB215_1744:
	s_delay_alu instid0(SALU_CYCLE_1)
	s_and_not1_b32 vcc_lo, exec_lo, s0
	s_cbranch_vccnz .LBB215_1764
; %bb.1745:
	s_cmp_lt_i32 s11, 2
	s_cbranch_scc1 .LBB215_1749
; %bb.1746:
	s_cmp_lt_i32 s11, 3
	s_cbranch_scc1 .LBB215_1750
; %bb.1747:
	s_cmp_gt_i32 s11, 3
	s_cbranch_scc0 .LBB215_1751
; %bb.1748:
	s_wait_loadcnt 0x0
	global_load_b64 v[0:1], v[4:5], off
	s_mov_b32 s0, 0
	s_wait_loadcnt 0x0
	v_cvt_f64_i32_e32 v[18:19], v1
	v_cvt_f64_u32_e32 v[0:1], v0
	s_delay_alu instid0(VALU_DEP_2) | instskip(NEXT) | instid1(VALU_DEP_1)
	v_ldexp_f64 v[18:19], v[18:19], 32
	v_add_f64_e32 v[0:1], v[18:19], v[0:1]
	s_branch .LBB215_1752
.LBB215_1749:
	s_mov_b32 s0, -1
                                        ; implicit-def: $vgpr0_vgpr1
	s_branch .LBB215_1758
.LBB215_1750:
	s_mov_b32 s0, -1
                                        ; implicit-def: $vgpr0_vgpr1
	s_branch .LBB215_1755
.LBB215_1751:
	s_mov_b32 s0, -1
                                        ; implicit-def: $vgpr0_vgpr1
.LBB215_1752:
	s_delay_alu instid0(SALU_CYCLE_1)
	s_and_not1_b32 vcc_lo, exec_lo, s0
	s_cbranch_vccnz .LBB215_1754
; %bb.1753:
	s_wait_loadcnt 0x0
	global_load_b32 v0, v[4:5], off
	s_wait_loadcnt 0x0
	v_cvt_f64_i32_e32 v[0:1], v0
.LBB215_1754:
	s_mov_b32 s0, 0
.LBB215_1755:
	s_delay_alu instid0(SALU_CYCLE_1)
	s_and_not1_b32 vcc_lo, exec_lo, s0
	s_cbranch_vccnz .LBB215_1757
; %bb.1756:
	s_wait_loadcnt 0x0
	global_load_i16 v0, v[4:5], off
	s_wait_loadcnt 0x0
	v_cvt_f64_i32_e32 v[0:1], v0
.LBB215_1757:
	s_mov_b32 s0, 0
.LBB215_1758:
	s_delay_alu instid0(SALU_CYCLE_1)
	s_and_not1_b32 vcc_lo, exec_lo, s0
	s_cbranch_vccnz .LBB215_1764
; %bb.1759:
	s_cmp_gt_i32 s11, 0
	s_mov_b32 s0, 0
	s_cbranch_scc0 .LBB215_1761
; %bb.1760:
	s_wait_loadcnt 0x0
	global_load_i8 v0, v[4:5], off
	s_wait_loadcnt 0x0
	v_cvt_f64_i32_e32 v[0:1], v0
	s_branch .LBB215_1762
.LBB215_1761:
	s_mov_b32 s0, -1
                                        ; implicit-def: $vgpr0_vgpr1
.LBB215_1762:
	s_delay_alu instid0(SALU_CYCLE_1)
	s_and_not1_b32 vcc_lo, exec_lo, s0
	s_cbranch_vccnz .LBB215_1764
; %bb.1763:
	s_wait_loadcnt 0x0
	global_load_u8 v0, v[4:5], off
	s_wait_loadcnt 0x0
	v_cvt_f64_u32_e32 v[0:1], v0
.LBB215_1764:
	s_mov_b32 s6, -1
.LBB215_1765:
	s_delay_alu instid0(SALU_CYCLE_1)
	s_and_not1_b32 vcc_lo, exec_lo, s6
	s_cbranch_vccnz .LBB215_1770
; %bb.1766:
	s_mov_b32 s6, exec_lo
	s_wait_loadcnt 0x0
	s_delay_alu instid0(VALU_DEP_1)
	v_cmpx_o_f64_e32 v[0:1], v[0:1]
	s_cbranch_execz .LBB215_1823
; %bb.1767:
	s_clause 0x1
	s_load_b32 s11, s[2:3], 0x158
	s_load_b64 s[0:1], s[2:3], 0x160
	s_mov_b32 s7, 0
	s_wait_kmcnt 0x0
	s_cmp_lt_i32 s11, 1
	s_cbranch_scc1 .LBB215_1815
; %bb.1768:
	s_cmp_eq_u32 s11, 1
	s_cbranch_scc0 .LBB215_1816
; %bb.1769:
	v_max_num_f64_e64 v[4:5], s[0:1], s[0:1]
	v_max_num_f64_e32 v[18:19], v[0:1], v[0:1]
	s_mov_b32 s12, 0
	s_delay_alu instid0(VALU_DEP_1)
	v_min_num_f64_e32 v[4:5], v[18:19], v[4:5]
	s_branch .LBB215_1817
.LBB215_1770:
	s_mov_b32 s0, 0
	s_wait_xcnt 0x0
	s_mov_b32 s3, 0
                                        ; implicit-def: $vgpr6_vgpr7
                                        ; implicit-def: $sgpr1
                                        ; implicit-def: $vgpr0_vgpr1
.LBB215_1771:
	s_and_not1_b32 s2, s8, exec_lo
	s_and_b32 s4, s10, exec_lo
	s_and_b32 s0, s0, exec_lo
	;; [unrolled: 1-line block ×3, first 2 shown]
	s_or_b32 s8, s2, s4
.LBB215_1772:
	s_wait_xcnt 0x0
	s_or_b32 exec_lo, exec_lo, s9
	s_and_saveexec_b32 s2, s8
	s_cbranch_execz .LBB215_1775
; %bb.1773:
	; divergent unreachable
	s_or_b32 exec_lo, exec_lo, s2
	s_and_saveexec_b32 s2, s35
	s_delay_alu instid0(SALU_CYCLE_1)
	s_xor_b32 s2, exec_lo, s2
	s_cbranch_execnz .LBB215_1776
.LBB215_1774:
	s_or_b32 exec_lo, exec_lo, s2
	s_and_saveexec_b32 s2, s0
	s_cbranch_execnz .LBB215_1777
	s_branch .LBB215_1814
.LBB215_1775:
	s_or_b32 exec_lo, exec_lo, s2
	s_and_saveexec_b32 s2, s35
	s_delay_alu instid0(SALU_CYCLE_1)
	s_xor_b32 s2, exec_lo, s2
	s_cbranch_execz .LBB215_1774
.LBB215_1776:
	s_wait_loadcnt 0x0
	s_delay_alu instid0(VALU_DEP_1)
	v_cmp_neq_f64_e32 vcc_lo, 0, v[0:1]
	v_cndmask_b32_e64 v2, 0, 1, vcc_lo
	global_store_b8 v[6:7], v2, off
	s_wait_xcnt 0x0
	s_or_b32 exec_lo, exec_lo, s2
	s_and_saveexec_b32 s2, s0
	s_cbranch_execz .LBB215_1814
.LBB215_1777:
	s_sext_i32_i16 s2, s1
	s_mov_b32 s0, -1
	s_cmp_lt_i32 s2, 5
	s_cbranch_scc1 .LBB215_1798
; %bb.1778:
	s_cmp_lt_i32 s2, 8
	s_cbranch_scc1 .LBB215_1788
; %bb.1779:
	;; [unrolled: 3-line block ×3, first 2 shown]
	s_cmp_gt_i32 s2, 9
	s_cbranch_scc0 .LBB215_1782
; %bb.1781:
	s_wait_loadcnt 0x0
	v_mov_b32_e32 v2, 0
	s_mov_b32 s0, 0
	s_delay_alu instid0(VALU_DEP_1)
	v_mov_b32_e32 v3, v2
	global_store_b128 v[6:7], v[0:3], off
.LBB215_1782:
	s_and_not1_b32 vcc_lo, exec_lo, s0
	s_cbranch_vccnz .LBB215_1784
; %bb.1783:
	s_wait_loadcnt 0x0
	v_cvt_f32_f64_e32 v2, v[0:1]
	v_mov_b32_e32 v3, 0
	global_store_b64 v[6:7], v[2:3], off
.LBB215_1784:
	s_mov_b32 s0, 0
.LBB215_1785:
	s_delay_alu instid0(SALU_CYCLE_1)
	s_and_not1_b32 vcc_lo, exec_lo, s0
	s_cbranch_vccnz .LBB215_1787
; %bb.1786:
	s_wait_loadcnt 0x0
	v_and_or_b32 v2, 0x1ff, v1, v0
	v_lshrrev_b32_e32 v3, 8, v1
	v_bfe_u32 v4, v1, 20, 11
	s_delay_alu instid0(VALU_DEP_3) | instskip(NEXT) | instid1(VALU_DEP_2)
	v_cmp_ne_u32_e32 vcc_lo, 0, v2
	v_sub_nc_u32_e32 v5, 0x3f1, v4
	v_add_nc_u32_e32 v4, 0xfffffc10, v4
	v_cndmask_b32_e64 v2, 0, 1, vcc_lo
	s_delay_alu instid0(VALU_DEP_1) | instskip(NEXT) | instid1(VALU_DEP_4)
	v_and_or_b32 v2, 0xffe, v3, v2
	v_med3_i32 v3, v5, 0, 13
	s_delay_alu instid0(VALU_DEP_2) | instskip(NEXT) | instid1(VALU_DEP_1)
	v_or_b32_e32 v5, 0x1000, v2
	v_lshrrev_b32_e32 v8, v3, v5
	s_delay_alu instid0(VALU_DEP_1) | instskip(NEXT) | instid1(VALU_DEP_1)
	v_lshlrev_b32_e32 v3, v3, v8
	v_cmp_ne_u32_e32 vcc_lo, v3, v5
	v_lshl_or_b32 v5, v4, 12, v2
	v_cndmask_b32_e64 v3, 0, 1, vcc_lo
	v_cmp_gt_i32_e32 vcc_lo, 1, v4
	s_delay_alu instid0(VALU_DEP_2) | instskip(NEXT) | instid1(VALU_DEP_1)
	v_or_b32_e32 v3, v8, v3
	v_cndmask_b32_e32 v3, v5, v3, vcc_lo
	s_delay_alu instid0(VALU_DEP_1) | instskip(NEXT) | instid1(VALU_DEP_1)
	v_dual_lshrrev_b32 v3, 2, v3 :: v_dual_bitop2_b32 v5, 7, v3 bitop3:0x40
	v_cmp_lt_i32_e32 vcc_lo, 5, v5
	v_cndmask_b32_e64 v8, 0, 1, vcc_lo
	v_cmp_eq_u32_e32 vcc_lo, 3, v5
	v_cndmask_b32_e64 v5, 0, 1, vcc_lo
	v_cmp_ne_u32_e32 vcc_lo, 0, v2
	s_delay_alu instid0(VALU_DEP_2) | instskip(NEXT) | instid1(VALU_DEP_1)
	v_or_b32_e32 v5, v5, v8
	v_dual_mov_b32 v8, 0x7e00 :: v_dual_add_nc_u32 v3, v3, v5
	s_delay_alu instid0(VALU_DEP_1) | instskip(SKIP_2) | instid1(VALU_DEP_4)
	v_cndmask_b32_e32 v2, 0x7c00, v8, vcc_lo
	v_cmp_gt_i32_e32 vcc_lo, 31, v4
	v_lshrrev_b32_e32 v5, 16, v1
	v_cndmask_b32_e32 v3, 0x7c00, v3, vcc_lo
	v_cmp_eq_u32_e32 vcc_lo, 0x40f, v4
	s_delay_alu instid0(VALU_DEP_2) | instskip(NEXT) | instid1(VALU_DEP_4)
	v_cndmask_b32_e32 v2, v3, v2, vcc_lo
	v_and_b32_e32 v3, 0x8000, v5
	s_delay_alu instid0(VALU_DEP_1)
	v_bitop3_b32 v2, v3, 0xffff, v2 bitop3:0xc8
	global_store_b32 v[6:7], v2, off
.LBB215_1787:
	s_mov_b32 s0, 0
.LBB215_1788:
	s_delay_alu instid0(SALU_CYCLE_1)
	s_and_not1_b32 vcc_lo, exec_lo, s0
	s_cbranch_vccnz .LBB215_1797
; %bb.1789:
	s_sext_i32_i16 s2, s1
	s_mov_b32 s0, -1
	s_cmp_lt_i32 s2, 6
	s_cbranch_scc1 .LBB215_1795
; %bb.1790:
	s_cmp_gt_i32 s2, 6
	s_cbranch_scc0 .LBB215_1792
; %bb.1791:
	s_mov_b32 s0, 0
	s_wait_loadcnt 0x0
	global_store_b64 v[6:7], v[0:1], off
.LBB215_1792:
	s_and_not1_b32 vcc_lo, exec_lo, s0
	s_cbranch_vccnz .LBB215_1794
; %bb.1793:
	s_wait_loadcnt 0x0
	v_cvt_f32_f64_e32 v2, v[0:1]
	global_store_b32 v[6:7], v2, off
.LBB215_1794:
	s_mov_b32 s0, 0
.LBB215_1795:
	s_delay_alu instid0(SALU_CYCLE_1)
	s_and_not1_b32 vcc_lo, exec_lo, s0
	s_cbranch_vccnz .LBB215_1797
; %bb.1796:
	s_wait_loadcnt 0x0
	v_and_or_b32 v2, 0x1ff, v1, v0
	v_lshrrev_b32_e32 v3, 8, v1
	v_bfe_u32 v4, v1, 20, 11
	s_delay_alu instid0(VALU_DEP_3) | instskip(NEXT) | instid1(VALU_DEP_2)
	v_cmp_ne_u32_e32 vcc_lo, 0, v2
	v_sub_nc_u32_e32 v5, 0x3f1, v4
	v_add_nc_u32_e32 v4, 0xfffffc10, v4
	v_cndmask_b32_e64 v2, 0, 1, vcc_lo
	s_delay_alu instid0(VALU_DEP_1) | instskip(NEXT) | instid1(VALU_DEP_4)
	v_and_or_b32 v2, 0xffe, v3, v2
	v_med3_i32 v3, v5, 0, 13
	s_delay_alu instid0(VALU_DEP_2) | instskip(NEXT) | instid1(VALU_DEP_1)
	v_or_b32_e32 v5, 0x1000, v2
	v_lshrrev_b32_e32 v8, v3, v5
	s_delay_alu instid0(VALU_DEP_1) | instskip(NEXT) | instid1(VALU_DEP_1)
	v_lshlrev_b32_e32 v3, v3, v8
	v_cmp_ne_u32_e32 vcc_lo, v3, v5
	v_lshl_or_b32 v5, v4, 12, v2
	v_cndmask_b32_e64 v3, 0, 1, vcc_lo
	v_cmp_gt_i32_e32 vcc_lo, 1, v4
	s_delay_alu instid0(VALU_DEP_2) | instskip(NEXT) | instid1(VALU_DEP_1)
	v_or_b32_e32 v3, v8, v3
	v_cndmask_b32_e32 v3, v5, v3, vcc_lo
	s_delay_alu instid0(VALU_DEP_1) | instskip(NEXT) | instid1(VALU_DEP_1)
	v_dual_lshrrev_b32 v3, 2, v3 :: v_dual_bitop2_b32 v5, 7, v3 bitop3:0x40
	v_cmp_lt_i32_e32 vcc_lo, 5, v5
	v_cndmask_b32_e64 v8, 0, 1, vcc_lo
	v_cmp_eq_u32_e32 vcc_lo, 3, v5
	v_cndmask_b32_e64 v5, 0, 1, vcc_lo
	v_cmp_ne_u32_e32 vcc_lo, 0, v2
	s_delay_alu instid0(VALU_DEP_2) | instskip(NEXT) | instid1(VALU_DEP_1)
	v_or_b32_e32 v5, v5, v8
	v_dual_mov_b32 v8, 0x7e00 :: v_dual_add_nc_u32 v3, v3, v5
	s_delay_alu instid0(VALU_DEP_1) | instskip(SKIP_1) | instid1(VALU_DEP_3)
	v_cndmask_b32_e32 v2, 0x7c00, v8, vcc_lo
	v_cmp_gt_i32_e32 vcc_lo, 31, v4
	v_cndmask_b32_e32 v3, 0x7c00, v3, vcc_lo
	v_cmp_eq_u32_e32 vcc_lo, 0x40f, v4
	s_delay_alu instid0(VALU_DEP_2) | instskip(NEXT) | instid1(VALU_DEP_1)
	v_dual_cndmask_b32 v2, v3, v2 :: v_dual_lshrrev_b32 v3, 16, v1
	v_and_or_b32 v2, 0x8000, v3, v2
	global_store_b16 v[6:7], v2, off
.LBB215_1797:
	s_mov_b32 s0, 0
.LBB215_1798:
	s_delay_alu instid0(SALU_CYCLE_1)
	s_and_not1_b32 vcc_lo, exec_lo, s0
	s_cbranch_vccnz .LBB215_1814
; %bb.1799:
	s_sext_i32_i16 s2, s1
	s_mov_b32 s0, -1
	s_cmp_lt_i32 s2, 2
	s_cbranch_scc1 .LBB215_1809
; %bb.1800:
	s_cmp_lt_i32 s2, 3
	s_cbranch_scc1 .LBB215_1806
; %bb.1801:
	s_cmp_gt_i32 s2, 3
	s_cbranch_scc0 .LBB215_1803
; %bb.1802:
	s_wait_loadcnt 0x0
	v_trunc_f64_e32 v[2:3], v[0:1]
	s_mov_b32 s0, 0
	s_delay_alu instid0(VALU_DEP_1) | instskip(NEXT) | instid1(VALU_DEP_1)
	v_ldexp_f64 v[4:5], v[2:3], 0xffffffe0
	v_floor_f64_e32 v[4:5], v[4:5]
	s_delay_alu instid0(VALU_DEP_1) | instskip(SKIP_1) | instid1(VALU_DEP_2)
	v_fmamk_f64 v[2:3], v[4:5], 0xc1f00000, v[2:3]
	v_cvt_i32_f64_e32 v5, v[4:5]
	v_cvt_u32_f64_e32 v4, v[2:3]
	global_store_b64 v[6:7], v[4:5], off
.LBB215_1803:
	s_and_not1_b32 vcc_lo, exec_lo, s0
	s_cbranch_vccnz .LBB215_1805
; %bb.1804:
	s_wait_loadcnt 0x0
	v_cvt_i32_f64_e32 v2, v[0:1]
	global_store_b32 v[6:7], v2, off
.LBB215_1805:
	s_mov_b32 s0, 0
.LBB215_1806:
	s_delay_alu instid0(SALU_CYCLE_1)
	s_and_not1_b32 vcc_lo, exec_lo, s0
	s_cbranch_vccnz .LBB215_1808
; %bb.1807:
	s_wait_loadcnt 0x0
	v_cvt_i32_f64_e32 v2, v[0:1]
	global_store_b16 v[6:7], v2, off
.LBB215_1808:
	s_mov_b32 s0, 0
.LBB215_1809:
	s_delay_alu instid0(SALU_CYCLE_1)
	s_and_not1_b32 vcc_lo, exec_lo, s0
	s_cbranch_vccnz .LBB215_1814
; %bb.1810:
	s_sext_i32_i16 s0, s1
	s_delay_alu instid0(SALU_CYCLE_1)
	s_cmp_gt_i32 s0, 0
	s_mov_b32 s0, -1
	s_cbranch_scc0 .LBB215_1812
; %bb.1811:
	s_wait_loadcnt 0x0
	v_cvt_i32_f64_e32 v2, v[0:1]
	s_mov_b32 s0, 0
	global_store_b8 v[6:7], v2, off
.LBB215_1812:
	s_and_not1_b32 vcc_lo, exec_lo, s0
	s_cbranch_vccnz .LBB215_1814
; %bb.1813:
	s_wait_loadcnt 0x0
	v_trunc_f64_e32 v[0:1], v[0:1]
	s_delay_alu instid0(VALU_DEP_1) | instskip(NEXT) | instid1(VALU_DEP_1)
	v_ldexp_f64 v[2:3], v[0:1], 0xffffffe0
	v_floor_f64_e32 v[2:3], v[2:3]
	s_delay_alu instid0(VALU_DEP_1) | instskip(NEXT) | instid1(VALU_DEP_1)
	v_fmamk_f64 v[0:1], v[2:3], 0xc1f00000, v[0:1]
	v_cvt_u32_f64_e32 v0, v[0:1]
	global_store_b8 v[6:7], v0, off
	s_endpgm
.LBB215_1814:
	s_endpgm
.LBB215_1815:
	s_mov_b32 s13, -1
	s_mov_b32 s12, 0
                                        ; implicit-def: $vgpr4_vgpr5
	s_branch .LBB215_1818
.LBB215_1816:
	s_mov_b32 s12, -1
                                        ; implicit-def: $vgpr4_vgpr5
.LBB215_1817:
	s_mov_b32 s13, 0
.LBB215_1818:
	s_delay_alu instid0(SALU_CYCLE_1)
	s_and_b32 vcc_lo, exec_lo, s13
	s_cbranch_vccz .LBB215_1901
; %bb.1819:
	s_cmp_lg_u32 s11, 0
	s_mov_b32 s7, -1
	s_cselect_b32 s12, -1, 0
	s_delay_alu instid0(SALU_CYCLE_1)
	s_and_not1_b32 vcc_lo, exec_lo, s12
	s_cbranch_vccz .LBB215_1902
.LBB215_1820:
	s_and_not1_b32 vcc_lo, exec_lo, s7
	s_cbranch_vccnz .LBB215_1822
.LBB215_1821:
	v_max_num_f64_e64 v[4:5], s[0:1], s[0:1]
	v_max_num_f64_e32 v[0:1], v[0:1], v[0:1]
	s_delay_alu instid0(VALU_DEP_1)
	v_max_num_f64_e32 v[4:5], v[0:1], v[4:5]
.LBB215_1822:
	s_delay_alu instid0(VALU_DEP_1)
	v_mov_b64_e32 v[0:1], v[4:5]
.LBB215_1823:
	s_or_b32 exec_lo, exec_lo, s6
	s_load_b32 s0, s[2:3], 0x170
	v_mov_b32_e32 v17, 0
	s_delay_alu instid0(VALU_DEP_1) | instskip(SKIP_2) | instid1(SALU_CYCLE_1)
	v_add_nc_u64_e32 v[16:17], s[4:5], v[16:17]
	s_wait_kmcnt 0x0
	s_and_b32 s1, s0, 0xff
	s_cmp_lt_i32 s1, 11
	s_cbranch_scc1 .LBB215_1903
; %bb.1824:
	s_and_b32 s2, 0xffff, s1
	s_mov_b32 s7, -1
	s_mov_b32 s3, 0
	s_cmp_gt_i32 s2, 25
	s_mov_b32 s6, 0
	s_mov_b32 s0, 0
	s_cbranch_scc0 .LBB215_1857
; %bb.1825:
	s_cmp_gt_i32 s2, 28
	s_cbranch_scc0 .LBB215_1840
; %bb.1826:
	s_cmp_gt_i32 s2, 43
	;; [unrolled: 3-line block ×3, first 2 shown]
	s_cbranch_scc0 .LBB215_1830
; %bb.1828:
	s_mov_b32 s0, -1
	s_mov_b32 s7, 0
	s_cmp_eq_u32 s2, 46
	s_cbranch_scc0 .LBB215_1830
; %bb.1829:
	v_cvt_f32_f64_e32 v4, v[2:3]
	s_mov_b32 s0, 0
	s_mov_b32 s6, -1
	s_delay_alu instid0(VALU_DEP_1) | instskip(SKIP_1) | instid1(VALU_DEP_2)
	v_bfe_u32 v5, v4, 16, 1
	v_cmp_o_f32_e32 vcc_lo, v4, v4
	v_add3_u32 v5, v4, v5, 0x7fff
	s_delay_alu instid0(VALU_DEP_1) | instskip(NEXT) | instid1(VALU_DEP_1)
	v_lshrrev_b32_e32 v5, 16, v5
	v_cndmask_b32_e32 v4, 0x7fc0, v5, vcc_lo
	global_store_b32 v[16:17], v4, off
.LBB215_1830:
	s_and_b32 vcc_lo, exec_lo, s7
	s_cbranch_vccz .LBB215_1835
; %bb.1831:
	s_cmp_eq_u32 s2, 44
	s_mov_b32 s0, -1
	s_cbranch_scc0 .LBB215_1835
; %bb.1832:
	s_wait_xcnt 0x0
	v_cvt_f32_f64_e32 v4, v[2:3]
	v_mov_b32_e32 v5, 0xff
	s_mov_b32 s6, exec_lo
	s_delay_alu instid0(VALU_DEP_2) | instskip(NEXT) | instid1(VALU_DEP_1)
	v_bfe_u32 v9, v4, 23, 8
	v_cmpx_ne_u32_e32 0xff, v9
	s_cbranch_execz .LBB215_1834
; %bb.1833:
	v_and_b32_e32 v5, 0x400000, v4
	v_and_or_b32 v9, 0x3fffff, v4, v9
	v_lshrrev_b32_e32 v4, 23, v4
	s_delay_alu instid0(VALU_DEP_3) | instskip(NEXT) | instid1(VALU_DEP_3)
	v_cmp_ne_u32_e32 vcc_lo, 0, v5
	v_cmp_ne_u32_e64 s0, 0, v9
	s_and_b32 s0, vcc_lo, s0
	s_delay_alu instid0(SALU_CYCLE_1) | instskip(NEXT) | instid1(VALU_DEP_1)
	v_cndmask_b32_e64 v5, 0, 1, s0
	v_add_nc_u32_e32 v5, v4, v5
.LBB215_1834:
	s_or_b32 exec_lo, exec_lo, s6
	s_mov_b32 s0, 0
	s_mov_b32 s6, -1
	global_store_b8 v[16:17], v5, off
.LBB215_1835:
	s_mov_b32 s7, 0
.LBB215_1836:
	s_delay_alu instid0(SALU_CYCLE_1)
	s_and_b32 vcc_lo, exec_lo, s7
	s_cbranch_vccz .LBB215_1839
; %bb.1837:
	s_cmp_eq_u32 s2, 29
	s_mov_b32 s0, -1
	s_cbranch_scc0 .LBB215_1839
; %bb.1838:
	s_wait_xcnt 0x0
	v_trunc_f64_e32 v[4:5], v[2:3]
	s_mov_b32 s0, 0
	s_mov_b32 s6, -1
	s_delay_alu instid0(VALU_DEP_1) | instskip(NEXT) | instid1(VALU_DEP_1)
	v_ldexp_f64 v[18:19], v[4:5], 0xffffffe0
	v_floor_f64_e32 v[18:19], v[18:19]
	s_delay_alu instid0(VALU_DEP_1) | instskip(SKIP_1) | instid1(VALU_DEP_2)
	v_fmamk_f64 v[4:5], v[18:19], 0xc1f00000, v[4:5]
	v_cvt_u32_f64_e32 v19, v[18:19]
	v_cvt_u32_f64_e32 v18, v[4:5]
	global_store_b64 v[16:17], v[18:19], off
.LBB215_1839:
	s_mov_b32 s7, 0
.LBB215_1840:
	s_delay_alu instid0(SALU_CYCLE_1)
	s_and_b32 vcc_lo, exec_lo, s7
	s_cbranch_vccz .LBB215_1856
; %bb.1841:
	s_cmp_lt_i32 s2, 27
	s_mov_b32 s6, -1
	s_cbranch_scc1 .LBB215_1847
; %bb.1842:
	s_wait_xcnt 0x0
	v_cvt_u32_f64_e32 v4, v[2:3]
	s_cmp_gt_i32 s2, 27
	s_cbranch_scc0 .LBB215_1844
; %bb.1843:
	s_mov_b32 s6, 0
	global_store_b32 v[16:17], v4, off
.LBB215_1844:
	s_and_not1_b32 vcc_lo, exec_lo, s6
	s_cbranch_vccnz .LBB215_1846
; %bb.1845:
	global_store_b16 v[16:17], v4, off
.LBB215_1846:
	s_mov_b32 s6, 0
.LBB215_1847:
	s_delay_alu instid0(SALU_CYCLE_1)
	s_and_not1_b32 vcc_lo, exec_lo, s6
	s_cbranch_vccnz .LBB215_1855
; %bb.1848:
	s_wait_xcnt 0x0
	v_cvt_f32_f64_e32 v4, v[2:3]
	v_mov_b32_e32 v9, 0x80
	s_mov_b32 s6, exec_lo
	s_delay_alu instid0(VALU_DEP_2) | instskip(NEXT) | instid1(VALU_DEP_1)
	v_and_b32_e32 v5, 0x7fffffff, v4
	v_cmpx_gt_u32_e32 0x43800000, v5
	s_cbranch_execz .LBB215_1854
; %bb.1849:
	v_cmp_lt_u32_e32 vcc_lo, 0x3bffffff, v5
	s_mov_b32 s7, 0
                                        ; implicit-def: $vgpr5
	s_and_saveexec_b32 s11, vcc_lo
	s_delay_alu instid0(SALU_CYCLE_1)
	s_xor_b32 s11, exec_lo, s11
	s_cbranch_execz .LBB215_2261
; %bb.1850:
	v_bfe_u32 v5, v4, 20, 1
	s_mov_b32 s7, exec_lo
	s_delay_alu instid0(VALU_DEP_1) | instskip(NEXT) | instid1(VALU_DEP_1)
	v_add3_u32 v5, v4, v5, 0x487ffff
	v_lshrrev_b32_e32 v5, 20, v5
	s_and_not1_saveexec_b32 s11, s11
	s_cbranch_execnz .LBB215_2262
.LBB215_1851:
	s_or_b32 exec_lo, exec_lo, s11
	v_mov_b32_e32 v9, 0
	s_and_saveexec_b32 s11, s7
.LBB215_1852:
	v_lshrrev_b32_e32 v4, 24, v4
	s_delay_alu instid0(VALU_DEP_1)
	v_and_or_b32 v9, 0x80, v4, v5
.LBB215_1853:
	s_or_b32 exec_lo, exec_lo, s11
.LBB215_1854:
	s_delay_alu instid0(SALU_CYCLE_1)
	s_or_b32 exec_lo, exec_lo, s6
	global_store_b8 v[16:17], v9, off
.LBB215_1855:
	s_mov_b32 s6, -1
.LBB215_1856:
	s_mov_b32 s7, 0
.LBB215_1857:
	s_delay_alu instid0(SALU_CYCLE_1)
	s_and_b32 vcc_lo, exec_lo, s7
	s_cbranch_vccz .LBB215_1897
; %bb.1858:
	s_cmp_gt_i32 s2, 22
	s_mov_b32 s3, -1
	s_cbranch_scc0 .LBB215_1890
; %bb.1859:
	s_cmp_lt_i32 s2, 24
	s_cbranch_scc1 .LBB215_1879
; %bb.1860:
	s_cmp_gt_i32 s2, 24
	s_cbranch_scc0 .LBB215_1868
; %bb.1861:
	s_wait_xcnt 0x0
	v_cvt_f32_f64_e32 v4, v[2:3]
	v_mov_b32_e32 v9, 0x80
	s_mov_b32 s3, exec_lo
	s_delay_alu instid0(VALU_DEP_2) | instskip(NEXT) | instid1(VALU_DEP_1)
	v_and_b32_e32 v5, 0x7fffffff, v4
	v_cmpx_gt_u32_e32 0x47800000, v5
	s_cbranch_execz .LBB215_1867
; %bb.1862:
	v_cmp_lt_u32_e32 vcc_lo, 0x37ffffff, v5
	s_mov_b32 s6, 0
                                        ; implicit-def: $vgpr5
	s_and_saveexec_b32 s7, vcc_lo
	s_delay_alu instid0(SALU_CYCLE_1)
	s_xor_b32 s7, exec_lo, s7
	s_cbranch_execz .LBB215_2264
; %bb.1863:
	v_bfe_u32 v5, v4, 21, 1
	s_mov_b32 s6, exec_lo
	s_delay_alu instid0(VALU_DEP_1) | instskip(NEXT) | instid1(VALU_DEP_1)
	v_add3_u32 v5, v4, v5, 0x88fffff
	v_lshrrev_b32_e32 v5, 21, v5
	s_and_not1_saveexec_b32 s7, s7
	s_cbranch_execnz .LBB215_2265
.LBB215_1864:
	s_or_b32 exec_lo, exec_lo, s7
	v_mov_b32_e32 v9, 0
	s_and_saveexec_b32 s7, s6
.LBB215_1865:
	v_lshrrev_b32_e32 v4, 24, v4
	s_delay_alu instid0(VALU_DEP_1)
	v_and_or_b32 v9, 0x80, v4, v5
.LBB215_1866:
	s_or_b32 exec_lo, exec_lo, s7
.LBB215_1867:
	s_delay_alu instid0(SALU_CYCLE_1)
	s_or_b32 exec_lo, exec_lo, s3
	s_mov_b32 s3, 0
	global_store_b8 v[16:17], v9, off
.LBB215_1868:
	s_and_b32 vcc_lo, exec_lo, s3
	s_cbranch_vccz .LBB215_1878
; %bb.1869:
	s_wait_xcnt 0x0
	v_cvt_f32_f64_e32 v4, v[2:3]
	s_mov_b32 s3, exec_lo
                                        ; implicit-def: $vgpr5
	s_delay_alu instid0(VALU_DEP_1) | instskip(NEXT) | instid1(VALU_DEP_1)
	v_and_b32_e32 v9, 0x7fffffff, v4
	v_cmpx_gt_u32_e32 0x43f00000, v9
	s_xor_b32 s3, exec_lo, s3
	s_cbranch_execz .LBB215_1875
; %bb.1870:
	s_mov_b32 s6, exec_lo
                                        ; implicit-def: $vgpr5
	v_cmpx_lt_u32_e32 0x3c7fffff, v9
	s_xor_b32 s6, exec_lo, s6
; %bb.1871:
	v_bfe_u32 v5, v4, 20, 1
	s_delay_alu instid0(VALU_DEP_1) | instskip(NEXT) | instid1(VALU_DEP_1)
	v_add3_u32 v5, v4, v5, 0x407ffff
	v_and_b32_e32 v9, 0xff00000, v5
	v_lshrrev_b32_e32 v5, 20, v5
	s_delay_alu instid0(VALU_DEP_2) | instskip(NEXT) | instid1(VALU_DEP_2)
	v_cmp_ne_u32_e32 vcc_lo, 0x7f00000, v9
	v_cndmask_b32_e32 v5, 0x7e, v5, vcc_lo
; %bb.1872:
	s_and_not1_saveexec_b32 s6, s6
; %bb.1873:
	v_add_f32_e64 v5, 0x46800000, |v4|
; %bb.1874:
	s_or_b32 exec_lo, exec_lo, s6
                                        ; implicit-def: $vgpr9
.LBB215_1875:
	s_and_not1_saveexec_b32 s3, s3
; %bb.1876:
	v_mov_b32_e32 v5, 0x7f
	v_cmp_lt_u32_e32 vcc_lo, 0x7f800000, v9
	s_delay_alu instid0(VALU_DEP_2)
	v_cndmask_b32_e32 v5, 0x7e, v5, vcc_lo
; %bb.1877:
	s_or_b32 exec_lo, exec_lo, s3
	v_lshrrev_b32_e32 v4, 24, v4
	s_delay_alu instid0(VALU_DEP_1)
	v_and_or_b32 v4, 0x80, v4, v5
	global_store_b8 v[16:17], v4, off
.LBB215_1878:
	s_mov_b32 s3, 0
.LBB215_1879:
	s_delay_alu instid0(SALU_CYCLE_1)
	s_and_not1_b32 vcc_lo, exec_lo, s3
	s_cbranch_vccnz .LBB215_1889
; %bb.1880:
	s_wait_xcnt 0x0
	v_cvt_f32_f64_e32 v4, v[2:3]
	s_mov_b32 s3, exec_lo
                                        ; implicit-def: $vgpr5
	s_delay_alu instid0(VALU_DEP_1) | instskip(NEXT) | instid1(VALU_DEP_1)
	v_and_b32_e32 v9, 0x7fffffff, v4
	v_cmpx_gt_u32_e32 0x47800000, v9
	s_xor_b32 s3, exec_lo, s3
	s_cbranch_execz .LBB215_1886
; %bb.1881:
	s_mov_b32 s6, exec_lo
                                        ; implicit-def: $vgpr5
	v_cmpx_lt_u32_e32 0x387fffff, v9
	s_xor_b32 s6, exec_lo, s6
; %bb.1882:
	v_bfe_u32 v5, v4, 21, 1
	s_delay_alu instid0(VALU_DEP_1) | instskip(NEXT) | instid1(VALU_DEP_1)
	v_add3_u32 v5, v4, v5, 0x80fffff
	v_lshrrev_b32_e32 v5, 21, v5
; %bb.1883:
	s_and_not1_saveexec_b32 s6, s6
; %bb.1884:
	v_add_f32_e64 v5, 0x43000000, |v4|
; %bb.1885:
	s_or_b32 exec_lo, exec_lo, s6
                                        ; implicit-def: $vgpr9
.LBB215_1886:
	s_and_not1_saveexec_b32 s3, s3
; %bb.1887:
	v_mov_b32_e32 v5, 0x7f
	v_cmp_lt_u32_e32 vcc_lo, 0x7f800000, v9
	s_delay_alu instid0(VALU_DEP_2)
	v_cndmask_b32_e32 v5, 0x7c, v5, vcc_lo
; %bb.1888:
	s_or_b32 exec_lo, exec_lo, s3
	v_lshrrev_b32_e32 v4, 24, v4
	s_delay_alu instid0(VALU_DEP_1)
	v_and_or_b32 v4, 0x80, v4, v5
	global_store_b8 v[16:17], v4, off
.LBB215_1889:
	s_mov_b32 s3, 0
	s_mov_b32 s6, -1
.LBB215_1890:
	s_and_not1_b32 vcc_lo, exec_lo, s3
	s_mov_b32 s3, 0
	s_cbranch_vccnz .LBB215_1897
; %bb.1891:
	s_cmp_gt_i32 s2, 14
	s_mov_b32 s3, -1
	s_cbranch_scc0 .LBB215_1895
; %bb.1892:
	s_cmp_eq_u32 s2, 15
	s_mov_b32 s0, -1
	s_cbranch_scc0 .LBB215_1894
; %bb.1893:
	s_wait_xcnt 0x0
	v_cvt_f32_f64_e32 v4, v[2:3]
	s_mov_b32 s0, 0
	s_mov_b32 s6, -1
	s_delay_alu instid0(VALU_DEP_1) | instskip(SKIP_1) | instid1(VALU_DEP_2)
	v_bfe_u32 v5, v4, 16, 1
	v_cmp_o_f32_e32 vcc_lo, v4, v4
	v_add3_u32 v5, v4, v5, 0x7fff
	s_delay_alu instid0(VALU_DEP_1) | instskip(NEXT) | instid1(VALU_DEP_1)
	v_lshrrev_b32_e32 v5, 16, v5
	v_cndmask_b32_e32 v4, 0x7fc0, v5, vcc_lo
	global_store_b16 v[16:17], v4, off
.LBB215_1894:
	s_mov_b32 s3, 0
.LBB215_1895:
	s_delay_alu instid0(SALU_CYCLE_1)
	s_and_b32 vcc_lo, exec_lo, s3
	s_mov_b32 s3, 0
	s_cbranch_vccz .LBB215_1897
; %bb.1896:
	s_cmp_lg_u32 s2, 11
	s_mov_b32 s3, -1
	s_cselect_b32 s0, -1, 0
.LBB215_1897:
	s_delay_alu instid0(SALU_CYCLE_1)
	s_and_b32 vcc_lo, exec_lo, s0
	s_cbranch_vccnz .LBB215_2263
; %bb.1898:
	s_and_not1_b32 vcc_lo, exec_lo, s3
	s_cbranch_vccnz .LBB215_1900
.LBB215_1899:
	v_cmp_neq_f64_e32 vcc_lo, 0, v[2:3]
	s_mov_b32 s6, -1
	s_wait_xcnt 0x0
	v_cndmask_b32_e64 v4, 0, 1, vcc_lo
	global_store_b8 v[16:17], v4, off
.LBB215_1900:
	s_mov_b32 s0, 0
	s_branch .LBB215_1904
.LBB215_1901:
	s_and_not1_b32 vcc_lo, exec_lo, s12
	s_cbranch_vccnz .LBB215_1820
.LBB215_1902:
	v_max_num_f64_e64 v[4:5], s[0:1], s[0:1]
	v_max_num_f64_e32 v[18:19], v[0:1], v[0:1]
	s_load_b64 s[12:13], s[2:3], 0x168
	s_delay_alu instid0(VALU_DEP_1) | instskip(SKIP_2) | instid1(VALU_DEP_1)
	v_max_num_f64_e32 v[4:5], v[18:19], v[4:5]
	s_wait_kmcnt 0x0
	v_max_num_f64_e64 v[18:19], s[12:13], s[12:13]
	v_min_num_f64_e32 v[4:5], v[4:5], v[18:19]
	s_cbranch_execz .LBB215_1821
	s_branch .LBB215_1822
.LBB215_1903:
	s_mov_b32 s0, -1
	s_mov_b32 s6, 0
.LBB215_1904:
	s_and_b32 vcc_lo, exec_lo, s0
	s_cbranch_vccz .LBB215_1943
; %bb.1905:
	s_and_b32 s0, 0xffff, s1
	s_mov_b32 s2, -1
	s_cmp_lt_i32 s0, 5
	s_cbranch_scc1 .LBB215_1926
; %bb.1906:
	s_cmp_lt_i32 s0, 8
	s_cbranch_scc1 .LBB215_1916
; %bb.1907:
	;; [unrolled: 3-line block ×3, first 2 shown]
	s_cmp_gt_i32 s0, 9
	s_cbranch_scc0 .LBB215_1910
; %bb.1909:
	s_wait_xcnt 0x0
	v_mov_b32_e32 v4, 0
	s_mov_b32 s2, 0
	s_delay_alu instid0(VALU_DEP_1)
	v_mov_b32_e32 v5, v4
	global_store_b128 v[16:17], v[2:5], off
.LBB215_1910:
	s_and_not1_b32 vcc_lo, exec_lo, s2
	s_cbranch_vccnz .LBB215_1912
; %bb.1911:
	s_wait_xcnt 0x0
	v_cvt_f32_f64_e32 v4, v[2:3]
	v_mov_b32_e32 v5, 0
	global_store_b64 v[16:17], v[4:5], off
.LBB215_1912:
	s_mov_b32 s2, 0
.LBB215_1913:
	s_delay_alu instid0(SALU_CYCLE_1)
	s_and_not1_b32 vcc_lo, exec_lo, s2
	s_cbranch_vccnz .LBB215_1915
; %bb.1914:
	s_wait_xcnt 0x0
	v_and_or_b32 v4, 0x1ff, v3, v2
	v_lshrrev_b32_e32 v5, 8, v3
	v_bfe_u32 v9, v3, 20, 11
	s_delay_alu instid0(VALU_DEP_3) | instskip(NEXT) | instid1(VALU_DEP_2)
	v_cmp_ne_u32_e32 vcc_lo, 0, v4
	v_sub_nc_u32_e32 v13, 0x3f1, v9
	v_add_nc_u32_e32 v9, 0xfffffc10, v9
	v_cndmask_b32_e64 v4, 0, 1, vcc_lo
	s_delay_alu instid0(VALU_DEP_1) | instskip(NEXT) | instid1(VALU_DEP_4)
	v_and_or_b32 v4, 0xffe, v5, v4
	v_med3_i32 v5, v13, 0, 13
	s_delay_alu instid0(VALU_DEP_2) | instskip(NEXT) | instid1(VALU_DEP_1)
	v_or_b32_e32 v13, 0x1000, v4
	v_lshrrev_b32_e32 v15, v5, v13
	s_delay_alu instid0(VALU_DEP_1) | instskip(NEXT) | instid1(VALU_DEP_1)
	v_lshlrev_b32_e32 v5, v5, v15
	v_cmp_ne_u32_e32 vcc_lo, v5, v13
	v_lshl_or_b32 v13, v9, 12, v4
	v_cndmask_b32_e64 v5, 0, 1, vcc_lo
	v_cmp_gt_i32_e32 vcc_lo, 1, v9
	s_delay_alu instid0(VALU_DEP_2) | instskip(NEXT) | instid1(VALU_DEP_1)
	v_or_b32_e32 v5, v15, v5
	v_cndmask_b32_e32 v5, v13, v5, vcc_lo
	s_delay_alu instid0(VALU_DEP_1) | instskip(NEXT) | instid1(VALU_DEP_1)
	v_and_b32_e32 v13, 7, v5
	v_cmp_lt_i32_e32 vcc_lo, 5, v13
	v_cndmask_b32_e64 v15, 0, 1, vcc_lo
	v_cmp_eq_u32_e32 vcc_lo, 3, v13
	v_cndmask_b32_e64 v13, 0, 1, vcc_lo
	v_cmp_ne_u32_e32 vcc_lo, 0, v4
	s_delay_alu instid0(VALU_DEP_2) | instskip(SKIP_1) | instid1(VALU_DEP_1)
	v_dual_lshrrev_b32 v5, 2, v5 :: v_dual_bitop2_b32 v13, v13, v15 bitop3:0x54
	v_mov_b32_e32 v15, 0x7e00
	v_dual_cndmask_b32 v4, 0x7c00, v15 :: v_dual_add_nc_u32 v5, v5, v13
	v_cmp_gt_i32_e32 vcc_lo, 31, v9
	v_lshrrev_b32_e32 v13, 16, v3
	s_delay_alu instid0(VALU_DEP_3) | instskip(SKIP_1) | instid1(VALU_DEP_2)
	v_cndmask_b32_e32 v5, 0x7c00, v5, vcc_lo
	v_cmp_eq_u32_e32 vcc_lo, 0x40f, v9
	v_cndmask_b32_e32 v4, v5, v4, vcc_lo
	s_delay_alu instid0(VALU_DEP_4) | instskip(NEXT) | instid1(VALU_DEP_1)
	v_and_b32_e32 v5, 0x8000, v13
	v_bitop3_b32 v4, v5, 0xffff, v4 bitop3:0xc8
	global_store_b32 v[16:17], v4, off
.LBB215_1915:
	s_mov_b32 s2, 0
.LBB215_1916:
	s_delay_alu instid0(SALU_CYCLE_1)
	s_and_not1_b32 vcc_lo, exec_lo, s2
	s_cbranch_vccnz .LBB215_1925
; %bb.1917:
	s_cmp_lt_i32 s0, 6
	s_mov_b32 s2, -1
	s_cbranch_scc1 .LBB215_1923
; %bb.1918:
	s_cmp_gt_i32 s0, 6
	s_cbranch_scc0 .LBB215_1920
; %bb.1919:
	s_mov_b32 s2, 0
	global_store_b64 v[16:17], v[2:3], off
.LBB215_1920:
	s_and_not1_b32 vcc_lo, exec_lo, s2
	s_cbranch_vccnz .LBB215_1922
; %bb.1921:
	s_wait_xcnt 0x0
	v_cvt_f32_f64_e32 v4, v[2:3]
	global_store_b32 v[16:17], v4, off
.LBB215_1922:
	s_mov_b32 s2, 0
.LBB215_1923:
	s_delay_alu instid0(SALU_CYCLE_1)
	s_and_not1_b32 vcc_lo, exec_lo, s2
	s_cbranch_vccnz .LBB215_1925
; %bb.1924:
	s_wait_xcnt 0x0
	v_and_or_b32 v4, 0x1ff, v3, v2
	v_lshrrev_b32_e32 v5, 8, v3
	v_bfe_u32 v9, v3, 20, 11
	s_delay_alu instid0(VALU_DEP_3) | instskip(NEXT) | instid1(VALU_DEP_2)
	v_cmp_ne_u32_e32 vcc_lo, 0, v4
	v_sub_nc_u32_e32 v13, 0x3f1, v9
	v_add_nc_u32_e32 v9, 0xfffffc10, v9
	v_cndmask_b32_e64 v4, 0, 1, vcc_lo
	s_delay_alu instid0(VALU_DEP_1) | instskip(NEXT) | instid1(VALU_DEP_4)
	v_and_or_b32 v4, 0xffe, v5, v4
	v_med3_i32 v5, v13, 0, 13
	s_delay_alu instid0(VALU_DEP_2) | instskip(NEXT) | instid1(VALU_DEP_1)
	v_or_b32_e32 v13, 0x1000, v4
	v_lshrrev_b32_e32 v15, v5, v13
	s_delay_alu instid0(VALU_DEP_1) | instskip(NEXT) | instid1(VALU_DEP_1)
	v_lshlrev_b32_e32 v5, v5, v15
	v_cmp_ne_u32_e32 vcc_lo, v5, v13
	v_lshl_or_b32 v13, v9, 12, v4
	v_cndmask_b32_e64 v5, 0, 1, vcc_lo
	v_cmp_gt_i32_e32 vcc_lo, 1, v9
	s_delay_alu instid0(VALU_DEP_2) | instskip(NEXT) | instid1(VALU_DEP_1)
	v_or_b32_e32 v5, v15, v5
	v_cndmask_b32_e32 v5, v13, v5, vcc_lo
	s_delay_alu instid0(VALU_DEP_1) | instskip(NEXT) | instid1(VALU_DEP_1)
	v_and_b32_e32 v13, 7, v5
	v_cmp_lt_i32_e32 vcc_lo, 5, v13
	v_cndmask_b32_e64 v15, 0, 1, vcc_lo
	v_cmp_eq_u32_e32 vcc_lo, 3, v13
	v_cndmask_b32_e64 v13, 0, 1, vcc_lo
	v_cmp_ne_u32_e32 vcc_lo, 0, v4
	s_delay_alu instid0(VALU_DEP_2) | instskip(SKIP_1) | instid1(VALU_DEP_1)
	v_dual_lshrrev_b32 v5, 2, v5 :: v_dual_bitop2_b32 v13, v13, v15 bitop3:0x54
	v_mov_b32_e32 v15, 0x7e00
	v_dual_cndmask_b32 v4, 0x7c00, v15 :: v_dual_add_nc_u32 v5, v5, v13
	v_cmp_gt_i32_e32 vcc_lo, 31, v9
	s_delay_alu instid0(VALU_DEP_2) | instskip(SKIP_1) | instid1(VALU_DEP_2)
	v_cndmask_b32_e32 v5, 0x7c00, v5, vcc_lo
	v_cmp_eq_u32_e32 vcc_lo, 0x40f, v9
	v_dual_cndmask_b32 v4, v5, v4 :: v_dual_lshrrev_b32 v5, 16, v3
	s_delay_alu instid0(VALU_DEP_1)
	v_and_or_b32 v4, 0x8000, v5, v4
	global_store_b16 v[16:17], v4, off
.LBB215_1925:
	s_mov_b32 s2, 0
.LBB215_1926:
	s_delay_alu instid0(SALU_CYCLE_1)
	s_and_not1_b32 vcc_lo, exec_lo, s2
	s_cbranch_vccnz .LBB215_1942
; %bb.1927:
	s_cmp_lt_i32 s0, 2
	s_mov_b32 s2, -1
	s_cbranch_scc1 .LBB215_1937
; %bb.1928:
	s_cmp_lt_i32 s0, 3
	s_cbranch_scc1 .LBB215_1934
; %bb.1929:
	s_cmp_gt_i32 s0, 3
	s_cbranch_scc0 .LBB215_1931
; %bb.1930:
	s_wait_xcnt 0x0
	v_trunc_f64_e32 v[4:5], v[2:3]
	s_mov_b32 s2, 0
	s_delay_alu instid0(VALU_DEP_1) | instskip(NEXT) | instid1(VALU_DEP_1)
	v_ldexp_f64 v[18:19], v[4:5], 0xffffffe0
	v_floor_f64_e32 v[18:19], v[18:19]
	s_delay_alu instid0(VALU_DEP_1) | instskip(SKIP_1) | instid1(VALU_DEP_2)
	v_fmamk_f64 v[4:5], v[18:19], 0xc1f00000, v[4:5]
	v_cvt_i32_f64_e32 v19, v[18:19]
	v_cvt_u32_f64_e32 v18, v[4:5]
	global_store_b64 v[16:17], v[18:19], off
.LBB215_1931:
	s_and_not1_b32 vcc_lo, exec_lo, s2
	s_cbranch_vccnz .LBB215_1933
; %bb.1932:
	s_wait_xcnt 0x0
	v_cvt_i32_f64_e32 v4, v[2:3]
	global_store_b32 v[16:17], v4, off
.LBB215_1933:
	s_mov_b32 s2, 0
.LBB215_1934:
	s_delay_alu instid0(SALU_CYCLE_1)
	s_and_not1_b32 vcc_lo, exec_lo, s2
	s_cbranch_vccnz .LBB215_1936
; %bb.1935:
	s_wait_xcnt 0x0
	v_cvt_i32_f64_e32 v4, v[2:3]
	global_store_b16 v[16:17], v4, off
.LBB215_1936:
	s_mov_b32 s2, 0
.LBB215_1937:
	s_delay_alu instid0(SALU_CYCLE_1)
	s_and_not1_b32 vcc_lo, exec_lo, s2
	s_cbranch_vccnz .LBB215_1942
; %bb.1938:
	s_cmp_gt_i32 s0, 0
	s_mov_b32 s0, -1
	s_cbranch_scc0 .LBB215_1940
; %bb.1939:
	s_wait_xcnt 0x0
	v_cvt_i32_f64_e32 v4, v[2:3]
	s_mov_b32 s0, 0
	global_store_b8 v[16:17], v4, off
.LBB215_1940:
	s_and_not1_b32 vcc_lo, exec_lo, s0
	s_cbranch_vccnz .LBB215_1942
; %bb.1941:
	s_wait_xcnt 0x0
	v_trunc_f64_e32 v[2:3], v[2:3]
	s_delay_alu instid0(VALU_DEP_1) | instskip(NEXT) | instid1(VALU_DEP_1)
	v_ldexp_f64 v[4:5], v[2:3], 0xffffffe0
	v_floor_f64_e32 v[4:5], v[4:5]
	s_delay_alu instid0(VALU_DEP_1) | instskip(NEXT) | instid1(VALU_DEP_1)
	v_fmamk_f64 v[2:3], v[4:5], 0xc1f00000, v[2:3]
	v_cvt_u32_f64_e32 v2, v[2:3]
	global_store_b8 v[16:17], v2, off
.LBB215_1942:
	s_mov_b32 s6, -1
.LBB215_1943:
	s_delay_alu instid0(SALU_CYCLE_1)
	s_and_not1_b32 vcc_lo, exec_lo, s6
	s_cbranch_vccnz .LBB215_2258
; %bb.1944:
	s_wait_xcnt 0x0
	v_mov_b32_e32 v9, 0
	s_and_b32 s2, 0xffff, s1
	s_delay_alu instid0(SALU_CYCLE_1) | instskip(NEXT) | instid1(VALU_DEP_1)
	s_cmp_lt_i32 s2, 11
	v_add_nc_u64_e32 v[2:3], s[4:5], v[8:9]
	s_cbranch_scc1 .LBB215_2022
; %bb.1945:
	s_mov_b32 s7, -1
	s_mov_b32 s3, 0
	s_cmp_gt_i32 s2, 25
	s_mov_b32 s6, 0
	s_mov_b32 s0, 0
	s_cbranch_scc0 .LBB215_1978
; %bb.1946:
	s_cmp_gt_i32 s2, 28
	s_cbranch_scc0 .LBB215_1961
; %bb.1947:
	s_cmp_gt_i32 s2, 43
	;; [unrolled: 3-line block ×3, first 2 shown]
	s_cbranch_scc0 .LBB215_1951
; %bb.1949:
	s_mov_b32 s0, -1
	s_mov_b32 s7, 0
	s_cmp_eq_u32 s2, 46
	s_cbranch_scc0 .LBB215_1951
; %bb.1950:
	v_cvt_f32_f64_e32 v4, v[6:7]
	s_mov_b32 s0, 0
	s_mov_b32 s6, -1
	s_delay_alu instid0(VALU_DEP_1) | instskip(SKIP_1) | instid1(VALU_DEP_2)
	v_bfe_u32 v5, v4, 16, 1
	v_cmp_o_f32_e32 vcc_lo, v4, v4
	v_add3_u32 v5, v4, v5, 0x7fff
	s_delay_alu instid0(VALU_DEP_1) | instskip(NEXT) | instid1(VALU_DEP_1)
	v_lshrrev_b32_e32 v5, 16, v5
	v_cndmask_b32_e32 v4, 0x7fc0, v5, vcc_lo
	global_store_b32 v[2:3], v4, off
.LBB215_1951:
	s_and_b32 vcc_lo, exec_lo, s7
	s_cbranch_vccz .LBB215_1956
; %bb.1952:
	s_cmp_eq_u32 s2, 44
	s_mov_b32 s0, -1
	s_cbranch_scc0 .LBB215_1956
; %bb.1953:
	s_wait_xcnt 0x0
	v_cvt_f32_f64_e32 v4, v[6:7]
	v_mov_b32_e32 v5, 0xff
	s_mov_b32 s6, exec_lo
	s_delay_alu instid0(VALU_DEP_2) | instskip(NEXT) | instid1(VALU_DEP_1)
	v_bfe_u32 v8, v4, 23, 8
	v_cmpx_ne_u32_e32 0xff, v8
	s_cbranch_execz .LBB215_1955
; %bb.1954:
	v_and_b32_e32 v5, 0x400000, v4
	v_and_or_b32 v8, 0x3fffff, v4, v8
	v_lshrrev_b32_e32 v4, 23, v4
	s_delay_alu instid0(VALU_DEP_3) | instskip(NEXT) | instid1(VALU_DEP_3)
	v_cmp_ne_u32_e32 vcc_lo, 0, v5
	v_cmp_ne_u32_e64 s0, 0, v8
	s_and_b32 s0, vcc_lo, s0
	s_delay_alu instid0(SALU_CYCLE_1) | instskip(NEXT) | instid1(VALU_DEP_1)
	v_cndmask_b32_e64 v5, 0, 1, s0
	v_add_nc_u32_e32 v5, v4, v5
.LBB215_1955:
	s_or_b32 exec_lo, exec_lo, s6
	s_mov_b32 s0, 0
	s_mov_b32 s6, -1
	global_store_b8 v[2:3], v5, off
.LBB215_1956:
	s_mov_b32 s7, 0
.LBB215_1957:
	s_delay_alu instid0(SALU_CYCLE_1)
	s_and_b32 vcc_lo, exec_lo, s7
	s_cbranch_vccz .LBB215_1960
; %bb.1958:
	s_cmp_eq_u32 s2, 29
	s_mov_b32 s0, -1
	s_cbranch_scc0 .LBB215_1960
; %bb.1959:
	s_wait_xcnt 0x0
	v_trunc_f64_e32 v[4:5], v[6:7]
	s_mov_b32 s0, 0
	s_mov_b32 s6, -1
	s_delay_alu instid0(VALU_DEP_1) | instskip(NEXT) | instid1(VALU_DEP_1)
	v_ldexp_f64 v[8:9], v[4:5], 0xffffffe0
	v_floor_f64_e32 v[8:9], v[8:9]
	s_delay_alu instid0(VALU_DEP_1) | instskip(SKIP_1) | instid1(VALU_DEP_2)
	v_fmamk_f64 v[4:5], v[8:9], 0xc1f00000, v[4:5]
	v_cvt_u32_f64_e32 v9, v[8:9]
	v_cvt_u32_f64_e32 v8, v[4:5]
	global_store_b64 v[2:3], v[8:9], off
.LBB215_1960:
	s_mov_b32 s7, 0
.LBB215_1961:
	s_delay_alu instid0(SALU_CYCLE_1)
	s_and_b32 vcc_lo, exec_lo, s7
	s_cbranch_vccz .LBB215_1977
; %bb.1962:
	s_cmp_lt_i32 s2, 27
	s_mov_b32 s6, -1
	s_cbranch_scc1 .LBB215_1968
; %bb.1963:
	s_cmp_gt_i32 s2, 27
	s_cbranch_scc0 .LBB215_1965
; %bb.1964:
	s_wait_xcnt 0x0
	v_cvt_u32_f64_e32 v4, v[6:7]
	s_mov_b32 s6, 0
	global_store_b32 v[2:3], v4, off
.LBB215_1965:
	s_and_not1_b32 vcc_lo, exec_lo, s6
	s_cbranch_vccnz .LBB215_1967
; %bb.1966:
	s_wait_xcnt 0x0
	v_cvt_u32_f64_e32 v4, v[6:7]
	global_store_b16 v[2:3], v4, off
.LBB215_1967:
	s_mov_b32 s6, 0
.LBB215_1968:
	s_delay_alu instid0(SALU_CYCLE_1)
	s_and_not1_b32 vcc_lo, exec_lo, s6
	s_cbranch_vccnz .LBB215_1976
; %bb.1969:
	s_wait_xcnt 0x0
	v_cvt_f32_f64_e32 v4, v[6:7]
	v_mov_b32_e32 v8, 0x80
	s_mov_b32 s6, exec_lo
	s_delay_alu instid0(VALU_DEP_2) | instskip(NEXT) | instid1(VALU_DEP_1)
	v_and_b32_e32 v5, 0x7fffffff, v4
	v_cmpx_gt_u32_e32 0x43800000, v5
	s_cbranch_execz .LBB215_1975
; %bb.1970:
	v_cmp_lt_u32_e32 vcc_lo, 0x3bffffff, v5
	s_mov_b32 s7, 0
                                        ; implicit-def: $vgpr5
	s_and_saveexec_b32 s11, vcc_lo
	s_delay_alu instid0(SALU_CYCLE_1)
	s_xor_b32 s11, exec_lo, s11
	s_cbranch_execz .LBB215_2266
; %bb.1971:
	v_bfe_u32 v5, v4, 20, 1
	s_mov_b32 s7, exec_lo
	s_delay_alu instid0(VALU_DEP_1) | instskip(NEXT) | instid1(VALU_DEP_1)
	v_add3_u32 v5, v4, v5, 0x487ffff
	v_lshrrev_b32_e32 v5, 20, v5
	s_and_not1_saveexec_b32 s11, s11
	s_cbranch_execnz .LBB215_2267
.LBB215_1972:
	s_or_b32 exec_lo, exec_lo, s11
	v_mov_b32_e32 v8, 0
	s_and_saveexec_b32 s11, s7
.LBB215_1973:
	v_lshrrev_b32_e32 v4, 24, v4
	s_delay_alu instid0(VALU_DEP_1)
	v_and_or_b32 v8, 0x80, v4, v5
.LBB215_1974:
	s_or_b32 exec_lo, exec_lo, s11
.LBB215_1975:
	s_delay_alu instid0(SALU_CYCLE_1)
	s_or_b32 exec_lo, exec_lo, s6
	global_store_b8 v[2:3], v8, off
.LBB215_1976:
	s_mov_b32 s6, -1
.LBB215_1977:
	s_mov_b32 s7, 0
.LBB215_1978:
	s_delay_alu instid0(SALU_CYCLE_1)
	s_and_b32 vcc_lo, exec_lo, s7
	s_cbranch_vccz .LBB215_2018
; %bb.1979:
	s_cmp_gt_i32 s2, 22
	s_mov_b32 s3, -1
	s_cbranch_scc0 .LBB215_2011
; %bb.1980:
	s_cmp_lt_i32 s2, 24
	s_cbranch_scc1 .LBB215_2000
; %bb.1981:
	s_cmp_gt_i32 s2, 24
	s_cbranch_scc0 .LBB215_1989
; %bb.1982:
	s_wait_xcnt 0x0
	v_cvt_f32_f64_e32 v4, v[6:7]
	v_mov_b32_e32 v8, 0x80
	s_mov_b32 s3, exec_lo
	s_delay_alu instid0(VALU_DEP_2) | instskip(NEXT) | instid1(VALU_DEP_1)
	v_and_b32_e32 v5, 0x7fffffff, v4
	v_cmpx_gt_u32_e32 0x47800000, v5
	s_cbranch_execz .LBB215_1988
; %bb.1983:
	v_cmp_lt_u32_e32 vcc_lo, 0x37ffffff, v5
	s_mov_b32 s6, 0
                                        ; implicit-def: $vgpr5
	s_and_saveexec_b32 s7, vcc_lo
	s_delay_alu instid0(SALU_CYCLE_1)
	s_xor_b32 s7, exec_lo, s7
	s_cbranch_execz .LBB215_2269
; %bb.1984:
	v_bfe_u32 v5, v4, 21, 1
	s_mov_b32 s6, exec_lo
	s_delay_alu instid0(VALU_DEP_1) | instskip(NEXT) | instid1(VALU_DEP_1)
	v_add3_u32 v5, v4, v5, 0x88fffff
	v_lshrrev_b32_e32 v5, 21, v5
	s_and_not1_saveexec_b32 s7, s7
	s_cbranch_execnz .LBB215_2270
.LBB215_1985:
	s_or_b32 exec_lo, exec_lo, s7
	v_mov_b32_e32 v8, 0
	s_and_saveexec_b32 s7, s6
.LBB215_1986:
	v_lshrrev_b32_e32 v4, 24, v4
	s_delay_alu instid0(VALU_DEP_1)
	v_and_or_b32 v8, 0x80, v4, v5
.LBB215_1987:
	s_or_b32 exec_lo, exec_lo, s7
.LBB215_1988:
	s_delay_alu instid0(SALU_CYCLE_1)
	s_or_b32 exec_lo, exec_lo, s3
	s_mov_b32 s3, 0
	global_store_b8 v[2:3], v8, off
.LBB215_1989:
	s_and_b32 vcc_lo, exec_lo, s3
	s_cbranch_vccz .LBB215_1999
; %bb.1990:
	s_wait_xcnt 0x0
	v_cvt_f32_f64_e32 v4, v[6:7]
	s_mov_b32 s3, exec_lo
                                        ; implicit-def: $vgpr5
	s_delay_alu instid0(VALU_DEP_1) | instskip(NEXT) | instid1(VALU_DEP_1)
	v_and_b32_e32 v8, 0x7fffffff, v4
	v_cmpx_gt_u32_e32 0x43f00000, v8
	s_xor_b32 s3, exec_lo, s3
	s_cbranch_execz .LBB215_1996
; %bb.1991:
	s_mov_b32 s6, exec_lo
                                        ; implicit-def: $vgpr5
	v_cmpx_lt_u32_e32 0x3c7fffff, v8
	s_xor_b32 s6, exec_lo, s6
; %bb.1992:
	v_bfe_u32 v5, v4, 20, 1
	s_delay_alu instid0(VALU_DEP_1) | instskip(NEXT) | instid1(VALU_DEP_1)
	v_add3_u32 v5, v4, v5, 0x407ffff
	v_and_b32_e32 v8, 0xff00000, v5
	v_lshrrev_b32_e32 v5, 20, v5
	s_delay_alu instid0(VALU_DEP_2) | instskip(NEXT) | instid1(VALU_DEP_2)
	v_cmp_ne_u32_e32 vcc_lo, 0x7f00000, v8
	v_cndmask_b32_e32 v5, 0x7e, v5, vcc_lo
; %bb.1993:
	s_and_not1_saveexec_b32 s6, s6
; %bb.1994:
	v_add_f32_e64 v5, 0x46800000, |v4|
; %bb.1995:
	s_or_b32 exec_lo, exec_lo, s6
                                        ; implicit-def: $vgpr8
.LBB215_1996:
	s_and_not1_saveexec_b32 s3, s3
; %bb.1997:
	v_mov_b32_e32 v5, 0x7f
	v_cmp_lt_u32_e32 vcc_lo, 0x7f800000, v8
	s_delay_alu instid0(VALU_DEP_2)
	v_cndmask_b32_e32 v5, 0x7e, v5, vcc_lo
; %bb.1998:
	s_or_b32 exec_lo, exec_lo, s3
	v_lshrrev_b32_e32 v4, 24, v4
	s_delay_alu instid0(VALU_DEP_1)
	v_and_or_b32 v4, 0x80, v4, v5
	global_store_b8 v[2:3], v4, off
.LBB215_1999:
	s_mov_b32 s3, 0
.LBB215_2000:
	s_delay_alu instid0(SALU_CYCLE_1)
	s_and_not1_b32 vcc_lo, exec_lo, s3
	s_cbranch_vccnz .LBB215_2010
; %bb.2001:
	s_wait_xcnt 0x0
	v_cvt_f32_f64_e32 v4, v[6:7]
	s_mov_b32 s3, exec_lo
                                        ; implicit-def: $vgpr5
	s_delay_alu instid0(VALU_DEP_1) | instskip(NEXT) | instid1(VALU_DEP_1)
	v_and_b32_e32 v8, 0x7fffffff, v4
	v_cmpx_gt_u32_e32 0x47800000, v8
	s_xor_b32 s3, exec_lo, s3
	s_cbranch_execz .LBB215_2007
; %bb.2002:
	s_mov_b32 s6, exec_lo
                                        ; implicit-def: $vgpr5
	v_cmpx_lt_u32_e32 0x387fffff, v8
	s_xor_b32 s6, exec_lo, s6
; %bb.2003:
	v_bfe_u32 v5, v4, 21, 1
	s_delay_alu instid0(VALU_DEP_1) | instskip(NEXT) | instid1(VALU_DEP_1)
	v_add3_u32 v5, v4, v5, 0x80fffff
	v_lshrrev_b32_e32 v5, 21, v5
; %bb.2004:
	s_and_not1_saveexec_b32 s6, s6
; %bb.2005:
	v_add_f32_e64 v5, 0x43000000, |v4|
; %bb.2006:
	s_or_b32 exec_lo, exec_lo, s6
                                        ; implicit-def: $vgpr8
.LBB215_2007:
	s_and_not1_saveexec_b32 s3, s3
; %bb.2008:
	v_mov_b32_e32 v5, 0x7f
	v_cmp_lt_u32_e32 vcc_lo, 0x7f800000, v8
	s_delay_alu instid0(VALU_DEP_2)
	v_cndmask_b32_e32 v5, 0x7c, v5, vcc_lo
; %bb.2009:
	s_or_b32 exec_lo, exec_lo, s3
	v_lshrrev_b32_e32 v4, 24, v4
	s_delay_alu instid0(VALU_DEP_1)
	v_and_or_b32 v4, 0x80, v4, v5
	global_store_b8 v[2:3], v4, off
.LBB215_2010:
	s_mov_b32 s3, 0
	s_mov_b32 s6, -1
.LBB215_2011:
	s_and_not1_b32 vcc_lo, exec_lo, s3
	s_mov_b32 s3, 0
	s_cbranch_vccnz .LBB215_2018
; %bb.2012:
	s_cmp_gt_i32 s2, 14
	s_mov_b32 s3, -1
	s_cbranch_scc0 .LBB215_2016
; %bb.2013:
	s_cmp_eq_u32 s2, 15
	s_mov_b32 s0, -1
	s_cbranch_scc0 .LBB215_2015
; %bb.2014:
	s_wait_xcnt 0x0
	v_cvt_f32_f64_e32 v4, v[6:7]
	s_mov_b32 s0, 0
	s_mov_b32 s6, -1
	s_delay_alu instid0(VALU_DEP_1) | instskip(SKIP_1) | instid1(VALU_DEP_2)
	v_bfe_u32 v5, v4, 16, 1
	v_cmp_o_f32_e32 vcc_lo, v4, v4
	v_add3_u32 v5, v4, v5, 0x7fff
	s_delay_alu instid0(VALU_DEP_1) | instskip(NEXT) | instid1(VALU_DEP_1)
	v_lshrrev_b32_e32 v5, 16, v5
	v_cndmask_b32_e32 v4, 0x7fc0, v5, vcc_lo
	global_store_b16 v[2:3], v4, off
.LBB215_2015:
	s_mov_b32 s3, 0
.LBB215_2016:
	s_delay_alu instid0(SALU_CYCLE_1)
	s_and_b32 vcc_lo, exec_lo, s3
	s_mov_b32 s3, 0
	s_cbranch_vccz .LBB215_2018
; %bb.2017:
	s_cmp_lg_u32 s2, 11
	s_mov_b32 s3, -1
	s_cselect_b32 s0, -1, 0
.LBB215_2018:
	s_delay_alu instid0(SALU_CYCLE_1)
	s_and_b32 vcc_lo, exec_lo, s0
	s_cbranch_vccnz .LBB215_2268
; %bb.2019:
	s_and_not1_b32 vcc_lo, exec_lo, s3
	s_cbranch_vccnz .LBB215_2021
.LBB215_2020:
	v_cmp_neq_f64_e32 vcc_lo, 0, v[6:7]
	s_mov_b32 s6, -1
	s_wait_xcnt 0x0
	v_cndmask_b32_e64 v4, 0, 1, vcc_lo
	global_store_b8 v[2:3], v4, off
.LBB215_2021:
	s_mov_b32 s0, 0
	s_branch .LBB215_2023
.LBB215_2022:
	s_mov_b32 s0, -1
	s_mov_b32 s6, 0
.LBB215_2023:
	s_and_b32 vcc_lo, exec_lo, s0
	s_cbranch_vccz .LBB215_2062
; %bb.2024:
	s_cmp_lt_i32 s2, 5
	s_mov_b32 s0, -1
	s_cbranch_scc1 .LBB215_2045
; %bb.2025:
	s_cmp_lt_i32 s2, 8
	s_cbranch_scc1 .LBB215_2035
; %bb.2026:
	s_cmp_lt_i32 s2, 9
	s_cbranch_scc1 .LBB215_2032
; %bb.2027:
	s_cmp_gt_i32 s2, 9
	s_cbranch_scc0 .LBB215_2029
; %bb.2028:
	s_wait_xcnt 0x0
	v_mov_b32_e32 v8, 0
	s_mov_b32 s0, 0
	s_delay_alu instid0(VALU_DEP_1)
	v_mov_b32_e32 v9, v8
	global_store_b128 v[2:3], v[6:9], off
.LBB215_2029:
	s_and_not1_b32 vcc_lo, exec_lo, s0
	s_cbranch_vccnz .LBB215_2031
; %bb.2030:
	s_wait_xcnt 0x0
	v_cvt_f32_f64_e32 v4, v[6:7]
	v_mov_b32_e32 v5, 0
	global_store_b64 v[2:3], v[4:5], off
.LBB215_2031:
	s_mov_b32 s0, 0
.LBB215_2032:
	s_delay_alu instid0(SALU_CYCLE_1)
	s_and_not1_b32 vcc_lo, exec_lo, s0
	s_cbranch_vccnz .LBB215_2034
; %bb.2033:
	s_wait_xcnt 0x0
	v_and_or_b32 v4, 0x1ff, v7, v6
	v_lshrrev_b32_e32 v5, 8, v7
	v_bfe_u32 v8, v7, 20, 11
	s_delay_alu instid0(VALU_DEP_3) | instskip(NEXT) | instid1(VALU_DEP_2)
	v_cmp_ne_u32_e32 vcc_lo, 0, v4
	v_sub_nc_u32_e32 v9, 0x3f1, v8
	v_cndmask_b32_e64 v4, 0, 1, vcc_lo
	s_delay_alu instid0(VALU_DEP_1) | instskip(NEXT) | instid1(VALU_DEP_3)
	v_and_or_b32 v4, 0xffe, v5, v4
	v_med3_i32 v5, v9, 0, 13
	s_delay_alu instid0(VALU_DEP_2) | instskip(NEXT) | instid1(VALU_DEP_1)
	v_or_b32_e32 v9, 0x1000, v4
	v_lshrrev_b32_e32 v13, v5, v9
	s_delay_alu instid0(VALU_DEP_1) | instskip(NEXT) | instid1(VALU_DEP_1)
	v_lshlrev_b32_e32 v5, v5, v13
	v_cmp_ne_u32_e32 vcc_lo, v5, v9
	v_cndmask_b32_e64 v5, 0, 1, vcc_lo
	s_delay_alu instid0(VALU_DEP_1) | instskip(SKIP_1) | instid1(VALU_DEP_1)
	v_or_b32_e32 v5, v13, v5
	v_add_nc_u32_e32 v8, 0xfffffc10, v8
	v_lshl_or_b32 v9, v8, 12, v4
	v_cmp_gt_i32_e32 vcc_lo, 1, v8
	s_delay_alu instid0(VALU_DEP_2) | instskip(NEXT) | instid1(VALU_DEP_1)
	v_cndmask_b32_e32 v5, v9, v5, vcc_lo
	v_dual_lshrrev_b32 v5, 2, v5 :: v_dual_bitop2_b32 v9, 7, v5 bitop3:0x40
	s_delay_alu instid0(VALU_DEP_1) | instskip(SKIP_4) | instid1(VALU_DEP_2)
	v_cmp_lt_i32_e32 vcc_lo, 5, v9
	v_cndmask_b32_e64 v13, 0, 1, vcc_lo
	v_cmp_eq_u32_e32 vcc_lo, 3, v9
	v_cndmask_b32_e64 v9, 0, 1, vcc_lo
	v_cmp_ne_u32_e32 vcc_lo, 0, v4
	v_or_b32_e32 v9, v9, v13
	v_mov_b32_e32 v13, 0x7e00
	s_delay_alu instid0(VALU_DEP_2) | instskip(NEXT) | instid1(VALU_DEP_2)
	v_add_nc_u32_e32 v5, v5, v9
	v_cndmask_b32_e32 v4, 0x7c00, v13, vcc_lo
	v_cmp_gt_i32_e32 vcc_lo, 31, v8
	v_lshrrev_b32_e32 v9, 16, v7
	s_delay_alu instid0(VALU_DEP_4) | instskip(SKIP_1) | instid1(VALU_DEP_2)
	v_cndmask_b32_e32 v5, 0x7c00, v5, vcc_lo
	v_cmp_eq_u32_e32 vcc_lo, 0x40f, v8
	v_cndmask_b32_e32 v4, v5, v4, vcc_lo
	s_delay_alu instid0(VALU_DEP_4) | instskip(NEXT) | instid1(VALU_DEP_1)
	v_and_b32_e32 v5, 0x8000, v9
	v_bitop3_b32 v4, v5, 0xffff, v4 bitop3:0xc8
	global_store_b32 v[2:3], v4, off
.LBB215_2034:
	s_mov_b32 s0, 0
.LBB215_2035:
	s_delay_alu instid0(SALU_CYCLE_1)
	s_and_not1_b32 vcc_lo, exec_lo, s0
	s_cbranch_vccnz .LBB215_2044
; %bb.2036:
	s_cmp_lt_i32 s2, 6
	s_mov_b32 s0, -1
	s_cbranch_scc1 .LBB215_2042
; %bb.2037:
	s_cmp_gt_i32 s2, 6
	s_cbranch_scc0 .LBB215_2039
; %bb.2038:
	s_mov_b32 s0, 0
	global_store_b64 v[2:3], v[6:7], off
.LBB215_2039:
	s_and_not1_b32 vcc_lo, exec_lo, s0
	s_cbranch_vccnz .LBB215_2041
; %bb.2040:
	s_wait_xcnt 0x0
	v_cvt_f32_f64_e32 v4, v[6:7]
	global_store_b32 v[2:3], v4, off
.LBB215_2041:
	s_mov_b32 s0, 0
.LBB215_2042:
	s_delay_alu instid0(SALU_CYCLE_1)
	s_and_not1_b32 vcc_lo, exec_lo, s0
	s_cbranch_vccnz .LBB215_2044
; %bb.2043:
	s_wait_xcnt 0x0
	v_and_or_b32 v4, 0x1ff, v7, v6
	v_lshrrev_b32_e32 v5, 8, v7
	v_bfe_u32 v8, v7, 20, 11
	s_delay_alu instid0(VALU_DEP_3) | instskip(NEXT) | instid1(VALU_DEP_2)
	v_cmp_ne_u32_e32 vcc_lo, 0, v4
	v_sub_nc_u32_e32 v9, 0x3f1, v8
	v_cndmask_b32_e64 v4, 0, 1, vcc_lo
	s_delay_alu instid0(VALU_DEP_1) | instskip(NEXT) | instid1(VALU_DEP_3)
	v_and_or_b32 v4, 0xffe, v5, v4
	v_med3_i32 v5, v9, 0, 13
	s_delay_alu instid0(VALU_DEP_2) | instskip(NEXT) | instid1(VALU_DEP_1)
	v_or_b32_e32 v9, 0x1000, v4
	v_lshrrev_b32_e32 v13, v5, v9
	s_delay_alu instid0(VALU_DEP_1) | instskip(NEXT) | instid1(VALU_DEP_1)
	v_lshlrev_b32_e32 v5, v5, v13
	v_cmp_ne_u32_e32 vcc_lo, v5, v9
	v_cndmask_b32_e64 v5, 0, 1, vcc_lo
	s_delay_alu instid0(VALU_DEP_1) | instskip(SKIP_1) | instid1(VALU_DEP_1)
	v_or_b32_e32 v5, v13, v5
	v_add_nc_u32_e32 v8, 0xfffffc10, v8
	v_lshl_or_b32 v9, v8, 12, v4
	v_cmp_gt_i32_e32 vcc_lo, 1, v8
	s_delay_alu instid0(VALU_DEP_2) | instskip(NEXT) | instid1(VALU_DEP_1)
	v_cndmask_b32_e32 v5, v9, v5, vcc_lo
	v_dual_lshrrev_b32 v5, 2, v5 :: v_dual_bitop2_b32 v9, 7, v5 bitop3:0x40
	s_delay_alu instid0(VALU_DEP_1) | instskip(SKIP_4) | instid1(VALU_DEP_2)
	v_cmp_lt_i32_e32 vcc_lo, 5, v9
	v_cndmask_b32_e64 v13, 0, 1, vcc_lo
	v_cmp_eq_u32_e32 vcc_lo, 3, v9
	v_cndmask_b32_e64 v9, 0, 1, vcc_lo
	v_cmp_ne_u32_e32 vcc_lo, 0, v4
	v_or_b32_e32 v9, v9, v13
	v_mov_b32_e32 v13, 0x7e00
	s_delay_alu instid0(VALU_DEP_2) | instskip(NEXT) | instid1(VALU_DEP_2)
	v_add_nc_u32_e32 v5, v5, v9
	v_cndmask_b32_e32 v4, 0x7c00, v13, vcc_lo
	v_cmp_gt_i32_e32 vcc_lo, 31, v8
	s_delay_alu instid0(VALU_DEP_3) | instskip(SKIP_1) | instid1(VALU_DEP_2)
	v_cndmask_b32_e32 v5, 0x7c00, v5, vcc_lo
	v_cmp_eq_u32_e32 vcc_lo, 0x40f, v8
	v_dual_cndmask_b32 v4, v5, v4 :: v_dual_lshrrev_b32 v5, 16, v7
	s_delay_alu instid0(VALU_DEP_1)
	v_and_or_b32 v4, 0x8000, v5, v4
	global_store_b16 v[2:3], v4, off
.LBB215_2044:
	s_mov_b32 s0, 0
.LBB215_2045:
	s_delay_alu instid0(SALU_CYCLE_1)
	s_and_not1_b32 vcc_lo, exec_lo, s0
	s_cbranch_vccnz .LBB215_2061
; %bb.2046:
	s_cmp_lt_i32 s2, 2
	s_mov_b32 s0, -1
	s_cbranch_scc1 .LBB215_2056
; %bb.2047:
	s_cmp_lt_i32 s2, 3
	s_cbranch_scc1 .LBB215_2053
; %bb.2048:
	s_cmp_gt_i32 s2, 3
	s_cbranch_scc0 .LBB215_2050
; %bb.2049:
	s_wait_xcnt 0x0
	v_trunc_f64_e32 v[4:5], v[6:7]
	s_mov_b32 s0, 0
	s_delay_alu instid0(VALU_DEP_1) | instskip(NEXT) | instid1(VALU_DEP_1)
	v_ldexp_f64 v[8:9], v[4:5], 0xffffffe0
	v_floor_f64_e32 v[8:9], v[8:9]
	s_delay_alu instid0(VALU_DEP_1) | instskip(SKIP_1) | instid1(VALU_DEP_2)
	v_fmamk_f64 v[4:5], v[8:9], 0xc1f00000, v[4:5]
	v_cvt_i32_f64_e32 v9, v[8:9]
	v_cvt_u32_f64_e32 v8, v[4:5]
	global_store_b64 v[2:3], v[8:9], off
.LBB215_2050:
	s_and_not1_b32 vcc_lo, exec_lo, s0
	s_cbranch_vccnz .LBB215_2052
; %bb.2051:
	s_wait_xcnt 0x0
	v_cvt_i32_f64_e32 v4, v[6:7]
	global_store_b32 v[2:3], v4, off
.LBB215_2052:
	s_mov_b32 s0, 0
.LBB215_2053:
	s_delay_alu instid0(SALU_CYCLE_1)
	s_and_not1_b32 vcc_lo, exec_lo, s0
	s_cbranch_vccnz .LBB215_2055
; %bb.2054:
	s_wait_xcnt 0x0
	v_cvt_i32_f64_e32 v4, v[6:7]
	global_store_b16 v[2:3], v4, off
.LBB215_2055:
	s_mov_b32 s0, 0
.LBB215_2056:
	s_delay_alu instid0(SALU_CYCLE_1)
	s_and_not1_b32 vcc_lo, exec_lo, s0
	s_cbranch_vccnz .LBB215_2061
; %bb.2057:
	s_cmp_gt_i32 s2, 0
	s_mov_b32 s0, -1
	s_cbranch_scc0 .LBB215_2059
; %bb.2058:
	s_wait_xcnt 0x0
	v_cvt_i32_f64_e32 v4, v[6:7]
	s_mov_b32 s0, 0
	global_store_b8 v[2:3], v4, off
.LBB215_2059:
	s_and_not1_b32 vcc_lo, exec_lo, s0
	s_cbranch_vccnz .LBB215_2061
; %bb.2060:
	s_wait_xcnt 0x0
	v_trunc_f64_e32 v[4:5], v[6:7]
	s_delay_alu instid0(VALU_DEP_1) | instskip(NEXT) | instid1(VALU_DEP_1)
	v_ldexp_f64 v[6:7], v[4:5], 0xffffffe0
	v_floor_f64_e32 v[6:7], v[6:7]
	s_delay_alu instid0(VALU_DEP_1) | instskip(NEXT) | instid1(VALU_DEP_1)
	v_fmamk_f64 v[4:5], v[6:7], 0xc1f00000, v[4:5]
	v_cvt_u32_f64_e32 v4, v[4:5]
	global_store_b8 v[2:3], v4, off
.LBB215_2061:
	s_mov_b32 s6, -1
.LBB215_2062:
	s_delay_alu instid0(SALU_CYCLE_1)
	s_and_not1_b32 vcc_lo, exec_lo, s6
	s_cbranch_vccnz .LBB215_2258
; %bb.2063:
	v_mov_b32_e32 v13, 0
	s_cmp_lt_i32 s2, 11
	s_wait_xcnt 0x0
	s_delay_alu instid0(VALU_DEP_1)
	v_add_nc_u64_e32 v[2:3], s[4:5], v[12:13]
	s_cbranch_scc1 .LBB215_2141
; %bb.2064:
	s_mov_b32 s7, -1
	s_mov_b32 s3, 0
	s_cmp_gt_i32 s2, 25
	s_mov_b32 s6, 0
	s_mov_b32 s0, 0
	s_cbranch_scc0 .LBB215_2097
; %bb.2065:
	s_cmp_gt_i32 s2, 28
	s_cbranch_scc0 .LBB215_2080
; %bb.2066:
	s_cmp_gt_i32 s2, 43
	;; [unrolled: 3-line block ×3, first 2 shown]
	s_cbranch_scc0 .LBB215_2070
; %bb.2068:
	s_mov_b32 s0, -1
	s_mov_b32 s7, 0
	s_cmp_eq_u32 s2, 46
	s_cbranch_scc0 .LBB215_2070
; %bb.2069:
	v_cvt_f32_f64_e32 v4, v[10:11]
	s_mov_b32 s0, 0
	s_mov_b32 s6, -1
	s_delay_alu instid0(VALU_DEP_1) | instskip(SKIP_1) | instid1(VALU_DEP_2)
	v_bfe_u32 v5, v4, 16, 1
	v_cmp_o_f32_e32 vcc_lo, v4, v4
	v_add3_u32 v5, v4, v5, 0x7fff
	s_delay_alu instid0(VALU_DEP_1) | instskip(NEXT) | instid1(VALU_DEP_1)
	v_lshrrev_b32_e32 v5, 16, v5
	v_cndmask_b32_e32 v4, 0x7fc0, v5, vcc_lo
	global_store_b32 v[2:3], v4, off
.LBB215_2070:
	s_and_b32 vcc_lo, exec_lo, s7
	s_cbranch_vccz .LBB215_2075
; %bb.2071:
	s_cmp_eq_u32 s2, 44
	s_mov_b32 s0, -1
	s_cbranch_scc0 .LBB215_2075
; %bb.2072:
	s_wait_xcnt 0x0
	v_cvt_f32_f64_e32 v4, v[10:11]
	v_mov_b32_e32 v5, 0xff
	s_mov_b32 s6, exec_lo
	s_delay_alu instid0(VALU_DEP_2) | instskip(NEXT) | instid1(VALU_DEP_1)
	v_bfe_u32 v6, v4, 23, 8
	v_cmpx_ne_u32_e32 0xff, v6
	s_cbranch_execz .LBB215_2074
; %bb.2073:
	v_and_b32_e32 v5, 0x400000, v4
	v_and_or_b32 v6, 0x3fffff, v4, v6
	v_lshrrev_b32_e32 v4, 23, v4
	s_delay_alu instid0(VALU_DEP_3) | instskip(NEXT) | instid1(VALU_DEP_3)
	v_cmp_ne_u32_e32 vcc_lo, 0, v5
	v_cmp_ne_u32_e64 s0, 0, v6
	s_and_b32 s0, vcc_lo, s0
	s_delay_alu instid0(SALU_CYCLE_1) | instskip(NEXT) | instid1(VALU_DEP_1)
	v_cndmask_b32_e64 v5, 0, 1, s0
	v_add_nc_u32_e32 v5, v4, v5
.LBB215_2074:
	s_or_b32 exec_lo, exec_lo, s6
	s_mov_b32 s0, 0
	s_mov_b32 s6, -1
	global_store_b8 v[2:3], v5, off
.LBB215_2075:
	s_mov_b32 s7, 0
.LBB215_2076:
	s_delay_alu instid0(SALU_CYCLE_1)
	s_and_b32 vcc_lo, exec_lo, s7
	s_cbranch_vccz .LBB215_2079
; %bb.2077:
	s_cmp_eq_u32 s2, 29
	s_mov_b32 s0, -1
	s_cbranch_scc0 .LBB215_2079
; %bb.2078:
	s_wait_xcnt 0x0
	v_trunc_f64_e32 v[4:5], v[10:11]
	s_mov_b32 s0, 0
	s_mov_b32 s6, -1
	s_delay_alu instid0(VALU_DEP_1) | instskip(NEXT) | instid1(VALU_DEP_1)
	v_ldexp_f64 v[6:7], v[4:5], 0xffffffe0
	v_floor_f64_e32 v[6:7], v[6:7]
	s_delay_alu instid0(VALU_DEP_1) | instskip(SKIP_1) | instid1(VALU_DEP_2)
	v_fmamk_f64 v[4:5], v[6:7], 0xc1f00000, v[4:5]
	v_cvt_u32_f64_e32 v7, v[6:7]
	v_cvt_u32_f64_e32 v6, v[4:5]
	global_store_b64 v[2:3], v[6:7], off
.LBB215_2079:
	s_mov_b32 s7, 0
.LBB215_2080:
	s_delay_alu instid0(SALU_CYCLE_1)
	s_and_b32 vcc_lo, exec_lo, s7
	s_cbranch_vccz .LBB215_2096
; %bb.2081:
	s_cmp_lt_i32 s2, 27
	s_mov_b32 s6, -1
	s_cbranch_scc1 .LBB215_2087
; %bb.2082:
	s_wait_xcnt 0x0
	v_cvt_u32_f64_e32 v4, v[10:11]
	s_cmp_gt_i32 s2, 27
	s_cbranch_scc0 .LBB215_2084
; %bb.2083:
	s_mov_b32 s6, 0
	global_store_b32 v[2:3], v4, off
.LBB215_2084:
	s_and_not1_b32 vcc_lo, exec_lo, s6
	s_cbranch_vccnz .LBB215_2086
; %bb.2085:
	global_store_b16 v[2:3], v4, off
.LBB215_2086:
	s_mov_b32 s6, 0
.LBB215_2087:
	s_delay_alu instid0(SALU_CYCLE_1)
	s_and_not1_b32 vcc_lo, exec_lo, s6
	s_cbranch_vccnz .LBB215_2095
; %bb.2088:
	s_wait_xcnt 0x0
	v_cvt_f32_f64_e32 v4, v[10:11]
	v_mov_b32_e32 v6, 0x80
	s_mov_b32 s6, exec_lo
	s_delay_alu instid0(VALU_DEP_2) | instskip(NEXT) | instid1(VALU_DEP_1)
	v_and_b32_e32 v5, 0x7fffffff, v4
	v_cmpx_gt_u32_e32 0x43800000, v5
	s_cbranch_execz .LBB215_2094
; %bb.2089:
	v_cmp_lt_u32_e32 vcc_lo, 0x3bffffff, v5
	s_mov_b32 s7, 0
                                        ; implicit-def: $vgpr5
	s_and_saveexec_b32 s11, vcc_lo
	s_delay_alu instid0(SALU_CYCLE_1)
	s_xor_b32 s11, exec_lo, s11
	s_cbranch_execz .LBB215_2271
; %bb.2090:
	v_bfe_u32 v5, v4, 20, 1
	s_mov_b32 s7, exec_lo
	s_delay_alu instid0(VALU_DEP_1) | instskip(NEXT) | instid1(VALU_DEP_1)
	v_add3_u32 v5, v4, v5, 0x487ffff
	v_lshrrev_b32_e32 v5, 20, v5
	s_and_not1_saveexec_b32 s11, s11
	s_cbranch_execnz .LBB215_2272
.LBB215_2091:
	s_or_b32 exec_lo, exec_lo, s11
	v_mov_b32_e32 v6, 0
	s_and_saveexec_b32 s11, s7
.LBB215_2092:
	v_lshrrev_b32_e32 v4, 24, v4
	s_delay_alu instid0(VALU_DEP_1)
	v_and_or_b32 v6, 0x80, v4, v5
.LBB215_2093:
	s_or_b32 exec_lo, exec_lo, s11
.LBB215_2094:
	s_delay_alu instid0(SALU_CYCLE_1)
	s_or_b32 exec_lo, exec_lo, s6
	global_store_b8 v[2:3], v6, off
.LBB215_2095:
	s_mov_b32 s6, -1
.LBB215_2096:
	s_mov_b32 s7, 0
.LBB215_2097:
	s_delay_alu instid0(SALU_CYCLE_1)
	s_and_b32 vcc_lo, exec_lo, s7
	s_cbranch_vccz .LBB215_2137
; %bb.2098:
	s_cmp_gt_i32 s2, 22
	s_mov_b32 s3, -1
	s_cbranch_scc0 .LBB215_2130
; %bb.2099:
	s_cmp_lt_i32 s2, 24
	s_cbranch_scc1 .LBB215_2119
; %bb.2100:
	s_cmp_gt_i32 s2, 24
	s_cbranch_scc0 .LBB215_2108
; %bb.2101:
	s_wait_xcnt 0x0
	v_cvt_f32_f64_e32 v4, v[10:11]
	v_mov_b32_e32 v6, 0x80
	s_mov_b32 s3, exec_lo
	s_delay_alu instid0(VALU_DEP_2) | instskip(NEXT) | instid1(VALU_DEP_1)
	v_and_b32_e32 v5, 0x7fffffff, v4
	v_cmpx_gt_u32_e32 0x47800000, v5
	s_cbranch_execz .LBB215_2107
; %bb.2102:
	v_cmp_lt_u32_e32 vcc_lo, 0x37ffffff, v5
	s_mov_b32 s6, 0
                                        ; implicit-def: $vgpr5
	s_and_saveexec_b32 s7, vcc_lo
	s_delay_alu instid0(SALU_CYCLE_1)
	s_xor_b32 s7, exec_lo, s7
	s_cbranch_execz .LBB215_2274
; %bb.2103:
	v_bfe_u32 v5, v4, 21, 1
	s_mov_b32 s6, exec_lo
	s_delay_alu instid0(VALU_DEP_1) | instskip(NEXT) | instid1(VALU_DEP_1)
	v_add3_u32 v5, v4, v5, 0x88fffff
	v_lshrrev_b32_e32 v5, 21, v5
	s_and_not1_saveexec_b32 s7, s7
	s_cbranch_execnz .LBB215_2275
.LBB215_2104:
	s_or_b32 exec_lo, exec_lo, s7
	v_mov_b32_e32 v6, 0
	s_and_saveexec_b32 s7, s6
.LBB215_2105:
	v_lshrrev_b32_e32 v4, 24, v4
	s_delay_alu instid0(VALU_DEP_1)
	v_and_or_b32 v6, 0x80, v4, v5
.LBB215_2106:
	s_or_b32 exec_lo, exec_lo, s7
.LBB215_2107:
	s_delay_alu instid0(SALU_CYCLE_1)
	s_or_b32 exec_lo, exec_lo, s3
	s_mov_b32 s3, 0
	global_store_b8 v[2:3], v6, off
.LBB215_2108:
	s_and_b32 vcc_lo, exec_lo, s3
	s_cbranch_vccz .LBB215_2118
; %bb.2109:
	s_wait_xcnt 0x0
	v_cvt_f32_f64_e32 v4, v[10:11]
	s_mov_b32 s3, exec_lo
                                        ; implicit-def: $vgpr5
	s_delay_alu instid0(VALU_DEP_1) | instskip(NEXT) | instid1(VALU_DEP_1)
	v_and_b32_e32 v6, 0x7fffffff, v4
	v_cmpx_gt_u32_e32 0x43f00000, v6
	s_xor_b32 s3, exec_lo, s3
	s_cbranch_execz .LBB215_2115
; %bb.2110:
	s_mov_b32 s6, exec_lo
                                        ; implicit-def: $vgpr5
	v_cmpx_lt_u32_e32 0x3c7fffff, v6
	s_xor_b32 s6, exec_lo, s6
; %bb.2111:
	v_bfe_u32 v5, v4, 20, 1
	s_delay_alu instid0(VALU_DEP_1) | instskip(NEXT) | instid1(VALU_DEP_1)
	v_add3_u32 v5, v4, v5, 0x407ffff
	v_and_b32_e32 v6, 0xff00000, v5
	v_lshrrev_b32_e32 v5, 20, v5
	s_delay_alu instid0(VALU_DEP_2) | instskip(NEXT) | instid1(VALU_DEP_2)
	v_cmp_ne_u32_e32 vcc_lo, 0x7f00000, v6
	v_cndmask_b32_e32 v5, 0x7e, v5, vcc_lo
; %bb.2112:
	s_and_not1_saveexec_b32 s6, s6
; %bb.2113:
	v_add_f32_e64 v5, 0x46800000, |v4|
; %bb.2114:
	s_or_b32 exec_lo, exec_lo, s6
                                        ; implicit-def: $vgpr6
.LBB215_2115:
	s_and_not1_saveexec_b32 s3, s3
; %bb.2116:
	v_mov_b32_e32 v5, 0x7f
	v_cmp_lt_u32_e32 vcc_lo, 0x7f800000, v6
	s_delay_alu instid0(VALU_DEP_2)
	v_cndmask_b32_e32 v5, 0x7e, v5, vcc_lo
; %bb.2117:
	s_or_b32 exec_lo, exec_lo, s3
	v_lshrrev_b32_e32 v4, 24, v4
	s_delay_alu instid0(VALU_DEP_1)
	v_and_or_b32 v4, 0x80, v4, v5
	global_store_b8 v[2:3], v4, off
.LBB215_2118:
	s_mov_b32 s3, 0
.LBB215_2119:
	s_delay_alu instid0(SALU_CYCLE_1)
	s_and_not1_b32 vcc_lo, exec_lo, s3
	s_cbranch_vccnz .LBB215_2129
; %bb.2120:
	s_wait_xcnt 0x0
	v_cvt_f32_f64_e32 v4, v[10:11]
	s_mov_b32 s3, exec_lo
                                        ; implicit-def: $vgpr5
	s_delay_alu instid0(VALU_DEP_1) | instskip(NEXT) | instid1(VALU_DEP_1)
	v_and_b32_e32 v6, 0x7fffffff, v4
	v_cmpx_gt_u32_e32 0x47800000, v6
	s_xor_b32 s3, exec_lo, s3
	s_cbranch_execz .LBB215_2126
; %bb.2121:
	s_mov_b32 s6, exec_lo
                                        ; implicit-def: $vgpr5
	v_cmpx_lt_u32_e32 0x387fffff, v6
	s_xor_b32 s6, exec_lo, s6
; %bb.2122:
	v_bfe_u32 v5, v4, 21, 1
	s_delay_alu instid0(VALU_DEP_1) | instskip(NEXT) | instid1(VALU_DEP_1)
	v_add3_u32 v5, v4, v5, 0x80fffff
	v_lshrrev_b32_e32 v5, 21, v5
; %bb.2123:
	s_and_not1_saveexec_b32 s6, s6
; %bb.2124:
	v_add_f32_e64 v5, 0x43000000, |v4|
; %bb.2125:
	s_or_b32 exec_lo, exec_lo, s6
                                        ; implicit-def: $vgpr6
.LBB215_2126:
	s_and_not1_saveexec_b32 s3, s3
; %bb.2127:
	v_mov_b32_e32 v5, 0x7f
	v_cmp_lt_u32_e32 vcc_lo, 0x7f800000, v6
	s_delay_alu instid0(VALU_DEP_2)
	v_cndmask_b32_e32 v5, 0x7c, v5, vcc_lo
; %bb.2128:
	s_or_b32 exec_lo, exec_lo, s3
	v_lshrrev_b32_e32 v4, 24, v4
	s_delay_alu instid0(VALU_DEP_1)
	v_and_or_b32 v4, 0x80, v4, v5
	global_store_b8 v[2:3], v4, off
.LBB215_2129:
	s_mov_b32 s3, 0
	s_mov_b32 s6, -1
.LBB215_2130:
	s_and_not1_b32 vcc_lo, exec_lo, s3
	s_mov_b32 s3, 0
	s_cbranch_vccnz .LBB215_2137
; %bb.2131:
	s_cmp_gt_i32 s2, 14
	s_mov_b32 s3, -1
	s_cbranch_scc0 .LBB215_2135
; %bb.2132:
	s_cmp_eq_u32 s2, 15
	s_mov_b32 s0, -1
	s_cbranch_scc0 .LBB215_2134
; %bb.2133:
	s_wait_xcnt 0x0
	v_cvt_f32_f64_e32 v4, v[10:11]
	s_mov_b32 s0, 0
	s_mov_b32 s6, -1
	s_delay_alu instid0(VALU_DEP_1) | instskip(SKIP_1) | instid1(VALU_DEP_2)
	v_bfe_u32 v5, v4, 16, 1
	v_cmp_o_f32_e32 vcc_lo, v4, v4
	v_add3_u32 v5, v4, v5, 0x7fff
	s_delay_alu instid0(VALU_DEP_1) | instskip(NEXT) | instid1(VALU_DEP_1)
	v_lshrrev_b32_e32 v5, 16, v5
	v_cndmask_b32_e32 v4, 0x7fc0, v5, vcc_lo
	global_store_b16 v[2:3], v4, off
.LBB215_2134:
	s_mov_b32 s3, 0
.LBB215_2135:
	s_delay_alu instid0(SALU_CYCLE_1)
	s_and_b32 vcc_lo, exec_lo, s3
	s_mov_b32 s3, 0
	s_cbranch_vccz .LBB215_2137
; %bb.2136:
	s_cmp_lg_u32 s2, 11
	s_mov_b32 s3, -1
	s_cselect_b32 s0, -1, 0
.LBB215_2137:
	s_delay_alu instid0(SALU_CYCLE_1)
	s_and_b32 vcc_lo, exec_lo, s0
	s_cbranch_vccnz .LBB215_2273
; %bb.2138:
	s_and_not1_b32 vcc_lo, exec_lo, s3
	s_cbranch_vccnz .LBB215_2140
.LBB215_2139:
	v_cmp_neq_f64_e32 vcc_lo, 0, v[10:11]
	s_mov_b32 s6, -1
	s_wait_xcnt 0x0
	v_cndmask_b32_e64 v4, 0, 1, vcc_lo
	global_store_b8 v[2:3], v4, off
.LBB215_2140:
	s_mov_b32 s0, 0
	s_branch .LBB215_2142
.LBB215_2141:
	s_mov_b32 s0, -1
	s_mov_b32 s6, 0
.LBB215_2142:
	s_and_b32 vcc_lo, exec_lo, s0
	s_cbranch_vccz .LBB215_2181
; %bb.2143:
	s_cmp_lt_i32 s2, 5
	s_mov_b32 s0, -1
	s_cbranch_scc1 .LBB215_2164
; %bb.2144:
	s_cmp_lt_i32 s2, 8
	s_cbranch_scc1 .LBB215_2154
; %bb.2145:
	s_cmp_lt_i32 s2, 9
	s_cbranch_scc1 .LBB215_2151
; %bb.2146:
	s_cmp_gt_i32 s2, 9
	s_cbranch_scc0 .LBB215_2148
; %bb.2147:
	v_mov_b32_e32 v12, 0
	s_mov_b32 s0, 0
	s_delay_alu instid0(VALU_DEP_1)
	v_mov_b32_e32 v13, v12
	global_store_b128 v[2:3], v[10:13], off
.LBB215_2148:
	s_and_not1_b32 vcc_lo, exec_lo, s0
	s_cbranch_vccnz .LBB215_2150
; %bb.2149:
	s_wait_xcnt 0x0
	v_cvt_f32_f64_e32 v4, v[10:11]
	v_mov_b32_e32 v5, 0
	global_store_b64 v[2:3], v[4:5], off
.LBB215_2150:
	s_mov_b32 s0, 0
.LBB215_2151:
	s_delay_alu instid0(SALU_CYCLE_1)
	s_and_not1_b32 vcc_lo, exec_lo, s0
	s_cbranch_vccnz .LBB215_2153
; %bb.2152:
	s_wait_xcnt 0x0
	v_and_or_b32 v4, 0x1ff, v11, v10
	v_lshrrev_b32_e32 v5, 8, v11
	v_bfe_u32 v6, v11, 20, 11
	s_delay_alu instid0(VALU_DEP_3) | instskip(NEXT) | instid1(VALU_DEP_2)
	v_cmp_ne_u32_e32 vcc_lo, 0, v4
	v_sub_nc_u32_e32 v7, 0x3f1, v6
	v_add_nc_u32_e32 v6, 0xfffffc10, v6
	v_cndmask_b32_e64 v4, 0, 1, vcc_lo
	s_delay_alu instid0(VALU_DEP_1) | instskip(NEXT) | instid1(VALU_DEP_4)
	v_and_or_b32 v4, 0xffe, v5, v4
	v_med3_i32 v5, v7, 0, 13
	s_delay_alu instid0(VALU_DEP_2) | instskip(NEXT) | instid1(VALU_DEP_1)
	v_or_b32_e32 v7, 0x1000, v4
	v_lshrrev_b32_e32 v8, v5, v7
	s_delay_alu instid0(VALU_DEP_1) | instskip(NEXT) | instid1(VALU_DEP_1)
	v_lshlrev_b32_e32 v5, v5, v8
	v_cmp_ne_u32_e32 vcc_lo, v5, v7
	v_lshl_or_b32 v7, v6, 12, v4
	v_cndmask_b32_e64 v5, 0, 1, vcc_lo
	v_cmp_gt_i32_e32 vcc_lo, 1, v6
	s_delay_alu instid0(VALU_DEP_2) | instskip(NEXT) | instid1(VALU_DEP_1)
	v_or_b32_e32 v5, v8, v5
	v_cndmask_b32_e32 v5, v7, v5, vcc_lo
	s_delay_alu instid0(VALU_DEP_1) | instskip(NEXT) | instid1(VALU_DEP_1)
	v_dual_lshrrev_b32 v5, 2, v5 :: v_dual_bitop2_b32 v7, 7, v5 bitop3:0x40
	v_cmp_lt_i32_e32 vcc_lo, 5, v7
	v_cndmask_b32_e64 v8, 0, 1, vcc_lo
	v_cmp_eq_u32_e32 vcc_lo, 3, v7
	v_cndmask_b32_e64 v7, 0, 1, vcc_lo
	v_cmp_ne_u32_e32 vcc_lo, 0, v4
	s_delay_alu instid0(VALU_DEP_2) | instskip(NEXT) | instid1(VALU_DEP_1)
	v_or_b32_e32 v7, v7, v8
	v_dual_mov_b32 v8, 0x7e00 :: v_dual_add_nc_u32 v5, v5, v7
	s_delay_alu instid0(VALU_DEP_1) | instskip(SKIP_2) | instid1(VALU_DEP_4)
	v_cndmask_b32_e32 v4, 0x7c00, v8, vcc_lo
	v_cmp_gt_i32_e32 vcc_lo, 31, v6
	v_lshrrev_b32_e32 v7, 16, v11
	v_cndmask_b32_e32 v5, 0x7c00, v5, vcc_lo
	v_cmp_eq_u32_e32 vcc_lo, 0x40f, v6
	s_delay_alu instid0(VALU_DEP_2) | instskip(NEXT) | instid1(VALU_DEP_4)
	v_cndmask_b32_e32 v4, v5, v4, vcc_lo
	v_and_b32_e32 v5, 0x8000, v7
	s_delay_alu instid0(VALU_DEP_1)
	v_bitop3_b32 v4, v5, 0xffff, v4 bitop3:0xc8
	global_store_b32 v[2:3], v4, off
.LBB215_2153:
	s_mov_b32 s0, 0
.LBB215_2154:
	s_delay_alu instid0(SALU_CYCLE_1)
	s_and_not1_b32 vcc_lo, exec_lo, s0
	s_cbranch_vccnz .LBB215_2163
; %bb.2155:
	s_cmp_lt_i32 s2, 6
	s_mov_b32 s0, -1
	s_cbranch_scc1 .LBB215_2161
; %bb.2156:
	s_cmp_gt_i32 s2, 6
	s_cbranch_scc0 .LBB215_2158
; %bb.2157:
	s_mov_b32 s0, 0
	global_store_b64 v[2:3], v[10:11], off
.LBB215_2158:
	s_and_not1_b32 vcc_lo, exec_lo, s0
	s_cbranch_vccnz .LBB215_2160
; %bb.2159:
	s_wait_xcnt 0x0
	v_cvt_f32_f64_e32 v4, v[10:11]
	global_store_b32 v[2:3], v4, off
.LBB215_2160:
	s_mov_b32 s0, 0
.LBB215_2161:
	s_delay_alu instid0(SALU_CYCLE_1)
	s_and_not1_b32 vcc_lo, exec_lo, s0
	s_cbranch_vccnz .LBB215_2163
; %bb.2162:
	s_wait_xcnt 0x0
	v_and_or_b32 v4, 0x1ff, v11, v10
	v_lshrrev_b32_e32 v5, 8, v11
	v_bfe_u32 v6, v11, 20, 11
	s_delay_alu instid0(VALU_DEP_3) | instskip(NEXT) | instid1(VALU_DEP_2)
	v_cmp_ne_u32_e32 vcc_lo, 0, v4
	v_sub_nc_u32_e32 v7, 0x3f1, v6
	v_add_nc_u32_e32 v6, 0xfffffc10, v6
	v_cndmask_b32_e64 v4, 0, 1, vcc_lo
	s_delay_alu instid0(VALU_DEP_1) | instskip(NEXT) | instid1(VALU_DEP_4)
	v_and_or_b32 v4, 0xffe, v5, v4
	v_med3_i32 v5, v7, 0, 13
	s_delay_alu instid0(VALU_DEP_2) | instskip(NEXT) | instid1(VALU_DEP_1)
	v_or_b32_e32 v7, 0x1000, v4
	v_lshrrev_b32_e32 v8, v5, v7
	s_delay_alu instid0(VALU_DEP_1) | instskip(NEXT) | instid1(VALU_DEP_1)
	v_lshlrev_b32_e32 v5, v5, v8
	v_cmp_ne_u32_e32 vcc_lo, v5, v7
	v_lshl_or_b32 v7, v6, 12, v4
	v_cndmask_b32_e64 v5, 0, 1, vcc_lo
	v_cmp_gt_i32_e32 vcc_lo, 1, v6
	s_delay_alu instid0(VALU_DEP_2) | instskip(NEXT) | instid1(VALU_DEP_1)
	v_or_b32_e32 v5, v8, v5
	v_cndmask_b32_e32 v5, v7, v5, vcc_lo
	s_delay_alu instid0(VALU_DEP_1) | instskip(NEXT) | instid1(VALU_DEP_1)
	v_dual_lshrrev_b32 v5, 2, v5 :: v_dual_bitop2_b32 v7, 7, v5 bitop3:0x40
	v_cmp_lt_i32_e32 vcc_lo, 5, v7
	v_cndmask_b32_e64 v8, 0, 1, vcc_lo
	v_cmp_eq_u32_e32 vcc_lo, 3, v7
	v_cndmask_b32_e64 v7, 0, 1, vcc_lo
	v_cmp_ne_u32_e32 vcc_lo, 0, v4
	s_delay_alu instid0(VALU_DEP_2) | instskip(NEXT) | instid1(VALU_DEP_1)
	v_or_b32_e32 v7, v7, v8
	v_dual_mov_b32 v8, 0x7e00 :: v_dual_add_nc_u32 v5, v5, v7
	s_delay_alu instid0(VALU_DEP_1) | instskip(SKIP_1) | instid1(VALU_DEP_3)
	v_cndmask_b32_e32 v4, 0x7c00, v8, vcc_lo
	v_cmp_gt_i32_e32 vcc_lo, 31, v6
	v_cndmask_b32_e32 v5, 0x7c00, v5, vcc_lo
	v_cmp_eq_u32_e32 vcc_lo, 0x40f, v6
	s_delay_alu instid0(VALU_DEP_2) | instskip(NEXT) | instid1(VALU_DEP_1)
	v_dual_cndmask_b32 v4, v5, v4 :: v_dual_lshrrev_b32 v5, 16, v11
	v_and_or_b32 v4, 0x8000, v5, v4
	global_store_b16 v[2:3], v4, off
.LBB215_2163:
	s_mov_b32 s0, 0
.LBB215_2164:
	s_delay_alu instid0(SALU_CYCLE_1)
	s_and_not1_b32 vcc_lo, exec_lo, s0
	s_cbranch_vccnz .LBB215_2180
; %bb.2165:
	s_cmp_lt_i32 s2, 2
	s_mov_b32 s0, -1
	s_cbranch_scc1 .LBB215_2175
; %bb.2166:
	s_cmp_lt_i32 s2, 3
	s_cbranch_scc1 .LBB215_2172
; %bb.2167:
	s_cmp_gt_i32 s2, 3
	s_cbranch_scc0 .LBB215_2169
; %bb.2168:
	s_wait_xcnt 0x0
	v_trunc_f64_e32 v[4:5], v[10:11]
	s_mov_b32 s0, 0
	s_delay_alu instid0(VALU_DEP_1) | instskip(NEXT) | instid1(VALU_DEP_1)
	v_ldexp_f64 v[6:7], v[4:5], 0xffffffe0
	v_floor_f64_e32 v[6:7], v[6:7]
	s_delay_alu instid0(VALU_DEP_1) | instskip(SKIP_1) | instid1(VALU_DEP_2)
	v_fmamk_f64 v[4:5], v[6:7], 0xc1f00000, v[4:5]
	v_cvt_i32_f64_e32 v7, v[6:7]
	v_cvt_u32_f64_e32 v6, v[4:5]
	global_store_b64 v[2:3], v[6:7], off
.LBB215_2169:
	s_and_not1_b32 vcc_lo, exec_lo, s0
	s_cbranch_vccnz .LBB215_2171
; %bb.2170:
	s_wait_xcnt 0x0
	v_cvt_i32_f64_e32 v4, v[10:11]
	global_store_b32 v[2:3], v4, off
.LBB215_2171:
	s_mov_b32 s0, 0
.LBB215_2172:
	s_delay_alu instid0(SALU_CYCLE_1)
	s_and_not1_b32 vcc_lo, exec_lo, s0
	s_cbranch_vccnz .LBB215_2174
; %bb.2173:
	s_wait_xcnt 0x0
	v_cvt_i32_f64_e32 v4, v[10:11]
	global_store_b16 v[2:3], v4, off
.LBB215_2174:
	s_mov_b32 s0, 0
.LBB215_2175:
	s_delay_alu instid0(SALU_CYCLE_1)
	s_and_not1_b32 vcc_lo, exec_lo, s0
	s_cbranch_vccnz .LBB215_2180
; %bb.2176:
	s_cmp_gt_i32 s2, 0
	s_mov_b32 s0, -1
	s_cbranch_scc0 .LBB215_2178
; %bb.2177:
	s_wait_xcnt 0x0
	v_cvt_i32_f64_e32 v4, v[10:11]
	s_mov_b32 s0, 0
	global_store_b8 v[2:3], v4, off
.LBB215_2178:
	s_and_not1_b32 vcc_lo, exec_lo, s0
	s_cbranch_vccnz .LBB215_2180
; %bb.2179:
	s_wait_xcnt 0x0
	v_trunc_f64_e32 v[4:5], v[10:11]
	s_delay_alu instid0(VALU_DEP_1) | instskip(NEXT) | instid1(VALU_DEP_1)
	v_ldexp_f64 v[6:7], v[4:5], 0xffffffe0
	v_floor_f64_e32 v[6:7], v[6:7]
	s_delay_alu instid0(VALU_DEP_1) | instskip(NEXT) | instid1(VALU_DEP_1)
	v_fmamk_f64 v[4:5], v[6:7], 0xc1f00000, v[4:5]
	v_cvt_u32_f64_e32 v4, v[4:5]
	global_store_b8 v[2:3], v4, off
.LBB215_2180:
	s_mov_b32 s6, -1
.LBB215_2181:
	s_delay_alu instid0(SALU_CYCLE_1)
	s_and_not1_b32 vcc_lo, exec_lo, s6
	s_cbranch_vccnz .LBB215_2258
; %bb.2182:
	v_mov_b32_e32 v15, 0
	s_cmp_lt_i32 s2, 11
	s_wait_xcnt 0x0
	s_delay_alu instid0(VALU_DEP_1)
	v_add_nc_u64_e32 v[6:7], s[4:5], v[14:15]
	s_cbranch_scc1 .LBB215_2259
; %bb.2183:
	s_mov_b32 s4, -1
	s_mov_b32 s3, 0
	s_cmp_gt_i32 s2, 25
	s_mov_b32 s0, 0
	s_cbranch_scc0 .LBB215_2216
; %bb.2184:
	s_cmp_gt_i32 s2, 28
	s_cbranch_scc0 .LBB215_2200
; %bb.2185:
	s_cmp_gt_i32 s2, 43
	;; [unrolled: 3-line block ×3, first 2 shown]
	s_cbranch_scc0 .LBB215_2190
; %bb.2187:
	s_cmp_eq_u32 s2, 46
	s_mov_b32 s0, -1
	s_cbranch_scc0 .LBB215_2189
; %bb.2188:
	v_cvt_f32_f64_e32 v2, v[0:1]
	s_mov_b32 s0, 0
	s_delay_alu instid0(VALU_DEP_1) | instskip(SKIP_1) | instid1(VALU_DEP_2)
	v_bfe_u32 v3, v2, 16, 1
	v_cmp_o_f32_e32 vcc_lo, v2, v2
	v_add3_u32 v3, v2, v3, 0x7fff
	s_delay_alu instid0(VALU_DEP_1) | instskip(NEXT) | instid1(VALU_DEP_1)
	v_lshrrev_b32_e32 v3, 16, v3
	v_cndmask_b32_e32 v2, 0x7fc0, v3, vcc_lo
	global_store_b32 v[6:7], v2, off
.LBB215_2189:
	s_mov_b32 s4, 0
.LBB215_2190:
	s_delay_alu instid0(SALU_CYCLE_1)
	s_and_b32 vcc_lo, exec_lo, s4
	s_cbranch_vccz .LBB215_2195
; %bb.2191:
	s_cmp_eq_u32 s2, 44
	s_mov_b32 s0, -1
	s_cbranch_scc0 .LBB215_2195
; %bb.2192:
	s_wait_xcnt 0x0
	v_cvt_f32_f64_e32 v2, v[0:1]
	v_mov_b32_e32 v3, 0xff
	s_mov_b32 s4, exec_lo
	s_delay_alu instid0(VALU_DEP_2) | instskip(NEXT) | instid1(VALU_DEP_1)
	v_bfe_u32 v4, v2, 23, 8
	v_cmpx_ne_u32_e32 0xff, v4
	s_cbranch_execz .LBB215_2194
; %bb.2193:
	v_and_b32_e32 v3, 0x400000, v2
	v_and_or_b32 v4, 0x3fffff, v2, v4
	v_lshrrev_b32_e32 v2, 23, v2
	s_delay_alu instid0(VALU_DEP_3) | instskip(NEXT) | instid1(VALU_DEP_3)
	v_cmp_ne_u32_e32 vcc_lo, 0, v3
	v_cmp_ne_u32_e64 s0, 0, v4
	s_and_b32 s0, vcc_lo, s0
	s_delay_alu instid0(SALU_CYCLE_1) | instskip(NEXT) | instid1(VALU_DEP_1)
	v_cndmask_b32_e64 v3, 0, 1, s0
	v_add_nc_u32_e32 v3, v2, v3
.LBB215_2194:
	s_or_b32 exec_lo, exec_lo, s4
	s_mov_b32 s0, 0
	global_store_b8 v[6:7], v3, off
.LBB215_2195:
	s_mov_b32 s4, 0
.LBB215_2196:
	s_delay_alu instid0(SALU_CYCLE_1)
	s_and_b32 vcc_lo, exec_lo, s4
	s_cbranch_vccz .LBB215_2199
; %bb.2197:
	s_cmp_eq_u32 s2, 29
	s_mov_b32 s0, -1
	s_cbranch_scc0 .LBB215_2199
; %bb.2198:
	s_wait_xcnt 0x0
	v_trunc_f64_e32 v[2:3], v[0:1]
	s_mov_b32 s0, 0
	s_delay_alu instid0(VALU_DEP_1) | instskip(NEXT) | instid1(VALU_DEP_1)
	v_ldexp_f64 v[4:5], v[2:3], 0xffffffe0
	v_floor_f64_e32 v[4:5], v[4:5]
	s_delay_alu instid0(VALU_DEP_1) | instskip(SKIP_1) | instid1(VALU_DEP_2)
	v_fmamk_f64 v[2:3], v[4:5], 0xc1f00000, v[2:3]
	v_cvt_u32_f64_e32 v5, v[4:5]
	v_cvt_u32_f64_e32 v4, v[2:3]
	global_store_b64 v[6:7], v[4:5], off
.LBB215_2199:
	s_mov_b32 s4, 0
.LBB215_2200:
	s_delay_alu instid0(SALU_CYCLE_1)
	s_and_b32 vcc_lo, exec_lo, s4
	s_cbranch_vccz .LBB215_2215
; %bb.2201:
	s_cmp_lt_i32 s2, 27
	s_mov_b32 s4, -1
	s_cbranch_scc1 .LBB215_2207
; %bb.2202:
	s_cmp_gt_i32 s2, 27
	s_cbranch_scc0 .LBB215_2204
; %bb.2203:
	s_wait_xcnt 0x0
	v_cvt_u32_f64_e32 v2, v[0:1]
	s_mov_b32 s4, 0
	global_store_b32 v[6:7], v2, off
.LBB215_2204:
	s_and_not1_b32 vcc_lo, exec_lo, s4
	s_cbranch_vccnz .LBB215_2206
; %bb.2205:
	s_wait_xcnt 0x0
	v_cvt_u32_f64_e32 v2, v[0:1]
	global_store_b16 v[6:7], v2, off
.LBB215_2206:
	s_mov_b32 s4, 0
.LBB215_2207:
	s_delay_alu instid0(SALU_CYCLE_1)
	s_and_not1_b32 vcc_lo, exec_lo, s4
	s_cbranch_vccnz .LBB215_2215
; %bb.2208:
	s_wait_xcnt 0x0
	v_cvt_f32_f64_e32 v2, v[0:1]
	v_mov_b32_e32 v4, 0x80
	s_mov_b32 s4, exec_lo
	s_delay_alu instid0(VALU_DEP_2) | instskip(NEXT) | instid1(VALU_DEP_1)
	v_and_b32_e32 v3, 0x7fffffff, v2
	v_cmpx_gt_u32_e32 0x43800000, v3
	s_cbranch_execz .LBB215_2214
; %bb.2209:
	v_cmp_lt_u32_e32 vcc_lo, 0x3bffffff, v3
	s_mov_b32 s5, 0
                                        ; implicit-def: $vgpr3
	s_and_saveexec_b32 s6, vcc_lo
	s_delay_alu instid0(SALU_CYCLE_1)
	s_xor_b32 s6, exec_lo, s6
	s_cbranch_execz .LBB215_2276
; %bb.2210:
	v_bfe_u32 v3, v2, 20, 1
	s_mov_b32 s5, exec_lo
	s_delay_alu instid0(VALU_DEP_1) | instskip(NEXT) | instid1(VALU_DEP_1)
	v_add3_u32 v3, v2, v3, 0x487ffff
	v_lshrrev_b32_e32 v3, 20, v3
	s_and_not1_saveexec_b32 s6, s6
	s_cbranch_execnz .LBB215_2277
.LBB215_2211:
	s_or_b32 exec_lo, exec_lo, s6
	v_mov_b32_e32 v4, 0
	s_and_saveexec_b32 s6, s5
.LBB215_2212:
	v_lshrrev_b32_e32 v2, 24, v2
	s_delay_alu instid0(VALU_DEP_1)
	v_and_or_b32 v4, 0x80, v2, v3
.LBB215_2213:
	s_or_b32 exec_lo, exec_lo, s6
.LBB215_2214:
	s_delay_alu instid0(SALU_CYCLE_1)
	s_or_b32 exec_lo, exec_lo, s4
	global_store_b8 v[6:7], v4, off
.LBB215_2215:
	s_mov_b32 s4, 0
.LBB215_2216:
	s_delay_alu instid0(SALU_CYCLE_1)
	s_and_b32 vcc_lo, exec_lo, s4
	s_cbranch_vccz .LBB215_2256
; %bb.2217:
	s_cmp_gt_i32 s2, 22
	s_mov_b32 s3, -1
	s_cbranch_scc0 .LBB215_2249
; %bb.2218:
	s_cmp_lt_i32 s2, 24
	s_cbranch_scc1 .LBB215_2238
; %bb.2219:
	s_cmp_gt_i32 s2, 24
	s_cbranch_scc0 .LBB215_2227
; %bb.2220:
	s_wait_xcnt 0x0
	v_cvt_f32_f64_e32 v2, v[0:1]
	v_mov_b32_e32 v4, 0x80
	s_mov_b32 s3, exec_lo
	s_delay_alu instid0(VALU_DEP_2) | instskip(NEXT) | instid1(VALU_DEP_1)
	v_and_b32_e32 v3, 0x7fffffff, v2
	v_cmpx_gt_u32_e32 0x47800000, v3
	s_cbranch_execz .LBB215_2226
; %bb.2221:
	v_cmp_lt_u32_e32 vcc_lo, 0x37ffffff, v3
	s_mov_b32 s4, 0
                                        ; implicit-def: $vgpr3
	s_and_saveexec_b32 s5, vcc_lo
	s_delay_alu instid0(SALU_CYCLE_1)
	s_xor_b32 s5, exec_lo, s5
	s_cbranch_execz .LBB215_2279
; %bb.2222:
	v_bfe_u32 v3, v2, 21, 1
	s_mov_b32 s4, exec_lo
	s_delay_alu instid0(VALU_DEP_1) | instskip(NEXT) | instid1(VALU_DEP_1)
	v_add3_u32 v3, v2, v3, 0x88fffff
	v_lshrrev_b32_e32 v3, 21, v3
	s_and_not1_saveexec_b32 s5, s5
	s_cbranch_execnz .LBB215_2280
.LBB215_2223:
	s_or_b32 exec_lo, exec_lo, s5
	v_mov_b32_e32 v4, 0
	s_and_saveexec_b32 s5, s4
.LBB215_2224:
	v_lshrrev_b32_e32 v2, 24, v2
	s_delay_alu instid0(VALU_DEP_1)
	v_and_or_b32 v4, 0x80, v2, v3
.LBB215_2225:
	s_or_b32 exec_lo, exec_lo, s5
.LBB215_2226:
	s_delay_alu instid0(SALU_CYCLE_1)
	s_or_b32 exec_lo, exec_lo, s3
	s_mov_b32 s3, 0
	global_store_b8 v[6:7], v4, off
.LBB215_2227:
	s_and_b32 vcc_lo, exec_lo, s3
	s_cbranch_vccz .LBB215_2237
; %bb.2228:
	s_wait_xcnt 0x0
	v_cvt_f32_f64_e32 v2, v[0:1]
	s_mov_b32 s3, exec_lo
                                        ; implicit-def: $vgpr3
	s_delay_alu instid0(VALU_DEP_1) | instskip(NEXT) | instid1(VALU_DEP_1)
	v_and_b32_e32 v4, 0x7fffffff, v2
	v_cmpx_gt_u32_e32 0x43f00000, v4
	s_xor_b32 s3, exec_lo, s3
	s_cbranch_execz .LBB215_2234
; %bb.2229:
	s_mov_b32 s4, exec_lo
                                        ; implicit-def: $vgpr3
	v_cmpx_lt_u32_e32 0x3c7fffff, v4
	s_xor_b32 s4, exec_lo, s4
; %bb.2230:
	v_bfe_u32 v3, v2, 20, 1
	s_delay_alu instid0(VALU_DEP_1) | instskip(NEXT) | instid1(VALU_DEP_1)
	v_add3_u32 v3, v2, v3, 0x407ffff
	v_and_b32_e32 v4, 0xff00000, v3
	v_lshrrev_b32_e32 v3, 20, v3
	s_delay_alu instid0(VALU_DEP_2) | instskip(NEXT) | instid1(VALU_DEP_2)
	v_cmp_ne_u32_e32 vcc_lo, 0x7f00000, v4
	v_cndmask_b32_e32 v3, 0x7e, v3, vcc_lo
; %bb.2231:
	s_and_not1_saveexec_b32 s4, s4
; %bb.2232:
	v_add_f32_e64 v3, 0x46800000, |v2|
; %bb.2233:
	s_or_b32 exec_lo, exec_lo, s4
                                        ; implicit-def: $vgpr4
.LBB215_2234:
	s_and_not1_saveexec_b32 s3, s3
; %bb.2235:
	v_mov_b32_e32 v3, 0x7f
	v_cmp_lt_u32_e32 vcc_lo, 0x7f800000, v4
	s_delay_alu instid0(VALU_DEP_2)
	v_cndmask_b32_e32 v3, 0x7e, v3, vcc_lo
; %bb.2236:
	s_or_b32 exec_lo, exec_lo, s3
	v_lshrrev_b32_e32 v2, 24, v2
	s_delay_alu instid0(VALU_DEP_1)
	v_and_or_b32 v2, 0x80, v2, v3
	global_store_b8 v[6:7], v2, off
.LBB215_2237:
	s_mov_b32 s3, 0
.LBB215_2238:
	s_delay_alu instid0(SALU_CYCLE_1)
	s_and_not1_b32 vcc_lo, exec_lo, s3
	s_cbranch_vccnz .LBB215_2248
; %bb.2239:
	s_wait_xcnt 0x0
	v_cvt_f32_f64_e32 v2, v[0:1]
	s_mov_b32 s3, exec_lo
                                        ; implicit-def: $vgpr3
	s_delay_alu instid0(VALU_DEP_1) | instskip(NEXT) | instid1(VALU_DEP_1)
	v_and_b32_e32 v4, 0x7fffffff, v2
	v_cmpx_gt_u32_e32 0x47800000, v4
	s_xor_b32 s3, exec_lo, s3
	s_cbranch_execz .LBB215_2245
; %bb.2240:
	s_mov_b32 s4, exec_lo
                                        ; implicit-def: $vgpr3
	v_cmpx_lt_u32_e32 0x387fffff, v4
	s_xor_b32 s4, exec_lo, s4
; %bb.2241:
	v_bfe_u32 v3, v2, 21, 1
	s_delay_alu instid0(VALU_DEP_1) | instskip(NEXT) | instid1(VALU_DEP_1)
	v_add3_u32 v3, v2, v3, 0x80fffff
	v_lshrrev_b32_e32 v3, 21, v3
; %bb.2242:
	s_and_not1_saveexec_b32 s4, s4
; %bb.2243:
	v_add_f32_e64 v3, 0x43000000, |v2|
; %bb.2244:
	s_or_b32 exec_lo, exec_lo, s4
                                        ; implicit-def: $vgpr4
.LBB215_2245:
	s_and_not1_saveexec_b32 s3, s3
; %bb.2246:
	v_mov_b32_e32 v3, 0x7f
	v_cmp_lt_u32_e32 vcc_lo, 0x7f800000, v4
	s_delay_alu instid0(VALU_DEP_2)
	v_cndmask_b32_e32 v3, 0x7c, v3, vcc_lo
; %bb.2247:
	s_or_b32 exec_lo, exec_lo, s3
	v_lshrrev_b32_e32 v2, 24, v2
	s_delay_alu instid0(VALU_DEP_1)
	v_and_or_b32 v2, 0x80, v2, v3
	global_store_b8 v[6:7], v2, off
.LBB215_2248:
	s_mov_b32 s3, 0
.LBB215_2249:
	s_delay_alu instid0(SALU_CYCLE_1)
	s_and_not1_b32 vcc_lo, exec_lo, s3
	s_mov_b32 s3, 0
	s_cbranch_vccnz .LBB215_2256
; %bb.2250:
	s_cmp_gt_i32 s2, 14
	s_mov_b32 s3, -1
	s_cbranch_scc0 .LBB215_2254
; %bb.2251:
	s_cmp_eq_u32 s2, 15
	s_mov_b32 s0, -1
	s_cbranch_scc0 .LBB215_2253
; %bb.2252:
	s_wait_xcnt 0x0
	v_cvt_f32_f64_e32 v2, v[0:1]
	s_mov_b32 s0, 0
	s_delay_alu instid0(VALU_DEP_1) | instskip(SKIP_1) | instid1(VALU_DEP_2)
	v_bfe_u32 v3, v2, 16, 1
	v_cmp_o_f32_e32 vcc_lo, v2, v2
	v_add3_u32 v3, v2, v3, 0x7fff
	s_delay_alu instid0(VALU_DEP_1) | instskip(NEXT) | instid1(VALU_DEP_1)
	v_lshrrev_b32_e32 v3, 16, v3
	v_cndmask_b32_e32 v2, 0x7fc0, v3, vcc_lo
	global_store_b16 v[6:7], v2, off
.LBB215_2253:
	s_mov_b32 s3, 0
.LBB215_2254:
	s_delay_alu instid0(SALU_CYCLE_1)
	s_and_b32 vcc_lo, exec_lo, s3
	s_mov_b32 s3, 0
	s_cbranch_vccz .LBB215_2256
; %bb.2255:
	s_cmp_lg_u32 s2, 11
	s_mov_b32 s3, -1
	s_cselect_b32 s0, -1, 0
.LBB215_2256:
	s_delay_alu instid0(SALU_CYCLE_1)
	s_and_b32 vcc_lo, exec_lo, s0
	s_cbranch_vccnz .LBB215_2278
.LBB215_2257:
	s_mov_b32 s0, 0
	s_branch .LBB215_1771
.LBB215_2258:
	s_mov_b32 s0, 0
	s_mov_b32 s3, 0
                                        ; implicit-def: $vgpr6_vgpr7
                                        ; implicit-def: $sgpr1
	s_branch .LBB215_1771
.LBB215_2259:
	s_mov_b32 s3, 0
	s_mov_b32 s0, -1
	s_branch .LBB215_1771
.LBB215_2260:
	s_or_b32 s10, s10, exec_lo
	s_trap 2
	s_cbranch_execz .LBB215_1714
	s_branch .LBB215_1715
.LBB215_2261:
	s_and_not1_saveexec_b32 s11, s11
	s_cbranch_execz .LBB215_1851
.LBB215_2262:
	v_add_f32_e64 v5, 0x46000000, |v4|
	s_and_not1_b32 s7, s7, exec_lo
	s_delay_alu instid0(VALU_DEP_1) | instskip(NEXT) | instid1(VALU_DEP_1)
	v_and_b32_e32 v5, 0xff, v5
	v_cmp_ne_u32_e32 vcc_lo, 0, v5
	s_and_b32 s12, vcc_lo, exec_lo
	s_delay_alu instid0(SALU_CYCLE_1)
	s_or_b32 s7, s7, s12
	s_or_b32 exec_lo, exec_lo, s11
	v_mov_b32_e32 v9, 0
	s_and_saveexec_b32 s11, s7
	s_cbranch_execnz .LBB215_1852
	s_branch .LBB215_1853
.LBB215_2263:
	s_or_b32 s10, s10, exec_lo
	s_trap 2
	s_cbranch_execz .LBB215_1899
	s_branch .LBB215_1900
.LBB215_2264:
	s_and_not1_saveexec_b32 s7, s7
	s_cbranch_execz .LBB215_1864
.LBB215_2265:
	v_add_f32_e64 v5, 0x42800000, |v4|
	s_and_not1_b32 s6, s6, exec_lo
	s_delay_alu instid0(VALU_DEP_1) | instskip(NEXT) | instid1(VALU_DEP_1)
	v_and_b32_e32 v5, 0xff, v5
	v_cmp_ne_u32_e32 vcc_lo, 0, v5
	s_and_b32 s11, vcc_lo, exec_lo
	s_delay_alu instid0(SALU_CYCLE_1)
	s_or_b32 s6, s6, s11
	s_or_b32 exec_lo, exec_lo, s7
	v_mov_b32_e32 v9, 0
	s_and_saveexec_b32 s7, s6
	s_cbranch_execnz .LBB215_1865
	s_branch .LBB215_1866
.LBB215_2266:
	s_and_not1_saveexec_b32 s11, s11
	s_cbranch_execz .LBB215_1972
.LBB215_2267:
	v_add_f32_e64 v5, 0x46000000, |v4|
	s_and_not1_b32 s7, s7, exec_lo
	s_delay_alu instid0(VALU_DEP_1) | instskip(NEXT) | instid1(VALU_DEP_1)
	v_and_b32_e32 v5, 0xff, v5
	v_cmp_ne_u32_e32 vcc_lo, 0, v5
	s_and_b32 s12, vcc_lo, exec_lo
	s_delay_alu instid0(SALU_CYCLE_1)
	s_or_b32 s7, s7, s12
	s_or_b32 exec_lo, exec_lo, s11
	v_mov_b32_e32 v8, 0
	s_and_saveexec_b32 s11, s7
	s_cbranch_execnz .LBB215_1973
	s_branch .LBB215_1974
.LBB215_2268:
	s_or_b32 s10, s10, exec_lo
	s_trap 2
	s_cbranch_execz .LBB215_2020
	s_branch .LBB215_2021
.LBB215_2269:
	s_and_not1_saveexec_b32 s7, s7
	s_cbranch_execz .LBB215_1985
.LBB215_2270:
	v_add_f32_e64 v5, 0x42800000, |v4|
	s_and_not1_b32 s6, s6, exec_lo
	s_delay_alu instid0(VALU_DEP_1) | instskip(NEXT) | instid1(VALU_DEP_1)
	v_and_b32_e32 v5, 0xff, v5
	v_cmp_ne_u32_e32 vcc_lo, 0, v5
	s_and_b32 s11, vcc_lo, exec_lo
	s_delay_alu instid0(SALU_CYCLE_1)
	s_or_b32 s6, s6, s11
	s_or_b32 exec_lo, exec_lo, s7
	v_mov_b32_e32 v8, 0
	s_and_saveexec_b32 s7, s6
	s_cbranch_execnz .LBB215_1986
	s_branch .LBB215_1987
.LBB215_2271:
	s_and_not1_saveexec_b32 s11, s11
	s_cbranch_execz .LBB215_2091
.LBB215_2272:
	v_add_f32_e64 v5, 0x46000000, |v4|
	s_and_not1_b32 s7, s7, exec_lo
	s_delay_alu instid0(VALU_DEP_1) | instskip(NEXT) | instid1(VALU_DEP_1)
	v_and_b32_e32 v5, 0xff, v5
	v_cmp_ne_u32_e32 vcc_lo, 0, v5
	s_and_b32 s12, vcc_lo, exec_lo
	s_delay_alu instid0(SALU_CYCLE_1)
	s_or_b32 s7, s7, s12
	s_or_b32 exec_lo, exec_lo, s11
	v_mov_b32_e32 v6, 0
	s_and_saveexec_b32 s11, s7
	s_cbranch_execnz .LBB215_2092
	s_branch .LBB215_2093
.LBB215_2273:
	s_or_b32 s10, s10, exec_lo
	s_trap 2
	s_cbranch_execz .LBB215_2139
	s_branch .LBB215_2140
.LBB215_2274:
	s_and_not1_saveexec_b32 s7, s7
	s_cbranch_execz .LBB215_2104
.LBB215_2275:
	v_add_f32_e64 v5, 0x42800000, |v4|
	s_and_not1_b32 s6, s6, exec_lo
	s_delay_alu instid0(VALU_DEP_1) | instskip(NEXT) | instid1(VALU_DEP_1)
	v_and_b32_e32 v5, 0xff, v5
	v_cmp_ne_u32_e32 vcc_lo, 0, v5
	s_and_b32 s11, vcc_lo, exec_lo
	s_delay_alu instid0(SALU_CYCLE_1)
	s_or_b32 s6, s6, s11
	s_or_b32 exec_lo, exec_lo, s7
	v_mov_b32_e32 v6, 0
	s_and_saveexec_b32 s7, s6
	s_cbranch_execnz .LBB215_2105
	s_branch .LBB215_2106
.LBB215_2276:
	s_and_not1_saveexec_b32 s6, s6
	s_cbranch_execz .LBB215_2211
.LBB215_2277:
	v_add_f32_e64 v3, 0x46000000, |v2|
	s_and_not1_b32 s5, s5, exec_lo
	s_delay_alu instid0(VALU_DEP_1) | instskip(NEXT) | instid1(VALU_DEP_1)
	v_and_b32_e32 v3, 0xff, v3
	v_cmp_ne_u32_e32 vcc_lo, 0, v3
	s_and_b32 s7, vcc_lo, exec_lo
	s_delay_alu instid0(SALU_CYCLE_1)
	s_or_b32 s5, s5, s7
	s_or_b32 exec_lo, exec_lo, s6
	v_mov_b32_e32 v4, 0
	s_and_saveexec_b32 s6, s5
	s_cbranch_execnz .LBB215_2212
	s_branch .LBB215_2213
.LBB215_2278:
	s_mov_b32 s3, 0
	s_or_b32 s10, s10, exec_lo
	s_trap 2
	s_branch .LBB215_2257
.LBB215_2279:
	s_and_not1_saveexec_b32 s5, s5
	s_cbranch_execz .LBB215_2223
.LBB215_2280:
	v_add_f32_e64 v3, 0x42800000, |v2|
	s_and_not1_b32 s4, s4, exec_lo
	s_delay_alu instid0(VALU_DEP_1) | instskip(NEXT) | instid1(VALU_DEP_1)
	v_and_b32_e32 v3, 0xff, v3
	v_cmp_ne_u32_e32 vcc_lo, 0, v3
	s_and_b32 s6, vcc_lo, exec_lo
	s_delay_alu instid0(SALU_CYCLE_1)
	s_or_b32 s4, s4, s6
	s_or_b32 exec_lo, exec_lo, s5
	v_mov_b32_e32 v4, 0
	s_and_saveexec_b32 s5, s4
	s_cbranch_execnz .LBB215_2224
	s_branch .LBB215_2225
	.section	.rodata,"a",@progbits
	.p2align	6, 0x0
	.amdhsa_kernel _ZN2at6native32elementwise_kernel_manual_unrollILi128ELi4EZNS0_15gpu_kernel_implIZZZNS0_12_GLOBAL__N_119launch_clamp_scalarERNS_18TensorIteratorBaseEN3c106ScalarES7_NS0_6detail11ClampLimitsEENKUlvE_clEvENKUlvE4_clEvEUldE_EEvS5_RKT_EUlibE0_EEviT1_
		.amdhsa_group_segment_fixed_size 0
		.amdhsa_private_segment_fixed_size 0
		.amdhsa_kernarg_size 384
		.amdhsa_user_sgpr_count 2
		.amdhsa_user_sgpr_dispatch_ptr 0
		.amdhsa_user_sgpr_queue_ptr 0
		.amdhsa_user_sgpr_kernarg_segment_ptr 1
		.amdhsa_user_sgpr_dispatch_id 0
		.amdhsa_user_sgpr_kernarg_preload_length 0
		.amdhsa_user_sgpr_kernarg_preload_offset 0
		.amdhsa_user_sgpr_private_segment_size 0
		.amdhsa_wavefront_size32 1
		.amdhsa_uses_dynamic_stack 0
		.amdhsa_enable_private_segment 0
		.amdhsa_system_sgpr_workgroup_id_x 1
		.amdhsa_system_sgpr_workgroup_id_y 0
		.amdhsa_system_sgpr_workgroup_id_z 0
		.amdhsa_system_sgpr_workgroup_info 0
		.amdhsa_system_vgpr_workitem_id 0
		.amdhsa_next_free_vgpr 20
		.amdhsa_next_free_sgpr 72
		.amdhsa_named_barrier_count 0
		.amdhsa_reserve_vcc 1
		.amdhsa_float_round_mode_32 0
		.amdhsa_float_round_mode_16_64 0
		.amdhsa_float_denorm_mode_32 3
		.amdhsa_float_denorm_mode_16_64 3
		.amdhsa_fp16_overflow 0
		.amdhsa_memory_ordered 1
		.amdhsa_forward_progress 1
		.amdhsa_inst_pref_size 255
		.amdhsa_round_robin_scheduling 0
		.amdhsa_exception_fp_ieee_invalid_op 0
		.amdhsa_exception_fp_denorm_src 0
		.amdhsa_exception_fp_ieee_div_zero 0
		.amdhsa_exception_fp_ieee_overflow 0
		.amdhsa_exception_fp_ieee_underflow 0
		.amdhsa_exception_fp_ieee_inexact 0
		.amdhsa_exception_int_div_zero 0
	.end_amdhsa_kernel
	.section	.text._ZN2at6native32elementwise_kernel_manual_unrollILi128ELi4EZNS0_15gpu_kernel_implIZZZNS0_12_GLOBAL__N_119launch_clamp_scalarERNS_18TensorIteratorBaseEN3c106ScalarES7_NS0_6detail11ClampLimitsEENKUlvE_clEvENKUlvE4_clEvEUldE_EEvS5_RKT_EUlibE0_EEviT1_,"axG",@progbits,_ZN2at6native32elementwise_kernel_manual_unrollILi128ELi4EZNS0_15gpu_kernel_implIZZZNS0_12_GLOBAL__N_119launch_clamp_scalarERNS_18TensorIteratorBaseEN3c106ScalarES7_NS0_6detail11ClampLimitsEENKUlvE_clEvENKUlvE4_clEvEUldE_EEvS5_RKT_EUlibE0_EEviT1_,comdat
.Lfunc_end215:
	.size	_ZN2at6native32elementwise_kernel_manual_unrollILi128ELi4EZNS0_15gpu_kernel_implIZZZNS0_12_GLOBAL__N_119launch_clamp_scalarERNS_18TensorIteratorBaseEN3c106ScalarES7_NS0_6detail11ClampLimitsEENKUlvE_clEvENKUlvE4_clEvEUldE_EEvS5_RKT_EUlibE0_EEviT1_, .Lfunc_end215-_ZN2at6native32elementwise_kernel_manual_unrollILi128ELi4EZNS0_15gpu_kernel_implIZZZNS0_12_GLOBAL__N_119launch_clamp_scalarERNS_18TensorIteratorBaseEN3c106ScalarES7_NS0_6detail11ClampLimitsEENKUlvE_clEvENKUlvE4_clEvEUldE_EEvS5_RKT_EUlibE0_EEviT1_
                                        ; -- End function
	.set _ZN2at6native32elementwise_kernel_manual_unrollILi128ELi4EZNS0_15gpu_kernel_implIZZZNS0_12_GLOBAL__N_119launch_clamp_scalarERNS_18TensorIteratorBaseEN3c106ScalarES7_NS0_6detail11ClampLimitsEENKUlvE_clEvENKUlvE4_clEvEUldE_EEvS5_RKT_EUlibE0_EEviT1_.num_vgpr, 20
	.set _ZN2at6native32elementwise_kernel_manual_unrollILi128ELi4EZNS0_15gpu_kernel_implIZZZNS0_12_GLOBAL__N_119launch_clamp_scalarERNS_18TensorIteratorBaseEN3c106ScalarES7_NS0_6detail11ClampLimitsEENKUlvE_clEvENKUlvE4_clEvEUldE_EEvS5_RKT_EUlibE0_EEviT1_.num_agpr, 0
	.set _ZN2at6native32elementwise_kernel_manual_unrollILi128ELi4EZNS0_15gpu_kernel_implIZZZNS0_12_GLOBAL__N_119launch_clamp_scalarERNS_18TensorIteratorBaseEN3c106ScalarES7_NS0_6detail11ClampLimitsEENKUlvE_clEvENKUlvE4_clEvEUldE_EEvS5_RKT_EUlibE0_EEviT1_.numbered_sgpr, 72
	.set _ZN2at6native32elementwise_kernel_manual_unrollILi128ELi4EZNS0_15gpu_kernel_implIZZZNS0_12_GLOBAL__N_119launch_clamp_scalarERNS_18TensorIteratorBaseEN3c106ScalarES7_NS0_6detail11ClampLimitsEENKUlvE_clEvENKUlvE4_clEvEUldE_EEvS5_RKT_EUlibE0_EEviT1_.num_named_barrier, 0
	.set _ZN2at6native32elementwise_kernel_manual_unrollILi128ELi4EZNS0_15gpu_kernel_implIZZZNS0_12_GLOBAL__N_119launch_clamp_scalarERNS_18TensorIteratorBaseEN3c106ScalarES7_NS0_6detail11ClampLimitsEENKUlvE_clEvENKUlvE4_clEvEUldE_EEvS5_RKT_EUlibE0_EEviT1_.private_seg_size, 0
	.set _ZN2at6native32elementwise_kernel_manual_unrollILi128ELi4EZNS0_15gpu_kernel_implIZZZNS0_12_GLOBAL__N_119launch_clamp_scalarERNS_18TensorIteratorBaseEN3c106ScalarES7_NS0_6detail11ClampLimitsEENKUlvE_clEvENKUlvE4_clEvEUldE_EEvS5_RKT_EUlibE0_EEviT1_.uses_vcc, 1
	.set _ZN2at6native32elementwise_kernel_manual_unrollILi128ELi4EZNS0_15gpu_kernel_implIZZZNS0_12_GLOBAL__N_119launch_clamp_scalarERNS_18TensorIteratorBaseEN3c106ScalarES7_NS0_6detail11ClampLimitsEENKUlvE_clEvENKUlvE4_clEvEUldE_EEvS5_RKT_EUlibE0_EEviT1_.uses_flat_scratch, 0
	.set _ZN2at6native32elementwise_kernel_manual_unrollILi128ELi4EZNS0_15gpu_kernel_implIZZZNS0_12_GLOBAL__N_119launch_clamp_scalarERNS_18TensorIteratorBaseEN3c106ScalarES7_NS0_6detail11ClampLimitsEENKUlvE_clEvENKUlvE4_clEvEUldE_EEvS5_RKT_EUlibE0_EEviT1_.has_dyn_sized_stack, 0
	.set _ZN2at6native32elementwise_kernel_manual_unrollILi128ELi4EZNS0_15gpu_kernel_implIZZZNS0_12_GLOBAL__N_119launch_clamp_scalarERNS_18TensorIteratorBaseEN3c106ScalarES7_NS0_6detail11ClampLimitsEENKUlvE_clEvENKUlvE4_clEvEUldE_EEvS5_RKT_EUlibE0_EEviT1_.has_recursion, 0
	.set _ZN2at6native32elementwise_kernel_manual_unrollILi128ELi4EZNS0_15gpu_kernel_implIZZZNS0_12_GLOBAL__N_119launch_clamp_scalarERNS_18TensorIteratorBaseEN3c106ScalarES7_NS0_6detail11ClampLimitsEENKUlvE_clEvENKUlvE4_clEvEUldE_EEvS5_RKT_EUlibE0_EEviT1_.has_indirect_call, 0
	.section	.AMDGPU.csdata,"",@progbits
; Kernel info:
; codeLenInByte = 49156
; TotalNumSgprs: 74
; NumVgprs: 20
; ScratchSize: 0
; MemoryBound: 1
; FloatMode: 240
; IeeeMode: 1
; LDSByteSize: 0 bytes/workgroup (compile time only)
; SGPRBlocks: 0
; VGPRBlocks: 1
; NumSGPRsForWavesPerEU: 74
; NumVGPRsForWavesPerEU: 20
; NamedBarCnt: 0
; Occupancy: 16
; WaveLimiterHint : 1
; COMPUTE_PGM_RSRC2:SCRATCH_EN: 0
; COMPUTE_PGM_RSRC2:USER_SGPR: 2
; COMPUTE_PGM_RSRC2:TRAP_HANDLER: 0
; COMPUTE_PGM_RSRC2:TGID_X_EN: 1
; COMPUTE_PGM_RSRC2:TGID_Y_EN: 0
; COMPUTE_PGM_RSRC2:TGID_Z_EN: 0
; COMPUTE_PGM_RSRC2:TIDIG_COMP_CNT: 0
	.section	.text._ZN2at6native29vectorized_elementwise_kernelILi16EZZZNS0_12_GLOBAL__N_119launch_clamp_scalarERNS_18TensorIteratorBaseEN3c106ScalarES6_NS0_6detail11ClampLimitsEENKUlvE_clEvENKUlvE5_clEvEUlfE_St5arrayIPcLm2EEEEviT0_T1_,"axG",@progbits,_ZN2at6native29vectorized_elementwise_kernelILi16EZZZNS0_12_GLOBAL__N_119launch_clamp_scalarERNS_18TensorIteratorBaseEN3c106ScalarES6_NS0_6detail11ClampLimitsEENKUlvE_clEvENKUlvE5_clEvEUlfE_St5arrayIPcLm2EEEEviT0_T1_,comdat
	.globl	_ZN2at6native29vectorized_elementwise_kernelILi16EZZZNS0_12_GLOBAL__N_119launch_clamp_scalarERNS_18TensorIteratorBaseEN3c106ScalarES6_NS0_6detail11ClampLimitsEENKUlvE_clEvENKUlvE5_clEvEUlfE_St5arrayIPcLm2EEEEviT0_T1_ ; -- Begin function _ZN2at6native29vectorized_elementwise_kernelILi16EZZZNS0_12_GLOBAL__N_119launch_clamp_scalarERNS_18TensorIteratorBaseEN3c106ScalarES6_NS0_6detail11ClampLimitsEENKUlvE_clEvENKUlvE5_clEvEUlfE_St5arrayIPcLm2EEEEviT0_T1_
	.p2align	8
	.type	_ZN2at6native29vectorized_elementwise_kernelILi16EZZZNS0_12_GLOBAL__N_119launch_clamp_scalarERNS_18TensorIteratorBaseEN3c106ScalarES6_NS0_6detail11ClampLimitsEENKUlvE_clEvENKUlvE5_clEvEUlfE_St5arrayIPcLm2EEEEviT0_T1_,@function
_ZN2at6native29vectorized_elementwise_kernelILi16EZZZNS0_12_GLOBAL__N_119launch_clamp_scalarERNS_18TensorIteratorBaseEN3c106ScalarES6_NS0_6detail11ClampLimitsEENKUlvE_clEvENKUlvE5_clEvEUlfE_St5arrayIPcLm2EEEEviT0_T1_: ; @_ZN2at6native29vectorized_elementwise_kernelILi16EZZZNS0_12_GLOBAL__N_119launch_clamp_scalarERNS_18TensorIteratorBaseEN3c106ScalarES6_NS0_6detail11ClampLimitsEENKUlvE_clEvENKUlvE5_clEvEUlfE_St5arrayIPcLm2EEEEviT0_T1_
; %bb.0:
	s_load_b256 s[4:11], s[0:1], 0x0
	s_wait_xcnt 0x0
	s_bfe_u32 s0, ttmp6, 0x4000c
	s_and_b32 s1, ttmp6, 15
	s_add_co_i32 s0, s0, 1
	s_getreg_b32 s2, hwreg(HW_REG_IB_STS2, 6, 4)
	s_mul_i32 s0, ttmp9, s0
	s_delay_alu instid0(SALU_CYCLE_1) | instskip(SKIP_2) | instid1(SALU_CYCLE_1)
	s_add_co_i32 s1, s1, s0
	s_cmp_eq_u32 s2, 0
	s_cselect_b32 s0, ttmp9, s1
	s_lshl_b32 s2, s0, 10
	s_mov_b32 s0, -1
	s_wait_kmcnt 0x0
	s_sub_co_i32 s4, s4, s2
	s_delay_alu instid0(SALU_CYCLE_1)
	s_cmp_gt_i32 s4, 0x3ff
	s_cbranch_scc0 .LBB216_53
; %bb.1:
	s_ashr_i32 s3, s2, 31
	s_delay_alu instid0(SALU_CYCLE_1)
	s_lshl_b64 s[0:1], s[2:3], 2
	s_mov_b32 s3, exec_lo
	s_add_nc_u64 s[12:13], s[10:11], s[0:1]
	global_load_b128 v[2:5], v0, s[12:13] scale_offset
	s_wait_loadcnt 0x0
	v_cmpx_o_f32_e32 v2, v2
	s_cbranch_execz .LBB216_13
; %bb.2:
	s_cmp_lt_i32 s5, 1
	s_mov_b32 s12, 0
	s_cbranch_scc1 .LBB216_5
; %bb.3:
	s_cmp_eq_u32 s5, 1
	s_cbranch_scc0 .LBB216_6
; %bb.4:
	v_max_num_f32_e64 v1, s6, s6
	v_max_num_f32_e32 v6, v2, v2
	s_mov_b32 s13, 0
	s_delay_alu instid0(VALU_DEP_1)
	v_min_num_f32_e32 v1, v6, v1
	s_branch .LBB216_7
.LBB216_5:
	s_mov_b32 s13, 0
                                        ; implicit-def: $vgpr1
	s_cbranch_execnz .LBB216_8
	s_branch .LBB216_9
.LBB216_6:
	s_mov_b32 s13, -1
                                        ; implicit-def: $vgpr1
.LBB216_7:
	s_branch .LBB216_9
.LBB216_8:
	s_cmp_lg_u32 s5, 0
	s_mov_b32 s12, -1
	s_cselect_b32 s13, -1, 0
.LBB216_9:
	v_max_num_f32_e32 v2, v2, v2
	s_and_not1_b32 vcc_lo, exec_lo, s13
	s_cbranch_vccz .LBB216_17
; %bb.10:
	s_and_not1_b32 vcc_lo, exec_lo, s12
	s_cbranch_vccnz .LBB216_12
.LBB216_11:
	v_max_num_f32_e64 v1, s6, s6
	s_delay_alu instid0(VALU_DEP_1)
	v_max_num_f32_e32 v1, v2, v1
.LBB216_12:
	s_delay_alu instid0(VALU_DEP_1)
	v_mov_b32_e32 v2, v1
.LBB216_13:
	s_or_b32 exec_lo, exec_lo, s3
	s_delay_alu instid0(SALU_CYCLE_1)
	s_mov_b32 s3, exec_lo
	v_cmpx_o_f32_e32 v3, v3
	s_cbranch_execz .LBB216_26
; %bb.14:
	s_cmp_lt_i32 s5, 1
	s_mov_b32 s12, 0
	s_cbranch_scc1 .LBB216_18
; %bb.15:
	s_cmp_eq_u32 s5, 1
	s_cbranch_scc0 .LBB216_19
; %bb.16:
	v_max_num_f32_e64 v1, s6, s6
	v_max_num_f32_e32 v6, v3, v3
	s_mov_b32 s13, 0
	s_delay_alu instid0(VALU_DEP_1)
	v_min_num_f32_e32 v1, v6, v1
	s_branch .LBB216_20
.LBB216_17:
	v_max_num_f32_e64 v1, s6, s6
	v_max_num_f32_e64 v6, s7, s7
	s_delay_alu instid0(VALU_DEP_1)
	v_maxmin_num_f32 v1, v2, v1, v6
	s_cbranch_execz .LBB216_11
	s_branch .LBB216_12
.LBB216_18:
	s_mov_b32 s13, 0
                                        ; implicit-def: $vgpr1
	s_cbranch_execnz .LBB216_21
	s_branch .LBB216_22
.LBB216_19:
	s_mov_b32 s13, -1
                                        ; implicit-def: $vgpr1
.LBB216_20:
	s_branch .LBB216_22
.LBB216_21:
	s_cmp_lg_u32 s5, 0
	s_mov_b32 s12, -1
	s_cselect_b32 s13, -1, 0
.LBB216_22:
	v_max_num_f32_e32 v3, v3, v3
	s_and_not1_b32 vcc_lo, exec_lo, s13
	s_cbranch_vccz .LBB216_30
; %bb.23:
	s_and_not1_b32 vcc_lo, exec_lo, s12
	s_cbranch_vccnz .LBB216_25
.LBB216_24:
	v_max_num_f32_e64 v1, s6, s6
	s_delay_alu instid0(VALU_DEP_1)
	v_max_num_f32_e32 v1, v3, v1
.LBB216_25:
	s_delay_alu instid0(VALU_DEP_1)
	v_mov_b32_e32 v3, v1
.LBB216_26:
	s_or_b32 exec_lo, exec_lo, s3
	s_delay_alu instid0(SALU_CYCLE_1)
	s_mov_b32 s3, exec_lo
	v_cmpx_o_f32_e32 v4, v4
	s_cbranch_execz .LBB216_39
; %bb.27:
	s_cmp_lt_i32 s5, 1
	s_mov_b32 s12, 0
	s_cbranch_scc1 .LBB216_31
; %bb.28:
	s_cmp_eq_u32 s5, 1
	s_cbranch_scc0 .LBB216_32
; %bb.29:
	v_max_num_f32_e64 v1, s6, s6
	v_max_num_f32_e32 v6, v4, v4
	s_mov_b32 s13, 0
	s_delay_alu instid0(VALU_DEP_1)
	v_min_num_f32_e32 v1, v6, v1
	s_branch .LBB216_33
.LBB216_30:
	v_max_num_f32_e64 v1, s6, s6
	v_max_num_f32_e64 v6, s7, s7
	s_delay_alu instid0(VALU_DEP_1)
	v_maxmin_num_f32 v1, v3, v1, v6
	s_cbranch_execz .LBB216_24
	s_branch .LBB216_25
.LBB216_31:
	s_mov_b32 s13, 0
                                        ; implicit-def: $vgpr1
	s_cbranch_execnz .LBB216_34
	s_branch .LBB216_35
.LBB216_32:
	s_mov_b32 s13, -1
                                        ; implicit-def: $vgpr1
.LBB216_33:
	s_branch .LBB216_35
.LBB216_34:
	s_cmp_lg_u32 s5, 0
	s_mov_b32 s12, -1
	s_cselect_b32 s13, -1, 0
.LBB216_35:
	v_max_num_f32_e32 v4, v4, v4
	s_and_not1_b32 vcc_lo, exec_lo, s13
	s_cbranch_vccz .LBB216_43
; %bb.36:
	s_and_not1_b32 vcc_lo, exec_lo, s12
	s_cbranch_vccnz .LBB216_38
.LBB216_37:
	v_max_num_f32_e64 v1, s6, s6
	s_delay_alu instid0(VALU_DEP_1)
	v_max_num_f32_e32 v1, v4, v1
.LBB216_38:
	s_delay_alu instid0(VALU_DEP_1)
	v_mov_b32_e32 v4, v1
.LBB216_39:
	s_or_b32 exec_lo, exec_lo, s3
	s_delay_alu instid0(SALU_CYCLE_1)
	s_mov_b32 s3, exec_lo
	v_cmpx_o_f32_e32 v5, v5
	s_cbranch_execz .LBB216_52
; %bb.40:
	s_cmp_lt_i32 s5, 1
	s_mov_b32 s12, 0
	s_cbranch_scc1 .LBB216_44
; %bb.41:
	s_cmp_eq_u32 s5, 1
	s_cbranch_scc0 .LBB216_45
; %bb.42:
	v_max_num_f32_e64 v1, s6, s6
	v_max_num_f32_e32 v6, v5, v5
	s_mov_b32 s13, 0
	s_delay_alu instid0(VALU_DEP_1)
	v_min_num_f32_e32 v1, v6, v1
	s_branch .LBB216_46
.LBB216_43:
	v_max_num_f32_e64 v1, s6, s6
	v_max_num_f32_e64 v6, s7, s7
	s_delay_alu instid0(VALU_DEP_1)
	v_maxmin_num_f32 v1, v4, v1, v6
	s_cbranch_execz .LBB216_37
	s_branch .LBB216_38
.LBB216_44:
	s_mov_b32 s13, 0
                                        ; implicit-def: $vgpr1
	s_cbranch_execnz .LBB216_47
	s_branch .LBB216_48
.LBB216_45:
	s_mov_b32 s13, -1
                                        ; implicit-def: $vgpr1
.LBB216_46:
	s_branch .LBB216_48
.LBB216_47:
	s_cmp_lg_u32 s5, 0
	s_mov_b32 s12, -1
	s_cselect_b32 s13, -1, 0
.LBB216_48:
	v_max_num_f32_e32 v5, v5, v5
	s_and_not1_b32 vcc_lo, exec_lo, s13
	s_cbranch_vccz .LBB216_67
; %bb.49:
	s_and_not1_b32 vcc_lo, exec_lo, s12
	s_cbranch_vccnz .LBB216_51
.LBB216_50:
	v_max_num_f32_e64 v1, s6, s6
	s_delay_alu instid0(VALU_DEP_1)
	v_max_num_f32_e32 v1, v5, v1
.LBB216_51:
	s_delay_alu instid0(VALU_DEP_1)
	v_mov_b32_e32 v5, v1
.LBB216_52:
	s_or_b32 exec_lo, exec_lo, s3
	s_add_nc_u64 s[12:13], s[8:9], s[0:1]
	s_mov_b32 s0, 0
	global_store_b128 v0, v[2:5], s[12:13] scale_offset
.LBB216_53:
	s_and_b32 vcc_lo, exec_lo, s0
	s_cbranch_vccz .LBB216_130
; %bb.54:
	v_cmp_gt_i32_e64 s0, s4, v0
	v_dual_mov_b32 v13, 0 :: v_dual_bitop2_b32 v1, s2, v0 bitop3:0x54
	v_or_b32_e32 v10, 0x100, v0
	s_wait_xcnt 0x0
	v_dual_mov_b32 v6, 0 :: v_dual_mov_b32 v2, v0
	s_and_saveexec_b32 s1, s0
	s_cbranch_execz .LBB216_56
; %bb.55:
	global_load_b32 v6, v1, s[10:11] scale_offset
	v_or_b32_e32 v2, 0x100, v0
.LBB216_56:
	s_wait_xcnt 0x0
	s_or_b32 exec_lo, exec_lo, s1
	s_delay_alu instid0(SALU_CYCLE_1) | instskip(NEXT) | instid1(VALU_DEP_1)
	s_mov_b32 s1, exec_lo
	v_cmpx_gt_i32_e64 s4, v2
	s_cbranch_execz .LBB216_58
; %bb.57:
	v_add_nc_u32_e32 v3, s2, v2
	v_add_nc_u32_e32 v2, 0x100, v2
	global_load_b32 v13, v3, s[10:11] scale_offset
.LBB216_58:
	s_wait_xcnt 0x0
	s_or_b32 exec_lo, exec_lo, s1
	v_dual_mov_b32 v11, 0 :: v_dual_mov_b32 v12, 0
	s_mov_b32 s1, exec_lo
	v_cmpx_gt_i32_e64 s4, v2
	s_cbranch_execz .LBB216_60
; %bb.59:
	v_add_nc_u32_e32 v3, s2, v2
	v_add_nc_u32_e32 v2, 0x100, v2
	global_load_b32 v12, v3, s[10:11] scale_offset
.LBB216_60:
	s_wait_xcnt 0x0
	s_or_b32 exec_lo, exec_lo, s1
	s_delay_alu instid0(SALU_CYCLE_1)
	s_mov_b32 s1, exec_lo
	v_cmpx_gt_i32_e64 s4, v2
	s_cbranch_execz .LBB216_62
; %bb.61:
	v_add_nc_u32_e32 v2, s2, v2
	global_load_b32 v11, v2, s[10:11] scale_offset
.LBB216_62:
	s_wait_xcnt 0x0
	s_or_b32 exec_lo, exec_lo, s1
	v_mov_b32_e32 v2, 0
	s_delay_alu instid0(VALU_DEP_1)
	v_dual_mov_b32 v3, v2 :: v_dual_mov_b32 v4, v2
	v_mov_b32_e32 v5, v2
	s_and_saveexec_b32 s1, s0
	s_cbranch_execz .LBB216_77
; %bb.63:
	s_mov_b32 s3, exec_lo
	s_wait_loadcnt 0x0
	v_cmpx_o_f32_e32 v6, v6
	s_cbranch_execz .LBB216_76
; %bb.64:
	s_cmp_lt_i32 s5, 1
	s_mov_b32 s10, 0
	s_cbranch_scc1 .LBB216_68
; %bb.65:
	s_cmp_eq_u32 s5, 1
	s_cbranch_scc0 .LBB216_69
; %bb.66:
	v_max_num_f32_e64 v2, s6, s6
	v_max_num_f32_e32 v3, v6, v6
	s_mov_b32 s11, 0
	s_delay_alu instid0(VALU_DEP_1)
	v_min_num_f32_e32 v2, v3, v2
	s_branch .LBB216_70
.LBB216_67:
	v_max_num_f32_e64 v1, s6, s6
	v_max_num_f32_e64 v6, s7, s7
	s_delay_alu instid0(VALU_DEP_1)
	v_maxmin_num_f32 v1, v5, v1, v6
	s_cbranch_execz .LBB216_50
	s_branch .LBB216_51
.LBB216_68:
	s_mov_b32 s11, 0
                                        ; implicit-def: $vgpr2
	s_cbranch_execnz .LBB216_71
	s_branch .LBB216_72
.LBB216_69:
	s_mov_b32 s11, -1
                                        ; implicit-def: $vgpr2
.LBB216_70:
	s_branch .LBB216_72
.LBB216_71:
	s_cmp_lg_u32 s5, 0
	s_mov_b32 s10, -1
	s_cselect_b32 s11, -1, 0
.LBB216_72:
	v_max_num_f32_e32 v3, v6, v6
	s_and_not1_b32 vcc_lo, exec_lo, s11
	s_cbranch_vccz .LBB216_82
; %bb.73:
	s_and_not1_b32 vcc_lo, exec_lo, s10
	s_cbranch_vccnz .LBB216_75
.LBB216_74:
	v_max_num_f32_e64 v2, s6, s6
	s_delay_alu instid0(VALU_DEP_1)
	v_max_num_f32_e32 v2, v3, v2
.LBB216_75:
	s_delay_alu instid0(VALU_DEP_1)
	v_mov_b32_e32 v6, v2
.LBB216_76:
	s_or_b32 exec_lo, exec_lo, s3
	v_mov_b32_e32 v7, 0
	s_delay_alu instid0(VALU_DEP_1) | instskip(NEXT) | instid1(VALU_DEP_3)
	v_dual_mov_b32 v8, v7 :: v_dual_mov_b32 v9, v7
	v_mov_b64_e32 v[2:3], v[6:7]
	s_delay_alu instid0(VALU_DEP_2)
	v_mov_b64_e32 v[4:5], v[8:9]
.LBB216_77:
	s_or_b32 exec_lo, exec_lo, s1
	s_delay_alu instid0(SALU_CYCLE_1)
	s_mov_b32 s1, exec_lo
	v_cmpx_gt_i32_e64 s4, v10
	s_cbranch_execz .LBB216_92
; %bb.78:
	s_mov_b32 s3, exec_lo
	s_wait_loadcnt 0x0
	v_cmpx_o_f32_e32 v13, v13
	s_cbranch_execz .LBB216_91
; %bb.79:
	s_cmp_lt_i32 s5, 1
	s_mov_b32 s10, 0
	s_cbranch_scc1 .LBB216_83
; %bb.80:
	s_cmp_eq_u32 s5, 1
	s_cbranch_scc0 .LBB216_84
; %bb.81:
	v_max_num_f32_e64 v3, s6, s6
	v_max_num_f32_e32 v6, v13, v13
	s_mov_b32 s11, 0
	s_delay_alu instid0(VALU_DEP_1)
	v_min_num_f32_e32 v3, v6, v3
	s_branch .LBB216_85
.LBB216_82:
	v_max_num_f32_e64 v2, s6, s6
	v_max_num_f32_e64 v4, s7, s7
	s_delay_alu instid0(VALU_DEP_1)
	v_maxmin_num_f32 v2, v3, v2, v4
	s_cbranch_execz .LBB216_74
	s_branch .LBB216_75
.LBB216_83:
	s_mov_b32 s11, 0
                                        ; implicit-def: $vgpr3
	s_cbranch_execnz .LBB216_86
	s_branch .LBB216_87
.LBB216_84:
	s_mov_b32 s11, -1
                                        ; implicit-def: $vgpr3
.LBB216_85:
	s_branch .LBB216_87
.LBB216_86:
	s_cmp_lg_u32 s5, 0
	s_mov_b32 s10, -1
	s_cselect_b32 s11, -1, 0
.LBB216_87:
	v_max_num_f32_e32 v6, v13, v13
	s_and_not1_b32 vcc_lo, exec_lo, s11
	s_cbranch_vccz .LBB216_97
; %bb.88:
	s_and_not1_b32 vcc_lo, exec_lo, s10
	s_cbranch_vccnz .LBB216_90
.LBB216_89:
	v_max_num_f32_e64 v3, s6, s6
	s_delay_alu instid0(VALU_DEP_1)
	v_max_num_f32_e32 v3, v6, v3
.LBB216_90:
	s_delay_alu instid0(VALU_DEP_1)
	v_mov_b32_e32 v13, v3
.LBB216_91:
	s_or_b32 exec_lo, exec_lo, s3
	s_delay_alu instid0(VALU_DEP_1)
	v_mov_b32_e32 v3, v13
.LBB216_92:
	s_or_b32 exec_lo, exec_lo, s1
	s_wait_loadcnt 0x0
	v_or_b32_e32 v6, 0x200, v0
	s_mov_b32 s1, exec_lo
	s_delay_alu instid0(VALU_DEP_1)
	v_cmpx_gt_i32_e64 s4, v6
	s_cbranch_execz .LBB216_107
; %bb.93:
	s_mov_b32 s3, exec_lo
	v_cmpx_o_f32_e32 v12, v12
	s_cbranch_execz .LBB216_106
; %bb.94:
	s_cmp_lt_i32 s5, 1
	s_mov_b32 s10, 0
	s_cbranch_scc1 .LBB216_98
; %bb.95:
	s_cmp_eq_u32 s5, 1
	s_cbranch_scc0 .LBB216_99
; %bb.96:
	v_max_num_f32_e64 v4, s6, s6
	v_max_num_f32_e32 v6, v12, v12
	s_mov_b32 s11, 0
	s_delay_alu instid0(VALU_DEP_1)
	v_min_num_f32_e32 v4, v6, v4
	s_branch .LBB216_100
.LBB216_97:
	v_max_num_f32_e64 v3, s6, s6
	v_max_num_f32_e64 v7, s7, s7
	s_delay_alu instid0(VALU_DEP_1)
	v_maxmin_num_f32 v3, v6, v3, v7
	s_cbranch_execz .LBB216_89
	s_branch .LBB216_90
.LBB216_98:
	s_mov_b32 s11, 0
                                        ; implicit-def: $vgpr4
	s_cbranch_execnz .LBB216_101
	s_branch .LBB216_102
.LBB216_99:
	s_mov_b32 s11, -1
                                        ; implicit-def: $vgpr4
.LBB216_100:
	s_branch .LBB216_102
.LBB216_101:
	s_cmp_lg_u32 s5, 0
	s_mov_b32 s10, -1
	s_cselect_b32 s11, -1, 0
.LBB216_102:
	v_max_num_f32_e32 v6, v12, v12
	s_and_not1_b32 vcc_lo, exec_lo, s11
	s_cbranch_vccz .LBB216_117
; %bb.103:
	s_and_not1_b32 vcc_lo, exec_lo, s10
	s_cbranch_vccnz .LBB216_105
.LBB216_104:
	v_max_num_f32_e64 v4, s6, s6
	s_delay_alu instid0(VALU_DEP_1)
	v_max_num_f32_e32 v4, v6, v4
.LBB216_105:
	s_delay_alu instid0(VALU_DEP_1)
	v_mov_b32_e32 v12, v4
.LBB216_106:
	s_or_b32 exec_lo, exec_lo, s3
	s_delay_alu instid0(VALU_DEP_1)
	v_mov_b32_e32 v4, v12
.LBB216_107:
	s_or_b32 exec_lo, exec_lo, s1
	v_or_b32_e32 v6, 0x300, v0
	s_mov_b32 s1, exec_lo
	s_delay_alu instid0(VALU_DEP_1)
	v_cmpx_gt_i32_e64 s4, v6
	s_cbranch_execnz .LBB216_113
; %bb.108:
	s_or_b32 exec_lo, exec_lo, s1
	s_and_saveexec_b32 s1, s0
	s_delay_alu instid0(SALU_CYCLE_1)
	s_xor_b32 s0, exec_lo, s1
	s_cbranch_execnz .LBB216_127
.LBB216_109:
	s_or_b32 exec_lo, exec_lo, s0
	s_delay_alu instid0(SALU_CYCLE_1)
	s_mov_b32 s0, exec_lo
	v_cmpx_gt_i32_e64 s4, v0
	s_cbranch_execnz .LBB216_128
.LBB216_110:
	s_or_b32 exec_lo, exec_lo, s0
	s_delay_alu instid0(SALU_CYCLE_1)
	s_mov_b32 s0, exec_lo
	v_cmpx_gt_i32_e64 s4, v0
	s_cbranch_execnz .LBB216_129
.LBB216_111:
	s_or_b32 exec_lo, exec_lo, s0
	s_delay_alu instid0(SALU_CYCLE_1)
	s_mov_b32 s0, exec_lo
	v_cmpx_gt_i32_e64 s4, v0
	s_cbranch_execz .LBB216_130
.LBB216_112:
	v_add_nc_u32_e32 v0, s2, v0
	global_store_b32 v0, v5, s[8:9] scale_offset
	s_endpgm
.LBB216_113:
	s_mov_b32 s3, exec_lo
	v_cmpx_o_f32_e32 v11, v11
	s_cbranch_execz .LBB216_126
; %bb.114:
	s_cmp_lt_i32 s5, 1
	s_mov_b32 s10, 0
	s_cbranch_scc1 .LBB216_118
; %bb.115:
	s_cmp_eq_u32 s5, 1
	s_cbranch_scc0 .LBB216_119
; %bb.116:
	v_max_num_f32_e64 v5, s6, s6
	v_max_num_f32_e32 v6, v11, v11
	s_mov_b32 s11, 0
	s_delay_alu instid0(VALU_DEP_1)
	v_min_num_f32_e32 v5, v6, v5
	s_branch .LBB216_120
.LBB216_117:
	v_max_num_f32_e64 v4, s6, s6
	v_max_num_f32_e64 v7, s7, s7
	s_delay_alu instid0(VALU_DEP_1)
	v_maxmin_num_f32 v4, v6, v4, v7
	s_cbranch_execz .LBB216_104
	s_branch .LBB216_105
.LBB216_118:
	s_mov_b32 s11, 0
                                        ; implicit-def: $vgpr5
	s_cbranch_execnz .LBB216_121
	s_branch .LBB216_122
.LBB216_119:
	s_mov_b32 s11, -1
                                        ; implicit-def: $vgpr5
.LBB216_120:
	s_branch .LBB216_122
.LBB216_121:
	s_cmp_lg_u32 s5, 0
	s_mov_b32 s10, -1
	s_cselect_b32 s11, -1, 0
.LBB216_122:
	v_max_num_f32_e64 v6, s6, s6
	v_max_num_f32_e32 v7, v11, v11
	s_and_not1_b32 vcc_lo, exec_lo, s11
	s_cbranch_vccz .LBB216_131
; %bb.123:
	s_and_not1_b32 vcc_lo, exec_lo, s10
	s_cbranch_vccnz .LBB216_125
.LBB216_124:
	v_max_num_f32_e32 v5, v7, v6
.LBB216_125:
	s_delay_alu instid0(VALU_DEP_1)
	v_mov_b32_e32 v11, v5
.LBB216_126:
	s_or_b32 exec_lo, exec_lo, s3
	s_delay_alu instid0(VALU_DEP_1) | instskip(SKIP_2) | instid1(SALU_CYCLE_1)
	v_mov_b32_e32 v5, v11
	s_or_b32 exec_lo, exec_lo, s1
	s_and_saveexec_b32 s1, s0
	s_xor_b32 s0, exec_lo, s1
	s_cbranch_execz .LBB216_109
.LBB216_127:
	v_mov_b32_e32 v0, v10
	global_store_b32 v1, v2, s[8:9] scale_offset
	s_wait_xcnt 0x0
	s_or_b32 exec_lo, exec_lo, s0
	s_delay_alu instid0(SALU_CYCLE_1)
	s_mov_b32 s0, exec_lo
	v_cmpx_gt_i32_e64 s4, v0
	s_cbranch_execz .LBB216_110
.LBB216_128:
	v_add_nc_u32_e32 v1, s2, v0
	v_add_nc_u32_e32 v0, 0x100, v0
	global_store_b32 v1, v3, s[8:9] scale_offset
	s_wait_xcnt 0x0
	s_or_b32 exec_lo, exec_lo, s0
	s_delay_alu instid0(SALU_CYCLE_1)
	s_mov_b32 s0, exec_lo
	v_cmpx_gt_i32_e64 s4, v0
	s_cbranch_execz .LBB216_111
.LBB216_129:
	v_add_nc_u32_e32 v1, s2, v0
	v_add_nc_u32_e32 v0, 0x100, v0
	global_store_b32 v1, v4, s[8:9] scale_offset
	s_wait_xcnt 0x0
	s_or_b32 exec_lo, exec_lo, s0
	s_delay_alu instid0(SALU_CYCLE_1)
	s_mov_b32 s0, exec_lo
	v_cmpx_gt_i32_e64 s4, v0
	s_cbranch_execnz .LBB216_112
.LBB216_130:
	s_endpgm
.LBB216_131:
	v_max_num_f32_e64 v5, s7, s7
	s_delay_alu instid0(VALU_DEP_1)
	v_maxmin_num_f32 v5, v7, v6, v5
	s_cbranch_execz .LBB216_124
	s_branch .LBB216_125
	.section	.rodata,"a",@progbits
	.p2align	6, 0x0
	.amdhsa_kernel _ZN2at6native29vectorized_elementwise_kernelILi16EZZZNS0_12_GLOBAL__N_119launch_clamp_scalarERNS_18TensorIteratorBaseEN3c106ScalarES6_NS0_6detail11ClampLimitsEENKUlvE_clEvENKUlvE5_clEvEUlfE_St5arrayIPcLm2EEEEviT0_T1_
		.amdhsa_group_segment_fixed_size 0
		.amdhsa_private_segment_fixed_size 0
		.amdhsa_kernarg_size 32
		.amdhsa_user_sgpr_count 2
		.amdhsa_user_sgpr_dispatch_ptr 0
		.amdhsa_user_sgpr_queue_ptr 0
		.amdhsa_user_sgpr_kernarg_segment_ptr 1
		.amdhsa_user_sgpr_dispatch_id 0
		.amdhsa_user_sgpr_kernarg_preload_length 0
		.amdhsa_user_sgpr_kernarg_preload_offset 0
		.amdhsa_user_sgpr_private_segment_size 0
		.amdhsa_wavefront_size32 1
		.amdhsa_uses_dynamic_stack 0
		.amdhsa_enable_private_segment 0
		.amdhsa_system_sgpr_workgroup_id_x 1
		.amdhsa_system_sgpr_workgroup_id_y 0
		.amdhsa_system_sgpr_workgroup_id_z 0
		.amdhsa_system_sgpr_workgroup_info 0
		.amdhsa_system_vgpr_workitem_id 0
		.amdhsa_next_free_vgpr 14
		.amdhsa_next_free_sgpr 14
		.amdhsa_named_barrier_count 0
		.amdhsa_reserve_vcc 1
		.amdhsa_float_round_mode_32 0
		.amdhsa_float_round_mode_16_64 0
		.amdhsa_float_denorm_mode_32 3
		.amdhsa_float_denorm_mode_16_64 3
		.amdhsa_fp16_overflow 0
		.amdhsa_memory_ordered 1
		.amdhsa_forward_progress 1
		.amdhsa_inst_pref_size 18
		.amdhsa_round_robin_scheduling 0
		.amdhsa_exception_fp_ieee_invalid_op 0
		.amdhsa_exception_fp_denorm_src 0
		.amdhsa_exception_fp_ieee_div_zero 0
		.amdhsa_exception_fp_ieee_overflow 0
		.amdhsa_exception_fp_ieee_underflow 0
		.amdhsa_exception_fp_ieee_inexact 0
		.amdhsa_exception_int_div_zero 0
	.end_amdhsa_kernel
	.section	.text._ZN2at6native29vectorized_elementwise_kernelILi16EZZZNS0_12_GLOBAL__N_119launch_clamp_scalarERNS_18TensorIteratorBaseEN3c106ScalarES6_NS0_6detail11ClampLimitsEENKUlvE_clEvENKUlvE5_clEvEUlfE_St5arrayIPcLm2EEEEviT0_T1_,"axG",@progbits,_ZN2at6native29vectorized_elementwise_kernelILi16EZZZNS0_12_GLOBAL__N_119launch_clamp_scalarERNS_18TensorIteratorBaseEN3c106ScalarES6_NS0_6detail11ClampLimitsEENKUlvE_clEvENKUlvE5_clEvEUlfE_St5arrayIPcLm2EEEEviT0_T1_,comdat
.Lfunc_end216:
	.size	_ZN2at6native29vectorized_elementwise_kernelILi16EZZZNS0_12_GLOBAL__N_119launch_clamp_scalarERNS_18TensorIteratorBaseEN3c106ScalarES6_NS0_6detail11ClampLimitsEENKUlvE_clEvENKUlvE5_clEvEUlfE_St5arrayIPcLm2EEEEviT0_T1_, .Lfunc_end216-_ZN2at6native29vectorized_elementwise_kernelILi16EZZZNS0_12_GLOBAL__N_119launch_clamp_scalarERNS_18TensorIteratorBaseEN3c106ScalarES6_NS0_6detail11ClampLimitsEENKUlvE_clEvENKUlvE5_clEvEUlfE_St5arrayIPcLm2EEEEviT0_T1_
                                        ; -- End function
	.set _ZN2at6native29vectorized_elementwise_kernelILi16EZZZNS0_12_GLOBAL__N_119launch_clamp_scalarERNS_18TensorIteratorBaseEN3c106ScalarES6_NS0_6detail11ClampLimitsEENKUlvE_clEvENKUlvE5_clEvEUlfE_St5arrayIPcLm2EEEEviT0_T1_.num_vgpr, 14
	.set _ZN2at6native29vectorized_elementwise_kernelILi16EZZZNS0_12_GLOBAL__N_119launch_clamp_scalarERNS_18TensorIteratorBaseEN3c106ScalarES6_NS0_6detail11ClampLimitsEENKUlvE_clEvENKUlvE5_clEvEUlfE_St5arrayIPcLm2EEEEviT0_T1_.num_agpr, 0
	.set _ZN2at6native29vectorized_elementwise_kernelILi16EZZZNS0_12_GLOBAL__N_119launch_clamp_scalarERNS_18TensorIteratorBaseEN3c106ScalarES6_NS0_6detail11ClampLimitsEENKUlvE_clEvENKUlvE5_clEvEUlfE_St5arrayIPcLm2EEEEviT0_T1_.numbered_sgpr, 14
	.set _ZN2at6native29vectorized_elementwise_kernelILi16EZZZNS0_12_GLOBAL__N_119launch_clamp_scalarERNS_18TensorIteratorBaseEN3c106ScalarES6_NS0_6detail11ClampLimitsEENKUlvE_clEvENKUlvE5_clEvEUlfE_St5arrayIPcLm2EEEEviT0_T1_.num_named_barrier, 0
	.set _ZN2at6native29vectorized_elementwise_kernelILi16EZZZNS0_12_GLOBAL__N_119launch_clamp_scalarERNS_18TensorIteratorBaseEN3c106ScalarES6_NS0_6detail11ClampLimitsEENKUlvE_clEvENKUlvE5_clEvEUlfE_St5arrayIPcLm2EEEEviT0_T1_.private_seg_size, 0
	.set _ZN2at6native29vectorized_elementwise_kernelILi16EZZZNS0_12_GLOBAL__N_119launch_clamp_scalarERNS_18TensorIteratorBaseEN3c106ScalarES6_NS0_6detail11ClampLimitsEENKUlvE_clEvENKUlvE5_clEvEUlfE_St5arrayIPcLm2EEEEviT0_T1_.uses_vcc, 1
	.set _ZN2at6native29vectorized_elementwise_kernelILi16EZZZNS0_12_GLOBAL__N_119launch_clamp_scalarERNS_18TensorIteratorBaseEN3c106ScalarES6_NS0_6detail11ClampLimitsEENKUlvE_clEvENKUlvE5_clEvEUlfE_St5arrayIPcLm2EEEEviT0_T1_.uses_flat_scratch, 0
	.set _ZN2at6native29vectorized_elementwise_kernelILi16EZZZNS0_12_GLOBAL__N_119launch_clamp_scalarERNS_18TensorIteratorBaseEN3c106ScalarES6_NS0_6detail11ClampLimitsEENKUlvE_clEvENKUlvE5_clEvEUlfE_St5arrayIPcLm2EEEEviT0_T1_.has_dyn_sized_stack, 0
	.set _ZN2at6native29vectorized_elementwise_kernelILi16EZZZNS0_12_GLOBAL__N_119launch_clamp_scalarERNS_18TensorIteratorBaseEN3c106ScalarES6_NS0_6detail11ClampLimitsEENKUlvE_clEvENKUlvE5_clEvEUlfE_St5arrayIPcLm2EEEEviT0_T1_.has_recursion, 0
	.set _ZN2at6native29vectorized_elementwise_kernelILi16EZZZNS0_12_GLOBAL__N_119launch_clamp_scalarERNS_18TensorIteratorBaseEN3c106ScalarES6_NS0_6detail11ClampLimitsEENKUlvE_clEvENKUlvE5_clEvEUlfE_St5arrayIPcLm2EEEEviT0_T1_.has_indirect_call, 0
	.section	.AMDGPU.csdata,"",@progbits
; Kernel info:
; codeLenInByte = 2244
; TotalNumSgprs: 16
; NumVgprs: 14
; ScratchSize: 0
; MemoryBound: 0
; FloatMode: 240
; IeeeMode: 1
; LDSByteSize: 0 bytes/workgroup (compile time only)
; SGPRBlocks: 0
; VGPRBlocks: 0
; NumSGPRsForWavesPerEU: 16
; NumVGPRsForWavesPerEU: 14
; NamedBarCnt: 0
; Occupancy: 16
; WaveLimiterHint : 0
; COMPUTE_PGM_RSRC2:SCRATCH_EN: 0
; COMPUTE_PGM_RSRC2:USER_SGPR: 2
; COMPUTE_PGM_RSRC2:TRAP_HANDLER: 0
; COMPUTE_PGM_RSRC2:TGID_X_EN: 1
; COMPUTE_PGM_RSRC2:TGID_Y_EN: 0
; COMPUTE_PGM_RSRC2:TGID_Z_EN: 0
; COMPUTE_PGM_RSRC2:TIDIG_COMP_CNT: 0
	.section	.text._ZN2at6native29vectorized_elementwise_kernelILi8EZZZNS0_12_GLOBAL__N_119launch_clamp_scalarERNS_18TensorIteratorBaseEN3c106ScalarES6_NS0_6detail11ClampLimitsEENKUlvE_clEvENKUlvE5_clEvEUlfE_St5arrayIPcLm2EEEEviT0_T1_,"axG",@progbits,_ZN2at6native29vectorized_elementwise_kernelILi8EZZZNS0_12_GLOBAL__N_119launch_clamp_scalarERNS_18TensorIteratorBaseEN3c106ScalarES6_NS0_6detail11ClampLimitsEENKUlvE_clEvENKUlvE5_clEvEUlfE_St5arrayIPcLm2EEEEviT0_T1_,comdat
	.globl	_ZN2at6native29vectorized_elementwise_kernelILi8EZZZNS0_12_GLOBAL__N_119launch_clamp_scalarERNS_18TensorIteratorBaseEN3c106ScalarES6_NS0_6detail11ClampLimitsEENKUlvE_clEvENKUlvE5_clEvEUlfE_St5arrayIPcLm2EEEEviT0_T1_ ; -- Begin function _ZN2at6native29vectorized_elementwise_kernelILi8EZZZNS0_12_GLOBAL__N_119launch_clamp_scalarERNS_18TensorIteratorBaseEN3c106ScalarES6_NS0_6detail11ClampLimitsEENKUlvE_clEvENKUlvE5_clEvEUlfE_St5arrayIPcLm2EEEEviT0_T1_
	.p2align	8
	.type	_ZN2at6native29vectorized_elementwise_kernelILi8EZZZNS0_12_GLOBAL__N_119launch_clamp_scalarERNS_18TensorIteratorBaseEN3c106ScalarES6_NS0_6detail11ClampLimitsEENKUlvE_clEvENKUlvE5_clEvEUlfE_St5arrayIPcLm2EEEEviT0_T1_,@function
_ZN2at6native29vectorized_elementwise_kernelILi8EZZZNS0_12_GLOBAL__N_119launch_clamp_scalarERNS_18TensorIteratorBaseEN3c106ScalarES6_NS0_6detail11ClampLimitsEENKUlvE_clEvENKUlvE5_clEvEUlfE_St5arrayIPcLm2EEEEviT0_T1_: ; @_ZN2at6native29vectorized_elementwise_kernelILi8EZZZNS0_12_GLOBAL__N_119launch_clamp_scalarERNS_18TensorIteratorBaseEN3c106ScalarES6_NS0_6detail11ClampLimitsEENKUlvE_clEvENKUlvE5_clEvEUlfE_St5arrayIPcLm2EEEEviT0_T1_
; %bb.0:
	s_load_b256 s[4:11], s[0:1], 0x0
	s_wait_xcnt 0x0
	s_bfe_u32 s0, ttmp6, 0x4000c
	s_and_b32 s1, ttmp6, 15
	s_add_co_i32 s0, s0, 1
	s_getreg_b32 s2, hwreg(HW_REG_IB_STS2, 6, 4)
	s_mul_i32 s0, ttmp9, s0
	s_delay_alu instid0(SALU_CYCLE_1) | instskip(SKIP_2) | instid1(SALU_CYCLE_1)
	s_add_co_i32 s1, s1, s0
	s_cmp_eq_u32 s2, 0
	s_cselect_b32 s0, ttmp9, s1
	s_lshl_b32 s2, s0, 10
	s_mov_b32 s0, -1
	s_wait_kmcnt 0x0
	s_sub_co_i32 s4, s4, s2
	s_delay_alu instid0(SALU_CYCLE_1)
	s_cmp_gt_i32 s4, 0x3ff
	s_cbranch_scc0 .LBB217_53
; %bb.1:
	s_ashr_i32 s3, s2, 31
	s_delay_alu instid0(SALU_CYCLE_1)
	s_lshl_b64 s[0:1], s[2:3], 2
	s_mov_b32 s3, exec_lo
	s_add_nc_u64 s[12:13], s[10:11], s[0:1]
	global_load_b128 v[2:5], v0, s[12:13] scale_offset
	s_wait_loadcnt 0x0
	v_cmpx_o_f32_e32 v2, v2
	s_cbranch_execz .LBB217_13
; %bb.2:
	s_cmp_lt_i32 s5, 1
	s_mov_b32 s12, 0
	s_cbranch_scc1 .LBB217_5
; %bb.3:
	s_cmp_eq_u32 s5, 1
	s_cbranch_scc0 .LBB217_6
; %bb.4:
	v_max_num_f32_e64 v1, s6, s6
	v_max_num_f32_e32 v6, v2, v2
	s_mov_b32 s13, 0
	s_delay_alu instid0(VALU_DEP_1)
	v_min_num_f32_e32 v1, v6, v1
	s_branch .LBB217_7
.LBB217_5:
	s_mov_b32 s13, 0
                                        ; implicit-def: $vgpr1
	s_cbranch_execnz .LBB217_8
	s_branch .LBB217_9
.LBB217_6:
	s_mov_b32 s13, -1
                                        ; implicit-def: $vgpr1
.LBB217_7:
	s_branch .LBB217_9
.LBB217_8:
	s_cmp_lg_u32 s5, 0
	s_mov_b32 s12, -1
	s_cselect_b32 s13, -1, 0
.LBB217_9:
	v_max_num_f32_e32 v2, v2, v2
	s_and_not1_b32 vcc_lo, exec_lo, s13
	s_cbranch_vccz .LBB217_17
; %bb.10:
	s_and_not1_b32 vcc_lo, exec_lo, s12
	s_cbranch_vccnz .LBB217_12
.LBB217_11:
	v_max_num_f32_e64 v1, s6, s6
	s_delay_alu instid0(VALU_DEP_1)
	v_max_num_f32_e32 v1, v2, v1
.LBB217_12:
	s_delay_alu instid0(VALU_DEP_1)
	v_mov_b32_e32 v2, v1
.LBB217_13:
	s_or_b32 exec_lo, exec_lo, s3
	s_delay_alu instid0(SALU_CYCLE_1)
	s_mov_b32 s3, exec_lo
	v_cmpx_o_f32_e32 v3, v3
	s_cbranch_execz .LBB217_26
; %bb.14:
	s_cmp_lt_i32 s5, 1
	s_mov_b32 s12, 0
	s_cbranch_scc1 .LBB217_18
; %bb.15:
	s_cmp_eq_u32 s5, 1
	s_cbranch_scc0 .LBB217_19
; %bb.16:
	v_max_num_f32_e64 v1, s6, s6
	v_max_num_f32_e32 v6, v3, v3
	s_mov_b32 s13, 0
	s_delay_alu instid0(VALU_DEP_1)
	v_min_num_f32_e32 v1, v6, v1
	s_branch .LBB217_20
.LBB217_17:
	v_max_num_f32_e64 v1, s6, s6
	v_max_num_f32_e64 v6, s7, s7
	s_delay_alu instid0(VALU_DEP_1)
	v_maxmin_num_f32 v1, v2, v1, v6
	s_cbranch_execz .LBB217_11
	s_branch .LBB217_12
.LBB217_18:
	s_mov_b32 s13, 0
                                        ; implicit-def: $vgpr1
	s_cbranch_execnz .LBB217_21
	s_branch .LBB217_22
.LBB217_19:
	s_mov_b32 s13, -1
                                        ; implicit-def: $vgpr1
.LBB217_20:
	s_branch .LBB217_22
.LBB217_21:
	s_cmp_lg_u32 s5, 0
	s_mov_b32 s12, -1
	s_cselect_b32 s13, -1, 0
.LBB217_22:
	v_max_num_f32_e32 v3, v3, v3
	s_and_not1_b32 vcc_lo, exec_lo, s13
	s_cbranch_vccz .LBB217_30
; %bb.23:
	s_and_not1_b32 vcc_lo, exec_lo, s12
	s_cbranch_vccnz .LBB217_25
.LBB217_24:
	v_max_num_f32_e64 v1, s6, s6
	s_delay_alu instid0(VALU_DEP_1)
	v_max_num_f32_e32 v1, v3, v1
.LBB217_25:
	s_delay_alu instid0(VALU_DEP_1)
	v_mov_b32_e32 v3, v1
.LBB217_26:
	s_or_b32 exec_lo, exec_lo, s3
	s_delay_alu instid0(SALU_CYCLE_1)
	s_mov_b32 s3, exec_lo
	v_cmpx_o_f32_e32 v4, v4
	s_cbranch_execz .LBB217_39
; %bb.27:
	s_cmp_lt_i32 s5, 1
	s_mov_b32 s12, 0
	s_cbranch_scc1 .LBB217_31
; %bb.28:
	s_cmp_eq_u32 s5, 1
	s_cbranch_scc0 .LBB217_32
; %bb.29:
	v_max_num_f32_e64 v1, s6, s6
	v_max_num_f32_e32 v6, v4, v4
	s_mov_b32 s13, 0
	s_delay_alu instid0(VALU_DEP_1)
	v_min_num_f32_e32 v1, v6, v1
	s_branch .LBB217_33
.LBB217_30:
	v_max_num_f32_e64 v1, s6, s6
	v_max_num_f32_e64 v6, s7, s7
	s_delay_alu instid0(VALU_DEP_1)
	v_maxmin_num_f32 v1, v3, v1, v6
	s_cbranch_execz .LBB217_24
	s_branch .LBB217_25
.LBB217_31:
	s_mov_b32 s13, 0
                                        ; implicit-def: $vgpr1
	s_cbranch_execnz .LBB217_34
	s_branch .LBB217_35
.LBB217_32:
	s_mov_b32 s13, -1
                                        ; implicit-def: $vgpr1
.LBB217_33:
	s_branch .LBB217_35
.LBB217_34:
	s_cmp_lg_u32 s5, 0
	s_mov_b32 s12, -1
	s_cselect_b32 s13, -1, 0
.LBB217_35:
	v_max_num_f32_e32 v4, v4, v4
	s_and_not1_b32 vcc_lo, exec_lo, s13
	s_cbranch_vccz .LBB217_43
; %bb.36:
	s_and_not1_b32 vcc_lo, exec_lo, s12
	s_cbranch_vccnz .LBB217_38
.LBB217_37:
	v_max_num_f32_e64 v1, s6, s6
	s_delay_alu instid0(VALU_DEP_1)
	v_max_num_f32_e32 v1, v4, v1
.LBB217_38:
	s_delay_alu instid0(VALU_DEP_1)
	v_mov_b32_e32 v4, v1
.LBB217_39:
	s_or_b32 exec_lo, exec_lo, s3
	s_delay_alu instid0(SALU_CYCLE_1)
	s_mov_b32 s3, exec_lo
	v_cmpx_o_f32_e32 v5, v5
	s_cbranch_execz .LBB217_52
; %bb.40:
	s_cmp_lt_i32 s5, 1
	s_mov_b32 s12, 0
	s_cbranch_scc1 .LBB217_44
; %bb.41:
	s_cmp_eq_u32 s5, 1
	s_cbranch_scc0 .LBB217_45
; %bb.42:
	v_max_num_f32_e64 v1, s6, s6
	v_max_num_f32_e32 v6, v5, v5
	s_mov_b32 s13, 0
	s_delay_alu instid0(VALU_DEP_1)
	v_min_num_f32_e32 v1, v6, v1
	s_branch .LBB217_46
.LBB217_43:
	v_max_num_f32_e64 v1, s6, s6
	v_max_num_f32_e64 v6, s7, s7
	s_delay_alu instid0(VALU_DEP_1)
	v_maxmin_num_f32 v1, v4, v1, v6
	s_cbranch_execz .LBB217_37
	s_branch .LBB217_38
.LBB217_44:
	s_mov_b32 s13, 0
                                        ; implicit-def: $vgpr1
	s_cbranch_execnz .LBB217_47
	s_branch .LBB217_48
.LBB217_45:
	s_mov_b32 s13, -1
                                        ; implicit-def: $vgpr1
.LBB217_46:
	s_branch .LBB217_48
.LBB217_47:
	s_cmp_lg_u32 s5, 0
	s_mov_b32 s12, -1
	s_cselect_b32 s13, -1, 0
.LBB217_48:
	v_max_num_f32_e32 v5, v5, v5
	s_and_not1_b32 vcc_lo, exec_lo, s13
	s_cbranch_vccz .LBB217_67
; %bb.49:
	s_and_not1_b32 vcc_lo, exec_lo, s12
	s_cbranch_vccnz .LBB217_51
.LBB217_50:
	v_max_num_f32_e64 v1, s6, s6
	s_delay_alu instid0(VALU_DEP_1)
	v_max_num_f32_e32 v1, v5, v1
.LBB217_51:
	s_delay_alu instid0(VALU_DEP_1)
	v_mov_b32_e32 v5, v1
.LBB217_52:
	s_or_b32 exec_lo, exec_lo, s3
	s_add_nc_u64 s[12:13], s[8:9], s[0:1]
	s_mov_b32 s0, 0
	global_store_b128 v0, v[2:5], s[12:13] scale_offset
.LBB217_53:
	s_and_b32 vcc_lo, exec_lo, s0
	s_cbranch_vccz .LBB217_130
; %bb.54:
	v_cmp_gt_i32_e64 s0, s4, v0
	v_dual_mov_b32 v13, 0 :: v_dual_bitop2_b32 v1, s2, v0 bitop3:0x54
	v_or_b32_e32 v10, 0x100, v0
	s_wait_xcnt 0x0
	v_dual_mov_b32 v6, 0 :: v_dual_mov_b32 v2, v0
	s_and_saveexec_b32 s1, s0
	s_cbranch_execz .LBB217_56
; %bb.55:
	global_load_b32 v6, v1, s[10:11] scale_offset
	v_or_b32_e32 v2, 0x100, v0
.LBB217_56:
	s_wait_xcnt 0x0
	s_or_b32 exec_lo, exec_lo, s1
	s_delay_alu instid0(SALU_CYCLE_1) | instskip(NEXT) | instid1(VALU_DEP_1)
	s_mov_b32 s1, exec_lo
	v_cmpx_gt_i32_e64 s4, v2
	s_cbranch_execz .LBB217_58
; %bb.57:
	v_add_nc_u32_e32 v3, s2, v2
	v_add_nc_u32_e32 v2, 0x100, v2
	global_load_b32 v13, v3, s[10:11] scale_offset
.LBB217_58:
	s_wait_xcnt 0x0
	s_or_b32 exec_lo, exec_lo, s1
	v_dual_mov_b32 v11, 0 :: v_dual_mov_b32 v12, 0
	s_mov_b32 s1, exec_lo
	v_cmpx_gt_i32_e64 s4, v2
	s_cbranch_execz .LBB217_60
; %bb.59:
	v_add_nc_u32_e32 v3, s2, v2
	v_add_nc_u32_e32 v2, 0x100, v2
	global_load_b32 v12, v3, s[10:11] scale_offset
.LBB217_60:
	s_wait_xcnt 0x0
	s_or_b32 exec_lo, exec_lo, s1
	s_delay_alu instid0(SALU_CYCLE_1)
	s_mov_b32 s1, exec_lo
	v_cmpx_gt_i32_e64 s4, v2
	s_cbranch_execz .LBB217_62
; %bb.61:
	v_add_nc_u32_e32 v2, s2, v2
	global_load_b32 v11, v2, s[10:11] scale_offset
.LBB217_62:
	s_wait_xcnt 0x0
	s_or_b32 exec_lo, exec_lo, s1
	v_mov_b32_e32 v2, 0
	s_delay_alu instid0(VALU_DEP_1)
	v_dual_mov_b32 v3, v2 :: v_dual_mov_b32 v4, v2
	v_mov_b32_e32 v5, v2
	s_and_saveexec_b32 s1, s0
	s_cbranch_execz .LBB217_77
; %bb.63:
	s_mov_b32 s3, exec_lo
	s_wait_loadcnt 0x0
	v_cmpx_o_f32_e32 v6, v6
	s_cbranch_execz .LBB217_76
; %bb.64:
	s_cmp_lt_i32 s5, 1
	s_mov_b32 s10, 0
	s_cbranch_scc1 .LBB217_68
; %bb.65:
	s_cmp_eq_u32 s5, 1
	s_cbranch_scc0 .LBB217_69
; %bb.66:
	v_max_num_f32_e64 v2, s6, s6
	v_max_num_f32_e32 v3, v6, v6
	s_mov_b32 s11, 0
	s_delay_alu instid0(VALU_DEP_1)
	v_min_num_f32_e32 v2, v3, v2
	s_branch .LBB217_70
.LBB217_67:
	v_max_num_f32_e64 v1, s6, s6
	v_max_num_f32_e64 v6, s7, s7
	s_delay_alu instid0(VALU_DEP_1)
	v_maxmin_num_f32 v1, v5, v1, v6
	s_cbranch_execz .LBB217_50
	s_branch .LBB217_51
.LBB217_68:
	s_mov_b32 s11, 0
                                        ; implicit-def: $vgpr2
	s_cbranch_execnz .LBB217_71
	s_branch .LBB217_72
.LBB217_69:
	s_mov_b32 s11, -1
                                        ; implicit-def: $vgpr2
.LBB217_70:
	s_branch .LBB217_72
.LBB217_71:
	s_cmp_lg_u32 s5, 0
	s_mov_b32 s10, -1
	s_cselect_b32 s11, -1, 0
.LBB217_72:
	v_max_num_f32_e32 v3, v6, v6
	s_and_not1_b32 vcc_lo, exec_lo, s11
	s_cbranch_vccz .LBB217_82
; %bb.73:
	s_and_not1_b32 vcc_lo, exec_lo, s10
	s_cbranch_vccnz .LBB217_75
.LBB217_74:
	v_max_num_f32_e64 v2, s6, s6
	s_delay_alu instid0(VALU_DEP_1)
	v_max_num_f32_e32 v2, v3, v2
.LBB217_75:
	s_delay_alu instid0(VALU_DEP_1)
	v_mov_b32_e32 v6, v2
.LBB217_76:
	s_or_b32 exec_lo, exec_lo, s3
	v_mov_b32_e32 v7, 0
	s_delay_alu instid0(VALU_DEP_1) | instskip(NEXT) | instid1(VALU_DEP_3)
	v_dual_mov_b32 v8, v7 :: v_dual_mov_b32 v9, v7
	v_mov_b64_e32 v[2:3], v[6:7]
	s_delay_alu instid0(VALU_DEP_2)
	v_mov_b64_e32 v[4:5], v[8:9]
.LBB217_77:
	s_or_b32 exec_lo, exec_lo, s1
	s_delay_alu instid0(SALU_CYCLE_1)
	s_mov_b32 s1, exec_lo
	v_cmpx_gt_i32_e64 s4, v10
	s_cbranch_execz .LBB217_92
; %bb.78:
	s_mov_b32 s3, exec_lo
	s_wait_loadcnt 0x0
	v_cmpx_o_f32_e32 v13, v13
	s_cbranch_execz .LBB217_91
; %bb.79:
	s_cmp_lt_i32 s5, 1
	s_mov_b32 s10, 0
	s_cbranch_scc1 .LBB217_83
; %bb.80:
	s_cmp_eq_u32 s5, 1
	s_cbranch_scc0 .LBB217_84
; %bb.81:
	v_max_num_f32_e64 v3, s6, s6
	v_max_num_f32_e32 v6, v13, v13
	s_mov_b32 s11, 0
	s_delay_alu instid0(VALU_DEP_1)
	v_min_num_f32_e32 v3, v6, v3
	s_branch .LBB217_85
.LBB217_82:
	v_max_num_f32_e64 v2, s6, s6
	v_max_num_f32_e64 v4, s7, s7
	s_delay_alu instid0(VALU_DEP_1)
	v_maxmin_num_f32 v2, v3, v2, v4
	s_cbranch_execz .LBB217_74
	s_branch .LBB217_75
.LBB217_83:
	s_mov_b32 s11, 0
                                        ; implicit-def: $vgpr3
	s_cbranch_execnz .LBB217_86
	s_branch .LBB217_87
.LBB217_84:
	s_mov_b32 s11, -1
                                        ; implicit-def: $vgpr3
.LBB217_85:
	s_branch .LBB217_87
.LBB217_86:
	s_cmp_lg_u32 s5, 0
	s_mov_b32 s10, -1
	s_cselect_b32 s11, -1, 0
.LBB217_87:
	v_max_num_f32_e32 v6, v13, v13
	s_and_not1_b32 vcc_lo, exec_lo, s11
	s_cbranch_vccz .LBB217_97
; %bb.88:
	s_and_not1_b32 vcc_lo, exec_lo, s10
	s_cbranch_vccnz .LBB217_90
.LBB217_89:
	v_max_num_f32_e64 v3, s6, s6
	s_delay_alu instid0(VALU_DEP_1)
	v_max_num_f32_e32 v3, v6, v3
.LBB217_90:
	s_delay_alu instid0(VALU_DEP_1)
	v_mov_b32_e32 v13, v3
.LBB217_91:
	s_or_b32 exec_lo, exec_lo, s3
	s_delay_alu instid0(VALU_DEP_1)
	v_mov_b32_e32 v3, v13
.LBB217_92:
	s_or_b32 exec_lo, exec_lo, s1
	s_wait_loadcnt 0x0
	v_or_b32_e32 v6, 0x200, v0
	s_mov_b32 s1, exec_lo
	s_delay_alu instid0(VALU_DEP_1)
	v_cmpx_gt_i32_e64 s4, v6
	s_cbranch_execz .LBB217_107
; %bb.93:
	s_mov_b32 s3, exec_lo
	v_cmpx_o_f32_e32 v12, v12
	s_cbranch_execz .LBB217_106
; %bb.94:
	s_cmp_lt_i32 s5, 1
	s_mov_b32 s10, 0
	s_cbranch_scc1 .LBB217_98
; %bb.95:
	s_cmp_eq_u32 s5, 1
	s_cbranch_scc0 .LBB217_99
; %bb.96:
	v_max_num_f32_e64 v4, s6, s6
	v_max_num_f32_e32 v6, v12, v12
	s_mov_b32 s11, 0
	s_delay_alu instid0(VALU_DEP_1)
	v_min_num_f32_e32 v4, v6, v4
	s_branch .LBB217_100
.LBB217_97:
	v_max_num_f32_e64 v3, s6, s6
	v_max_num_f32_e64 v7, s7, s7
	s_delay_alu instid0(VALU_DEP_1)
	v_maxmin_num_f32 v3, v6, v3, v7
	s_cbranch_execz .LBB217_89
	s_branch .LBB217_90
.LBB217_98:
	s_mov_b32 s11, 0
                                        ; implicit-def: $vgpr4
	s_cbranch_execnz .LBB217_101
	s_branch .LBB217_102
.LBB217_99:
	s_mov_b32 s11, -1
                                        ; implicit-def: $vgpr4
.LBB217_100:
	s_branch .LBB217_102
.LBB217_101:
	s_cmp_lg_u32 s5, 0
	s_mov_b32 s10, -1
	s_cselect_b32 s11, -1, 0
.LBB217_102:
	v_max_num_f32_e32 v6, v12, v12
	s_and_not1_b32 vcc_lo, exec_lo, s11
	s_cbranch_vccz .LBB217_117
; %bb.103:
	s_and_not1_b32 vcc_lo, exec_lo, s10
	s_cbranch_vccnz .LBB217_105
.LBB217_104:
	v_max_num_f32_e64 v4, s6, s6
	s_delay_alu instid0(VALU_DEP_1)
	v_max_num_f32_e32 v4, v6, v4
.LBB217_105:
	s_delay_alu instid0(VALU_DEP_1)
	v_mov_b32_e32 v12, v4
.LBB217_106:
	s_or_b32 exec_lo, exec_lo, s3
	s_delay_alu instid0(VALU_DEP_1)
	v_mov_b32_e32 v4, v12
.LBB217_107:
	s_or_b32 exec_lo, exec_lo, s1
	v_or_b32_e32 v6, 0x300, v0
	s_mov_b32 s1, exec_lo
	s_delay_alu instid0(VALU_DEP_1)
	v_cmpx_gt_i32_e64 s4, v6
	s_cbranch_execnz .LBB217_113
; %bb.108:
	s_or_b32 exec_lo, exec_lo, s1
	s_and_saveexec_b32 s1, s0
	s_delay_alu instid0(SALU_CYCLE_1)
	s_xor_b32 s0, exec_lo, s1
	s_cbranch_execnz .LBB217_127
.LBB217_109:
	s_or_b32 exec_lo, exec_lo, s0
	s_delay_alu instid0(SALU_CYCLE_1)
	s_mov_b32 s0, exec_lo
	v_cmpx_gt_i32_e64 s4, v0
	s_cbranch_execnz .LBB217_128
.LBB217_110:
	s_or_b32 exec_lo, exec_lo, s0
	s_delay_alu instid0(SALU_CYCLE_1)
	s_mov_b32 s0, exec_lo
	v_cmpx_gt_i32_e64 s4, v0
	s_cbranch_execnz .LBB217_129
.LBB217_111:
	s_or_b32 exec_lo, exec_lo, s0
	s_delay_alu instid0(SALU_CYCLE_1)
	s_mov_b32 s0, exec_lo
	v_cmpx_gt_i32_e64 s4, v0
	s_cbranch_execz .LBB217_130
.LBB217_112:
	v_add_nc_u32_e32 v0, s2, v0
	global_store_b32 v0, v5, s[8:9] scale_offset
	s_endpgm
.LBB217_113:
	s_mov_b32 s3, exec_lo
	v_cmpx_o_f32_e32 v11, v11
	s_cbranch_execz .LBB217_126
; %bb.114:
	s_cmp_lt_i32 s5, 1
	s_mov_b32 s10, 0
	s_cbranch_scc1 .LBB217_118
; %bb.115:
	s_cmp_eq_u32 s5, 1
	s_cbranch_scc0 .LBB217_119
; %bb.116:
	v_max_num_f32_e64 v5, s6, s6
	v_max_num_f32_e32 v6, v11, v11
	s_mov_b32 s11, 0
	s_delay_alu instid0(VALU_DEP_1)
	v_min_num_f32_e32 v5, v6, v5
	s_branch .LBB217_120
.LBB217_117:
	v_max_num_f32_e64 v4, s6, s6
	v_max_num_f32_e64 v7, s7, s7
	s_delay_alu instid0(VALU_DEP_1)
	v_maxmin_num_f32 v4, v6, v4, v7
	s_cbranch_execz .LBB217_104
	s_branch .LBB217_105
.LBB217_118:
	s_mov_b32 s11, 0
                                        ; implicit-def: $vgpr5
	s_cbranch_execnz .LBB217_121
	s_branch .LBB217_122
.LBB217_119:
	s_mov_b32 s11, -1
                                        ; implicit-def: $vgpr5
.LBB217_120:
	s_branch .LBB217_122
.LBB217_121:
	s_cmp_lg_u32 s5, 0
	s_mov_b32 s10, -1
	s_cselect_b32 s11, -1, 0
.LBB217_122:
	v_max_num_f32_e64 v6, s6, s6
	v_max_num_f32_e32 v7, v11, v11
	s_and_not1_b32 vcc_lo, exec_lo, s11
	s_cbranch_vccz .LBB217_131
; %bb.123:
	s_and_not1_b32 vcc_lo, exec_lo, s10
	s_cbranch_vccnz .LBB217_125
.LBB217_124:
	v_max_num_f32_e32 v5, v7, v6
.LBB217_125:
	s_delay_alu instid0(VALU_DEP_1)
	v_mov_b32_e32 v11, v5
.LBB217_126:
	s_or_b32 exec_lo, exec_lo, s3
	s_delay_alu instid0(VALU_DEP_1) | instskip(SKIP_2) | instid1(SALU_CYCLE_1)
	v_mov_b32_e32 v5, v11
	s_or_b32 exec_lo, exec_lo, s1
	s_and_saveexec_b32 s1, s0
	s_xor_b32 s0, exec_lo, s1
	s_cbranch_execz .LBB217_109
.LBB217_127:
	v_mov_b32_e32 v0, v10
	global_store_b32 v1, v2, s[8:9] scale_offset
	s_wait_xcnt 0x0
	s_or_b32 exec_lo, exec_lo, s0
	s_delay_alu instid0(SALU_CYCLE_1)
	s_mov_b32 s0, exec_lo
	v_cmpx_gt_i32_e64 s4, v0
	s_cbranch_execz .LBB217_110
.LBB217_128:
	v_add_nc_u32_e32 v1, s2, v0
	v_add_nc_u32_e32 v0, 0x100, v0
	global_store_b32 v1, v3, s[8:9] scale_offset
	s_wait_xcnt 0x0
	s_or_b32 exec_lo, exec_lo, s0
	s_delay_alu instid0(SALU_CYCLE_1)
	s_mov_b32 s0, exec_lo
	v_cmpx_gt_i32_e64 s4, v0
	s_cbranch_execz .LBB217_111
.LBB217_129:
	v_add_nc_u32_e32 v1, s2, v0
	v_add_nc_u32_e32 v0, 0x100, v0
	global_store_b32 v1, v4, s[8:9] scale_offset
	s_wait_xcnt 0x0
	s_or_b32 exec_lo, exec_lo, s0
	s_delay_alu instid0(SALU_CYCLE_1)
	s_mov_b32 s0, exec_lo
	v_cmpx_gt_i32_e64 s4, v0
	s_cbranch_execnz .LBB217_112
.LBB217_130:
	s_endpgm
.LBB217_131:
	v_max_num_f32_e64 v5, s7, s7
	s_delay_alu instid0(VALU_DEP_1)
	v_maxmin_num_f32 v5, v7, v6, v5
	s_cbranch_execz .LBB217_124
	s_branch .LBB217_125
	.section	.rodata,"a",@progbits
	.p2align	6, 0x0
	.amdhsa_kernel _ZN2at6native29vectorized_elementwise_kernelILi8EZZZNS0_12_GLOBAL__N_119launch_clamp_scalarERNS_18TensorIteratorBaseEN3c106ScalarES6_NS0_6detail11ClampLimitsEENKUlvE_clEvENKUlvE5_clEvEUlfE_St5arrayIPcLm2EEEEviT0_T1_
		.amdhsa_group_segment_fixed_size 0
		.amdhsa_private_segment_fixed_size 0
		.amdhsa_kernarg_size 32
		.amdhsa_user_sgpr_count 2
		.amdhsa_user_sgpr_dispatch_ptr 0
		.amdhsa_user_sgpr_queue_ptr 0
		.amdhsa_user_sgpr_kernarg_segment_ptr 1
		.amdhsa_user_sgpr_dispatch_id 0
		.amdhsa_user_sgpr_kernarg_preload_length 0
		.amdhsa_user_sgpr_kernarg_preload_offset 0
		.amdhsa_user_sgpr_private_segment_size 0
		.amdhsa_wavefront_size32 1
		.amdhsa_uses_dynamic_stack 0
		.amdhsa_enable_private_segment 0
		.amdhsa_system_sgpr_workgroup_id_x 1
		.amdhsa_system_sgpr_workgroup_id_y 0
		.amdhsa_system_sgpr_workgroup_id_z 0
		.amdhsa_system_sgpr_workgroup_info 0
		.amdhsa_system_vgpr_workitem_id 0
		.amdhsa_next_free_vgpr 14
		.amdhsa_next_free_sgpr 14
		.amdhsa_named_barrier_count 0
		.amdhsa_reserve_vcc 1
		.amdhsa_float_round_mode_32 0
		.amdhsa_float_round_mode_16_64 0
		.amdhsa_float_denorm_mode_32 3
		.amdhsa_float_denorm_mode_16_64 3
		.amdhsa_fp16_overflow 0
		.amdhsa_memory_ordered 1
		.amdhsa_forward_progress 1
		.amdhsa_inst_pref_size 18
		.amdhsa_round_robin_scheduling 0
		.amdhsa_exception_fp_ieee_invalid_op 0
		.amdhsa_exception_fp_denorm_src 0
		.amdhsa_exception_fp_ieee_div_zero 0
		.amdhsa_exception_fp_ieee_overflow 0
		.amdhsa_exception_fp_ieee_underflow 0
		.amdhsa_exception_fp_ieee_inexact 0
		.amdhsa_exception_int_div_zero 0
	.end_amdhsa_kernel
	.section	.text._ZN2at6native29vectorized_elementwise_kernelILi8EZZZNS0_12_GLOBAL__N_119launch_clamp_scalarERNS_18TensorIteratorBaseEN3c106ScalarES6_NS0_6detail11ClampLimitsEENKUlvE_clEvENKUlvE5_clEvEUlfE_St5arrayIPcLm2EEEEviT0_T1_,"axG",@progbits,_ZN2at6native29vectorized_elementwise_kernelILi8EZZZNS0_12_GLOBAL__N_119launch_clamp_scalarERNS_18TensorIteratorBaseEN3c106ScalarES6_NS0_6detail11ClampLimitsEENKUlvE_clEvENKUlvE5_clEvEUlfE_St5arrayIPcLm2EEEEviT0_T1_,comdat
.Lfunc_end217:
	.size	_ZN2at6native29vectorized_elementwise_kernelILi8EZZZNS0_12_GLOBAL__N_119launch_clamp_scalarERNS_18TensorIteratorBaseEN3c106ScalarES6_NS0_6detail11ClampLimitsEENKUlvE_clEvENKUlvE5_clEvEUlfE_St5arrayIPcLm2EEEEviT0_T1_, .Lfunc_end217-_ZN2at6native29vectorized_elementwise_kernelILi8EZZZNS0_12_GLOBAL__N_119launch_clamp_scalarERNS_18TensorIteratorBaseEN3c106ScalarES6_NS0_6detail11ClampLimitsEENKUlvE_clEvENKUlvE5_clEvEUlfE_St5arrayIPcLm2EEEEviT0_T1_
                                        ; -- End function
	.set _ZN2at6native29vectorized_elementwise_kernelILi8EZZZNS0_12_GLOBAL__N_119launch_clamp_scalarERNS_18TensorIteratorBaseEN3c106ScalarES6_NS0_6detail11ClampLimitsEENKUlvE_clEvENKUlvE5_clEvEUlfE_St5arrayIPcLm2EEEEviT0_T1_.num_vgpr, 14
	.set _ZN2at6native29vectorized_elementwise_kernelILi8EZZZNS0_12_GLOBAL__N_119launch_clamp_scalarERNS_18TensorIteratorBaseEN3c106ScalarES6_NS0_6detail11ClampLimitsEENKUlvE_clEvENKUlvE5_clEvEUlfE_St5arrayIPcLm2EEEEviT0_T1_.num_agpr, 0
	.set _ZN2at6native29vectorized_elementwise_kernelILi8EZZZNS0_12_GLOBAL__N_119launch_clamp_scalarERNS_18TensorIteratorBaseEN3c106ScalarES6_NS0_6detail11ClampLimitsEENKUlvE_clEvENKUlvE5_clEvEUlfE_St5arrayIPcLm2EEEEviT0_T1_.numbered_sgpr, 14
	.set _ZN2at6native29vectorized_elementwise_kernelILi8EZZZNS0_12_GLOBAL__N_119launch_clamp_scalarERNS_18TensorIteratorBaseEN3c106ScalarES6_NS0_6detail11ClampLimitsEENKUlvE_clEvENKUlvE5_clEvEUlfE_St5arrayIPcLm2EEEEviT0_T1_.num_named_barrier, 0
	.set _ZN2at6native29vectorized_elementwise_kernelILi8EZZZNS0_12_GLOBAL__N_119launch_clamp_scalarERNS_18TensorIteratorBaseEN3c106ScalarES6_NS0_6detail11ClampLimitsEENKUlvE_clEvENKUlvE5_clEvEUlfE_St5arrayIPcLm2EEEEviT0_T1_.private_seg_size, 0
	.set _ZN2at6native29vectorized_elementwise_kernelILi8EZZZNS0_12_GLOBAL__N_119launch_clamp_scalarERNS_18TensorIteratorBaseEN3c106ScalarES6_NS0_6detail11ClampLimitsEENKUlvE_clEvENKUlvE5_clEvEUlfE_St5arrayIPcLm2EEEEviT0_T1_.uses_vcc, 1
	.set _ZN2at6native29vectorized_elementwise_kernelILi8EZZZNS0_12_GLOBAL__N_119launch_clamp_scalarERNS_18TensorIteratorBaseEN3c106ScalarES6_NS0_6detail11ClampLimitsEENKUlvE_clEvENKUlvE5_clEvEUlfE_St5arrayIPcLm2EEEEviT0_T1_.uses_flat_scratch, 0
	.set _ZN2at6native29vectorized_elementwise_kernelILi8EZZZNS0_12_GLOBAL__N_119launch_clamp_scalarERNS_18TensorIteratorBaseEN3c106ScalarES6_NS0_6detail11ClampLimitsEENKUlvE_clEvENKUlvE5_clEvEUlfE_St5arrayIPcLm2EEEEviT0_T1_.has_dyn_sized_stack, 0
	.set _ZN2at6native29vectorized_elementwise_kernelILi8EZZZNS0_12_GLOBAL__N_119launch_clamp_scalarERNS_18TensorIteratorBaseEN3c106ScalarES6_NS0_6detail11ClampLimitsEENKUlvE_clEvENKUlvE5_clEvEUlfE_St5arrayIPcLm2EEEEviT0_T1_.has_recursion, 0
	.set _ZN2at6native29vectorized_elementwise_kernelILi8EZZZNS0_12_GLOBAL__N_119launch_clamp_scalarERNS_18TensorIteratorBaseEN3c106ScalarES6_NS0_6detail11ClampLimitsEENKUlvE_clEvENKUlvE5_clEvEUlfE_St5arrayIPcLm2EEEEviT0_T1_.has_indirect_call, 0
	.section	.AMDGPU.csdata,"",@progbits
; Kernel info:
; codeLenInByte = 2244
; TotalNumSgprs: 16
; NumVgprs: 14
; ScratchSize: 0
; MemoryBound: 0
; FloatMode: 240
; IeeeMode: 1
; LDSByteSize: 0 bytes/workgroup (compile time only)
; SGPRBlocks: 0
; VGPRBlocks: 0
; NumSGPRsForWavesPerEU: 16
; NumVGPRsForWavesPerEU: 14
; NamedBarCnt: 0
; Occupancy: 16
; WaveLimiterHint : 0
; COMPUTE_PGM_RSRC2:SCRATCH_EN: 0
; COMPUTE_PGM_RSRC2:USER_SGPR: 2
; COMPUTE_PGM_RSRC2:TRAP_HANDLER: 0
; COMPUTE_PGM_RSRC2:TGID_X_EN: 1
; COMPUTE_PGM_RSRC2:TGID_Y_EN: 0
; COMPUTE_PGM_RSRC2:TGID_Z_EN: 0
; COMPUTE_PGM_RSRC2:TIDIG_COMP_CNT: 0
	.section	.text._ZN2at6native29vectorized_elementwise_kernelILi4EZZZNS0_12_GLOBAL__N_119launch_clamp_scalarERNS_18TensorIteratorBaseEN3c106ScalarES6_NS0_6detail11ClampLimitsEENKUlvE_clEvENKUlvE5_clEvEUlfE_St5arrayIPcLm2EEEEviT0_T1_,"axG",@progbits,_ZN2at6native29vectorized_elementwise_kernelILi4EZZZNS0_12_GLOBAL__N_119launch_clamp_scalarERNS_18TensorIteratorBaseEN3c106ScalarES6_NS0_6detail11ClampLimitsEENKUlvE_clEvENKUlvE5_clEvEUlfE_St5arrayIPcLm2EEEEviT0_T1_,comdat
	.globl	_ZN2at6native29vectorized_elementwise_kernelILi4EZZZNS0_12_GLOBAL__N_119launch_clamp_scalarERNS_18TensorIteratorBaseEN3c106ScalarES6_NS0_6detail11ClampLimitsEENKUlvE_clEvENKUlvE5_clEvEUlfE_St5arrayIPcLm2EEEEviT0_T1_ ; -- Begin function _ZN2at6native29vectorized_elementwise_kernelILi4EZZZNS0_12_GLOBAL__N_119launch_clamp_scalarERNS_18TensorIteratorBaseEN3c106ScalarES6_NS0_6detail11ClampLimitsEENKUlvE_clEvENKUlvE5_clEvEUlfE_St5arrayIPcLm2EEEEviT0_T1_
	.p2align	8
	.type	_ZN2at6native29vectorized_elementwise_kernelILi4EZZZNS0_12_GLOBAL__N_119launch_clamp_scalarERNS_18TensorIteratorBaseEN3c106ScalarES6_NS0_6detail11ClampLimitsEENKUlvE_clEvENKUlvE5_clEvEUlfE_St5arrayIPcLm2EEEEviT0_T1_,@function
_ZN2at6native29vectorized_elementwise_kernelILi4EZZZNS0_12_GLOBAL__N_119launch_clamp_scalarERNS_18TensorIteratorBaseEN3c106ScalarES6_NS0_6detail11ClampLimitsEENKUlvE_clEvENKUlvE5_clEvEUlfE_St5arrayIPcLm2EEEEviT0_T1_: ; @_ZN2at6native29vectorized_elementwise_kernelILi4EZZZNS0_12_GLOBAL__N_119launch_clamp_scalarERNS_18TensorIteratorBaseEN3c106ScalarES6_NS0_6detail11ClampLimitsEENKUlvE_clEvENKUlvE5_clEvEUlfE_St5arrayIPcLm2EEEEviT0_T1_
; %bb.0:
	s_load_b256 s[4:11], s[0:1], 0x0
	s_wait_xcnt 0x0
	s_bfe_u32 s0, ttmp6, 0x4000c
	s_and_b32 s1, ttmp6, 15
	s_add_co_i32 s0, s0, 1
	s_getreg_b32 s2, hwreg(HW_REG_IB_STS2, 6, 4)
	s_mul_i32 s0, ttmp9, s0
	s_delay_alu instid0(SALU_CYCLE_1) | instskip(SKIP_2) | instid1(SALU_CYCLE_1)
	s_add_co_i32 s1, s1, s0
	s_cmp_eq_u32 s2, 0
	s_cselect_b32 s0, ttmp9, s1
	s_lshl_b32 s2, s0, 10
	s_mov_b32 s0, -1
	s_wait_kmcnt 0x0
	s_sub_co_i32 s4, s4, s2
	s_delay_alu instid0(SALU_CYCLE_1)
	s_cmp_gt_i32 s4, 0x3ff
	s_cbranch_scc0 .LBB218_53
; %bb.1:
	s_ashr_i32 s3, s2, 31
	s_delay_alu instid0(SALU_CYCLE_1)
	s_lshl_b64 s[0:1], s[2:3], 2
	s_mov_b32 s3, exec_lo
	s_add_nc_u64 s[12:13], s[10:11], s[0:1]
	global_load_b128 v[2:5], v0, s[12:13] scale_offset
	s_wait_loadcnt 0x0
	v_cmpx_o_f32_e32 v2, v2
	s_cbranch_execz .LBB218_13
; %bb.2:
	s_cmp_lt_i32 s5, 1
	s_mov_b32 s12, 0
	s_cbranch_scc1 .LBB218_5
; %bb.3:
	s_cmp_eq_u32 s5, 1
	s_cbranch_scc0 .LBB218_6
; %bb.4:
	v_max_num_f32_e64 v1, s6, s6
	v_max_num_f32_e32 v6, v2, v2
	s_mov_b32 s13, 0
	s_delay_alu instid0(VALU_DEP_1)
	v_min_num_f32_e32 v1, v6, v1
	s_branch .LBB218_7
.LBB218_5:
	s_mov_b32 s13, 0
                                        ; implicit-def: $vgpr1
	s_cbranch_execnz .LBB218_8
	s_branch .LBB218_9
.LBB218_6:
	s_mov_b32 s13, -1
                                        ; implicit-def: $vgpr1
.LBB218_7:
	s_branch .LBB218_9
.LBB218_8:
	s_cmp_lg_u32 s5, 0
	s_mov_b32 s12, -1
	s_cselect_b32 s13, -1, 0
.LBB218_9:
	v_max_num_f32_e32 v2, v2, v2
	s_and_not1_b32 vcc_lo, exec_lo, s13
	s_cbranch_vccz .LBB218_17
; %bb.10:
	s_and_not1_b32 vcc_lo, exec_lo, s12
	s_cbranch_vccnz .LBB218_12
.LBB218_11:
	v_max_num_f32_e64 v1, s6, s6
	s_delay_alu instid0(VALU_DEP_1)
	v_max_num_f32_e32 v1, v2, v1
.LBB218_12:
	s_delay_alu instid0(VALU_DEP_1)
	v_mov_b32_e32 v2, v1
.LBB218_13:
	s_or_b32 exec_lo, exec_lo, s3
	s_delay_alu instid0(SALU_CYCLE_1)
	s_mov_b32 s3, exec_lo
	v_cmpx_o_f32_e32 v3, v3
	s_cbranch_execz .LBB218_26
; %bb.14:
	s_cmp_lt_i32 s5, 1
	s_mov_b32 s12, 0
	s_cbranch_scc1 .LBB218_18
; %bb.15:
	s_cmp_eq_u32 s5, 1
	s_cbranch_scc0 .LBB218_19
; %bb.16:
	v_max_num_f32_e64 v1, s6, s6
	v_max_num_f32_e32 v6, v3, v3
	s_mov_b32 s13, 0
	s_delay_alu instid0(VALU_DEP_1)
	v_min_num_f32_e32 v1, v6, v1
	s_branch .LBB218_20
.LBB218_17:
	v_max_num_f32_e64 v1, s6, s6
	v_max_num_f32_e64 v6, s7, s7
	s_delay_alu instid0(VALU_DEP_1)
	v_maxmin_num_f32 v1, v2, v1, v6
	s_cbranch_execz .LBB218_11
	s_branch .LBB218_12
.LBB218_18:
	s_mov_b32 s13, 0
                                        ; implicit-def: $vgpr1
	s_cbranch_execnz .LBB218_21
	s_branch .LBB218_22
.LBB218_19:
	s_mov_b32 s13, -1
                                        ; implicit-def: $vgpr1
.LBB218_20:
	s_branch .LBB218_22
.LBB218_21:
	s_cmp_lg_u32 s5, 0
	s_mov_b32 s12, -1
	s_cselect_b32 s13, -1, 0
.LBB218_22:
	v_max_num_f32_e32 v3, v3, v3
	s_and_not1_b32 vcc_lo, exec_lo, s13
	s_cbranch_vccz .LBB218_30
; %bb.23:
	s_and_not1_b32 vcc_lo, exec_lo, s12
	s_cbranch_vccnz .LBB218_25
.LBB218_24:
	v_max_num_f32_e64 v1, s6, s6
	s_delay_alu instid0(VALU_DEP_1)
	v_max_num_f32_e32 v1, v3, v1
.LBB218_25:
	s_delay_alu instid0(VALU_DEP_1)
	v_mov_b32_e32 v3, v1
.LBB218_26:
	s_or_b32 exec_lo, exec_lo, s3
	s_delay_alu instid0(SALU_CYCLE_1)
	s_mov_b32 s3, exec_lo
	v_cmpx_o_f32_e32 v4, v4
	s_cbranch_execz .LBB218_39
; %bb.27:
	s_cmp_lt_i32 s5, 1
	s_mov_b32 s12, 0
	s_cbranch_scc1 .LBB218_31
; %bb.28:
	s_cmp_eq_u32 s5, 1
	s_cbranch_scc0 .LBB218_32
; %bb.29:
	v_max_num_f32_e64 v1, s6, s6
	v_max_num_f32_e32 v6, v4, v4
	s_mov_b32 s13, 0
	s_delay_alu instid0(VALU_DEP_1)
	v_min_num_f32_e32 v1, v6, v1
	s_branch .LBB218_33
.LBB218_30:
	v_max_num_f32_e64 v1, s6, s6
	v_max_num_f32_e64 v6, s7, s7
	s_delay_alu instid0(VALU_DEP_1)
	v_maxmin_num_f32 v1, v3, v1, v6
	s_cbranch_execz .LBB218_24
	s_branch .LBB218_25
.LBB218_31:
	s_mov_b32 s13, 0
                                        ; implicit-def: $vgpr1
	s_cbranch_execnz .LBB218_34
	s_branch .LBB218_35
.LBB218_32:
	s_mov_b32 s13, -1
                                        ; implicit-def: $vgpr1
.LBB218_33:
	s_branch .LBB218_35
.LBB218_34:
	s_cmp_lg_u32 s5, 0
	s_mov_b32 s12, -1
	s_cselect_b32 s13, -1, 0
.LBB218_35:
	v_max_num_f32_e32 v4, v4, v4
	s_and_not1_b32 vcc_lo, exec_lo, s13
	s_cbranch_vccz .LBB218_43
; %bb.36:
	s_and_not1_b32 vcc_lo, exec_lo, s12
	s_cbranch_vccnz .LBB218_38
.LBB218_37:
	v_max_num_f32_e64 v1, s6, s6
	s_delay_alu instid0(VALU_DEP_1)
	v_max_num_f32_e32 v1, v4, v1
.LBB218_38:
	s_delay_alu instid0(VALU_DEP_1)
	v_mov_b32_e32 v4, v1
.LBB218_39:
	s_or_b32 exec_lo, exec_lo, s3
	s_delay_alu instid0(SALU_CYCLE_1)
	s_mov_b32 s3, exec_lo
	v_cmpx_o_f32_e32 v5, v5
	s_cbranch_execz .LBB218_52
; %bb.40:
	s_cmp_lt_i32 s5, 1
	s_mov_b32 s12, 0
	s_cbranch_scc1 .LBB218_44
; %bb.41:
	s_cmp_eq_u32 s5, 1
	s_cbranch_scc0 .LBB218_45
; %bb.42:
	v_max_num_f32_e64 v1, s6, s6
	v_max_num_f32_e32 v6, v5, v5
	s_mov_b32 s13, 0
	s_delay_alu instid0(VALU_DEP_1)
	v_min_num_f32_e32 v1, v6, v1
	s_branch .LBB218_46
.LBB218_43:
	v_max_num_f32_e64 v1, s6, s6
	v_max_num_f32_e64 v6, s7, s7
	s_delay_alu instid0(VALU_DEP_1)
	v_maxmin_num_f32 v1, v4, v1, v6
	s_cbranch_execz .LBB218_37
	s_branch .LBB218_38
.LBB218_44:
	s_mov_b32 s13, 0
                                        ; implicit-def: $vgpr1
	s_cbranch_execnz .LBB218_47
	s_branch .LBB218_48
.LBB218_45:
	s_mov_b32 s13, -1
                                        ; implicit-def: $vgpr1
.LBB218_46:
	s_branch .LBB218_48
.LBB218_47:
	s_cmp_lg_u32 s5, 0
	s_mov_b32 s12, -1
	s_cselect_b32 s13, -1, 0
.LBB218_48:
	v_max_num_f32_e32 v5, v5, v5
	s_and_not1_b32 vcc_lo, exec_lo, s13
	s_cbranch_vccz .LBB218_67
; %bb.49:
	s_and_not1_b32 vcc_lo, exec_lo, s12
	s_cbranch_vccnz .LBB218_51
.LBB218_50:
	v_max_num_f32_e64 v1, s6, s6
	s_delay_alu instid0(VALU_DEP_1)
	v_max_num_f32_e32 v1, v5, v1
.LBB218_51:
	s_delay_alu instid0(VALU_DEP_1)
	v_mov_b32_e32 v5, v1
.LBB218_52:
	s_or_b32 exec_lo, exec_lo, s3
	s_add_nc_u64 s[12:13], s[8:9], s[0:1]
	s_mov_b32 s0, 0
	global_store_b128 v0, v[2:5], s[12:13] scale_offset
.LBB218_53:
	s_and_b32 vcc_lo, exec_lo, s0
	s_cbranch_vccz .LBB218_130
; %bb.54:
	v_cmp_gt_i32_e64 s0, s4, v0
	v_dual_mov_b32 v13, 0 :: v_dual_bitop2_b32 v1, s2, v0 bitop3:0x54
	v_or_b32_e32 v10, 0x100, v0
	s_wait_xcnt 0x0
	v_dual_mov_b32 v6, 0 :: v_dual_mov_b32 v2, v0
	s_and_saveexec_b32 s1, s0
	s_cbranch_execz .LBB218_56
; %bb.55:
	global_load_b32 v6, v1, s[10:11] scale_offset
	v_or_b32_e32 v2, 0x100, v0
.LBB218_56:
	s_wait_xcnt 0x0
	s_or_b32 exec_lo, exec_lo, s1
	s_delay_alu instid0(SALU_CYCLE_1) | instskip(NEXT) | instid1(VALU_DEP_1)
	s_mov_b32 s1, exec_lo
	v_cmpx_gt_i32_e64 s4, v2
	s_cbranch_execz .LBB218_58
; %bb.57:
	v_add_nc_u32_e32 v3, s2, v2
	v_add_nc_u32_e32 v2, 0x100, v2
	global_load_b32 v13, v3, s[10:11] scale_offset
.LBB218_58:
	s_wait_xcnt 0x0
	s_or_b32 exec_lo, exec_lo, s1
	v_dual_mov_b32 v11, 0 :: v_dual_mov_b32 v12, 0
	s_mov_b32 s1, exec_lo
	v_cmpx_gt_i32_e64 s4, v2
	s_cbranch_execz .LBB218_60
; %bb.59:
	v_add_nc_u32_e32 v3, s2, v2
	v_add_nc_u32_e32 v2, 0x100, v2
	global_load_b32 v12, v3, s[10:11] scale_offset
.LBB218_60:
	s_wait_xcnt 0x0
	s_or_b32 exec_lo, exec_lo, s1
	s_delay_alu instid0(SALU_CYCLE_1)
	s_mov_b32 s1, exec_lo
	v_cmpx_gt_i32_e64 s4, v2
	s_cbranch_execz .LBB218_62
; %bb.61:
	v_add_nc_u32_e32 v2, s2, v2
	global_load_b32 v11, v2, s[10:11] scale_offset
.LBB218_62:
	s_wait_xcnt 0x0
	s_or_b32 exec_lo, exec_lo, s1
	v_mov_b32_e32 v2, 0
	s_delay_alu instid0(VALU_DEP_1)
	v_dual_mov_b32 v3, v2 :: v_dual_mov_b32 v4, v2
	v_mov_b32_e32 v5, v2
	s_and_saveexec_b32 s1, s0
	s_cbranch_execz .LBB218_77
; %bb.63:
	s_mov_b32 s3, exec_lo
	s_wait_loadcnt 0x0
	v_cmpx_o_f32_e32 v6, v6
	s_cbranch_execz .LBB218_76
; %bb.64:
	s_cmp_lt_i32 s5, 1
	s_mov_b32 s10, 0
	s_cbranch_scc1 .LBB218_68
; %bb.65:
	s_cmp_eq_u32 s5, 1
	s_cbranch_scc0 .LBB218_69
; %bb.66:
	v_max_num_f32_e64 v2, s6, s6
	v_max_num_f32_e32 v3, v6, v6
	s_mov_b32 s11, 0
	s_delay_alu instid0(VALU_DEP_1)
	v_min_num_f32_e32 v2, v3, v2
	s_branch .LBB218_70
.LBB218_67:
	v_max_num_f32_e64 v1, s6, s6
	v_max_num_f32_e64 v6, s7, s7
	s_delay_alu instid0(VALU_DEP_1)
	v_maxmin_num_f32 v1, v5, v1, v6
	s_cbranch_execz .LBB218_50
	s_branch .LBB218_51
.LBB218_68:
	s_mov_b32 s11, 0
                                        ; implicit-def: $vgpr2
	s_cbranch_execnz .LBB218_71
	s_branch .LBB218_72
.LBB218_69:
	s_mov_b32 s11, -1
                                        ; implicit-def: $vgpr2
.LBB218_70:
	s_branch .LBB218_72
.LBB218_71:
	s_cmp_lg_u32 s5, 0
	s_mov_b32 s10, -1
	s_cselect_b32 s11, -1, 0
.LBB218_72:
	v_max_num_f32_e32 v3, v6, v6
	s_and_not1_b32 vcc_lo, exec_lo, s11
	s_cbranch_vccz .LBB218_82
; %bb.73:
	s_and_not1_b32 vcc_lo, exec_lo, s10
	s_cbranch_vccnz .LBB218_75
.LBB218_74:
	v_max_num_f32_e64 v2, s6, s6
	s_delay_alu instid0(VALU_DEP_1)
	v_max_num_f32_e32 v2, v3, v2
.LBB218_75:
	s_delay_alu instid0(VALU_DEP_1)
	v_mov_b32_e32 v6, v2
.LBB218_76:
	s_or_b32 exec_lo, exec_lo, s3
	v_mov_b32_e32 v7, 0
	s_delay_alu instid0(VALU_DEP_1) | instskip(NEXT) | instid1(VALU_DEP_3)
	v_dual_mov_b32 v8, v7 :: v_dual_mov_b32 v9, v7
	v_mov_b64_e32 v[2:3], v[6:7]
	s_delay_alu instid0(VALU_DEP_2)
	v_mov_b64_e32 v[4:5], v[8:9]
.LBB218_77:
	s_or_b32 exec_lo, exec_lo, s1
	s_delay_alu instid0(SALU_CYCLE_1)
	s_mov_b32 s1, exec_lo
	v_cmpx_gt_i32_e64 s4, v10
	s_cbranch_execz .LBB218_92
; %bb.78:
	s_mov_b32 s3, exec_lo
	s_wait_loadcnt 0x0
	v_cmpx_o_f32_e32 v13, v13
	s_cbranch_execz .LBB218_91
; %bb.79:
	s_cmp_lt_i32 s5, 1
	s_mov_b32 s10, 0
	s_cbranch_scc1 .LBB218_83
; %bb.80:
	s_cmp_eq_u32 s5, 1
	s_cbranch_scc0 .LBB218_84
; %bb.81:
	v_max_num_f32_e64 v3, s6, s6
	v_max_num_f32_e32 v6, v13, v13
	s_mov_b32 s11, 0
	s_delay_alu instid0(VALU_DEP_1)
	v_min_num_f32_e32 v3, v6, v3
	s_branch .LBB218_85
.LBB218_82:
	v_max_num_f32_e64 v2, s6, s6
	v_max_num_f32_e64 v4, s7, s7
	s_delay_alu instid0(VALU_DEP_1)
	v_maxmin_num_f32 v2, v3, v2, v4
	s_cbranch_execz .LBB218_74
	s_branch .LBB218_75
.LBB218_83:
	s_mov_b32 s11, 0
                                        ; implicit-def: $vgpr3
	s_cbranch_execnz .LBB218_86
	s_branch .LBB218_87
.LBB218_84:
	s_mov_b32 s11, -1
                                        ; implicit-def: $vgpr3
.LBB218_85:
	s_branch .LBB218_87
.LBB218_86:
	s_cmp_lg_u32 s5, 0
	s_mov_b32 s10, -1
	s_cselect_b32 s11, -1, 0
.LBB218_87:
	v_max_num_f32_e32 v6, v13, v13
	s_and_not1_b32 vcc_lo, exec_lo, s11
	s_cbranch_vccz .LBB218_97
; %bb.88:
	s_and_not1_b32 vcc_lo, exec_lo, s10
	s_cbranch_vccnz .LBB218_90
.LBB218_89:
	v_max_num_f32_e64 v3, s6, s6
	s_delay_alu instid0(VALU_DEP_1)
	v_max_num_f32_e32 v3, v6, v3
.LBB218_90:
	s_delay_alu instid0(VALU_DEP_1)
	v_mov_b32_e32 v13, v3
.LBB218_91:
	s_or_b32 exec_lo, exec_lo, s3
	s_delay_alu instid0(VALU_DEP_1)
	v_mov_b32_e32 v3, v13
.LBB218_92:
	s_or_b32 exec_lo, exec_lo, s1
	s_wait_loadcnt 0x0
	v_or_b32_e32 v6, 0x200, v0
	s_mov_b32 s1, exec_lo
	s_delay_alu instid0(VALU_DEP_1)
	v_cmpx_gt_i32_e64 s4, v6
	s_cbranch_execz .LBB218_107
; %bb.93:
	s_mov_b32 s3, exec_lo
	v_cmpx_o_f32_e32 v12, v12
	s_cbranch_execz .LBB218_106
; %bb.94:
	s_cmp_lt_i32 s5, 1
	s_mov_b32 s10, 0
	s_cbranch_scc1 .LBB218_98
; %bb.95:
	s_cmp_eq_u32 s5, 1
	s_cbranch_scc0 .LBB218_99
; %bb.96:
	v_max_num_f32_e64 v4, s6, s6
	v_max_num_f32_e32 v6, v12, v12
	s_mov_b32 s11, 0
	s_delay_alu instid0(VALU_DEP_1)
	v_min_num_f32_e32 v4, v6, v4
	s_branch .LBB218_100
.LBB218_97:
	v_max_num_f32_e64 v3, s6, s6
	v_max_num_f32_e64 v7, s7, s7
	s_delay_alu instid0(VALU_DEP_1)
	v_maxmin_num_f32 v3, v6, v3, v7
	s_cbranch_execz .LBB218_89
	s_branch .LBB218_90
.LBB218_98:
	s_mov_b32 s11, 0
                                        ; implicit-def: $vgpr4
	s_cbranch_execnz .LBB218_101
	s_branch .LBB218_102
.LBB218_99:
	s_mov_b32 s11, -1
                                        ; implicit-def: $vgpr4
.LBB218_100:
	s_branch .LBB218_102
.LBB218_101:
	s_cmp_lg_u32 s5, 0
	s_mov_b32 s10, -1
	s_cselect_b32 s11, -1, 0
.LBB218_102:
	v_max_num_f32_e32 v6, v12, v12
	s_and_not1_b32 vcc_lo, exec_lo, s11
	s_cbranch_vccz .LBB218_117
; %bb.103:
	s_and_not1_b32 vcc_lo, exec_lo, s10
	s_cbranch_vccnz .LBB218_105
.LBB218_104:
	v_max_num_f32_e64 v4, s6, s6
	s_delay_alu instid0(VALU_DEP_1)
	v_max_num_f32_e32 v4, v6, v4
.LBB218_105:
	s_delay_alu instid0(VALU_DEP_1)
	v_mov_b32_e32 v12, v4
.LBB218_106:
	s_or_b32 exec_lo, exec_lo, s3
	s_delay_alu instid0(VALU_DEP_1)
	v_mov_b32_e32 v4, v12
.LBB218_107:
	s_or_b32 exec_lo, exec_lo, s1
	v_or_b32_e32 v6, 0x300, v0
	s_mov_b32 s1, exec_lo
	s_delay_alu instid0(VALU_DEP_1)
	v_cmpx_gt_i32_e64 s4, v6
	s_cbranch_execnz .LBB218_113
; %bb.108:
	s_or_b32 exec_lo, exec_lo, s1
	s_and_saveexec_b32 s1, s0
	s_delay_alu instid0(SALU_CYCLE_1)
	s_xor_b32 s0, exec_lo, s1
	s_cbranch_execnz .LBB218_127
.LBB218_109:
	s_or_b32 exec_lo, exec_lo, s0
	s_delay_alu instid0(SALU_CYCLE_1)
	s_mov_b32 s0, exec_lo
	v_cmpx_gt_i32_e64 s4, v0
	s_cbranch_execnz .LBB218_128
.LBB218_110:
	s_or_b32 exec_lo, exec_lo, s0
	s_delay_alu instid0(SALU_CYCLE_1)
	s_mov_b32 s0, exec_lo
	v_cmpx_gt_i32_e64 s4, v0
	s_cbranch_execnz .LBB218_129
.LBB218_111:
	s_or_b32 exec_lo, exec_lo, s0
	s_delay_alu instid0(SALU_CYCLE_1)
	s_mov_b32 s0, exec_lo
	v_cmpx_gt_i32_e64 s4, v0
	s_cbranch_execz .LBB218_130
.LBB218_112:
	v_add_nc_u32_e32 v0, s2, v0
	global_store_b32 v0, v5, s[8:9] scale_offset
	s_endpgm
.LBB218_113:
	s_mov_b32 s3, exec_lo
	v_cmpx_o_f32_e32 v11, v11
	s_cbranch_execz .LBB218_126
; %bb.114:
	s_cmp_lt_i32 s5, 1
	s_mov_b32 s10, 0
	s_cbranch_scc1 .LBB218_118
; %bb.115:
	s_cmp_eq_u32 s5, 1
	s_cbranch_scc0 .LBB218_119
; %bb.116:
	v_max_num_f32_e64 v5, s6, s6
	v_max_num_f32_e32 v6, v11, v11
	s_mov_b32 s11, 0
	s_delay_alu instid0(VALU_DEP_1)
	v_min_num_f32_e32 v5, v6, v5
	s_branch .LBB218_120
.LBB218_117:
	v_max_num_f32_e64 v4, s6, s6
	v_max_num_f32_e64 v7, s7, s7
	s_delay_alu instid0(VALU_DEP_1)
	v_maxmin_num_f32 v4, v6, v4, v7
	s_cbranch_execz .LBB218_104
	s_branch .LBB218_105
.LBB218_118:
	s_mov_b32 s11, 0
                                        ; implicit-def: $vgpr5
	s_cbranch_execnz .LBB218_121
	s_branch .LBB218_122
.LBB218_119:
	s_mov_b32 s11, -1
                                        ; implicit-def: $vgpr5
.LBB218_120:
	s_branch .LBB218_122
.LBB218_121:
	s_cmp_lg_u32 s5, 0
	s_mov_b32 s10, -1
	s_cselect_b32 s11, -1, 0
.LBB218_122:
	v_max_num_f32_e64 v6, s6, s6
	v_max_num_f32_e32 v7, v11, v11
	s_and_not1_b32 vcc_lo, exec_lo, s11
	s_cbranch_vccz .LBB218_131
; %bb.123:
	s_and_not1_b32 vcc_lo, exec_lo, s10
	s_cbranch_vccnz .LBB218_125
.LBB218_124:
	v_max_num_f32_e32 v5, v7, v6
.LBB218_125:
	s_delay_alu instid0(VALU_DEP_1)
	v_mov_b32_e32 v11, v5
.LBB218_126:
	s_or_b32 exec_lo, exec_lo, s3
	s_delay_alu instid0(VALU_DEP_1) | instskip(SKIP_2) | instid1(SALU_CYCLE_1)
	v_mov_b32_e32 v5, v11
	s_or_b32 exec_lo, exec_lo, s1
	s_and_saveexec_b32 s1, s0
	s_xor_b32 s0, exec_lo, s1
	s_cbranch_execz .LBB218_109
.LBB218_127:
	v_mov_b32_e32 v0, v10
	global_store_b32 v1, v2, s[8:9] scale_offset
	s_wait_xcnt 0x0
	s_or_b32 exec_lo, exec_lo, s0
	s_delay_alu instid0(SALU_CYCLE_1)
	s_mov_b32 s0, exec_lo
	v_cmpx_gt_i32_e64 s4, v0
	s_cbranch_execz .LBB218_110
.LBB218_128:
	v_add_nc_u32_e32 v1, s2, v0
	v_add_nc_u32_e32 v0, 0x100, v0
	global_store_b32 v1, v3, s[8:9] scale_offset
	s_wait_xcnt 0x0
	s_or_b32 exec_lo, exec_lo, s0
	s_delay_alu instid0(SALU_CYCLE_1)
	s_mov_b32 s0, exec_lo
	v_cmpx_gt_i32_e64 s4, v0
	s_cbranch_execz .LBB218_111
.LBB218_129:
	v_add_nc_u32_e32 v1, s2, v0
	v_add_nc_u32_e32 v0, 0x100, v0
	global_store_b32 v1, v4, s[8:9] scale_offset
	s_wait_xcnt 0x0
	s_or_b32 exec_lo, exec_lo, s0
	s_delay_alu instid0(SALU_CYCLE_1)
	s_mov_b32 s0, exec_lo
	v_cmpx_gt_i32_e64 s4, v0
	s_cbranch_execnz .LBB218_112
.LBB218_130:
	s_endpgm
.LBB218_131:
	v_max_num_f32_e64 v5, s7, s7
	s_delay_alu instid0(VALU_DEP_1)
	v_maxmin_num_f32 v5, v7, v6, v5
	s_cbranch_execz .LBB218_124
	s_branch .LBB218_125
	.section	.rodata,"a",@progbits
	.p2align	6, 0x0
	.amdhsa_kernel _ZN2at6native29vectorized_elementwise_kernelILi4EZZZNS0_12_GLOBAL__N_119launch_clamp_scalarERNS_18TensorIteratorBaseEN3c106ScalarES6_NS0_6detail11ClampLimitsEENKUlvE_clEvENKUlvE5_clEvEUlfE_St5arrayIPcLm2EEEEviT0_T1_
		.amdhsa_group_segment_fixed_size 0
		.amdhsa_private_segment_fixed_size 0
		.amdhsa_kernarg_size 32
		.amdhsa_user_sgpr_count 2
		.amdhsa_user_sgpr_dispatch_ptr 0
		.amdhsa_user_sgpr_queue_ptr 0
		.amdhsa_user_sgpr_kernarg_segment_ptr 1
		.amdhsa_user_sgpr_dispatch_id 0
		.amdhsa_user_sgpr_kernarg_preload_length 0
		.amdhsa_user_sgpr_kernarg_preload_offset 0
		.amdhsa_user_sgpr_private_segment_size 0
		.amdhsa_wavefront_size32 1
		.amdhsa_uses_dynamic_stack 0
		.amdhsa_enable_private_segment 0
		.amdhsa_system_sgpr_workgroup_id_x 1
		.amdhsa_system_sgpr_workgroup_id_y 0
		.amdhsa_system_sgpr_workgroup_id_z 0
		.amdhsa_system_sgpr_workgroup_info 0
		.amdhsa_system_vgpr_workitem_id 0
		.amdhsa_next_free_vgpr 14
		.amdhsa_next_free_sgpr 14
		.amdhsa_named_barrier_count 0
		.amdhsa_reserve_vcc 1
		.amdhsa_float_round_mode_32 0
		.amdhsa_float_round_mode_16_64 0
		.amdhsa_float_denorm_mode_32 3
		.amdhsa_float_denorm_mode_16_64 3
		.amdhsa_fp16_overflow 0
		.amdhsa_memory_ordered 1
		.amdhsa_forward_progress 1
		.amdhsa_inst_pref_size 18
		.amdhsa_round_robin_scheduling 0
		.amdhsa_exception_fp_ieee_invalid_op 0
		.amdhsa_exception_fp_denorm_src 0
		.amdhsa_exception_fp_ieee_div_zero 0
		.amdhsa_exception_fp_ieee_overflow 0
		.amdhsa_exception_fp_ieee_underflow 0
		.amdhsa_exception_fp_ieee_inexact 0
		.amdhsa_exception_int_div_zero 0
	.end_amdhsa_kernel
	.section	.text._ZN2at6native29vectorized_elementwise_kernelILi4EZZZNS0_12_GLOBAL__N_119launch_clamp_scalarERNS_18TensorIteratorBaseEN3c106ScalarES6_NS0_6detail11ClampLimitsEENKUlvE_clEvENKUlvE5_clEvEUlfE_St5arrayIPcLm2EEEEviT0_T1_,"axG",@progbits,_ZN2at6native29vectorized_elementwise_kernelILi4EZZZNS0_12_GLOBAL__N_119launch_clamp_scalarERNS_18TensorIteratorBaseEN3c106ScalarES6_NS0_6detail11ClampLimitsEENKUlvE_clEvENKUlvE5_clEvEUlfE_St5arrayIPcLm2EEEEviT0_T1_,comdat
.Lfunc_end218:
	.size	_ZN2at6native29vectorized_elementwise_kernelILi4EZZZNS0_12_GLOBAL__N_119launch_clamp_scalarERNS_18TensorIteratorBaseEN3c106ScalarES6_NS0_6detail11ClampLimitsEENKUlvE_clEvENKUlvE5_clEvEUlfE_St5arrayIPcLm2EEEEviT0_T1_, .Lfunc_end218-_ZN2at6native29vectorized_elementwise_kernelILi4EZZZNS0_12_GLOBAL__N_119launch_clamp_scalarERNS_18TensorIteratorBaseEN3c106ScalarES6_NS0_6detail11ClampLimitsEENKUlvE_clEvENKUlvE5_clEvEUlfE_St5arrayIPcLm2EEEEviT0_T1_
                                        ; -- End function
	.set _ZN2at6native29vectorized_elementwise_kernelILi4EZZZNS0_12_GLOBAL__N_119launch_clamp_scalarERNS_18TensorIteratorBaseEN3c106ScalarES6_NS0_6detail11ClampLimitsEENKUlvE_clEvENKUlvE5_clEvEUlfE_St5arrayIPcLm2EEEEviT0_T1_.num_vgpr, 14
	.set _ZN2at6native29vectorized_elementwise_kernelILi4EZZZNS0_12_GLOBAL__N_119launch_clamp_scalarERNS_18TensorIteratorBaseEN3c106ScalarES6_NS0_6detail11ClampLimitsEENKUlvE_clEvENKUlvE5_clEvEUlfE_St5arrayIPcLm2EEEEviT0_T1_.num_agpr, 0
	.set _ZN2at6native29vectorized_elementwise_kernelILi4EZZZNS0_12_GLOBAL__N_119launch_clamp_scalarERNS_18TensorIteratorBaseEN3c106ScalarES6_NS0_6detail11ClampLimitsEENKUlvE_clEvENKUlvE5_clEvEUlfE_St5arrayIPcLm2EEEEviT0_T1_.numbered_sgpr, 14
	.set _ZN2at6native29vectorized_elementwise_kernelILi4EZZZNS0_12_GLOBAL__N_119launch_clamp_scalarERNS_18TensorIteratorBaseEN3c106ScalarES6_NS0_6detail11ClampLimitsEENKUlvE_clEvENKUlvE5_clEvEUlfE_St5arrayIPcLm2EEEEviT0_T1_.num_named_barrier, 0
	.set _ZN2at6native29vectorized_elementwise_kernelILi4EZZZNS0_12_GLOBAL__N_119launch_clamp_scalarERNS_18TensorIteratorBaseEN3c106ScalarES6_NS0_6detail11ClampLimitsEENKUlvE_clEvENKUlvE5_clEvEUlfE_St5arrayIPcLm2EEEEviT0_T1_.private_seg_size, 0
	.set _ZN2at6native29vectorized_elementwise_kernelILi4EZZZNS0_12_GLOBAL__N_119launch_clamp_scalarERNS_18TensorIteratorBaseEN3c106ScalarES6_NS0_6detail11ClampLimitsEENKUlvE_clEvENKUlvE5_clEvEUlfE_St5arrayIPcLm2EEEEviT0_T1_.uses_vcc, 1
	.set _ZN2at6native29vectorized_elementwise_kernelILi4EZZZNS0_12_GLOBAL__N_119launch_clamp_scalarERNS_18TensorIteratorBaseEN3c106ScalarES6_NS0_6detail11ClampLimitsEENKUlvE_clEvENKUlvE5_clEvEUlfE_St5arrayIPcLm2EEEEviT0_T1_.uses_flat_scratch, 0
	.set _ZN2at6native29vectorized_elementwise_kernelILi4EZZZNS0_12_GLOBAL__N_119launch_clamp_scalarERNS_18TensorIteratorBaseEN3c106ScalarES6_NS0_6detail11ClampLimitsEENKUlvE_clEvENKUlvE5_clEvEUlfE_St5arrayIPcLm2EEEEviT0_T1_.has_dyn_sized_stack, 0
	.set _ZN2at6native29vectorized_elementwise_kernelILi4EZZZNS0_12_GLOBAL__N_119launch_clamp_scalarERNS_18TensorIteratorBaseEN3c106ScalarES6_NS0_6detail11ClampLimitsEENKUlvE_clEvENKUlvE5_clEvEUlfE_St5arrayIPcLm2EEEEviT0_T1_.has_recursion, 0
	.set _ZN2at6native29vectorized_elementwise_kernelILi4EZZZNS0_12_GLOBAL__N_119launch_clamp_scalarERNS_18TensorIteratorBaseEN3c106ScalarES6_NS0_6detail11ClampLimitsEENKUlvE_clEvENKUlvE5_clEvEUlfE_St5arrayIPcLm2EEEEviT0_T1_.has_indirect_call, 0
	.section	.AMDGPU.csdata,"",@progbits
; Kernel info:
; codeLenInByte = 2244
; TotalNumSgprs: 16
; NumVgprs: 14
; ScratchSize: 0
; MemoryBound: 0
; FloatMode: 240
; IeeeMode: 1
; LDSByteSize: 0 bytes/workgroup (compile time only)
; SGPRBlocks: 0
; VGPRBlocks: 0
; NumSGPRsForWavesPerEU: 16
; NumVGPRsForWavesPerEU: 14
; NamedBarCnt: 0
; Occupancy: 16
; WaveLimiterHint : 0
; COMPUTE_PGM_RSRC2:SCRATCH_EN: 0
; COMPUTE_PGM_RSRC2:USER_SGPR: 2
; COMPUTE_PGM_RSRC2:TRAP_HANDLER: 0
; COMPUTE_PGM_RSRC2:TGID_X_EN: 1
; COMPUTE_PGM_RSRC2:TGID_Y_EN: 0
; COMPUTE_PGM_RSRC2:TGID_Z_EN: 0
; COMPUTE_PGM_RSRC2:TIDIG_COMP_CNT: 0
	.section	.text._ZN2at6native29vectorized_elementwise_kernelILi2EZZZNS0_12_GLOBAL__N_119launch_clamp_scalarERNS_18TensorIteratorBaseEN3c106ScalarES6_NS0_6detail11ClampLimitsEENKUlvE_clEvENKUlvE5_clEvEUlfE_St5arrayIPcLm2EEEEviT0_T1_,"axG",@progbits,_ZN2at6native29vectorized_elementwise_kernelILi2EZZZNS0_12_GLOBAL__N_119launch_clamp_scalarERNS_18TensorIteratorBaseEN3c106ScalarES6_NS0_6detail11ClampLimitsEENKUlvE_clEvENKUlvE5_clEvEUlfE_St5arrayIPcLm2EEEEviT0_T1_,comdat
	.globl	_ZN2at6native29vectorized_elementwise_kernelILi2EZZZNS0_12_GLOBAL__N_119launch_clamp_scalarERNS_18TensorIteratorBaseEN3c106ScalarES6_NS0_6detail11ClampLimitsEENKUlvE_clEvENKUlvE5_clEvEUlfE_St5arrayIPcLm2EEEEviT0_T1_ ; -- Begin function _ZN2at6native29vectorized_elementwise_kernelILi2EZZZNS0_12_GLOBAL__N_119launch_clamp_scalarERNS_18TensorIteratorBaseEN3c106ScalarES6_NS0_6detail11ClampLimitsEENKUlvE_clEvENKUlvE5_clEvEUlfE_St5arrayIPcLm2EEEEviT0_T1_
	.p2align	8
	.type	_ZN2at6native29vectorized_elementwise_kernelILi2EZZZNS0_12_GLOBAL__N_119launch_clamp_scalarERNS_18TensorIteratorBaseEN3c106ScalarES6_NS0_6detail11ClampLimitsEENKUlvE_clEvENKUlvE5_clEvEUlfE_St5arrayIPcLm2EEEEviT0_T1_,@function
_ZN2at6native29vectorized_elementwise_kernelILi2EZZZNS0_12_GLOBAL__N_119launch_clamp_scalarERNS_18TensorIteratorBaseEN3c106ScalarES6_NS0_6detail11ClampLimitsEENKUlvE_clEvENKUlvE5_clEvEUlfE_St5arrayIPcLm2EEEEviT0_T1_: ; @_ZN2at6native29vectorized_elementwise_kernelILi2EZZZNS0_12_GLOBAL__N_119launch_clamp_scalarERNS_18TensorIteratorBaseEN3c106ScalarES6_NS0_6detail11ClampLimitsEENKUlvE_clEvENKUlvE5_clEvEUlfE_St5arrayIPcLm2EEEEviT0_T1_
; %bb.0:
	s_load_b256 s[4:11], s[0:1], 0x0
	s_wait_xcnt 0x0
	s_bfe_u32 s0, ttmp6, 0x4000c
	s_and_b32 s1, ttmp6, 15
	s_add_co_i32 s0, s0, 1
	s_getreg_b32 s2, hwreg(HW_REG_IB_STS2, 6, 4)
	s_mul_i32 s0, ttmp9, s0
	s_delay_alu instid0(SALU_CYCLE_1) | instskip(SKIP_2) | instid1(SALU_CYCLE_1)
	s_add_co_i32 s1, s1, s0
	s_cmp_eq_u32 s2, 0
	s_cselect_b32 s0, ttmp9, s1
	s_lshl_b32 s2, s0, 10
	s_mov_b32 s0, -1
	s_wait_kmcnt 0x0
	s_sub_co_i32 s4, s4, s2
	s_delay_alu instid0(SALU_CYCLE_1)
	s_cmp_gt_i32 s4, 0x3ff
	s_cbranch_scc0 .LBB219_53
; %bb.1:
	s_ashr_i32 s3, s2, 31
	s_delay_alu instid0(SALU_CYCLE_1)
	s_lshl_b64 s[0:1], s[2:3], 2
	s_mov_b32 s3, exec_lo
	s_add_nc_u64 s[12:13], s[10:11], s[0:1]
	s_clause 0x1
	global_load_b64 v[2:3], v0, s[12:13] scale_offset
	global_load_b64 v[4:5], v0, s[12:13] offset:2048 scale_offset
	s_wait_loadcnt 0x1
	s_wait_xcnt 0x0
	v_cmpx_o_f32_e32 v2, v2
	s_cbranch_execz .LBB219_13
; %bb.2:
	s_cmp_lt_i32 s5, 1
	s_mov_b32 s12, 0
	s_cbranch_scc1 .LBB219_5
; %bb.3:
	s_cmp_eq_u32 s5, 1
	s_cbranch_scc0 .LBB219_6
; %bb.4:
	v_max_num_f32_e64 v1, s6, s6
	v_max_num_f32_e32 v6, v2, v2
	s_mov_b32 s13, 0
	s_delay_alu instid0(VALU_DEP_1)
	v_min_num_f32_e32 v1, v6, v1
	s_branch .LBB219_7
.LBB219_5:
	s_mov_b32 s13, 0
                                        ; implicit-def: $vgpr1
	s_cbranch_execnz .LBB219_8
	s_branch .LBB219_9
.LBB219_6:
	s_mov_b32 s13, -1
                                        ; implicit-def: $vgpr1
.LBB219_7:
	s_branch .LBB219_9
.LBB219_8:
	s_cmp_lg_u32 s5, 0
	s_mov_b32 s12, -1
	s_cselect_b32 s13, -1, 0
.LBB219_9:
	v_max_num_f32_e32 v2, v2, v2
	s_and_not1_b32 vcc_lo, exec_lo, s13
	s_cbranch_vccz .LBB219_17
; %bb.10:
	s_and_not1_b32 vcc_lo, exec_lo, s12
	s_cbranch_vccnz .LBB219_12
.LBB219_11:
	v_max_num_f32_e64 v1, s6, s6
	s_delay_alu instid0(VALU_DEP_1)
	v_max_num_f32_e32 v1, v2, v1
.LBB219_12:
	s_delay_alu instid0(VALU_DEP_1)
	v_mov_b32_e32 v2, v1
.LBB219_13:
	s_or_b32 exec_lo, exec_lo, s3
	s_delay_alu instid0(SALU_CYCLE_1)
	s_mov_b32 s3, exec_lo
	v_cmpx_o_f32_e32 v3, v3
	s_cbranch_execz .LBB219_26
; %bb.14:
	s_cmp_lt_i32 s5, 1
	s_mov_b32 s12, 0
	s_cbranch_scc1 .LBB219_18
; %bb.15:
	s_cmp_eq_u32 s5, 1
	s_cbranch_scc0 .LBB219_19
; %bb.16:
	v_max_num_f32_e64 v1, s6, s6
	v_max_num_f32_e32 v6, v3, v3
	s_mov_b32 s13, 0
	s_delay_alu instid0(VALU_DEP_1)
	v_min_num_f32_e32 v1, v6, v1
	s_branch .LBB219_20
.LBB219_17:
	v_max_num_f32_e64 v1, s6, s6
	v_max_num_f32_e64 v6, s7, s7
	s_delay_alu instid0(VALU_DEP_1)
	v_maxmin_num_f32 v1, v2, v1, v6
	s_cbranch_execz .LBB219_11
	s_branch .LBB219_12
.LBB219_18:
	s_mov_b32 s13, 0
                                        ; implicit-def: $vgpr1
	s_cbranch_execnz .LBB219_21
	s_branch .LBB219_22
.LBB219_19:
	s_mov_b32 s13, -1
                                        ; implicit-def: $vgpr1
.LBB219_20:
	s_branch .LBB219_22
.LBB219_21:
	s_cmp_lg_u32 s5, 0
	s_mov_b32 s12, -1
	s_cselect_b32 s13, -1, 0
.LBB219_22:
	v_max_num_f32_e32 v3, v3, v3
	s_and_not1_b32 vcc_lo, exec_lo, s13
	s_cbranch_vccz .LBB219_30
; %bb.23:
	s_and_not1_b32 vcc_lo, exec_lo, s12
	s_cbranch_vccnz .LBB219_25
.LBB219_24:
	v_max_num_f32_e64 v1, s6, s6
	s_delay_alu instid0(VALU_DEP_1)
	v_max_num_f32_e32 v1, v3, v1
.LBB219_25:
	s_delay_alu instid0(VALU_DEP_1)
	v_mov_b32_e32 v3, v1
.LBB219_26:
	s_or_b32 exec_lo, exec_lo, s3
	s_delay_alu instid0(SALU_CYCLE_1)
	s_mov_b32 s3, exec_lo
	s_wait_loadcnt 0x0
	v_cmpx_o_f32_e32 v4, v4
	s_cbranch_execz .LBB219_39
; %bb.27:
	s_cmp_lt_i32 s5, 1
	s_mov_b32 s12, 0
	s_cbranch_scc1 .LBB219_31
; %bb.28:
	s_cmp_eq_u32 s5, 1
	s_cbranch_scc0 .LBB219_32
; %bb.29:
	v_max_num_f32_e64 v1, s6, s6
	v_max_num_f32_e32 v6, v4, v4
	s_mov_b32 s13, 0
	s_delay_alu instid0(VALU_DEP_1)
	v_min_num_f32_e32 v1, v6, v1
	s_branch .LBB219_33
.LBB219_30:
	v_max_num_f32_e64 v1, s6, s6
	v_max_num_f32_e64 v6, s7, s7
	s_delay_alu instid0(VALU_DEP_1)
	v_maxmin_num_f32 v1, v3, v1, v6
	s_cbranch_execz .LBB219_24
	s_branch .LBB219_25
.LBB219_31:
	s_mov_b32 s13, 0
                                        ; implicit-def: $vgpr1
	s_cbranch_execnz .LBB219_34
	s_branch .LBB219_35
.LBB219_32:
	s_mov_b32 s13, -1
                                        ; implicit-def: $vgpr1
.LBB219_33:
	s_branch .LBB219_35
.LBB219_34:
	s_cmp_lg_u32 s5, 0
	s_mov_b32 s12, -1
	s_cselect_b32 s13, -1, 0
.LBB219_35:
	v_max_num_f32_e32 v4, v4, v4
	s_and_not1_b32 vcc_lo, exec_lo, s13
	s_cbranch_vccz .LBB219_43
; %bb.36:
	s_and_not1_b32 vcc_lo, exec_lo, s12
	s_cbranch_vccnz .LBB219_38
.LBB219_37:
	v_max_num_f32_e64 v1, s6, s6
	s_delay_alu instid0(VALU_DEP_1)
	v_max_num_f32_e32 v1, v4, v1
.LBB219_38:
	s_delay_alu instid0(VALU_DEP_1)
	v_mov_b32_e32 v4, v1
.LBB219_39:
	s_or_b32 exec_lo, exec_lo, s3
	s_delay_alu instid0(SALU_CYCLE_1)
	s_mov_b32 s3, exec_lo
	v_cmpx_o_f32_e32 v5, v5
	s_cbranch_execz .LBB219_52
; %bb.40:
	s_cmp_lt_i32 s5, 1
	s_mov_b32 s12, 0
	s_cbranch_scc1 .LBB219_44
; %bb.41:
	s_cmp_eq_u32 s5, 1
	s_cbranch_scc0 .LBB219_45
; %bb.42:
	v_max_num_f32_e64 v1, s6, s6
	v_max_num_f32_e32 v6, v5, v5
	s_mov_b32 s13, 0
	s_delay_alu instid0(VALU_DEP_1)
	v_min_num_f32_e32 v1, v6, v1
	s_branch .LBB219_46
.LBB219_43:
	v_max_num_f32_e64 v1, s6, s6
	v_max_num_f32_e64 v6, s7, s7
	s_delay_alu instid0(VALU_DEP_1)
	v_maxmin_num_f32 v1, v4, v1, v6
	s_cbranch_execz .LBB219_37
	s_branch .LBB219_38
.LBB219_44:
	s_mov_b32 s13, 0
                                        ; implicit-def: $vgpr1
	s_cbranch_execnz .LBB219_47
	s_branch .LBB219_48
.LBB219_45:
	s_mov_b32 s13, -1
                                        ; implicit-def: $vgpr1
.LBB219_46:
	s_branch .LBB219_48
.LBB219_47:
	s_cmp_lg_u32 s5, 0
	s_mov_b32 s12, -1
	s_cselect_b32 s13, -1, 0
.LBB219_48:
	v_max_num_f32_e32 v5, v5, v5
	s_and_not1_b32 vcc_lo, exec_lo, s13
	s_cbranch_vccz .LBB219_67
; %bb.49:
	s_and_not1_b32 vcc_lo, exec_lo, s12
	s_cbranch_vccnz .LBB219_51
.LBB219_50:
	v_max_num_f32_e64 v1, s6, s6
	s_delay_alu instid0(VALU_DEP_1)
	v_max_num_f32_e32 v1, v5, v1
.LBB219_51:
	s_delay_alu instid0(VALU_DEP_1)
	v_mov_b32_e32 v5, v1
.LBB219_52:
	s_or_b32 exec_lo, exec_lo, s3
	s_add_nc_u64 s[12:13], s[8:9], s[0:1]
	s_mov_b32 s0, 0
	s_clause 0x1
	global_store_b64 v0, v[2:3], s[12:13] scale_offset
	global_store_b64 v0, v[4:5], s[12:13] offset:2048 scale_offset
.LBB219_53:
	s_and_b32 vcc_lo, exec_lo, s0
	s_cbranch_vccz .LBB219_130
; %bb.54:
	v_cmp_gt_i32_e64 s0, s4, v0
	v_dual_mov_b32 v13, 0 :: v_dual_bitop2_b32 v1, s2, v0 bitop3:0x54
	v_or_b32_e32 v10, 0x100, v0
	s_wait_xcnt 0x1
	v_dual_mov_b32 v6, 0 :: v_dual_mov_b32 v2, v0
	s_wait_xcnt 0x0
	s_and_saveexec_b32 s1, s0
	s_cbranch_execz .LBB219_56
; %bb.55:
	global_load_b32 v6, v1, s[10:11] scale_offset
	v_or_b32_e32 v2, 0x100, v0
.LBB219_56:
	s_wait_xcnt 0x0
	s_or_b32 exec_lo, exec_lo, s1
	s_delay_alu instid0(SALU_CYCLE_1) | instskip(NEXT) | instid1(VALU_DEP_1)
	s_mov_b32 s1, exec_lo
	v_cmpx_gt_i32_e64 s4, v2
	s_cbranch_execz .LBB219_58
; %bb.57:
	v_add_nc_u32_e32 v3, s2, v2
	v_add_nc_u32_e32 v2, 0x100, v2
	global_load_b32 v13, v3, s[10:11] scale_offset
.LBB219_58:
	s_wait_xcnt 0x0
	s_or_b32 exec_lo, exec_lo, s1
	v_dual_mov_b32 v11, 0 :: v_dual_mov_b32 v12, 0
	s_mov_b32 s1, exec_lo
	v_cmpx_gt_i32_e64 s4, v2
	s_cbranch_execz .LBB219_60
; %bb.59:
	v_add_nc_u32_e32 v3, s2, v2
	v_add_nc_u32_e32 v2, 0x100, v2
	global_load_b32 v12, v3, s[10:11] scale_offset
.LBB219_60:
	s_wait_xcnt 0x0
	s_or_b32 exec_lo, exec_lo, s1
	s_delay_alu instid0(SALU_CYCLE_1)
	s_mov_b32 s1, exec_lo
	v_cmpx_gt_i32_e64 s4, v2
	s_cbranch_execz .LBB219_62
; %bb.61:
	v_add_nc_u32_e32 v2, s2, v2
	global_load_b32 v11, v2, s[10:11] scale_offset
.LBB219_62:
	s_wait_xcnt 0x0
	s_or_b32 exec_lo, exec_lo, s1
	v_mov_b32_e32 v2, 0
	s_delay_alu instid0(VALU_DEP_1)
	v_dual_mov_b32 v3, v2 :: v_dual_mov_b32 v4, v2
	v_mov_b32_e32 v5, v2
	s_and_saveexec_b32 s1, s0
	s_cbranch_execz .LBB219_77
; %bb.63:
	s_mov_b32 s3, exec_lo
	s_wait_loadcnt 0x0
	v_cmpx_o_f32_e32 v6, v6
	s_cbranch_execz .LBB219_76
; %bb.64:
	s_cmp_lt_i32 s5, 1
	s_mov_b32 s10, 0
	s_cbranch_scc1 .LBB219_68
; %bb.65:
	s_cmp_eq_u32 s5, 1
	s_cbranch_scc0 .LBB219_69
; %bb.66:
	v_max_num_f32_e64 v2, s6, s6
	v_max_num_f32_e32 v3, v6, v6
	s_mov_b32 s11, 0
	s_delay_alu instid0(VALU_DEP_1)
	v_min_num_f32_e32 v2, v3, v2
	s_branch .LBB219_70
.LBB219_67:
	v_max_num_f32_e64 v1, s6, s6
	v_max_num_f32_e64 v6, s7, s7
	s_delay_alu instid0(VALU_DEP_1)
	v_maxmin_num_f32 v1, v5, v1, v6
	s_cbranch_execz .LBB219_50
	s_branch .LBB219_51
.LBB219_68:
	s_mov_b32 s11, 0
                                        ; implicit-def: $vgpr2
	s_cbranch_execnz .LBB219_71
	s_branch .LBB219_72
.LBB219_69:
	s_mov_b32 s11, -1
                                        ; implicit-def: $vgpr2
.LBB219_70:
	s_branch .LBB219_72
.LBB219_71:
	s_cmp_lg_u32 s5, 0
	s_mov_b32 s10, -1
	s_cselect_b32 s11, -1, 0
.LBB219_72:
	v_max_num_f32_e32 v3, v6, v6
	s_and_not1_b32 vcc_lo, exec_lo, s11
	s_cbranch_vccz .LBB219_82
; %bb.73:
	s_and_not1_b32 vcc_lo, exec_lo, s10
	s_cbranch_vccnz .LBB219_75
.LBB219_74:
	v_max_num_f32_e64 v2, s6, s6
	s_delay_alu instid0(VALU_DEP_1)
	v_max_num_f32_e32 v2, v3, v2
.LBB219_75:
	s_delay_alu instid0(VALU_DEP_1)
	v_mov_b32_e32 v6, v2
.LBB219_76:
	s_or_b32 exec_lo, exec_lo, s3
	v_mov_b32_e32 v7, 0
	s_delay_alu instid0(VALU_DEP_1) | instskip(NEXT) | instid1(VALU_DEP_3)
	v_dual_mov_b32 v8, v7 :: v_dual_mov_b32 v9, v7
	v_mov_b64_e32 v[2:3], v[6:7]
	s_delay_alu instid0(VALU_DEP_2)
	v_mov_b64_e32 v[4:5], v[8:9]
.LBB219_77:
	s_or_b32 exec_lo, exec_lo, s1
	s_delay_alu instid0(SALU_CYCLE_1)
	s_mov_b32 s1, exec_lo
	v_cmpx_gt_i32_e64 s4, v10
	s_cbranch_execz .LBB219_92
; %bb.78:
	s_mov_b32 s3, exec_lo
	s_wait_loadcnt 0x0
	v_cmpx_o_f32_e32 v13, v13
	s_cbranch_execz .LBB219_91
; %bb.79:
	s_cmp_lt_i32 s5, 1
	s_mov_b32 s10, 0
	s_cbranch_scc1 .LBB219_83
; %bb.80:
	s_cmp_eq_u32 s5, 1
	s_cbranch_scc0 .LBB219_84
; %bb.81:
	v_max_num_f32_e64 v3, s6, s6
	v_max_num_f32_e32 v6, v13, v13
	s_mov_b32 s11, 0
	s_delay_alu instid0(VALU_DEP_1)
	v_min_num_f32_e32 v3, v6, v3
	s_branch .LBB219_85
.LBB219_82:
	v_max_num_f32_e64 v2, s6, s6
	v_max_num_f32_e64 v4, s7, s7
	s_delay_alu instid0(VALU_DEP_1)
	v_maxmin_num_f32 v2, v3, v2, v4
	s_cbranch_execz .LBB219_74
	s_branch .LBB219_75
.LBB219_83:
	s_mov_b32 s11, 0
                                        ; implicit-def: $vgpr3
	s_cbranch_execnz .LBB219_86
	s_branch .LBB219_87
.LBB219_84:
	s_mov_b32 s11, -1
                                        ; implicit-def: $vgpr3
.LBB219_85:
	s_branch .LBB219_87
.LBB219_86:
	s_cmp_lg_u32 s5, 0
	s_mov_b32 s10, -1
	s_cselect_b32 s11, -1, 0
.LBB219_87:
	v_max_num_f32_e32 v6, v13, v13
	s_and_not1_b32 vcc_lo, exec_lo, s11
	s_cbranch_vccz .LBB219_97
; %bb.88:
	s_and_not1_b32 vcc_lo, exec_lo, s10
	s_cbranch_vccnz .LBB219_90
.LBB219_89:
	v_max_num_f32_e64 v3, s6, s6
	s_delay_alu instid0(VALU_DEP_1)
	v_max_num_f32_e32 v3, v6, v3
.LBB219_90:
	s_delay_alu instid0(VALU_DEP_1)
	v_mov_b32_e32 v13, v3
.LBB219_91:
	s_or_b32 exec_lo, exec_lo, s3
	s_delay_alu instid0(VALU_DEP_1)
	v_mov_b32_e32 v3, v13
.LBB219_92:
	s_or_b32 exec_lo, exec_lo, s1
	s_wait_loadcnt 0x0
	v_or_b32_e32 v6, 0x200, v0
	s_mov_b32 s1, exec_lo
	s_delay_alu instid0(VALU_DEP_1)
	v_cmpx_gt_i32_e64 s4, v6
	s_cbranch_execz .LBB219_107
; %bb.93:
	s_mov_b32 s3, exec_lo
	v_cmpx_o_f32_e32 v12, v12
	s_cbranch_execz .LBB219_106
; %bb.94:
	s_cmp_lt_i32 s5, 1
	s_mov_b32 s10, 0
	s_cbranch_scc1 .LBB219_98
; %bb.95:
	s_cmp_eq_u32 s5, 1
	s_cbranch_scc0 .LBB219_99
; %bb.96:
	v_max_num_f32_e64 v4, s6, s6
	v_max_num_f32_e32 v6, v12, v12
	s_mov_b32 s11, 0
	s_delay_alu instid0(VALU_DEP_1)
	v_min_num_f32_e32 v4, v6, v4
	s_branch .LBB219_100
.LBB219_97:
	v_max_num_f32_e64 v3, s6, s6
	v_max_num_f32_e64 v7, s7, s7
	s_delay_alu instid0(VALU_DEP_1)
	v_maxmin_num_f32 v3, v6, v3, v7
	s_cbranch_execz .LBB219_89
	s_branch .LBB219_90
.LBB219_98:
	s_mov_b32 s11, 0
                                        ; implicit-def: $vgpr4
	s_cbranch_execnz .LBB219_101
	s_branch .LBB219_102
.LBB219_99:
	s_mov_b32 s11, -1
                                        ; implicit-def: $vgpr4
.LBB219_100:
	s_branch .LBB219_102
.LBB219_101:
	s_cmp_lg_u32 s5, 0
	s_mov_b32 s10, -1
	s_cselect_b32 s11, -1, 0
.LBB219_102:
	v_max_num_f32_e32 v6, v12, v12
	s_and_not1_b32 vcc_lo, exec_lo, s11
	s_cbranch_vccz .LBB219_117
; %bb.103:
	s_and_not1_b32 vcc_lo, exec_lo, s10
	s_cbranch_vccnz .LBB219_105
.LBB219_104:
	v_max_num_f32_e64 v4, s6, s6
	s_delay_alu instid0(VALU_DEP_1)
	v_max_num_f32_e32 v4, v6, v4
.LBB219_105:
	s_delay_alu instid0(VALU_DEP_1)
	v_mov_b32_e32 v12, v4
.LBB219_106:
	s_or_b32 exec_lo, exec_lo, s3
	s_delay_alu instid0(VALU_DEP_1)
	v_mov_b32_e32 v4, v12
.LBB219_107:
	s_or_b32 exec_lo, exec_lo, s1
	v_or_b32_e32 v6, 0x300, v0
	s_mov_b32 s1, exec_lo
	s_delay_alu instid0(VALU_DEP_1)
	v_cmpx_gt_i32_e64 s4, v6
	s_cbranch_execnz .LBB219_113
; %bb.108:
	s_or_b32 exec_lo, exec_lo, s1
	s_and_saveexec_b32 s1, s0
	s_delay_alu instid0(SALU_CYCLE_1)
	s_xor_b32 s0, exec_lo, s1
	s_cbranch_execnz .LBB219_127
.LBB219_109:
	s_or_b32 exec_lo, exec_lo, s0
	s_delay_alu instid0(SALU_CYCLE_1)
	s_mov_b32 s0, exec_lo
	v_cmpx_gt_i32_e64 s4, v0
	s_cbranch_execnz .LBB219_128
.LBB219_110:
	s_or_b32 exec_lo, exec_lo, s0
	s_delay_alu instid0(SALU_CYCLE_1)
	s_mov_b32 s0, exec_lo
	v_cmpx_gt_i32_e64 s4, v0
	s_cbranch_execnz .LBB219_129
.LBB219_111:
	s_or_b32 exec_lo, exec_lo, s0
	s_delay_alu instid0(SALU_CYCLE_1)
	s_mov_b32 s0, exec_lo
	v_cmpx_gt_i32_e64 s4, v0
	s_cbranch_execz .LBB219_130
.LBB219_112:
	v_add_nc_u32_e32 v0, s2, v0
	global_store_b32 v0, v5, s[8:9] scale_offset
	s_endpgm
.LBB219_113:
	s_mov_b32 s3, exec_lo
	v_cmpx_o_f32_e32 v11, v11
	s_cbranch_execz .LBB219_126
; %bb.114:
	s_cmp_lt_i32 s5, 1
	s_mov_b32 s10, 0
	s_cbranch_scc1 .LBB219_118
; %bb.115:
	s_cmp_eq_u32 s5, 1
	s_cbranch_scc0 .LBB219_119
; %bb.116:
	v_max_num_f32_e64 v5, s6, s6
	v_max_num_f32_e32 v6, v11, v11
	s_mov_b32 s11, 0
	s_delay_alu instid0(VALU_DEP_1)
	v_min_num_f32_e32 v5, v6, v5
	s_branch .LBB219_120
.LBB219_117:
	v_max_num_f32_e64 v4, s6, s6
	v_max_num_f32_e64 v7, s7, s7
	s_delay_alu instid0(VALU_DEP_1)
	v_maxmin_num_f32 v4, v6, v4, v7
	s_cbranch_execz .LBB219_104
	s_branch .LBB219_105
.LBB219_118:
	s_mov_b32 s11, 0
                                        ; implicit-def: $vgpr5
	s_cbranch_execnz .LBB219_121
	s_branch .LBB219_122
.LBB219_119:
	s_mov_b32 s11, -1
                                        ; implicit-def: $vgpr5
.LBB219_120:
	s_branch .LBB219_122
.LBB219_121:
	s_cmp_lg_u32 s5, 0
	s_mov_b32 s10, -1
	s_cselect_b32 s11, -1, 0
.LBB219_122:
	v_max_num_f32_e64 v6, s6, s6
	v_max_num_f32_e32 v7, v11, v11
	s_and_not1_b32 vcc_lo, exec_lo, s11
	s_cbranch_vccz .LBB219_131
; %bb.123:
	s_and_not1_b32 vcc_lo, exec_lo, s10
	s_cbranch_vccnz .LBB219_125
.LBB219_124:
	v_max_num_f32_e32 v5, v7, v6
.LBB219_125:
	s_delay_alu instid0(VALU_DEP_1)
	v_mov_b32_e32 v11, v5
.LBB219_126:
	s_or_b32 exec_lo, exec_lo, s3
	s_delay_alu instid0(VALU_DEP_1) | instskip(SKIP_2) | instid1(SALU_CYCLE_1)
	v_mov_b32_e32 v5, v11
	s_or_b32 exec_lo, exec_lo, s1
	s_and_saveexec_b32 s1, s0
	s_xor_b32 s0, exec_lo, s1
	s_cbranch_execz .LBB219_109
.LBB219_127:
	v_mov_b32_e32 v0, v10
	global_store_b32 v1, v2, s[8:9] scale_offset
	s_wait_xcnt 0x0
	s_or_b32 exec_lo, exec_lo, s0
	s_delay_alu instid0(SALU_CYCLE_1)
	s_mov_b32 s0, exec_lo
	v_cmpx_gt_i32_e64 s4, v0
	s_cbranch_execz .LBB219_110
.LBB219_128:
	v_add_nc_u32_e32 v1, s2, v0
	v_add_nc_u32_e32 v0, 0x100, v0
	global_store_b32 v1, v3, s[8:9] scale_offset
	s_wait_xcnt 0x0
	s_or_b32 exec_lo, exec_lo, s0
	s_delay_alu instid0(SALU_CYCLE_1)
	s_mov_b32 s0, exec_lo
	v_cmpx_gt_i32_e64 s4, v0
	s_cbranch_execz .LBB219_111
.LBB219_129:
	v_add_nc_u32_e32 v1, s2, v0
	v_add_nc_u32_e32 v0, 0x100, v0
	global_store_b32 v1, v4, s[8:9] scale_offset
	s_wait_xcnt 0x0
	s_or_b32 exec_lo, exec_lo, s0
	s_delay_alu instid0(SALU_CYCLE_1)
	s_mov_b32 s0, exec_lo
	v_cmpx_gt_i32_e64 s4, v0
	s_cbranch_execnz .LBB219_112
.LBB219_130:
	s_endpgm
.LBB219_131:
	v_max_num_f32_e64 v5, s7, s7
	s_delay_alu instid0(VALU_DEP_1)
	v_maxmin_num_f32 v5, v7, v6, v5
	s_cbranch_execz .LBB219_124
	s_branch .LBB219_125
	.section	.rodata,"a",@progbits
	.p2align	6, 0x0
	.amdhsa_kernel _ZN2at6native29vectorized_elementwise_kernelILi2EZZZNS0_12_GLOBAL__N_119launch_clamp_scalarERNS_18TensorIteratorBaseEN3c106ScalarES6_NS0_6detail11ClampLimitsEENKUlvE_clEvENKUlvE5_clEvEUlfE_St5arrayIPcLm2EEEEviT0_T1_
		.amdhsa_group_segment_fixed_size 0
		.amdhsa_private_segment_fixed_size 0
		.amdhsa_kernarg_size 32
		.amdhsa_user_sgpr_count 2
		.amdhsa_user_sgpr_dispatch_ptr 0
		.amdhsa_user_sgpr_queue_ptr 0
		.amdhsa_user_sgpr_kernarg_segment_ptr 1
		.amdhsa_user_sgpr_dispatch_id 0
		.amdhsa_user_sgpr_kernarg_preload_length 0
		.amdhsa_user_sgpr_kernarg_preload_offset 0
		.amdhsa_user_sgpr_private_segment_size 0
		.amdhsa_wavefront_size32 1
		.amdhsa_uses_dynamic_stack 0
		.amdhsa_enable_private_segment 0
		.amdhsa_system_sgpr_workgroup_id_x 1
		.amdhsa_system_sgpr_workgroup_id_y 0
		.amdhsa_system_sgpr_workgroup_id_z 0
		.amdhsa_system_sgpr_workgroup_info 0
		.amdhsa_system_vgpr_workitem_id 0
		.amdhsa_next_free_vgpr 14
		.amdhsa_next_free_sgpr 14
		.amdhsa_named_barrier_count 0
		.amdhsa_reserve_vcc 1
		.amdhsa_float_round_mode_32 0
		.amdhsa_float_round_mode_16_64 0
		.amdhsa_float_denorm_mode_32 3
		.amdhsa_float_denorm_mode_16_64 3
		.amdhsa_fp16_overflow 0
		.amdhsa_memory_ordered 1
		.amdhsa_forward_progress 1
		.amdhsa_inst_pref_size 18
		.amdhsa_round_robin_scheduling 0
		.amdhsa_exception_fp_ieee_invalid_op 0
		.amdhsa_exception_fp_denorm_src 0
		.amdhsa_exception_fp_ieee_div_zero 0
		.amdhsa_exception_fp_ieee_overflow 0
		.amdhsa_exception_fp_ieee_underflow 0
		.amdhsa_exception_fp_ieee_inexact 0
		.amdhsa_exception_int_div_zero 0
	.end_amdhsa_kernel
	.section	.text._ZN2at6native29vectorized_elementwise_kernelILi2EZZZNS0_12_GLOBAL__N_119launch_clamp_scalarERNS_18TensorIteratorBaseEN3c106ScalarES6_NS0_6detail11ClampLimitsEENKUlvE_clEvENKUlvE5_clEvEUlfE_St5arrayIPcLm2EEEEviT0_T1_,"axG",@progbits,_ZN2at6native29vectorized_elementwise_kernelILi2EZZZNS0_12_GLOBAL__N_119launch_clamp_scalarERNS_18TensorIteratorBaseEN3c106ScalarES6_NS0_6detail11ClampLimitsEENKUlvE_clEvENKUlvE5_clEvEUlfE_St5arrayIPcLm2EEEEviT0_T1_,comdat
.Lfunc_end219:
	.size	_ZN2at6native29vectorized_elementwise_kernelILi2EZZZNS0_12_GLOBAL__N_119launch_clamp_scalarERNS_18TensorIteratorBaseEN3c106ScalarES6_NS0_6detail11ClampLimitsEENKUlvE_clEvENKUlvE5_clEvEUlfE_St5arrayIPcLm2EEEEviT0_T1_, .Lfunc_end219-_ZN2at6native29vectorized_elementwise_kernelILi2EZZZNS0_12_GLOBAL__N_119launch_clamp_scalarERNS_18TensorIteratorBaseEN3c106ScalarES6_NS0_6detail11ClampLimitsEENKUlvE_clEvENKUlvE5_clEvEUlfE_St5arrayIPcLm2EEEEviT0_T1_
                                        ; -- End function
	.set _ZN2at6native29vectorized_elementwise_kernelILi2EZZZNS0_12_GLOBAL__N_119launch_clamp_scalarERNS_18TensorIteratorBaseEN3c106ScalarES6_NS0_6detail11ClampLimitsEENKUlvE_clEvENKUlvE5_clEvEUlfE_St5arrayIPcLm2EEEEviT0_T1_.num_vgpr, 14
	.set _ZN2at6native29vectorized_elementwise_kernelILi2EZZZNS0_12_GLOBAL__N_119launch_clamp_scalarERNS_18TensorIteratorBaseEN3c106ScalarES6_NS0_6detail11ClampLimitsEENKUlvE_clEvENKUlvE5_clEvEUlfE_St5arrayIPcLm2EEEEviT0_T1_.num_agpr, 0
	.set _ZN2at6native29vectorized_elementwise_kernelILi2EZZZNS0_12_GLOBAL__N_119launch_clamp_scalarERNS_18TensorIteratorBaseEN3c106ScalarES6_NS0_6detail11ClampLimitsEENKUlvE_clEvENKUlvE5_clEvEUlfE_St5arrayIPcLm2EEEEviT0_T1_.numbered_sgpr, 14
	.set _ZN2at6native29vectorized_elementwise_kernelILi2EZZZNS0_12_GLOBAL__N_119launch_clamp_scalarERNS_18TensorIteratorBaseEN3c106ScalarES6_NS0_6detail11ClampLimitsEENKUlvE_clEvENKUlvE5_clEvEUlfE_St5arrayIPcLm2EEEEviT0_T1_.num_named_barrier, 0
	.set _ZN2at6native29vectorized_elementwise_kernelILi2EZZZNS0_12_GLOBAL__N_119launch_clamp_scalarERNS_18TensorIteratorBaseEN3c106ScalarES6_NS0_6detail11ClampLimitsEENKUlvE_clEvENKUlvE5_clEvEUlfE_St5arrayIPcLm2EEEEviT0_T1_.private_seg_size, 0
	.set _ZN2at6native29vectorized_elementwise_kernelILi2EZZZNS0_12_GLOBAL__N_119launch_clamp_scalarERNS_18TensorIteratorBaseEN3c106ScalarES6_NS0_6detail11ClampLimitsEENKUlvE_clEvENKUlvE5_clEvEUlfE_St5arrayIPcLm2EEEEviT0_T1_.uses_vcc, 1
	.set _ZN2at6native29vectorized_elementwise_kernelILi2EZZZNS0_12_GLOBAL__N_119launch_clamp_scalarERNS_18TensorIteratorBaseEN3c106ScalarES6_NS0_6detail11ClampLimitsEENKUlvE_clEvENKUlvE5_clEvEUlfE_St5arrayIPcLm2EEEEviT0_T1_.uses_flat_scratch, 0
	.set _ZN2at6native29vectorized_elementwise_kernelILi2EZZZNS0_12_GLOBAL__N_119launch_clamp_scalarERNS_18TensorIteratorBaseEN3c106ScalarES6_NS0_6detail11ClampLimitsEENKUlvE_clEvENKUlvE5_clEvEUlfE_St5arrayIPcLm2EEEEviT0_T1_.has_dyn_sized_stack, 0
	.set _ZN2at6native29vectorized_elementwise_kernelILi2EZZZNS0_12_GLOBAL__N_119launch_clamp_scalarERNS_18TensorIteratorBaseEN3c106ScalarES6_NS0_6detail11ClampLimitsEENKUlvE_clEvENKUlvE5_clEvEUlfE_St5arrayIPcLm2EEEEviT0_T1_.has_recursion, 0
	.set _ZN2at6native29vectorized_elementwise_kernelILi2EZZZNS0_12_GLOBAL__N_119launch_clamp_scalarERNS_18TensorIteratorBaseEN3c106ScalarES6_NS0_6detail11ClampLimitsEENKUlvE_clEvENKUlvE5_clEvEUlfE_St5arrayIPcLm2EEEEviT0_T1_.has_indirect_call, 0
	.section	.AMDGPU.csdata,"",@progbits
; Kernel info:
; codeLenInByte = 2288
; TotalNumSgprs: 16
; NumVgprs: 14
; ScratchSize: 0
; MemoryBound: 0
; FloatMode: 240
; IeeeMode: 1
; LDSByteSize: 0 bytes/workgroup (compile time only)
; SGPRBlocks: 0
; VGPRBlocks: 0
; NumSGPRsForWavesPerEU: 16
; NumVGPRsForWavesPerEU: 14
; NamedBarCnt: 0
; Occupancy: 16
; WaveLimiterHint : 1
; COMPUTE_PGM_RSRC2:SCRATCH_EN: 0
; COMPUTE_PGM_RSRC2:USER_SGPR: 2
; COMPUTE_PGM_RSRC2:TRAP_HANDLER: 0
; COMPUTE_PGM_RSRC2:TGID_X_EN: 1
; COMPUTE_PGM_RSRC2:TGID_Y_EN: 0
; COMPUTE_PGM_RSRC2:TGID_Z_EN: 0
; COMPUTE_PGM_RSRC2:TIDIG_COMP_CNT: 0
	.section	.text._ZN2at6native27unrolled_elementwise_kernelIZZZNS0_12_GLOBAL__N_119launch_clamp_scalarERNS_18TensorIteratorBaseEN3c106ScalarES6_NS0_6detail11ClampLimitsEENKUlvE_clEvENKUlvE5_clEvEUlfE_St5arrayIPcLm2EELi4E23TrivialOffsetCalculatorILi1EjESG_NS0_6memory15LoadWithoutCastENSH_16StoreWithoutCastEEEviT_T0_T2_T3_T4_T5_,"axG",@progbits,_ZN2at6native27unrolled_elementwise_kernelIZZZNS0_12_GLOBAL__N_119launch_clamp_scalarERNS_18TensorIteratorBaseEN3c106ScalarES6_NS0_6detail11ClampLimitsEENKUlvE_clEvENKUlvE5_clEvEUlfE_St5arrayIPcLm2EELi4E23TrivialOffsetCalculatorILi1EjESG_NS0_6memory15LoadWithoutCastENSH_16StoreWithoutCastEEEviT_T0_T2_T3_T4_T5_,comdat
	.globl	_ZN2at6native27unrolled_elementwise_kernelIZZZNS0_12_GLOBAL__N_119launch_clamp_scalarERNS_18TensorIteratorBaseEN3c106ScalarES6_NS0_6detail11ClampLimitsEENKUlvE_clEvENKUlvE5_clEvEUlfE_St5arrayIPcLm2EELi4E23TrivialOffsetCalculatorILi1EjESG_NS0_6memory15LoadWithoutCastENSH_16StoreWithoutCastEEEviT_T0_T2_T3_T4_T5_ ; -- Begin function _ZN2at6native27unrolled_elementwise_kernelIZZZNS0_12_GLOBAL__N_119launch_clamp_scalarERNS_18TensorIteratorBaseEN3c106ScalarES6_NS0_6detail11ClampLimitsEENKUlvE_clEvENKUlvE5_clEvEUlfE_St5arrayIPcLm2EELi4E23TrivialOffsetCalculatorILi1EjESG_NS0_6memory15LoadWithoutCastENSH_16StoreWithoutCastEEEviT_T0_T2_T3_T4_T5_
	.p2align	8
	.type	_ZN2at6native27unrolled_elementwise_kernelIZZZNS0_12_GLOBAL__N_119launch_clamp_scalarERNS_18TensorIteratorBaseEN3c106ScalarES6_NS0_6detail11ClampLimitsEENKUlvE_clEvENKUlvE5_clEvEUlfE_St5arrayIPcLm2EELi4E23TrivialOffsetCalculatorILi1EjESG_NS0_6memory15LoadWithoutCastENSH_16StoreWithoutCastEEEviT_T0_T2_T3_T4_T5_,@function
_ZN2at6native27unrolled_elementwise_kernelIZZZNS0_12_GLOBAL__N_119launch_clamp_scalarERNS_18TensorIteratorBaseEN3c106ScalarES6_NS0_6detail11ClampLimitsEENKUlvE_clEvENKUlvE5_clEvEUlfE_St5arrayIPcLm2EELi4E23TrivialOffsetCalculatorILi1EjESG_NS0_6memory15LoadWithoutCastENSH_16StoreWithoutCastEEEviT_T0_T2_T3_T4_T5_: ; @_ZN2at6native27unrolled_elementwise_kernelIZZZNS0_12_GLOBAL__N_119launch_clamp_scalarERNS_18TensorIteratorBaseEN3c106ScalarES6_NS0_6detail11ClampLimitsEENKUlvE_clEvENKUlvE5_clEvEUlfE_St5arrayIPcLm2EELi4E23TrivialOffsetCalculatorILi1EjESG_NS0_6memory15LoadWithoutCastENSH_16StoreWithoutCastEEEviT_T0_T2_T3_T4_T5_
; %bb.0:
	s_load_b256 s[4:11], s[0:1], 0x0
	s_wait_xcnt 0x0
	s_bfe_u32 s0, ttmp6, 0x4000c
	s_and_b32 s1, ttmp6, 15
	s_add_co_i32 s0, s0, 1
	s_getreg_b32 s2, hwreg(HW_REG_IB_STS2, 6, 4)
	s_mul_i32 s0, ttmp9, s0
	v_dual_mov_b32 v13, 0 :: v_dual_mov_b32 v6, 0
	s_add_co_i32 s1, s1, s0
	s_cmp_eq_u32 s2, 0
	v_or_b32_e32 v1, 0x100, v0
	s_cselect_b32 s0, ttmp9, s1
	v_mov_b32_e32 v2, v0
	s_lshl_b32 s1, s0, 10
	s_delay_alu instid0(SALU_CYCLE_1) | instskip(SKIP_2) | instid1(SALU_CYCLE_1)
	v_or_b32_e32 v10, s1, v0
	s_wait_kmcnt 0x0
	s_sub_co_i32 s2, s4, s1
	v_cmp_gt_i32_e64 s0, s2, v0
	s_and_saveexec_b32 s3, s0
	s_cbranch_execz .LBB220_2
; %bb.1:
	global_load_b32 v6, v10, s[10:11] scale_offset
	v_or_b32_e32 v2, 0x100, v0
.LBB220_2:
	s_wait_xcnt 0x0
	s_or_b32 exec_lo, exec_lo, s3
	s_delay_alu instid0(SALU_CYCLE_1) | instskip(NEXT) | instid1(VALU_DEP_1)
	s_mov_b32 s3, exec_lo
	v_cmpx_gt_i32_e64 s2, v2
	s_cbranch_execz .LBB220_4
; %bb.3:
	v_add_nc_u32_e32 v3, s1, v2
	v_add_nc_u32_e32 v2, 0x100, v2
	global_load_b32 v13, v3, s[10:11] scale_offset
.LBB220_4:
	s_wait_xcnt 0x0
	s_or_b32 exec_lo, exec_lo, s3
	v_dual_mov_b32 v11, 0 :: v_dual_mov_b32 v12, 0
	s_mov_b32 s3, exec_lo
	v_cmpx_gt_i32_e64 s2, v2
	s_cbranch_execz .LBB220_6
; %bb.5:
	v_add_nc_u32_e32 v3, s1, v2
	v_add_nc_u32_e32 v2, 0x100, v2
	global_load_b32 v12, v3, s[10:11] scale_offset
.LBB220_6:
	s_wait_xcnt 0x0
	s_or_b32 exec_lo, exec_lo, s3
	s_delay_alu instid0(SALU_CYCLE_1)
	s_mov_b32 s3, exec_lo
	v_cmpx_gt_i32_e64 s2, v2
	s_cbranch_execz .LBB220_8
; %bb.7:
	v_add_nc_u32_e32 v2, s1, v2
	global_load_b32 v11, v2, s[10:11] scale_offset
.LBB220_8:
	s_wait_xcnt 0x0
	s_or_b32 exec_lo, exec_lo, s3
	v_mov_b32_e32 v2, 0
	s_delay_alu instid0(VALU_DEP_1)
	v_dual_mov_b32 v3, v2 :: v_dual_mov_b32 v4, v2
	v_mov_b32_e32 v5, v2
	s_and_saveexec_b32 s3, s0
	s_cbranch_execz .LBB220_22
; %bb.9:
	s_mov_b32 s4, exec_lo
	s_wait_loadcnt 0x0
	v_cmpx_o_f32_e32 v6, v6
	s_cbranch_execz .LBB220_21
; %bb.10:
	s_cmp_lt_i32 s5, 1
	s_mov_b32 s10, 0
	s_cbranch_scc1 .LBB220_13
; %bb.11:
	s_cmp_eq_u32 s5, 1
	s_cbranch_scc0 .LBB220_14
; %bb.12:
	v_max_num_f32_e64 v2, s6, s6
	v_max_num_f32_e32 v3, v6, v6
	s_mov_b32 s11, 0
	s_delay_alu instid0(VALU_DEP_1)
	v_min_num_f32_e32 v2, v3, v2
	s_branch .LBB220_15
.LBB220_13:
	s_mov_b32 s11, 0
                                        ; implicit-def: $vgpr2
	s_cbranch_execnz .LBB220_16
	s_branch .LBB220_17
.LBB220_14:
	s_mov_b32 s11, -1
                                        ; implicit-def: $vgpr2
.LBB220_15:
	s_branch .LBB220_17
.LBB220_16:
	s_cmp_lg_u32 s5, 0
	s_mov_b32 s10, -1
	s_cselect_b32 s11, -1, 0
.LBB220_17:
	v_max_num_f32_e32 v3, v6, v6
	s_and_not1_b32 vcc_lo, exec_lo, s11
	s_cbranch_vccz .LBB220_27
; %bb.18:
	s_and_not1_b32 vcc_lo, exec_lo, s10
	s_cbranch_vccnz .LBB220_20
.LBB220_19:
	v_max_num_f32_e64 v2, s6, s6
	s_delay_alu instid0(VALU_DEP_1)
	v_max_num_f32_e32 v2, v3, v2
.LBB220_20:
	s_delay_alu instid0(VALU_DEP_1)
	v_mov_b32_e32 v6, v2
.LBB220_21:
	s_or_b32 exec_lo, exec_lo, s4
	v_mov_b32_e32 v7, 0
	s_delay_alu instid0(VALU_DEP_1) | instskip(NEXT) | instid1(VALU_DEP_3)
	v_dual_mov_b32 v8, v7 :: v_dual_mov_b32 v9, v7
	v_mov_b64_e32 v[2:3], v[6:7]
	s_delay_alu instid0(VALU_DEP_2)
	v_mov_b64_e32 v[4:5], v[8:9]
.LBB220_22:
	s_or_b32 exec_lo, exec_lo, s3
	s_delay_alu instid0(SALU_CYCLE_1)
	s_mov_b32 s3, exec_lo
	v_cmpx_gt_i32_e64 s2, v1
	s_cbranch_execz .LBB220_37
; %bb.23:
	s_mov_b32 s4, exec_lo
	s_wait_loadcnt 0x0
	v_cmpx_o_f32_e32 v13, v13
	s_cbranch_execz .LBB220_36
; %bb.24:
	s_cmp_lt_i32 s5, 1
	s_mov_b32 s10, 0
	s_cbranch_scc1 .LBB220_28
; %bb.25:
	s_cmp_eq_u32 s5, 1
	s_cbranch_scc0 .LBB220_29
; %bb.26:
	v_max_num_f32_e64 v3, s6, s6
	v_max_num_f32_e32 v6, v13, v13
	s_mov_b32 s11, 0
	s_delay_alu instid0(VALU_DEP_1)
	v_min_num_f32_e32 v3, v6, v3
	s_branch .LBB220_30
.LBB220_27:
	v_max_num_f32_e64 v2, s6, s6
	v_max_num_f32_e64 v4, s7, s7
	s_delay_alu instid0(VALU_DEP_1)
	v_maxmin_num_f32 v2, v3, v2, v4
	s_cbranch_execz .LBB220_19
	s_branch .LBB220_20
.LBB220_28:
	s_mov_b32 s11, 0
                                        ; implicit-def: $vgpr3
	s_cbranch_execnz .LBB220_31
	s_branch .LBB220_32
.LBB220_29:
	s_mov_b32 s11, -1
                                        ; implicit-def: $vgpr3
.LBB220_30:
	s_branch .LBB220_32
.LBB220_31:
	s_cmp_lg_u32 s5, 0
	s_mov_b32 s10, -1
	s_cselect_b32 s11, -1, 0
.LBB220_32:
	v_max_num_f32_e32 v6, v13, v13
	s_and_not1_b32 vcc_lo, exec_lo, s11
	s_cbranch_vccz .LBB220_42
; %bb.33:
	s_and_not1_b32 vcc_lo, exec_lo, s10
	s_cbranch_vccnz .LBB220_35
.LBB220_34:
	v_max_num_f32_e64 v3, s6, s6
	s_delay_alu instid0(VALU_DEP_1)
	v_max_num_f32_e32 v3, v6, v3
.LBB220_35:
	s_delay_alu instid0(VALU_DEP_1)
	v_mov_b32_e32 v13, v3
.LBB220_36:
	s_or_b32 exec_lo, exec_lo, s4
	s_delay_alu instid0(VALU_DEP_1)
	v_mov_b32_e32 v3, v13
.LBB220_37:
	s_or_b32 exec_lo, exec_lo, s3
	s_wait_loadcnt 0x0
	v_or_b32_e32 v6, 0x200, v0
	s_mov_b32 s3, exec_lo
	s_delay_alu instid0(VALU_DEP_1)
	v_cmpx_gt_i32_e64 s2, v6
	s_cbranch_execz .LBB220_52
; %bb.38:
	s_mov_b32 s4, exec_lo
	v_cmpx_o_f32_e32 v12, v12
	s_cbranch_execz .LBB220_51
; %bb.39:
	s_cmp_lt_i32 s5, 1
	s_mov_b32 s10, 0
	s_cbranch_scc1 .LBB220_43
; %bb.40:
	s_cmp_eq_u32 s5, 1
	s_cbranch_scc0 .LBB220_44
; %bb.41:
	v_max_num_f32_e64 v4, s6, s6
	v_max_num_f32_e32 v6, v12, v12
	s_mov_b32 s11, 0
	s_delay_alu instid0(VALU_DEP_1)
	v_min_num_f32_e32 v4, v6, v4
	s_branch .LBB220_45
.LBB220_42:
	v_max_num_f32_e64 v3, s6, s6
	v_max_num_f32_e64 v7, s7, s7
	s_delay_alu instid0(VALU_DEP_1)
	v_maxmin_num_f32 v3, v6, v3, v7
	s_cbranch_execz .LBB220_34
	s_branch .LBB220_35
.LBB220_43:
	s_mov_b32 s11, 0
                                        ; implicit-def: $vgpr4
	s_cbranch_execnz .LBB220_46
	s_branch .LBB220_47
.LBB220_44:
	s_mov_b32 s11, -1
                                        ; implicit-def: $vgpr4
.LBB220_45:
	s_branch .LBB220_47
.LBB220_46:
	s_cmp_lg_u32 s5, 0
	s_mov_b32 s10, -1
	s_cselect_b32 s11, -1, 0
.LBB220_47:
	v_max_num_f32_e32 v6, v12, v12
	s_and_not1_b32 vcc_lo, exec_lo, s11
	s_cbranch_vccz .LBB220_62
; %bb.48:
	s_and_not1_b32 vcc_lo, exec_lo, s10
	s_cbranch_vccnz .LBB220_50
.LBB220_49:
	v_max_num_f32_e64 v4, s6, s6
	s_delay_alu instid0(VALU_DEP_1)
	v_max_num_f32_e32 v4, v6, v4
.LBB220_50:
	s_delay_alu instid0(VALU_DEP_1)
	v_mov_b32_e32 v12, v4
.LBB220_51:
	s_or_b32 exec_lo, exec_lo, s4
	s_delay_alu instid0(VALU_DEP_1)
	v_mov_b32_e32 v4, v12
.LBB220_52:
	s_or_b32 exec_lo, exec_lo, s3
	v_or_b32_e32 v6, 0x300, v0
	s_mov_b32 s3, exec_lo
	s_delay_alu instid0(VALU_DEP_1)
	v_cmpx_gt_i32_e64 s2, v6
	s_cbranch_execnz .LBB220_58
; %bb.53:
	s_or_b32 exec_lo, exec_lo, s3
	s_and_saveexec_b32 s3, s0
	s_delay_alu instid0(SALU_CYCLE_1)
	s_xor_b32 s0, exec_lo, s3
	s_cbranch_execnz .LBB220_72
.LBB220_54:
	s_or_b32 exec_lo, exec_lo, s0
	s_delay_alu instid0(SALU_CYCLE_1)
	s_mov_b32 s0, exec_lo
	v_cmpx_gt_i32_e64 s2, v0
	s_cbranch_execnz .LBB220_73
.LBB220_55:
	s_or_b32 exec_lo, exec_lo, s0
	s_delay_alu instid0(SALU_CYCLE_1)
	s_mov_b32 s0, exec_lo
	v_cmpx_gt_i32_e64 s2, v0
	s_cbranch_execnz .LBB220_74
.LBB220_56:
	s_or_b32 exec_lo, exec_lo, s0
	s_delay_alu instid0(SALU_CYCLE_1)
	s_mov_b32 s0, exec_lo
	v_cmpx_gt_i32_e64 s2, v0
	s_cbranch_execnz .LBB220_75
.LBB220_57:
	s_endpgm
.LBB220_58:
	s_mov_b32 s4, exec_lo
	v_cmpx_o_f32_e32 v11, v11
	s_cbranch_execz .LBB220_71
; %bb.59:
	s_cmp_lt_i32 s5, 1
	s_mov_b32 s10, 0
	s_cbranch_scc1 .LBB220_63
; %bb.60:
	s_cmp_eq_u32 s5, 1
	s_cbranch_scc0 .LBB220_64
; %bb.61:
	v_max_num_f32_e64 v5, s6, s6
	v_max_num_f32_e32 v6, v11, v11
	s_mov_b32 s11, 0
	s_delay_alu instid0(VALU_DEP_1)
	v_min_num_f32_e32 v5, v6, v5
	s_branch .LBB220_65
.LBB220_62:
	v_max_num_f32_e64 v4, s6, s6
	v_max_num_f32_e64 v7, s7, s7
	s_delay_alu instid0(VALU_DEP_1)
	v_maxmin_num_f32 v4, v6, v4, v7
	s_cbranch_execz .LBB220_49
	s_branch .LBB220_50
.LBB220_63:
	s_mov_b32 s11, 0
                                        ; implicit-def: $vgpr5
	s_cbranch_execnz .LBB220_66
	s_branch .LBB220_67
.LBB220_64:
	s_mov_b32 s11, -1
                                        ; implicit-def: $vgpr5
.LBB220_65:
	s_branch .LBB220_67
.LBB220_66:
	s_cmp_lg_u32 s5, 0
	s_mov_b32 s10, -1
	s_cselect_b32 s11, -1, 0
.LBB220_67:
	v_max_num_f32_e64 v6, s6, s6
	v_max_num_f32_e32 v7, v11, v11
	s_and_not1_b32 vcc_lo, exec_lo, s11
	s_cbranch_vccz .LBB220_76
; %bb.68:
	s_and_not1_b32 vcc_lo, exec_lo, s10
	s_cbranch_vccnz .LBB220_70
.LBB220_69:
	v_max_num_f32_e32 v5, v7, v6
.LBB220_70:
	s_delay_alu instid0(VALU_DEP_1)
	v_mov_b32_e32 v11, v5
.LBB220_71:
	s_or_b32 exec_lo, exec_lo, s4
	s_delay_alu instid0(VALU_DEP_1) | instskip(SKIP_2) | instid1(SALU_CYCLE_1)
	v_mov_b32_e32 v5, v11
	s_or_b32 exec_lo, exec_lo, s3
	s_and_saveexec_b32 s3, s0
	s_xor_b32 s0, exec_lo, s3
	s_cbranch_execz .LBB220_54
.LBB220_72:
	v_mov_b32_e32 v0, v1
	global_store_b32 v10, v2, s[8:9] scale_offset
	s_wait_xcnt 0x0
	s_or_b32 exec_lo, exec_lo, s0
	s_delay_alu instid0(SALU_CYCLE_1)
	s_mov_b32 s0, exec_lo
	v_cmpx_gt_i32_e64 s2, v0
	s_cbranch_execz .LBB220_55
.LBB220_73:
	v_add_nc_u32_e32 v1, 0x100, v0
	s_delay_alu instid0(VALU_DEP_1) | instskip(SKIP_3) | instid1(SALU_CYCLE_1)
	v_dual_add_nc_u32 v2, s1, v0 :: v_dual_mov_b32 v0, v1
	global_store_b32 v2, v3, s[8:9] scale_offset
	s_wait_xcnt 0x0
	s_or_b32 exec_lo, exec_lo, s0
	s_mov_b32 s0, exec_lo
	v_cmpx_gt_i32_e64 s2, v0
	s_cbranch_execz .LBB220_56
.LBB220_74:
	v_add_nc_u32_e32 v1, 0x100, v0
	s_delay_alu instid0(VALU_DEP_1) | instskip(SKIP_3) | instid1(SALU_CYCLE_1)
	v_dual_add_nc_u32 v2, s1, v0 :: v_dual_mov_b32 v0, v1
	global_store_b32 v2, v4, s[8:9] scale_offset
	s_wait_xcnt 0x0
	s_or_b32 exec_lo, exec_lo, s0
	s_mov_b32 s0, exec_lo
	v_cmpx_gt_i32_e64 s2, v0
	s_cbranch_execz .LBB220_57
.LBB220_75:
	v_add_nc_u32_e32 v0, s1, v0
	global_store_b32 v0, v5, s[8:9] scale_offset
	s_endpgm
.LBB220_76:
	v_max_num_f32_e64 v5, s7, s7
	s_delay_alu instid0(VALU_DEP_1)
	v_maxmin_num_f32 v5, v7, v6, v5
	s_cbranch_execz .LBB220_69
	s_branch .LBB220_70
	.section	.rodata,"a",@progbits
	.p2align	6, 0x0
	.amdhsa_kernel _ZN2at6native27unrolled_elementwise_kernelIZZZNS0_12_GLOBAL__N_119launch_clamp_scalarERNS_18TensorIteratorBaseEN3c106ScalarES6_NS0_6detail11ClampLimitsEENKUlvE_clEvENKUlvE5_clEvEUlfE_St5arrayIPcLm2EELi4E23TrivialOffsetCalculatorILi1EjESG_NS0_6memory15LoadWithoutCastENSH_16StoreWithoutCastEEEviT_T0_T2_T3_T4_T5_
		.amdhsa_group_segment_fixed_size 0
		.amdhsa_private_segment_fixed_size 0
		.amdhsa_kernarg_size 36
		.amdhsa_user_sgpr_count 2
		.amdhsa_user_sgpr_dispatch_ptr 0
		.amdhsa_user_sgpr_queue_ptr 0
		.amdhsa_user_sgpr_kernarg_segment_ptr 1
		.amdhsa_user_sgpr_dispatch_id 0
		.amdhsa_user_sgpr_kernarg_preload_length 0
		.amdhsa_user_sgpr_kernarg_preload_offset 0
		.amdhsa_user_sgpr_private_segment_size 0
		.amdhsa_wavefront_size32 1
		.amdhsa_uses_dynamic_stack 0
		.amdhsa_enable_private_segment 0
		.amdhsa_system_sgpr_workgroup_id_x 1
		.amdhsa_system_sgpr_workgroup_id_y 0
		.amdhsa_system_sgpr_workgroup_id_z 0
		.amdhsa_system_sgpr_workgroup_info 0
		.amdhsa_system_vgpr_workitem_id 0
		.amdhsa_next_free_vgpr 14
		.amdhsa_next_free_sgpr 12
		.amdhsa_named_barrier_count 0
		.amdhsa_reserve_vcc 1
		.amdhsa_float_round_mode_32 0
		.amdhsa_float_round_mode_16_64 0
		.amdhsa_float_denorm_mode_32 3
		.amdhsa_float_denorm_mode_16_64 3
		.amdhsa_fp16_overflow 0
		.amdhsa_memory_ordered 1
		.amdhsa_forward_progress 1
		.amdhsa_inst_pref_size 12
		.amdhsa_round_robin_scheduling 0
		.amdhsa_exception_fp_ieee_invalid_op 0
		.amdhsa_exception_fp_denorm_src 0
		.amdhsa_exception_fp_ieee_div_zero 0
		.amdhsa_exception_fp_ieee_overflow 0
		.amdhsa_exception_fp_ieee_underflow 0
		.amdhsa_exception_fp_ieee_inexact 0
		.amdhsa_exception_int_div_zero 0
	.end_amdhsa_kernel
	.section	.text._ZN2at6native27unrolled_elementwise_kernelIZZZNS0_12_GLOBAL__N_119launch_clamp_scalarERNS_18TensorIteratorBaseEN3c106ScalarES6_NS0_6detail11ClampLimitsEENKUlvE_clEvENKUlvE5_clEvEUlfE_St5arrayIPcLm2EELi4E23TrivialOffsetCalculatorILi1EjESG_NS0_6memory15LoadWithoutCastENSH_16StoreWithoutCastEEEviT_T0_T2_T3_T4_T5_,"axG",@progbits,_ZN2at6native27unrolled_elementwise_kernelIZZZNS0_12_GLOBAL__N_119launch_clamp_scalarERNS_18TensorIteratorBaseEN3c106ScalarES6_NS0_6detail11ClampLimitsEENKUlvE_clEvENKUlvE5_clEvEUlfE_St5arrayIPcLm2EELi4E23TrivialOffsetCalculatorILi1EjESG_NS0_6memory15LoadWithoutCastENSH_16StoreWithoutCastEEEviT_T0_T2_T3_T4_T5_,comdat
.Lfunc_end220:
	.size	_ZN2at6native27unrolled_elementwise_kernelIZZZNS0_12_GLOBAL__N_119launch_clamp_scalarERNS_18TensorIteratorBaseEN3c106ScalarES6_NS0_6detail11ClampLimitsEENKUlvE_clEvENKUlvE5_clEvEUlfE_St5arrayIPcLm2EELi4E23TrivialOffsetCalculatorILi1EjESG_NS0_6memory15LoadWithoutCastENSH_16StoreWithoutCastEEEviT_T0_T2_T3_T4_T5_, .Lfunc_end220-_ZN2at6native27unrolled_elementwise_kernelIZZZNS0_12_GLOBAL__N_119launch_clamp_scalarERNS_18TensorIteratorBaseEN3c106ScalarES6_NS0_6detail11ClampLimitsEENKUlvE_clEvENKUlvE5_clEvEUlfE_St5arrayIPcLm2EELi4E23TrivialOffsetCalculatorILi1EjESG_NS0_6memory15LoadWithoutCastENSH_16StoreWithoutCastEEEviT_T0_T2_T3_T4_T5_
                                        ; -- End function
	.set _ZN2at6native27unrolled_elementwise_kernelIZZZNS0_12_GLOBAL__N_119launch_clamp_scalarERNS_18TensorIteratorBaseEN3c106ScalarES6_NS0_6detail11ClampLimitsEENKUlvE_clEvENKUlvE5_clEvEUlfE_St5arrayIPcLm2EELi4E23TrivialOffsetCalculatorILi1EjESG_NS0_6memory15LoadWithoutCastENSH_16StoreWithoutCastEEEviT_T0_T2_T3_T4_T5_.num_vgpr, 14
	.set _ZN2at6native27unrolled_elementwise_kernelIZZZNS0_12_GLOBAL__N_119launch_clamp_scalarERNS_18TensorIteratorBaseEN3c106ScalarES6_NS0_6detail11ClampLimitsEENKUlvE_clEvENKUlvE5_clEvEUlfE_St5arrayIPcLm2EELi4E23TrivialOffsetCalculatorILi1EjESG_NS0_6memory15LoadWithoutCastENSH_16StoreWithoutCastEEEviT_T0_T2_T3_T4_T5_.num_agpr, 0
	.set _ZN2at6native27unrolled_elementwise_kernelIZZZNS0_12_GLOBAL__N_119launch_clamp_scalarERNS_18TensorIteratorBaseEN3c106ScalarES6_NS0_6detail11ClampLimitsEENKUlvE_clEvENKUlvE5_clEvEUlfE_St5arrayIPcLm2EELi4E23TrivialOffsetCalculatorILi1EjESG_NS0_6memory15LoadWithoutCastENSH_16StoreWithoutCastEEEviT_T0_T2_T3_T4_T5_.numbered_sgpr, 12
	.set _ZN2at6native27unrolled_elementwise_kernelIZZZNS0_12_GLOBAL__N_119launch_clamp_scalarERNS_18TensorIteratorBaseEN3c106ScalarES6_NS0_6detail11ClampLimitsEENKUlvE_clEvENKUlvE5_clEvEUlfE_St5arrayIPcLm2EELi4E23TrivialOffsetCalculatorILi1EjESG_NS0_6memory15LoadWithoutCastENSH_16StoreWithoutCastEEEviT_T0_T2_T3_T4_T5_.num_named_barrier, 0
	.set _ZN2at6native27unrolled_elementwise_kernelIZZZNS0_12_GLOBAL__N_119launch_clamp_scalarERNS_18TensorIteratorBaseEN3c106ScalarES6_NS0_6detail11ClampLimitsEENKUlvE_clEvENKUlvE5_clEvEUlfE_St5arrayIPcLm2EELi4E23TrivialOffsetCalculatorILi1EjESG_NS0_6memory15LoadWithoutCastENSH_16StoreWithoutCastEEEviT_T0_T2_T3_T4_T5_.private_seg_size, 0
	.set _ZN2at6native27unrolled_elementwise_kernelIZZZNS0_12_GLOBAL__N_119launch_clamp_scalarERNS_18TensorIteratorBaseEN3c106ScalarES6_NS0_6detail11ClampLimitsEENKUlvE_clEvENKUlvE5_clEvEUlfE_St5arrayIPcLm2EELi4E23TrivialOffsetCalculatorILi1EjESG_NS0_6memory15LoadWithoutCastENSH_16StoreWithoutCastEEEviT_T0_T2_T3_T4_T5_.uses_vcc, 1
	.set _ZN2at6native27unrolled_elementwise_kernelIZZZNS0_12_GLOBAL__N_119launch_clamp_scalarERNS_18TensorIteratorBaseEN3c106ScalarES6_NS0_6detail11ClampLimitsEENKUlvE_clEvENKUlvE5_clEvEUlfE_St5arrayIPcLm2EELi4E23TrivialOffsetCalculatorILi1EjESG_NS0_6memory15LoadWithoutCastENSH_16StoreWithoutCastEEEviT_T0_T2_T3_T4_T5_.uses_flat_scratch, 0
	.set _ZN2at6native27unrolled_elementwise_kernelIZZZNS0_12_GLOBAL__N_119launch_clamp_scalarERNS_18TensorIteratorBaseEN3c106ScalarES6_NS0_6detail11ClampLimitsEENKUlvE_clEvENKUlvE5_clEvEUlfE_St5arrayIPcLm2EELi4E23TrivialOffsetCalculatorILi1EjESG_NS0_6memory15LoadWithoutCastENSH_16StoreWithoutCastEEEviT_T0_T2_T3_T4_T5_.has_dyn_sized_stack, 0
	.set _ZN2at6native27unrolled_elementwise_kernelIZZZNS0_12_GLOBAL__N_119launch_clamp_scalarERNS_18TensorIteratorBaseEN3c106ScalarES6_NS0_6detail11ClampLimitsEENKUlvE_clEvENKUlvE5_clEvEUlfE_St5arrayIPcLm2EELi4E23TrivialOffsetCalculatorILi1EjESG_NS0_6memory15LoadWithoutCastENSH_16StoreWithoutCastEEEviT_T0_T2_T3_T4_T5_.has_recursion, 0
	.set _ZN2at6native27unrolled_elementwise_kernelIZZZNS0_12_GLOBAL__N_119launch_clamp_scalarERNS_18TensorIteratorBaseEN3c106ScalarES6_NS0_6detail11ClampLimitsEENKUlvE_clEvENKUlvE5_clEvEUlfE_St5arrayIPcLm2EELi4E23TrivialOffsetCalculatorILi1EjESG_NS0_6memory15LoadWithoutCastENSH_16StoreWithoutCastEEEviT_T0_T2_T3_T4_T5_.has_indirect_call, 0
	.section	.AMDGPU.csdata,"",@progbits
; Kernel info:
; codeLenInByte = 1452
; TotalNumSgprs: 14
; NumVgprs: 14
; ScratchSize: 0
; MemoryBound: 0
; FloatMode: 240
; IeeeMode: 1
; LDSByteSize: 0 bytes/workgroup (compile time only)
; SGPRBlocks: 0
; VGPRBlocks: 0
; NumSGPRsForWavesPerEU: 14
; NumVGPRsForWavesPerEU: 14
; NamedBarCnt: 0
; Occupancy: 16
; WaveLimiterHint : 0
; COMPUTE_PGM_RSRC2:SCRATCH_EN: 0
; COMPUTE_PGM_RSRC2:USER_SGPR: 2
; COMPUTE_PGM_RSRC2:TRAP_HANDLER: 0
; COMPUTE_PGM_RSRC2:TGID_X_EN: 1
; COMPUTE_PGM_RSRC2:TGID_Y_EN: 0
; COMPUTE_PGM_RSRC2:TGID_Z_EN: 0
; COMPUTE_PGM_RSRC2:TIDIG_COMP_CNT: 0
	.section	.text._ZN2at6native32elementwise_kernel_manual_unrollILi128ELi4EZNS0_22gpu_kernel_impl_nocastIZZZNS0_12_GLOBAL__N_119launch_clamp_scalarERNS_18TensorIteratorBaseEN3c106ScalarES7_NS0_6detail11ClampLimitsEENKUlvE_clEvENKUlvE5_clEvEUlfE_EEvS5_RKT_EUlibE_EEviT1_,"axG",@progbits,_ZN2at6native32elementwise_kernel_manual_unrollILi128ELi4EZNS0_22gpu_kernel_impl_nocastIZZZNS0_12_GLOBAL__N_119launch_clamp_scalarERNS_18TensorIteratorBaseEN3c106ScalarES7_NS0_6detail11ClampLimitsEENKUlvE_clEvENKUlvE5_clEvEUlfE_EEvS5_RKT_EUlibE_EEviT1_,comdat
	.globl	_ZN2at6native32elementwise_kernel_manual_unrollILi128ELi4EZNS0_22gpu_kernel_impl_nocastIZZZNS0_12_GLOBAL__N_119launch_clamp_scalarERNS_18TensorIteratorBaseEN3c106ScalarES7_NS0_6detail11ClampLimitsEENKUlvE_clEvENKUlvE5_clEvEUlfE_EEvS5_RKT_EUlibE_EEviT1_ ; -- Begin function _ZN2at6native32elementwise_kernel_manual_unrollILi128ELi4EZNS0_22gpu_kernel_impl_nocastIZZZNS0_12_GLOBAL__N_119launch_clamp_scalarERNS_18TensorIteratorBaseEN3c106ScalarES7_NS0_6detail11ClampLimitsEENKUlvE_clEvENKUlvE5_clEvEUlfE_EEvS5_RKT_EUlibE_EEviT1_
	.p2align	8
	.type	_ZN2at6native32elementwise_kernel_manual_unrollILi128ELi4EZNS0_22gpu_kernel_impl_nocastIZZZNS0_12_GLOBAL__N_119launch_clamp_scalarERNS_18TensorIteratorBaseEN3c106ScalarES7_NS0_6detail11ClampLimitsEENKUlvE_clEvENKUlvE5_clEvEUlfE_EEvS5_RKT_EUlibE_EEviT1_,@function
_ZN2at6native32elementwise_kernel_manual_unrollILi128ELi4EZNS0_22gpu_kernel_impl_nocastIZZZNS0_12_GLOBAL__N_119launch_clamp_scalarERNS_18TensorIteratorBaseEN3c106ScalarES7_NS0_6detail11ClampLimitsEENKUlvE_clEvENKUlvE5_clEvEUlfE_EEvS5_RKT_EUlibE_EEviT1_: ; @_ZN2at6native32elementwise_kernel_manual_unrollILi128ELi4EZNS0_22gpu_kernel_impl_nocastIZZZNS0_12_GLOBAL__N_119launch_clamp_scalarERNS_18TensorIteratorBaseEN3c106ScalarES7_NS0_6detail11ClampLimitsEENKUlvE_clEvENKUlvE5_clEvEUlfE_EEvS5_RKT_EUlibE_EEviT1_
; %bb.0:
	s_clause 0x1
	s_load_b32 s15, s[0:1], 0x8
	s_load_b32 s37, s[0:1], 0x0
	s_bfe_u32 s2, ttmp6, 0x4000c
	s_and_b32 s3, ttmp6, 15
	s_add_co_i32 s2, s2, 1
	s_getreg_b32 s4, hwreg(HW_REG_IB_STS2, 6, 4)
	s_mul_i32 s2, ttmp9, s2
	s_add_nc_u64 s[16:17], s[0:1], 8
	s_add_co_i32 s3, s3, s2
	s_cmp_eq_u32 s4, 0
	s_mov_b32 s21, 0
	s_cselect_b32 s2, ttmp9, s3
	s_wait_xcnt 0x0
	s_mov_b32 s0, exec_lo
	v_lshl_or_b32 v0, s2, 9, v0
	s_delay_alu instid0(VALU_DEP_1) | instskip(SKIP_2) | instid1(SALU_CYCLE_1)
	v_or_b32_e32 v8, 0x180, v0
	s_wait_kmcnt 0x0
	s_add_co_i32 s33, s15, -1
	s_cmp_gt_u32 s33, 1
	s_cselect_b32 s34, -1, 0
	v_cmpx_le_i32_e64 s37, v8
	s_xor_b32 s35, exec_lo, s0
	s_cbranch_execz .LBB221_7
; %bb.1:
	s_clause 0x4
	s_load_b128 s[4:7], s[16:17], 0x4
	s_load_b64 s[18:19], s[16:17], 0x14
	s_load_b128 s[8:11], s[16:17], 0xc4
	s_load_b128 s[0:3], s[16:17], 0x148
	s_load_b96 s[12:14], s[16:17], 0x158
	s_cmp_lg_u32 s15, 0
	s_add_nc_u64 s[24:25], s[16:17], 0xc4
	s_cselect_b32 s39, -1, 0
	s_min_u32 s38, s33, 15
	s_cmp_gt_u32 s15, 1
	s_mov_b32 s23, s21
	s_cselect_b32 s36, -1, 0
	s_wait_kmcnt 0x0
	s_mov_b32 s20, s5
	s_mov_b32 s22, s18
	s_mov_b32 s5, exec_lo
	v_cmpx_gt_i32_e64 s37, v0
	s_cbranch_execz .LBB221_14
; %bb.2:
	s_and_not1_b32 vcc_lo, exec_lo, s34
	s_cbranch_vccnz .LBB221_21
; %bb.3:
	s_and_not1_b32 vcc_lo, exec_lo, s39
	s_cbranch_vccnz .LBB221_121
; %bb.4:
	s_add_co_i32 s18, s38, 1
	s_cmp_eq_u32 s33, 2
	s_cbranch_scc1 .LBB221_123
; %bb.5:
	v_dual_mov_b32 v2, 0 :: v_dual_mov_b32 v3, 0
	v_mov_b32_e32 v1, v0
	s_and_b32 s26, s18, 28
	s_mov_b32 s27, 0
	s_mov_b64 s[28:29], s[16:17]
	s_mov_b64 s[30:31], s[24:25]
.LBB221_6:                              ; =>This Inner Loop Header: Depth=1
	s_clause 0x1
	s_load_b256 s[40:47], s[28:29], 0x4
	s_load_b128 s[56:59], s[28:29], 0x24
	s_load_b256 s[48:55], s[30:31], 0x0
	s_add_co_i32 s27, s27, 4
	s_wait_xcnt 0x0
	s_add_nc_u64 s[28:29], s[28:29], 48
	s_cmp_lg_u32 s26, s27
	s_add_nc_u64 s[30:31], s[30:31], 32
	s_wait_kmcnt 0x0
	v_mul_hi_u32 v4, s41, v1
	s_delay_alu instid0(VALU_DEP_1) | instskip(NEXT) | instid1(VALU_DEP_1)
	v_add_nc_u32_e32 v4, v1, v4
	v_lshrrev_b32_e32 v4, s42, v4
	s_delay_alu instid0(VALU_DEP_1) | instskip(NEXT) | instid1(VALU_DEP_1)
	v_mul_hi_u32 v5, s44, v4
	v_add_nc_u32_e32 v5, v4, v5
	s_delay_alu instid0(VALU_DEP_1) | instskip(NEXT) | instid1(VALU_DEP_1)
	v_lshrrev_b32_e32 v5, s45, v5
	v_mul_hi_u32 v6, s47, v5
	s_delay_alu instid0(VALU_DEP_1) | instskip(SKIP_1) | instid1(VALU_DEP_1)
	v_add_nc_u32_e32 v6, v5, v6
	v_mul_lo_u32 v7, v4, s40
	v_sub_nc_u32_e32 v1, v1, v7
	v_mul_lo_u32 v7, v5, s43
	s_delay_alu instid0(VALU_DEP_4) | instskip(NEXT) | instid1(VALU_DEP_3)
	v_lshrrev_b32_e32 v6, s56, v6
	v_mad_u32 v3, v1, s49, v3
	v_mad_u32 v1, v1, s48, v2
	s_delay_alu instid0(VALU_DEP_4) | instskip(NEXT) | instid1(VALU_DEP_4)
	v_sub_nc_u32_e32 v2, v4, v7
	v_mul_hi_u32 v8, s58, v6
	v_mul_lo_u32 v4, v6, s46
	s_delay_alu instid0(VALU_DEP_3) | instskip(SKIP_1) | instid1(VALU_DEP_4)
	v_mad_u32 v3, v2, s51, v3
	v_mad_u32 v2, v2, s50, v1
	v_add_nc_u32_e32 v7, v6, v8
	s_delay_alu instid0(VALU_DEP_1) | instskip(NEXT) | instid1(VALU_DEP_1)
	v_dual_sub_nc_u32 v4, v5, v4 :: v_dual_lshrrev_b32 v1, s59, v7
	v_mad_u32 v3, v4, s53, v3
	s_delay_alu instid0(VALU_DEP_4) | instskip(NEXT) | instid1(VALU_DEP_3)
	v_mad_u32 v2, v4, s52, v2
	v_mul_lo_u32 v5, v1, s57
	s_delay_alu instid0(VALU_DEP_1) | instskip(NEXT) | instid1(VALU_DEP_1)
	v_sub_nc_u32_e32 v4, v6, v5
	v_mad_u32 v3, v4, s55, v3
	s_delay_alu instid0(VALU_DEP_4)
	v_mad_u32 v2, v4, s54, v2
	s_cbranch_scc1 .LBB221_6
	s_branch .LBB221_124
.LBB221_7:
	s_and_not1_saveexec_b32 s0, s35
	s_cbranch_execz .LBB221_187
.LBB221_8:
	v_cndmask_b32_e64 v6, 0, 1, s34
	s_and_not1_b32 vcc_lo, exec_lo, s34
	s_cbranch_vccnz .LBB221_20
; %bb.9:
	s_cmp_lg_u32 s15, 0
	s_mov_b32 s6, 0
	s_cbranch_scc0 .LBB221_23
; %bb.10:
	s_min_u32 s1, s33, 15
	s_delay_alu instid0(SALU_CYCLE_1)
	s_add_co_i32 s1, s1, 1
	s_cmp_eq_u32 s33, 2
	s_cbranch_scc1 .LBB221_24
; %bb.11:
	v_dual_mov_b32 v2, 0 :: v_dual_mov_b32 v3, 0
	v_mov_b32_e32 v1, v0
	s_and_b32 s0, s1, 28
	s_add_nc_u64 s[2:3], s[16:17], 0xc4
	s_mov_b32 s7, 0
	s_mov_b64 s[4:5], s[16:17]
.LBB221_12:                             ; =>This Inner Loop Header: Depth=1
	s_clause 0x1
	s_load_b256 s[20:27], s[4:5], 0x4
	s_load_b128 s[8:11], s[4:5], 0x24
	s_load_b256 s[36:43], s[2:3], 0x0
	s_add_co_i32 s7, s7, 4
	s_wait_xcnt 0x0
	s_add_nc_u64 s[4:5], s[4:5], 48
	s_cmp_lg_u32 s0, s7
	s_add_nc_u64 s[2:3], s[2:3], 32
	s_wait_kmcnt 0x0
	v_mul_hi_u32 v4, s21, v1
	s_delay_alu instid0(VALU_DEP_1) | instskip(NEXT) | instid1(VALU_DEP_1)
	v_add_nc_u32_e32 v4, v1, v4
	v_lshrrev_b32_e32 v4, s22, v4
	s_delay_alu instid0(VALU_DEP_1) | instskip(NEXT) | instid1(VALU_DEP_1)
	v_mul_hi_u32 v5, s24, v4
	v_add_nc_u32_e32 v5, v4, v5
	s_delay_alu instid0(VALU_DEP_1) | instskip(NEXT) | instid1(VALU_DEP_1)
	v_lshrrev_b32_e32 v5, s25, v5
	v_mul_hi_u32 v7, s27, v5
	s_delay_alu instid0(VALU_DEP_1) | instskip(SKIP_1) | instid1(VALU_DEP_2)
	v_add_nc_u32_e32 v7, v5, v7
	v_mul_lo_u32 v9, v4, s20
	v_lshrrev_b32_e32 v7, s8, v7
	s_delay_alu instid0(VALU_DEP_1) | instskip(NEXT) | instid1(VALU_DEP_3)
	v_mul_hi_u32 v10, s10, v7
	v_sub_nc_u32_e32 v1, v1, v9
	v_mul_lo_u32 v9, v5, s23
	s_delay_alu instid0(VALU_DEP_2) | instskip(SKIP_1) | instid1(VALU_DEP_3)
	v_mad_u32 v3, v1, s37, v3
	v_mad_u32 v1, v1, s36, v2
	v_sub_nc_u32_e32 v2, v4, v9
	v_mul_lo_u32 v4, v7, s26
	v_add_nc_u32_e32 v9, v7, v10
	s_delay_alu instid0(VALU_DEP_3) | instskip(SKIP_1) | instid1(VALU_DEP_3)
	v_mad_u32 v3, v2, s39, v3
	v_mad_u32 v2, v2, s38, v1
	v_dual_sub_nc_u32 v4, v5, v4 :: v_dual_lshrrev_b32 v1, s11, v9
	s_delay_alu instid0(VALU_DEP_1) | instskip(NEXT) | instid1(VALU_DEP_2)
	v_mad_u32 v3, v4, s41, v3
	v_mul_lo_u32 v5, v1, s9
	s_delay_alu instid0(VALU_DEP_4) | instskip(NEXT) | instid1(VALU_DEP_2)
	v_mad_u32 v2, v4, s40, v2
	v_sub_nc_u32_e32 v4, v7, v5
	s_delay_alu instid0(VALU_DEP_1) | instskip(NEXT) | instid1(VALU_DEP_3)
	v_mad_u32 v3, v4, s43, v3
	v_mad_u32 v2, v4, s42, v2
	s_cbranch_scc1 .LBB221_12
; %bb.13:
	s_and_b32 s4, s1, 3
	s_mov_b32 s1, 0
	s_cmp_eq_u32 s4, 0
	s_cbranch_scc0 .LBB221_25
	s_branch .LBB221_27
.LBB221_14:
	s_or_b32 exec_lo, exec_lo, s5
	s_delay_alu instid0(SALU_CYCLE_1)
	s_mov_b32 s5, exec_lo
	v_cmpx_gt_i32_e64 s37, v0
	s_cbranch_execz .LBB221_156
.LBB221_15:
	s_and_not1_b32 vcc_lo, exec_lo, s34
	s_cbranch_vccnz .LBB221_22
; %bb.16:
	s_and_not1_b32 vcc_lo, exec_lo, s39
	s_cbranch_vccnz .LBB221_122
; %bb.17:
	s_add_co_i32 s18, s38, 1
	s_cmp_eq_u32 s33, 2
	s_cbranch_scc1 .LBB221_135
; %bb.18:
	v_dual_mov_b32 v2, 0 :: v_dual_mov_b32 v3, 0
	v_mov_b32_e32 v1, v0
	s_and_b32 s26, s18, 28
	s_mov_b32 s27, 0
	s_mov_b64 s[28:29], s[16:17]
	s_mov_b64 s[30:31], s[24:25]
.LBB221_19:                             ; =>This Inner Loop Header: Depth=1
	s_clause 0x1
	s_load_b256 s[40:47], s[28:29], 0x4
	s_load_b128 s[56:59], s[28:29], 0x24
	s_load_b256 s[48:55], s[30:31], 0x0
	s_add_co_i32 s27, s27, 4
	s_wait_xcnt 0x0
	s_add_nc_u64 s[28:29], s[28:29], 48
	s_cmp_eq_u32 s26, s27
	s_add_nc_u64 s[30:31], s[30:31], 32
	s_wait_kmcnt 0x0
	v_mul_hi_u32 v4, s41, v1
	s_delay_alu instid0(VALU_DEP_1) | instskip(NEXT) | instid1(VALU_DEP_1)
	v_add_nc_u32_e32 v4, v1, v4
	v_lshrrev_b32_e32 v4, s42, v4
	s_delay_alu instid0(VALU_DEP_1) | instskip(NEXT) | instid1(VALU_DEP_1)
	v_mul_hi_u32 v5, s44, v4
	v_add_nc_u32_e32 v5, v4, v5
	s_delay_alu instid0(VALU_DEP_1) | instskip(NEXT) | instid1(VALU_DEP_1)
	v_lshrrev_b32_e32 v5, s45, v5
	v_mul_hi_u32 v6, s47, v5
	s_delay_alu instid0(VALU_DEP_1) | instskip(SKIP_1) | instid1(VALU_DEP_1)
	v_add_nc_u32_e32 v6, v5, v6
	v_mul_lo_u32 v7, v4, s40
	v_sub_nc_u32_e32 v1, v1, v7
	v_mul_lo_u32 v7, v5, s43
	s_delay_alu instid0(VALU_DEP_4) | instskip(NEXT) | instid1(VALU_DEP_3)
	v_lshrrev_b32_e32 v6, s56, v6
	v_mad_u32 v3, v1, s49, v3
	v_mad_u32 v1, v1, s48, v2
	s_delay_alu instid0(VALU_DEP_4) | instskip(NEXT) | instid1(VALU_DEP_4)
	v_sub_nc_u32_e32 v2, v4, v7
	v_mul_hi_u32 v8, s58, v6
	v_mul_lo_u32 v4, v6, s46
	s_delay_alu instid0(VALU_DEP_3) | instskip(SKIP_1) | instid1(VALU_DEP_4)
	v_mad_u32 v3, v2, s51, v3
	v_mad_u32 v2, v2, s50, v1
	v_add_nc_u32_e32 v7, v6, v8
	s_delay_alu instid0(VALU_DEP_1) | instskip(NEXT) | instid1(VALU_DEP_1)
	v_dual_sub_nc_u32 v4, v5, v4 :: v_dual_lshrrev_b32 v1, s59, v7
	v_mad_u32 v3, v4, s53, v3
	s_delay_alu instid0(VALU_DEP_4) | instskip(NEXT) | instid1(VALU_DEP_3)
	v_mad_u32 v2, v4, s52, v2
	v_mul_lo_u32 v5, v1, s57
	s_delay_alu instid0(VALU_DEP_1) | instskip(NEXT) | instid1(VALU_DEP_1)
	v_sub_nc_u32_e32 v4, v6, v5
	v_mad_u32 v3, v4, s55, v3
	s_delay_alu instid0(VALU_DEP_4)
	v_mad_u32 v2, v4, s54, v2
	s_cbranch_scc0 .LBB221_19
	s_branch .LBB221_136
.LBB221_20:
	s_mov_b32 s6, -1
                                        ; implicit-def: $vgpr3
	s_branch .LBB221_27
.LBB221_21:
                                        ; implicit-def: $vgpr3
	s_branch .LBB221_128
.LBB221_22:
                                        ; implicit-def: $vgpr3
	s_branch .LBB221_140
.LBB221_23:
	v_dual_mov_b32 v3, 0 :: v_dual_mov_b32 v2, 0
	s_branch .LBB221_27
.LBB221_24:
	v_mov_b64_e32 v[2:3], 0
	v_mov_b32_e32 v1, v0
	s_mov_b32 s0, 0
	s_and_b32 s4, s1, 3
	s_mov_b32 s1, 0
	s_cmp_eq_u32 s4, 0
	s_cbranch_scc1 .LBB221_27
.LBB221_25:
	s_lshl_b32 s2, s0, 3
	s_mov_b32 s3, s1
	s_mul_u64 s[8:9], s[0:1], 12
	s_add_nc_u64 s[2:3], s[16:17], s[2:3]
	s_delay_alu instid0(SALU_CYCLE_1)
	s_add_nc_u64 s[0:1], s[2:3], 0xc4
	s_add_nc_u64 s[2:3], s[16:17], s[8:9]
.LBB221_26:                             ; =>This Inner Loop Header: Depth=1
	s_load_b96 s[8:10], s[2:3], 0x4
	s_add_co_i32 s4, s4, -1
	s_wait_xcnt 0x0
	s_add_nc_u64 s[2:3], s[2:3], 12
	s_cmp_lg_u32 s4, 0
	s_wait_kmcnt 0x0
	v_mul_hi_u32 v4, s9, v1
	s_delay_alu instid0(VALU_DEP_1) | instskip(NEXT) | instid1(VALU_DEP_1)
	v_add_nc_u32_e32 v4, v1, v4
	v_lshrrev_b32_e32 v4, s10, v4
	s_load_b64 s[10:11], s[0:1], 0x0
	s_wait_xcnt 0x0
	s_add_nc_u64 s[0:1], s[0:1], 8
	s_delay_alu instid0(VALU_DEP_1) | instskip(NEXT) | instid1(VALU_DEP_1)
	v_mul_lo_u32 v5, v4, s8
	v_sub_nc_u32_e32 v1, v1, v5
	s_wait_kmcnt 0x0
	s_delay_alu instid0(VALU_DEP_1)
	v_mad_u32 v3, v1, s11, v3
	v_mad_u32 v2, v1, s10, v2
	v_mov_b32_e32 v1, v4
	s_cbranch_scc1 .LBB221_26
.LBB221_27:
	s_and_not1_b32 vcc_lo, exec_lo, s6
	s_cbranch_vccnz .LBB221_30
; %bb.28:
	s_clause 0x1
	s_load_b96 s[0:2], s[16:17], 0x4
	s_load_b64 s[4:5], s[16:17], 0xc4
	s_cmp_lt_u32 s15, 2
	s_wait_kmcnt 0x0
	v_mul_hi_u32 v1, s1, v0
	s_delay_alu instid0(VALU_DEP_1) | instskip(NEXT) | instid1(VALU_DEP_1)
	v_add_nc_u32_e32 v1, v0, v1
	v_lshrrev_b32_e32 v1, s2, v1
	s_delay_alu instid0(VALU_DEP_1) | instskip(NEXT) | instid1(VALU_DEP_1)
	v_mul_lo_u32 v2, v1, s0
	v_sub_nc_u32_e32 v2, v0, v2
	s_delay_alu instid0(VALU_DEP_1)
	v_mul_lo_u32 v3, v2, s5
	v_mul_lo_u32 v2, v2, s4
	s_cbranch_scc1 .LBB221_30
; %bb.29:
	s_clause 0x1
	s_load_b96 s[0:2], s[16:17], 0x10
	s_load_b64 s[4:5], s[16:17], 0xcc
	s_wait_kmcnt 0x0
	v_mul_hi_u32 v4, s1, v1
	s_delay_alu instid0(VALU_DEP_1) | instskip(NEXT) | instid1(VALU_DEP_1)
	v_add_nc_u32_e32 v4, v1, v4
	v_lshrrev_b32_e32 v4, s2, v4
	s_delay_alu instid0(VALU_DEP_1) | instskip(NEXT) | instid1(VALU_DEP_1)
	v_mul_lo_u32 v4, v4, s0
	v_sub_nc_u32_e32 v1, v1, v4
	s_delay_alu instid0(VALU_DEP_1)
	v_mad_u32 v2, v1, s4, v2
	v_mad_u32 v3, v1, s5, v3
.LBB221_30:
	v_cmp_ne_u32_e32 vcc_lo, 1, v6
	v_add_nc_u32_e32 v1, 0x80, v0
	s_cbranch_vccnz .LBB221_36
; %bb.31:
	s_cmp_lg_u32 s15, 0
	s_mov_b32 s6, 0
	s_cbranch_scc0 .LBB221_37
; %bb.32:
	s_min_u32 s1, s33, 15
	s_delay_alu instid0(SALU_CYCLE_1)
	s_add_co_i32 s1, s1, 1
	s_cmp_eq_u32 s33, 2
	s_cbranch_scc1 .LBB221_38
; %bb.33:
	v_dual_mov_b32 v4, 0 :: v_dual_mov_b32 v5, 0
	v_mov_b32_e32 v7, v1
	s_and_b32 s0, s1, 28
	s_add_nc_u64 s[2:3], s[16:17], 0xc4
	s_mov_b32 s7, 0
	s_mov_b64 s[4:5], s[16:17]
.LBB221_34:                             ; =>This Inner Loop Header: Depth=1
	s_clause 0x1
	s_load_b256 s[20:27], s[4:5], 0x4
	s_load_b128 s[8:11], s[4:5], 0x24
	s_load_b256 s[36:43], s[2:3], 0x0
	s_add_co_i32 s7, s7, 4
	s_wait_xcnt 0x0
	s_add_nc_u64 s[4:5], s[4:5], 48
	s_cmp_lg_u32 s0, s7
	s_add_nc_u64 s[2:3], s[2:3], 32
	s_wait_kmcnt 0x0
	v_mul_hi_u32 v9, s21, v7
	s_delay_alu instid0(VALU_DEP_1) | instskip(NEXT) | instid1(VALU_DEP_1)
	v_add_nc_u32_e32 v9, v7, v9
	v_lshrrev_b32_e32 v9, s22, v9
	s_delay_alu instid0(VALU_DEP_1) | instskip(NEXT) | instid1(VALU_DEP_1)
	v_mul_hi_u32 v10, s24, v9
	v_add_nc_u32_e32 v10, v9, v10
	s_delay_alu instid0(VALU_DEP_1) | instskip(NEXT) | instid1(VALU_DEP_1)
	v_lshrrev_b32_e32 v10, s25, v10
	v_mul_hi_u32 v11, s27, v10
	s_delay_alu instid0(VALU_DEP_1) | instskip(SKIP_1) | instid1(VALU_DEP_1)
	v_add_nc_u32_e32 v11, v10, v11
	v_mul_lo_u32 v12, v9, s20
	v_sub_nc_u32_e32 v7, v7, v12
	v_mul_lo_u32 v12, v10, s23
	s_delay_alu instid0(VALU_DEP_4) | instskip(NEXT) | instid1(VALU_DEP_3)
	v_lshrrev_b32_e32 v11, s8, v11
	v_mad_u32 v5, v7, s37, v5
	v_mad_u32 v4, v7, s36, v4
	s_delay_alu instid0(VALU_DEP_4) | instskip(NEXT) | instid1(VALU_DEP_4)
	v_sub_nc_u32_e32 v7, v9, v12
	v_mul_hi_u32 v13, s10, v11
	v_mul_lo_u32 v9, v11, s26
	s_delay_alu instid0(VALU_DEP_3) | instskip(SKIP_1) | instid1(VALU_DEP_4)
	v_mad_u32 v5, v7, s39, v5
	v_mad_u32 v4, v7, s38, v4
	v_add_nc_u32_e32 v12, v11, v13
	s_delay_alu instid0(VALU_DEP_1) | instskip(NEXT) | instid1(VALU_DEP_1)
	v_dual_sub_nc_u32 v9, v10, v9 :: v_dual_lshrrev_b32 v7, s11, v12
	v_mad_u32 v5, v9, s41, v5
	s_delay_alu instid0(VALU_DEP_4) | instskip(NEXT) | instid1(VALU_DEP_3)
	v_mad_u32 v4, v9, s40, v4
	v_mul_lo_u32 v10, v7, s9
	s_delay_alu instid0(VALU_DEP_1) | instskip(NEXT) | instid1(VALU_DEP_1)
	v_sub_nc_u32_e32 v9, v11, v10
	v_mad_u32 v5, v9, s43, v5
	s_delay_alu instid0(VALU_DEP_4)
	v_mad_u32 v4, v9, s42, v4
	s_cbranch_scc1 .LBB221_34
; %bb.35:
	s_and_b32 s4, s1, 3
	s_mov_b32 s1, 0
	s_cmp_eq_u32 s4, 0
	s_cbranch_scc0 .LBB221_39
	s_branch .LBB221_41
.LBB221_36:
	s_mov_b32 s6, -1
                                        ; implicit-def: $vgpr5
	s_branch .LBB221_41
.LBB221_37:
	v_dual_mov_b32 v5, 0 :: v_dual_mov_b32 v4, 0
	s_branch .LBB221_41
.LBB221_38:
	v_mov_b64_e32 v[4:5], 0
	v_mov_b32_e32 v7, v1
	s_mov_b32 s0, 0
	s_and_b32 s4, s1, 3
	s_mov_b32 s1, 0
	s_cmp_eq_u32 s4, 0
	s_cbranch_scc1 .LBB221_41
.LBB221_39:
	s_lshl_b32 s2, s0, 3
	s_mov_b32 s3, s1
	s_mul_u64 s[8:9], s[0:1], 12
	s_add_nc_u64 s[2:3], s[16:17], s[2:3]
	s_delay_alu instid0(SALU_CYCLE_1)
	s_add_nc_u64 s[0:1], s[2:3], 0xc4
	s_add_nc_u64 s[2:3], s[16:17], s[8:9]
.LBB221_40:                             ; =>This Inner Loop Header: Depth=1
	s_load_b96 s[8:10], s[2:3], 0x4
	s_add_co_i32 s4, s4, -1
	s_wait_xcnt 0x0
	s_add_nc_u64 s[2:3], s[2:3], 12
	s_cmp_lg_u32 s4, 0
	s_wait_kmcnt 0x0
	v_mul_hi_u32 v9, s9, v7
	s_delay_alu instid0(VALU_DEP_1) | instskip(NEXT) | instid1(VALU_DEP_1)
	v_add_nc_u32_e32 v9, v7, v9
	v_lshrrev_b32_e32 v9, s10, v9
	s_load_b64 s[10:11], s[0:1], 0x0
	s_wait_xcnt 0x0
	s_add_nc_u64 s[0:1], s[0:1], 8
	s_delay_alu instid0(VALU_DEP_1) | instskip(NEXT) | instid1(VALU_DEP_1)
	v_mul_lo_u32 v10, v9, s8
	v_sub_nc_u32_e32 v7, v7, v10
	s_wait_kmcnt 0x0
	s_delay_alu instid0(VALU_DEP_1)
	v_mad_u32 v5, v7, s11, v5
	v_mad_u32 v4, v7, s10, v4
	v_mov_b32_e32 v7, v9
	s_cbranch_scc1 .LBB221_40
.LBB221_41:
	s_and_not1_b32 vcc_lo, exec_lo, s6
	s_cbranch_vccnz .LBB221_44
; %bb.42:
	s_clause 0x1
	s_load_b96 s[0:2], s[16:17], 0x4
	s_load_b64 s[4:5], s[16:17], 0xc4
	s_cmp_lt_u32 s15, 2
	s_wait_kmcnt 0x0
	v_mul_hi_u32 v4, s1, v1
	s_delay_alu instid0(VALU_DEP_1) | instskip(NEXT) | instid1(VALU_DEP_1)
	v_add_nc_u32_e32 v4, v1, v4
	v_lshrrev_b32_e32 v7, s2, v4
	s_delay_alu instid0(VALU_DEP_1) | instskip(NEXT) | instid1(VALU_DEP_1)
	v_mul_lo_u32 v4, v7, s0
	v_sub_nc_u32_e32 v1, v1, v4
	s_delay_alu instid0(VALU_DEP_1)
	v_mul_lo_u32 v5, v1, s5
	v_mul_lo_u32 v4, v1, s4
	s_cbranch_scc1 .LBB221_44
; %bb.43:
	s_clause 0x1
	s_load_b96 s[0:2], s[16:17], 0x10
	s_load_b64 s[4:5], s[16:17], 0xcc
	s_wait_kmcnt 0x0
	v_mul_hi_u32 v1, s1, v7
	s_delay_alu instid0(VALU_DEP_1) | instskip(NEXT) | instid1(VALU_DEP_1)
	v_add_nc_u32_e32 v1, v7, v1
	v_lshrrev_b32_e32 v1, s2, v1
	s_delay_alu instid0(VALU_DEP_1) | instskip(NEXT) | instid1(VALU_DEP_1)
	v_mul_lo_u32 v1, v1, s0
	v_sub_nc_u32_e32 v1, v7, v1
	s_delay_alu instid0(VALU_DEP_1)
	v_mad_u32 v4, v1, s4, v4
	v_mad_u32 v5, v1, s5, v5
.LBB221_44:
	v_cmp_ne_u32_e32 vcc_lo, 1, v6
	v_add_nc_u32_e32 v7, 0x100, v0
	s_cbranch_vccnz .LBB221_50
; %bb.45:
	s_cmp_lg_u32 s15, 0
	s_mov_b32 s6, 0
	s_cbranch_scc0 .LBB221_51
; %bb.46:
	s_min_u32 s1, s33, 15
	s_delay_alu instid0(SALU_CYCLE_1)
	s_add_co_i32 s1, s1, 1
	s_cmp_eq_u32 s33, 2
	s_cbranch_scc1 .LBB221_52
; %bb.47:
	v_dual_mov_b32 v0, 0 :: v_dual_mov_b32 v1, 0
	v_mov_b32_e32 v9, v7
	s_and_b32 s0, s1, 28
	s_add_nc_u64 s[2:3], s[16:17], 0xc4
	s_mov_b32 s7, 0
	s_mov_b64 s[4:5], s[16:17]
.LBB221_48:                             ; =>This Inner Loop Header: Depth=1
	s_clause 0x1
	s_load_b256 s[20:27], s[4:5], 0x4
	s_load_b128 s[8:11], s[4:5], 0x24
	s_load_b256 s[36:43], s[2:3], 0x0
	s_add_co_i32 s7, s7, 4
	s_wait_xcnt 0x0
	s_add_nc_u64 s[4:5], s[4:5], 48
	s_cmp_lg_u32 s0, s7
	s_add_nc_u64 s[2:3], s[2:3], 32
	s_wait_kmcnt 0x0
	v_mul_hi_u32 v10, s21, v9
	s_delay_alu instid0(VALU_DEP_1) | instskip(NEXT) | instid1(VALU_DEP_1)
	v_add_nc_u32_e32 v10, v9, v10
	v_lshrrev_b32_e32 v10, s22, v10
	s_delay_alu instid0(VALU_DEP_1) | instskip(NEXT) | instid1(VALU_DEP_1)
	v_mul_hi_u32 v11, s24, v10
	v_add_nc_u32_e32 v11, v10, v11
	s_delay_alu instid0(VALU_DEP_1) | instskip(NEXT) | instid1(VALU_DEP_1)
	v_lshrrev_b32_e32 v11, s25, v11
	v_mul_hi_u32 v12, s27, v11
	s_delay_alu instid0(VALU_DEP_1) | instskip(SKIP_1) | instid1(VALU_DEP_1)
	v_add_nc_u32_e32 v12, v11, v12
	v_mul_lo_u32 v13, v10, s20
	v_sub_nc_u32_e32 v9, v9, v13
	v_mul_lo_u32 v13, v11, s23
	s_delay_alu instid0(VALU_DEP_4) | instskip(NEXT) | instid1(VALU_DEP_3)
	v_lshrrev_b32_e32 v12, s8, v12
	v_mad_u32 v1, v9, s37, v1
	v_mad_u32 v0, v9, s36, v0
	s_delay_alu instid0(VALU_DEP_4) | instskip(NEXT) | instid1(VALU_DEP_4)
	v_sub_nc_u32_e32 v9, v10, v13
	v_mul_hi_u32 v14, s10, v12
	v_mul_lo_u32 v10, v12, s26
	s_delay_alu instid0(VALU_DEP_3) | instskip(SKIP_1) | instid1(VALU_DEP_4)
	v_mad_u32 v1, v9, s39, v1
	v_mad_u32 v0, v9, s38, v0
	v_add_nc_u32_e32 v13, v12, v14
	s_delay_alu instid0(VALU_DEP_1) | instskip(NEXT) | instid1(VALU_DEP_1)
	v_dual_sub_nc_u32 v10, v11, v10 :: v_dual_lshrrev_b32 v9, s11, v13
	v_mad_u32 v1, v10, s41, v1
	s_delay_alu instid0(VALU_DEP_4) | instskip(NEXT) | instid1(VALU_DEP_3)
	v_mad_u32 v0, v10, s40, v0
	v_mul_lo_u32 v11, v9, s9
	s_delay_alu instid0(VALU_DEP_1) | instskip(NEXT) | instid1(VALU_DEP_1)
	v_sub_nc_u32_e32 v10, v12, v11
	v_mad_u32 v1, v10, s43, v1
	s_delay_alu instid0(VALU_DEP_4)
	v_mad_u32 v0, v10, s42, v0
	s_cbranch_scc1 .LBB221_48
; %bb.49:
	s_and_b32 s4, s1, 3
	s_mov_b32 s1, 0
	s_cmp_eq_u32 s4, 0
	s_cbranch_scc0 .LBB221_53
	s_branch .LBB221_55
.LBB221_50:
	s_mov_b32 s6, -1
                                        ; implicit-def: $vgpr1
	s_branch .LBB221_55
.LBB221_51:
	v_dual_mov_b32 v1, 0 :: v_dual_mov_b32 v0, 0
	s_branch .LBB221_55
.LBB221_52:
	v_mov_b64_e32 v[0:1], 0
	v_mov_b32_e32 v9, v7
	s_mov_b32 s0, 0
	s_and_b32 s4, s1, 3
	s_mov_b32 s1, 0
	s_cmp_eq_u32 s4, 0
	s_cbranch_scc1 .LBB221_55
.LBB221_53:
	s_lshl_b32 s2, s0, 3
	s_mov_b32 s3, s1
	s_mul_u64 s[8:9], s[0:1], 12
	s_add_nc_u64 s[2:3], s[16:17], s[2:3]
	s_delay_alu instid0(SALU_CYCLE_1)
	s_add_nc_u64 s[0:1], s[2:3], 0xc4
	s_add_nc_u64 s[2:3], s[16:17], s[8:9]
.LBB221_54:                             ; =>This Inner Loop Header: Depth=1
	s_load_b96 s[8:10], s[2:3], 0x4
	s_add_co_i32 s4, s4, -1
	s_wait_xcnt 0x0
	s_add_nc_u64 s[2:3], s[2:3], 12
	s_cmp_lg_u32 s4, 0
	s_wait_kmcnt 0x0
	v_mul_hi_u32 v10, s9, v9
	s_delay_alu instid0(VALU_DEP_1) | instskip(NEXT) | instid1(VALU_DEP_1)
	v_add_nc_u32_e32 v10, v9, v10
	v_lshrrev_b32_e32 v10, s10, v10
	s_load_b64 s[10:11], s[0:1], 0x0
	s_wait_xcnt 0x0
	s_add_nc_u64 s[0:1], s[0:1], 8
	s_delay_alu instid0(VALU_DEP_1) | instskip(NEXT) | instid1(VALU_DEP_1)
	v_mul_lo_u32 v11, v10, s8
	v_sub_nc_u32_e32 v9, v9, v11
	s_wait_kmcnt 0x0
	s_delay_alu instid0(VALU_DEP_1)
	v_mad_u32 v1, v9, s11, v1
	v_mad_u32 v0, v9, s10, v0
	v_mov_b32_e32 v9, v10
	s_cbranch_scc1 .LBB221_54
.LBB221_55:
	s_and_not1_b32 vcc_lo, exec_lo, s6
	s_cbranch_vccnz .LBB221_58
; %bb.56:
	s_clause 0x1
	s_load_b96 s[0:2], s[16:17], 0x4
	s_load_b64 s[4:5], s[16:17], 0xc4
	s_cmp_lt_u32 s15, 2
	s_wait_kmcnt 0x0
	v_mul_hi_u32 v0, s1, v7
	s_delay_alu instid0(VALU_DEP_1) | instskip(NEXT) | instid1(VALU_DEP_1)
	v_add_nc_u32_e32 v0, v7, v0
	v_lshrrev_b32_e32 v9, s2, v0
	s_delay_alu instid0(VALU_DEP_1) | instskip(NEXT) | instid1(VALU_DEP_1)
	v_mul_lo_u32 v0, v9, s0
	v_sub_nc_u32_e32 v0, v7, v0
	s_delay_alu instid0(VALU_DEP_1)
	v_mul_lo_u32 v1, v0, s5
	v_mul_lo_u32 v0, v0, s4
	s_cbranch_scc1 .LBB221_58
; %bb.57:
	s_clause 0x1
	s_load_b96 s[0:2], s[16:17], 0x10
	s_load_b64 s[4:5], s[16:17], 0xcc
	s_wait_kmcnt 0x0
	v_mul_hi_u32 v7, s1, v9
	s_delay_alu instid0(VALU_DEP_1) | instskip(NEXT) | instid1(VALU_DEP_1)
	v_add_nc_u32_e32 v7, v9, v7
	v_lshrrev_b32_e32 v7, s2, v7
	s_delay_alu instid0(VALU_DEP_1) | instskip(NEXT) | instid1(VALU_DEP_1)
	v_mul_lo_u32 v7, v7, s0
	v_sub_nc_u32_e32 v7, v9, v7
	s_delay_alu instid0(VALU_DEP_1)
	v_mad_u32 v0, v7, s4, v0
	v_mad_u32 v1, v7, s5, v1
.LBB221_58:
	v_cmp_ne_u32_e32 vcc_lo, 1, v6
	s_cbranch_vccnz .LBB221_64
; %bb.59:
	s_cmp_lg_u32 s15, 0
	s_mov_b32 s6, 0
	s_cbranch_scc0 .LBB221_65
; %bb.60:
	s_min_u32 s1, s33, 15
	s_delay_alu instid0(SALU_CYCLE_1)
	s_add_co_i32 s1, s1, 1
	s_cmp_eq_u32 s33, 2
	s_cbranch_scc1 .LBB221_66
; %bb.61:
	v_dual_mov_b32 v6, 0 :: v_dual_mov_b32 v7, 0
	v_mov_b32_e32 v9, v8
	s_and_b32 s0, s1, 28
	s_add_nc_u64 s[2:3], s[16:17], 0xc4
	s_mov_b32 s7, 0
	s_mov_b64 s[4:5], s[16:17]
.LBB221_62:                             ; =>This Inner Loop Header: Depth=1
	s_clause 0x1
	s_load_b256 s[20:27], s[4:5], 0x4
	s_load_b128 s[8:11], s[4:5], 0x24
	s_load_b256 s[36:43], s[2:3], 0x0
	s_add_co_i32 s7, s7, 4
	s_wait_xcnt 0x0
	s_add_nc_u64 s[4:5], s[4:5], 48
	s_cmp_lg_u32 s0, s7
	s_add_nc_u64 s[2:3], s[2:3], 32
	s_wait_kmcnt 0x0
	v_mul_hi_u32 v10, s21, v9
	s_delay_alu instid0(VALU_DEP_1) | instskip(NEXT) | instid1(VALU_DEP_1)
	v_add_nc_u32_e32 v10, v9, v10
	v_lshrrev_b32_e32 v10, s22, v10
	s_delay_alu instid0(VALU_DEP_1) | instskip(NEXT) | instid1(VALU_DEP_1)
	v_mul_hi_u32 v11, s24, v10
	v_add_nc_u32_e32 v11, v10, v11
	s_delay_alu instid0(VALU_DEP_1) | instskip(NEXT) | instid1(VALU_DEP_1)
	v_lshrrev_b32_e32 v11, s25, v11
	v_mul_hi_u32 v12, s27, v11
	s_delay_alu instid0(VALU_DEP_1) | instskip(SKIP_1) | instid1(VALU_DEP_1)
	v_add_nc_u32_e32 v12, v11, v12
	v_mul_lo_u32 v13, v10, s20
	v_sub_nc_u32_e32 v9, v9, v13
	v_mul_lo_u32 v13, v11, s23
	s_delay_alu instid0(VALU_DEP_4) | instskip(NEXT) | instid1(VALU_DEP_3)
	v_lshrrev_b32_e32 v12, s8, v12
	v_mad_u32 v7, v9, s37, v7
	v_mad_u32 v6, v9, s36, v6
	s_delay_alu instid0(VALU_DEP_4) | instskip(NEXT) | instid1(VALU_DEP_4)
	v_sub_nc_u32_e32 v9, v10, v13
	v_mul_hi_u32 v14, s10, v12
	v_mul_lo_u32 v10, v12, s26
	s_delay_alu instid0(VALU_DEP_3) | instskip(SKIP_1) | instid1(VALU_DEP_4)
	v_mad_u32 v7, v9, s39, v7
	v_mad_u32 v6, v9, s38, v6
	v_add_nc_u32_e32 v13, v12, v14
	s_delay_alu instid0(VALU_DEP_1) | instskip(NEXT) | instid1(VALU_DEP_1)
	v_dual_sub_nc_u32 v10, v11, v10 :: v_dual_lshrrev_b32 v9, s11, v13
	v_mad_u32 v7, v10, s41, v7
	s_delay_alu instid0(VALU_DEP_4) | instskip(NEXT) | instid1(VALU_DEP_3)
	v_mad_u32 v6, v10, s40, v6
	v_mul_lo_u32 v11, v9, s9
	s_delay_alu instid0(VALU_DEP_1) | instskip(NEXT) | instid1(VALU_DEP_1)
	v_sub_nc_u32_e32 v10, v12, v11
	v_mad_u32 v7, v10, s43, v7
	s_delay_alu instid0(VALU_DEP_4)
	v_mad_u32 v6, v10, s42, v6
	s_cbranch_scc1 .LBB221_62
; %bb.63:
	s_and_b32 s4, s1, 3
	s_mov_b32 s1, 0
	s_cmp_eq_u32 s4, 0
	s_cbranch_scc0 .LBB221_67
	s_branch .LBB221_69
.LBB221_64:
	s_mov_b32 s6, -1
                                        ; implicit-def: $vgpr7
	s_branch .LBB221_69
.LBB221_65:
	v_dual_mov_b32 v7, 0 :: v_dual_mov_b32 v6, 0
	s_branch .LBB221_69
.LBB221_66:
	v_mov_b64_e32 v[6:7], 0
	v_mov_b32_e32 v9, v8
	s_mov_b32 s0, 0
	s_and_b32 s4, s1, 3
	s_mov_b32 s1, 0
	s_cmp_eq_u32 s4, 0
	s_cbranch_scc1 .LBB221_69
.LBB221_67:
	s_lshl_b32 s2, s0, 3
	s_mov_b32 s3, s1
	s_mul_u64 s[8:9], s[0:1], 12
	s_add_nc_u64 s[2:3], s[16:17], s[2:3]
	s_delay_alu instid0(SALU_CYCLE_1)
	s_add_nc_u64 s[0:1], s[2:3], 0xc4
	s_add_nc_u64 s[2:3], s[16:17], s[8:9]
.LBB221_68:                             ; =>This Inner Loop Header: Depth=1
	s_load_b96 s[8:10], s[2:3], 0x4
	s_add_co_i32 s4, s4, -1
	s_wait_xcnt 0x0
	s_add_nc_u64 s[2:3], s[2:3], 12
	s_cmp_lg_u32 s4, 0
	s_wait_kmcnt 0x0
	v_mul_hi_u32 v10, s9, v9
	s_delay_alu instid0(VALU_DEP_1) | instskip(NEXT) | instid1(VALU_DEP_1)
	v_add_nc_u32_e32 v10, v9, v10
	v_lshrrev_b32_e32 v10, s10, v10
	s_load_b64 s[10:11], s[0:1], 0x0
	s_wait_xcnt 0x0
	s_add_nc_u64 s[0:1], s[0:1], 8
	s_delay_alu instid0(VALU_DEP_1) | instskip(NEXT) | instid1(VALU_DEP_1)
	v_mul_lo_u32 v11, v10, s8
	v_sub_nc_u32_e32 v9, v9, v11
	s_wait_kmcnt 0x0
	s_delay_alu instid0(VALU_DEP_1)
	v_mad_u32 v7, v9, s11, v7
	v_mad_u32 v6, v9, s10, v6
	v_mov_b32_e32 v9, v10
	s_cbranch_scc1 .LBB221_68
.LBB221_69:
	s_and_not1_b32 vcc_lo, exec_lo, s6
	s_cbranch_vccnz .LBB221_72
; %bb.70:
	s_clause 0x1
	s_load_b96 s[0:2], s[16:17], 0x4
	s_load_b64 s[4:5], s[16:17], 0xc4
	s_cmp_lt_u32 s15, 2
	s_wait_kmcnt 0x0
	v_mul_hi_u32 v6, s1, v8
	s_delay_alu instid0(VALU_DEP_1) | instskip(NEXT) | instid1(VALU_DEP_1)
	v_add_nc_u32_e32 v6, v8, v6
	v_lshrrev_b32_e32 v9, s2, v6
	s_delay_alu instid0(VALU_DEP_1) | instskip(NEXT) | instid1(VALU_DEP_1)
	v_mul_lo_u32 v6, v9, s0
	v_sub_nc_u32_e32 v6, v8, v6
	s_delay_alu instid0(VALU_DEP_1)
	v_mul_lo_u32 v7, v6, s5
	v_mul_lo_u32 v6, v6, s4
	s_cbranch_scc1 .LBB221_72
; %bb.71:
	s_clause 0x1
	s_load_b96 s[0:2], s[16:17], 0x10
	s_load_b64 s[4:5], s[16:17], 0xcc
	s_wait_kmcnt 0x0
	v_mul_hi_u32 v8, s1, v9
	s_delay_alu instid0(VALU_DEP_1) | instskip(NEXT) | instid1(VALU_DEP_1)
	v_add_nc_u32_e32 v8, v9, v8
	v_lshrrev_b32_e32 v8, s2, v8
	s_delay_alu instid0(VALU_DEP_1) | instskip(NEXT) | instid1(VALU_DEP_1)
	v_mul_lo_u32 v8, v8, s0
	v_sub_nc_u32_e32 v8, v9, v8
	s_delay_alu instid0(VALU_DEP_1)
	v_mad_u32 v6, v8, s4, v6
	v_mad_u32 v7, v8, s5, v7
.LBB221_72:
	s_load_b128 s[0:3], s[16:17], 0x148
	s_mov_b32 s6, exec_lo
	s_wait_kmcnt 0x0
	global_load_b32 v3, v3, s[2:3]
	s_wait_loadcnt 0x0
	v_cmpx_o_f32_e32 v3, v3
	s_cbranch_execz .LBB221_83
; %bb.73:
	s_load_b64 s[4:5], s[16:17], 0x158
	s_mov_b32 s7, 0
	s_wait_kmcnt 0x0
	s_cmp_lt_i32 s4, 1
	s_cbranch_scc1 .LBB221_76
; %bb.74:
	s_cmp_eq_u32 s4, 1
	s_cbranch_scc0 .LBB221_117
; %bb.75:
	v_max_num_f32_e64 v8, s5, s5
	v_max_num_f32_e32 v9, v3, v3
	s_mov_b32 s8, 0
	s_delay_alu instid0(VALU_DEP_1)
	v_min_num_f32_e32 v8, v9, v8
	s_branch .LBB221_78
.LBB221_76:
	s_mov_b32 s8, 0
                                        ; implicit-def: $vgpr8
	s_cbranch_execz .LBB221_78
; %bb.77:
	s_cmp_lg_u32 s4, 0
	s_mov_b32 s7, -1
	s_cselect_b32 s8, -1, 0
.LBB221_78:
	v_max_num_f32_e64 v9, s5, s5
	v_max_num_f32_e32 v3, v3, v3
	s_and_not1_b32 vcc_lo, exec_lo, s8
	s_cbranch_vccnz .LBB221_80
; %bb.79:
	s_load_b32 s4, s[16:17], 0x160
	s_wait_kmcnt 0x0
	v_max_num_f32_e64 v8, s4, s4
	s_delay_alu instid0(VALU_DEP_1)
	v_maxmin_num_f32 v8, v3, v9, v8
	s_cbranch_execz .LBB221_81
	s_branch .LBB221_82
.LBB221_80:
	s_and_not1_b32 vcc_lo, exec_lo, s7
	s_cbranch_vccnz .LBB221_82
.LBB221_81:
	v_max_num_f32_e32 v8, v3, v9
.LBB221_82:
	s_delay_alu instid0(VALU_DEP_1)
	v_mov_b32_e32 v3, v8
.LBB221_83:
	s_or_b32 exec_lo, exec_lo, s6
	global_load_b32 v5, v5, s[2:3]
	s_mov_b32 s6, exec_lo
	s_wait_loadcnt 0x0
	v_cmpx_o_f32_e32 v5, v5
	s_cbranch_execz .LBB221_94
; %bb.84:
	s_load_b64 s[4:5], s[16:17], 0x158
	s_mov_b32 s7, 0
	s_wait_kmcnt 0x0
	s_cmp_lt_i32 s4, 1
	s_cbranch_scc1 .LBB221_87
; %bb.85:
	s_cmp_eq_u32 s4, 1
	s_cbranch_scc0 .LBB221_118
; %bb.86:
	v_max_num_f32_e64 v8, s5, s5
	v_max_num_f32_e32 v9, v5, v5
	s_mov_b32 s8, 0
	s_delay_alu instid0(VALU_DEP_1)
	v_min_num_f32_e32 v8, v9, v8
	s_branch .LBB221_89
.LBB221_87:
	s_mov_b32 s8, 0
                                        ; implicit-def: $vgpr8
	s_cbranch_execz .LBB221_89
; %bb.88:
	s_cmp_lg_u32 s4, 0
	s_mov_b32 s7, -1
	s_cselect_b32 s8, -1, 0
.LBB221_89:
	v_max_num_f32_e64 v9, s5, s5
	v_max_num_f32_e32 v5, v5, v5
	s_and_not1_b32 vcc_lo, exec_lo, s8
	s_cbranch_vccnz .LBB221_91
; %bb.90:
	s_load_b32 s4, s[16:17], 0x160
	s_wait_kmcnt 0x0
	v_max_num_f32_e64 v8, s4, s4
	s_delay_alu instid0(VALU_DEP_1)
	v_maxmin_num_f32 v8, v5, v9, v8
	s_cbranch_execz .LBB221_92
	s_branch .LBB221_93
.LBB221_91:
	s_and_not1_b32 vcc_lo, exec_lo, s7
	s_cbranch_vccnz .LBB221_93
.LBB221_92:
	v_max_num_f32_e32 v8, v5, v9
.LBB221_93:
	s_delay_alu instid0(VALU_DEP_1)
	v_mov_b32_e32 v5, v8
.LBB221_94:
	s_or_b32 exec_lo, exec_lo, s6
	global_load_b32 v1, v1, s[2:3]
	s_mov_b32 s6, exec_lo
	s_wait_loadcnt 0x0
	v_cmpx_o_f32_e32 v1, v1
	s_cbranch_execz .LBB221_105
; %bb.95:
	s_load_b64 s[4:5], s[16:17], 0x158
	s_mov_b32 s7, 0
	s_wait_kmcnt 0x0
	s_cmp_lt_i32 s4, 1
	s_cbranch_scc1 .LBB221_98
; %bb.96:
	s_cmp_eq_u32 s4, 1
	s_cbranch_scc0 .LBB221_119
; %bb.97:
	v_max_num_f32_e64 v8, s5, s5
	v_max_num_f32_e32 v9, v1, v1
	s_mov_b32 s8, 0
	s_delay_alu instid0(VALU_DEP_1)
	v_min_num_f32_e32 v8, v9, v8
	s_branch .LBB221_100
.LBB221_98:
	s_mov_b32 s8, 0
                                        ; implicit-def: $vgpr8
	s_cbranch_execz .LBB221_100
; %bb.99:
	s_cmp_lg_u32 s4, 0
	s_mov_b32 s7, -1
	s_cselect_b32 s8, -1, 0
.LBB221_100:
	v_max_num_f32_e64 v9, s5, s5
	v_max_num_f32_e32 v1, v1, v1
	s_and_not1_b32 vcc_lo, exec_lo, s8
	s_cbranch_vccnz .LBB221_102
; %bb.101:
	s_load_b32 s4, s[16:17], 0x160
	s_wait_kmcnt 0x0
	v_max_num_f32_e64 v8, s4, s4
	s_delay_alu instid0(VALU_DEP_1)
	v_maxmin_num_f32 v8, v1, v9, v8
	s_cbranch_execz .LBB221_103
	s_branch .LBB221_104
.LBB221_102:
	s_and_not1_b32 vcc_lo, exec_lo, s7
	s_cbranch_vccnz .LBB221_104
.LBB221_103:
	v_max_num_f32_e32 v8, v1, v9
.LBB221_104:
	s_delay_alu instid0(VALU_DEP_1)
	v_mov_b32_e32 v1, v8
.LBB221_105:
	s_or_b32 exec_lo, exec_lo, s6
	global_load_b32 v7, v7, s[2:3]
	s_mov_b32 s4, exec_lo
	s_wait_loadcnt 0x0
	v_cmpx_o_f32_e32 v7, v7
	s_cbranch_execz .LBB221_116
; %bb.106:
	s_load_b64 s[2:3], s[16:17], 0x158
	s_mov_b32 s5, 0
	s_wait_kmcnt 0x0
	s_cmp_lt_i32 s2, 1
	s_cbranch_scc1 .LBB221_109
; %bb.107:
	s_cmp_eq_u32 s2, 1
	s_cbranch_scc0 .LBB221_120
; %bb.108:
	v_max_num_f32_e64 v8, s3, s3
	v_max_num_f32_e32 v9, v7, v7
	s_mov_b32 s6, 0
	s_delay_alu instid0(VALU_DEP_1)
	v_min_num_f32_e32 v8, v9, v8
	s_branch .LBB221_111
.LBB221_109:
	s_mov_b32 s6, 0
                                        ; implicit-def: $vgpr8
	s_cbranch_execz .LBB221_111
; %bb.110:
	s_cmp_lg_u32 s2, 0
	s_mov_b32 s5, -1
	s_cselect_b32 s6, -1, 0
.LBB221_111:
	v_max_num_f32_e64 v9, s3, s3
	v_max_num_f32_e32 v7, v7, v7
	s_and_not1_b32 vcc_lo, exec_lo, s6
	s_cbranch_vccnz .LBB221_113
; %bb.112:
	s_load_b32 s2, s[16:17], 0x160
	s_wait_kmcnt 0x0
	v_max_num_f32_e64 v8, s2, s2
	s_delay_alu instid0(VALU_DEP_1)
	v_maxmin_num_f32 v8, v7, v9, v8
	s_cbranch_execz .LBB221_114
	s_branch .LBB221_115
.LBB221_113:
	s_and_not1_b32 vcc_lo, exec_lo, s5
	s_cbranch_vccnz .LBB221_115
.LBB221_114:
	v_max_num_f32_e32 v8, v7, v9
.LBB221_115:
	s_delay_alu instid0(VALU_DEP_1)
	v_mov_b32_e32 v7, v8
.LBB221_116:
	s_or_b32 exec_lo, exec_lo, s4
	s_clause 0x3
	global_store_b32 v2, v3, s[0:1]
	global_store_b32 v4, v5, s[0:1]
	;; [unrolled: 1-line block ×4, first 2 shown]
	s_endpgm
.LBB221_117:
	s_mov_b32 s8, -1
                                        ; implicit-def: $vgpr8
	s_branch .LBB221_78
.LBB221_118:
	s_mov_b32 s8, -1
                                        ; implicit-def: $vgpr8
	s_branch .LBB221_89
.LBB221_119:
	s_mov_b32 s8, -1
                                        ; implicit-def: $vgpr8
	s_branch .LBB221_100
.LBB221_120:
	s_mov_b32 s6, -1
                                        ; implicit-def: $vgpr8
	s_branch .LBB221_111
.LBB221_121:
	v_dual_mov_b32 v3, 0 :: v_dual_mov_b32 v2, 0
	s_branch .LBB221_127
.LBB221_122:
	v_dual_mov_b32 v3, 0 :: v_dual_mov_b32 v2, 0
	s_branch .LBB221_139
.LBB221_123:
	v_mov_b64_e32 v[2:3], 0
	v_mov_b32_e32 v1, v0
	s_mov_b32 s26, 0
.LBB221_124:
	s_and_b32 s18, s18, 3
	s_mov_b32 s27, 0
	s_cmp_eq_u32 s18, 0
	s_cbranch_scc1 .LBB221_127
; %bb.125:
	s_lshl_b32 s28, s26, 3
	s_mov_b32 s29, s27
	s_mul_u64 s[30:31], s[26:27], 12
	s_add_nc_u64 s[28:29], s[16:17], s[28:29]
	s_delay_alu instid0(SALU_CYCLE_1)
	s_add_nc_u64 s[26:27], s[28:29], 0xc4
	s_add_nc_u64 s[28:29], s[16:17], s[30:31]
.LBB221_126:                            ; =>This Inner Loop Header: Depth=1
	s_load_b96 s[40:42], s[28:29], 0x4
	s_load_b64 s[30:31], s[26:27], 0x0
	s_add_co_i32 s18, s18, -1
	s_wait_xcnt 0x0
	s_add_nc_u64 s[28:29], s[28:29], 12
	s_cmp_lg_u32 s18, 0
	s_add_nc_u64 s[26:27], s[26:27], 8
	s_wait_kmcnt 0x0
	v_mul_hi_u32 v4, s41, v1
	s_delay_alu instid0(VALU_DEP_1) | instskip(NEXT) | instid1(VALU_DEP_1)
	v_add_nc_u32_e32 v4, v1, v4
	v_lshrrev_b32_e32 v4, s42, v4
	s_delay_alu instid0(VALU_DEP_1) | instskip(NEXT) | instid1(VALU_DEP_1)
	v_mul_lo_u32 v5, v4, s40
	v_sub_nc_u32_e32 v1, v1, v5
	s_delay_alu instid0(VALU_DEP_1)
	v_mad_u32 v3, v1, s31, v3
	v_mad_u32 v2, v1, s30, v2
	v_mov_b32_e32 v1, v4
	s_cbranch_scc1 .LBB221_126
.LBB221_127:
	s_cbranch_execnz .LBB221_130
.LBB221_128:
	v_mov_b32_e32 v1, 0
	s_and_not1_b32 vcc_lo, exec_lo, s36
	s_delay_alu instid0(VALU_DEP_1) | instskip(NEXT) | instid1(VALU_DEP_1)
	v_mul_u64_e32 v[2:3], s[20:21], v[0:1]
	v_add_nc_u32_e32 v2, v0, v3
	s_delay_alu instid0(VALU_DEP_1) | instskip(NEXT) | instid1(VALU_DEP_1)
	v_lshrrev_b32_e32 v4, s6, v2
	v_mul_lo_u32 v2, v4, s4
	s_delay_alu instid0(VALU_DEP_1) | instskip(NEXT) | instid1(VALU_DEP_1)
	v_sub_nc_u32_e32 v2, v0, v2
	v_mul_lo_u32 v3, v2, s9
	v_mul_lo_u32 v2, v2, s8
	s_cbranch_vccnz .LBB221_130
; %bb.129:
	v_mov_b32_e32 v5, v1
	s_delay_alu instid0(VALU_DEP_1) | instskip(NEXT) | instid1(VALU_DEP_1)
	v_mul_u64_e32 v[6:7], s[22:23], v[4:5]
	v_add_nc_u32_e32 v1, v4, v7
	s_delay_alu instid0(VALU_DEP_1) | instskip(NEXT) | instid1(VALU_DEP_1)
	v_lshrrev_b32_e32 v1, s19, v1
	v_mul_lo_u32 v1, v1, s7
	s_delay_alu instid0(VALU_DEP_1) | instskip(NEXT) | instid1(VALU_DEP_1)
	v_sub_nc_u32_e32 v1, v4, v1
	v_mad_u32 v2, v1, s10, v2
	v_mad_u32 v3, v1, s11, v3
.LBB221_130:
	global_load_b32 v1, v3, s[2:3]
	s_mov_b32 s18, exec_lo
	s_wait_loadcnt 0x0
	v_cmpx_o_f32_e32 v1, v1
	s_cbranch_execz .LBB221_155
; %bb.131:
	s_cmp_lt_i32 s12, 1
	s_mov_b32 s26, 0
	s_cbranch_scc1 .LBB221_134
; %bb.132:
	s_cmp_eq_u32 s12, 1
	s_cbranch_scc0 .LBB221_147
; %bb.133:
	v_max_num_f32_e64 v3, s13, s13
	v_max_num_f32_e32 v4, v1, v1
	s_mov_b32 s27, 0
	s_delay_alu instid0(VALU_DEP_1)
	v_min_num_f32_e32 v3, v4, v3
	s_branch .LBB221_148
.LBB221_134:
	s_mov_b32 s27, 0
                                        ; implicit-def: $vgpr3
	s_cbranch_execnz .LBB221_149
	s_branch .LBB221_150
.LBB221_135:
	v_mov_b64_e32 v[2:3], 0
	v_mov_b32_e32 v1, v0
	s_mov_b32 s26, 0
.LBB221_136:
	s_and_b32 s18, s18, 3
	s_mov_b32 s27, 0
	s_cmp_eq_u32 s18, 0
	s_cbranch_scc1 .LBB221_139
; %bb.137:
	s_lshl_b32 s28, s26, 3
	s_mov_b32 s29, s27
	s_mul_u64 s[30:31], s[26:27], 12
	s_add_nc_u64 s[28:29], s[16:17], s[28:29]
	s_delay_alu instid0(SALU_CYCLE_1)
	s_add_nc_u64 s[26:27], s[28:29], 0xc4
	s_add_nc_u64 s[28:29], s[16:17], s[30:31]
.LBB221_138:                            ; =>This Inner Loop Header: Depth=1
	s_load_b96 s[40:42], s[28:29], 0x4
	s_load_b64 s[30:31], s[26:27], 0x0
	s_add_co_i32 s18, s18, -1
	s_wait_xcnt 0x0
	s_add_nc_u64 s[28:29], s[28:29], 12
	s_cmp_lg_u32 s18, 0
	s_add_nc_u64 s[26:27], s[26:27], 8
	s_wait_kmcnt 0x0
	v_mul_hi_u32 v4, s41, v1
	s_delay_alu instid0(VALU_DEP_1) | instskip(NEXT) | instid1(VALU_DEP_1)
	v_add_nc_u32_e32 v4, v1, v4
	v_lshrrev_b32_e32 v4, s42, v4
	s_delay_alu instid0(VALU_DEP_1) | instskip(NEXT) | instid1(VALU_DEP_1)
	v_mul_lo_u32 v5, v4, s40
	v_sub_nc_u32_e32 v1, v1, v5
	s_delay_alu instid0(VALU_DEP_1)
	v_mad_u32 v3, v1, s31, v3
	v_mad_u32 v2, v1, s30, v2
	v_mov_b32_e32 v1, v4
	s_cbranch_scc1 .LBB221_138
.LBB221_139:
	s_cbranch_execnz .LBB221_142
.LBB221_140:
	v_mov_b32_e32 v1, 0
	s_and_not1_b32 vcc_lo, exec_lo, s36
	s_delay_alu instid0(VALU_DEP_1) | instskip(NEXT) | instid1(VALU_DEP_1)
	v_mul_u64_e32 v[2:3], s[20:21], v[0:1]
	v_add_nc_u32_e32 v2, v0, v3
	s_delay_alu instid0(VALU_DEP_1) | instskip(NEXT) | instid1(VALU_DEP_1)
	v_lshrrev_b32_e32 v4, s6, v2
	v_mul_lo_u32 v2, v4, s4
	s_delay_alu instid0(VALU_DEP_1) | instskip(NEXT) | instid1(VALU_DEP_1)
	v_sub_nc_u32_e32 v2, v0, v2
	v_mul_lo_u32 v3, v2, s9
	v_mul_lo_u32 v2, v2, s8
	s_cbranch_vccnz .LBB221_142
; %bb.141:
	v_mov_b32_e32 v5, v1
	s_delay_alu instid0(VALU_DEP_1) | instskip(NEXT) | instid1(VALU_DEP_1)
	v_mul_u64_e32 v[6:7], s[22:23], v[4:5]
	v_add_nc_u32_e32 v1, v4, v7
	s_delay_alu instid0(VALU_DEP_1) | instskip(NEXT) | instid1(VALU_DEP_1)
	v_lshrrev_b32_e32 v1, s19, v1
	v_mul_lo_u32 v1, v1, s7
	s_delay_alu instid0(VALU_DEP_1) | instskip(NEXT) | instid1(VALU_DEP_1)
	v_sub_nc_u32_e32 v1, v4, v1
	v_mad_u32 v2, v1, s10, v2
	v_mad_u32 v3, v1, s11, v3
.LBB221_142:
	global_load_b32 v1, v3, s[2:3]
	s_mov_b32 s18, exec_lo
	s_wait_loadcnt 0x0
	v_cmpx_o_f32_e32 v1, v1
	s_cbranch_execz .LBB221_184
; %bb.143:
	s_cmp_lt_i32 s12, 1
	s_mov_b32 s26, 0
	s_cbranch_scc1 .LBB221_146
; %bb.144:
	s_cmp_eq_u32 s12, 1
	s_cbranch_scc0 .LBB221_176
; %bb.145:
	v_max_num_f32_e64 v3, s13, s13
	v_max_num_f32_e32 v4, v1, v1
	s_mov_b32 s27, 0
	s_delay_alu instid0(VALU_DEP_1)
	v_min_num_f32_e32 v3, v4, v3
	s_branch .LBB221_177
.LBB221_146:
	s_mov_b32 s27, 0
                                        ; implicit-def: $vgpr3
	s_cbranch_execnz .LBB221_178
	s_branch .LBB221_179
.LBB221_147:
	s_mov_b32 s27, -1
                                        ; implicit-def: $vgpr3
.LBB221_148:
	s_branch .LBB221_150
.LBB221_149:
	s_cmp_lg_u32 s12, 0
	s_mov_b32 s26, -1
	s_cselect_b32 s27, -1, 0
.LBB221_150:
	s_delay_alu instid0(SALU_CYCLE_1)
	s_and_not1_b32 vcc_lo, exec_lo, s27
	s_cbranch_vccnz .LBB221_152
; %bb.151:
	v_max_num_f32_e64 v3, s13, s13
	v_max_num_f32_e32 v4, v1, v1
	v_max_num_f32_e64 v5, s14, s14
	s_delay_alu instid0(VALU_DEP_1)
	v_maxmin_num_f32 v3, v4, v3, v5
	s_cbranch_execz .LBB221_153
	s_branch .LBB221_154
.LBB221_152:
	s_and_not1_b32 vcc_lo, exec_lo, s26
	s_cbranch_vccnz .LBB221_154
.LBB221_153:
	v_max_num_f32_e64 v3, s13, s13
	v_max_num_f32_e32 v1, v1, v1
	s_delay_alu instid0(VALU_DEP_1)
	v_max_num_f32_e32 v3, v1, v3
.LBB221_154:
	s_delay_alu instid0(VALU_DEP_1)
	v_mov_b32_e32 v1, v3
.LBB221_155:
	s_or_b32 exec_lo, exec_lo, s18
	v_add_nc_u32_e32 v0, 0x80, v0
	global_store_b32 v2, v1, s[0:1]
	s_wait_xcnt 0x0
	s_or_b32 exec_lo, exec_lo, s5
	s_delay_alu instid0(SALU_CYCLE_1)
	s_mov_b32 s5, exec_lo
	v_cmpx_gt_i32_e64 s37, v0
	s_cbranch_execnz .LBB221_15
.LBB221_156:
	s_or_b32 exec_lo, exec_lo, s5
	s_delay_alu instid0(SALU_CYCLE_1)
	s_mov_b32 s5, exec_lo
	v_cmpx_gt_i32_e64 s37, v0
	s_cbranch_execz .LBB221_185
.LBB221_157:
	s_and_not1_b32 vcc_lo, exec_lo, s34
	s_cbranch_vccnz .LBB221_162
; %bb.158:
	s_and_not1_b32 vcc_lo, exec_lo, s39
	s_cbranch_vccnz .LBB221_163
; %bb.159:
	s_add_co_i32 s18, s38, 1
	s_cmp_eq_u32 s33, 2
	s_cbranch_scc1 .LBB221_164
; %bb.160:
	v_dual_mov_b32 v2, 0 :: v_dual_mov_b32 v3, 0
	v_mov_b32_e32 v1, v0
	s_and_b32 s26, s18, 28
	s_mov_b32 s27, 0
	s_mov_b64 s[28:29], s[16:17]
	s_mov_b64 s[30:31], s[24:25]
.LBB221_161:                            ; =>This Inner Loop Header: Depth=1
	s_clause 0x1
	s_load_b256 s[40:47], s[28:29], 0x4
	s_load_b128 s[56:59], s[28:29], 0x24
	s_load_b256 s[48:55], s[30:31], 0x0
	s_add_co_i32 s27, s27, 4
	s_wait_xcnt 0x0
	s_add_nc_u64 s[28:29], s[28:29], 48
	s_cmp_eq_u32 s26, s27
	s_add_nc_u64 s[30:31], s[30:31], 32
	s_wait_kmcnt 0x0
	v_mul_hi_u32 v4, s41, v1
	s_delay_alu instid0(VALU_DEP_1) | instskip(NEXT) | instid1(VALU_DEP_1)
	v_add_nc_u32_e32 v4, v1, v4
	v_lshrrev_b32_e32 v4, s42, v4
	s_delay_alu instid0(VALU_DEP_1) | instskip(NEXT) | instid1(VALU_DEP_1)
	v_mul_hi_u32 v5, s44, v4
	v_add_nc_u32_e32 v5, v4, v5
	s_delay_alu instid0(VALU_DEP_1) | instskip(NEXT) | instid1(VALU_DEP_1)
	v_lshrrev_b32_e32 v5, s45, v5
	v_mul_hi_u32 v6, s47, v5
	s_delay_alu instid0(VALU_DEP_1) | instskip(SKIP_1) | instid1(VALU_DEP_1)
	v_add_nc_u32_e32 v6, v5, v6
	v_mul_lo_u32 v7, v4, s40
	v_sub_nc_u32_e32 v1, v1, v7
	v_mul_lo_u32 v7, v5, s43
	s_delay_alu instid0(VALU_DEP_4) | instskip(NEXT) | instid1(VALU_DEP_3)
	v_lshrrev_b32_e32 v6, s56, v6
	v_mad_u32 v3, v1, s49, v3
	v_mad_u32 v1, v1, s48, v2
	s_delay_alu instid0(VALU_DEP_4) | instskip(NEXT) | instid1(VALU_DEP_4)
	v_sub_nc_u32_e32 v2, v4, v7
	v_mul_hi_u32 v8, s58, v6
	v_mul_lo_u32 v4, v6, s46
	s_delay_alu instid0(VALU_DEP_3) | instskip(SKIP_1) | instid1(VALU_DEP_4)
	v_mad_u32 v3, v2, s51, v3
	v_mad_u32 v2, v2, s50, v1
	v_add_nc_u32_e32 v7, v6, v8
	s_delay_alu instid0(VALU_DEP_1) | instskip(NEXT) | instid1(VALU_DEP_1)
	v_dual_sub_nc_u32 v4, v5, v4 :: v_dual_lshrrev_b32 v1, s59, v7
	v_mad_u32 v3, v4, s53, v3
	s_delay_alu instid0(VALU_DEP_4) | instskip(NEXT) | instid1(VALU_DEP_3)
	v_mad_u32 v2, v4, s52, v2
	v_mul_lo_u32 v5, v1, s57
	s_delay_alu instid0(VALU_DEP_1) | instskip(NEXT) | instid1(VALU_DEP_1)
	v_sub_nc_u32_e32 v4, v6, v5
	v_mad_u32 v3, v4, s55, v3
	s_delay_alu instid0(VALU_DEP_4)
	v_mad_u32 v2, v4, s54, v2
	s_cbranch_scc0 .LBB221_161
	s_branch .LBB221_165
.LBB221_162:
                                        ; implicit-def: $vgpr3
	s_branch .LBB221_169
.LBB221_163:
	v_dual_mov_b32 v3, 0 :: v_dual_mov_b32 v2, 0
	s_branch .LBB221_168
.LBB221_164:
	v_mov_b64_e32 v[2:3], 0
	v_mov_b32_e32 v1, v0
	s_mov_b32 s26, 0
.LBB221_165:
	s_and_b32 s18, s18, 3
	s_mov_b32 s27, 0
	s_cmp_eq_u32 s18, 0
	s_cbranch_scc1 .LBB221_168
; %bb.166:
	s_lshl_b32 s28, s26, 3
	s_mov_b32 s29, s27
	s_mul_u64 s[30:31], s[26:27], 12
	s_add_nc_u64 s[28:29], s[16:17], s[28:29]
	s_delay_alu instid0(SALU_CYCLE_1)
	s_add_nc_u64 s[26:27], s[28:29], 0xc4
	s_add_nc_u64 s[28:29], s[16:17], s[30:31]
.LBB221_167:                            ; =>This Inner Loop Header: Depth=1
	s_load_b96 s[40:42], s[28:29], 0x4
	s_load_b64 s[30:31], s[26:27], 0x0
	s_add_co_i32 s18, s18, -1
	s_wait_xcnt 0x0
	s_add_nc_u64 s[28:29], s[28:29], 12
	s_cmp_lg_u32 s18, 0
	s_add_nc_u64 s[26:27], s[26:27], 8
	s_wait_kmcnt 0x0
	v_mul_hi_u32 v4, s41, v1
	s_delay_alu instid0(VALU_DEP_1) | instskip(NEXT) | instid1(VALU_DEP_1)
	v_add_nc_u32_e32 v4, v1, v4
	v_lshrrev_b32_e32 v4, s42, v4
	s_delay_alu instid0(VALU_DEP_1) | instskip(NEXT) | instid1(VALU_DEP_1)
	v_mul_lo_u32 v5, v4, s40
	v_sub_nc_u32_e32 v1, v1, v5
	s_delay_alu instid0(VALU_DEP_1)
	v_mad_u32 v3, v1, s31, v3
	v_mad_u32 v2, v1, s30, v2
	v_mov_b32_e32 v1, v4
	s_cbranch_scc1 .LBB221_167
.LBB221_168:
	s_cbranch_execnz .LBB221_171
.LBB221_169:
	v_mov_b32_e32 v1, 0
	s_and_not1_b32 vcc_lo, exec_lo, s36
	s_delay_alu instid0(VALU_DEP_1) | instskip(NEXT) | instid1(VALU_DEP_1)
	v_mul_u64_e32 v[2:3], s[20:21], v[0:1]
	v_add_nc_u32_e32 v2, v0, v3
	s_delay_alu instid0(VALU_DEP_1) | instskip(NEXT) | instid1(VALU_DEP_1)
	v_lshrrev_b32_e32 v4, s6, v2
	v_mul_lo_u32 v2, v4, s4
	s_delay_alu instid0(VALU_DEP_1) | instskip(NEXT) | instid1(VALU_DEP_1)
	v_sub_nc_u32_e32 v2, v0, v2
	v_mul_lo_u32 v3, v2, s9
	v_mul_lo_u32 v2, v2, s8
	s_cbranch_vccnz .LBB221_171
; %bb.170:
	v_mov_b32_e32 v5, v1
	s_delay_alu instid0(VALU_DEP_1) | instskip(NEXT) | instid1(VALU_DEP_1)
	v_mul_u64_e32 v[6:7], s[22:23], v[4:5]
	v_add_nc_u32_e32 v1, v4, v7
	s_delay_alu instid0(VALU_DEP_1) | instskip(NEXT) | instid1(VALU_DEP_1)
	v_lshrrev_b32_e32 v1, s19, v1
	v_mul_lo_u32 v1, v1, s7
	s_delay_alu instid0(VALU_DEP_1) | instskip(NEXT) | instid1(VALU_DEP_1)
	v_sub_nc_u32_e32 v1, v4, v1
	v_mad_u32 v2, v1, s10, v2
	v_mad_u32 v3, v1, s11, v3
.LBB221_171:
	global_load_b32 v1, v3, s[2:3]
	s_mov_b32 s18, exec_lo
	s_wait_loadcnt 0x0
	v_cmpx_o_f32_e32 v1, v1
	s_cbranch_execz .LBB221_196
; %bb.172:
	s_cmp_lt_i32 s12, 1
	s_mov_b32 s26, 0
	s_cbranch_scc1 .LBB221_175
; %bb.173:
	s_cmp_eq_u32 s12, 1
	s_cbranch_scc0 .LBB221_188
; %bb.174:
	v_max_num_f32_e64 v3, s13, s13
	v_max_num_f32_e32 v4, v1, v1
	s_mov_b32 s27, 0
	s_delay_alu instid0(VALU_DEP_1)
	v_min_num_f32_e32 v3, v4, v3
	s_branch .LBB221_189
.LBB221_175:
	s_mov_b32 s27, 0
                                        ; implicit-def: $vgpr3
	s_cbranch_execnz .LBB221_190
	s_branch .LBB221_191
.LBB221_176:
	s_mov_b32 s27, -1
                                        ; implicit-def: $vgpr3
.LBB221_177:
	s_branch .LBB221_179
.LBB221_178:
	s_cmp_lg_u32 s12, 0
	s_mov_b32 s26, -1
	s_cselect_b32 s27, -1, 0
.LBB221_179:
	s_delay_alu instid0(SALU_CYCLE_1)
	s_and_not1_b32 vcc_lo, exec_lo, s27
	s_cbranch_vccnz .LBB221_181
; %bb.180:
	v_max_num_f32_e64 v3, s13, s13
	v_max_num_f32_e32 v4, v1, v1
	v_max_num_f32_e64 v5, s14, s14
	s_delay_alu instid0(VALU_DEP_1)
	v_maxmin_num_f32 v3, v4, v3, v5
	s_cbranch_execz .LBB221_182
	s_branch .LBB221_183
.LBB221_181:
	s_and_not1_b32 vcc_lo, exec_lo, s26
	s_cbranch_vccnz .LBB221_183
.LBB221_182:
	v_max_num_f32_e64 v3, s13, s13
	v_max_num_f32_e32 v1, v1, v1
	s_delay_alu instid0(VALU_DEP_1)
	v_max_num_f32_e32 v3, v1, v3
.LBB221_183:
	s_delay_alu instid0(VALU_DEP_1)
	v_mov_b32_e32 v1, v3
.LBB221_184:
	s_or_b32 exec_lo, exec_lo, s18
	v_add_nc_u32_e32 v0, 0x80, v0
	global_store_b32 v2, v1, s[0:1]
	s_wait_xcnt 0x0
	s_or_b32 exec_lo, exec_lo, s5
	s_delay_alu instid0(SALU_CYCLE_1)
	s_mov_b32 s5, exec_lo
	v_cmpx_gt_i32_e64 s37, v0
	s_cbranch_execnz .LBB221_157
.LBB221_185:
	s_or_b32 exec_lo, exec_lo, s5
	s_delay_alu instid0(SALU_CYCLE_1)
	s_mov_b32 s5, exec_lo
	v_cmpx_gt_i32_e64 s37, v0
	s_cbranch_execnz .LBB221_197
.LBB221_186:
	s_or_b32 exec_lo, exec_lo, s5
                                        ; implicit-def: $vgpr8
                                        ; implicit-def: $vgpr0
	s_and_not1_saveexec_b32 s0, s35
	s_cbranch_execnz .LBB221_8
.LBB221_187:
	s_endpgm
.LBB221_188:
	s_mov_b32 s27, -1
                                        ; implicit-def: $vgpr3
.LBB221_189:
	s_branch .LBB221_191
.LBB221_190:
	s_cmp_lg_u32 s12, 0
	s_mov_b32 s26, -1
	s_cselect_b32 s27, -1, 0
.LBB221_191:
	s_delay_alu instid0(SALU_CYCLE_1)
	s_and_not1_b32 vcc_lo, exec_lo, s27
	s_cbranch_vccnz .LBB221_193
; %bb.192:
	v_max_num_f32_e64 v3, s13, s13
	v_max_num_f32_e32 v4, v1, v1
	v_max_num_f32_e64 v5, s14, s14
	s_delay_alu instid0(VALU_DEP_1)
	v_maxmin_num_f32 v3, v4, v3, v5
	s_cbranch_execz .LBB221_194
	s_branch .LBB221_195
.LBB221_193:
	s_and_not1_b32 vcc_lo, exec_lo, s26
	s_cbranch_vccnz .LBB221_195
.LBB221_194:
	v_max_num_f32_e64 v3, s13, s13
	v_max_num_f32_e32 v1, v1, v1
	s_delay_alu instid0(VALU_DEP_1)
	v_max_num_f32_e32 v3, v1, v3
.LBB221_195:
	s_delay_alu instid0(VALU_DEP_1)
	v_mov_b32_e32 v1, v3
.LBB221_196:
	s_or_b32 exec_lo, exec_lo, s18
	v_add_nc_u32_e32 v0, 0x80, v0
	global_store_b32 v2, v1, s[0:1]
	s_wait_xcnt 0x0
	s_or_b32 exec_lo, exec_lo, s5
	s_delay_alu instid0(SALU_CYCLE_1)
	s_mov_b32 s5, exec_lo
	v_cmpx_gt_i32_e64 s37, v0
	s_cbranch_execz .LBB221_186
.LBB221_197:
	s_and_not1_b32 vcc_lo, exec_lo, s34
	s_cbranch_vccnz .LBB221_202
; %bb.198:
	s_and_not1_b32 vcc_lo, exec_lo, s39
	s_cbranch_vccnz .LBB221_203
; %bb.199:
	s_add_co_i32 s38, s38, 1
	s_cmp_eq_u32 s33, 2
	s_cbranch_scc1 .LBB221_204
; %bb.200:
	v_dual_mov_b32 v2, 0 :: v_dual_mov_b32 v3, 0
	v_mov_b32_e32 v1, v0
	s_and_b32 s26, s38, 28
	s_mov_b32 s18, 0
	s_mov_b64 s[28:29], s[16:17]
.LBB221_201:                            ; =>This Inner Loop Header: Depth=1
	s_clause 0x1
	s_load_b256 s[40:47], s[28:29], 0x4
	s_load_b128 s[56:59], s[28:29], 0x24
	s_load_b256 s[48:55], s[24:25], 0x0
	s_add_co_i32 s18, s18, 4
	s_wait_xcnt 0x0
	s_add_nc_u64 s[28:29], s[28:29], 48
	s_cmp_eq_u32 s26, s18
	s_add_nc_u64 s[24:25], s[24:25], 32
	s_wait_kmcnt 0x0
	v_mul_hi_u32 v4, s41, v1
	s_delay_alu instid0(VALU_DEP_1) | instskip(NEXT) | instid1(VALU_DEP_1)
	v_add_nc_u32_e32 v4, v1, v4
	v_lshrrev_b32_e32 v4, s42, v4
	s_delay_alu instid0(VALU_DEP_1) | instskip(NEXT) | instid1(VALU_DEP_1)
	v_mul_hi_u32 v5, s44, v4
	v_add_nc_u32_e32 v5, v4, v5
	s_delay_alu instid0(VALU_DEP_1) | instskip(NEXT) | instid1(VALU_DEP_1)
	v_lshrrev_b32_e32 v5, s45, v5
	v_mul_hi_u32 v6, s47, v5
	s_delay_alu instid0(VALU_DEP_1) | instskip(SKIP_1) | instid1(VALU_DEP_1)
	v_add_nc_u32_e32 v6, v5, v6
	v_mul_lo_u32 v7, v4, s40
	v_sub_nc_u32_e32 v1, v1, v7
	v_mul_lo_u32 v7, v5, s43
	s_delay_alu instid0(VALU_DEP_4) | instskip(NEXT) | instid1(VALU_DEP_3)
	v_lshrrev_b32_e32 v6, s56, v6
	v_mad_u32 v3, v1, s49, v3
	v_mad_u32 v1, v1, s48, v2
	s_delay_alu instid0(VALU_DEP_4) | instskip(NEXT) | instid1(VALU_DEP_4)
	v_sub_nc_u32_e32 v2, v4, v7
	v_mul_hi_u32 v8, s58, v6
	v_mul_lo_u32 v4, v6, s46
	s_delay_alu instid0(VALU_DEP_3) | instskip(SKIP_1) | instid1(VALU_DEP_4)
	v_mad_u32 v3, v2, s51, v3
	v_mad_u32 v2, v2, s50, v1
	v_add_nc_u32_e32 v7, v6, v8
	s_delay_alu instid0(VALU_DEP_1) | instskip(NEXT) | instid1(VALU_DEP_1)
	v_dual_sub_nc_u32 v4, v5, v4 :: v_dual_lshrrev_b32 v1, s59, v7
	v_mad_u32 v3, v4, s53, v3
	s_delay_alu instid0(VALU_DEP_4) | instskip(NEXT) | instid1(VALU_DEP_3)
	v_mad_u32 v2, v4, s52, v2
	v_mul_lo_u32 v5, v1, s57
	s_delay_alu instid0(VALU_DEP_1) | instskip(NEXT) | instid1(VALU_DEP_1)
	v_sub_nc_u32_e32 v4, v6, v5
	v_mad_u32 v3, v4, s55, v3
	s_delay_alu instid0(VALU_DEP_4)
	v_mad_u32 v2, v4, s54, v2
	s_cbranch_scc0 .LBB221_201
	s_branch .LBB221_205
.LBB221_202:
                                        ; implicit-def: $vgpr3
	s_branch .LBB221_209
.LBB221_203:
	v_dual_mov_b32 v3, 0 :: v_dual_mov_b32 v2, 0
	s_branch .LBB221_208
.LBB221_204:
	v_mov_b64_e32 v[2:3], 0
	v_mov_b32_e32 v1, v0
	s_mov_b32 s26, 0
.LBB221_205:
	s_and_b32 s18, s38, 3
	s_mov_b32 s27, 0
	s_cmp_eq_u32 s18, 0
	s_cbranch_scc1 .LBB221_208
; %bb.206:
	s_lshl_b32 s24, s26, 3
	s_mov_b32 s25, s27
	s_mul_u64 s[26:27], s[26:27], 12
	s_add_nc_u64 s[24:25], s[16:17], s[24:25]
	s_add_nc_u64 s[26:27], s[16:17], s[26:27]
	;; [unrolled: 1-line block ×3, first 2 shown]
.LBB221_207:                            ; =>This Inner Loop Header: Depth=1
	s_load_b96 s[28:30], s[26:27], 0x4
	s_add_co_i32 s18, s18, -1
	s_wait_xcnt 0x0
	s_add_nc_u64 s[26:27], s[26:27], 12
	s_cmp_lg_u32 s18, 0
	s_wait_kmcnt 0x0
	v_mul_hi_u32 v4, s29, v1
	s_delay_alu instid0(VALU_DEP_1) | instskip(NEXT) | instid1(VALU_DEP_1)
	v_add_nc_u32_e32 v4, v1, v4
	v_lshrrev_b32_e32 v4, s30, v4
	s_load_b64 s[30:31], s[24:25], 0x0
	s_wait_xcnt 0x0
	s_add_nc_u64 s[24:25], s[24:25], 8
	s_delay_alu instid0(VALU_DEP_1) | instskip(NEXT) | instid1(VALU_DEP_1)
	v_mul_lo_u32 v5, v4, s28
	v_sub_nc_u32_e32 v1, v1, v5
	s_wait_kmcnt 0x0
	s_delay_alu instid0(VALU_DEP_1)
	v_mad_u32 v3, v1, s31, v3
	v_mad_u32 v2, v1, s30, v2
	v_mov_b32_e32 v1, v4
	s_cbranch_scc1 .LBB221_207
.LBB221_208:
	s_cbranch_execnz .LBB221_211
.LBB221_209:
	v_mov_b32_e32 v1, 0
	s_and_not1_b32 vcc_lo, exec_lo, s36
	s_delay_alu instid0(VALU_DEP_1) | instskip(NEXT) | instid1(VALU_DEP_1)
	v_mul_u64_e32 v[2:3], s[20:21], v[0:1]
	v_add_nc_u32_e32 v2, v0, v3
	s_delay_alu instid0(VALU_DEP_1) | instskip(NEXT) | instid1(VALU_DEP_1)
	v_lshrrev_b32_e32 v4, s6, v2
	v_mul_lo_u32 v2, v4, s4
	s_delay_alu instid0(VALU_DEP_1) | instskip(NEXT) | instid1(VALU_DEP_1)
	v_sub_nc_u32_e32 v0, v0, v2
	v_mul_lo_u32 v3, v0, s9
	v_mul_lo_u32 v2, v0, s8
	s_cbranch_vccnz .LBB221_211
; %bb.210:
	v_mov_b32_e32 v5, v1
	s_delay_alu instid0(VALU_DEP_1) | instskip(NEXT) | instid1(VALU_DEP_1)
	v_mul_u64_e32 v[0:1], s[22:23], v[4:5]
	v_add_nc_u32_e32 v0, v4, v1
	s_delay_alu instid0(VALU_DEP_1) | instskip(NEXT) | instid1(VALU_DEP_1)
	v_lshrrev_b32_e32 v0, s19, v0
	v_mul_lo_u32 v0, v0, s7
	s_delay_alu instid0(VALU_DEP_1) | instskip(NEXT) | instid1(VALU_DEP_1)
	v_sub_nc_u32_e32 v0, v4, v0
	v_mad_u32 v2, v0, s10, v2
	v_mad_u32 v3, v0, s11, v3
.LBB221_211:
	global_load_b32 v0, v3, s[2:3]
	s_wait_xcnt 0x0
	s_mov_b32 s2, exec_lo
	s_wait_loadcnt 0x0
	v_cmpx_o_f32_e32 v0, v0
	s_cbranch_execz .LBB221_224
; %bb.212:
	s_cmp_lt_i32 s12, 1
	s_mov_b32 s3, 0
	s_cbranch_scc1 .LBB221_215
; %bb.213:
	s_cmp_eq_u32 s12, 1
	s_cbranch_scc0 .LBB221_216
; %bb.214:
	v_max_num_f32_e64 v1, s13, s13
	v_max_num_f32_e32 v3, v0, v0
	s_mov_b32 s4, 0
	s_delay_alu instid0(VALU_DEP_1)
	v_min_num_f32_e32 v1, v3, v1
	s_branch .LBB221_217
.LBB221_215:
	s_mov_b32 s4, 0
                                        ; implicit-def: $vgpr1
	s_cbranch_execnz .LBB221_218
	s_branch .LBB221_219
.LBB221_216:
	s_mov_b32 s4, -1
                                        ; implicit-def: $vgpr1
.LBB221_217:
	s_branch .LBB221_219
.LBB221_218:
	s_cmp_lg_u32 s12, 0
	s_mov_b32 s3, -1
	s_cselect_b32 s4, -1, 0
.LBB221_219:
	s_delay_alu instid0(SALU_CYCLE_1)
	s_and_not1_b32 vcc_lo, exec_lo, s4
	s_cbranch_vccnz .LBB221_221
; %bb.220:
	v_max_num_f32_e64 v1, s13, s13
	v_max_num_f32_e32 v3, v0, v0
	v_max_num_f32_e64 v4, s14, s14
	s_delay_alu instid0(VALU_DEP_1)
	v_maxmin_num_f32 v1, v3, v1, v4
	s_cbranch_execz .LBB221_222
	s_branch .LBB221_223
.LBB221_221:
	s_and_not1_b32 vcc_lo, exec_lo, s3
	s_cbranch_vccnz .LBB221_223
.LBB221_222:
	v_max_num_f32_e64 v1, s13, s13
	v_max_num_f32_e32 v0, v0, v0
	s_delay_alu instid0(VALU_DEP_1)
	v_max_num_f32_e32 v1, v0, v1
.LBB221_223:
	s_delay_alu instid0(VALU_DEP_1)
	v_mov_b32_e32 v0, v1
.LBB221_224:
	s_or_b32 exec_lo, exec_lo, s2
	global_store_b32 v2, v0, s[0:1]
	s_wait_xcnt 0x0
	s_or_b32 exec_lo, exec_lo, s5
                                        ; implicit-def: $vgpr8
                                        ; implicit-def: $vgpr0
	s_and_not1_saveexec_b32 s0, s35
	s_cbranch_execz .LBB221_187
	s_branch .LBB221_8
	.section	.rodata,"a",@progbits
	.p2align	6, 0x0
	.amdhsa_kernel _ZN2at6native32elementwise_kernel_manual_unrollILi128ELi4EZNS0_22gpu_kernel_impl_nocastIZZZNS0_12_GLOBAL__N_119launch_clamp_scalarERNS_18TensorIteratorBaseEN3c106ScalarES7_NS0_6detail11ClampLimitsEENKUlvE_clEvENKUlvE5_clEvEUlfE_EEvS5_RKT_EUlibE_EEviT1_
		.amdhsa_group_segment_fixed_size 0
		.amdhsa_private_segment_fixed_size 0
		.amdhsa_kernarg_size 368
		.amdhsa_user_sgpr_count 2
		.amdhsa_user_sgpr_dispatch_ptr 0
		.amdhsa_user_sgpr_queue_ptr 0
		.amdhsa_user_sgpr_kernarg_segment_ptr 1
		.amdhsa_user_sgpr_dispatch_id 0
		.amdhsa_user_sgpr_kernarg_preload_length 0
		.amdhsa_user_sgpr_kernarg_preload_offset 0
		.amdhsa_user_sgpr_private_segment_size 0
		.amdhsa_wavefront_size32 1
		.amdhsa_uses_dynamic_stack 0
		.amdhsa_enable_private_segment 0
		.amdhsa_system_sgpr_workgroup_id_x 1
		.amdhsa_system_sgpr_workgroup_id_y 0
		.amdhsa_system_sgpr_workgroup_id_z 0
		.amdhsa_system_sgpr_workgroup_info 0
		.amdhsa_system_vgpr_workitem_id 0
		.amdhsa_next_free_vgpr 15
		.amdhsa_next_free_sgpr 60
		.amdhsa_named_barrier_count 0
		.amdhsa_reserve_vcc 1
		.amdhsa_float_round_mode_32 0
		.amdhsa_float_round_mode_16_64 0
		.amdhsa_float_denorm_mode_32 3
		.amdhsa_float_denorm_mode_16_64 3
		.amdhsa_fp16_overflow 0
		.amdhsa_memory_ordered 1
		.amdhsa_forward_progress 1
		.amdhsa_inst_pref_size 61
		.amdhsa_round_robin_scheduling 0
		.amdhsa_exception_fp_ieee_invalid_op 0
		.amdhsa_exception_fp_denorm_src 0
		.amdhsa_exception_fp_ieee_div_zero 0
		.amdhsa_exception_fp_ieee_overflow 0
		.amdhsa_exception_fp_ieee_underflow 0
		.amdhsa_exception_fp_ieee_inexact 0
		.amdhsa_exception_int_div_zero 0
	.end_amdhsa_kernel
	.section	.text._ZN2at6native32elementwise_kernel_manual_unrollILi128ELi4EZNS0_22gpu_kernel_impl_nocastIZZZNS0_12_GLOBAL__N_119launch_clamp_scalarERNS_18TensorIteratorBaseEN3c106ScalarES7_NS0_6detail11ClampLimitsEENKUlvE_clEvENKUlvE5_clEvEUlfE_EEvS5_RKT_EUlibE_EEviT1_,"axG",@progbits,_ZN2at6native32elementwise_kernel_manual_unrollILi128ELi4EZNS0_22gpu_kernel_impl_nocastIZZZNS0_12_GLOBAL__N_119launch_clamp_scalarERNS_18TensorIteratorBaseEN3c106ScalarES7_NS0_6detail11ClampLimitsEENKUlvE_clEvENKUlvE5_clEvEUlfE_EEvS5_RKT_EUlibE_EEviT1_,comdat
.Lfunc_end221:
	.size	_ZN2at6native32elementwise_kernel_manual_unrollILi128ELi4EZNS0_22gpu_kernel_impl_nocastIZZZNS0_12_GLOBAL__N_119launch_clamp_scalarERNS_18TensorIteratorBaseEN3c106ScalarES7_NS0_6detail11ClampLimitsEENKUlvE_clEvENKUlvE5_clEvEUlfE_EEvS5_RKT_EUlibE_EEviT1_, .Lfunc_end221-_ZN2at6native32elementwise_kernel_manual_unrollILi128ELi4EZNS0_22gpu_kernel_impl_nocastIZZZNS0_12_GLOBAL__N_119launch_clamp_scalarERNS_18TensorIteratorBaseEN3c106ScalarES7_NS0_6detail11ClampLimitsEENKUlvE_clEvENKUlvE5_clEvEUlfE_EEvS5_RKT_EUlibE_EEviT1_
                                        ; -- End function
	.set _ZN2at6native32elementwise_kernel_manual_unrollILi128ELi4EZNS0_22gpu_kernel_impl_nocastIZZZNS0_12_GLOBAL__N_119launch_clamp_scalarERNS_18TensorIteratorBaseEN3c106ScalarES7_NS0_6detail11ClampLimitsEENKUlvE_clEvENKUlvE5_clEvEUlfE_EEvS5_RKT_EUlibE_EEviT1_.num_vgpr, 15
	.set _ZN2at6native32elementwise_kernel_manual_unrollILi128ELi4EZNS0_22gpu_kernel_impl_nocastIZZZNS0_12_GLOBAL__N_119launch_clamp_scalarERNS_18TensorIteratorBaseEN3c106ScalarES7_NS0_6detail11ClampLimitsEENKUlvE_clEvENKUlvE5_clEvEUlfE_EEvS5_RKT_EUlibE_EEviT1_.num_agpr, 0
	.set _ZN2at6native32elementwise_kernel_manual_unrollILi128ELi4EZNS0_22gpu_kernel_impl_nocastIZZZNS0_12_GLOBAL__N_119launch_clamp_scalarERNS_18TensorIteratorBaseEN3c106ScalarES7_NS0_6detail11ClampLimitsEENKUlvE_clEvENKUlvE5_clEvEUlfE_EEvS5_RKT_EUlibE_EEviT1_.numbered_sgpr, 60
	.set _ZN2at6native32elementwise_kernel_manual_unrollILi128ELi4EZNS0_22gpu_kernel_impl_nocastIZZZNS0_12_GLOBAL__N_119launch_clamp_scalarERNS_18TensorIteratorBaseEN3c106ScalarES7_NS0_6detail11ClampLimitsEENKUlvE_clEvENKUlvE5_clEvEUlfE_EEvS5_RKT_EUlibE_EEviT1_.num_named_barrier, 0
	.set _ZN2at6native32elementwise_kernel_manual_unrollILi128ELi4EZNS0_22gpu_kernel_impl_nocastIZZZNS0_12_GLOBAL__N_119launch_clamp_scalarERNS_18TensorIteratorBaseEN3c106ScalarES7_NS0_6detail11ClampLimitsEENKUlvE_clEvENKUlvE5_clEvEUlfE_EEvS5_RKT_EUlibE_EEviT1_.private_seg_size, 0
	.set _ZN2at6native32elementwise_kernel_manual_unrollILi128ELi4EZNS0_22gpu_kernel_impl_nocastIZZZNS0_12_GLOBAL__N_119launch_clamp_scalarERNS_18TensorIteratorBaseEN3c106ScalarES7_NS0_6detail11ClampLimitsEENKUlvE_clEvENKUlvE5_clEvEUlfE_EEvS5_RKT_EUlibE_EEviT1_.uses_vcc, 1
	.set _ZN2at6native32elementwise_kernel_manual_unrollILi128ELi4EZNS0_22gpu_kernel_impl_nocastIZZZNS0_12_GLOBAL__N_119launch_clamp_scalarERNS_18TensorIteratorBaseEN3c106ScalarES7_NS0_6detail11ClampLimitsEENKUlvE_clEvENKUlvE5_clEvEUlfE_EEvS5_RKT_EUlibE_EEviT1_.uses_flat_scratch, 0
	.set _ZN2at6native32elementwise_kernel_manual_unrollILi128ELi4EZNS0_22gpu_kernel_impl_nocastIZZZNS0_12_GLOBAL__N_119launch_clamp_scalarERNS_18TensorIteratorBaseEN3c106ScalarES7_NS0_6detail11ClampLimitsEENKUlvE_clEvENKUlvE5_clEvEUlfE_EEvS5_RKT_EUlibE_EEviT1_.has_dyn_sized_stack, 0
	.set _ZN2at6native32elementwise_kernel_manual_unrollILi128ELi4EZNS0_22gpu_kernel_impl_nocastIZZZNS0_12_GLOBAL__N_119launch_clamp_scalarERNS_18TensorIteratorBaseEN3c106ScalarES7_NS0_6detail11ClampLimitsEENKUlvE_clEvENKUlvE5_clEvEUlfE_EEvS5_RKT_EUlibE_EEviT1_.has_recursion, 0
	.set _ZN2at6native32elementwise_kernel_manual_unrollILi128ELi4EZNS0_22gpu_kernel_impl_nocastIZZZNS0_12_GLOBAL__N_119launch_clamp_scalarERNS_18TensorIteratorBaseEN3c106ScalarES7_NS0_6detail11ClampLimitsEENKUlvE_clEvENKUlvE5_clEvEUlfE_EEvS5_RKT_EUlibE_EEviT1_.has_indirect_call, 0
	.section	.AMDGPU.csdata,"",@progbits
; Kernel info:
; codeLenInByte = 7728
; TotalNumSgprs: 62
; NumVgprs: 15
; ScratchSize: 0
; MemoryBound: 0
; FloatMode: 240
; IeeeMode: 1
; LDSByteSize: 0 bytes/workgroup (compile time only)
; SGPRBlocks: 0
; VGPRBlocks: 0
; NumSGPRsForWavesPerEU: 62
; NumVGPRsForWavesPerEU: 15
; NamedBarCnt: 0
; Occupancy: 16
; WaveLimiterHint : 1
; COMPUTE_PGM_RSRC2:SCRATCH_EN: 0
; COMPUTE_PGM_RSRC2:USER_SGPR: 2
; COMPUTE_PGM_RSRC2:TRAP_HANDLER: 0
; COMPUTE_PGM_RSRC2:TGID_X_EN: 1
; COMPUTE_PGM_RSRC2:TGID_Y_EN: 0
; COMPUTE_PGM_RSRC2:TGID_Z_EN: 0
; COMPUTE_PGM_RSRC2:TIDIG_COMP_CNT: 0
	.section	.text._ZN2at6native32elementwise_kernel_manual_unrollILi128ELi4EZNS0_15gpu_kernel_implIZZZNS0_12_GLOBAL__N_119launch_clamp_scalarERNS_18TensorIteratorBaseEN3c106ScalarES7_NS0_6detail11ClampLimitsEENKUlvE_clEvENKUlvE5_clEvEUlfE_EEvS5_RKT_EUlibE_EEviT1_,"axG",@progbits,_ZN2at6native32elementwise_kernel_manual_unrollILi128ELi4EZNS0_15gpu_kernel_implIZZZNS0_12_GLOBAL__N_119launch_clamp_scalarERNS_18TensorIteratorBaseEN3c106ScalarES7_NS0_6detail11ClampLimitsEENKUlvE_clEvENKUlvE5_clEvEUlfE_EEvS5_RKT_EUlibE_EEviT1_,comdat
	.globl	_ZN2at6native32elementwise_kernel_manual_unrollILi128ELi4EZNS0_15gpu_kernel_implIZZZNS0_12_GLOBAL__N_119launch_clamp_scalarERNS_18TensorIteratorBaseEN3c106ScalarES7_NS0_6detail11ClampLimitsEENKUlvE_clEvENKUlvE5_clEvEUlfE_EEvS5_RKT_EUlibE_EEviT1_ ; -- Begin function _ZN2at6native32elementwise_kernel_manual_unrollILi128ELi4EZNS0_15gpu_kernel_implIZZZNS0_12_GLOBAL__N_119launch_clamp_scalarERNS_18TensorIteratorBaseEN3c106ScalarES7_NS0_6detail11ClampLimitsEENKUlvE_clEvENKUlvE5_clEvEUlfE_EEvS5_RKT_EUlibE_EEviT1_
	.p2align	8
	.type	_ZN2at6native32elementwise_kernel_manual_unrollILi128ELi4EZNS0_15gpu_kernel_implIZZZNS0_12_GLOBAL__N_119launch_clamp_scalarERNS_18TensorIteratorBaseEN3c106ScalarES7_NS0_6detail11ClampLimitsEENKUlvE_clEvENKUlvE5_clEvEUlfE_EEvS5_RKT_EUlibE_EEviT1_,@function
_ZN2at6native32elementwise_kernel_manual_unrollILi128ELi4EZNS0_15gpu_kernel_implIZZZNS0_12_GLOBAL__N_119launch_clamp_scalarERNS_18TensorIteratorBaseEN3c106ScalarES7_NS0_6detail11ClampLimitsEENKUlvE_clEvENKUlvE5_clEvEUlfE_EEvS5_RKT_EUlibE_EEviT1_: ; @_ZN2at6native32elementwise_kernel_manual_unrollILi128ELi4EZNS0_15gpu_kernel_implIZZZNS0_12_GLOBAL__N_119launch_clamp_scalarERNS_18TensorIteratorBaseEN3c106ScalarES7_NS0_6detail11ClampLimitsEENKUlvE_clEvENKUlvE5_clEvEUlfE_EEvS5_RKT_EUlibE_EEviT1_
; %bb.0:
	s_load_b64 s[2:3], s[0:1], 0x28
	s_bfe_u32 s4, ttmp6, 0x4000c
	s_load_b32 s15, s[0:1], 0x0
	s_add_co_i32 s12, s4, 1
	s_load_b256 s[4:11], s[0:1], 0x8
	s_and_b32 s13, ttmp6, 15
	s_wait_xcnt 0x0
	s_mul_i32 s0, ttmp9, s12
	s_getreg_b32 s14, hwreg(HW_REG_IB_STS2, 6, 4)
	s_add_co_i32 s13, s13, s0
	s_mov_b32 s1, 0
	s_wait_kmcnt 0x0
	s_bfe_u32 s12, s3, 0x80008
	s_cmp_eq_u32 s14, 0
	s_mov_b32 s14, 0
	s_cselect_b32 s0, ttmp9, s13
	s_delay_alu instid0(SALU_CYCLE_1) | instskip(SKIP_1) | instid1(VALU_DEP_1)
	v_lshl_or_b32 v10, s0, 9, v0
	s_mov_b32 s0, exec_lo
	v_or_b32_e32 v0, 0x180, v10
	s_delay_alu instid0(VALU_DEP_1)
	v_cmpx_le_i32_e64 s15, v0
	s_xor_b32 s13, exec_lo, s0
	s_cbranch_execz .LBB222_1084
; %bb.1:
	s_mov_b32 s20, -1
	s_mov_b32 s18, 0
	s_mov_b32 s16, 0
	s_mov_b32 s17, exec_lo
	v_cmpx_gt_i32_e64 s15, v10
	s_cbranch_execz .LBB222_265
; %bb.2:
	v_mul_lo_u32 v0, v10, s9
	s_and_b32 s0, 0xffff, s12
	s_delay_alu instid0(SALU_CYCLE_1) | instskip(NEXT) | instid1(VALU_DEP_1)
	s_cmp_lt_i32 s0, 11
	v_ashrrev_i32_e32 v1, 31, v0
	s_delay_alu instid0(VALU_DEP_1)
	v_add_nc_u64_e32 v[2:3], s[6:7], v[0:1]
	s_cbranch_scc1 .LBB222_9
; %bb.3:
	s_cmp_gt_i32 s0, 25
	s_cbranch_scc0 .LBB222_15
; %bb.4:
	s_cmp_gt_i32 s0, 28
	s_cbranch_scc0 .LBB222_16
	;; [unrolled: 3-line block ×4, first 2 shown]
; %bb.7:
	s_cmp_eq_u32 s0, 46
	s_mov_b32 s19, 0
	s_cbranch_scc0 .LBB222_40
; %bb.8:
	global_load_b32 v0, v[2:3], off
	s_mov_b32 s14, -1
	s_wait_loadcnt 0x0
	v_lshlrev_b32_e32 v0, 16, v0
	s_branch .LBB222_42
.LBB222_9:
                                        ; implicit-def: $vgpr0
	s_cbranch_execnz .LBB222_215
.LBB222_10:
	s_and_not1_b32 vcc_lo, exec_lo, s14
	s_cbranch_vccnz .LBB222_262
.LBB222_11:
	s_mov_b32 s0, exec_lo
	s_wait_loadcnt 0x0
	s_delay_alu instid0(VALU_DEP_1)
	v_cmpx_o_f32_e32 v0, v0
	s_cbranch_execz .LBB222_27
; %bb.12:
	s_cmp_lt_i32 s10, 1
	s_mov_b32 s14, 0
	s_cbranch_scc1 .LBB222_17
; %bb.13:
	s_cmp_eq_u32 s10, 1
	s_cbranch_scc0 .LBB222_21
; %bb.14:
	v_max_num_f32_e64 v1, s11, s11
	v_max_num_f32_e32 v2, v0, v0
	s_mov_b32 s19, 0
	s_delay_alu instid0(VALU_DEP_1)
	v_min_num_f32_e32 v1, v2, v1
	s_branch .LBB222_22
.LBB222_15:
                                        ; implicit-def: $vgpr0
	s_cbranch_execnz .LBB222_180
	s_branch .LBB222_214
.LBB222_16:
	s_mov_b32 s19, -1
                                        ; implicit-def: $vgpr0
	s_branch .LBB222_161
.LBB222_17:
	s_mov_b32 s19, 0
                                        ; implicit-def: $vgpr1
	s_cbranch_execnz .LBB222_23
.LBB222_18:
	v_max_num_f32_e32 v0, v0, v0
	s_and_not1_b32 vcc_lo, exec_lo, s19
	s_cbranch_vccnz .LBB222_24
.LBB222_19:
	v_max_num_f32_e64 v1, s11, s11
	v_max_num_f32_e64 v2, s2, s2
	s_delay_alu instid0(VALU_DEP_1)
	v_maxmin_num_f32 v1, v0, v1, v2
	s_cbranch_execz .LBB222_25
	s_branch .LBB222_26
.LBB222_20:
	s_mov_b32 s19, -1
                                        ; implicit-def: $vgpr0
	s_branch .LBB222_156
.LBB222_21:
	s_mov_b32 s19, -1
                                        ; implicit-def: $vgpr1
.LBB222_22:
	s_branch .LBB222_18
.LBB222_23:
	s_cmp_lg_u32 s10, 0
	s_mov_b32 s14, -1
	s_cselect_b32 s19, -1, 0
	v_max_num_f32_e32 v0, v0, v0
	s_and_not1_b32 vcc_lo, exec_lo, s19
	s_cbranch_vccz .LBB222_19
.LBB222_24:
	s_and_not1_b32 vcc_lo, exec_lo, s14
	s_cbranch_vccnz .LBB222_26
.LBB222_25:
	v_max_num_f32_e64 v1, s11, s11
	s_delay_alu instid0(VALU_DEP_1)
	v_max_num_f32_e32 v1, v0, v1
.LBB222_26:
	s_delay_alu instid0(VALU_DEP_1)
	v_mov_b32_e32 v0, v1
.LBB222_27:
	s_or_b32 exec_lo, exec_lo, s0
	v_mul_lo_u32 v2, v10, s8
	s_and_b32 s14, s3, 0xff
	s_delay_alu instid0(SALU_CYCLE_1) | instskip(NEXT) | instid1(VALU_DEP_1)
	s_cmp_lt_i32 s14, 11
	v_ashrrev_i32_e32 v3, 31, v2
	s_delay_alu instid0(VALU_DEP_1)
	v_add_nc_u64_e32 v[2:3], s[4:5], v[2:3]
	s_cbranch_scc1 .LBB222_34
; %bb.28:
	s_and_b32 s19, 0xffff, s14
	s_delay_alu instid0(SALU_CYCLE_1)
	s_cmp_gt_i32 s19, 25
	s_cbranch_scc0 .LBB222_36
; %bb.29:
	s_cmp_gt_i32 s19, 28
	s_cbranch_scc0 .LBB222_37
; %bb.30:
	;; [unrolled: 3-line block ×4, first 2 shown]
	s_mov_b32 s21, 0
	s_mov_b32 s0, -1
	s_cmp_eq_u32 s19, 46
	s_mov_b32 s20, 0
	s_cbranch_scc0 .LBB222_46
; %bb.33:
	v_bfe_u32 v1, v0, 16, 1
	v_cmp_o_f32_e32 vcc_lo, v0, v0
	s_mov_b32 s20, -1
	s_mov_b32 s0, 0
	s_delay_alu instid0(VALU_DEP_2) | instskip(NEXT) | instid1(VALU_DEP_1)
	v_add3_u32 v1, v0, v1, 0x7fff
	v_lshrrev_b32_e32 v1, 16, v1
	s_delay_alu instid0(VALU_DEP_1)
	v_cndmask_b32_e32 v1, 0x7fc0, v1, vcc_lo
	global_store_b32 v[2:3], v1, off
	s_branch .LBB222_46
.LBB222_34:
	s_mov_b32 s0, 0
	s_mov_b32 s20, 0
	s_cbranch_execnz .LBB222_115
.LBB222_35:
	s_and_not1_b32 vcc_lo, exec_lo, s20
	s_cbranch_vccnz .LBB222_263
	s_branch .LBB222_153
.LBB222_36:
	s_mov_b32 s21, -1
	s_mov_b32 s0, 0
	s_mov_b32 s20, 0
	s_branch .LBB222_73
.LBB222_37:
	s_mov_b32 s21, -1
	s_mov_b32 s0, 0
	s_mov_b32 s20, 0
	s_branch .LBB222_56
.LBB222_38:
	s_mov_b32 s19, -1
	s_branch .LBB222_41
.LBB222_39:
	s_mov_b32 s21, -1
	s_mov_b32 s0, 0
	s_mov_b32 s20, 0
	s_branch .LBB222_52
.LBB222_40:
	s_mov_b32 s16, -1
.LBB222_41:
                                        ; implicit-def: $vgpr0
.LBB222_42:
	s_and_b32 vcc_lo, exec_lo, s19
	s_cbranch_vccz .LBB222_155
; %bb.43:
	s_cmp_eq_u32 s0, 44
	s_cbranch_scc0 .LBB222_154
; %bb.44:
	global_load_u8 v0, v[2:3], off
	s_mov_b32 s16, 0
	s_mov_b32 s14, -1
	s_wait_loadcnt 0x0
	v_lshlrev_b32_e32 v1, 23, v0
	v_cmp_ne_u32_e32 vcc_lo, 0xff, v0
	s_delay_alu instid0(VALU_DEP_2) | instskip(SKIP_1) | instid1(VALU_DEP_2)
	v_cndmask_b32_e32 v1, 0x7f800001, v1, vcc_lo
	v_cmp_ne_u32_e32 vcc_lo, 0, v0
	v_cndmask_b32_e32 v0, 0x400000, v1, vcc_lo
	s_branch .LBB222_155
.LBB222_45:
	s_mov_b32 s21, -1
	s_mov_b32 s0, 0
	s_mov_b32 s20, 0
.LBB222_46:
	s_and_b32 vcc_lo, exec_lo, s21
	s_cbranch_vccz .LBB222_51
; %bb.47:
	s_cmp_eq_u32 s19, 44
	s_mov_b32 s0, -1
	s_cbranch_scc0 .LBB222_51
; %bb.48:
	v_bfe_u32 v4, v0, 23, 8
	s_wait_xcnt 0x0
	v_mov_b32_e32 v1, 0xff
	s_mov_b32 s20, exec_lo
	s_delay_alu instid0(VALU_DEP_2)
	v_cmpx_ne_u32_e32 0xff, v4
	s_cbranch_execz .LBB222_50
; %bb.49:
	v_and_b32_e32 v1, 0x400000, v0
	v_and_or_b32 v4, 0x3fffff, v0, v4
	s_delay_alu instid0(VALU_DEP_2) | instskip(NEXT) | instid1(VALU_DEP_2)
	v_cmp_ne_u32_e32 vcc_lo, 0, v1
	v_cmp_ne_u32_e64 s0, 0, v4
	v_lshrrev_b32_e32 v1, 23, v0
	s_and_b32 s0, vcc_lo, s0
	s_delay_alu instid0(SALU_CYCLE_1) | instskip(NEXT) | instid1(VALU_DEP_1)
	v_cndmask_b32_e64 v4, 0, 1, s0
	v_add_nc_u32_e32 v1, v1, v4
.LBB222_50:
	s_or_b32 exec_lo, exec_lo, s20
	s_mov_b32 s20, -1
	s_mov_b32 s0, 0
	global_store_b8 v[2:3], v1, off
.LBB222_51:
	s_mov_b32 s21, 0
.LBB222_52:
	s_delay_alu instid0(SALU_CYCLE_1)
	s_and_b32 vcc_lo, exec_lo, s21
	s_cbranch_vccz .LBB222_55
; %bb.53:
	s_cmp_eq_u32 s19, 29
	s_mov_b32 s0, -1
	s_cbranch_scc0 .LBB222_55
; %bb.54:
	s_wait_xcnt 0x0
	v_trunc_f32_e32 v1, v0
	s_mov_b32 s20, -1
	s_mov_b32 s0, 0
	s_mov_b32 s21, 0
	s_delay_alu instid0(VALU_DEP_1) | instskip(NEXT) | instid1(VALU_DEP_1)
	v_mul_f32_e32 v4, 0x2f800000, v1
	v_floor_f32_e32 v4, v4
	s_delay_alu instid0(VALU_DEP_1) | instskip(SKIP_1) | instid1(VALU_DEP_2)
	v_fmamk_f32 v1, v4, 0xcf800000, v1
	v_cvt_u32_f32_e32 v5, v4
	v_cvt_u32_f32_e32 v4, v1
	global_store_b64 v[2:3], v[4:5], off
	s_branch .LBB222_56
.LBB222_55:
	s_mov_b32 s21, 0
.LBB222_56:
	s_delay_alu instid0(SALU_CYCLE_1)
	s_and_b32 vcc_lo, exec_lo, s21
	s_cbranch_vccz .LBB222_72
; %bb.57:
	s_cmp_lt_i32 s19, 27
	s_mov_b32 s20, -1
	s_cbranch_scc1 .LBB222_63
; %bb.58:
	s_wait_xcnt 0x0
	v_cvt_u32_f32_e32 v1, v0
	s_cmp_gt_i32 s19, 27
	s_cbranch_scc0 .LBB222_60
; %bb.59:
	s_mov_b32 s20, 0
	global_store_b32 v[2:3], v1, off
.LBB222_60:
	s_and_not1_b32 vcc_lo, exec_lo, s20
	s_cbranch_vccnz .LBB222_62
; %bb.61:
	global_store_b16 v[2:3], v1, off
.LBB222_62:
	s_mov_b32 s20, 0
.LBB222_63:
	s_delay_alu instid0(SALU_CYCLE_1)
	s_and_not1_b32 vcc_lo, exec_lo, s20
	s_cbranch_vccnz .LBB222_71
; %bb.64:
	s_wait_xcnt 0x0
	v_and_b32_e32 v1, 0x7fffffff, v0
	v_mov_b32_e32 v4, 0x80
	s_mov_b32 s20, exec_lo
	s_delay_alu instid0(VALU_DEP_2)
	v_cmpx_gt_u32_e32 0x43800000, v1
	s_cbranch_execz .LBB222_70
; %bb.65:
	v_cmp_lt_u32_e32 vcc_lo, 0x3bffffff, v1
	s_mov_b32 s21, 0
                                        ; implicit-def: $vgpr1
	s_and_saveexec_b32 s22, vcc_lo
	s_delay_alu instid0(SALU_CYCLE_1)
	s_xor_b32 s22, exec_lo, s22
	s_cbranch_execz .LBB222_306
; %bb.66:
	v_bfe_u32 v1, v0, 20, 1
	s_mov_b32 s21, exec_lo
	s_delay_alu instid0(VALU_DEP_1) | instskip(NEXT) | instid1(VALU_DEP_1)
	v_add3_u32 v1, v0, v1, 0x487ffff
	v_lshrrev_b32_e32 v1, 20, v1
	s_and_not1_saveexec_b32 s22, s22
	s_cbranch_execnz .LBB222_307
.LBB222_67:
	s_or_b32 exec_lo, exec_lo, s22
	v_mov_b32_e32 v4, 0
	s_and_saveexec_b32 s22, s21
.LBB222_68:
	v_lshrrev_b32_e32 v4, 24, v0
	s_delay_alu instid0(VALU_DEP_1)
	v_and_or_b32 v4, 0x80, v4, v1
.LBB222_69:
	s_or_b32 exec_lo, exec_lo, s22
.LBB222_70:
	s_delay_alu instid0(SALU_CYCLE_1)
	s_or_b32 exec_lo, exec_lo, s20
	global_store_b8 v[2:3], v4, off
.LBB222_71:
	s_mov_b32 s20, -1
.LBB222_72:
	s_mov_b32 s21, 0
.LBB222_73:
	s_delay_alu instid0(SALU_CYCLE_1)
	s_and_b32 vcc_lo, exec_lo, s21
	s_cbranch_vccz .LBB222_114
; %bb.74:
	s_cmp_gt_i32 s19, 22
	s_mov_b32 s21, -1
	s_cbranch_scc0 .LBB222_106
; %bb.75:
	s_cmp_lt_i32 s19, 24
	s_mov_b32 s20, -1
	s_cbranch_scc1 .LBB222_95
; %bb.76:
	s_cmp_gt_i32 s19, 24
	s_cbranch_scc0 .LBB222_84
; %bb.77:
	s_wait_xcnt 0x0
	v_and_b32_e32 v1, 0x7fffffff, v0
	v_mov_b32_e32 v4, 0x80
	s_mov_b32 s20, exec_lo
	s_delay_alu instid0(VALU_DEP_2)
	v_cmpx_gt_u32_e32 0x47800000, v1
	s_cbranch_execz .LBB222_83
; %bb.78:
	v_cmp_lt_u32_e32 vcc_lo, 0x37ffffff, v1
	s_mov_b32 s21, 0
                                        ; implicit-def: $vgpr1
	s_and_saveexec_b32 s22, vcc_lo
	s_delay_alu instid0(SALU_CYCLE_1)
	s_xor_b32 s22, exec_lo, s22
	s_cbranch_execz .LBB222_310
; %bb.79:
	v_bfe_u32 v1, v0, 21, 1
	s_mov_b32 s21, exec_lo
	s_delay_alu instid0(VALU_DEP_1) | instskip(NEXT) | instid1(VALU_DEP_1)
	v_add3_u32 v1, v0, v1, 0x88fffff
	v_lshrrev_b32_e32 v1, 21, v1
	s_and_not1_saveexec_b32 s22, s22
	s_cbranch_execnz .LBB222_311
.LBB222_80:
	s_or_b32 exec_lo, exec_lo, s22
	v_mov_b32_e32 v4, 0
	s_and_saveexec_b32 s22, s21
.LBB222_81:
	v_lshrrev_b32_e32 v4, 24, v0
	s_delay_alu instid0(VALU_DEP_1)
	v_and_or_b32 v4, 0x80, v4, v1
.LBB222_82:
	s_or_b32 exec_lo, exec_lo, s22
.LBB222_83:
	s_delay_alu instid0(SALU_CYCLE_1)
	s_or_b32 exec_lo, exec_lo, s20
	s_mov_b32 s20, 0
	global_store_b8 v[2:3], v4, off
.LBB222_84:
	s_and_b32 vcc_lo, exec_lo, s20
	s_cbranch_vccz .LBB222_94
; %bb.85:
	s_wait_xcnt 0x0
	v_and_b32_e32 v4, 0x7fffffff, v0
	s_mov_b32 s20, exec_lo
                                        ; implicit-def: $vgpr1
	s_delay_alu instid0(VALU_DEP_1)
	v_cmpx_gt_u32_e32 0x43f00000, v4
	s_xor_b32 s20, exec_lo, s20
	s_cbranch_execz .LBB222_91
; %bb.86:
	s_mov_b32 s21, exec_lo
                                        ; implicit-def: $vgpr1
	v_cmpx_lt_u32_e32 0x3c7fffff, v4
	s_xor_b32 s21, exec_lo, s21
; %bb.87:
	v_bfe_u32 v1, v0, 20, 1
	s_delay_alu instid0(VALU_DEP_1) | instskip(NEXT) | instid1(VALU_DEP_1)
	v_add3_u32 v1, v0, v1, 0x407ffff
	v_and_b32_e32 v4, 0xff00000, v1
	v_lshrrev_b32_e32 v1, 20, v1
	s_delay_alu instid0(VALU_DEP_2) | instskip(NEXT) | instid1(VALU_DEP_2)
	v_cmp_ne_u32_e32 vcc_lo, 0x7f00000, v4
	v_cndmask_b32_e32 v1, 0x7e, v1, vcc_lo
; %bb.88:
	s_and_not1_saveexec_b32 s21, s21
; %bb.89:
	v_add_f32_e64 v1, 0x46800000, |v0|
; %bb.90:
	s_or_b32 exec_lo, exec_lo, s21
                                        ; implicit-def: $vgpr4
.LBB222_91:
	s_and_not1_saveexec_b32 s20, s20
; %bb.92:
	v_mov_b32_e32 v1, 0x7f
	v_cmp_lt_u32_e32 vcc_lo, 0x7f800000, v4
	s_delay_alu instid0(VALU_DEP_2)
	v_cndmask_b32_e32 v1, 0x7e, v1, vcc_lo
; %bb.93:
	s_or_b32 exec_lo, exec_lo, s20
	v_lshrrev_b32_e32 v4, 24, v0
	s_delay_alu instid0(VALU_DEP_1)
	v_and_or_b32 v1, 0x80, v4, v1
	global_store_b8 v[2:3], v1, off
.LBB222_94:
	s_mov_b32 s20, 0
.LBB222_95:
	s_delay_alu instid0(SALU_CYCLE_1)
	s_and_not1_b32 vcc_lo, exec_lo, s20
	s_cbranch_vccnz .LBB222_105
; %bb.96:
	s_wait_xcnt 0x0
	v_and_b32_e32 v4, 0x7fffffff, v0
	s_mov_b32 s20, exec_lo
                                        ; implicit-def: $vgpr1
	s_delay_alu instid0(VALU_DEP_1)
	v_cmpx_gt_u32_e32 0x47800000, v4
	s_xor_b32 s20, exec_lo, s20
	s_cbranch_execz .LBB222_102
; %bb.97:
	s_mov_b32 s21, exec_lo
                                        ; implicit-def: $vgpr1
	v_cmpx_lt_u32_e32 0x387fffff, v4
	s_xor_b32 s21, exec_lo, s21
; %bb.98:
	v_bfe_u32 v1, v0, 21, 1
	s_delay_alu instid0(VALU_DEP_1) | instskip(NEXT) | instid1(VALU_DEP_1)
	v_add3_u32 v1, v0, v1, 0x80fffff
	v_lshrrev_b32_e32 v1, 21, v1
; %bb.99:
	s_and_not1_saveexec_b32 s21, s21
; %bb.100:
	v_add_f32_e64 v1, 0x43000000, |v0|
; %bb.101:
	s_or_b32 exec_lo, exec_lo, s21
                                        ; implicit-def: $vgpr4
.LBB222_102:
	s_and_not1_saveexec_b32 s20, s20
; %bb.103:
	v_mov_b32_e32 v1, 0x7f
	v_cmp_lt_u32_e32 vcc_lo, 0x7f800000, v4
	s_delay_alu instid0(VALU_DEP_2)
	v_cndmask_b32_e32 v1, 0x7c, v1, vcc_lo
; %bb.104:
	s_or_b32 exec_lo, exec_lo, s20
	v_lshrrev_b32_e32 v4, 24, v0
	s_delay_alu instid0(VALU_DEP_1)
	v_and_or_b32 v1, 0x80, v4, v1
	global_store_b8 v[2:3], v1, off
.LBB222_105:
	s_mov_b32 s21, 0
	s_mov_b32 s20, -1
.LBB222_106:
	s_and_not1_b32 vcc_lo, exec_lo, s21
	s_cbranch_vccnz .LBB222_114
; %bb.107:
	s_cmp_gt_i32 s19, 14
	s_mov_b32 s21, -1
	s_cbranch_scc0 .LBB222_111
; %bb.108:
	s_cmp_eq_u32 s19, 15
	s_mov_b32 s0, -1
	s_cbranch_scc0 .LBB222_110
; %bb.109:
	s_wait_xcnt 0x0
	v_bfe_u32 v1, v0, 16, 1
	v_cmp_o_f32_e32 vcc_lo, v0, v0
	s_mov_b32 s20, -1
	s_mov_b32 s0, 0
	s_delay_alu instid0(VALU_DEP_2) | instskip(NEXT) | instid1(VALU_DEP_1)
	v_add3_u32 v1, v0, v1, 0x7fff
	v_lshrrev_b32_e32 v1, 16, v1
	s_delay_alu instid0(VALU_DEP_1)
	v_cndmask_b32_e32 v1, 0x7fc0, v1, vcc_lo
	global_store_b16 v[2:3], v1, off
.LBB222_110:
	s_mov_b32 s21, 0
.LBB222_111:
	s_delay_alu instid0(SALU_CYCLE_1)
	s_and_b32 vcc_lo, exec_lo, s21
	s_cbranch_vccz .LBB222_114
; %bb.112:
	s_cmp_eq_u32 s19, 11
	s_mov_b32 s0, -1
	s_cbranch_scc0 .LBB222_114
; %bb.113:
	v_cmp_neq_f32_e32 vcc_lo, 0, v0
	s_mov_b32 s0, 0
	s_mov_b32 s20, -1
	s_wait_xcnt 0x0
	v_cndmask_b32_e64 v1, 0, 1, vcc_lo
	global_store_b8 v[2:3], v1, off
.LBB222_114:
	s_branch .LBB222_35
.LBB222_115:
	s_and_b32 s14, 0xffff, s14
	s_mov_b32 s19, -1
	s_cmp_lt_i32 s14, 5
	s_cbranch_scc1 .LBB222_136
; %bb.116:
	s_cmp_lt_i32 s14, 8
	s_cbranch_scc1 .LBB222_126
; %bb.117:
	;; [unrolled: 3-line block ×3, first 2 shown]
	s_cmp_gt_i32 s14, 9
	s_cbranch_scc0 .LBB222_120
; %bb.119:
	s_wait_xcnt 0x0
	v_cvt_f64_f32_e32 v[4:5], v0
	v_mov_b32_e32 v6, 0
	s_mov_b32 s19, 0
	s_delay_alu instid0(VALU_DEP_1)
	v_mov_b32_e32 v7, v6
	global_store_b128 v[2:3], v[4:7], off
.LBB222_120:
	s_and_not1_b32 vcc_lo, exec_lo, s19
	s_cbranch_vccnz .LBB222_122
; %bb.121:
	s_wait_xcnt 0x0
	v_mov_b32_e32 v1, 0
	global_store_b64 v[2:3], v[0:1], off
.LBB222_122:
	s_mov_b32 s19, 0
.LBB222_123:
	s_delay_alu instid0(SALU_CYCLE_1)
	s_and_not1_b32 vcc_lo, exec_lo, s19
	s_cbranch_vccnz .LBB222_125
; %bb.124:
	s_wait_xcnt 0x0
	v_cvt_f16_f32_e32 v1, v0
	s_delay_alu instid0(VALU_DEP_1)
	v_and_b32_e32 v1, 0xffff, v1
	global_store_b32 v[2:3], v1, off
.LBB222_125:
	s_mov_b32 s19, 0
.LBB222_126:
	s_delay_alu instid0(SALU_CYCLE_1)
	s_and_not1_b32 vcc_lo, exec_lo, s19
	s_cbranch_vccnz .LBB222_135
; %bb.127:
	s_cmp_lt_i32 s14, 6
	s_mov_b32 s19, -1
	s_cbranch_scc1 .LBB222_133
; %bb.128:
	s_cmp_gt_i32 s14, 6
	s_cbranch_scc0 .LBB222_130
; %bb.129:
	s_wait_xcnt 0x0
	v_cvt_f64_f32_e32 v[4:5], v0
	s_mov_b32 s19, 0
	global_store_b64 v[2:3], v[4:5], off
.LBB222_130:
	s_and_not1_b32 vcc_lo, exec_lo, s19
	s_cbranch_vccnz .LBB222_132
; %bb.131:
	global_store_b32 v[2:3], v0, off
.LBB222_132:
	s_mov_b32 s19, 0
.LBB222_133:
	s_delay_alu instid0(SALU_CYCLE_1)
	s_and_not1_b32 vcc_lo, exec_lo, s19
	s_cbranch_vccnz .LBB222_135
; %bb.134:
	s_wait_xcnt 0x0
	v_cvt_f16_f32_e32 v1, v0
	global_store_b16 v[2:3], v1, off
.LBB222_135:
	s_mov_b32 s19, 0
.LBB222_136:
	s_delay_alu instid0(SALU_CYCLE_1)
	s_and_not1_b32 vcc_lo, exec_lo, s19
	s_cbranch_vccnz .LBB222_152
; %bb.137:
	s_cmp_lt_i32 s14, 2
	s_mov_b32 s19, -1
	s_cbranch_scc1 .LBB222_147
; %bb.138:
	s_cmp_lt_i32 s14, 3
	s_cbranch_scc1 .LBB222_144
; %bb.139:
	s_cmp_gt_i32 s14, 3
	s_cbranch_scc0 .LBB222_141
; %bb.140:
	s_wait_xcnt 0x0
	v_trunc_f32_e32 v1, v0
	s_mov_b32 s19, 0
	s_delay_alu instid0(VALU_DEP_1) | instskip(NEXT) | instid1(VALU_DEP_1)
	v_mul_f32_e64 v4, 0x2f800000, |v1|
	v_floor_f32_e32 v5, v4
	v_ashrrev_i32_e32 v4, 31, v1
	s_delay_alu instid0(VALU_DEP_2) | instskip(SKIP_1) | instid1(VALU_DEP_3)
	v_fma_f32 v6, 0xcf800000, v5, |v1|
	v_cvt_u32_f32_e32 v1, v5
	v_mov_b32_e32 v5, v4
	s_delay_alu instid0(VALU_DEP_3) | instskip(NEXT) | instid1(VALU_DEP_3)
	v_cvt_u32_f32_e32 v6, v6
	v_xor_b32_e32 v7, v1, v4
	s_delay_alu instid0(VALU_DEP_2) | instskip(NEXT) | instid1(VALU_DEP_1)
	v_xor_b32_e32 v6, v6, v4
	v_sub_nc_u64_e32 v[4:5], v[6:7], v[4:5]
	global_store_b64 v[2:3], v[4:5], off
.LBB222_141:
	s_and_not1_b32 vcc_lo, exec_lo, s19
	s_cbranch_vccnz .LBB222_143
; %bb.142:
	s_wait_xcnt 0x0
	v_cvt_i32_f32_e32 v1, v0
	global_store_b32 v[2:3], v1, off
.LBB222_143:
	s_mov_b32 s19, 0
.LBB222_144:
	s_delay_alu instid0(SALU_CYCLE_1)
	s_and_not1_b32 vcc_lo, exec_lo, s19
	s_cbranch_vccnz .LBB222_146
; %bb.145:
	s_wait_xcnt 0x0
	v_cvt_i32_f32_e32 v1, v0
	global_store_b16 v[2:3], v1, off
.LBB222_146:
	s_mov_b32 s19, 0
.LBB222_147:
	s_delay_alu instid0(SALU_CYCLE_1)
	s_and_not1_b32 vcc_lo, exec_lo, s19
	s_cbranch_vccnz .LBB222_152
; %bb.148:
	s_cmp_gt_i32 s14, 0
	s_mov_b32 s14, -1
	s_cbranch_scc0 .LBB222_150
; %bb.149:
	s_wait_xcnt 0x0
	v_cvt_i32_f32_e32 v1, v0
	s_mov_b32 s14, 0
	global_store_b8 v[2:3], v1, off
.LBB222_150:
	s_and_not1_b32 vcc_lo, exec_lo, s14
	s_cbranch_vccnz .LBB222_152
; %bb.151:
	s_wait_xcnt 0x0
	v_trunc_f32_e32 v0, v0
	s_delay_alu instid0(VALU_DEP_1) | instskip(NEXT) | instid1(VALU_DEP_1)
	v_mul_f32_e64 v1, 0x2f800000, |v0|
	v_floor_f32_e32 v1, v1
	s_delay_alu instid0(VALU_DEP_1) | instskip(SKIP_1) | instid1(VALU_DEP_2)
	v_fma_f32 v1, 0xcf800000, v1, |v0|
	v_ashrrev_i32_e32 v0, 31, v0
	v_cvt_u32_f32_e32 v1, v1
	s_delay_alu instid0(VALU_DEP_1) | instskip(NEXT) | instid1(VALU_DEP_1)
	v_xor_b32_e32 v1, v1, v0
	v_sub_nc_u32_e32 v0, v1, v0
	global_store_b8 v[2:3], v0, off
.LBB222_152:
.LBB222_153:
	v_add_nc_u32_e32 v10, 0x80, v10
	s_mov_b32 s19, -1
	s_branch .LBB222_264
.LBB222_154:
	s_mov_b32 s16, -1
                                        ; implicit-def: $vgpr0
.LBB222_155:
	s_mov_b32 s19, 0
.LBB222_156:
	s_delay_alu instid0(SALU_CYCLE_1)
	s_and_b32 vcc_lo, exec_lo, s19
	s_cbranch_vccz .LBB222_160
; %bb.157:
	s_cmp_eq_u32 s0, 29
	s_cbranch_scc0 .LBB222_159
; %bb.158:
	global_load_b64 v[0:1], v[2:3], off
	s_mov_b32 s14, -1
	s_mov_b32 s16, 0
	s_mov_b32 s19, 0
	s_wait_loadcnt 0x0
	v_clz_i32_u32_e32 v4, v1
	s_delay_alu instid0(VALU_DEP_1) | instskip(NEXT) | instid1(VALU_DEP_1)
	v_min_u32_e32 v4, 32, v4
	v_lshlrev_b64_e32 v[0:1], v4, v[0:1]
	s_delay_alu instid0(VALU_DEP_1) | instskip(NEXT) | instid1(VALU_DEP_1)
	v_min_u32_e32 v0, 1, v0
	v_or_b32_e32 v0, v1, v0
	v_sub_nc_u32_e32 v1, 32, v4
	s_delay_alu instid0(VALU_DEP_2) | instskip(NEXT) | instid1(VALU_DEP_1)
	v_cvt_f32_u32_e32 v0, v0
	v_ldexp_f32 v0, v0, v1
	s_branch .LBB222_161
.LBB222_159:
	s_mov_b32 s16, -1
                                        ; implicit-def: $vgpr0
.LBB222_160:
	s_mov_b32 s19, 0
.LBB222_161:
	s_delay_alu instid0(SALU_CYCLE_1)
	s_and_b32 vcc_lo, exec_lo, s19
	s_cbranch_vccz .LBB222_179
; %bb.162:
	s_cmp_lt_i32 s0, 27
	s_cbranch_scc1 .LBB222_165
; %bb.163:
	s_cmp_gt_i32 s0, 27
	s_cbranch_scc0 .LBB222_166
; %bb.164:
	global_load_b32 v0, v[2:3], off
	s_mov_b32 s14, 0
	s_wait_loadcnt 0x0
	v_cvt_f32_u32_e32 v0, v0
	s_branch .LBB222_167
.LBB222_165:
	s_mov_b32 s14, -1
                                        ; implicit-def: $vgpr0
	s_branch .LBB222_170
.LBB222_166:
	s_mov_b32 s14, -1
                                        ; implicit-def: $vgpr0
.LBB222_167:
	s_delay_alu instid0(SALU_CYCLE_1)
	s_and_not1_b32 vcc_lo, exec_lo, s14
	s_cbranch_vccnz .LBB222_169
; %bb.168:
	global_load_u16 v0, v[2:3], off
	s_wait_loadcnt 0x0
	v_cvt_f32_u32_e32 v0, v0
.LBB222_169:
	s_mov_b32 s14, 0
.LBB222_170:
	s_delay_alu instid0(SALU_CYCLE_1)
	s_and_not1_b32 vcc_lo, exec_lo, s14
	s_cbranch_vccnz .LBB222_178
; %bb.171:
	global_load_u8 v1, v[2:3], off
	s_mov_b32 s14, 0
	s_mov_b32 s19, exec_lo
	s_wait_loadcnt 0x0
	v_cmpx_lt_i16_e32 0x7f, v1
	s_xor_b32 s19, exec_lo, s19
	s_cbranch_execz .LBB222_191
; %bb.172:
	s_mov_b32 s14, -1
	s_mov_b32 s20, exec_lo
	v_cmpx_eq_u16_e32 0x80, v1
; %bb.173:
	s_xor_b32 s14, exec_lo, -1
; %bb.174:
	s_or_b32 exec_lo, exec_lo, s20
	s_delay_alu instid0(SALU_CYCLE_1)
	s_and_b32 s14, s14, exec_lo
	s_or_saveexec_b32 s19, s19
	v_mov_b32_e32 v0, 0x7f800001
	s_xor_b32 exec_lo, exec_lo, s19
	s_cbranch_execnz .LBB222_192
.LBB222_175:
	s_or_b32 exec_lo, exec_lo, s19
	s_and_saveexec_b32 s19, s14
	s_cbranch_execz .LBB222_177
.LBB222_176:
	v_and_b32_e32 v0, 0xffff, v1
	s_delay_alu instid0(VALU_DEP_1) | instskip(SKIP_1) | instid1(VALU_DEP_2)
	v_and_b32_e32 v4, 7, v0
	v_bfe_u32 v7, v0, 3, 4
	v_clz_i32_u32_e32 v5, v4
	s_delay_alu instid0(VALU_DEP_2) | instskip(NEXT) | instid1(VALU_DEP_2)
	v_cmp_eq_u32_e32 vcc_lo, 0, v7
	v_min_u32_e32 v5, 32, v5
	s_delay_alu instid0(VALU_DEP_1) | instskip(NEXT) | instid1(VALU_DEP_1)
	v_subrev_nc_u32_e32 v6, 28, v5
	v_dual_lshlrev_b32 v0, v6, v0 :: v_dual_sub_nc_u32 v5, 29, v5
	s_delay_alu instid0(VALU_DEP_1) | instskip(NEXT) | instid1(VALU_DEP_1)
	v_dual_lshlrev_b32 v1, 24, v1 :: v_dual_bitop2_b32 v0, 7, v0 bitop3:0x40
	v_dual_cndmask_b32 v0, v4, v0 :: v_dual_cndmask_b32 v5, v7, v5
	s_delay_alu instid0(VALU_DEP_2) | instskip(NEXT) | instid1(VALU_DEP_2)
	v_and_b32_e32 v1, 0x80000000, v1
	v_lshlrev_b32_e32 v0, 20, v0
	s_delay_alu instid0(VALU_DEP_3) | instskip(NEXT) | instid1(VALU_DEP_1)
	v_lshl_add_u32 v4, v5, 23, 0x3b800000
	v_or3_b32 v0, v1, v4, v0
.LBB222_177:
	s_or_b32 exec_lo, exec_lo, s19
.LBB222_178:
	s_mov_b32 s14, -1
.LBB222_179:
	s_branch .LBB222_214
.LBB222_180:
	s_cmp_gt_i32 s0, 22
	s_cbranch_scc0 .LBB222_190
; %bb.181:
	s_cmp_lt_i32 s0, 24
	s_cbranch_scc1 .LBB222_193
; %bb.182:
	s_cmp_gt_i32 s0, 24
	s_cbranch_scc0 .LBB222_194
; %bb.183:
	global_load_u8 v1, v[2:3], off
	s_mov_b32 s14, 0
	s_mov_b32 s19, exec_lo
	s_wait_loadcnt 0x0
	v_cmpx_lt_i16_e32 0x7f, v1
	s_xor_b32 s19, exec_lo, s19
	s_cbranch_execz .LBB222_206
; %bb.184:
	s_mov_b32 s14, -1
	s_mov_b32 s20, exec_lo
	v_cmpx_eq_u16_e32 0x80, v1
; %bb.185:
	s_xor_b32 s14, exec_lo, -1
; %bb.186:
	s_or_b32 exec_lo, exec_lo, s20
	s_delay_alu instid0(SALU_CYCLE_1)
	s_and_b32 s14, s14, exec_lo
	s_or_saveexec_b32 s19, s19
	v_mov_b32_e32 v0, 0x7f800001
	s_xor_b32 exec_lo, exec_lo, s19
	s_cbranch_execnz .LBB222_207
.LBB222_187:
	s_or_b32 exec_lo, exec_lo, s19
	s_and_saveexec_b32 s19, s14
	s_cbranch_execz .LBB222_189
.LBB222_188:
	v_and_b32_e32 v0, 0xffff, v1
	s_delay_alu instid0(VALU_DEP_1) | instskip(SKIP_1) | instid1(VALU_DEP_2)
	v_and_b32_e32 v4, 3, v0
	v_bfe_u32 v7, v0, 2, 5
	v_clz_i32_u32_e32 v5, v4
	s_delay_alu instid0(VALU_DEP_2) | instskip(NEXT) | instid1(VALU_DEP_2)
	v_cmp_eq_u32_e32 vcc_lo, 0, v7
	v_min_u32_e32 v5, 32, v5
	s_delay_alu instid0(VALU_DEP_1) | instskip(NEXT) | instid1(VALU_DEP_1)
	v_subrev_nc_u32_e32 v6, 29, v5
	v_dual_lshlrev_b32 v0, v6, v0 :: v_dual_sub_nc_u32 v5, 30, v5
	s_delay_alu instid0(VALU_DEP_1) | instskip(NEXT) | instid1(VALU_DEP_1)
	v_dual_lshlrev_b32 v1, 24, v1 :: v_dual_bitop2_b32 v0, 3, v0 bitop3:0x40
	v_dual_cndmask_b32 v0, v4, v0 :: v_dual_cndmask_b32 v5, v7, v5
	s_delay_alu instid0(VALU_DEP_2) | instskip(NEXT) | instid1(VALU_DEP_2)
	v_and_b32_e32 v1, 0x80000000, v1
	v_lshlrev_b32_e32 v0, 21, v0
	s_delay_alu instid0(VALU_DEP_3) | instskip(NEXT) | instid1(VALU_DEP_1)
	v_lshl_add_u32 v4, v5, 23, 0x37800000
	v_or3_b32 v0, v1, v4, v0
.LBB222_189:
	s_or_b32 exec_lo, exec_lo, s19
	s_mov_b32 s14, 0
	s_branch .LBB222_195
.LBB222_190:
	s_mov_b32 s19, -1
                                        ; implicit-def: $vgpr0
	s_branch .LBB222_201
.LBB222_191:
	s_or_saveexec_b32 s19, s19
	v_mov_b32_e32 v0, 0x7f800001
	s_xor_b32 exec_lo, exec_lo, s19
	s_cbranch_execz .LBB222_175
.LBB222_192:
	v_cmp_ne_u16_e32 vcc_lo, 0, v1
	v_mov_b32_e32 v0, 0
	s_and_not1_b32 s14, s14, exec_lo
	s_and_b32 s20, vcc_lo, exec_lo
	s_delay_alu instid0(SALU_CYCLE_1)
	s_or_b32 s14, s14, s20
	s_or_b32 exec_lo, exec_lo, s19
	s_and_saveexec_b32 s19, s14
	s_cbranch_execnz .LBB222_176
	s_branch .LBB222_177
.LBB222_193:
	s_mov_b32 s14, -1
                                        ; implicit-def: $vgpr0
	s_branch .LBB222_198
.LBB222_194:
	s_mov_b32 s14, -1
                                        ; implicit-def: $vgpr0
.LBB222_195:
	s_delay_alu instid0(SALU_CYCLE_1)
	s_and_b32 vcc_lo, exec_lo, s14
	s_cbranch_vccz .LBB222_197
; %bb.196:
	global_load_u8 v0, v[2:3], off
	s_wait_loadcnt 0x0
	v_lshlrev_b32_e32 v0, 24, v0
	s_delay_alu instid0(VALU_DEP_1) | instskip(NEXT) | instid1(VALU_DEP_1)
	v_and_b32_e32 v1, 0x7f000000, v0
	v_clz_i32_u32_e32 v4, v1
	v_cmp_ne_u32_e32 vcc_lo, 0, v1
	v_add_nc_u32_e32 v6, 0x1000000, v1
	s_delay_alu instid0(VALU_DEP_3) | instskip(NEXT) | instid1(VALU_DEP_1)
	v_min_u32_e32 v4, 32, v4
	v_sub_nc_u32_e64 v4, v4, 4 clamp
	s_delay_alu instid0(VALU_DEP_1) | instskip(NEXT) | instid1(VALU_DEP_1)
	v_dual_lshlrev_b32 v5, v4, v1 :: v_dual_lshlrev_b32 v4, 23, v4
	v_lshrrev_b32_e32 v5, 4, v5
	s_delay_alu instid0(VALU_DEP_1) | instskip(NEXT) | instid1(VALU_DEP_1)
	v_dual_sub_nc_u32 v4, v5, v4 :: v_dual_ashrrev_i32 v5, 8, v6
	v_add_nc_u32_e32 v4, 0x3c000000, v4
	s_delay_alu instid0(VALU_DEP_1) | instskip(NEXT) | instid1(VALU_DEP_1)
	v_and_or_b32 v4, 0x7f800000, v5, v4
	v_cndmask_b32_e32 v1, 0, v4, vcc_lo
	s_delay_alu instid0(VALU_DEP_1)
	v_and_or_b32 v0, 0x80000000, v0, v1
.LBB222_197:
	s_mov_b32 s14, 0
.LBB222_198:
	s_delay_alu instid0(SALU_CYCLE_1)
	s_and_not1_b32 vcc_lo, exec_lo, s14
	s_cbranch_vccnz .LBB222_200
; %bb.199:
	global_load_u8 v0, v[2:3], off
	s_wait_loadcnt 0x0
	v_lshlrev_b32_e32 v1, 25, v0
	v_lshlrev_b16 v0, 8, v0
	s_delay_alu instid0(VALU_DEP_1) | instskip(SKIP_1) | instid1(VALU_DEP_2)
	v_and_or_b32 v5, 0x7f00, v0, 0.5
	v_bfe_i32 v0, v0, 0, 16
	v_add_f32_e32 v5, -0.5, v5
	v_lshrrev_b32_e32 v4, 4, v1
	v_cmp_gt_u32_e32 vcc_lo, 0x8000000, v1
	s_delay_alu instid0(VALU_DEP_2) | instskip(NEXT) | instid1(VALU_DEP_1)
	v_or_b32_e32 v4, 0x70000000, v4
	v_mul_f32_e32 v4, 0x7800000, v4
	s_delay_alu instid0(VALU_DEP_1) | instskip(NEXT) | instid1(VALU_DEP_1)
	v_cndmask_b32_e32 v1, v4, v5, vcc_lo
	v_and_or_b32 v0, 0x80000000, v0, v1
.LBB222_200:
	s_mov_b32 s19, 0
	s_mov_b32 s14, -1
.LBB222_201:
	s_and_not1_b32 vcc_lo, exec_lo, s19
	s_cbranch_vccnz .LBB222_214
; %bb.202:
	s_cmp_gt_i32 s0, 14
	s_cbranch_scc0 .LBB222_205
; %bb.203:
	s_cmp_eq_u32 s0, 15
	s_cbranch_scc0 .LBB222_208
; %bb.204:
	global_load_u16 v0, v[2:3], off
	s_mov_b32 s14, -1
	s_mov_b32 s16, 0
	s_wait_loadcnt 0x0
	v_lshlrev_b32_e32 v0, 16, v0
	s_branch .LBB222_209
.LBB222_205:
	s_mov_b32 s19, -1
                                        ; implicit-def: $vgpr0
	s_branch .LBB222_210
.LBB222_206:
	s_or_saveexec_b32 s19, s19
	v_mov_b32_e32 v0, 0x7f800001
	s_xor_b32 exec_lo, exec_lo, s19
	s_cbranch_execz .LBB222_187
.LBB222_207:
	v_cmp_ne_u16_e32 vcc_lo, 0, v1
	v_mov_b32_e32 v0, 0
	s_and_not1_b32 s14, s14, exec_lo
	s_and_b32 s20, vcc_lo, exec_lo
	s_delay_alu instid0(SALU_CYCLE_1)
	s_or_b32 s14, s14, s20
	s_or_b32 exec_lo, exec_lo, s19
	s_and_saveexec_b32 s19, s14
	s_cbranch_execnz .LBB222_188
	s_branch .LBB222_189
.LBB222_208:
	s_mov_b32 s16, -1
                                        ; implicit-def: $vgpr0
.LBB222_209:
	s_mov_b32 s19, 0
.LBB222_210:
	s_delay_alu instid0(SALU_CYCLE_1)
	s_and_b32 vcc_lo, exec_lo, s19
	s_cbranch_vccz .LBB222_214
; %bb.211:
	s_cmp_eq_u32 s0, 11
	s_cbranch_scc0 .LBB222_213
; %bb.212:
	global_load_u8 v0, v[2:3], off
	s_mov_b32 s16, 0
	s_mov_b32 s14, -1
	s_wait_loadcnt 0x0
	v_cmp_ne_u16_e32 vcc_lo, 0, v0
	v_cndmask_b32_e64 v0, 0, 1.0, vcc_lo
	s_branch .LBB222_214
.LBB222_213:
	s_mov_b32 s16, -1
                                        ; implicit-def: $vgpr0
.LBB222_214:
	s_branch .LBB222_10
.LBB222_215:
	s_cmp_lt_i32 s0, 5
	s_cbranch_scc1 .LBB222_220
; %bb.216:
	s_cmp_lt_i32 s0, 8
	s_cbranch_scc1 .LBB222_221
; %bb.217:
	;; [unrolled: 3-line block ×3, first 2 shown]
	s_cmp_gt_i32 s0, 9
	s_cbranch_scc0 .LBB222_223
; %bb.219:
	global_load_b64 v[0:1], v[2:3], off
	s_mov_b32 s14, 0
	s_wait_loadcnt 0x0
	v_cvt_f32_f64_e32 v0, v[0:1]
	s_branch .LBB222_224
.LBB222_220:
                                        ; implicit-def: $vgpr0
	s_branch .LBB222_242
.LBB222_221:
	s_mov_b32 s14, -1
                                        ; implicit-def: $vgpr0
	s_branch .LBB222_230
.LBB222_222:
	s_mov_b32 s14, -1
                                        ; implicit-def: $vgpr0
	s_branch .LBB222_227
.LBB222_223:
	s_mov_b32 s14, -1
                                        ; implicit-def: $vgpr0
.LBB222_224:
	s_delay_alu instid0(SALU_CYCLE_1)
	s_and_not1_b32 vcc_lo, exec_lo, s14
	s_cbranch_vccnz .LBB222_226
; %bb.225:
	global_load_b32 v0, v[2:3], off
.LBB222_226:
	s_mov_b32 s14, 0
.LBB222_227:
	s_delay_alu instid0(SALU_CYCLE_1)
	s_and_not1_b32 vcc_lo, exec_lo, s14
	s_cbranch_vccnz .LBB222_229
; %bb.228:
	s_wait_loadcnt 0x0
	global_load_b32 v0, v[2:3], off
	s_wait_loadcnt 0x0
	v_cvt_f32_f16_e32 v0, v0
.LBB222_229:
	s_mov_b32 s14, 0
.LBB222_230:
	s_delay_alu instid0(SALU_CYCLE_1)
	s_and_not1_b32 vcc_lo, exec_lo, s14
	s_cbranch_vccnz .LBB222_241
; %bb.231:
	s_cmp_lt_i32 s0, 6
	s_cbranch_scc1 .LBB222_234
; %bb.232:
	s_cmp_gt_i32 s0, 6
	s_cbranch_scc0 .LBB222_235
; %bb.233:
	s_wait_loadcnt 0x0
	global_load_b64 v[0:1], v[2:3], off
	s_mov_b32 s14, 0
	s_wait_loadcnt 0x0
	v_cvt_f32_f64_e32 v0, v[0:1]
	s_branch .LBB222_236
.LBB222_234:
	s_mov_b32 s14, -1
                                        ; implicit-def: $vgpr0
	s_branch .LBB222_239
.LBB222_235:
	s_mov_b32 s14, -1
                                        ; implicit-def: $vgpr0
.LBB222_236:
	s_delay_alu instid0(SALU_CYCLE_1)
	s_and_not1_b32 vcc_lo, exec_lo, s14
	s_cbranch_vccnz .LBB222_238
; %bb.237:
	s_wait_loadcnt 0x0
	global_load_b32 v0, v[2:3], off
.LBB222_238:
	s_mov_b32 s14, 0
.LBB222_239:
	s_delay_alu instid0(SALU_CYCLE_1)
	s_and_not1_b32 vcc_lo, exec_lo, s14
	s_cbranch_vccnz .LBB222_241
; %bb.240:
	s_wait_loadcnt 0x0
	global_load_u16 v0, v[2:3], off
	s_wait_loadcnt 0x0
	v_cvt_f32_f16_e32 v0, v0
.LBB222_241:
	s_cbranch_execnz .LBB222_261
.LBB222_242:
	s_cmp_lt_i32 s0, 2
	s_cbranch_scc1 .LBB222_246
; %bb.243:
	s_cmp_lt_i32 s0, 3
	s_cbranch_scc1 .LBB222_247
; %bb.244:
	s_cmp_gt_i32 s0, 3
	s_cbranch_scc0 .LBB222_248
; %bb.245:
	s_wait_loadcnt 0x0
	global_load_b64 v[0:1], v[2:3], off
	s_mov_b32 s14, 0
	s_wait_loadcnt 0x0
	v_xor_b32_e32 v4, v0, v1
	v_cls_i32_e32 v5, v1
	s_delay_alu instid0(VALU_DEP_2) | instskip(NEXT) | instid1(VALU_DEP_1)
	v_ashrrev_i32_e32 v4, 31, v4
	v_add_nc_u32_e32 v4, 32, v4
	s_delay_alu instid0(VALU_DEP_1) | instskip(NEXT) | instid1(VALU_DEP_1)
	v_add_min_u32_e64 v4, v5, -1, v4
	v_lshlrev_b64_e32 v[0:1], v4, v[0:1]
	s_delay_alu instid0(VALU_DEP_1) | instskip(NEXT) | instid1(VALU_DEP_1)
	v_min_u32_e32 v0, 1, v0
	v_or_b32_e32 v0, v1, v0
	v_sub_nc_u32_e32 v1, 32, v4
	s_delay_alu instid0(VALU_DEP_2) | instskip(NEXT) | instid1(VALU_DEP_1)
	v_cvt_f32_i32_e32 v0, v0
	v_ldexp_f32 v0, v0, v1
	s_branch .LBB222_249
.LBB222_246:
	s_mov_b32 s14, -1
                                        ; implicit-def: $vgpr0
	s_branch .LBB222_255
.LBB222_247:
	s_mov_b32 s14, -1
                                        ; implicit-def: $vgpr0
	s_branch .LBB222_252
.LBB222_248:
	s_mov_b32 s14, -1
                                        ; implicit-def: $vgpr0
.LBB222_249:
	s_delay_alu instid0(SALU_CYCLE_1)
	s_and_not1_b32 vcc_lo, exec_lo, s14
	s_cbranch_vccnz .LBB222_251
; %bb.250:
	s_wait_loadcnt 0x0
	global_load_b32 v0, v[2:3], off
	s_wait_loadcnt 0x0
	v_cvt_f32_i32_e32 v0, v0
.LBB222_251:
	s_mov_b32 s14, 0
.LBB222_252:
	s_delay_alu instid0(SALU_CYCLE_1)
	s_and_not1_b32 vcc_lo, exec_lo, s14
	s_cbranch_vccnz .LBB222_254
; %bb.253:
	s_wait_loadcnt 0x0
	global_load_i16 v0, v[2:3], off
	s_wait_loadcnt 0x0
	v_cvt_f32_i32_e32 v0, v0
.LBB222_254:
	s_mov_b32 s14, 0
.LBB222_255:
	s_delay_alu instid0(SALU_CYCLE_1)
	s_and_not1_b32 vcc_lo, exec_lo, s14
	s_cbranch_vccnz .LBB222_261
; %bb.256:
	s_cmp_gt_i32 s0, 0
	s_mov_b32 s0, 0
	s_cbranch_scc0 .LBB222_258
; %bb.257:
	s_wait_loadcnt 0x0
	global_load_i8 v0, v[2:3], off
	s_wait_loadcnt 0x0
	v_cvt_f32_i32_e32 v0, v0
	s_branch .LBB222_259
.LBB222_258:
	s_mov_b32 s0, -1
                                        ; implicit-def: $vgpr0
.LBB222_259:
	s_delay_alu instid0(SALU_CYCLE_1)
	s_and_not1_b32 vcc_lo, exec_lo, s0
	s_cbranch_vccnz .LBB222_261
; %bb.260:
	s_wait_loadcnt 0x0
	global_load_u8 v0, v[2:3], off
	s_wait_loadcnt 0x0
	v_cvt_f32_ubyte0_e32 v0, v0
.LBB222_261:
	s_branch .LBB222_11
.LBB222_262:
	s_mov_b32 s0, 0
.LBB222_263:
	s_mov_b32 s19, 0
                                        ; implicit-def: $vgpr10
.LBB222_264:
	s_and_b32 s14, s0, exec_lo
	s_and_b32 s16, s16, exec_lo
	s_or_not1_b32 s20, s19, exec_lo
.LBB222_265:
	s_wait_xcnt 0x0
	s_or_b32 exec_lo, exec_lo, s17
	s_mov_b32 s19, 0
	s_mov_b32 s0, 0
                                        ; implicit-def: $vgpr2_vgpr3
                                        ; implicit-def: $vgpr0
	s_and_saveexec_b32 s17, s20
	s_cbranch_execz .LBB222_274
; %bb.266:
	s_mov_b32 s0, -1
	s_mov_b32 s18, s16
	s_mov_b32 s19, s14
	s_mov_b32 s20, exec_lo
	v_cmpx_gt_i32_e64 s15, v10
	s_cbranch_execz .LBB222_542
; %bb.267:
	s_wait_loadcnt 0x0
	v_mul_lo_u32 v0, v10, s9
	s_and_b32 s0, 0xffff, s12
	s_delay_alu instid0(SALU_CYCLE_1) | instskip(NEXT) | instid1(VALU_DEP_1)
	s_cmp_lt_i32 s0, 11
	v_ashrrev_i32_e32 v1, 31, v0
	s_delay_alu instid0(VALU_DEP_1)
	v_add_nc_u64_e32 v[2:3], s[6:7], v[0:1]
	s_cbranch_scc1 .LBB222_277
; %bb.268:
	s_cmp_gt_i32 s0, 25
	s_cbranch_scc0 .LBB222_283
; %bb.269:
	s_cmp_gt_i32 s0, 28
	s_cbranch_scc0 .LBB222_284
	;; [unrolled: 3-line block ×4, first 2 shown]
; %bb.272:
	s_cmp_eq_u32 s0, 46
	s_mov_b32 s21, 0
	s_cbranch_scc0 .LBB222_312
; %bb.273:
	global_load_b32 v0, v[2:3], off
	s_mov_b32 s19, -1
	s_mov_b32 s18, 0
	s_wait_loadcnt 0x0
	v_lshlrev_b32_e32 v0, 16, v0
	s_branch .LBB222_314
.LBB222_274:
	s_or_b32 exec_lo, exec_lo, s17
	s_mov_b32 s15, 0
	s_and_saveexec_b32 s17, s16
	s_cbranch_execnz .LBB222_904
.LBB222_275:
	s_or_b32 exec_lo, exec_lo, s17
	s_and_saveexec_b32 s16, s18
	s_delay_alu instid0(SALU_CYCLE_1)
	s_xor_b32 s16, exec_lo, s16
	s_cbranch_execz .LBB222_905
.LBB222_276:
	s_wait_loadcnt 0x0
	global_load_u8 v0, v[2:3], off
	s_or_b32 s0, s0, exec_lo
	s_wait_loadcnt 0x0
	v_cmp_ne_u16_e32 vcc_lo, 0, v0
	v_cndmask_b32_e64 v0, 0, 1.0, vcc_lo
	s_wait_xcnt 0x0
	s_or_b32 exec_lo, exec_lo, s16
	s_and_saveexec_b32 s16, s19
	s_cbranch_execz .LBB222_951
	s_branch .LBB222_906
.LBB222_277:
	s_mov_b32 s19, 0
	s_mov_b32 s18, s16
                                        ; implicit-def: $vgpr0
	s_cbranch_execnz .LBB222_491
.LBB222_278:
	s_and_not1_b32 vcc_lo, exec_lo, s19
	s_cbranch_vccnz .LBB222_539
.LBB222_279:
	s_mov_b32 s0, exec_lo
	s_wait_loadcnt 0x0
	s_delay_alu instid0(VALU_DEP_1)
	v_cmpx_o_f32_e32 v0, v0
	s_cbranch_execz .LBB222_294
; %bb.280:
	s_cmp_lt_i32 s10, 1
	s_mov_b32 s19, 0
	s_cbranch_scc1 .LBB222_285
; %bb.281:
	s_cmp_eq_u32 s10, 1
	s_cbranch_scc0 .LBB222_287
; %bb.282:
	v_max_num_f32_e64 v1, s11, s11
	v_max_num_f32_e32 v2, v0, v0
	s_mov_b32 s21, 0
	s_delay_alu instid0(VALU_DEP_1)
	v_min_num_f32_e32 v1, v2, v1
	s_branch .LBB222_288
.LBB222_283:
	s_mov_b32 s21, -1
	s_mov_b32 s19, 0
	s_mov_b32 s18, s16
                                        ; implicit-def: $vgpr0
	s_branch .LBB222_455
.LBB222_284:
	s_mov_b32 s21, -1
	s_mov_b32 s19, 0
	s_mov_b32 s18, s16
                                        ; implicit-def: $vgpr0
	s_branch .LBB222_436
.LBB222_285:
	s_mov_b32 s22, -1
	s_mov_b32 s21, 0
                                        ; implicit-def: $vgpr1
	s_branch .LBB222_289
.LBB222_286:
	s_mov_b32 s21, -1
	s_mov_b32 s19, 0
	s_mov_b32 s18, s16
                                        ; implicit-def: $vgpr0
	s_branch .LBB222_431
.LBB222_287:
	s_mov_b32 s21, -1
                                        ; implicit-def: $vgpr1
.LBB222_288:
	s_mov_b32 s22, 0
.LBB222_289:
	s_delay_alu instid0(SALU_CYCLE_1)
	s_and_b32 vcc_lo, exec_lo, s22
	s_cbranch_vccz .LBB222_301
; %bb.290:
	s_cmp_lg_u32 s10, 0
	s_mov_b32 s19, -1
	s_cselect_b32 s21, -1, 0
	v_max_num_f32_e32 v0, v0, v0
	s_and_not1_b32 vcc_lo, exec_lo, s21
	s_cbranch_vccz .LBB222_302
.LBB222_291:
	s_and_not1_b32 vcc_lo, exec_lo, s19
	s_cbranch_vccnz .LBB222_293
.LBB222_292:
	v_max_num_f32_e64 v1, s11, s11
	s_delay_alu instid0(VALU_DEP_1)
	v_max_num_f32_e32 v1, v0, v1
.LBB222_293:
	s_delay_alu instid0(VALU_DEP_1)
	v_mov_b32_e32 v0, v1
.LBB222_294:
	s_or_b32 exec_lo, exec_lo, s0
	v_mul_lo_u32 v2, v10, s8
	s_and_b32 s19, s3, 0xff
	s_delay_alu instid0(SALU_CYCLE_1) | instskip(NEXT) | instid1(VALU_DEP_1)
	s_cmp_lt_i32 s19, 11
	v_ashrrev_i32_e32 v3, 31, v2
	s_delay_alu instid0(VALU_DEP_1)
	v_add_nc_u64_e32 v[2:3], s[4:5], v[2:3]
	s_cbranch_scc1 .LBB222_303
; %bb.295:
	s_and_b32 s21, 0xffff, s19
	s_delay_alu instid0(SALU_CYCLE_1)
	s_cmp_gt_i32 s21, 25
	s_cbranch_scc0 .LBB222_304
; %bb.296:
	s_cmp_gt_i32 s21, 28
	s_cbranch_scc0 .LBB222_305
; %bb.297:
	;; [unrolled: 3-line block ×4, first 2 shown]
	s_mov_b32 s23, 0
	s_mov_b32 s0, -1
	s_cmp_eq_u32 s21, 46
	s_mov_b32 s22, 0
	s_cbranch_scc0 .LBB222_318
; %bb.300:
	v_bfe_u32 v1, v0, 16, 1
	v_cmp_o_f32_e32 vcc_lo, v0, v0
	s_mov_b32 s22, -1
	s_mov_b32 s0, 0
	s_delay_alu instid0(VALU_DEP_2) | instskip(NEXT) | instid1(VALU_DEP_1)
	v_add3_u32 v1, v0, v1, 0x7fff
	v_lshrrev_b32_e32 v1, 16, v1
	s_delay_alu instid0(VALU_DEP_1)
	v_cndmask_b32_e32 v1, 0x7fc0, v1, vcc_lo
	global_store_b32 v[2:3], v1, off
	s_branch .LBB222_318
.LBB222_301:
	v_max_num_f32_e32 v0, v0, v0
	s_and_not1_b32 vcc_lo, exec_lo, s21
	s_cbranch_vccnz .LBB222_291
.LBB222_302:
	v_max_num_f32_e64 v1, s11, s11
	v_max_num_f32_e64 v2, s2, s2
	s_delay_alu instid0(VALU_DEP_1)
	v_maxmin_num_f32 v1, v0, v1, v2
	s_cbranch_execz .LBB222_292
	s_branch .LBB222_293
.LBB222_303:
	s_mov_b32 s21, -1
	s_mov_b32 s22, 0
	s_mov_b32 s0, s14
	s_branch .LBB222_387
.LBB222_304:
	s_mov_b32 s23, -1
	s_mov_b32 s22, 0
	s_mov_b32 s0, s14
	s_branch .LBB222_345
.LBB222_305:
	s_mov_b32 s23, -1
	s_mov_b32 s22, 0
	s_mov_b32 s0, s14
	s_branch .LBB222_328
.LBB222_306:
	s_and_not1_saveexec_b32 s22, s22
	s_cbranch_execz .LBB222_67
.LBB222_307:
	v_add_f32_e64 v1, 0x46000000, |v0|
	s_and_not1_b32 s21, s21, exec_lo
	s_delay_alu instid0(VALU_DEP_1) | instskip(NEXT) | instid1(VALU_DEP_1)
	v_and_b32_e32 v1, 0xff, v1
	v_cmp_ne_u32_e32 vcc_lo, 0, v1
	s_and_b32 s23, vcc_lo, exec_lo
	s_delay_alu instid0(SALU_CYCLE_1)
	s_or_b32 s21, s21, s23
	s_or_b32 exec_lo, exec_lo, s22
	v_mov_b32_e32 v4, 0
	s_and_saveexec_b32 s22, s21
	s_cbranch_execnz .LBB222_68
	s_branch .LBB222_69
.LBB222_308:
	s_mov_b32 s21, -1
	s_mov_b32 s19, 0
	s_mov_b32 s18, s16
	s_branch .LBB222_313
.LBB222_309:
	s_mov_b32 s23, -1
	s_mov_b32 s22, 0
	s_mov_b32 s0, s14
	s_branch .LBB222_324
.LBB222_310:
	s_and_not1_saveexec_b32 s22, s22
	s_cbranch_execz .LBB222_80
.LBB222_311:
	v_add_f32_e64 v1, 0x42800000, |v0|
	s_and_not1_b32 s21, s21, exec_lo
	s_delay_alu instid0(VALU_DEP_1) | instskip(NEXT) | instid1(VALU_DEP_1)
	v_and_b32_e32 v1, 0xff, v1
	v_cmp_ne_u32_e32 vcc_lo, 0, v1
	s_and_b32 s23, vcc_lo, exec_lo
	s_delay_alu instid0(SALU_CYCLE_1)
	s_or_b32 s21, s21, s23
	s_or_b32 exec_lo, exec_lo, s22
	v_mov_b32_e32 v4, 0
	s_and_saveexec_b32 s22, s21
	s_cbranch_execnz .LBB222_81
	s_branch .LBB222_82
.LBB222_312:
	s_mov_b32 s18, -1
	s_mov_b32 s19, 0
.LBB222_313:
                                        ; implicit-def: $vgpr0
.LBB222_314:
	s_and_b32 vcc_lo, exec_lo, s21
	s_cbranch_vccz .LBB222_430
; %bb.315:
	s_cmp_eq_u32 s0, 44
	s_cbranch_scc0 .LBB222_429
; %bb.316:
	global_load_u8 v0, v[2:3], off
	s_mov_b32 s18, 0
	s_mov_b32 s19, -1
	s_wait_loadcnt 0x0
	v_lshlrev_b32_e32 v1, 23, v0
	v_cmp_ne_u32_e32 vcc_lo, 0xff, v0
	s_delay_alu instid0(VALU_DEP_2) | instskip(SKIP_1) | instid1(VALU_DEP_2)
	v_cndmask_b32_e32 v1, 0x7f800001, v1, vcc_lo
	v_cmp_ne_u32_e32 vcc_lo, 0, v0
	v_cndmask_b32_e32 v0, 0x400000, v1, vcc_lo
	s_branch .LBB222_430
.LBB222_317:
	s_mov_b32 s23, -1
	s_mov_b32 s22, 0
	s_mov_b32 s0, s14
.LBB222_318:
	s_and_b32 vcc_lo, exec_lo, s23
	s_cbranch_vccz .LBB222_323
; %bb.319:
	s_cmp_eq_u32 s21, 44
	s_mov_b32 s0, -1
	s_cbranch_scc0 .LBB222_323
; %bb.320:
	v_bfe_u32 v4, v0, 23, 8
	s_wait_xcnt 0x0
	v_mov_b32_e32 v1, 0xff
	s_mov_b32 s22, exec_lo
	s_delay_alu instid0(VALU_DEP_2)
	v_cmpx_ne_u32_e32 0xff, v4
	s_cbranch_execz .LBB222_322
; %bb.321:
	v_and_b32_e32 v1, 0x400000, v0
	v_and_or_b32 v4, 0x3fffff, v0, v4
	s_delay_alu instid0(VALU_DEP_2) | instskip(NEXT) | instid1(VALU_DEP_2)
	v_cmp_ne_u32_e32 vcc_lo, 0, v1
	v_cmp_ne_u32_e64 s0, 0, v4
	v_lshrrev_b32_e32 v1, 23, v0
	s_and_b32 s0, vcc_lo, s0
	s_delay_alu instid0(SALU_CYCLE_1) | instskip(NEXT) | instid1(VALU_DEP_1)
	v_cndmask_b32_e64 v4, 0, 1, s0
	v_add_nc_u32_e32 v1, v1, v4
.LBB222_322:
	s_or_b32 exec_lo, exec_lo, s22
	s_mov_b32 s22, -1
	s_mov_b32 s0, 0
	global_store_b8 v[2:3], v1, off
.LBB222_323:
	s_mov_b32 s23, 0
.LBB222_324:
	s_delay_alu instid0(SALU_CYCLE_1)
	s_and_b32 vcc_lo, exec_lo, s23
	s_cbranch_vccz .LBB222_327
; %bb.325:
	s_cmp_eq_u32 s21, 29
	s_mov_b32 s0, -1
	s_cbranch_scc0 .LBB222_327
; %bb.326:
	s_wait_xcnt 0x0
	v_trunc_f32_e32 v1, v0
	s_mov_b32 s22, -1
	s_mov_b32 s0, 0
	s_mov_b32 s23, 0
	s_delay_alu instid0(VALU_DEP_1) | instskip(NEXT) | instid1(VALU_DEP_1)
	v_mul_f32_e32 v4, 0x2f800000, v1
	v_floor_f32_e32 v4, v4
	s_delay_alu instid0(VALU_DEP_1) | instskip(SKIP_1) | instid1(VALU_DEP_2)
	v_fmamk_f32 v1, v4, 0xcf800000, v1
	v_cvt_u32_f32_e32 v5, v4
	v_cvt_u32_f32_e32 v4, v1
	global_store_b64 v[2:3], v[4:5], off
	s_branch .LBB222_328
.LBB222_327:
	s_mov_b32 s23, 0
.LBB222_328:
	s_delay_alu instid0(SALU_CYCLE_1)
	s_and_b32 vcc_lo, exec_lo, s23
	s_cbranch_vccz .LBB222_344
; %bb.329:
	s_cmp_lt_i32 s21, 27
	s_mov_b32 s22, -1
	s_cbranch_scc1 .LBB222_335
; %bb.330:
	s_wait_xcnt 0x0
	v_cvt_u32_f32_e32 v1, v0
	s_cmp_gt_i32 s21, 27
	s_cbranch_scc0 .LBB222_332
; %bb.331:
	s_mov_b32 s22, 0
	global_store_b32 v[2:3], v1, off
.LBB222_332:
	s_and_not1_b32 vcc_lo, exec_lo, s22
	s_cbranch_vccnz .LBB222_334
; %bb.333:
	global_store_b16 v[2:3], v1, off
.LBB222_334:
	s_mov_b32 s22, 0
.LBB222_335:
	s_delay_alu instid0(SALU_CYCLE_1)
	s_and_not1_b32 vcc_lo, exec_lo, s22
	s_cbranch_vccnz .LBB222_343
; %bb.336:
	s_wait_xcnt 0x0
	v_and_b32_e32 v1, 0x7fffffff, v0
	v_mov_b32_e32 v4, 0x80
	s_mov_b32 s22, exec_lo
	s_delay_alu instid0(VALU_DEP_2)
	v_cmpx_gt_u32_e32 0x43800000, v1
	s_cbranch_execz .LBB222_342
; %bb.337:
	v_cmp_lt_u32_e32 vcc_lo, 0x3bffffff, v1
	s_mov_b32 s23, 0
                                        ; implicit-def: $vgpr1
	s_and_saveexec_b32 s24, vcc_lo
	s_delay_alu instid0(SALU_CYCLE_1)
	s_xor_b32 s24, exec_lo, s24
	s_cbranch_execz .LBB222_555
; %bb.338:
	v_bfe_u32 v1, v0, 20, 1
	s_mov_b32 s23, exec_lo
	s_delay_alu instid0(VALU_DEP_1) | instskip(NEXT) | instid1(VALU_DEP_1)
	v_add3_u32 v1, v0, v1, 0x487ffff
	v_lshrrev_b32_e32 v1, 20, v1
	s_and_not1_saveexec_b32 s24, s24
	s_cbranch_execnz .LBB222_556
.LBB222_339:
	s_or_b32 exec_lo, exec_lo, s24
	v_mov_b32_e32 v4, 0
	s_and_saveexec_b32 s24, s23
.LBB222_340:
	v_lshrrev_b32_e32 v4, 24, v0
	s_delay_alu instid0(VALU_DEP_1)
	v_and_or_b32 v4, 0x80, v4, v1
.LBB222_341:
	s_or_b32 exec_lo, exec_lo, s24
.LBB222_342:
	s_delay_alu instid0(SALU_CYCLE_1)
	s_or_b32 exec_lo, exec_lo, s22
	global_store_b8 v[2:3], v4, off
.LBB222_343:
	s_mov_b32 s22, -1
.LBB222_344:
	s_mov_b32 s23, 0
.LBB222_345:
	s_delay_alu instid0(SALU_CYCLE_1)
	s_and_b32 vcc_lo, exec_lo, s23
	s_cbranch_vccz .LBB222_386
; %bb.346:
	s_cmp_gt_i32 s21, 22
	s_mov_b32 s23, -1
	s_cbranch_scc0 .LBB222_378
; %bb.347:
	s_cmp_lt_i32 s21, 24
	s_mov_b32 s22, -1
	s_cbranch_scc1 .LBB222_367
; %bb.348:
	s_cmp_gt_i32 s21, 24
	s_cbranch_scc0 .LBB222_356
; %bb.349:
	s_wait_xcnt 0x0
	v_and_b32_e32 v1, 0x7fffffff, v0
	v_mov_b32_e32 v4, 0x80
	s_mov_b32 s22, exec_lo
	s_delay_alu instid0(VALU_DEP_2)
	v_cmpx_gt_u32_e32 0x47800000, v1
	s_cbranch_execz .LBB222_355
; %bb.350:
	v_cmp_lt_u32_e32 vcc_lo, 0x37ffffff, v1
	s_mov_b32 s23, 0
                                        ; implicit-def: $vgpr1
	s_and_saveexec_b32 s24, vcc_lo
	s_delay_alu instid0(SALU_CYCLE_1)
	s_xor_b32 s24, exec_lo, s24
	s_cbranch_execz .LBB222_558
; %bb.351:
	v_bfe_u32 v1, v0, 21, 1
	s_mov_b32 s23, exec_lo
	s_delay_alu instid0(VALU_DEP_1) | instskip(NEXT) | instid1(VALU_DEP_1)
	v_add3_u32 v1, v0, v1, 0x88fffff
	v_lshrrev_b32_e32 v1, 21, v1
	s_and_not1_saveexec_b32 s24, s24
	s_cbranch_execnz .LBB222_559
.LBB222_352:
	s_or_b32 exec_lo, exec_lo, s24
	v_mov_b32_e32 v4, 0
	s_and_saveexec_b32 s24, s23
.LBB222_353:
	v_lshrrev_b32_e32 v4, 24, v0
	s_delay_alu instid0(VALU_DEP_1)
	v_and_or_b32 v4, 0x80, v4, v1
.LBB222_354:
	s_or_b32 exec_lo, exec_lo, s24
.LBB222_355:
	s_delay_alu instid0(SALU_CYCLE_1)
	s_or_b32 exec_lo, exec_lo, s22
	s_mov_b32 s22, 0
	global_store_b8 v[2:3], v4, off
.LBB222_356:
	s_and_b32 vcc_lo, exec_lo, s22
	s_cbranch_vccz .LBB222_366
; %bb.357:
	s_wait_xcnt 0x0
	v_and_b32_e32 v4, 0x7fffffff, v0
	s_mov_b32 s22, exec_lo
                                        ; implicit-def: $vgpr1
	s_delay_alu instid0(VALU_DEP_1)
	v_cmpx_gt_u32_e32 0x43f00000, v4
	s_xor_b32 s22, exec_lo, s22
	s_cbranch_execz .LBB222_363
; %bb.358:
	s_mov_b32 s23, exec_lo
                                        ; implicit-def: $vgpr1
	v_cmpx_lt_u32_e32 0x3c7fffff, v4
	s_xor_b32 s23, exec_lo, s23
; %bb.359:
	v_bfe_u32 v1, v0, 20, 1
	s_delay_alu instid0(VALU_DEP_1) | instskip(NEXT) | instid1(VALU_DEP_1)
	v_add3_u32 v1, v0, v1, 0x407ffff
	v_and_b32_e32 v4, 0xff00000, v1
	v_lshrrev_b32_e32 v1, 20, v1
	s_delay_alu instid0(VALU_DEP_2) | instskip(NEXT) | instid1(VALU_DEP_2)
	v_cmp_ne_u32_e32 vcc_lo, 0x7f00000, v4
	v_cndmask_b32_e32 v1, 0x7e, v1, vcc_lo
; %bb.360:
	s_and_not1_saveexec_b32 s23, s23
; %bb.361:
	v_add_f32_e64 v1, 0x46800000, |v0|
; %bb.362:
	s_or_b32 exec_lo, exec_lo, s23
                                        ; implicit-def: $vgpr4
.LBB222_363:
	s_and_not1_saveexec_b32 s22, s22
; %bb.364:
	v_mov_b32_e32 v1, 0x7f
	v_cmp_lt_u32_e32 vcc_lo, 0x7f800000, v4
	s_delay_alu instid0(VALU_DEP_2)
	v_cndmask_b32_e32 v1, 0x7e, v1, vcc_lo
; %bb.365:
	s_or_b32 exec_lo, exec_lo, s22
	v_lshrrev_b32_e32 v4, 24, v0
	s_delay_alu instid0(VALU_DEP_1)
	v_and_or_b32 v1, 0x80, v4, v1
	global_store_b8 v[2:3], v1, off
.LBB222_366:
	s_mov_b32 s22, 0
.LBB222_367:
	s_delay_alu instid0(SALU_CYCLE_1)
	s_and_not1_b32 vcc_lo, exec_lo, s22
	s_cbranch_vccnz .LBB222_377
; %bb.368:
	s_wait_xcnt 0x0
	v_and_b32_e32 v4, 0x7fffffff, v0
	s_mov_b32 s22, exec_lo
                                        ; implicit-def: $vgpr1
	s_delay_alu instid0(VALU_DEP_1)
	v_cmpx_gt_u32_e32 0x47800000, v4
	s_xor_b32 s22, exec_lo, s22
	s_cbranch_execz .LBB222_374
; %bb.369:
	s_mov_b32 s23, exec_lo
                                        ; implicit-def: $vgpr1
	v_cmpx_lt_u32_e32 0x387fffff, v4
	s_xor_b32 s23, exec_lo, s23
; %bb.370:
	v_bfe_u32 v1, v0, 21, 1
	s_delay_alu instid0(VALU_DEP_1) | instskip(NEXT) | instid1(VALU_DEP_1)
	v_add3_u32 v1, v0, v1, 0x80fffff
	v_lshrrev_b32_e32 v1, 21, v1
; %bb.371:
	s_and_not1_saveexec_b32 s23, s23
; %bb.372:
	v_add_f32_e64 v1, 0x43000000, |v0|
; %bb.373:
	s_or_b32 exec_lo, exec_lo, s23
                                        ; implicit-def: $vgpr4
.LBB222_374:
	s_and_not1_saveexec_b32 s22, s22
; %bb.375:
	v_mov_b32_e32 v1, 0x7f
	v_cmp_lt_u32_e32 vcc_lo, 0x7f800000, v4
	s_delay_alu instid0(VALU_DEP_2)
	v_cndmask_b32_e32 v1, 0x7c, v1, vcc_lo
; %bb.376:
	s_or_b32 exec_lo, exec_lo, s22
	v_lshrrev_b32_e32 v4, 24, v0
	s_delay_alu instid0(VALU_DEP_1)
	v_and_or_b32 v1, 0x80, v4, v1
	global_store_b8 v[2:3], v1, off
.LBB222_377:
	s_mov_b32 s23, 0
	s_mov_b32 s22, -1
.LBB222_378:
	s_and_not1_b32 vcc_lo, exec_lo, s23
	s_cbranch_vccnz .LBB222_386
; %bb.379:
	s_cmp_gt_i32 s21, 14
	s_mov_b32 s23, -1
	s_cbranch_scc0 .LBB222_383
; %bb.380:
	s_cmp_eq_u32 s21, 15
	s_mov_b32 s0, -1
	s_cbranch_scc0 .LBB222_382
; %bb.381:
	s_wait_xcnt 0x0
	v_bfe_u32 v1, v0, 16, 1
	v_cmp_o_f32_e32 vcc_lo, v0, v0
	s_mov_b32 s22, -1
	s_mov_b32 s0, 0
	s_delay_alu instid0(VALU_DEP_2) | instskip(NEXT) | instid1(VALU_DEP_1)
	v_add3_u32 v1, v0, v1, 0x7fff
	v_lshrrev_b32_e32 v1, 16, v1
	s_delay_alu instid0(VALU_DEP_1)
	v_cndmask_b32_e32 v1, 0x7fc0, v1, vcc_lo
	global_store_b16 v[2:3], v1, off
.LBB222_382:
	s_mov_b32 s23, 0
.LBB222_383:
	s_delay_alu instid0(SALU_CYCLE_1)
	s_and_b32 vcc_lo, exec_lo, s23
	s_cbranch_vccz .LBB222_386
; %bb.384:
	s_cmp_eq_u32 s21, 11
	s_mov_b32 s0, -1
	s_cbranch_scc0 .LBB222_386
; %bb.385:
	v_cmp_neq_f32_e32 vcc_lo, 0, v0
	s_mov_b32 s0, 0
	s_mov_b32 s22, -1
	s_wait_xcnt 0x0
	v_cndmask_b32_e64 v1, 0, 1, vcc_lo
	global_store_b8 v[2:3], v1, off
.LBB222_386:
	s_mov_b32 s21, 0
.LBB222_387:
	s_delay_alu instid0(SALU_CYCLE_1)
	s_and_b32 vcc_lo, exec_lo, s21
	s_cbranch_vccz .LBB222_426
; %bb.388:
	s_and_b32 s19, 0xffff, s19
	s_mov_b32 s21, -1
	s_cmp_lt_i32 s19, 5
	s_cbranch_scc1 .LBB222_409
; %bb.389:
	s_cmp_lt_i32 s19, 8
	s_cbranch_scc1 .LBB222_399
; %bb.390:
	;; [unrolled: 3-line block ×3, first 2 shown]
	s_cmp_gt_i32 s19, 9
	s_cbranch_scc0 .LBB222_393
; %bb.392:
	s_wait_xcnt 0x0
	v_cvt_f64_f32_e32 v[4:5], v0
	v_mov_b32_e32 v6, 0
	s_mov_b32 s21, 0
	s_delay_alu instid0(VALU_DEP_1)
	v_mov_b32_e32 v7, v6
	global_store_b128 v[2:3], v[4:7], off
.LBB222_393:
	s_and_not1_b32 vcc_lo, exec_lo, s21
	s_cbranch_vccnz .LBB222_395
; %bb.394:
	s_wait_xcnt 0x0
	v_mov_b32_e32 v1, 0
	global_store_b64 v[2:3], v[0:1], off
.LBB222_395:
	s_mov_b32 s21, 0
.LBB222_396:
	s_delay_alu instid0(SALU_CYCLE_1)
	s_and_not1_b32 vcc_lo, exec_lo, s21
	s_cbranch_vccnz .LBB222_398
; %bb.397:
	s_wait_xcnt 0x0
	v_cvt_f16_f32_e32 v1, v0
	s_delay_alu instid0(VALU_DEP_1)
	v_and_b32_e32 v1, 0xffff, v1
	global_store_b32 v[2:3], v1, off
.LBB222_398:
	s_mov_b32 s21, 0
.LBB222_399:
	s_delay_alu instid0(SALU_CYCLE_1)
	s_and_not1_b32 vcc_lo, exec_lo, s21
	s_cbranch_vccnz .LBB222_408
; %bb.400:
	s_cmp_lt_i32 s19, 6
	s_mov_b32 s21, -1
	s_cbranch_scc1 .LBB222_406
; %bb.401:
	s_cmp_gt_i32 s19, 6
	s_cbranch_scc0 .LBB222_403
; %bb.402:
	s_wait_xcnt 0x0
	v_cvt_f64_f32_e32 v[4:5], v0
	s_mov_b32 s21, 0
	global_store_b64 v[2:3], v[4:5], off
.LBB222_403:
	s_and_not1_b32 vcc_lo, exec_lo, s21
	s_cbranch_vccnz .LBB222_405
; %bb.404:
	global_store_b32 v[2:3], v0, off
.LBB222_405:
	s_mov_b32 s21, 0
.LBB222_406:
	s_delay_alu instid0(SALU_CYCLE_1)
	s_and_not1_b32 vcc_lo, exec_lo, s21
	s_cbranch_vccnz .LBB222_408
; %bb.407:
	s_wait_xcnt 0x0
	v_cvt_f16_f32_e32 v1, v0
	global_store_b16 v[2:3], v1, off
.LBB222_408:
	s_mov_b32 s21, 0
.LBB222_409:
	s_delay_alu instid0(SALU_CYCLE_1)
	s_and_not1_b32 vcc_lo, exec_lo, s21
	s_cbranch_vccnz .LBB222_425
; %bb.410:
	s_cmp_lt_i32 s19, 2
	s_mov_b32 s21, -1
	s_cbranch_scc1 .LBB222_420
; %bb.411:
	s_cmp_lt_i32 s19, 3
	s_cbranch_scc1 .LBB222_417
; %bb.412:
	s_cmp_gt_i32 s19, 3
	s_cbranch_scc0 .LBB222_414
; %bb.413:
	s_wait_xcnt 0x0
	v_trunc_f32_e32 v1, v0
	s_mov_b32 s21, 0
	s_delay_alu instid0(VALU_DEP_1) | instskip(NEXT) | instid1(VALU_DEP_1)
	v_mul_f32_e64 v4, 0x2f800000, |v1|
	v_floor_f32_e32 v5, v4
	v_ashrrev_i32_e32 v4, 31, v1
	s_delay_alu instid0(VALU_DEP_2) | instskip(SKIP_1) | instid1(VALU_DEP_3)
	v_fma_f32 v6, 0xcf800000, v5, |v1|
	v_cvt_u32_f32_e32 v1, v5
	v_mov_b32_e32 v5, v4
	s_delay_alu instid0(VALU_DEP_3) | instskip(NEXT) | instid1(VALU_DEP_3)
	v_cvt_u32_f32_e32 v6, v6
	v_xor_b32_e32 v7, v1, v4
	s_delay_alu instid0(VALU_DEP_2) | instskip(NEXT) | instid1(VALU_DEP_1)
	v_xor_b32_e32 v6, v6, v4
	v_sub_nc_u64_e32 v[4:5], v[6:7], v[4:5]
	global_store_b64 v[2:3], v[4:5], off
.LBB222_414:
	s_and_not1_b32 vcc_lo, exec_lo, s21
	s_cbranch_vccnz .LBB222_416
; %bb.415:
	s_wait_xcnt 0x0
	v_cvt_i32_f32_e32 v1, v0
	global_store_b32 v[2:3], v1, off
.LBB222_416:
	s_mov_b32 s21, 0
.LBB222_417:
	s_delay_alu instid0(SALU_CYCLE_1)
	s_and_not1_b32 vcc_lo, exec_lo, s21
	s_cbranch_vccnz .LBB222_419
; %bb.418:
	s_wait_xcnt 0x0
	v_cvt_i32_f32_e32 v1, v0
	global_store_b16 v[2:3], v1, off
.LBB222_419:
	s_mov_b32 s21, 0
.LBB222_420:
	s_delay_alu instid0(SALU_CYCLE_1)
	s_and_not1_b32 vcc_lo, exec_lo, s21
	s_cbranch_vccnz .LBB222_425
; %bb.421:
	s_cmp_gt_i32 s19, 0
	s_mov_b32 s19, -1
	s_cbranch_scc0 .LBB222_423
; %bb.422:
	s_wait_xcnt 0x0
	v_cvt_i32_f32_e32 v1, v0
	s_mov_b32 s19, 0
	global_store_b8 v[2:3], v1, off
.LBB222_423:
	s_and_not1_b32 vcc_lo, exec_lo, s19
	s_cbranch_vccnz .LBB222_425
; %bb.424:
	s_wait_xcnt 0x0
	v_trunc_f32_e32 v0, v0
	s_delay_alu instid0(VALU_DEP_1) | instskip(NEXT) | instid1(VALU_DEP_1)
	v_mul_f32_e64 v1, 0x2f800000, |v0|
	v_floor_f32_e32 v1, v1
	s_delay_alu instid0(VALU_DEP_1) | instskip(SKIP_1) | instid1(VALU_DEP_2)
	v_fma_f32 v1, 0xcf800000, v1, |v0|
	v_ashrrev_i32_e32 v0, 31, v0
	v_cvt_u32_f32_e32 v1, v1
	s_delay_alu instid0(VALU_DEP_1) | instskip(NEXT) | instid1(VALU_DEP_1)
	v_xor_b32_e32 v1, v1, v0
	v_sub_nc_u32_e32 v0, v1, v0
	global_store_b8 v[2:3], v0, off
.LBB222_425:
	s_mov_b32 s22, -1
.LBB222_426:
	s_delay_alu instid0(SALU_CYCLE_1)
	s_and_not1_b32 vcc_lo, exec_lo, s22
	s_cbranch_vccnz .LBB222_428
; %bb.427:
	v_add_nc_u32_e32 v10, 0x80, v10
	s_mov_b32 s21, -1
	s_branch .LBB222_541
.LBB222_428:
	s_mov_b32 s21, 0
	s_branch .LBB222_540
.LBB222_429:
	s_mov_b32 s18, -1
                                        ; implicit-def: $vgpr0
.LBB222_430:
	s_mov_b32 s21, 0
.LBB222_431:
	s_delay_alu instid0(SALU_CYCLE_1)
	s_and_b32 vcc_lo, exec_lo, s21
	s_cbranch_vccz .LBB222_435
; %bb.432:
	s_cmp_eq_u32 s0, 29
	s_cbranch_scc0 .LBB222_434
; %bb.433:
	global_load_b64 v[0:1], v[2:3], off
	s_mov_b32 s19, -1
	s_mov_b32 s18, 0
	s_mov_b32 s21, 0
	s_wait_loadcnt 0x0
	v_clz_i32_u32_e32 v4, v1
	s_delay_alu instid0(VALU_DEP_1) | instskip(NEXT) | instid1(VALU_DEP_1)
	v_min_u32_e32 v4, 32, v4
	v_lshlrev_b64_e32 v[0:1], v4, v[0:1]
	s_delay_alu instid0(VALU_DEP_1) | instskip(NEXT) | instid1(VALU_DEP_1)
	v_min_u32_e32 v0, 1, v0
	v_or_b32_e32 v0, v1, v0
	v_sub_nc_u32_e32 v1, 32, v4
	s_delay_alu instid0(VALU_DEP_2) | instskip(NEXT) | instid1(VALU_DEP_1)
	v_cvt_f32_u32_e32 v0, v0
	v_ldexp_f32 v0, v0, v1
	s_branch .LBB222_436
.LBB222_434:
	s_mov_b32 s18, -1
                                        ; implicit-def: $vgpr0
.LBB222_435:
	s_mov_b32 s21, 0
.LBB222_436:
	s_delay_alu instid0(SALU_CYCLE_1)
	s_and_b32 vcc_lo, exec_lo, s21
	s_cbranch_vccz .LBB222_454
; %bb.437:
	s_cmp_lt_i32 s0, 27
	s_cbranch_scc1 .LBB222_440
; %bb.438:
	s_cmp_gt_i32 s0, 27
	s_cbranch_scc0 .LBB222_441
; %bb.439:
	global_load_b32 v0, v[2:3], off
	s_mov_b32 s19, 0
	s_wait_loadcnt 0x0
	v_cvt_f32_u32_e32 v0, v0
	s_branch .LBB222_442
.LBB222_440:
	s_mov_b32 s19, -1
                                        ; implicit-def: $vgpr0
	s_branch .LBB222_445
.LBB222_441:
	s_mov_b32 s19, -1
                                        ; implicit-def: $vgpr0
.LBB222_442:
	s_delay_alu instid0(SALU_CYCLE_1)
	s_and_not1_b32 vcc_lo, exec_lo, s19
	s_cbranch_vccnz .LBB222_444
; %bb.443:
	global_load_u16 v0, v[2:3], off
	s_wait_loadcnt 0x0
	v_cvt_f32_u32_e32 v0, v0
.LBB222_444:
	s_mov_b32 s19, 0
.LBB222_445:
	s_delay_alu instid0(SALU_CYCLE_1)
	s_and_not1_b32 vcc_lo, exec_lo, s19
	s_cbranch_vccnz .LBB222_453
; %bb.446:
	global_load_u8 v1, v[2:3], off
	s_mov_b32 s19, 0
	s_mov_b32 s21, exec_lo
	s_wait_loadcnt 0x0
	v_cmpx_lt_i16_e32 0x7f, v1
	s_xor_b32 s21, exec_lo, s21
	s_cbranch_execz .LBB222_467
; %bb.447:
	s_mov_b32 s19, -1
	s_mov_b32 s22, exec_lo
	v_cmpx_eq_u16_e32 0x80, v1
; %bb.448:
	s_xor_b32 s19, exec_lo, -1
; %bb.449:
	s_or_b32 exec_lo, exec_lo, s22
	s_delay_alu instid0(SALU_CYCLE_1)
	s_and_b32 s19, s19, exec_lo
	s_or_saveexec_b32 s21, s21
	v_mov_b32_e32 v0, 0x7f800001
	s_xor_b32 exec_lo, exec_lo, s21
	s_cbranch_execnz .LBB222_468
.LBB222_450:
	s_or_b32 exec_lo, exec_lo, s21
	s_and_saveexec_b32 s21, s19
	s_cbranch_execz .LBB222_452
.LBB222_451:
	v_and_b32_e32 v0, 0xffff, v1
	s_delay_alu instid0(VALU_DEP_1) | instskip(SKIP_1) | instid1(VALU_DEP_2)
	v_and_b32_e32 v4, 7, v0
	v_bfe_u32 v7, v0, 3, 4
	v_clz_i32_u32_e32 v5, v4
	s_delay_alu instid0(VALU_DEP_2) | instskip(NEXT) | instid1(VALU_DEP_2)
	v_cmp_eq_u32_e32 vcc_lo, 0, v7
	v_min_u32_e32 v5, 32, v5
	s_delay_alu instid0(VALU_DEP_1) | instskip(NEXT) | instid1(VALU_DEP_1)
	v_subrev_nc_u32_e32 v6, 28, v5
	v_dual_lshlrev_b32 v0, v6, v0 :: v_dual_sub_nc_u32 v5, 29, v5
	s_delay_alu instid0(VALU_DEP_1) | instskip(NEXT) | instid1(VALU_DEP_1)
	v_dual_lshlrev_b32 v1, 24, v1 :: v_dual_bitop2_b32 v0, 7, v0 bitop3:0x40
	v_dual_cndmask_b32 v0, v4, v0 :: v_dual_cndmask_b32 v5, v7, v5
	s_delay_alu instid0(VALU_DEP_2) | instskip(NEXT) | instid1(VALU_DEP_2)
	v_and_b32_e32 v1, 0x80000000, v1
	v_lshlrev_b32_e32 v0, 20, v0
	s_delay_alu instid0(VALU_DEP_3) | instskip(NEXT) | instid1(VALU_DEP_1)
	v_lshl_add_u32 v4, v5, 23, 0x3b800000
	v_or3_b32 v0, v1, v4, v0
.LBB222_452:
	s_or_b32 exec_lo, exec_lo, s21
.LBB222_453:
	s_mov_b32 s19, -1
.LBB222_454:
	s_mov_b32 s21, 0
.LBB222_455:
	s_delay_alu instid0(SALU_CYCLE_1)
	s_and_b32 vcc_lo, exec_lo, s21
	s_cbranch_vccz .LBB222_490
; %bb.456:
	s_cmp_gt_i32 s0, 22
	s_cbranch_scc0 .LBB222_466
; %bb.457:
	s_cmp_lt_i32 s0, 24
	s_cbranch_scc1 .LBB222_469
; %bb.458:
	s_cmp_gt_i32 s0, 24
	s_cbranch_scc0 .LBB222_470
; %bb.459:
	global_load_u8 v1, v[2:3], off
	s_mov_b32 s19, 0
	s_mov_b32 s21, exec_lo
	s_wait_loadcnt 0x0
	v_cmpx_lt_i16_e32 0x7f, v1
	s_xor_b32 s21, exec_lo, s21
	s_cbranch_execz .LBB222_482
; %bb.460:
	s_mov_b32 s19, -1
	s_mov_b32 s22, exec_lo
	v_cmpx_eq_u16_e32 0x80, v1
; %bb.461:
	s_xor_b32 s19, exec_lo, -1
; %bb.462:
	s_or_b32 exec_lo, exec_lo, s22
	s_delay_alu instid0(SALU_CYCLE_1)
	s_and_b32 s19, s19, exec_lo
	s_or_saveexec_b32 s21, s21
	v_mov_b32_e32 v0, 0x7f800001
	s_xor_b32 exec_lo, exec_lo, s21
	s_cbranch_execnz .LBB222_483
.LBB222_463:
	s_or_b32 exec_lo, exec_lo, s21
	s_and_saveexec_b32 s21, s19
	s_cbranch_execz .LBB222_465
.LBB222_464:
	v_and_b32_e32 v0, 0xffff, v1
	s_delay_alu instid0(VALU_DEP_1) | instskip(SKIP_1) | instid1(VALU_DEP_2)
	v_and_b32_e32 v4, 3, v0
	v_bfe_u32 v7, v0, 2, 5
	v_clz_i32_u32_e32 v5, v4
	s_delay_alu instid0(VALU_DEP_2) | instskip(NEXT) | instid1(VALU_DEP_2)
	v_cmp_eq_u32_e32 vcc_lo, 0, v7
	v_min_u32_e32 v5, 32, v5
	s_delay_alu instid0(VALU_DEP_1) | instskip(NEXT) | instid1(VALU_DEP_1)
	v_subrev_nc_u32_e32 v6, 29, v5
	v_dual_lshlrev_b32 v0, v6, v0 :: v_dual_sub_nc_u32 v5, 30, v5
	s_delay_alu instid0(VALU_DEP_1) | instskip(NEXT) | instid1(VALU_DEP_1)
	v_dual_lshlrev_b32 v1, 24, v1 :: v_dual_bitop2_b32 v0, 3, v0 bitop3:0x40
	v_dual_cndmask_b32 v0, v4, v0 :: v_dual_cndmask_b32 v5, v7, v5
	s_delay_alu instid0(VALU_DEP_2) | instskip(NEXT) | instid1(VALU_DEP_2)
	v_and_b32_e32 v1, 0x80000000, v1
	v_lshlrev_b32_e32 v0, 21, v0
	s_delay_alu instid0(VALU_DEP_3) | instskip(NEXT) | instid1(VALU_DEP_1)
	v_lshl_add_u32 v4, v5, 23, 0x37800000
	v_or3_b32 v0, v1, v4, v0
.LBB222_465:
	s_or_b32 exec_lo, exec_lo, s21
	s_mov_b32 s19, 0
	s_branch .LBB222_471
.LBB222_466:
	s_mov_b32 s21, -1
                                        ; implicit-def: $vgpr0
	s_branch .LBB222_477
.LBB222_467:
	s_or_saveexec_b32 s21, s21
	v_mov_b32_e32 v0, 0x7f800001
	s_xor_b32 exec_lo, exec_lo, s21
	s_cbranch_execz .LBB222_450
.LBB222_468:
	v_cmp_ne_u16_e32 vcc_lo, 0, v1
	v_mov_b32_e32 v0, 0
	s_and_not1_b32 s19, s19, exec_lo
	s_and_b32 s22, vcc_lo, exec_lo
	s_delay_alu instid0(SALU_CYCLE_1)
	s_or_b32 s19, s19, s22
	s_or_b32 exec_lo, exec_lo, s21
	s_and_saveexec_b32 s21, s19
	s_cbranch_execnz .LBB222_451
	s_branch .LBB222_452
.LBB222_469:
	s_mov_b32 s19, -1
                                        ; implicit-def: $vgpr0
	s_branch .LBB222_474
.LBB222_470:
	s_mov_b32 s19, -1
                                        ; implicit-def: $vgpr0
.LBB222_471:
	s_delay_alu instid0(SALU_CYCLE_1)
	s_and_b32 vcc_lo, exec_lo, s19
	s_cbranch_vccz .LBB222_473
; %bb.472:
	global_load_u8 v0, v[2:3], off
	s_wait_loadcnt 0x0
	v_lshlrev_b32_e32 v0, 24, v0
	s_delay_alu instid0(VALU_DEP_1) | instskip(NEXT) | instid1(VALU_DEP_1)
	v_and_b32_e32 v1, 0x7f000000, v0
	v_clz_i32_u32_e32 v4, v1
	v_cmp_ne_u32_e32 vcc_lo, 0, v1
	v_add_nc_u32_e32 v6, 0x1000000, v1
	s_delay_alu instid0(VALU_DEP_3) | instskip(NEXT) | instid1(VALU_DEP_1)
	v_min_u32_e32 v4, 32, v4
	v_sub_nc_u32_e64 v4, v4, 4 clamp
	s_delay_alu instid0(VALU_DEP_1) | instskip(NEXT) | instid1(VALU_DEP_1)
	v_dual_lshlrev_b32 v5, v4, v1 :: v_dual_lshlrev_b32 v4, 23, v4
	v_lshrrev_b32_e32 v5, 4, v5
	s_delay_alu instid0(VALU_DEP_1) | instskip(NEXT) | instid1(VALU_DEP_1)
	v_dual_sub_nc_u32 v4, v5, v4 :: v_dual_ashrrev_i32 v5, 8, v6
	v_add_nc_u32_e32 v4, 0x3c000000, v4
	s_delay_alu instid0(VALU_DEP_1) | instskip(NEXT) | instid1(VALU_DEP_1)
	v_and_or_b32 v4, 0x7f800000, v5, v4
	v_cndmask_b32_e32 v1, 0, v4, vcc_lo
	s_delay_alu instid0(VALU_DEP_1)
	v_and_or_b32 v0, 0x80000000, v0, v1
.LBB222_473:
	s_mov_b32 s19, 0
.LBB222_474:
	s_delay_alu instid0(SALU_CYCLE_1)
	s_and_not1_b32 vcc_lo, exec_lo, s19
	s_cbranch_vccnz .LBB222_476
; %bb.475:
	global_load_u8 v0, v[2:3], off
	s_wait_loadcnt 0x0
	v_lshlrev_b32_e32 v1, 25, v0
	v_lshlrev_b16 v0, 8, v0
	s_delay_alu instid0(VALU_DEP_1) | instskip(SKIP_1) | instid1(VALU_DEP_2)
	v_and_or_b32 v5, 0x7f00, v0, 0.5
	v_bfe_i32 v0, v0, 0, 16
	v_add_f32_e32 v5, -0.5, v5
	v_lshrrev_b32_e32 v4, 4, v1
	v_cmp_gt_u32_e32 vcc_lo, 0x8000000, v1
	s_delay_alu instid0(VALU_DEP_2) | instskip(NEXT) | instid1(VALU_DEP_1)
	v_or_b32_e32 v4, 0x70000000, v4
	v_mul_f32_e32 v4, 0x7800000, v4
	s_delay_alu instid0(VALU_DEP_1) | instskip(NEXT) | instid1(VALU_DEP_1)
	v_cndmask_b32_e32 v1, v4, v5, vcc_lo
	v_and_or_b32 v0, 0x80000000, v0, v1
.LBB222_476:
	s_mov_b32 s21, 0
	s_mov_b32 s19, -1
.LBB222_477:
	s_and_not1_b32 vcc_lo, exec_lo, s21
	s_cbranch_vccnz .LBB222_490
; %bb.478:
	s_cmp_gt_i32 s0, 14
	s_cbranch_scc0 .LBB222_481
; %bb.479:
	s_cmp_eq_u32 s0, 15
	s_cbranch_scc0 .LBB222_484
; %bb.480:
	global_load_u16 v0, v[2:3], off
	s_mov_b32 s19, -1
	s_mov_b32 s18, 0
	s_wait_loadcnt 0x0
	v_lshlrev_b32_e32 v0, 16, v0
	s_branch .LBB222_485
.LBB222_481:
	s_mov_b32 s21, -1
                                        ; implicit-def: $vgpr0
	s_branch .LBB222_486
.LBB222_482:
	s_or_saveexec_b32 s21, s21
	v_mov_b32_e32 v0, 0x7f800001
	s_xor_b32 exec_lo, exec_lo, s21
	s_cbranch_execz .LBB222_463
.LBB222_483:
	v_cmp_ne_u16_e32 vcc_lo, 0, v1
	v_mov_b32_e32 v0, 0
	s_and_not1_b32 s19, s19, exec_lo
	s_and_b32 s22, vcc_lo, exec_lo
	s_delay_alu instid0(SALU_CYCLE_1)
	s_or_b32 s19, s19, s22
	s_or_b32 exec_lo, exec_lo, s21
	s_and_saveexec_b32 s21, s19
	s_cbranch_execnz .LBB222_464
	s_branch .LBB222_465
.LBB222_484:
	s_mov_b32 s18, -1
                                        ; implicit-def: $vgpr0
.LBB222_485:
	s_mov_b32 s21, 0
.LBB222_486:
	s_delay_alu instid0(SALU_CYCLE_1)
	s_and_b32 vcc_lo, exec_lo, s21
	s_cbranch_vccz .LBB222_490
; %bb.487:
	s_cmp_eq_u32 s0, 11
	s_cbranch_scc0 .LBB222_489
; %bb.488:
	global_load_u8 v0, v[2:3], off
	s_mov_b32 s18, 0
	s_mov_b32 s19, -1
	s_wait_loadcnt 0x0
	v_cmp_ne_u16_e32 vcc_lo, 0, v0
	v_cndmask_b32_e64 v0, 0, 1.0, vcc_lo
	s_branch .LBB222_490
.LBB222_489:
	s_mov_b32 s18, -1
                                        ; implicit-def: $vgpr0
.LBB222_490:
	s_branch .LBB222_278
.LBB222_491:
	s_cmp_lt_i32 s0, 5
	s_cbranch_scc1 .LBB222_496
; %bb.492:
	s_cmp_lt_i32 s0, 8
	s_cbranch_scc1 .LBB222_497
; %bb.493:
	s_cmp_lt_i32 s0, 9
	s_cbranch_scc1 .LBB222_498
; %bb.494:
	s_cmp_gt_i32 s0, 9
	s_cbranch_scc0 .LBB222_499
; %bb.495:
	global_load_b64 v[0:1], v[2:3], off
	s_mov_b32 s19, 0
	s_wait_loadcnt 0x0
	v_cvt_f32_f64_e32 v0, v[0:1]
	s_branch .LBB222_500
.LBB222_496:
	s_mov_b32 s19, -1
                                        ; implicit-def: $vgpr0
	s_branch .LBB222_518
.LBB222_497:
	s_mov_b32 s19, -1
                                        ; implicit-def: $vgpr0
	s_branch .LBB222_506
.LBB222_498:
	s_mov_b32 s19, -1
                                        ; implicit-def: $vgpr0
	s_branch .LBB222_503
.LBB222_499:
	s_mov_b32 s19, -1
                                        ; implicit-def: $vgpr0
.LBB222_500:
	s_delay_alu instid0(SALU_CYCLE_1)
	s_and_not1_b32 vcc_lo, exec_lo, s19
	s_cbranch_vccnz .LBB222_502
; %bb.501:
	global_load_b32 v0, v[2:3], off
.LBB222_502:
	s_mov_b32 s19, 0
.LBB222_503:
	s_delay_alu instid0(SALU_CYCLE_1)
	s_and_not1_b32 vcc_lo, exec_lo, s19
	s_cbranch_vccnz .LBB222_505
; %bb.504:
	s_wait_loadcnt 0x0
	global_load_b32 v0, v[2:3], off
	s_wait_loadcnt 0x0
	v_cvt_f32_f16_e32 v0, v0
.LBB222_505:
	s_mov_b32 s19, 0
.LBB222_506:
	s_delay_alu instid0(SALU_CYCLE_1)
	s_and_not1_b32 vcc_lo, exec_lo, s19
	s_cbranch_vccnz .LBB222_517
; %bb.507:
	s_cmp_lt_i32 s0, 6
	s_cbranch_scc1 .LBB222_510
; %bb.508:
	s_cmp_gt_i32 s0, 6
	s_cbranch_scc0 .LBB222_511
; %bb.509:
	s_wait_loadcnt 0x0
	global_load_b64 v[0:1], v[2:3], off
	s_mov_b32 s19, 0
	s_wait_loadcnt 0x0
	v_cvt_f32_f64_e32 v0, v[0:1]
	s_branch .LBB222_512
.LBB222_510:
	s_mov_b32 s19, -1
                                        ; implicit-def: $vgpr0
	s_branch .LBB222_515
.LBB222_511:
	s_mov_b32 s19, -1
                                        ; implicit-def: $vgpr0
.LBB222_512:
	s_delay_alu instid0(SALU_CYCLE_1)
	s_and_not1_b32 vcc_lo, exec_lo, s19
	s_cbranch_vccnz .LBB222_514
; %bb.513:
	s_wait_loadcnt 0x0
	global_load_b32 v0, v[2:3], off
.LBB222_514:
	s_mov_b32 s19, 0
.LBB222_515:
	s_delay_alu instid0(SALU_CYCLE_1)
	s_and_not1_b32 vcc_lo, exec_lo, s19
	s_cbranch_vccnz .LBB222_517
; %bb.516:
	s_wait_loadcnt 0x0
	global_load_u16 v0, v[2:3], off
	s_wait_loadcnt 0x0
	v_cvt_f32_f16_e32 v0, v0
.LBB222_517:
	s_mov_b32 s19, 0
.LBB222_518:
	s_delay_alu instid0(SALU_CYCLE_1)
	s_and_not1_b32 vcc_lo, exec_lo, s19
	s_cbranch_vccnz .LBB222_538
; %bb.519:
	s_cmp_lt_i32 s0, 2
	s_cbranch_scc1 .LBB222_523
; %bb.520:
	s_cmp_lt_i32 s0, 3
	s_cbranch_scc1 .LBB222_524
; %bb.521:
	s_cmp_gt_i32 s0, 3
	s_cbranch_scc0 .LBB222_525
; %bb.522:
	s_wait_loadcnt 0x0
	global_load_b64 v[0:1], v[2:3], off
	s_mov_b32 s19, 0
	s_wait_loadcnt 0x0
	v_xor_b32_e32 v4, v0, v1
	v_cls_i32_e32 v5, v1
	s_delay_alu instid0(VALU_DEP_2) | instskip(NEXT) | instid1(VALU_DEP_1)
	v_ashrrev_i32_e32 v4, 31, v4
	v_add_nc_u32_e32 v4, 32, v4
	s_delay_alu instid0(VALU_DEP_1) | instskip(NEXT) | instid1(VALU_DEP_1)
	v_add_min_u32_e64 v4, v5, -1, v4
	v_lshlrev_b64_e32 v[0:1], v4, v[0:1]
	s_delay_alu instid0(VALU_DEP_1) | instskip(NEXT) | instid1(VALU_DEP_1)
	v_min_u32_e32 v0, 1, v0
	v_or_b32_e32 v0, v1, v0
	v_sub_nc_u32_e32 v1, 32, v4
	s_delay_alu instid0(VALU_DEP_2) | instskip(NEXT) | instid1(VALU_DEP_1)
	v_cvt_f32_i32_e32 v0, v0
	v_ldexp_f32 v0, v0, v1
	s_branch .LBB222_526
.LBB222_523:
	s_mov_b32 s19, -1
                                        ; implicit-def: $vgpr0
	s_branch .LBB222_532
.LBB222_524:
	s_mov_b32 s19, -1
                                        ; implicit-def: $vgpr0
	s_branch .LBB222_529
.LBB222_525:
	s_mov_b32 s19, -1
                                        ; implicit-def: $vgpr0
.LBB222_526:
	s_delay_alu instid0(SALU_CYCLE_1)
	s_and_not1_b32 vcc_lo, exec_lo, s19
	s_cbranch_vccnz .LBB222_528
; %bb.527:
	s_wait_loadcnt 0x0
	global_load_b32 v0, v[2:3], off
	s_wait_loadcnt 0x0
	v_cvt_f32_i32_e32 v0, v0
.LBB222_528:
	s_mov_b32 s19, 0
.LBB222_529:
	s_delay_alu instid0(SALU_CYCLE_1)
	s_and_not1_b32 vcc_lo, exec_lo, s19
	s_cbranch_vccnz .LBB222_531
; %bb.530:
	s_wait_loadcnt 0x0
	global_load_i16 v0, v[2:3], off
	s_wait_loadcnt 0x0
	v_cvt_f32_i32_e32 v0, v0
.LBB222_531:
	s_mov_b32 s19, 0
.LBB222_532:
	s_delay_alu instid0(SALU_CYCLE_1)
	s_and_not1_b32 vcc_lo, exec_lo, s19
	s_cbranch_vccnz .LBB222_538
; %bb.533:
	s_cmp_gt_i32 s0, 0
	s_mov_b32 s0, 0
	s_cbranch_scc0 .LBB222_535
; %bb.534:
	s_wait_loadcnt 0x0
	global_load_i8 v0, v[2:3], off
	s_wait_loadcnt 0x0
	v_cvt_f32_i32_e32 v0, v0
	s_branch .LBB222_536
.LBB222_535:
	s_mov_b32 s0, -1
                                        ; implicit-def: $vgpr0
.LBB222_536:
	s_delay_alu instid0(SALU_CYCLE_1)
	s_and_not1_b32 vcc_lo, exec_lo, s0
	s_cbranch_vccnz .LBB222_538
; %bb.537:
	s_wait_loadcnt 0x0
	global_load_u8 v0, v[2:3], off
	s_wait_loadcnt 0x0
	v_cvt_f32_ubyte0_e32 v0, v0
.LBB222_538:
	s_branch .LBB222_279
.LBB222_539:
	s_mov_b32 s21, 0
	s_mov_b32 s0, s14
.LBB222_540:
                                        ; implicit-def: $vgpr10
.LBB222_541:
	s_and_not1_b32 s19, s14, exec_lo
	s_and_b32 s0, s0, exec_lo
	s_and_not1_b32 s22, s16, exec_lo
	s_and_b32 s18, s18, exec_lo
	s_or_b32 s19, s19, s0
	s_or_b32 s18, s22, s18
	s_or_not1_b32 s0, s21, exec_lo
.LBB222_542:
	s_wait_xcnt 0x0
	s_or_b32 exec_lo, exec_lo, s20
	s_mov_b32 s21, 0
	s_mov_b32 s22, 0
	;; [unrolled: 1-line block ×3, first 2 shown]
                                        ; implicit-def: $vgpr2_vgpr3
                                        ; implicit-def: $vgpr0
	s_and_saveexec_b32 s20, s0
	s_cbranch_execz .LBB222_903
; %bb.543:
	s_mov_b32 s23, -1
	s_mov_b32 s0, s18
	s_mov_b32 s22, s19
	s_mov_b32 s21, exec_lo
	v_cmpx_gt_i32_e64 s15, v10
	s_cbranch_execz .LBB222_817
; %bb.544:
	s_wait_loadcnt 0x0
	v_mul_lo_u32 v0, v10, s9
	s_and_b32 s0, 0xffff, s12
	s_delay_alu instid0(SALU_CYCLE_1) | instskip(NEXT) | instid1(VALU_DEP_1)
	s_cmp_lt_i32 s0, 11
	v_ashrrev_i32_e32 v1, 31, v0
	s_delay_alu instid0(VALU_DEP_1)
	v_add_nc_u64_e32 v[2:3], s[6:7], v[0:1]
	s_cbranch_scc1 .LBB222_551
; %bb.545:
	s_cmp_gt_i32 s0, 25
	s_cbranch_scc0 .LBB222_552
; %bb.546:
	s_cmp_gt_i32 s0, 28
	s_cbranch_scc0 .LBB222_553
	;; [unrolled: 3-line block ×4, first 2 shown]
; %bb.549:
	s_cmp_eq_u32 s0, 46
	s_mov_b32 s24, 0
	s_cbranch_scc0 .LBB222_560
; %bb.550:
	global_load_b32 v0, v[2:3], off
	s_mov_b32 s22, 0
	s_wait_loadcnt 0x0
	v_lshlrev_b32_e32 v0, 16, v0
	s_branch .LBB222_562
.LBB222_551:
	s_mov_b32 s24, -1
	s_mov_b32 s23, 0
	s_mov_b32 s22, s18
                                        ; implicit-def: $vgpr0
	s_branch .LBB222_627
.LBB222_552:
	s_mov_b32 s24, -1
	s_mov_b32 s23, 0
	s_mov_b32 s22, s18
                                        ; implicit-def: $vgpr0
	s_branch .LBB222_591
.LBB222_553:
	s_mov_b32 s24, -1
	s_mov_b32 s23, 0
	s_mov_b32 s22, s18
                                        ; implicit-def: $vgpr0
	s_branch .LBB222_572
.LBB222_554:
	s_mov_b32 s24, -1
	s_mov_b32 s23, 0
	s_mov_b32 s22, s18
                                        ; implicit-def: $vgpr0
	s_branch .LBB222_567
.LBB222_555:
	s_and_not1_saveexec_b32 s24, s24
	s_cbranch_execz .LBB222_339
.LBB222_556:
	v_add_f32_e64 v1, 0x46000000, |v0|
	s_and_not1_b32 s23, s23, exec_lo
	s_delay_alu instid0(VALU_DEP_1) | instskip(NEXT) | instid1(VALU_DEP_1)
	v_and_b32_e32 v1, 0xff, v1
	v_cmp_ne_u32_e32 vcc_lo, 0, v1
	s_and_b32 s25, vcc_lo, exec_lo
	s_delay_alu instid0(SALU_CYCLE_1)
	s_or_b32 s23, s23, s25
	s_or_b32 exec_lo, exec_lo, s24
	v_mov_b32_e32 v4, 0
	s_and_saveexec_b32 s24, s23
	s_cbranch_execnz .LBB222_340
	s_branch .LBB222_341
.LBB222_557:
	s_mov_b32 s24, -1
	s_mov_b32 s23, 0
	s_mov_b32 s22, s18
	s_branch .LBB222_561
.LBB222_558:
	s_and_not1_saveexec_b32 s24, s24
	s_cbranch_execz .LBB222_352
.LBB222_559:
	v_add_f32_e64 v1, 0x42800000, |v0|
	s_and_not1_b32 s23, s23, exec_lo
	s_delay_alu instid0(VALU_DEP_1) | instskip(NEXT) | instid1(VALU_DEP_1)
	v_and_b32_e32 v1, 0xff, v1
	v_cmp_ne_u32_e32 vcc_lo, 0, v1
	s_and_b32 s25, vcc_lo, exec_lo
	s_delay_alu instid0(SALU_CYCLE_1)
	s_or_b32 s23, s23, s25
	s_or_b32 exec_lo, exec_lo, s24
	v_mov_b32_e32 v4, 0
	s_and_saveexec_b32 s24, s23
	s_cbranch_execnz .LBB222_353
	s_branch .LBB222_354
.LBB222_560:
	s_mov_b32 s22, -1
	s_mov_b32 s23, 0
.LBB222_561:
                                        ; implicit-def: $vgpr0
.LBB222_562:
	s_and_b32 vcc_lo, exec_lo, s24
	s_cbranch_vccz .LBB222_566
; %bb.563:
	s_cmp_eq_u32 s0, 44
	s_cbranch_scc0 .LBB222_565
; %bb.564:
	global_load_u8 v0, v[2:3], off
	s_mov_b32 s22, 0
	s_mov_b32 s23, -1
	s_wait_loadcnt 0x0
	v_lshlrev_b32_e32 v1, 23, v0
	v_cmp_ne_u32_e32 vcc_lo, 0xff, v0
	s_delay_alu instid0(VALU_DEP_2) | instskip(SKIP_1) | instid1(VALU_DEP_2)
	v_cndmask_b32_e32 v1, 0x7f800001, v1, vcc_lo
	v_cmp_ne_u32_e32 vcc_lo, 0, v0
	v_cndmask_b32_e32 v0, 0x400000, v1, vcc_lo
	s_branch .LBB222_566
.LBB222_565:
	s_mov_b32 s22, -1
                                        ; implicit-def: $vgpr0
.LBB222_566:
	s_mov_b32 s24, 0
.LBB222_567:
	s_delay_alu instid0(SALU_CYCLE_1)
	s_and_b32 vcc_lo, exec_lo, s24
	s_cbranch_vccz .LBB222_571
; %bb.568:
	s_cmp_eq_u32 s0, 29
	s_cbranch_scc0 .LBB222_570
; %bb.569:
	global_load_b64 v[0:1], v[2:3], off
	s_mov_b32 s23, -1
	s_mov_b32 s22, 0
	s_mov_b32 s24, 0
	s_wait_loadcnt 0x0
	v_clz_i32_u32_e32 v4, v1
	s_delay_alu instid0(VALU_DEP_1) | instskip(NEXT) | instid1(VALU_DEP_1)
	v_min_u32_e32 v4, 32, v4
	v_lshlrev_b64_e32 v[0:1], v4, v[0:1]
	s_delay_alu instid0(VALU_DEP_1) | instskip(NEXT) | instid1(VALU_DEP_1)
	v_min_u32_e32 v0, 1, v0
	v_or_b32_e32 v0, v1, v0
	v_sub_nc_u32_e32 v1, 32, v4
	s_delay_alu instid0(VALU_DEP_2) | instskip(NEXT) | instid1(VALU_DEP_1)
	v_cvt_f32_u32_e32 v0, v0
	v_ldexp_f32 v0, v0, v1
	s_branch .LBB222_572
.LBB222_570:
	s_mov_b32 s22, -1
                                        ; implicit-def: $vgpr0
.LBB222_571:
	s_mov_b32 s24, 0
.LBB222_572:
	s_delay_alu instid0(SALU_CYCLE_1)
	s_and_b32 vcc_lo, exec_lo, s24
	s_cbranch_vccz .LBB222_590
; %bb.573:
	s_cmp_lt_i32 s0, 27
	s_cbranch_scc1 .LBB222_576
; %bb.574:
	s_cmp_gt_i32 s0, 27
	s_cbranch_scc0 .LBB222_577
; %bb.575:
	global_load_b32 v0, v[2:3], off
	s_mov_b32 s23, 0
	s_wait_loadcnt 0x0
	v_cvt_f32_u32_e32 v0, v0
	s_branch .LBB222_578
.LBB222_576:
	s_mov_b32 s23, -1
                                        ; implicit-def: $vgpr0
	s_branch .LBB222_581
.LBB222_577:
	s_mov_b32 s23, -1
                                        ; implicit-def: $vgpr0
.LBB222_578:
	s_delay_alu instid0(SALU_CYCLE_1)
	s_and_not1_b32 vcc_lo, exec_lo, s23
	s_cbranch_vccnz .LBB222_580
; %bb.579:
	global_load_u16 v0, v[2:3], off
	s_wait_loadcnt 0x0
	v_cvt_f32_u32_e32 v0, v0
.LBB222_580:
	s_mov_b32 s23, 0
.LBB222_581:
	s_delay_alu instid0(SALU_CYCLE_1)
	s_and_not1_b32 vcc_lo, exec_lo, s23
	s_cbranch_vccnz .LBB222_589
; %bb.582:
	global_load_u8 v1, v[2:3], off
	s_mov_b32 s23, 0
	s_mov_b32 s24, exec_lo
	s_wait_loadcnt 0x0
	v_cmpx_lt_i16_e32 0x7f, v1
	s_xor_b32 s24, exec_lo, s24
	s_cbranch_execz .LBB222_603
; %bb.583:
	s_mov_b32 s23, -1
	s_mov_b32 s25, exec_lo
	v_cmpx_eq_u16_e32 0x80, v1
; %bb.584:
	s_xor_b32 s23, exec_lo, -1
; %bb.585:
	s_or_b32 exec_lo, exec_lo, s25
	s_delay_alu instid0(SALU_CYCLE_1)
	s_and_b32 s23, s23, exec_lo
	s_or_saveexec_b32 s24, s24
	v_mov_b32_e32 v0, 0x7f800001
	s_xor_b32 exec_lo, exec_lo, s24
	s_cbranch_execnz .LBB222_604
.LBB222_586:
	s_or_b32 exec_lo, exec_lo, s24
	s_and_saveexec_b32 s24, s23
	s_cbranch_execz .LBB222_588
.LBB222_587:
	v_and_b32_e32 v0, 0xffff, v1
	s_delay_alu instid0(VALU_DEP_1) | instskip(SKIP_1) | instid1(VALU_DEP_2)
	v_and_b32_e32 v4, 7, v0
	v_bfe_u32 v7, v0, 3, 4
	v_clz_i32_u32_e32 v5, v4
	s_delay_alu instid0(VALU_DEP_2) | instskip(NEXT) | instid1(VALU_DEP_2)
	v_cmp_eq_u32_e32 vcc_lo, 0, v7
	v_min_u32_e32 v5, 32, v5
	s_delay_alu instid0(VALU_DEP_1) | instskip(NEXT) | instid1(VALU_DEP_1)
	v_subrev_nc_u32_e32 v6, 28, v5
	v_dual_lshlrev_b32 v0, v6, v0 :: v_dual_sub_nc_u32 v5, 29, v5
	s_delay_alu instid0(VALU_DEP_1) | instskip(NEXT) | instid1(VALU_DEP_1)
	v_dual_lshlrev_b32 v1, 24, v1 :: v_dual_bitop2_b32 v0, 7, v0 bitop3:0x40
	v_dual_cndmask_b32 v0, v4, v0 :: v_dual_cndmask_b32 v5, v7, v5
	s_delay_alu instid0(VALU_DEP_2) | instskip(NEXT) | instid1(VALU_DEP_2)
	v_and_b32_e32 v1, 0x80000000, v1
	v_lshlrev_b32_e32 v0, 20, v0
	s_delay_alu instid0(VALU_DEP_3) | instskip(NEXT) | instid1(VALU_DEP_1)
	v_lshl_add_u32 v4, v5, 23, 0x3b800000
	v_or3_b32 v0, v1, v4, v0
.LBB222_588:
	s_or_b32 exec_lo, exec_lo, s24
.LBB222_589:
	s_mov_b32 s23, -1
.LBB222_590:
	s_mov_b32 s24, 0
.LBB222_591:
	s_delay_alu instid0(SALU_CYCLE_1)
	s_and_b32 vcc_lo, exec_lo, s24
	s_cbranch_vccz .LBB222_626
; %bb.592:
	s_cmp_gt_i32 s0, 22
	s_cbranch_scc0 .LBB222_602
; %bb.593:
	s_cmp_lt_i32 s0, 24
	s_cbranch_scc1 .LBB222_605
; %bb.594:
	s_cmp_gt_i32 s0, 24
	s_cbranch_scc0 .LBB222_606
; %bb.595:
	global_load_u8 v1, v[2:3], off
	s_mov_b32 s23, 0
	s_mov_b32 s24, exec_lo
	s_wait_loadcnt 0x0
	v_cmpx_lt_i16_e32 0x7f, v1
	s_xor_b32 s24, exec_lo, s24
	s_cbranch_execz .LBB222_618
; %bb.596:
	s_mov_b32 s23, -1
	s_mov_b32 s25, exec_lo
	v_cmpx_eq_u16_e32 0x80, v1
; %bb.597:
	s_xor_b32 s23, exec_lo, -1
; %bb.598:
	s_or_b32 exec_lo, exec_lo, s25
	s_delay_alu instid0(SALU_CYCLE_1)
	s_and_b32 s23, s23, exec_lo
	s_or_saveexec_b32 s24, s24
	v_mov_b32_e32 v0, 0x7f800001
	s_xor_b32 exec_lo, exec_lo, s24
	s_cbranch_execnz .LBB222_619
.LBB222_599:
	s_or_b32 exec_lo, exec_lo, s24
	s_and_saveexec_b32 s24, s23
	s_cbranch_execz .LBB222_601
.LBB222_600:
	v_and_b32_e32 v0, 0xffff, v1
	s_delay_alu instid0(VALU_DEP_1) | instskip(SKIP_1) | instid1(VALU_DEP_2)
	v_and_b32_e32 v4, 3, v0
	v_bfe_u32 v7, v0, 2, 5
	v_clz_i32_u32_e32 v5, v4
	s_delay_alu instid0(VALU_DEP_2) | instskip(NEXT) | instid1(VALU_DEP_2)
	v_cmp_eq_u32_e32 vcc_lo, 0, v7
	v_min_u32_e32 v5, 32, v5
	s_delay_alu instid0(VALU_DEP_1) | instskip(NEXT) | instid1(VALU_DEP_1)
	v_subrev_nc_u32_e32 v6, 29, v5
	v_dual_lshlrev_b32 v0, v6, v0 :: v_dual_sub_nc_u32 v5, 30, v5
	s_delay_alu instid0(VALU_DEP_1) | instskip(NEXT) | instid1(VALU_DEP_1)
	v_dual_lshlrev_b32 v1, 24, v1 :: v_dual_bitop2_b32 v0, 3, v0 bitop3:0x40
	v_dual_cndmask_b32 v0, v4, v0 :: v_dual_cndmask_b32 v5, v7, v5
	s_delay_alu instid0(VALU_DEP_2) | instskip(NEXT) | instid1(VALU_DEP_2)
	v_and_b32_e32 v1, 0x80000000, v1
	v_lshlrev_b32_e32 v0, 21, v0
	s_delay_alu instid0(VALU_DEP_3) | instskip(NEXT) | instid1(VALU_DEP_1)
	v_lshl_add_u32 v4, v5, 23, 0x37800000
	v_or3_b32 v0, v1, v4, v0
.LBB222_601:
	s_or_b32 exec_lo, exec_lo, s24
	s_mov_b32 s23, 0
	s_branch .LBB222_607
.LBB222_602:
	s_mov_b32 s24, -1
                                        ; implicit-def: $vgpr0
	s_branch .LBB222_613
.LBB222_603:
	s_or_saveexec_b32 s24, s24
	v_mov_b32_e32 v0, 0x7f800001
	s_xor_b32 exec_lo, exec_lo, s24
	s_cbranch_execz .LBB222_586
.LBB222_604:
	v_cmp_ne_u16_e32 vcc_lo, 0, v1
	v_mov_b32_e32 v0, 0
	s_and_not1_b32 s23, s23, exec_lo
	s_and_b32 s25, vcc_lo, exec_lo
	s_delay_alu instid0(SALU_CYCLE_1)
	s_or_b32 s23, s23, s25
	s_or_b32 exec_lo, exec_lo, s24
	s_and_saveexec_b32 s24, s23
	s_cbranch_execnz .LBB222_587
	s_branch .LBB222_588
.LBB222_605:
	s_mov_b32 s23, -1
                                        ; implicit-def: $vgpr0
	s_branch .LBB222_610
.LBB222_606:
	s_mov_b32 s23, -1
                                        ; implicit-def: $vgpr0
.LBB222_607:
	s_delay_alu instid0(SALU_CYCLE_1)
	s_and_b32 vcc_lo, exec_lo, s23
	s_cbranch_vccz .LBB222_609
; %bb.608:
	global_load_u8 v0, v[2:3], off
	s_wait_loadcnt 0x0
	v_lshlrev_b32_e32 v0, 24, v0
	s_delay_alu instid0(VALU_DEP_1) | instskip(NEXT) | instid1(VALU_DEP_1)
	v_and_b32_e32 v1, 0x7f000000, v0
	v_clz_i32_u32_e32 v4, v1
	v_cmp_ne_u32_e32 vcc_lo, 0, v1
	v_add_nc_u32_e32 v6, 0x1000000, v1
	s_delay_alu instid0(VALU_DEP_3) | instskip(NEXT) | instid1(VALU_DEP_1)
	v_min_u32_e32 v4, 32, v4
	v_sub_nc_u32_e64 v4, v4, 4 clamp
	s_delay_alu instid0(VALU_DEP_1) | instskip(NEXT) | instid1(VALU_DEP_1)
	v_dual_lshlrev_b32 v5, v4, v1 :: v_dual_lshlrev_b32 v4, 23, v4
	v_lshrrev_b32_e32 v5, 4, v5
	s_delay_alu instid0(VALU_DEP_1) | instskip(NEXT) | instid1(VALU_DEP_1)
	v_dual_sub_nc_u32 v4, v5, v4 :: v_dual_ashrrev_i32 v5, 8, v6
	v_add_nc_u32_e32 v4, 0x3c000000, v4
	s_delay_alu instid0(VALU_DEP_1) | instskip(NEXT) | instid1(VALU_DEP_1)
	v_and_or_b32 v4, 0x7f800000, v5, v4
	v_cndmask_b32_e32 v1, 0, v4, vcc_lo
	s_delay_alu instid0(VALU_DEP_1)
	v_and_or_b32 v0, 0x80000000, v0, v1
.LBB222_609:
	s_mov_b32 s23, 0
.LBB222_610:
	s_delay_alu instid0(SALU_CYCLE_1)
	s_and_not1_b32 vcc_lo, exec_lo, s23
	s_cbranch_vccnz .LBB222_612
; %bb.611:
	global_load_u8 v0, v[2:3], off
	s_wait_loadcnt 0x0
	v_lshlrev_b32_e32 v1, 25, v0
	v_lshlrev_b16 v0, 8, v0
	s_delay_alu instid0(VALU_DEP_1) | instskip(SKIP_1) | instid1(VALU_DEP_2)
	v_and_or_b32 v5, 0x7f00, v0, 0.5
	v_bfe_i32 v0, v0, 0, 16
	v_add_f32_e32 v5, -0.5, v5
	v_lshrrev_b32_e32 v4, 4, v1
	v_cmp_gt_u32_e32 vcc_lo, 0x8000000, v1
	s_delay_alu instid0(VALU_DEP_2) | instskip(NEXT) | instid1(VALU_DEP_1)
	v_or_b32_e32 v4, 0x70000000, v4
	v_mul_f32_e32 v4, 0x7800000, v4
	s_delay_alu instid0(VALU_DEP_1) | instskip(NEXT) | instid1(VALU_DEP_1)
	v_cndmask_b32_e32 v1, v4, v5, vcc_lo
	v_and_or_b32 v0, 0x80000000, v0, v1
.LBB222_612:
	s_mov_b32 s24, 0
	s_mov_b32 s23, -1
.LBB222_613:
	s_and_not1_b32 vcc_lo, exec_lo, s24
	s_cbranch_vccnz .LBB222_626
; %bb.614:
	s_cmp_gt_i32 s0, 14
	s_cbranch_scc0 .LBB222_617
; %bb.615:
	s_cmp_eq_u32 s0, 15
	s_cbranch_scc0 .LBB222_620
; %bb.616:
	global_load_u16 v0, v[2:3], off
	s_mov_b32 s23, -1
	s_mov_b32 s22, 0
	s_wait_loadcnt 0x0
	v_lshlrev_b32_e32 v0, 16, v0
	s_branch .LBB222_621
.LBB222_617:
	s_mov_b32 s24, -1
                                        ; implicit-def: $vgpr0
	s_branch .LBB222_622
.LBB222_618:
	s_or_saveexec_b32 s24, s24
	v_mov_b32_e32 v0, 0x7f800001
	s_xor_b32 exec_lo, exec_lo, s24
	s_cbranch_execz .LBB222_599
.LBB222_619:
	v_cmp_ne_u16_e32 vcc_lo, 0, v1
	v_mov_b32_e32 v0, 0
	s_and_not1_b32 s23, s23, exec_lo
	s_and_b32 s25, vcc_lo, exec_lo
	s_delay_alu instid0(SALU_CYCLE_1)
	s_or_b32 s23, s23, s25
	s_or_b32 exec_lo, exec_lo, s24
	s_and_saveexec_b32 s24, s23
	s_cbranch_execnz .LBB222_600
	s_branch .LBB222_601
.LBB222_620:
	s_mov_b32 s22, -1
                                        ; implicit-def: $vgpr0
.LBB222_621:
	s_mov_b32 s24, 0
.LBB222_622:
	s_delay_alu instid0(SALU_CYCLE_1)
	s_and_b32 vcc_lo, exec_lo, s24
	s_cbranch_vccz .LBB222_626
; %bb.623:
	s_cmp_eq_u32 s0, 11
	s_cbranch_scc0 .LBB222_625
; %bb.624:
	global_load_u8 v0, v[2:3], off
	s_mov_b32 s22, 0
	s_mov_b32 s23, -1
	s_wait_loadcnt 0x0
	v_cmp_ne_u16_e32 vcc_lo, 0, v0
	v_cndmask_b32_e64 v0, 0, 1.0, vcc_lo
	s_branch .LBB222_626
.LBB222_625:
	s_mov_b32 s22, -1
                                        ; implicit-def: $vgpr0
.LBB222_626:
	s_mov_b32 s24, 0
.LBB222_627:
	s_delay_alu instid0(SALU_CYCLE_1)
	s_and_b32 vcc_lo, exec_lo, s24
	s_cbranch_vccz .LBB222_676
; %bb.628:
	s_cmp_lt_i32 s0, 5
	s_cbranch_scc1 .LBB222_633
; %bb.629:
	s_cmp_lt_i32 s0, 8
	s_cbranch_scc1 .LBB222_634
	;; [unrolled: 3-line block ×3, first 2 shown]
; %bb.631:
	s_cmp_gt_i32 s0, 9
	s_cbranch_scc0 .LBB222_636
; %bb.632:
	global_load_b64 v[0:1], v[2:3], off
	s_mov_b32 s23, 0
	s_wait_loadcnt 0x0
	v_cvt_f32_f64_e32 v0, v[0:1]
	s_branch .LBB222_637
.LBB222_633:
	s_mov_b32 s23, -1
                                        ; implicit-def: $vgpr0
	s_branch .LBB222_655
.LBB222_634:
	s_mov_b32 s23, -1
                                        ; implicit-def: $vgpr0
	s_branch .LBB222_643
.LBB222_635:
	s_mov_b32 s23, -1
                                        ; implicit-def: $vgpr0
	s_branch .LBB222_640
.LBB222_636:
	s_mov_b32 s23, -1
                                        ; implicit-def: $vgpr0
.LBB222_637:
	s_delay_alu instid0(SALU_CYCLE_1)
	s_and_not1_b32 vcc_lo, exec_lo, s23
	s_cbranch_vccnz .LBB222_639
; %bb.638:
	global_load_b32 v0, v[2:3], off
.LBB222_639:
	s_mov_b32 s23, 0
.LBB222_640:
	s_delay_alu instid0(SALU_CYCLE_1)
	s_and_not1_b32 vcc_lo, exec_lo, s23
	s_cbranch_vccnz .LBB222_642
; %bb.641:
	s_wait_loadcnt 0x0
	global_load_b32 v0, v[2:3], off
	s_wait_loadcnt 0x0
	v_cvt_f32_f16_e32 v0, v0
.LBB222_642:
	s_mov_b32 s23, 0
.LBB222_643:
	s_delay_alu instid0(SALU_CYCLE_1)
	s_and_not1_b32 vcc_lo, exec_lo, s23
	s_cbranch_vccnz .LBB222_654
; %bb.644:
	s_cmp_lt_i32 s0, 6
	s_cbranch_scc1 .LBB222_647
; %bb.645:
	s_cmp_gt_i32 s0, 6
	s_cbranch_scc0 .LBB222_648
; %bb.646:
	s_wait_loadcnt 0x0
	global_load_b64 v[0:1], v[2:3], off
	s_mov_b32 s23, 0
	s_wait_loadcnt 0x0
	v_cvt_f32_f64_e32 v0, v[0:1]
	s_branch .LBB222_649
.LBB222_647:
	s_mov_b32 s23, -1
                                        ; implicit-def: $vgpr0
	s_branch .LBB222_652
.LBB222_648:
	s_mov_b32 s23, -1
                                        ; implicit-def: $vgpr0
.LBB222_649:
	s_delay_alu instid0(SALU_CYCLE_1)
	s_and_not1_b32 vcc_lo, exec_lo, s23
	s_cbranch_vccnz .LBB222_651
; %bb.650:
	s_wait_loadcnt 0x0
	global_load_b32 v0, v[2:3], off
.LBB222_651:
	s_mov_b32 s23, 0
.LBB222_652:
	s_delay_alu instid0(SALU_CYCLE_1)
	s_and_not1_b32 vcc_lo, exec_lo, s23
	s_cbranch_vccnz .LBB222_654
; %bb.653:
	s_wait_loadcnt 0x0
	global_load_u16 v0, v[2:3], off
	s_wait_loadcnt 0x0
	v_cvt_f32_f16_e32 v0, v0
.LBB222_654:
	s_mov_b32 s23, 0
.LBB222_655:
	s_delay_alu instid0(SALU_CYCLE_1)
	s_and_not1_b32 vcc_lo, exec_lo, s23
	s_cbranch_vccnz .LBB222_675
; %bb.656:
	s_cmp_lt_i32 s0, 2
	s_cbranch_scc1 .LBB222_660
; %bb.657:
	s_cmp_lt_i32 s0, 3
	s_cbranch_scc1 .LBB222_661
; %bb.658:
	s_cmp_gt_i32 s0, 3
	s_cbranch_scc0 .LBB222_662
; %bb.659:
	s_wait_loadcnt 0x0
	global_load_b64 v[0:1], v[2:3], off
	s_mov_b32 s23, 0
	s_wait_loadcnt 0x0
	v_xor_b32_e32 v4, v0, v1
	v_cls_i32_e32 v5, v1
	s_delay_alu instid0(VALU_DEP_2) | instskip(NEXT) | instid1(VALU_DEP_1)
	v_ashrrev_i32_e32 v4, 31, v4
	v_add_nc_u32_e32 v4, 32, v4
	s_delay_alu instid0(VALU_DEP_1) | instskip(NEXT) | instid1(VALU_DEP_1)
	v_add_min_u32_e64 v4, v5, -1, v4
	v_lshlrev_b64_e32 v[0:1], v4, v[0:1]
	s_delay_alu instid0(VALU_DEP_1) | instskip(NEXT) | instid1(VALU_DEP_1)
	v_min_u32_e32 v0, 1, v0
	v_or_b32_e32 v0, v1, v0
	v_sub_nc_u32_e32 v1, 32, v4
	s_delay_alu instid0(VALU_DEP_2) | instskip(NEXT) | instid1(VALU_DEP_1)
	v_cvt_f32_i32_e32 v0, v0
	v_ldexp_f32 v0, v0, v1
	s_branch .LBB222_663
.LBB222_660:
	s_mov_b32 s23, -1
                                        ; implicit-def: $vgpr0
	s_branch .LBB222_669
.LBB222_661:
	s_mov_b32 s23, -1
                                        ; implicit-def: $vgpr0
	s_branch .LBB222_666
.LBB222_662:
	s_mov_b32 s23, -1
                                        ; implicit-def: $vgpr0
.LBB222_663:
	s_delay_alu instid0(SALU_CYCLE_1)
	s_and_not1_b32 vcc_lo, exec_lo, s23
	s_cbranch_vccnz .LBB222_665
; %bb.664:
	s_wait_loadcnt 0x0
	global_load_b32 v0, v[2:3], off
	s_wait_loadcnt 0x0
	v_cvt_f32_i32_e32 v0, v0
.LBB222_665:
	s_mov_b32 s23, 0
.LBB222_666:
	s_delay_alu instid0(SALU_CYCLE_1)
	s_and_not1_b32 vcc_lo, exec_lo, s23
	s_cbranch_vccnz .LBB222_668
; %bb.667:
	s_wait_loadcnt 0x0
	global_load_i16 v0, v[2:3], off
	s_wait_loadcnt 0x0
	v_cvt_f32_i32_e32 v0, v0
.LBB222_668:
	s_mov_b32 s23, 0
.LBB222_669:
	s_delay_alu instid0(SALU_CYCLE_1)
	s_and_not1_b32 vcc_lo, exec_lo, s23
	s_cbranch_vccnz .LBB222_675
; %bb.670:
	s_cmp_gt_i32 s0, 0
	s_mov_b32 s0, 0
	s_cbranch_scc0 .LBB222_672
; %bb.671:
	s_wait_loadcnt 0x0
	global_load_i8 v0, v[2:3], off
	s_wait_loadcnt 0x0
	v_cvt_f32_i32_e32 v0, v0
	s_branch .LBB222_673
.LBB222_672:
	s_mov_b32 s0, -1
                                        ; implicit-def: $vgpr0
.LBB222_673:
	s_delay_alu instid0(SALU_CYCLE_1)
	s_and_not1_b32 vcc_lo, exec_lo, s0
	s_cbranch_vccnz .LBB222_675
; %bb.674:
	s_wait_loadcnt 0x0
	global_load_u8 v0, v[2:3], off
	s_wait_loadcnt 0x0
	v_cvt_f32_ubyte0_e32 v0, v0
.LBB222_675:
	s_mov_b32 s23, -1
.LBB222_676:
	s_delay_alu instid0(SALU_CYCLE_1)
	s_and_not1_b32 vcc_lo, exec_lo, s23
	s_cbranch_vccnz .LBB222_681
; %bb.677:
	s_mov_b32 s0, exec_lo
	s_wait_loadcnt 0x0
	s_delay_alu instid0(VALU_DEP_1)
	v_cmpx_o_f32_e32 v0, v0
	s_cbranch_execz .LBB222_690
; %bb.678:
	s_cmp_lt_i32 s10, 1
	s_mov_b32 s23, 0
	s_cbranch_scc1 .LBB222_682
; %bb.679:
	s_cmp_eq_u32 s10, 1
	s_cbranch_scc0 .LBB222_683
; %bb.680:
	v_max_num_f32_e64 v1, s11, s11
	v_max_num_f32_e32 v2, v0, v0
	s_mov_b32 s24, 0
	s_delay_alu instid0(VALU_DEP_1)
	v_min_num_f32_e32 v1, v2, v1
	s_branch .LBB222_684
.LBB222_681:
	s_mov_b32 s23, 0
	s_mov_b32 s0, s19
	s_branch .LBB222_815
.LBB222_682:
	s_mov_b32 s25, -1
	s_mov_b32 s24, 0
                                        ; implicit-def: $vgpr1
	s_branch .LBB222_685
.LBB222_683:
	s_mov_b32 s24, -1
                                        ; implicit-def: $vgpr1
.LBB222_684:
	s_mov_b32 s25, 0
.LBB222_685:
	s_delay_alu instid0(SALU_CYCLE_1)
	s_and_b32 vcc_lo, exec_lo, s25
	s_cbranch_vccz .LBB222_697
; %bb.686:
	s_cmp_lg_u32 s10, 0
	s_mov_b32 s23, -1
	s_cselect_b32 s24, -1, 0
	v_max_num_f32_e32 v0, v0, v0
	s_and_not1_b32 vcc_lo, exec_lo, s24
	s_cbranch_vccz .LBB222_698
.LBB222_687:
	s_and_not1_b32 vcc_lo, exec_lo, s23
	s_cbranch_vccnz .LBB222_689
.LBB222_688:
	v_max_num_f32_e64 v1, s11, s11
	s_delay_alu instid0(VALU_DEP_1)
	v_max_num_f32_e32 v1, v0, v1
.LBB222_689:
	s_delay_alu instid0(VALU_DEP_1)
	v_mov_b32_e32 v0, v1
.LBB222_690:
	s_or_b32 exec_lo, exec_lo, s0
	v_mul_lo_u32 v2, v10, s8
	s_and_b32 s23, s3, 0xff
	s_delay_alu instid0(SALU_CYCLE_1) | instskip(NEXT) | instid1(VALU_DEP_1)
	s_cmp_lt_i32 s23, 11
	v_ashrrev_i32_e32 v3, 31, v2
	s_delay_alu instid0(VALU_DEP_1)
	v_add_nc_u64_e32 v[2:3], s[4:5], v[2:3]
	s_cbranch_scc1 .LBB222_699
; %bb.691:
	s_and_b32 s24, 0xffff, s23
	s_delay_alu instid0(SALU_CYCLE_1)
	s_cmp_gt_i32 s24, 25
	s_cbranch_scc0 .LBB222_700
; %bb.692:
	s_cmp_gt_i32 s24, 28
	s_cbranch_scc0 .LBB222_701
; %bb.693:
	;; [unrolled: 3-line block ×4, first 2 shown]
	s_mov_b32 s26, 0
	s_mov_b32 s0, -1
	s_cmp_eq_u32 s24, 46
	s_mov_b32 s25, 0
	s_cbranch_scc0 .LBB222_704
; %bb.696:
	v_bfe_u32 v1, v0, 16, 1
	v_cmp_o_f32_e32 vcc_lo, v0, v0
	s_mov_b32 s25, -1
	s_mov_b32 s0, 0
	s_delay_alu instid0(VALU_DEP_2) | instskip(NEXT) | instid1(VALU_DEP_1)
	v_add3_u32 v1, v0, v1, 0x7fff
	v_lshrrev_b32_e32 v1, 16, v1
	s_delay_alu instid0(VALU_DEP_1)
	v_cndmask_b32_e32 v1, 0x7fc0, v1, vcc_lo
	global_store_b32 v[2:3], v1, off
	s_branch .LBB222_704
.LBB222_697:
	v_max_num_f32_e32 v0, v0, v0
	s_and_not1_b32 vcc_lo, exec_lo, s24
	s_cbranch_vccnz .LBB222_687
.LBB222_698:
	v_max_num_f32_e64 v1, s11, s11
	v_max_num_f32_e64 v2, s2, s2
	s_delay_alu instid0(VALU_DEP_1)
	v_maxmin_num_f32 v1, v0, v1, v2
	s_cbranch_execz .LBB222_688
	s_branch .LBB222_689
.LBB222_699:
	s_mov_b32 s24, -1
	s_mov_b32 s25, 0
	s_mov_b32 s0, s19
	s_branch .LBB222_773
.LBB222_700:
	s_mov_b32 s26, -1
	s_mov_b32 s25, 0
	s_mov_b32 s0, s19
	s_branch .LBB222_731
.LBB222_701:
	s_mov_b32 s26, -1
	s_mov_b32 s25, 0
	s_mov_b32 s0, s19
	s_branch .LBB222_714
.LBB222_702:
	s_mov_b32 s26, -1
	s_mov_b32 s25, 0
	s_mov_b32 s0, s19
	s_branch .LBB222_710
.LBB222_703:
	s_mov_b32 s26, -1
	s_mov_b32 s25, 0
	s_mov_b32 s0, s19
.LBB222_704:
	s_and_b32 vcc_lo, exec_lo, s26
	s_cbranch_vccz .LBB222_709
; %bb.705:
	s_cmp_eq_u32 s24, 44
	s_mov_b32 s0, -1
	s_cbranch_scc0 .LBB222_709
; %bb.706:
	v_bfe_u32 v4, v0, 23, 8
	s_wait_xcnt 0x0
	v_mov_b32_e32 v1, 0xff
	s_mov_b32 s25, exec_lo
	s_delay_alu instid0(VALU_DEP_2)
	v_cmpx_ne_u32_e32 0xff, v4
	s_cbranch_execz .LBB222_708
; %bb.707:
	v_and_b32_e32 v1, 0x400000, v0
	v_and_or_b32 v4, 0x3fffff, v0, v4
	s_delay_alu instid0(VALU_DEP_2) | instskip(NEXT) | instid1(VALU_DEP_2)
	v_cmp_ne_u32_e32 vcc_lo, 0, v1
	v_cmp_ne_u32_e64 s0, 0, v4
	v_lshrrev_b32_e32 v1, 23, v0
	s_and_b32 s0, vcc_lo, s0
	s_delay_alu instid0(SALU_CYCLE_1) | instskip(NEXT) | instid1(VALU_DEP_1)
	v_cndmask_b32_e64 v4, 0, 1, s0
	v_add_nc_u32_e32 v1, v1, v4
.LBB222_708:
	s_or_b32 exec_lo, exec_lo, s25
	s_mov_b32 s25, -1
	s_mov_b32 s0, 0
	global_store_b8 v[2:3], v1, off
.LBB222_709:
	s_mov_b32 s26, 0
.LBB222_710:
	s_delay_alu instid0(SALU_CYCLE_1)
	s_and_b32 vcc_lo, exec_lo, s26
	s_cbranch_vccz .LBB222_713
; %bb.711:
	s_cmp_eq_u32 s24, 29
	s_mov_b32 s0, -1
	s_cbranch_scc0 .LBB222_713
; %bb.712:
	s_wait_xcnt 0x0
	v_trunc_f32_e32 v1, v0
	s_mov_b32 s25, -1
	s_mov_b32 s0, 0
	s_mov_b32 s26, 0
	s_delay_alu instid0(VALU_DEP_1) | instskip(NEXT) | instid1(VALU_DEP_1)
	v_mul_f32_e32 v4, 0x2f800000, v1
	v_floor_f32_e32 v4, v4
	s_delay_alu instid0(VALU_DEP_1) | instskip(SKIP_1) | instid1(VALU_DEP_2)
	v_fmamk_f32 v1, v4, 0xcf800000, v1
	v_cvt_u32_f32_e32 v5, v4
	v_cvt_u32_f32_e32 v4, v1
	global_store_b64 v[2:3], v[4:5], off
	s_branch .LBB222_714
.LBB222_713:
	s_mov_b32 s26, 0
.LBB222_714:
	s_delay_alu instid0(SALU_CYCLE_1)
	s_and_b32 vcc_lo, exec_lo, s26
	s_cbranch_vccz .LBB222_730
; %bb.715:
	s_cmp_lt_i32 s24, 27
	s_mov_b32 s25, -1
	s_cbranch_scc1 .LBB222_721
; %bb.716:
	s_wait_xcnt 0x0
	v_cvt_u32_f32_e32 v1, v0
	s_cmp_gt_i32 s24, 27
	s_cbranch_scc0 .LBB222_718
; %bb.717:
	s_mov_b32 s25, 0
	global_store_b32 v[2:3], v1, off
.LBB222_718:
	s_and_not1_b32 vcc_lo, exec_lo, s25
	s_cbranch_vccnz .LBB222_720
; %bb.719:
	global_store_b16 v[2:3], v1, off
.LBB222_720:
	s_mov_b32 s25, 0
.LBB222_721:
	s_delay_alu instid0(SALU_CYCLE_1)
	s_and_not1_b32 vcc_lo, exec_lo, s25
	s_cbranch_vccnz .LBB222_729
; %bb.722:
	s_wait_xcnt 0x0
	v_and_b32_e32 v1, 0x7fffffff, v0
	v_mov_b32_e32 v4, 0x80
	s_mov_b32 s25, exec_lo
	s_delay_alu instid0(VALU_DEP_2)
	v_cmpx_gt_u32_e32 0x43800000, v1
	s_cbranch_execz .LBB222_728
; %bb.723:
	v_cmp_lt_u32_e32 vcc_lo, 0x3bffffff, v1
	s_mov_b32 s26, 0
                                        ; implicit-def: $vgpr1
	s_and_saveexec_b32 s27, vcc_lo
	s_delay_alu instid0(SALU_CYCLE_1)
	s_xor_b32 s27, exec_lo, s27
	s_cbranch_execz .LBB222_830
; %bb.724:
	v_bfe_u32 v1, v0, 20, 1
	s_mov_b32 s26, exec_lo
	s_delay_alu instid0(VALU_DEP_1) | instskip(NEXT) | instid1(VALU_DEP_1)
	v_add3_u32 v1, v0, v1, 0x487ffff
	v_lshrrev_b32_e32 v1, 20, v1
	s_and_not1_saveexec_b32 s27, s27
	s_cbranch_execnz .LBB222_831
.LBB222_725:
	s_or_b32 exec_lo, exec_lo, s27
	v_mov_b32_e32 v4, 0
	s_and_saveexec_b32 s27, s26
.LBB222_726:
	v_lshrrev_b32_e32 v4, 24, v0
	s_delay_alu instid0(VALU_DEP_1)
	v_and_or_b32 v4, 0x80, v4, v1
.LBB222_727:
	s_or_b32 exec_lo, exec_lo, s27
.LBB222_728:
	s_delay_alu instid0(SALU_CYCLE_1)
	s_or_b32 exec_lo, exec_lo, s25
	global_store_b8 v[2:3], v4, off
.LBB222_729:
	s_mov_b32 s25, -1
.LBB222_730:
	s_mov_b32 s26, 0
.LBB222_731:
	s_delay_alu instid0(SALU_CYCLE_1)
	s_and_b32 vcc_lo, exec_lo, s26
	s_cbranch_vccz .LBB222_772
; %bb.732:
	s_cmp_gt_i32 s24, 22
	s_mov_b32 s26, -1
	s_cbranch_scc0 .LBB222_764
; %bb.733:
	s_cmp_lt_i32 s24, 24
	s_mov_b32 s25, -1
	s_cbranch_scc1 .LBB222_753
; %bb.734:
	s_cmp_gt_i32 s24, 24
	s_cbranch_scc0 .LBB222_742
; %bb.735:
	s_wait_xcnt 0x0
	v_and_b32_e32 v1, 0x7fffffff, v0
	v_mov_b32_e32 v4, 0x80
	s_mov_b32 s25, exec_lo
	s_delay_alu instid0(VALU_DEP_2)
	v_cmpx_gt_u32_e32 0x47800000, v1
	s_cbranch_execz .LBB222_741
; %bb.736:
	v_cmp_lt_u32_e32 vcc_lo, 0x37ffffff, v1
	s_mov_b32 s26, 0
                                        ; implicit-def: $vgpr1
	s_and_saveexec_b32 s27, vcc_lo
	s_delay_alu instid0(SALU_CYCLE_1)
	s_xor_b32 s27, exec_lo, s27
	s_cbranch_execz .LBB222_833
; %bb.737:
	v_bfe_u32 v1, v0, 21, 1
	s_mov_b32 s26, exec_lo
	s_delay_alu instid0(VALU_DEP_1) | instskip(NEXT) | instid1(VALU_DEP_1)
	v_add3_u32 v1, v0, v1, 0x88fffff
	v_lshrrev_b32_e32 v1, 21, v1
	s_and_not1_saveexec_b32 s27, s27
	s_cbranch_execnz .LBB222_834
.LBB222_738:
	s_or_b32 exec_lo, exec_lo, s27
	v_mov_b32_e32 v4, 0
	s_and_saveexec_b32 s27, s26
.LBB222_739:
	v_lshrrev_b32_e32 v4, 24, v0
	s_delay_alu instid0(VALU_DEP_1)
	v_and_or_b32 v4, 0x80, v4, v1
.LBB222_740:
	s_or_b32 exec_lo, exec_lo, s27
.LBB222_741:
	s_delay_alu instid0(SALU_CYCLE_1)
	s_or_b32 exec_lo, exec_lo, s25
	s_mov_b32 s25, 0
	global_store_b8 v[2:3], v4, off
.LBB222_742:
	s_and_b32 vcc_lo, exec_lo, s25
	s_cbranch_vccz .LBB222_752
; %bb.743:
	s_wait_xcnt 0x0
	v_and_b32_e32 v4, 0x7fffffff, v0
	s_mov_b32 s25, exec_lo
                                        ; implicit-def: $vgpr1
	s_delay_alu instid0(VALU_DEP_1)
	v_cmpx_gt_u32_e32 0x43f00000, v4
	s_xor_b32 s25, exec_lo, s25
	s_cbranch_execz .LBB222_749
; %bb.744:
	s_mov_b32 s26, exec_lo
                                        ; implicit-def: $vgpr1
	v_cmpx_lt_u32_e32 0x3c7fffff, v4
	s_xor_b32 s26, exec_lo, s26
; %bb.745:
	v_bfe_u32 v1, v0, 20, 1
	s_delay_alu instid0(VALU_DEP_1) | instskip(NEXT) | instid1(VALU_DEP_1)
	v_add3_u32 v1, v0, v1, 0x407ffff
	v_and_b32_e32 v4, 0xff00000, v1
	v_lshrrev_b32_e32 v1, 20, v1
	s_delay_alu instid0(VALU_DEP_2) | instskip(NEXT) | instid1(VALU_DEP_2)
	v_cmp_ne_u32_e32 vcc_lo, 0x7f00000, v4
	v_cndmask_b32_e32 v1, 0x7e, v1, vcc_lo
; %bb.746:
	s_and_not1_saveexec_b32 s26, s26
; %bb.747:
	v_add_f32_e64 v1, 0x46800000, |v0|
; %bb.748:
	s_or_b32 exec_lo, exec_lo, s26
                                        ; implicit-def: $vgpr4
.LBB222_749:
	s_and_not1_saveexec_b32 s25, s25
; %bb.750:
	v_mov_b32_e32 v1, 0x7f
	v_cmp_lt_u32_e32 vcc_lo, 0x7f800000, v4
	s_delay_alu instid0(VALU_DEP_2)
	v_cndmask_b32_e32 v1, 0x7e, v1, vcc_lo
; %bb.751:
	s_or_b32 exec_lo, exec_lo, s25
	v_lshrrev_b32_e32 v4, 24, v0
	s_delay_alu instid0(VALU_DEP_1)
	v_and_or_b32 v1, 0x80, v4, v1
	global_store_b8 v[2:3], v1, off
.LBB222_752:
	s_mov_b32 s25, 0
.LBB222_753:
	s_delay_alu instid0(SALU_CYCLE_1)
	s_and_not1_b32 vcc_lo, exec_lo, s25
	s_cbranch_vccnz .LBB222_763
; %bb.754:
	s_wait_xcnt 0x0
	v_and_b32_e32 v4, 0x7fffffff, v0
	s_mov_b32 s25, exec_lo
                                        ; implicit-def: $vgpr1
	s_delay_alu instid0(VALU_DEP_1)
	v_cmpx_gt_u32_e32 0x47800000, v4
	s_xor_b32 s25, exec_lo, s25
	s_cbranch_execz .LBB222_760
; %bb.755:
	s_mov_b32 s26, exec_lo
                                        ; implicit-def: $vgpr1
	v_cmpx_lt_u32_e32 0x387fffff, v4
	s_xor_b32 s26, exec_lo, s26
; %bb.756:
	v_bfe_u32 v1, v0, 21, 1
	s_delay_alu instid0(VALU_DEP_1) | instskip(NEXT) | instid1(VALU_DEP_1)
	v_add3_u32 v1, v0, v1, 0x80fffff
	v_lshrrev_b32_e32 v1, 21, v1
; %bb.757:
	s_and_not1_saveexec_b32 s26, s26
; %bb.758:
	v_add_f32_e64 v1, 0x43000000, |v0|
; %bb.759:
	s_or_b32 exec_lo, exec_lo, s26
                                        ; implicit-def: $vgpr4
.LBB222_760:
	s_and_not1_saveexec_b32 s25, s25
; %bb.761:
	v_mov_b32_e32 v1, 0x7f
	v_cmp_lt_u32_e32 vcc_lo, 0x7f800000, v4
	s_delay_alu instid0(VALU_DEP_2)
	v_cndmask_b32_e32 v1, 0x7c, v1, vcc_lo
; %bb.762:
	s_or_b32 exec_lo, exec_lo, s25
	v_lshrrev_b32_e32 v4, 24, v0
	s_delay_alu instid0(VALU_DEP_1)
	v_and_or_b32 v1, 0x80, v4, v1
	global_store_b8 v[2:3], v1, off
.LBB222_763:
	s_mov_b32 s26, 0
	s_mov_b32 s25, -1
.LBB222_764:
	s_and_not1_b32 vcc_lo, exec_lo, s26
	s_cbranch_vccnz .LBB222_772
; %bb.765:
	s_cmp_gt_i32 s24, 14
	s_mov_b32 s26, -1
	s_cbranch_scc0 .LBB222_769
; %bb.766:
	s_cmp_eq_u32 s24, 15
	s_mov_b32 s0, -1
	s_cbranch_scc0 .LBB222_768
; %bb.767:
	s_wait_xcnt 0x0
	v_bfe_u32 v1, v0, 16, 1
	v_cmp_o_f32_e32 vcc_lo, v0, v0
	s_mov_b32 s25, -1
	s_mov_b32 s0, 0
	s_delay_alu instid0(VALU_DEP_2) | instskip(NEXT) | instid1(VALU_DEP_1)
	v_add3_u32 v1, v0, v1, 0x7fff
	v_lshrrev_b32_e32 v1, 16, v1
	s_delay_alu instid0(VALU_DEP_1)
	v_cndmask_b32_e32 v1, 0x7fc0, v1, vcc_lo
	global_store_b16 v[2:3], v1, off
.LBB222_768:
	s_mov_b32 s26, 0
.LBB222_769:
	s_delay_alu instid0(SALU_CYCLE_1)
	s_and_b32 vcc_lo, exec_lo, s26
	s_cbranch_vccz .LBB222_772
; %bb.770:
	s_cmp_eq_u32 s24, 11
	s_mov_b32 s0, -1
	s_cbranch_scc0 .LBB222_772
; %bb.771:
	v_cmp_neq_f32_e32 vcc_lo, 0, v0
	s_mov_b32 s0, 0
	s_mov_b32 s25, -1
	s_wait_xcnt 0x0
	v_cndmask_b32_e64 v1, 0, 1, vcc_lo
	global_store_b8 v[2:3], v1, off
.LBB222_772:
	s_mov_b32 s24, 0
.LBB222_773:
	s_delay_alu instid0(SALU_CYCLE_1)
	s_and_b32 vcc_lo, exec_lo, s24
	s_cbranch_vccz .LBB222_812
; %bb.774:
	s_and_b32 s23, 0xffff, s23
	s_mov_b32 s24, -1
	s_cmp_lt_i32 s23, 5
	s_cbranch_scc1 .LBB222_795
; %bb.775:
	s_cmp_lt_i32 s23, 8
	s_cbranch_scc1 .LBB222_785
; %bb.776:
	;; [unrolled: 3-line block ×3, first 2 shown]
	s_cmp_gt_i32 s23, 9
	s_cbranch_scc0 .LBB222_779
; %bb.778:
	s_wait_xcnt 0x0
	v_cvt_f64_f32_e32 v[4:5], v0
	v_mov_b32_e32 v6, 0
	s_mov_b32 s24, 0
	s_delay_alu instid0(VALU_DEP_1)
	v_mov_b32_e32 v7, v6
	global_store_b128 v[2:3], v[4:7], off
.LBB222_779:
	s_and_not1_b32 vcc_lo, exec_lo, s24
	s_cbranch_vccnz .LBB222_781
; %bb.780:
	s_wait_xcnt 0x0
	v_mov_b32_e32 v1, 0
	global_store_b64 v[2:3], v[0:1], off
.LBB222_781:
	s_mov_b32 s24, 0
.LBB222_782:
	s_delay_alu instid0(SALU_CYCLE_1)
	s_and_not1_b32 vcc_lo, exec_lo, s24
	s_cbranch_vccnz .LBB222_784
; %bb.783:
	s_wait_xcnt 0x0
	v_cvt_f16_f32_e32 v1, v0
	s_delay_alu instid0(VALU_DEP_1)
	v_and_b32_e32 v1, 0xffff, v1
	global_store_b32 v[2:3], v1, off
.LBB222_784:
	s_mov_b32 s24, 0
.LBB222_785:
	s_delay_alu instid0(SALU_CYCLE_1)
	s_and_not1_b32 vcc_lo, exec_lo, s24
	s_cbranch_vccnz .LBB222_794
; %bb.786:
	s_cmp_lt_i32 s23, 6
	s_mov_b32 s24, -1
	s_cbranch_scc1 .LBB222_792
; %bb.787:
	s_cmp_gt_i32 s23, 6
	s_cbranch_scc0 .LBB222_789
; %bb.788:
	s_wait_xcnt 0x0
	v_cvt_f64_f32_e32 v[4:5], v0
	s_mov_b32 s24, 0
	global_store_b64 v[2:3], v[4:5], off
.LBB222_789:
	s_and_not1_b32 vcc_lo, exec_lo, s24
	s_cbranch_vccnz .LBB222_791
; %bb.790:
	global_store_b32 v[2:3], v0, off
.LBB222_791:
	s_mov_b32 s24, 0
.LBB222_792:
	s_delay_alu instid0(SALU_CYCLE_1)
	s_and_not1_b32 vcc_lo, exec_lo, s24
	s_cbranch_vccnz .LBB222_794
; %bb.793:
	s_wait_xcnt 0x0
	v_cvt_f16_f32_e32 v1, v0
	global_store_b16 v[2:3], v1, off
.LBB222_794:
	s_mov_b32 s24, 0
.LBB222_795:
	s_delay_alu instid0(SALU_CYCLE_1)
	s_and_not1_b32 vcc_lo, exec_lo, s24
	s_cbranch_vccnz .LBB222_811
; %bb.796:
	s_cmp_lt_i32 s23, 2
	s_mov_b32 s24, -1
	s_cbranch_scc1 .LBB222_806
; %bb.797:
	s_cmp_lt_i32 s23, 3
	s_cbranch_scc1 .LBB222_803
; %bb.798:
	s_cmp_gt_i32 s23, 3
	s_cbranch_scc0 .LBB222_800
; %bb.799:
	s_wait_xcnt 0x0
	v_trunc_f32_e32 v1, v0
	s_mov_b32 s24, 0
	s_delay_alu instid0(VALU_DEP_1) | instskip(NEXT) | instid1(VALU_DEP_1)
	v_mul_f32_e64 v4, 0x2f800000, |v1|
	v_floor_f32_e32 v5, v4
	v_ashrrev_i32_e32 v4, 31, v1
	s_delay_alu instid0(VALU_DEP_2) | instskip(SKIP_1) | instid1(VALU_DEP_3)
	v_fma_f32 v6, 0xcf800000, v5, |v1|
	v_cvt_u32_f32_e32 v1, v5
	v_mov_b32_e32 v5, v4
	s_delay_alu instid0(VALU_DEP_3) | instskip(NEXT) | instid1(VALU_DEP_3)
	v_cvt_u32_f32_e32 v6, v6
	v_xor_b32_e32 v7, v1, v4
	s_delay_alu instid0(VALU_DEP_2) | instskip(NEXT) | instid1(VALU_DEP_1)
	v_xor_b32_e32 v6, v6, v4
	v_sub_nc_u64_e32 v[4:5], v[6:7], v[4:5]
	global_store_b64 v[2:3], v[4:5], off
.LBB222_800:
	s_and_not1_b32 vcc_lo, exec_lo, s24
	s_cbranch_vccnz .LBB222_802
; %bb.801:
	s_wait_xcnt 0x0
	v_cvt_i32_f32_e32 v1, v0
	global_store_b32 v[2:3], v1, off
.LBB222_802:
	s_mov_b32 s24, 0
.LBB222_803:
	s_delay_alu instid0(SALU_CYCLE_1)
	s_and_not1_b32 vcc_lo, exec_lo, s24
	s_cbranch_vccnz .LBB222_805
; %bb.804:
	s_wait_xcnt 0x0
	v_cvt_i32_f32_e32 v1, v0
	global_store_b16 v[2:3], v1, off
.LBB222_805:
	s_mov_b32 s24, 0
.LBB222_806:
	s_delay_alu instid0(SALU_CYCLE_1)
	s_and_not1_b32 vcc_lo, exec_lo, s24
	s_cbranch_vccnz .LBB222_811
; %bb.807:
	s_cmp_gt_i32 s23, 0
	s_mov_b32 s23, -1
	s_cbranch_scc0 .LBB222_809
; %bb.808:
	s_wait_xcnt 0x0
	v_cvt_i32_f32_e32 v1, v0
	s_mov_b32 s23, 0
	global_store_b8 v[2:3], v1, off
.LBB222_809:
	s_and_not1_b32 vcc_lo, exec_lo, s23
	s_cbranch_vccnz .LBB222_811
; %bb.810:
	s_wait_xcnt 0x0
	v_trunc_f32_e32 v0, v0
	s_delay_alu instid0(VALU_DEP_1) | instskip(NEXT) | instid1(VALU_DEP_1)
	v_mul_f32_e64 v1, 0x2f800000, |v0|
	v_floor_f32_e32 v1, v1
	s_delay_alu instid0(VALU_DEP_1) | instskip(SKIP_1) | instid1(VALU_DEP_2)
	v_fma_f32 v1, 0xcf800000, v1, |v0|
	v_ashrrev_i32_e32 v0, 31, v0
	v_cvt_u32_f32_e32 v1, v1
	s_delay_alu instid0(VALU_DEP_1) | instskip(NEXT) | instid1(VALU_DEP_1)
	v_xor_b32_e32 v1, v1, v0
	v_sub_nc_u32_e32 v0, v1, v0
	global_store_b8 v[2:3], v0, off
.LBB222_811:
	s_mov_b32 s25, -1
.LBB222_812:
	s_delay_alu instid0(SALU_CYCLE_1)
	s_and_not1_b32 vcc_lo, exec_lo, s25
	s_cbranch_vccnz .LBB222_814
; %bb.813:
	v_add_nc_u32_e32 v10, 0x80, v10
	s_mov_b32 s23, -1
	s_branch .LBB222_816
.LBB222_814:
	s_mov_b32 s23, 0
.LBB222_815:
                                        ; implicit-def: $vgpr10
.LBB222_816:
	s_and_not1_b32 s24, s19, exec_lo
	s_and_b32 s0, s0, exec_lo
	s_and_not1_b32 s25, s18, exec_lo
	s_and_b32 s26, s22, exec_lo
	s_or_b32 s22, s24, s0
	s_or_b32 s0, s25, s26
	s_or_not1_b32 s23, s23, exec_lo
.LBB222_817:
	s_wait_xcnt 0x0
	s_or_b32 exec_lo, exec_lo, s21
	s_mov_b32 s24, 0
	s_mov_b32 s25, 0
	s_mov_b32 s26, 0
                                        ; implicit-def: $vgpr2_vgpr3
                                        ; implicit-def: $vgpr0
	s_and_saveexec_b32 s21, s23
	s_cbranch_execz .LBB222_902
; %bb.818:
	v_cmp_gt_i32_e32 vcc_lo, s15, v10
	s_mov_b32 s23, 0
	s_mov_b32 s24, s0
	;; [unrolled: 1-line block ×3, first 2 shown]
                                        ; implicit-def: $vgpr2_vgpr3
                                        ; implicit-def: $vgpr0
	s_and_saveexec_b32 s15, vcc_lo
	s_cbranch_execz .LBB222_901
; %bb.819:
	s_wait_loadcnt 0x0
	v_mul_lo_u32 v0, v10, s9
	s_and_b32 s23, 0xffff, s12
	s_delay_alu instid0(SALU_CYCLE_1) | instskip(NEXT) | instid1(VALU_DEP_1)
	s_cmp_lt_i32 s23, 11
	v_ashrrev_i32_e32 v1, 31, v0
	s_delay_alu instid0(VALU_DEP_1)
	v_add_nc_u64_e32 v[2:3], s[6:7], v[0:1]
	s_cbranch_scc1 .LBB222_826
; %bb.820:
	s_cmp_gt_i32 s23, 25
	s_cbranch_scc0 .LBB222_827
; %bb.821:
	s_cmp_gt_i32 s23, 28
	s_cbranch_scc0 .LBB222_828
	;; [unrolled: 3-line block ×4, first 2 shown]
; %bb.824:
	s_cmp_eq_u32 s23, 46
	s_cbranch_scc0 .LBB222_835
; %bb.825:
	global_load_b32 v0, v[2:3], off
	s_mov_b32 s24, 0
	s_mov_b32 s26, -1
	s_wait_loadcnt 0x0
	v_lshlrev_b32_e32 v0, 16, v0
	s_branch .LBB222_837
.LBB222_826:
	s_mov_b32 s23, -1
	s_mov_b32 s24, s0
                                        ; implicit-def: $vgpr0
	s_branch .LBB222_900
.LBB222_827:
	s_mov_b32 s27, -1
	s_mov_b32 s24, s0
                                        ; implicit-def: $vgpr0
	s_branch .LBB222_866
.LBB222_828:
	s_mov_b32 s27, -1
	s_mov_b32 s24, s0
                                        ; implicit-def: $vgpr0
	s_branch .LBB222_847
.LBB222_829:
	s_mov_b32 s27, -1
	s_mov_b32 s24, s0
                                        ; implicit-def: $vgpr0
	s_branch .LBB222_842
.LBB222_830:
	s_and_not1_saveexec_b32 s27, s27
	s_cbranch_execz .LBB222_725
.LBB222_831:
	v_add_f32_e64 v1, 0x46000000, |v0|
	s_and_not1_b32 s26, s26, exec_lo
	s_delay_alu instid0(VALU_DEP_1) | instskip(NEXT) | instid1(VALU_DEP_1)
	v_and_b32_e32 v1, 0xff, v1
	v_cmp_ne_u32_e32 vcc_lo, 0, v1
	s_and_b32 s28, vcc_lo, exec_lo
	s_delay_alu instid0(SALU_CYCLE_1)
	s_or_b32 s26, s26, s28
	s_or_b32 exec_lo, exec_lo, s27
	v_mov_b32_e32 v4, 0
	s_and_saveexec_b32 s27, s26
	s_cbranch_execnz .LBB222_726
	s_branch .LBB222_727
.LBB222_832:
	s_mov_b32 s27, -1
	s_mov_b32 s24, s0
	s_branch .LBB222_836
.LBB222_833:
	s_and_not1_saveexec_b32 s27, s27
	s_cbranch_execz .LBB222_738
.LBB222_834:
	v_add_f32_e64 v1, 0x42800000, |v0|
	s_and_not1_b32 s26, s26, exec_lo
	s_delay_alu instid0(VALU_DEP_1) | instskip(NEXT) | instid1(VALU_DEP_1)
	v_and_b32_e32 v1, 0xff, v1
	v_cmp_ne_u32_e32 vcc_lo, 0, v1
	s_and_b32 s28, vcc_lo, exec_lo
	s_delay_alu instid0(SALU_CYCLE_1)
	s_or_b32 s26, s26, s28
	s_or_b32 exec_lo, exec_lo, s27
	v_mov_b32_e32 v4, 0
	s_and_saveexec_b32 s27, s26
	s_cbranch_execnz .LBB222_739
	s_branch .LBB222_740
.LBB222_835:
	s_mov_b32 s24, -1
.LBB222_836:
                                        ; implicit-def: $vgpr0
.LBB222_837:
	s_and_b32 vcc_lo, exec_lo, s27
	s_cbranch_vccz .LBB222_841
; %bb.838:
	s_cmp_eq_u32 s23, 44
	s_cbranch_scc0 .LBB222_840
; %bb.839:
	global_load_u8 v0, v[2:3], off
	s_mov_b32 s24, 0
	s_mov_b32 s26, -1
	s_wait_loadcnt 0x0
	v_lshlrev_b32_e32 v1, 23, v0
	v_cmp_ne_u32_e32 vcc_lo, 0xff, v0
	s_delay_alu instid0(VALU_DEP_2) | instskip(SKIP_1) | instid1(VALU_DEP_2)
	v_cndmask_b32_e32 v1, 0x7f800001, v1, vcc_lo
	v_cmp_ne_u32_e32 vcc_lo, 0, v0
	v_cndmask_b32_e32 v0, 0x400000, v1, vcc_lo
	s_branch .LBB222_841
.LBB222_840:
	s_mov_b32 s24, -1
                                        ; implicit-def: $vgpr0
.LBB222_841:
	s_mov_b32 s27, 0
.LBB222_842:
	s_delay_alu instid0(SALU_CYCLE_1)
	s_and_b32 vcc_lo, exec_lo, s27
	s_cbranch_vccz .LBB222_846
; %bb.843:
	s_cmp_eq_u32 s23, 29
	s_cbranch_scc0 .LBB222_845
; %bb.844:
	global_load_b64 v[0:1], v[2:3], off
	s_mov_b32 s24, 0
	s_mov_b32 s26, -1
	s_mov_b32 s27, 0
	s_wait_loadcnt 0x0
	v_clz_i32_u32_e32 v4, v1
	s_delay_alu instid0(VALU_DEP_1) | instskip(NEXT) | instid1(VALU_DEP_1)
	v_min_u32_e32 v4, 32, v4
	v_lshlrev_b64_e32 v[0:1], v4, v[0:1]
	s_delay_alu instid0(VALU_DEP_1) | instskip(NEXT) | instid1(VALU_DEP_1)
	v_min_u32_e32 v0, 1, v0
	v_or_b32_e32 v0, v1, v0
	v_sub_nc_u32_e32 v1, 32, v4
	s_delay_alu instid0(VALU_DEP_2) | instskip(NEXT) | instid1(VALU_DEP_1)
	v_cvt_f32_u32_e32 v0, v0
	v_ldexp_f32 v0, v0, v1
	s_branch .LBB222_847
.LBB222_845:
	s_mov_b32 s24, -1
                                        ; implicit-def: $vgpr0
.LBB222_846:
	s_mov_b32 s27, 0
.LBB222_847:
	s_delay_alu instid0(SALU_CYCLE_1)
	s_and_b32 vcc_lo, exec_lo, s27
	s_cbranch_vccz .LBB222_865
; %bb.848:
	s_cmp_lt_i32 s23, 27
	s_cbranch_scc1 .LBB222_851
; %bb.849:
	s_cmp_gt_i32 s23, 27
	s_cbranch_scc0 .LBB222_852
; %bb.850:
	global_load_b32 v0, v[2:3], off
	s_mov_b32 s26, 0
	s_wait_loadcnt 0x0
	v_cvt_f32_u32_e32 v0, v0
	s_branch .LBB222_853
.LBB222_851:
	s_mov_b32 s26, -1
                                        ; implicit-def: $vgpr0
	s_branch .LBB222_856
.LBB222_852:
	s_mov_b32 s26, -1
                                        ; implicit-def: $vgpr0
.LBB222_853:
	s_delay_alu instid0(SALU_CYCLE_1)
	s_and_not1_b32 vcc_lo, exec_lo, s26
	s_cbranch_vccnz .LBB222_855
; %bb.854:
	global_load_u16 v0, v[2:3], off
	s_wait_loadcnt 0x0
	v_cvt_f32_u32_e32 v0, v0
.LBB222_855:
	s_mov_b32 s26, 0
.LBB222_856:
	s_delay_alu instid0(SALU_CYCLE_1)
	s_and_not1_b32 vcc_lo, exec_lo, s26
	s_cbranch_vccnz .LBB222_864
; %bb.857:
	global_load_u8 v1, v[2:3], off
	s_mov_b32 s26, 0
	s_mov_b32 s27, exec_lo
	s_wait_loadcnt 0x0
	v_cmpx_lt_i16_e32 0x7f, v1
	s_xor_b32 s27, exec_lo, s27
	s_cbranch_execz .LBB222_878
; %bb.858:
	s_mov_b32 s26, -1
	s_mov_b32 s28, exec_lo
	v_cmpx_eq_u16_e32 0x80, v1
; %bb.859:
	s_xor_b32 s26, exec_lo, -1
; %bb.860:
	s_or_b32 exec_lo, exec_lo, s28
	s_delay_alu instid0(SALU_CYCLE_1)
	s_and_b32 s26, s26, exec_lo
	s_or_saveexec_b32 s27, s27
	v_mov_b32_e32 v0, 0x7f800001
	s_xor_b32 exec_lo, exec_lo, s27
	s_cbranch_execnz .LBB222_879
.LBB222_861:
	s_or_b32 exec_lo, exec_lo, s27
	s_and_saveexec_b32 s27, s26
	s_cbranch_execz .LBB222_863
.LBB222_862:
	v_and_b32_e32 v0, 0xffff, v1
	s_delay_alu instid0(VALU_DEP_1) | instskip(SKIP_1) | instid1(VALU_DEP_2)
	v_and_b32_e32 v4, 7, v0
	v_bfe_u32 v7, v0, 3, 4
	v_clz_i32_u32_e32 v5, v4
	s_delay_alu instid0(VALU_DEP_2) | instskip(NEXT) | instid1(VALU_DEP_2)
	v_cmp_eq_u32_e32 vcc_lo, 0, v7
	v_min_u32_e32 v5, 32, v5
	s_delay_alu instid0(VALU_DEP_1) | instskip(NEXT) | instid1(VALU_DEP_1)
	v_subrev_nc_u32_e32 v6, 28, v5
	v_dual_lshlrev_b32 v0, v6, v0 :: v_dual_sub_nc_u32 v5, 29, v5
	s_delay_alu instid0(VALU_DEP_1) | instskip(NEXT) | instid1(VALU_DEP_1)
	v_dual_lshlrev_b32 v1, 24, v1 :: v_dual_bitop2_b32 v0, 7, v0 bitop3:0x40
	v_dual_cndmask_b32 v0, v4, v0 :: v_dual_cndmask_b32 v5, v7, v5
	s_delay_alu instid0(VALU_DEP_2) | instskip(NEXT) | instid1(VALU_DEP_2)
	v_and_b32_e32 v1, 0x80000000, v1
	v_lshlrev_b32_e32 v0, 20, v0
	s_delay_alu instid0(VALU_DEP_3) | instskip(NEXT) | instid1(VALU_DEP_1)
	v_lshl_add_u32 v4, v5, 23, 0x3b800000
	v_or3_b32 v0, v1, v4, v0
.LBB222_863:
	s_or_b32 exec_lo, exec_lo, s27
.LBB222_864:
	s_mov_b32 s26, -1
.LBB222_865:
	s_mov_b32 s27, 0
.LBB222_866:
	s_delay_alu instid0(SALU_CYCLE_1)
	s_and_b32 vcc_lo, exec_lo, s27
	s_cbranch_vccz .LBB222_899
; %bb.867:
	s_cmp_gt_i32 s23, 22
	s_cbranch_scc0 .LBB222_877
; %bb.868:
	s_cmp_lt_i32 s23, 24
	s_cbranch_scc1 .LBB222_880
; %bb.869:
	s_cmp_gt_i32 s23, 24
	s_cbranch_scc0 .LBB222_881
; %bb.870:
	global_load_u8 v1, v[2:3], off
	s_mov_b32 s26, exec_lo
	s_wait_loadcnt 0x0
	v_cmpx_lt_i16_e32 0x7f, v1
	s_xor_b32 s26, exec_lo, s26
	s_cbranch_execz .LBB222_893
; %bb.871:
	s_mov_b32 s25, -1
	s_mov_b32 s27, exec_lo
	v_cmpx_eq_u16_e32 0x80, v1
; %bb.872:
	s_xor_b32 s25, exec_lo, -1
; %bb.873:
	s_or_b32 exec_lo, exec_lo, s27
	s_delay_alu instid0(SALU_CYCLE_1)
	s_and_b32 s25, s25, exec_lo
	s_or_saveexec_b32 s26, s26
	v_mov_b32_e32 v0, 0x7f800001
	s_xor_b32 exec_lo, exec_lo, s26
	s_cbranch_execnz .LBB222_894
.LBB222_874:
	s_or_b32 exec_lo, exec_lo, s26
	s_and_saveexec_b32 s26, s25
	s_cbranch_execz .LBB222_876
.LBB222_875:
	v_and_b32_e32 v0, 0xffff, v1
	s_delay_alu instid0(VALU_DEP_1) | instskip(SKIP_1) | instid1(VALU_DEP_2)
	v_and_b32_e32 v4, 3, v0
	v_bfe_u32 v7, v0, 2, 5
	v_clz_i32_u32_e32 v5, v4
	s_delay_alu instid0(VALU_DEP_2) | instskip(NEXT) | instid1(VALU_DEP_2)
	v_cmp_eq_u32_e32 vcc_lo, 0, v7
	v_min_u32_e32 v5, 32, v5
	s_delay_alu instid0(VALU_DEP_1) | instskip(NEXT) | instid1(VALU_DEP_1)
	v_subrev_nc_u32_e32 v6, 29, v5
	v_dual_lshlrev_b32 v0, v6, v0 :: v_dual_sub_nc_u32 v5, 30, v5
	s_delay_alu instid0(VALU_DEP_1) | instskip(NEXT) | instid1(VALU_DEP_1)
	v_dual_lshlrev_b32 v1, 24, v1 :: v_dual_bitop2_b32 v0, 3, v0 bitop3:0x40
	v_dual_cndmask_b32 v0, v4, v0 :: v_dual_cndmask_b32 v5, v7, v5
	s_delay_alu instid0(VALU_DEP_2) | instskip(NEXT) | instid1(VALU_DEP_2)
	v_and_b32_e32 v1, 0x80000000, v1
	v_lshlrev_b32_e32 v0, 21, v0
	s_delay_alu instid0(VALU_DEP_3) | instskip(NEXT) | instid1(VALU_DEP_1)
	v_lshl_add_u32 v4, v5, 23, 0x37800000
	v_or3_b32 v0, v1, v4, v0
.LBB222_876:
	s_or_b32 exec_lo, exec_lo, s26
	s_mov_b32 s25, 0
	s_branch .LBB222_882
.LBB222_877:
	s_mov_b32 s25, -1
                                        ; implicit-def: $vgpr0
	s_branch .LBB222_888
.LBB222_878:
	s_or_saveexec_b32 s27, s27
	v_mov_b32_e32 v0, 0x7f800001
	s_xor_b32 exec_lo, exec_lo, s27
	s_cbranch_execz .LBB222_861
.LBB222_879:
	v_cmp_ne_u16_e32 vcc_lo, 0, v1
	v_mov_b32_e32 v0, 0
	s_and_not1_b32 s26, s26, exec_lo
	s_and_b32 s28, vcc_lo, exec_lo
	s_delay_alu instid0(SALU_CYCLE_1)
	s_or_b32 s26, s26, s28
	s_or_b32 exec_lo, exec_lo, s27
	s_and_saveexec_b32 s27, s26
	s_cbranch_execnz .LBB222_862
	s_branch .LBB222_863
.LBB222_880:
	s_mov_b32 s25, -1
                                        ; implicit-def: $vgpr0
	s_branch .LBB222_885
.LBB222_881:
	s_mov_b32 s25, -1
                                        ; implicit-def: $vgpr0
.LBB222_882:
	s_delay_alu instid0(SALU_CYCLE_1)
	s_and_b32 vcc_lo, exec_lo, s25
	s_cbranch_vccz .LBB222_884
; %bb.883:
	global_load_u8 v0, v[2:3], off
	s_wait_loadcnt 0x0
	v_lshlrev_b32_e32 v0, 24, v0
	s_delay_alu instid0(VALU_DEP_1) | instskip(NEXT) | instid1(VALU_DEP_1)
	v_and_b32_e32 v1, 0x7f000000, v0
	v_clz_i32_u32_e32 v4, v1
	v_cmp_ne_u32_e32 vcc_lo, 0, v1
	v_add_nc_u32_e32 v6, 0x1000000, v1
	s_delay_alu instid0(VALU_DEP_3) | instskip(NEXT) | instid1(VALU_DEP_1)
	v_min_u32_e32 v4, 32, v4
	v_sub_nc_u32_e64 v4, v4, 4 clamp
	s_delay_alu instid0(VALU_DEP_1) | instskip(NEXT) | instid1(VALU_DEP_1)
	v_dual_lshlrev_b32 v5, v4, v1 :: v_dual_lshlrev_b32 v4, 23, v4
	v_lshrrev_b32_e32 v5, 4, v5
	s_delay_alu instid0(VALU_DEP_1) | instskip(NEXT) | instid1(VALU_DEP_1)
	v_dual_sub_nc_u32 v4, v5, v4 :: v_dual_ashrrev_i32 v5, 8, v6
	v_add_nc_u32_e32 v4, 0x3c000000, v4
	s_delay_alu instid0(VALU_DEP_1) | instskip(NEXT) | instid1(VALU_DEP_1)
	v_and_or_b32 v4, 0x7f800000, v5, v4
	v_cndmask_b32_e32 v1, 0, v4, vcc_lo
	s_delay_alu instid0(VALU_DEP_1)
	v_and_or_b32 v0, 0x80000000, v0, v1
.LBB222_884:
	s_mov_b32 s25, 0
.LBB222_885:
	s_delay_alu instid0(SALU_CYCLE_1)
	s_and_not1_b32 vcc_lo, exec_lo, s25
	s_cbranch_vccnz .LBB222_887
; %bb.886:
	global_load_u8 v0, v[2:3], off
	s_wait_loadcnt 0x0
	v_lshlrev_b32_e32 v1, 25, v0
	v_lshlrev_b16 v0, 8, v0
	s_delay_alu instid0(VALU_DEP_1) | instskip(SKIP_1) | instid1(VALU_DEP_2)
	v_and_or_b32 v5, 0x7f00, v0, 0.5
	v_bfe_i32 v0, v0, 0, 16
	v_add_f32_e32 v5, -0.5, v5
	v_lshrrev_b32_e32 v4, 4, v1
	v_cmp_gt_u32_e32 vcc_lo, 0x8000000, v1
	s_delay_alu instid0(VALU_DEP_2) | instskip(NEXT) | instid1(VALU_DEP_1)
	v_or_b32_e32 v4, 0x70000000, v4
	v_mul_f32_e32 v4, 0x7800000, v4
	s_delay_alu instid0(VALU_DEP_1) | instskip(NEXT) | instid1(VALU_DEP_1)
	v_cndmask_b32_e32 v1, v4, v5, vcc_lo
	v_and_or_b32 v0, 0x80000000, v0, v1
.LBB222_887:
	s_mov_b32 s25, 0
	s_mov_b32 s26, -1
.LBB222_888:
	s_and_not1_b32 vcc_lo, exec_lo, s25
	s_mov_b32 s25, 0
	s_cbranch_vccnz .LBB222_899
; %bb.889:
	s_cmp_gt_i32 s23, 14
	s_cbranch_scc0 .LBB222_892
; %bb.890:
	s_cmp_eq_u32 s23, 15
	s_cbranch_scc0 .LBB222_895
; %bb.891:
	global_load_u16 v0, v[2:3], off
	s_mov_b32 s24, 0
	s_mov_b32 s26, -1
	s_wait_loadcnt 0x0
	v_lshlrev_b32_e32 v0, 16, v0
	s_branch .LBB222_897
.LBB222_892:
	s_mov_b32 s25, -1
	s_branch .LBB222_896
.LBB222_893:
	s_or_saveexec_b32 s26, s26
	v_mov_b32_e32 v0, 0x7f800001
	s_xor_b32 exec_lo, exec_lo, s26
	s_cbranch_execz .LBB222_874
.LBB222_894:
	v_cmp_ne_u16_e32 vcc_lo, 0, v1
	v_mov_b32_e32 v0, 0
	s_and_not1_b32 s25, s25, exec_lo
	s_and_b32 s27, vcc_lo, exec_lo
	s_delay_alu instid0(SALU_CYCLE_1)
	s_or_b32 s25, s25, s27
	s_or_b32 exec_lo, exec_lo, s26
	s_and_saveexec_b32 s26, s25
	s_cbranch_execnz .LBB222_875
	s_branch .LBB222_876
.LBB222_895:
	s_mov_b32 s24, -1
.LBB222_896:
                                        ; implicit-def: $vgpr0
.LBB222_897:
	s_and_b32 vcc_lo, exec_lo, s25
	s_mov_b32 s25, 0
	s_cbranch_vccz .LBB222_899
; %bb.898:
	s_cmp_lg_u32 s23, 11
	s_mov_b32 s25, -1
	s_cselect_b32 s23, -1, 0
	s_and_not1_b32 s24, s24, exec_lo
	s_and_b32 s23, s23, exec_lo
	s_delay_alu instid0(SALU_CYCLE_1)
	s_or_b32 s24, s24, s23
.LBB222_899:
	s_mov_b32 s23, 0
.LBB222_900:
	s_and_not1_b32 s28, s0, exec_lo
	s_and_b32 s24, s24, exec_lo
	s_and_b32 s26, s26, exec_lo
	;; [unrolled: 1-line block ×4, first 2 shown]
	s_or_b32 s24, s28, s24
.LBB222_901:
	s_wait_xcnt 0x0
	s_or_b32 exec_lo, exec_lo, s15
	s_delay_alu instid0(SALU_CYCLE_1)
	s_and_not1_b32 s0, s0, exec_lo
	s_and_b32 s15, s24, exec_lo
	s_and_b32 s26, s26, exec_lo
	;; [unrolled: 1-line block ×4, first 2 shown]
	s_or_b32 s0, s0, s15
.LBB222_902:
	s_or_b32 exec_lo, exec_lo, s21
	s_delay_alu instid0(SALU_CYCLE_1)
	s_and_not1_b32 s15, s19, exec_lo
	s_and_b32 s19, s22, exec_lo
	s_and_b32 s0, s0, exec_lo
	s_or_b32 s19, s15, s19
	s_and_not1_b32 s15, s18, exec_lo
	s_and_b32 s23, s26, exec_lo
	s_and_b32 s22, s25, exec_lo
	;; [unrolled: 1-line block ×3, first 2 shown]
	s_or_b32 s18, s15, s0
.LBB222_903:
	s_or_b32 exec_lo, exec_lo, s20
	s_delay_alu instid0(SALU_CYCLE_1)
	s_and_not1_b32 s0, s14, exec_lo
	s_and_b32 s14, s19, exec_lo
	s_and_not1_b32 s15, s16, exec_lo
	s_and_b32 s16, s18, exec_lo
	s_or_b32 s14, s0, s14
	s_and_b32 s0, s23, exec_lo
	s_and_b32 s19, s22, exec_lo
	;; [unrolled: 1-line block ×3, first 2 shown]
	s_or_b32 s16, s15, s16
	s_or_b32 exec_lo, exec_lo, s17
	s_mov_b32 s15, 0
	s_and_saveexec_b32 s17, s16
	s_cbranch_execz .LBB222_275
.LBB222_904:
	s_mov_b32 s15, exec_lo
	s_and_not1_b32 s18, s18, exec_lo
	s_trap 2
	s_or_b32 exec_lo, exec_lo, s17
	s_and_saveexec_b32 s16, s18
	s_delay_alu instid0(SALU_CYCLE_1)
	s_xor_b32 s16, exec_lo, s16
	s_cbranch_execnz .LBB222_276
.LBB222_905:
	s_or_b32 exec_lo, exec_lo, s16
	s_and_saveexec_b32 s16, s19
	s_cbranch_execz .LBB222_951
.LBB222_906:
	s_sext_i32_i16 s17, s12
	s_delay_alu instid0(SALU_CYCLE_1)
	s_cmp_lt_i32 s17, 5
	s_cbranch_scc1 .LBB222_911
; %bb.907:
	s_cmp_lt_i32 s17, 8
	s_cbranch_scc1 .LBB222_912
; %bb.908:
	;; [unrolled: 3-line block ×3, first 2 shown]
	s_cmp_gt_i32 s17, 9
	s_cbranch_scc0 .LBB222_914
; %bb.910:
	s_wait_loadcnt 0x0
	global_load_b64 v[0:1], v[2:3], off
	s_mov_b32 s17, 0
	s_wait_loadcnt 0x0
	v_cvt_f32_f64_e32 v0, v[0:1]
	s_branch .LBB222_915
.LBB222_911:
                                        ; implicit-def: $vgpr0
	s_branch .LBB222_932
.LBB222_912:
                                        ; implicit-def: $vgpr0
	s_branch .LBB222_921
.LBB222_913:
	s_mov_b32 s17, -1
                                        ; implicit-def: $vgpr0
	s_branch .LBB222_918
.LBB222_914:
	s_mov_b32 s17, -1
                                        ; implicit-def: $vgpr0
.LBB222_915:
	s_delay_alu instid0(SALU_CYCLE_1)
	s_and_not1_b32 vcc_lo, exec_lo, s17
	s_cbranch_vccnz .LBB222_917
; %bb.916:
	s_wait_loadcnt 0x0
	global_load_b32 v0, v[2:3], off
.LBB222_917:
	s_mov_b32 s17, 0
.LBB222_918:
	s_delay_alu instid0(SALU_CYCLE_1)
	s_and_not1_b32 vcc_lo, exec_lo, s17
	s_cbranch_vccnz .LBB222_920
; %bb.919:
	s_wait_loadcnt 0x0
	global_load_b32 v0, v[2:3], off
	s_wait_loadcnt 0x0
	v_cvt_f32_f16_e32 v0, v0
.LBB222_920:
	s_cbranch_execnz .LBB222_931
.LBB222_921:
	s_sext_i32_i16 s17, s12
	s_delay_alu instid0(SALU_CYCLE_1)
	s_cmp_lt_i32 s17, 6
	s_cbranch_scc1 .LBB222_924
; %bb.922:
	s_cmp_gt_i32 s17, 6
	s_cbranch_scc0 .LBB222_925
; %bb.923:
	s_wait_loadcnt 0x0
	global_load_b64 v[0:1], v[2:3], off
	s_mov_b32 s17, 0
	s_wait_loadcnt 0x0
	v_cvt_f32_f64_e32 v0, v[0:1]
	s_branch .LBB222_926
.LBB222_924:
	s_mov_b32 s17, -1
                                        ; implicit-def: $vgpr0
	s_branch .LBB222_929
.LBB222_925:
	s_mov_b32 s17, -1
                                        ; implicit-def: $vgpr0
.LBB222_926:
	s_delay_alu instid0(SALU_CYCLE_1)
	s_and_not1_b32 vcc_lo, exec_lo, s17
	s_cbranch_vccnz .LBB222_928
; %bb.927:
	s_wait_loadcnt 0x0
	global_load_b32 v0, v[2:3], off
.LBB222_928:
	s_mov_b32 s17, 0
.LBB222_929:
	s_delay_alu instid0(SALU_CYCLE_1)
	s_and_not1_b32 vcc_lo, exec_lo, s17
	s_cbranch_vccnz .LBB222_931
; %bb.930:
	s_wait_loadcnt 0x0
	global_load_u16 v0, v[2:3], off
	s_wait_loadcnt 0x0
	v_cvt_f32_f16_e32 v0, v0
.LBB222_931:
	s_cbranch_execnz .LBB222_950
.LBB222_932:
	s_sext_i32_i16 s17, s12
	s_delay_alu instid0(SALU_CYCLE_1)
	s_cmp_lt_i32 s17, 2
	s_cbranch_scc1 .LBB222_936
; %bb.933:
	s_cmp_lt_i32 s17, 3
	s_cbranch_scc1 .LBB222_937
; %bb.934:
	s_cmp_gt_i32 s17, 3
	s_cbranch_scc0 .LBB222_938
; %bb.935:
	s_wait_loadcnt 0x0
	global_load_b64 v[0:1], v[2:3], off
	s_mov_b32 s17, 0
	s_wait_loadcnt 0x0
	v_xor_b32_e32 v4, v0, v1
	v_cls_i32_e32 v5, v1
	s_delay_alu instid0(VALU_DEP_2) | instskip(NEXT) | instid1(VALU_DEP_1)
	v_ashrrev_i32_e32 v4, 31, v4
	v_add_nc_u32_e32 v4, 32, v4
	s_delay_alu instid0(VALU_DEP_1) | instskip(NEXT) | instid1(VALU_DEP_1)
	v_add_min_u32_e64 v4, v5, -1, v4
	v_lshlrev_b64_e32 v[0:1], v4, v[0:1]
	s_delay_alu instid0(VALU_DEP_1) | instskip(NEXT) | instid1(VALU_DEP_1)
	v_min_u32_e32 v0, 1, v0
	v_or_b32_e32 v0, v1, v0
	v_sub_nc_u32_e32 v1, 32, v4
	s_delay_alu instid0(VALU_DEP_2) | instskip(NEXT) | instid1(VALU_DEP_1)
	v_cvt_f32_i32_e32 v0, v0
	v_ldexp_f32 v0, v0, v1
	s_branch .LBB222_939
.LBB222_936:
                                        ; implicit-def: $vgpr0
	s_branch .LBB222_945
.LBB222_937:
	s_mov_b32 s17, -1
                                        ; implicit-def: $vgpr0
	s_branch .LBB222_942
.LBB222_938:
	s_mov_b32 s17, -1
                                        ; implicit-def: $vgpr0
.LBB222_939:
	s_delay_alu instid0(SALU_CYCLE_1)
	s_and_not1_b32 vcc_lo, exec_lo, s17
	s_cbranch_vccnz .LBB222_941
; %bb.940:
	s_wait_loadcnt 0x0
	global_load_b32 v0, v[2:3], off
	s_wait_loadcnt 0x0
	v_cvt_f32_i32_e32 v0, v0
.LBB222_941:
	s_mov_b32 s17, 0
.LBB222_942:
	s_delay_alu instid0(SALU_CYCLE_1)
	s_and_not1_b32 vcc_lo, exec_lo, s17
	s_cbranch_vccnz .LBB222_944
; %bb.943:
	s_wait_loadcnt 0x0
	global_load_i16 v0, v[2:3], off
	s_wait_loadcnt 0x0
	v_cvt_f32_i32_e32 v0, v0
.LBB222_944:
	s_cbranch_execnz .LBB222_950
.LBB222_945:
	s_sext_i32_i16 s17, s12
	s_delay_alu instid0(SALU_CYCLE_1)
	s_cmp_gt_i32 s17, 0
	s_mov_b32 s17, 0
	s_cbranch_scc0 .LBB222_947
; %bb.946:
	s_wait_loadcnt 0x0
	global_load_i8 v0, v[2:3], off
	s_wait_loadcnt 0x0
	v_cvt_f32_i32_e32 v0, v0
	s_branch .LBB222_948
.LBB222_947:
	s_mov_b32 s17, -1
                                        ; implicit-def: $vgpr0
.LBB222_948:
	s_delay_alu instid0(SALU_CYCLE_1)
	s_and_not1_b32 vcc_lo, exec_lo, s17
	s_cbranch_vccnz .LBB222_950
; %bb.949:
	s_wait_loadcnt 0x0
	global_load_u8 v0, v[2:3], off
	s_wait_loadcnt 0x0
	v_cvt_f32_ubyte0_e32 v0, v0
.LBB222_950:
	s_or_b32 s0, s0, exec_lo
.LBB222_951:
	s_wait_xcnt 0x0
	s_or_b32 exec_lo, exec_lo, s16
	s_mov_b32 s19, 0
	s_mov_b32 s18, 0
                                        ; implicit-def: $sgpr16
                                        ; implicit-def: $vgpr2_vgpr3
	s_and_saveexec_b32 s17, s0
	s_cbranch_execz .LBB222_958
; %bb.952:
	s_mov_b32 s0, exec_lo
	s_wait_loadcnt 0x0
	s_delay_alu instid0(VALU_DEP_1)
	v_cmpx_o_f32_e32 v0, v0
	s_cbranch_execz .LBB222_967
; %bb.953:
	s_cmp_lt_i32 s10, 1
	s_mov_b32 s16, 0
	s_cbranch_scc1 .LBB222_961
; %bb.954:
	s_cmp_eq_u32 s10, 1
	s_cbranch_scc0 .LBB222_962
; %bb.955:
	v_max_num_f32_e64 v1, s11, s11
	v_max_num_f32_e32 v2, v0, v0
	s_delay_alu instid0(VALU_DEP_1)
	v_min_num_f32_e32 v1, v2, v1
	s_and_b32 vcc_lo, exec_lo, s19
	s_cbranch_vccnz .LBB222_963
.LBB222_956:
	v_max_num_f32_e32 v0, v0, v0
	s_and_not1_b32 vcc_lo, exec_lo, s18
	s_cbranch_vccnz .LBB222_964
.LBB222_957:
	v_max_num_f32_e64 v1, s11, s11
	v_max_num_f32_e64 v2, s2, s2
	s_delay_alu instid0(VALU_DEP_1)
	v_maxmin_num_f32 v1, v0, v1, v2
	s_cbranch_execz .LBB222_965
	s_branch .LBB222_966
.LBB222_958:
	s_or_b32 exec_lo, exec_lo, s17
	s_and_saveexec_b32 s0, s14
	s_cbranch_execnz .LBB222_1044
.LBB222_959:
	s_or_b32 exec_lo, exec_lo, s0
	s_and_saveexec_b32 s0, s19
	s_delay_alu instid0(SALU_CYCLE_1)
	s_xor_b32 s0, exec_lo, s0
	s_cbranch_execz .LBB222_1045
.LBB222_960:
	s_wait_loadcnt 0x0
	s_delay_alu instid0(VALU_DEP_1)
	v_cmp_neq_f32_e32 vcc_lo, 0, v0
	v_cndmask_b32_e64 v1, 0, 1, vcc_lo
	global_store_b8 v[2:3], v1, off
	s_wait_xcnt 0x0
	s_or_b32 exec_lo, exec_lo, s0
	s_and_saveexec_b32 s0, s18
	s_delay_alu instid0(SALU_CYCLE_1)
	s_xor_b32 s0, exec_lo, s0
	s_cbranch_execz .LBB222_1083
	s_branch .LBB222_1046
.LBB222_961:
                                        ; implicit-def: $vgpr1
	s_cbranch_execnz .LBB222_963
	s_branch .LBB222_956
.LBB222_962:
	s_mov_b32 s18, -1
                                        ; implicit-def: $vgpr1
	s_and_b32 vcc_lo, exec_lo, s19
	s_cbranch_vccz .LBB222_956
.LBB222_963:
	s_cmp_lg_u32 s10, 0
	s_mov_b32 s16, -1
	s_cselect_b32 s18, -1, 0
	v_max_num_f32_e32 v0, v0, v0
	s_and_not1_b32 vcc_lo, exec_lo, s18
	s_cbranch_vccz .LBB222_957
.LBB222_964:
	s_and_not1_b32 vcc_lo, exec_lo, s16
	s_cbranch_vccnz .LBB222_966
.LBB222_965:
	v_max_num_f32_e64 v1, s11, s11
	s_delay_alu instid0(VALU_DEP_1)
	v_max_num_f32_e32 v1, v0, v1
.LBB222_966:
	s_delay_alu instid0(VALU_DEP_1)
	v_mov_b32_e32 v0, v1
.LBB222_967:
	s_or_b32 exec_lo, exec_lo, s0
	v_mul_lo_u32 v2, v10, s8
	s_and_b32 s16, s3, 0xff
	s_delay_alu instid0(SALU_CYCLE_1) | instskip(NEXT) | instid1(VALU_DEP_1)
	s_cmp_lt_i32 s16, 11
	v_ashrrev_i32_e32 v3, 31, v2
	s_delay_alu instid0(VALU_DEP_1)
	v_add_nc_u64_e32 v[2:3], s[4:5], v[2:3]
	s_cbranch_scc1 .LBB222_974
; %bb.968:
	s_and_b32 s18, 0xffff, s16
	s_mov_b32 s19, -1
	s_cmp_gt_i32 s18, 25
	s_mov_b32 s0, s14
	s_cbranch_scc0 .LBB222_1002
; %bb.969:
	s_cmp_gt_i32 s18, 28
	s_mov_b32 s0, s14
	s_cbranch_scc0 .LBB222_986
; %bb.970:
	;; [unrolled: 4-line block ×4, first 2 shown]
	s_cmp_eq_u32 s18, 46
	s_mov_b32 s0, -1
	s_cbranch_scc0 .LBB222_975
; %bb.973:
	v_bfe_u32 v1, v0, 16, 1
	v_cmp_o_f32_e32 vcc_lo, v0, v0
	s_mov_b32 s0, 0
	s_mov_b32 s19, 0
	s_delay_alu instid0(VALU_DEP_2) | instskip(NEXT) | instid1(VALU_DEP_1)
	v_add3_u32 v1, v0, v1, 0x7fff
	v_lshrrev_b32_e32 v1, 16, v1
	s_delay_alu instid0(VALU_DEP_1)
	v_cndmask_b32_e32 v1, 0x7fc0, v1, vcc_lo
	global_store_b32 v[2:3], v1, off
	s_branch .LBB222_976
.LBB222_974:
	s_mov_b32 s20, 0
	s_mov_b32 s19, -1
	s_mov_b32 s0, s14
	s_branch .LBB222_1043
.LBB222_975:
	s_mov_b32 s19, 0
.LBB222_976:
	s_delay_alu instid0(SALU_CYCLE_1)
	s_and_b32 vcc_lo, exec_lo, s19
	s_cbranch_vccz .LBB222_981
; %bb.977:
	s_cmp_eq_u32 s18, 44
	s_mov_b32 s0, -1
	s_cbranch_scc0 .LBB222_981
; %bb.978:
	v_bfe_u32 v4, v0, 23, 8
	s_wait_xcnt 0x0
	v_mov_b32_e32 v1, 0xff
	s_mov_b32 s19, exec_lo
	s_delay_alu instid0(VALU_DEP_2)
	v_cmpx_ne_u32_e32 0xff, v4
	s_cbranch_execz .LBB222_980
; %bb.979:
	v_and_b32_e32 v1, 0x400000, v0
	v_and_or_b32 v4, 0x3fffff, v0, v4
	s_delay_alu instid0(VALU_DEP_2) | instskip(NEXT) | instid1(VALU_DEP_2)
	v_cmp_ne_u32_e32 vcc_lo, 0, v1
	v_cmp_ne_u32_e64 s0, 0, v4
	v_lshrrev_b32_e32 v1, 23, v0
	s_and_b32 s0, vcc_lo, s0
	s_delay_alu instid0(SALU_CYCLE_1) | instskip(NEXT) | instid1(VALU_DEP_1)
	v_cndmask_b32_e64 v4, 0, 1, s0
	v_add_nc_u32_e32 v1, v1, v4
.LBB222_980:
	s_or_b32 exec_lo, exec_lo, s19
	s_mov_b32 s0, 0
	global_store_b8 v[2:3], v1, off
.LBB222_981:
	s_mov_b32 s19, 0
.LBB222_982:
	s_delay_alu instid0(SALU_CYCLE_1)
	s_and_b32 vcc_lo, exec_lo, s19
	s_cbranch_vccz .LBB222_985
; %bb.983:
	s_cmp_eq_u32 s18, 29
	s_mov_b32 s0, -1
	s_cbranch_scc0 .LBB222_985
; %bb.984:
	s_wait_xcnt 0x0
	v_trunc_f32_e32 v1, v0
	s_mov_b32 s0, 0
	s_mov_b32 s19, 0
	s_delay_alu instid0(VALU_DEP_1) | instskip(NEXT) | instid1(VALU_DEP_1)
	v_mul_f32_e32 v4, 0x2f800000, v1
	v_floor_f32_e32 v4, v4
	s_delay_alu instid0(VALU_DEP_1) | instskip(SKIP_1) | instid1(VALU_DEP_2)
	v_fmamk_f32 v1, v4, 0xcf800000, v1
	v_cvt_u32_f32_e32 v5, v4
	v_cvt_u32_f32_e32 v4, v1
	global_store_b64 v[2:3], v[4:5], off
	s_branch .LBB222_986
.LBB222_985:
	s_mov_b32 s19, 0
.LBB222_986:
	s_delay_alu instid0(SALU_CYCLE_1)
	s_and_b32 vcc_lo, exec_lo, s19
	s_cbranch_vccz .LBB222_1001
; %bb.987:
	s_cmp_lt_i32 s18, 27
	s_mov_b32 s19, -1
	s_cbranch_scc1 .LBB222_993
; %bb.988:
	s_wait_xcnt 0x0
	v_cvt_u32_f32_e32 v1, v0
	s_cmp_gt_i32 s18, 27
	s_cbranch_scc0 .LBB222_990
; %bb.989:
	s_mov_b32 s19, 0
	global_store_b32 v[2:3], v1, off
.LBB222_990:
	s_and_not1_b32 vcc_lo, exec_lo, s19
	s_cbranch_vccnz .LBB222_992
; %bb.991:
	global_store_b16 v[2:3], v1, off
.LBB222_992:
	s_mov_b32 s19, 0
.LBB222_993:
	s_delay_alu instid0(SALU_CYCLE_1)
	s_and_not1_b32 vcc_lo, exec_lo, s19
	s_cbranch_vccnz .LBB222_1001
; %bb.994:
	s_wait_xcnt 0x0
	v_and_b32_e32 v1, 0x7fffffff, v0
	v_mov_b32_e32 v4, 0x80
	s_mov_b32 s19, exec_lo
	s_delay_alu instid0(VALU_DEP_2)
	v_cmpx_gt_u32_e32 0x43800000, v1
	s_cbranch_execz .LBB222_1000
; %bb.995:
	v_cmp_lt_u32_e32 vcc_lo, 0x3bffffff, v1
	s_mov_b32 s20, 0
                                        ; implicit-def: $vgpr1
	s_and_saveexec_b32 s21, vcc_lo
	s_delay_alu instid0(SALU_CYCLE_1)
	s_xor_b32 s21, exec_lo, s21
	s_cbranch_execz .LBB222_1098
; %bb.996:
	v_bfe_u32 v1, v0, 20, 1
	s_mov_b32 s20, exec_lo
	s_delay_alu instid0(VALU_DEP_1) | instskip(NEXT) | instid1(VALU_DEP_1)
	v_add3_u32 v1, v0, v1, 0x487ffff
	v_lshrrev_b32_e32 v1, 20, v1
	s_and_not1_saveexec_b32 s21, s21
	s_cbranch_execnz .LBB222_1099
.LBB222_997:
	s_or_b32 exec_lo, exec_lo, s21
	v_mov_b32_e32 v4, 0
	s_and_saveexec_b32 s21, s20
.LBB222_998:
	v_lshrrev_b32_e32 v4, 24, v0
	s_delay_alu instid0(VALU_DEP_1)
	v_and_or_b32 v4, 0x80, v4, v1
.LBB222_999:
	s_or_b32 exec_lo, exec_lo, s21
.LBB222_1000:
	s_delay_alu instid0(SALU_CYCLE_1)
	s_or_b32 exec_lo, exec_lo, s19
	global_store_b8 v[2:3], v4, off
.LBB222_1001:
	s_mov_b32 s19, 0
.LBB222_1002:
	s_delay_alu instid0(SALU_CYCLE_1)
	s_and_b32 vcc_lo, exec_lo, s19
	s_mov_b32 s19, 0
	s_cbranch_vccz .LBB222_1042
; %bb.1003:
	s_cmp_gt_i32 s18, 22
	s_mov_b32 s20, -1
	s_cbranch_scc0 .LBB222_1035
; %bb.1004:
	s_cmp_lt_i32 s18, 24
	s_cbranch_scc1 .LBB222_1024
; %bb.1005:
	s_cmp_gt_i32 s18, 24
	s_cbranch_scc0 .LBB222_1013
; %bb.1006:
	s_wait_xcnt 0x0
	v_and_b32_e32 v1, 0x7fffffff, v0
	v_mov_b32_e32 v4, 0x80
	s_mov_b32 s20, exec_lo
	s_delay_alu instid0(VALU_DEP_2)
	v_cmpx_gt_u32_e32 0x47800000, v1
	s_cbranch_execz .LBB222_1012
; %bb.1007:
	v_cmp_lt_u32_e32 vcc_lo, 0x37ffffff, v1
	s_mov_b32 s21, 0
                                        ; implicit-def: $vgpr1
	s_and_saveexec_b32 s22, vcc_lo
	s_delay_alu instid0(SALU_CYCLE_1)
	s_xor_b32 s22, exec_lo, s22
	s_cbranch_execz .LBB222_1237
; %bb.1008:
	v_bfe_u32 v1, v0, 21, 1
	s_mov_b32 s21, exec_lo
	s_delay_alu instid0(VALU_DEP_1) | instskip(NEXT) | instid1(VALU_DEP_1)
	v_add3_u32 v1, v0, v1, 0x88fffff
	v_lshrrev_b32_e32 v1, 21, v1
	s_and_not1_saveexec_b32 s22, s22
	s_cbranch_execnz .LBB222_1238
.LBB222_1009:
	s_or_b32 exec_lo, exec_lo, s22
	v_mov_b32_e32 v4, 0
	s_and_saveexec_b32 s22, s21
.LBB222_1010:
	v_lshrrev_b32_e32 v4, 24, v0
	s_delay_alu instid0(VALU_DEP_1)
	v_and_or_b32 v4, 0x80, v4, v1
.LBB222_1011:
	s_or_b32 exec_lo, exec_lo, s22
.LBB222_1012:
	s_delay_alu instid0(SALU_CYCLE_1)
	s_or_b32 exec_lo, exec_lo, s20
	s_mov_b32 s20, 0
	global_store_b8 v[2:3], v4, off
.LBB222_1013:
	s_and_b32 vcc_lo, exec_lo, s20
	s_cbranch_vccz .LBB222_1023
; %bb.1014:
	s_wait_xcnt 0x0
	v_and_b32_e32 v4, 0x7fffffff, v0
	s_mov_b32 s20, exec_lo
                                        ; implicit-def: $vgpr1
	s_delay_alu instid0(VALU_DEP_1)
	v_cmpx_gt_u32_e32 0x43f00000, v4
	s_xor_b32 s20, exec_lo, s20
	s_cbranch_execz .LBB222_1020
; %bb.1015:
	s_mov_b32 s21, exec_lo
                                        ; implicit-def: $vgpr1
	v_cmpx_lt_u32_e32 0x3c7fffff, v4
	s_xor_b32 s21, exec_lo, s21
; %bb.1016:
	v_bfe_u32 v1, v0, 20, 1
	s_delay_alu instid0(VALU_DEP_1) | instskip(NEXT) | instid1(VALU_DEP_1)
	v_add3_u32 v1, v0, v1, 0x407ffff
	v_and_b32_e32 v4, 0xff00000, v1
	v_lshrrev_b32_e32 v1, 20, v1
	s_delay_alu instid0(VALU_DEP_2) | instskip(NEXT) | instid1(VALU_DEP_2)
	v_cmp_ne_u32_e32 vcc_lo, 0x7f00000, v4
	v_cndmask_b32_e32 v1, 0x7e, v1, vcc_lo
; %bb.1017:
	s_and_not1_saveexec_b32 s21, s21
; %bb.1018:
	v_add_f32_e64 v1, 0x46800000, |v0|
; %bb.1019:
	s_or_b32 exec_lo, exec_lo, s21
                                        ; implicit-def: $vgpr4
.LBB222_1020:
	s_and_not1_saveexec_b32 s20, s20
; %bb.1021:
	v_mov_b32_e32 v1, 0x7f
	v_cmp_lt_u32_e32 vcc_lo, 0x7f800000, v4
	s_delay_alu instid0(VALU_DEP_2)
	v_cndmask_b32_e32 v1, 0x7e, v1, vcc_lo
; %bb.1022:
	s_or_b32 exec_lo, exec_lo, s20
	v_lshrrev_b32_e32 v4, 24, v0
	s_delay_alu instid0(VALU_DEP_1)
	v_and_or_b32 v1, 0x80, v4, v1
	global_store_b8 v[2:3], v1, off
.LBB222_1023:
	s_mov_b32 s20, 0
.LBB222_1024:
	s_delay_alu instid0(SALU_CYCLE_1)
	s_and_not1_b32 vcc_lo, exec_lo, s20
	s_cbranch_vccnz .LBB222_1034
; %bb.1025:
	s_wait_xcnt 0x0
	v_and_b32_e32 v4, 0x7fffffff, v0
	s_mov_b32 s20, exec_lo
                                        ; implicit-def: $vgpr1
	s_delay_alu instid0(VALU_DEP_1)
	v_cmpx_gt_u32_e32 0x47800000, v4
	s_xor_b32 s20, exec_lo, s20
	s_cbranch_execz .LBB222_1031
; %bb.1026:
	s_mov_b32 s21, exec_lo
                                        ; implicit-def: $vgpr1
	v_cmpx_lt_u32_e32 0x387fffff, v4
	s_xor_b32 s21, exec_lo, s21
; %bb.1027:
	v_bfe_u32 v1, v0, 21, 1
	s_delay_alu instid0(VALU_DEP_1) | instskip(NEXT) | instid1(VALU_DEP_1)
	v_add3_u32 v1, v0, v1, 0x80fffff
	v_lshrrev_b32_e32 v1, 21, v1
; %bb.1028:
	s_and_not1_saveexec_b32 s21, s21
; %bb.1029:
	v_add_f32_e64 v1, 0x43000000, |v0|
; %bb.1030:
	s_or_b32 exec_lo, exec_lo, s21
                                        ; implicit-def: $vgpr4
.LBB222_1031:
	s_and_not1_saveexec_b32 s20, s20
; %bb.1032:
	v_mov_b32_e32 v1, 0x7f
	v_cmp_lt_u32_e32 vcc_lo, 0x7f800000, v4
	s_delay_alu instid0(VALU_DEP_2)
	v_cndmask_b32_e32 v1, 0x7c, v1, vcc_lo
; %bb.1033:
	s_or_b32 exec_lo, exec_lo, s20
	v_lshrrev_b32_e32 v4, 24, v0
	s_delay_alu instid0(VALU_DEP_1)
	v_and_or_b32 v1, 0x80, v4, v1
	global_store_b8 v[2:3], v1, off
.LBB222_1034:
	s_mov_b32 s20, 0
.LBB222_1035:
	s_delay_alu instid0(SALU_CYCLE_1)
	s_and_not1_b32 vcc_lo, exec_lo, s20
	s_mov_b32 s20, 0
	s_cbranch_vccnz .LBB222_1043
; %bb.1036:
	s_cmp_gt_i32 s18, 14
	s_mov_b32 s20, -1
	s_cbranch_scc0 .LBB222_1040
; %bb.1037:
	s_cmp_eq_u32 s18, 15
	s_mov_b32 s0, -1
	s_cbranch_scc0 .LBB222_1039
; %bb.1038:
	s_wait_xcnt 0x0
	v_bfe_u32 v1, v0, 16, 1
	v_cmp_o_f32_e32 vcc_lo, v0, v0
	s_mov_b32 s0, 0
	s_delay_alu instid0(VALU_DEP_2) | instskip(NEXT) | instid1(VALU_DEP_1)
	v_add3_u32 v1, v0, v1, 0x7fff
	v_lshrrev_b32_e32 v1, 16, v1
	s_delay_alu instid0(VALU_DEP_1)
	v_cndmask_b32_e32 v1, 0x7fc0, v1, vcc_lo
	global_store_b16 v[2:3], v1, off
.LBB222_1039:
	s_mov_b32 s20, 0
.LBB222_1040:
	s_delay_alu instid0(SALU_CYCLE_1)
	s_and_b32 vcc_lo, exec_lo, s20
	s_mov_b32 s20, 0
	s_cbranch_vccz .LBB222_1043
; %bb.1041:
	s_cmp_lg_u32 s18, 11
	s_mov_b32 s20, -1
	s_cselect_b32 s18, -1, 0
	s_and_not1_b32 s0, s0, exec_lo
	s_and_b32 s18, s18, exec_lo
	s_delay_alu instid0(SALU_CYCLE_1)
	s_or_b32 s0, s0, s18
	s_branch .LBB222_1043
.LBB222_1042:
	s_mov_b32 s20, 0
.LBB222_1043:
	s_and_not1_b32 s14, s14, exec_lo
	s_and_b32 s0, s0, exec_lo
	s_and_b32 s18, s19, exec_lo
	s_and_b32 s19, s20, exec_lo
	s_or_b32 s14, s14, s0
	s_wait_xcnt 0x0
	s_or_b32 exec_lo, exec_lo, s17
	s_and_saveexec_b32 s0, s14
	s_cbranch_execz .LBB222_959
.LBB222_1044:
	s_or_b32 s15, s15, exec_lo
	s_and_not1_b32 s19, s19, exec_lo
	s_trap 2
	s_or_b32 exec_lo, exec_lo, s0
	s_and_saveexec_b32 s0, s19
	s_delay_alu instid0(SALU_CYCLE_1)
	s_xor_b32 s0, exec_lo, s0
	s_cbranch_execnz .LBB222_960
.LBB222_1045:
	s_or_b32 exec_lo, exec_lo, s0
	s_and_saveexec_b32 s0, s18
	s_delay_alu instid0(SALU_CYCLE_1)
	s_xor_b32 s0, exec_lo, s0
	s_cbranch_execz .LBB222_1083
.LBB222_1046:
	s_sext_i32_i16 s17, s16
	s_mov_b32 s14, -1
	s_cmp_lt_i32 s17, 5
	s_cbranch_scc1 .LBB222_1067
; %bb.1047:
	s_cmp_lt_i32 s17, 8
	s_cbranch_scc1 .LBB222_1057
; %bb.1048:
	;; [unrolled: 3-line block ×3, first 2 shown]
	s_cmp_gt_i32 s17, 9
	s_cbranch_scc0 .LBB222_1051
; %bb.1050:
	s_wait_loadcnt 0x0
	v_cvt_f64_f32_e32 v[4:5], v0
	v_mov_b32_e32 v6, 0
	s_mov_b32 s14, 0
	s_delay_alu instid0(VALU_DEP_1)
	v_mov_b32_e32 v7, v6
	global_store_b128 v[2:3], v[4:7], off
.LBB222_1051:
	s_and_not1_b32 vcc_lo, exec_lo, s14
	s_cbranch_vccnz .LBB222_1053
; %bb.1052:
	v_mov_b32_e32 v1, 0
	s_wait_loadcnt 0x0
	global_store_b64 v[2:3], v[0:1], off
.LBB222_1053:
	s_mov_b32 s14, 0
.LBB222_1054:
	s_delay_alu instid0(SALU_CYCLE_1)
	s_and_not1_b32 vcc_lo, exec_lo, s14
	s_cbranch_vccnz .LBB222_1056
; %bb.1055:
	s_wait_loadcnt 0x0
	v_cvt_f16_f32_e32 v1, v0
	s_delay_alu instid0(VALU_DEP_1)
	v_and_b32_e32 v1, 0xffff, v1
	global_store_b32 v[2:3], v1, off
.LBB222_1056:
	s_mov_b32 s14, 0
.LBB222_1057:
	s_delay_alu instid0(SALU_CYCLE_1)
	s_and_not1_b32 vcc_lo, exec_lo, s14
	s_cbranch_vccnz .LBB222_1066
; %bb.1058:
	s_sext_i32_i16 s17, s16
	s_mov_b32 s14, -1
	s_cmp_lt_i32 s17, 6
	s_cbranch_scc1 .LBB222_1064
; %bb.1059:
	s_cmp_gt_i32 s17, 6
	s_cbranch_scc0 .LBB222_1061
; %bb.1060:
	s_wait_loadcnt 0x0
	v_cvt_f64_f32_e32 v[4:5], v0
	s_mov_b32 s14, 0
	global_store_b64 v[2:3], v[4:5], off
.LBB222_1061:
	s_and_not1_b32 vcc_lo, exec_lo, s14
	s_cbranch_vccnz .LBB222_1063
; %bb.1062:
	s_wait_loadcnt 0x0
	global_store_b32 v[2:3], v0, off
.LBB222_1063:
	s_mov_b32 s14, 0
.LBB222_1064:
	s_delay_alu instid0(SALU_CYCLE_1)
	s_and_not1_b32 vcc_lo, exec_lo, s14
	s_cbranch_vccnz .LBB222_1066
; %bb.1065:
	s_wait_loadcnt 0x0
	v_cvt_f16_f32_e32 v1, v0
	global_store_b16 v[2:3], v1, off
.LBB222_1066:
	s_mov_b32 s14, 0
.LBB222_1067:
	s_delay_alu instid0(SALU_CYCLE_1)
	s_and_not1_b32 vcc_lo, exec_lo, s14
	s_cbranch_vccnz .LBB222_1083
; %bb.1068:
	s_sext_i32_i16 s17, s16
	s_mov_b32 s14, -1
	s_cmp_lt_i32 s17, 2
	s_cbranch_scc1 .LBB222_1078
; %bb.1069:
	s_cmp_lt_i32 s17, 3
	s_cbranch_scc1 .LBB222_1075
; %bb.1070:
	s_cmp_gt_i32 s17, 3
	s_cbranch_scc0 .LBB222_1072
; %bb.1071:
	s_wait_loadcnt 0x0
	v_trunc_f32_e32 v1, v0
	s_mov_b32 s14, 0
	s_delay_alu instid0(VALU_DEP_1) | instskip(NEXT) | instid1(VALU_DEP_1)
	v_mul_f32_e64 v4, 0x2f800000, |v1|
	v_floor_f32_e32 v5, v4
	v_ashrrev_i32_e32 v4, 31, v1
	s_delay_alu instid0(VALU_DEP_2) | instskip(SKIP_1) | instid1(VALU_DEP_3)
	v_fma_f32 v6, 0xcf800000, v5, |v1|
	v_cvt_u32_f32_e32 v1, v5
	v_mov_b32_e32 v5, v4
	s_delay_alu instid0(VALU_DEP_3) | instskip(NEXT) | instid1(VALU_DEP_3)
	v_cvt_u32_f32_e32 v6, v6
	v_xor_b32_e32 v7, v1, v4
	s_delay_alu instid0(VALU_DEP_2) | instskip(NEXT) | instid1(VALU_DEP_1)
	v_xor_b32_e32 v6, v6, v4
	v_sub_nc_u64_e32 v[4:5], v[6:7], v[4:5]
	global_store_b64 v[2:3], v[4:5], off
.LBB222_1072:
	s_and_not1_b32 vcc_lo, exec_lo, s14
	s_cbranch_vccnz .LBB222_1074
; %bb.1073:
	s_wait_loadcnt 0x0
	v_cvt_i32_f32_e32 v1, v0
	global_store_b32 v[2:3], v1, off
.LBB222_1074:
	s_mov_b32 s14, 0
.LBB222_1075:
	s_delay_alu instid0(SALU_CYCLE_1)
	s_and_not1_b32 vcc_lo, exec_lo, s14
	s_cbranch_vccnz .LBB222_1077
; %bb.1076:
	s_wait_loadcnt 0x0
	v_cvt_i32_f32_e32 v1, v0
	global_store_b16 v[2:3], v1, off
.LBB222_1077:
	s_mov_b32 s14, 0
.LBB222_1078:
	s_delay_alu instid0(SALU_CYCLE_1)
	s_and_not1_b32 vcc_lo, exec_lo, s14
	s_cbranch_vccnz .LBB222_1083
; %bb.1079:
	s_sext_i32_i16 s14, s16
	s_delay_alu instid0(SALU_CYCLE_1)
	s_cmp_gt_i32 s14, 0
	s_mov_b32 s14, -1
	s_cbranch_scc0 .LBB222_1081
; %bb.1080:
	s_wait_loadcnt 0x0
	v_cvt_i32_f32_e32 v1, v0
	s_mov_b32 s14, 0
	global_store_b8 v[2:3], v1, off
.LBB222_1081:
	s_and_not1_b32 vcc_lo, exec_lo, s14
	s_cbranch_vccnz .LBB222_1083
; %bb.1082:
	s_wait_loadcnt 0x0
	v_trunc_f32_e32 v0, v0
	s_delay_alu instid0(VALU_DEP_1) | instskip(NEXT) | instid1(VALU_DEP_1)
	v_mul_f32_e64 v1, 0x2f800000, |v0|
	v_floor_f32_e32 v1, v1
	s_delay_alu instid0(VALU_DEP_1) | instskip(SKIP_1) | instid1(VALU_DEP_2)
	v_fma_f32 v1, 0xcf800000, v1, |v0|
	v_ashrrev_i32_e32 v0, 31, v0
	v_cvt_u32_f32_e32 v1, v1
	s_delay_alu instid0(VALU_DEP_1) | instskip(NEXT) | instid1(VALU_DEP_1)
	v_xor_b32_e32 v1, v1, v0
	v_sub_nc_u32_e32 v0, v1, v0
	global_store_b8 v[2:3], v0, off
.LBB222_1083:
	s_wait_xcnt 0x0
	s_or_b32 exec_lo, exec_lo, s0
	s_delay_alu instid0(SALU_CYCLE_1)
	s_and_b32 s14, s15, exec_lo
                                        ; implicit-def: $vgpr10
.LBB222_1084:
	s_or_saveexec_b32 s13, s13
	s_mov_b32 s0, 0
                                        ; implicit-def: $sgpr15
                                        ; implicit-def: $vgpr0_vgpr1
                                        ; implicit-def: $vgpr4
	s_xor_b32 exec_lo, exec_lo, s13
	s_cbranch_execz .LBB222_1647
; %bb.1085:
	v_mul_lo_u32 v2, s9, v10
	s_and_b32 s0, 0xffff, s12
	s_delay_alu instid0(SALU_CYCLE_1) | instskip(NEXT) | instid1(VALU_DEP_1)
	s_cmp_lt_i32 s0, 11
	v_ashrrev_i32_e32 v3, 31, v2
	s_delay_alu instid0(VALU_DEP_1)
	v_add_nc_u64_e32 v[4:5], s[6:7], v[2:3]
	s_cbranch_scc1 .LBB222_1092
; %bb.1086:
	s_cmp_gt_i32 s0, 25
	s_mov_b32 s12, 0
	s_cbranch_scc0 .LBB222_1094
; %bb.1087:
	s_cmp_gt_i32 s0, 28
	s_cbranch_scc0 .LBB222_1095
; %bb.1088:
	s_cmp_gt_i32 s0, 43
	;; [unrolled: 3-line block ×3, first 2 shown]
	s_cbranch_scc0 .LBB222_1097
; %bb.1090:
	s_cmp_eq_u32 s0, 46
	s_mov_b32 s16, 0
	s_cbranch_scc0 .LBB222_1100
; %bb.1091:
	s_wait_loadcnt 0x0
	global_load_b32 v0, v[4:5], off
	s_mov_b32 s15, -1
	s_wait_loadcnt 0x0
	v_lshlrev_b32_e32 v0, 16, v0
	s_branch .LBB222_1102
.LBB222_1092:
	s_mov_b32 s15, 0
	s_mov_b32 s1, s14
                                        ; implicit-def: $vgpr0
	s_cbranch_execnz .LBB222_1165
.LBB222_1093:
	s_and_not1_b32 vcc_lo, exec_lo, s15
	s_cbranch_vccz .LBB222_1210
	s_branch .LBB222_1645
.LBB222_1094:
	s_mov_b32 s15, 0
                                        ; implicit-def: $vgpr0
	s_cbranch_execnz .LBB222_1130
	s_branch .LBB222_1161
.LBB222_1095:
	s_mov_b32 s16, -1
	s_mov_b32 s15, 0
                                        ; implicit-def: $vgpr0
	s_branch .LBB222_1111
.LBB222_1096:
	s_mov_b32 s15, 0
                                        ; implicit-def: $vgpr0
	s_cbranch_execnz .LBB222_1107
	s_branch .LBB222_1110
.LBB222_1097:
	s_mov_b32 s16, -1
	s_branch .LBB222_1101
.LBB222_1098:
	s_and_not1_saveexec_b32 s21, s21
	s_cbranch_execz .LBB222_997
.LBB222_1099:
	v_add_f32_e64 v1, 0x46000000, |v0|
	s_and_not1_b32 s20, s20, exec_lo
	s_delay_alu instid0(VALU_DEP_1) | instskip(NEXT) | instid1(VALU_DEP_1)
	v_and_b32_e32 v1, 0xff, v1
	v_cmp_ne_u32_e32 vcc_lo, 0, v1
	s_and_b32 s22, vcc_lo, exec_lo
	s_delay_alu instid0(SALU_CYCLE_1)
	s_or_b32 s20, s20, s22
	s_or_b32 exec_lo, exec_lo, s21
	v_mov_b32_e32 v4, 0
	s_and_saveexec_b32 s21, s20
	s_cbranch_execnz .LBB222_998
	s_branch .LBB222_999
.LBB222_1100:
	s_mov_b32 s1, -1
.LBB222_1101:
	s_mov_b32 s15, 0
                                        ; implicit-def: $vgpr0
.LBB222_1102:
	s_and_b32 vcc_lo, exec_lo, s16
	s_cbranch_vccz .LBB222_1105
; %bb.1103:
	s_cmp_eq_u32 s0, 44
	s_cbranch_scc0 .LBB222_1106
; %bb.1104:
	s_wait_loadcnt 0x0
	global_load_u8 v0, v[4:5], off
	s_mov_b32 s1, 0
	s_mov_b32 s15, -1
	s_wait_loadcnt 0x0
	v_lshlrev_b32_e32 v1, 23, v0
	v_cmp_ne_u32_e32 vcc_lo, 0xff, v0
	s_delay_alu instid0(VALU_DEP_2) | instskip(SKIP_1) | instid1(VALU_DEP_2)
	v_cndmask_b32_e32 v1, 0x7f800001, v1, vcc_lo
	v_cmp_ne_u32_e32 vcc_lo, 0, v0
	v_cndmask_b32_e32 v0, 0x400000, v1, vcc_lo
.LBB222_1105:
	s_branch .LBB222_1110
.LBB222_1106:
	s_mov_b32 s1, -1
                                        ; implicit-def: $vgpr0
	s_branch .LBB222_1110
.LBB222_1107:
	s_cmp_eq_u32 s0, 29
	s_cbranch_scc0 .LBB222_1109
; %bb.1108:
	s_wait_loadcnt 0x0
	global_load_b64 v[0:1], v[4:5], off
	s_mov_b32 s1, 0
	s_mov_b32 s15, -1
	s_mov_b32 s16, 0
	s_wait_loadcnt 0x0
	v_clz_i32_u32_e32 v3, v1
	s_delay_alu instid0(VALU_DEP_1) | instskip(NEXT) | instid1(VALU_DEP_1)
	v_min_u32_e32 v3, 32, v3
	v_lshlrev_b64_e32 v[0:1], v3, v[0:1]
	s_delay_alu instid0(VALU_DEP_1) | instskip(NEXT) | instid1(VALU_DEP_1)
	v_min_u32_e32 v0, 1, v0
	v_dual_sub_nc_u32 v1, 32, v3 :: v_dual_bitop2_b32 v0, v1, v0 bitop3:0x54
	s_delay_alu instid0(VALU_DEP_1) | instskip(NEXT) | instid1(VALU_DEP_1)
	v_cvt_f32_u32_e32 v0, v0
	v_ldexp_f32 v0, v0, v1
	s_branch .LBB222_1111
.LBB222_1109:
	s_mov_b32 s1, -1
                                        ; implicit-def: $vgpr0
.LBB222_1110:
	s_mov_b32 s16, 0
.LBB222_1111:
	s_delay_alu instid0(SALU_CYCLE_1)
	s_and_b32 vcc_lo, exec_lo, s16
	s_cbranch_vccz .LBB222_1129
; %bb.1112:
	s_cmp_lt_i32 s0, 27
	s_cbranch_scc1 .LBB222_1115
; %bb.1113:
	s_cmp_gt_i32 s0, 27
	s_cbranch_scc0 .LBB222_1116
; %bb.1114:
	s_wait_loadcnt 0x0
	global_load_b32 v0, v[4:5], off
	s_mov_b32 s15, 0
	s_wait_loadcnt 0x0
	v_cvt_f32_u32_e32 v0, v0
	s_branch .LBB222_1117
.LBB222_1115:
	s_mov_b32 s15, -1
                                        ; implicit-def: $vgpr0
	s_branch .LBB222_1120
.LBB222_1116:
	s_mov_b32 s15, -1
                                        ; implicit-def: $vgpr0
.LBB222_1117:
	s_delay_alu instid0(SALU_CYCLE_1)
	s_and_not1_b32 vcc_lo, exec_lo, s15
	s_cbranch_vccnz .LBB222_1119
; %bb.1118:
	s_wait_loadcnt 0x0
	global_load_u16 v0, v[4:5], off
	s_wait_loadcnt 0x0
	v_cvt_f32_u32_e32 v0, v0
.LBB222_1119:
	s_mov_b32 s15, 0
.LBB222_1120:
	s_delay_alu instid0(SALU_CYCLE_1)
	s_and_not1_b32 vcc_lo, exec_lo, s15
	s_cbranch_vccnz .LBB222_1128
; %bb.1121:
	global_load_u8 v1, v[4:5], off
	s_mov_b32 s15, 0
	s_mov_b32 s16, exec_lo
	s_wait_loadcnt 0x0
	v_cmpx_lt_i16_e32 0x7f, v1
	s_xor_b32 s16, exec_lo, s16
	s_cbranch_execz .LBB222_1141
; %bb.1122:
	s_mov_b32 s15, -1
	s_mov_b32 s17, exec_lo
	v_cmpx_eq_u16_e32 0x80, v1
; %bb.1123:
	s_xor_b32 s15, exec_lo, -1
; %bb.1124:
	s_or_b32 exec_lo, exec_lo, s17
	s_delay_alu instid0(SALU_CYCLE_1)
	s_and_b32 s15, s15, exec_lo
	s_or_saveexec_b32 s16, s16
	v_mov_b32_e32 v0, 0x7f800001
	s_xor_b32 exec_lo, exec_lo, s16
	s_cbranch_execnz .LBB222_1142
.LBB222_1125:
	s_or_b32 exec_lo, exec_lo, s16
	s_and_saveexec_b32 s16, s15
	s_cbranch_execz .LBB222_1127
.LBB222_1126:
	v_and_b32_e32 v0, 0xffff, v1
	s_delay_alu instid0(VALU_DEP_1) | instskip(SKIP_1) | instid1(VALU_DEP_2)
	v_and_b32_e32 v3, 7, v0
	v_bfe_u32 v8, v0, 3, 4
	v_clz_i32_u32_e32 v6, v3
	s_delay_alu instid0(VALU_DEP_2) | instskip(NEXT) | instid1(VALU_DEP_2)
	v_cmp_eq_u32_e32 vcc_lo, 0, v8
	v_min_u32_e32 v6, 32, v6
	s_delay_alu instid0(VALU_DEP_1) | instskip(NEXT) | instid1(VALU_DEP_1)
	v_subrev_nc_u32_e32 v7, 28, v6
	v_dual_lshlrev_b32 v0, v7, v0 :: v_dual_sub_nc_u32 v6, 29, v6
	s_delay_alu instid0(VALU_DEP_1) | instskip(NEXT) | instid1(VALU_DEP_1)
	v_dual_lshlrev_b32 v1, 24, v1 :: v_dual_bitop2_b32 v0, 7, v0 bitop3:0x40
	v_dual_cndmask_b32 v6, v8, v6, vcc_lo :: v_dual_cndmask_b32 v0, v3, v0, vcc_lo
	s_delay_alu instid0(VALU_DEP_2) | instskip(NEXT) | instid1(VALU_DEP_2)
	v_and_b32_e32 v1, 0x80000000, v1
	v_lshl_add_u32 v3, v6, 23, 0x3b800000
	s_delay_alu instid0(VALU_DEP_3) | instskip(NEXT) | instid1(VALU_DEP_1)
	v_lshlrev_b32_e32 v0, 20, v0
	v_or3_b32 v0, v1, v3, v0
.LBB222_1127:
	s_or_b32 exec_lo, exec_lo, s16
.LBB222_1128:
	s_mov_b32 s15, -1
.LBB222_1129:
	s_branch .LBB222_1161
.LBB222_1130:
	s_cmp_gt_i32 s0, 22
	s_cbranch_scc0 .LBB222_1140
; %bb.1131:
	s_cmp_lt_i32 s0, 24
	s_cbranch_scc1 .LBB222_1143
; %bb.1132:
	s_cmp_gt_i32 s0, 24
	s_cbranch_scc0 .LBB222_1144
; %bb.1133:
	global_load_u8 v1, v[4:5], off
	s_mov_b32 s15, exec_lo
	s_wait_loadcnt 0x0
	v_cmpx_lt_i16_e32 0x7f, v1
	s_xor_b32 s15, exec_lo, s15
	s_cbranch_execz .LBB222_1155
; %bb.1134:
	s_mov_b32 s12, -1
	s_mov_b32 s16, exec_lo
	v_cmpx_eq_u16_e32 0x80, v1
; %bb.1135:
	s_xor_b32 s12, exec_lo, -1
; %bb.1136:
	s_or_b32 exec_lo, exec_lo, s16
	s_delay_alu instid0(SALU_CYCLE_1)
	s_and_b32 s12, s12, exec_lo
	s_or_saveexec_b32 s15, s15
	v_mov_b32_e32 v0, 0x7f800001
	s_xor_b32 exec_lo, exec_lo, s15
	s_cbranch_execnz .LBB222_1156
.LBB222_1137:
	s_or_b32 exec_lo, exec_lo, s15
	s_and_saveexec_b32 s15, s12
	s_cbranch_execz .LBB222_1139
.LBB222_1138:
	v_and_b32_e32 v0, 0xffff, v1
	s_delay_alu instid0(VALU_DEP_1) | instskip(SKIP_1) | instid1(VALU_DEP_2)
	v_and_b32_e32 v3, 3, v0
	v_bfe_u32 v8, v0, 2, 5
	v_clz_i32_u32_e32 v6, v3
	s_delay_alu instid0(VALU_DEP_2) | instskip(NEXT) | instid1(VALU_DEP_2)
	v_cmp_eq_u32_e32 vcc_lo, 0, v8
	v_min_u32_e32 v6, 32, v6
	s_delay_alu instid0(VALU_DEP_1) | instskip(NEXT) | instid1(VALU_DEP_1)
	v_subrev_nc_u32_e32 v7, 29, v6
	v_dual_lshlrev_b32 v0, v7, v0 :: v_dual_sub_nc_u32 v6, 30, v6
	s_delay_alu instid0(VALU_DEP_1) | instskip(NEXT) | instid1(VALU_DEP_1)
	v_dual_lshlrev_b32 v1, 24, v1 :: v_dual_bitop2_b32 v0, 3, v0 bitop3:0x40
	v_dual_cndmask_b32 v6, v8, v6, vcc_lo :: v_dual_cndmask_b32 v0, v3, v0, vcc_lo
	s_delay_alu instid0(VALU_DEP_2) | instskip(NEXT) | instid1(VALU_DEP_2)
	v_and_b32_e32 v1, 0x80000000, v1
	v_lshl_add_u32 v3, v6, 23, 0x37800000
	s_delay_alu instid0(VALU_DEP_3) | instskip(NEXT) | instid1(VALU_DEP_1)
	v_lshlrev_b32_e32 v0, 21, v0
	v_or3_b32 v0, v1, v3, v0
.LBB222_1139:
	s_or_b32 exec_lo, exec_lo, s15
	s_mov_b32 s12, 0
	s_branch .LBB222_1145
.LBB222_1140:
                                        ; implicit-def: $vgpr0
	s_mov_b32 s12, 0
	s_branch .LBB222_1151
.LBB222_1141:
	s_or_saveexec_b32 s16, s16
	v_mov_b32_e32 v0, 0x7f800001
	s_xor_b32 exec_lo, exec_lo, s16
	s_cbranch_execz .LBB222_1125
.LBB222_1142:
	v_cmp_ne_u16_e32 vcc_lo, 0, v1
	v_mov_b32_e32 v0, 0
	s_and_not1_b32 s15, s15, exec_lo
	s_and_b32 s17, vcc_lo, exec_lo
	s_delay_alu instid0(SALU_CYCLE_1)
	s_or_b32 s15, s15, s17
	s_or_b32 exec_lo, exec_lo, s16
	s_and_saveexec_b32 s16, s15
	s_cbranch_execnz .LBB222_1126
	s_branch .LBB222_1127
.LBB222_1143:
	s_mov_b32 s12, -1
                                        ; implicit-def: $vgpr0
	s_branch .LBB222_1148
.LBB222_1144:
	s_mov_b32 s12, -1
                                        ; implicit-def: $vgpr0
.LBB222_1145:
	s_delay_alu instid0(SALU_CYCLE_1)
	s_and_b32 vcc_lo, exec_lo, s12
	s_cbranch_vccz .LBB222_1147
; %bb.1146:
	s_wait_loadcnt 0x0
	global_load_u8 v0, v[4:5], off
	s_wait_loadcnt 0x0
	v_lshlrev_b32_e32 v0, 24, v0
	s_delay_alu instid0(VALU_DEP_1) | instskip(NEXT) | instid1(VALU_DEP_1)
	v_and_b32_e32 v1, 0x7f000000, v0
	v_clz_i32_u32_e32 v3, v1
	v_add_nc_u32_e32 v7, 0x1000000, v1
	v_cmp_ne_u32_e32 vcc_lo, 0, v1
	s_delay_alu instid0(VALU_DEP_3) | instskip(NEXT) | instid1(VALU_DEP_1)
	v_min_u32_e32 v3, 32, v3
	v_sub_nc_u32_e64 v3, v3, 4 clamp
	s_delay_alu instid0(VALU_DEP_1) | instskip(NEXT) | instid1(VALU_DEP_1)
	v_dual_lshlrev_b32 v6, v3, v1 :: v_dual_lshlrev_b32 v3, 23, v3
	v_lshrrev_b32_e32 v6, 4, v6
	s_delay_alu instid0(VALU_DEP_1) | instskip(SKIP_1) | instid1(VALU_DEP_2)
	v_sub_nc_u32_e32 v3, v6, v3
	v_ashrrev_i32_e32 v6, 8, v7
	v_add_nc_u32_e32 v3, 0x3c000000, v3
	s_delay_alu instid0(VALU_DEP_1) | instskip(NEXT) | instid1(VALU_DEP_1)
	v_and_or_b32 v3, 0x7f800000, v6, v3
	v_cndmask_b32_e32 v1, 0, v3, vcc_lo
	s_delay_alu instid0(VALU_DEP_1)
	v_and_or_b32 v0, 0x80000000, v0, v1
.LBB222_1147:
	s_mov_b32 s12, 0
.LBB222_1148:
	s_delay_alu instid0(SALU_CYCLE_1)
	s_and_not1_b32 vcc_lo, exec_lo, s12
	s_cbranch_vccnz .LBB222_1150
; %bb.1149:
	s_wait_loadcnt 0x0
	global_load_u8 v0, v[4:5], off
	s_wait_loadcnt 0x0
	v_lshlrev_b32_e32 v1, 25, v0
	v_lshlrev_b16 v0, 8, v0
	s_delay_alu instid0(VALU_DEP_1) | instskip(SKIP_1) | instid1(VALU_DEP_2)
	v_and_or_b32 v6, 0x7f00, v0, 0.5
	v_bfe_i32 v0, v0, 0, 16
	v_dual_add_f32 v6, -0.5, v6 :: v_dual_lshrrev_b32 v3, 4, v1
	v_cmp_gt_u32_e32 vcc_lo, 0x8000000, v1
	s_delay_alu instid0(VALU_DEP_2) | instskip(NEXT) | instid1(VALU_DEP_1)
	v_or_b32_e32 v3, 0x70000000, v3
	v_mul_f32_e32 v3, 0x7800000, v3
	s_delay_alu instid0(VALU_DEP_1) | instskip(NEXT) | instid1(VALU_DEP_1)
	v_cndmask_b32_e32 v1, v3, v6, vcc_lo
	v_and_or_b32 v0, 0x80000000, v0, v1
.LBB222_1150:
	s_mov_b32 s15, -1
	s_mov_b32 s12, 0
	s_cbranch_execnz .LBB222_1161
.LBB222_1151:
	s_cmp_gt_i32 s0, 14
	s_cbranch_scc0 .LBB222_1154
; %bb.1152:
	s_cmp_eq_u32 s0, 15
	s_cbranch_scc0 .LBB222_1157
; %bb.1153:
	s_wait_loadcnt 0x0
	global_load_u16 v0, v[4:5], off
	s_mov_b32 s1, 0
	s_mov_b32 s15, -1
	s_wait_loadcnt 0x0
	v_lshlrev_b32_e32 v0, 16, v0
	s_branch .LBB222_1159
.LBB222_1154:
	s_mov_b32 s12, -1
	s_branch .LBB222_1158
.LBB222_1155:
	s_or_saveexec_b32 s15, s15
	v_mov_b32_e32 v0, 0x7f800001
	s_xor_b32 exec_lo, exec_lo, s15
	s_cbranch_execz .LBB222_1137
.LBB222_1156:
	v_cmp_ne_u16_e32 vcc_lo, 0, v1
	v_mov_b32_e32 v0, 0
	s_and_not1_b32 s12, s12, exec_lo
	s_and_b32 s16, vcc_lo, exec_lo
	s_delay_alu instid0(SALU_CYCLE_1)
	s_or_b32 s12, s12, s16
	s_or_b32 exec_lo, exec_lo, s15
	s_and_saveexec_b32 s15, s12
	s_cbranch_execnz .LBB222_1138
	s_branch .LBB222_1139
.LBB222_1157:
	s_mov_b32 s1, -1
.LBB222_1158:
                                        ; implicit-def: $vgpr0
.LBB222_1159:
	s_and_b32 vcc_lo, exec_lo, s12
	s_mov_b32 s12, 0
	s_cbranch_vccz .LBB222_1161
; %bb.1160:
	s_cmp_lg_u32 s0, 11
	s_mov_b32 s12, -1
	s_cselect_b32 s1, -1, 0
.LBB222_1161:
	s_delay_alu instid0(SALU_CYCLE_1)
	s_and_b32 vcc_lo, exec_lo, s1
	s_mov_b32 s1, s14
	s_cbranch_vccnz .LBB222_1235
; %bb.1162:
	s_and_not1_b32 vcc_lo, exec_lo, s12
	s_cbranch_vccnz .LBB222_1164
.LBB222_1163:
	s_wait_loadcnt 0x0
	global_load_u8 v0, v[4:5], off
	s_mov_b32 s15, -1
	s_wait_loadcnt 0x0
	v_cmp_ne_u16_e32 vcc_lo, 0, v0
	v_cndmask_b32_e64 v0, 0, 1.0, vcc_lo
.LBB222_1164:
	s_branch .LBB222_1093
.LBB222_1165:
	s_cmp_lt_i32 s0, 5
	s_cbranch_scc1 .LBB222_1170
; %bb.1166:
	s_cmp_lt_i32 s0, 8
	s_cbranch_scc1 .LBB222_1171
; %bb.1167:
	;; [unrolled: 3-line block ×3, first 2 shown]
	s_cmp_gt_i32 s0, 9
	s_cbranch_scc0 .LBB222_1173
; %bb.1169:
	s_wait_loadcnt 0x0
	global_load_b64 v[0:1], v[4:5], off
	s_mov_b32 s12, 0
	s_wait_loadcnt 0x0
	v_cvt_f32_f64_e32 v0, v[0:1]
	s_branch .LBB222_1174
.LBB222_1170:
                                        ; implicit-def: $vgpr0
	s_branch .LBB222_1191
.LBB222_1171:
                                        ; implicit-def: $vgpr0
	s_branch .LBB222_1180
.LBB222_1172:
	s_mov_b32 s12, -1
                                        ; implicit-def: $vgpr0
	s_branch .LBB222_1177
.LBB222_1173:
	s_mov_b32 s12, -1
                                        ; implicit-def: $vgpr0
.LBB222_1174:
	s_delay_alu instid0(SALU_CYCLE_1)
	s_and_not1_b32 vcc_lo, exec_lo, s12
	s_cbranch_vccnz .LBB222_1176
; %bb.1175:
	s_wait_loadcnt 0x0
	global_load_b32 v0, v[4:5], off
.LBB222_1176:
	s_mov_b32 s12, 0
.LBB222_1177:
	s_delay_alu instid0(SALU_CYCLE_1)
	s_and_not1_b32 vcc_lo, exec_lo, s12
	s_cbranch_vccnz .LBB222_1179
; %bb.1178:
	s_wait_loadcnt 0x0
	global_load_b32 v0, v[4:5], off
	s_wait_loadcnt 0x0
	v_cvt_f32_f16_e32 v0, v0
.LBB222_1179:
	s_cbranch_execnz .LBB222_1190
.LBB222_1180:
	s_cmp_lt_i32 s0, 6
	s_cbranch_scc1 .LBB222_1183
; %bb.1181:
	s_cmp_gt_i32 s0, 6
	s_cbranch_scc0 .LBB222_1184
; %bb.1182:
	s_wait_loadcnt 0x0
	global_load_b64 v[0:1], v[4:5], off
	s_mov_b32 s12, 0
	s_wait_loadcnt 0x0
	v_cvt_f32_f64_e32 v0, v[0:1]
	s_branch .LBB222_1185
.LBB222_1183:
	s_mov_b32 s12, -1
                                        ; implicit-def: $vgpr0
	s_branch .LBB222_1188
.LBB222_1184:
	s_mov_b32 s12, -1
                                        ; implicit-def: $vgpr0
.LBB222_1185:
	s_delay_alu instid0(SALU_CYCLE_1)
	s_and_not1_b32 vcc_lo, exec_lo, s12
	s_cbranch_vccnz .LBB222_1187
; %bb.1186:
	s_wait_loadcnt 0x0
	global_load_b32 v0, v[4:5], off
.LBB222_1187:
	s_mov_b32 s12, 0
.LBB222_1188:
	s_delay_alu instid0(SALU_CYCLE_1)
	s_and_not1_b32 vcc_lo, exec_lo, s12
	s_cbranch_vccnz .LBB222_1190
; %bb.1189:
	s_wait_loadcnt 0x0
	global_load_u16 v0, v[4:5], off
	s_wait_loadcnt 0x0
	v_cvt_f32_f16_e32 v0, v0
.LBB222_1190:
	s_cbranch_execnz .LBB222_1209
.LBB222_1191:
	s_cmp_lt_i32 s0, 2
	s_cbranch_scc1 .LBB222_1195
; %bb.1192:
	s_cmp_lt_i32 s0, 3
	s_cbranch_scc1 .LBB222_1196
; %bb.1193:
	s_cmp_gt_i32 s0, 3
	s_cbranch_scc0 .LBB222_1197
; %bb.1194:
	s_wait_loadcnt 0x0
	global_load_b64 v[0:1], v[4:5], off
	s_mov_b32 s12, 0
	s_wait_loadcnt 0x0
	v_xor_b32_e32 v3, v0, v1
	v_cls_i32_e32 v6, v1
	s_delay_alu instid0(VALU_DEP_2) | instskip(NEXT) | instid1(VALU_DEP_1)
	v_ashrrev_i32_e32 v3, 31, v3
	v_add_nc_u32_e32 v3, 32, v3
	s_delay_alu instid0(VALU_DEP_1) | instskip(NEXT) | instid1(VALU_DEP_1)
	v_add_min_u32_e64 v3, v6, -1, v3
	v_lshlrev_b64_e32 v[0:1], v3, v[0:1]
	s_delay_alu instid0(VALU_DEP_1) | instskip(NEXT) | instid1(VALU_DEP_1)
	v_min_u32_e32 v0, 1, v0
	v_dual_sub_nc_u32 v1, 32, v3 :: v_dual_bitop2_b32 v0, v1, v0 bitop3:0x54
	s_delay_alu instid0(VALU_DEP_1) | instskip(NEXT) | instid1(VALU_DEP_1)
	v_cvt_f32_i32_e32 v0, v0
	v_ldexp_f32 v0, v0, v1
	s_branch .LBB222_1198
.LBB222_1195:
                                        ; implicit-def: $vgpr0
	s_branch .LBB222_1204
.LBB222_1196:
	s_mov_b32 s12, -1
                                        ; implicit-def: $vgpr0
	s_branch .LBB222_1201
.LBB222_1197:
	s_mov_b32 s12, -1
                                        ; implicit-def: $vgpr0
.LBB222_1198:
	s_delay_alu instid0(SALU_CYCLE_1)
	s_and_not1_b32 vcc_lo, exec_lo, s12
	s_cbranch_vccnz .LBB222_1200
; %bb.1199:
	s_wait_loadcnt 0x0
	global_load_b32 v0, v[4:5], off
	s_wait_loadcnt 0x0
	v_cvt_f32_i32_e32 v0, v0
.LBB222_1200:
	s_mov_b32 s12, 0
.LBB222_1201:
	s_delay_alu instid0(SALU_CYCLE_1)
	s_and_not1_b32 vcc_lo, exec_lo, s12
	s_cbranch_vccnz .LBB222_1203
; %bb.1202:
	s_wait_loadcnt 0x0
	global_load_i16 v0, v[4:5], off
	s_wait_loadcnt 0x0
	v_cvt_f32_i32_e32 v0, v0
.LBB222_1203:
	s_cbranch_execnz .LBB222_1209
.LBB222_1204:
	s_cmp_gt_i32 s0, 0
	s_mov_b32 s12, 0
	s_cbranch_scc0 .LBB222_1206
; %bb.1205:
	s_wait_loadcnt 0x0
	global_load_i8 v0, v[4:5], off
	s_wait_loadcnt 0x0
	v_cvt_f32_i32_e32 v0, v0
	s_branch .LBB222_1207
.LBB222_1206:
	s_mov_b32 s12, -1
                                        ; implicit-def: $vgpr0
.LBB222_1207:
	s_delay_alu instid0(SALU_CYCLE_1)
	s_and_not1_b32 vcc_lo, exec_lo, s12
	s_cbranch_vccnz .LBB222_1209
; %bb.1208:
	s_wait_loadcnt 0x0
	global_load_u8 v0, v[4:5], off
	s_wait_loadcnt 0x0
	v_cvt_f32_ubyte0_e32 v0, v0
.LBB222_1209:
.LBB222_1210:
	s_mov_b32 s12, exec_lo
	s_wait_loadcnt 0x0
	s_delay_alu instid0(VALU_DEP_1)
	v_cmpx_o_f32_e32 v0, v0
	s_cbranch_execz .LBB222_1223
; %bb.1211:
	s_cmp_lt_i32 s10, 1
	s_mov_b32 s15, 0
	s_cbranch_scc1 .LBB222_1214
; %bb.1212:
	s_cmp_eq_u32 s10, 1
	s_cbranch_scc0 .LBB222_1215
; %bb.1213:
	v_max_num_f32_e64 v1, s11, s11
	v_max_num_f32_e32 v3, v0, v0
	s_mov_b32 s16, 0
	s_delay_alu instid0(VALU_DEP_1)
	v_min_num_f32_e32 v1, v3, v1
	s_branch .LBB222_1216
.LBB222_1214:
	s_mov_b32 s16, 0
                                        ; implicit-def: $vgpr1
	s_cbranch_execnz .LBB222_1217
	s_branch .LBB222_1218
.LBB222_1215:
	s_mov_b32 s16, -1
                                        ; implicit-def: $vgpr1
.LBB222_1216:
	s_branch .LBB222_1218
.LBB222_1217:
	s_cmp_lg_u32 s10, 0
	s_mov_b32 s15, -1
	s_cselect_b32 s16, -1, 0
.LBB222_1218:
	v_max_num_f32_e32 v0, v0, v0
	s_and_not1_b32 vcc_lo, exec_lo, s16
	s_cbranch_vccnz .LBB222_1220
; %bb.1219:
	v_max_num_f32_e64 v1, s11, s11
	v_max_num_f32_e64 v3, s2, s2
	s_delay_alu instid0(VALU_DEP_1)
	v_maxmin_num_f32 v1, v0, v1, v3
	s_cbranch_execz .LBB222_1221
	s_branch .LBB222_1222
.LBB222_1220:
	s_and_not1_b32 vcc_lo, exec_lo, s15
	s_cbranch_vccnz .LBB222_1222
.LBB222_1221:
	v_max_num_f32_e64 v1, s11, s11
	s_delay_alu instid0(VALU_DEP_1)
	v_max_num_f32_e32 v1, v0, v1
.LBB222_1222:
	s_delay_alu instid0(VALU_DEP_1)
	v_mov_b32_e32 v0, v1
.LBB222_1223:
	s_or_b32 exec_lo, exec_lo, s12
	s_lshl_b32 s9, s9, 7
	s_cmp_lt_i32 s0, 11
	v_add_nc_u32_e32 v4, s9, v2
	s_delay_alu instid0(VALU_DEP_1) | instskip(NEXT) | instid1(VALU_DEP_1)
	v_ashrrev_i32_e32 v5, 31, v4
	v_add_nc_u64_e32 v[6:7], s[6:7], v[4:5]
	s_cbranch_scc1 .LBB222_1230
; %bb.1224:
	s_cmp_gt_i32 s0, 25
	s_mov_b32 s15, 0
	s_cbranch_scc0 .LBB222_1232
; %bb.1225:
	s_cmp_gt_i32 s0, 28
	s_cbranch_scc0 .LBB222_1233
; %bb.1226:
	s_cmp_gt_i32 s0, 43
	;; [unrolled: 3-line block ×3, first 2 shown]
	s_cbranch_scc0 .LBB222_1236
; %bb.1228:
	s_cmp_eq_u32 s0, 46
	s_mov_b32 s17, 0
	s_cbranch_scc0 .LBB222_1239
; %bb.1229:
	global_load_b32 v1, v[6:7], off
	s_mov_b32 s12, 0
	s_mov_b32 s16, -1
	s_wait_loadcnt 0x0
	v_lshlrev_b32_e32 v2, 16, v1
	s_branch .LBB222_1241
.LBB222_1230:
	s_mov_b32 s16, 0
                                        ; implicit-def: $vgpr2
	s_cbranch_execnz .LBB222_1306
.LBB222_1231:
	s_and_not1_b32 vcc_lo, exec_lo, s16
	s_cbranch_vccnz .LBB222_1645
	s_branch .LBB222_1353
.LBB222_1232:
	s_mov_b32 s16, 0
	s_mov_b32 s12, 0
                                        ; implicit-def: $vgpr2
	s_cbranch_execnz .LBB222_1270
	s_branch .LBB222_1302
.LBB222_1233:
	s_mov_b32 s17, -1
	s_mov_b32 s16, 0
	s_mov_b32 s12, 0
                                        ; implicit-def: $vgpr2
	s_branch .LBB222_1251
.LBB222_1234:
	s_mov_b32 s17, -1
	s_mov_b32 s16, 0
	s_mov_b32 s12, 0
                                        ; implicit-def: $vgpr2
	s_branch .LBB222_1246
.LBB222_1235:
	s_or_b32 s1, s14, exec_lo
	s_trap 2
	s_cbranch_execz .LBB222_1163
	s_branch .LBB222_1164
.LBB222_1236:
	s_mov_b32 s17, -1
	s_mov_b32 s16, 0
	s_mov_b32 s12, 0
	s_branch .LBB222_1240
.LBB222_1237:
	s_and_not1_saveexec_b32 s22, s22
	s_cbranch_execz .LBB222_1009
.LBB222_1238:
	v_add_f32_e64 v1, 0x42800000, |v0|
	s_and_not1_b32 s21, s21, exec_lo
	s_delay_alu instid0(VALU_DEP_1) | instskip(NEXT) | instid1(VALU_DEP_1)
	v_and_b32_e32 v1, 0xff, v1
	v_cmp_ne_u32_e32 vcc_lo, 0, v1
	s_and_b32 s23, vcc_lo, exec_lo
	s_delay_alu instid0(SALU_CYCLE_1)
	s_or_b32 s21, s21, s23
	s_or_b32 exec_lo, exec_lo, s22
	v_mov_b32_e32 v4, 0
	s_and_saveexec_b32 s22, s21
	s_cbranch_execnz .LBB222_1010
	s_branch .LBB222_1011
.LBB222_1239:
	s_mov_b32 s12, -1
	s_mov_b32 s16, 0
.LBB222_1240:
                                        ; implicit-def: $vgpr2
.LBB222_1241:
	s_and_b32 vcc_lo, exec_lo, s17
	s_cbranch_vccz .LBB222_1245
; %bb.1242:
	s_cmp_eq_u32 s0, 44
	s_cbranch_scc0 .LBB222_1244
; %bb.1243:
	global_load_u8 v1, v[6:7], off
	s_mov_b32 s12, 0
	s_mov_b32 s16, -1
	s_wait_loadcnt 0x0
	v_lshlrev_b32_e32 v2, 23, v1
	v_cmp_ne_u32_e32 vcc_lo, 0xff, v1
	s_delay_alu instid0(VALU_DEP_2) | instskip(SKIP_1) | instid1(VALU_DEP_2)
	v_cndmask_b32_e32 v2, 0x7f800001, v2, vcc_lo
	v_cmp_ne_u32_e32 vcc_lo, 0, v1
	v_cndmask_b32_e32 v2, 0x400000, v2, vcc_lo
	s_branch .LBB222_1245
.LBB222_1244:
	s_mov_b32 s12, -1
                                        ; implicit-def: $vgpr2
.LBB222_1245:
	s_mov_b32 s17, 0
.LBB222_1246:
	s_delay_alu instid0(SALU_CYCLE_1)
	s_and_b32 vcc_lo, exec_lo, s17
	s_cbranch_vccz .LBB222_1250
; %bb.1247:
	s_cmp_eq_u32 s0, 29
	s_cbranch_scc0 .LBB222_1249
; %bb.1248:
	global_load_b64 v[2:3], v[6:7], off
	s_mov_b32 s12, 0
	s_mov_b32 s16, -1
	s_mov_b32 s17, 0
	s_wait_loadcnt 0x0
	v_clz_i32_u32_e32 v1, v3
	s_delay_alu instid0(VALU_DEP_1) | instskip(NEXT) | instid1(VALU_DEP_1)
	v_min_u32_e32 v1, 32, v1
	v_lshlrev_b64_e32 v[2:3], v1, v[2:3]
	v_sub_nc_u32_e32 v1, 32, v1
	s_delay_alu instid0(VALU_DEP_2) | instskip(NEXT) | instid1(VALU_DEP_1)
	v_min_u32_e32 v2, 1, v2
	v_or_b32_e32 v2, v3, v2
	s_delay_alu instid0(VALU_DEP_1) | instskip(NEXT) | instid1(VALU_DEP_1)
	v_cvt_f32_u32_e32 v2, v2
	v_ldexp_f32 v2, v2, v1
	s_branch .LBB222_1251
.LBB222_1249:
	s_mov_b32 s12, -1
                                        ; implicit-def: $vgpr2
.LBB222_1250:
	s_mov_b32 s17, 0
.LBB222_1251:
	s_delay_alu instid0(SALU_CYCLE_1)
	s_and_b32 vcc_lo, exec_lo, s17
	s_cbranch_vccz .LBB222_1269
; %bb.1252:
	s_cmp_lt_i32 s0, 27
	s_cbranch_scc1 .LBB222_1255
; %bb.1253:
	s_cmp_gt_i32 s0, 27
	s_cbranch_scc0 .LBB222_1256
; %bb.1254:
	global_load_b32 v1, v[6:7], off
	s_mov_b32 s16, 0
	s_wait_loadcnt 0x0
	v_cvt_f32_u32_e32 v2, v1
	s_branch .LBB222_1257
.LBB222_1255:
	s_mov_b32 s16, -1
                                        ; implicit-def: $vgpr2
	s_branch .LBB222_1260
.LBB222_1256:
	s_mov_b32 s16, -1
                                        ; implicit-def: $vgpr2
.LBB222_1257:
	s_delay_alu instid0(SALU_CYCLE_1)
	s_and_not1_b32 vcc_lo, exec_lo, s16
	s_cbranch_vccnz .LBB222_1259
; %bb.1258:
	global_load_u16 v1, v[6:7], off
	s_wait_loadcnt 0x0
	v_cvt_f32_u32_e32 v2, v1
.LBB222_1259:
	s_mov_b32 s16, 0
.LBB222_1260:
	s_delay_alu instid0(SALU_CYCLE_1)
	s_and_not1_b32 vcc_lo, exec_lo, s16
	s_cbranch_vccnz .LBB222_1268
; %bb.1261:
	global_load_u8 v1, v[6:7], off
	s_mov_b32 s16, 0
	s_mov_b32 s17, exec_lo
	s_wait_loadcnt 0x0
	v_cmpx_lt_i16_e32 0x7f, v1
	s_xor_b32 s17, exec_lo, s17
	s_cbranch_execz .LBB222_1281
; %bb.1262:
	s_mov_b32 s16, -1
	s_mov_b32 s18, exec_lo
	v_cmpx_eq_u16_e32 0x80, v1
; %bb.1263:
	s_xor_b32 s16, exec_lo, -1
; %bb.1264:
	s_or_b32 exec_lo, exec_lo, s18
	s_delay_alu instid0(SALU_CYCLE_1)
	s_and_b32 s16, s16, exec_lo
	s_or_saveexec_b32 s17, s17
	v_mov_b32_e32 v2, 0x7f800001
	s_xor_b32 exec_lo, exec_lo, s17
	s_cbranch_execnz .LBB222_1282
.LBB222_1265:
	s_or_b32 exec_lo, exec_lo, s17
	s_and_saveexec_b32 s17, s16
	s_cbranch_execz .LBB222_1267
.LBB222_1266:
	v_and_b32_e32 v2, 0xffff, v1
	s_delay_alu instid0(VALU_DEP_1) | instskip(SKIP_1) | instid1(VALU_DEP_2)
	v_and_b32_e32 v3, 7, v2
	v_bfe_u32 v9, v2, 3, 4
	v_clz_i32_u32_e32 v5, v3
	s_delay_alu instid0(VALU_DEP_2) | instskip(NEXT) | instid1(VALU_DEP_2)
	v_cmp_eq_u32_e32 vcc_lo, 0, v9
	v_min_u32_e32 v5, 32, v5
	s_delay_alu instid0(VALU_DEP_1) | instskip(NEXT) | instid1(VALU_DEP_1)
	v_subrev_nc_u32_e32 v8, 28, v5
	v_dual_lshlrev_b32 v2, v8, v2 :: v_dual_sub_nc_u32 v5, 29, v5
	s_delay_alu instid0(VALU_DEP_1) | instskip(NEXT) | instid1(VALU_DEP_1)
	v_dual_lshlrev_b32 v1, 24, v1 :: v_dual_bitop2_b32 v2, 7, v2 bitop3:0x40
	v_dual_cndmask_b32 v2, v3, v2 :: v_dual_cndmask_b32 v5, v9, v5
	s_delay_alu instid0(VALU_DEP_2) | instskip(NEXT) | instid1(VALU_DEP_2)
	v_and_b32_e32 v1, 0x80000000, v1
	v_lshlrev_b32_e32 v2, 20, v2
	s_delay_alu instid0(VALU_DEP_3) | instskip(NEXT) | instid1(VALU_DEP_1)
	v_lshl_add_u32 v3, v5, 23, 0x3b800000
	v_or3_b32 v2, v1, v3, v2
.LBB222_1267:
	s_or_b32 exec_lo, exec_lo, s17
.LBB222_1268:
	s_mov_b32 s16, -1
.LBB222_1269:
	s_branch .LBB222_1302
.LBB222_1270:
	s_cmp_gt_i32 s0, 22
	s_cbranch_scc0 .LBB222_1280
; %bb.1271:
	s_cmp_lt_i32 s0, 24
	s_cbranch_scc1 .LBB222_1283
; %bb.1272:
	s_cmp_gt_i32 s0, 24
	s_cbranch_scc0 .LBB222_1284
; %bb.1273:
	global_load_u8 v1, v[6:7], off
	s_mov_b32 s16, exec_lo
	s_wait_loadcnt 0x0
	v_cmpx_lt_i16_e32 0x7f, v1
	s_xor_b32 s16, exec_lo, s16
	s_cbranch_execz .LBB222_1296
; %bb.1274:
	s_mov_b32 s15, -1
	s_mov_b32 s17, exec_lo
	v_cmpx_eq_u16_e32 0x80, v1
; %bb.1275:
	s_xor_b32 s15, exec_lo, -1
; %bb.1276:
	s_or_b32 exec_lo, exec_lo, s17
	s_delay_alu instid0(SALU_CYCLE_1)
	s_and_b32 s15, s15, exec_lo
	s_or_saveexec_b32 s16, s16
	v_mov_b32_e32 v2, 0x7f800001
	s_xor_b32 exec_lo, exec_lo, s16
	s_cbranch_execnz .LBB222_1297
.LBB222_1277:
	s_or_b32 exec_lo, exec_lo, s16
	s_and_saveexec_b32 s16, s15
	s_cbranch_execz .LBB222_1279
.LBB222_1278:
	v_and_b32_e32 v2, 0xffff, v1
	s_delay_alu instid0(VALU_DEP_1) | instskip(SKIP_1) | instid1(VALU_DEP_2)
	v_and_b32_e32 v3, 3, v2
	v_bfe_u32 v9, v2, 2, 5
	v_clz_i32_u32_e32 v5, v3
	s_delay_alu instid0(VALU_DEP_2) | instskip(NEXT) | instid1(VALU_DEP_2)
	v_cmp_eq_u32_e32 vcc_lo, 0, v9
	v_min_u32_e32 v5, 32, v5
	s_delay_alu instid0(VALU_DEP_1) | instskip(NEXT) | instid1(VALU_DEP_1)
	v_subrev_nc_u32_e32 v8, 29, v5
	v_dual_lshlrev_b32 v2, v8, v2 :: v_dual_sub_nc_u32 v5, 30, v5
	s_delay_alu instid0(VALU_DEP_1) | instskip(NEXT) | instid1(VALU_DEP_1)
	v_dual_lshlrev_b32 v1, 24, v1 :: v_dual_bitop2_b32 v2, 3, v2 bitop3:0x40
	v_dual_cndmask_b32 v2, v3, v2 :: v_dual_cndmask_b32 v5, v9, v5
	s_delay_alu instid0(VALU_DEP_2) | instskip(NEXT) | instid1(VALU_DEP_2)
	v_and_b32_e32 v1, 0x80000000, v1
	v_lshlrev_b32_e32 v2, 21, v2
	s_delay_alu instid0(VALU_DEP_3) | instskip(NEXT) | instid1(VALU_DEP_1)
	v_lshl_add_u32 v3, v5, 23, 0x37800000
	v_or3_b32 v2, v1, v3, v2
.LBB222_1279:
	s_or_b32 exec_lo, exec_lo, s16
	s_mov_b32 s15, 0
	s_branch .LBB222_1285
.LBB222_1280:
	s_mov_b32 s15, -1
                                        ; implicit-def: $vgpr2
	s_branch .LBB222_1291
.LBB222_1281:
	s_or_saveexec_b32 s17, s17
	v_mov_b32_e32 v2, 0x7f800001
	s_xor_b32 exec_lo, exec_lo, s17
	s_cbranch_execz .LBB222_1265
.LBB222_1282:
	v_cmp_ne_u16_e32 vcc_lo, 0, v1
	v_mov_b32_e32 v2, 0
	s_and_not1_b32 s16, s16, exec_lo
	s_and_b32 s18, vcc_lo, exec_lo
	s_delay_alu instid0(SALU_CYCLE_1)
	s_or_b32 s16, s16, s18
	s_or_b32 exec_lo, exec_lo, s17
	s_and_saveexec_b32 s17, s16
	s_cbranch_execnz .LBB222_1266
	s_branch .LBB222_1267
.LBB222_1283:
	s_mov_b32 s15, -1
                                        ; implicit-def: $vgpr2
	s_branch .LBB222_1288
.LBB222_1284:
	s_mov_b32 s15, -1
                                        ; implicit-def: $vgpr2
.LBB222_1285:
	s_delay_alu instid0(SALU_CYCLE_1)
	s_and_b32 vcc_lo, exec_lo, s15
	s_cbranch_vccz .LBB222_1287
; %bb.1286:
	global_load_u8 v1, v[6:7], off
	s_wait_loadcnt 0x0
	v_lshlrev_b32_e32 v1, 24, v1
	s_delay_alu instid0(VALU_DEP_1) | instskip(NEXT) | instid1(VALU_DEP_1)
	v_and_b32_e32 v2, 0x7f000000, v1
	v_clz_i32_u32_e32 v3, v2
	v_add_nc_u32_e32 v8, 0x1000000, v2
	v_cmp_ne_u32_e32 vcc_lo, 0, v2
	s_delay_alu instid0(VALU_DEP_3) | instskip(NEXT) | instid1(VALU_DEP_1)
	v_min_u32_e32 v3, 32, v3
	v_sub_nc_u32_e64 v3, v3, 4 clamp
	s_delay_alu instid0(VALU_DEP_1) | instskip(NEXT) | instid1(VALU_DEP_1)
	v_dual_lshlrev_b32 v5, v3, v2 :: v_dual_lshlrev_b32 v3, 23, v3
	v_lshrrev_b32_e32 v5, 4, v5
	s_delay_alu instid0(VALU_DEP_1) | instskip(NEXT) | instid1(VALU_DEP_1)
	v_dual_sub_nc_u32 v3, v5, v3 :: v_dual_ashrrev_i32 v5, 8, v8
	v_add_nc_u32_e32 v3, 0x3c000000, v3
	s_delay_alu instid0(VALU_DEP_1) | instskip(NEXT) | instid1(VALU_DEP_1)
	v_and_or_b32 v3, 0x7f800000, v5, v3
	v_cndmask_b32_e32 v2, 0, v3, vcc_lo
	s_delay_alu instid0(VALU_DEP_1)
	v_and_or_b32 v2, 0x80000000, v1, v2
.LBB222_1287:
	s_mov_b32 s15, 0
.LBB222_1288:
	s_delay_alu instid0(SALU_CYCLE_1)
	s_and_not1_b32 vcc_lo, exec_lo, s15
	s_cbranch_vccnz .LBB222_1290
; %bb.1289:
	global_load_u8 v1, v[6:7], off
	s_wait_loadcnt 0x0
	v_lshlrev_b32_e32 v2, 25, v1
	v_lshlrev_b16 v1, 8, v1
	s_delay_alu instid0(VALU_DEP_1) | instskip(NEXT) | instid1(VALU_DEP_3)
	v_and_or_b32 v5, 0x7f00, v1, 0.5
	v_lshrrev_b32_e32 v3, 4, v2
	v_bfe_i32 v1, v1, 0, 16
	s_delay_alu instid0(VALU_DEP_3) | instskip(NEXT) | instid1(VALU_DEP_3)
	v_add_f32_e32 v5, -0.5, v5
	v_or_b32_e32 v3, 0x70000000, v3
	s_delay_alu instid0(VALU_DEP_1) | instskip(SKIP_1) | instid1(VALU_DEP_2)
	v_mul_f32_e32 v3, 0x7800000, v3
	v_cmp_gt_u32_e32 vcc_lo, 0x8000000, v2
	v_cndmask_b32_e32 v2, v3, v5, vcc_lo
	s_delay_alu instid0(VALU_DEP_1)
	v_and_or_b32 v2, 0x80000000, v1, v2
.LBB222_1290:
	s_mov_b32 s15, 0
	s_mov_b32 s16, -1
.LBB222_1291:
	s_and_not1_b32 vcc_lo, exec_lo, s15
	s_mov_b32 s15, 0
	s_cbranch_vccnz .LBB222_1302
; %bb.1292:
	s_cmp_gt_i32 s0, 14
	s_cbranch_scc0 .LBB222_1295
; %bb.1293:
	s_cmp_eq_u32 s0, 15
	s_cbranch_scc0 .LBB222_1298
; %bb.1294:
	global_load_u16 v1, v[6:7], off
	s_mov_b32 s12, 0
	s_mov_b32 s16, -1
	s_wait_loadcnt 0x0
	v_lshlrev_b32_e32 v2, 16, v1
	s_branch .LBB222_1300
.LBB222_1295:
	s_mov_b32 s15, -1
	s_branch .LBB222_1299
.LBB222_1296:
	s_or_saveexec_b32 s16, s16
	v_mov_b32_e32 v2, 0x7f800001
	s_xor_b32 exec_lo, exec_lo, s16
	s_cbranch_execz .LBB222_1277
.LBB222_1297:
	v_cmp_ne_u16_e32 vcc_lo, 0, v1
	v_mov_b32_e32 v2, 0
	s_and_not1_b32 s15, s15, exec_lo
	s_and_b32 s17, vcc_lo, exec_lo
	s_delay_alu instid0(SALU_CYCLE_1)
	s_or_b32 s15, s15, s17
	s_or_b32 exec_lo, exec_lo, s16
	s_and_saveexec_b32 s16, s15
	s_cbranch_execnz .LBB222_1278
	s_branch .LBB222_1279
.LBB222_1298:
	s_mov_b32 s12, -1
.LBB222_1299:
                                        ; implicit-def: $vgpr2
.LBB222_1300:
	s_and_b32 vcc_lo, exec_lo, s15
	s_mov_b32 s15, 0
	s_cbranch_vccz .LBB222_1302
; %bb.1301:
	s_cmp_lg_u32 s0, 11
	s_mov_b32 s15, -1
	s_cselect_b32 s12, -1, 0
.LBB222_1302:
	s_delay_alu instid0(SALU_CYCLE_1)
	s_and_b32 vcc_lo, exec_lo, s12
	s_cbranch_vccnz .LBB222_1378
; %bb.1303:
	s_and_not1_b32 vcc_lo, exec_lo, s15
	s_cbranch_vccnz .LBB222_1305
.LBB222_1304:
	global_load_u8 v1, v[6:7], off
	s_mov_b32 s16, -1
	s_wait_loadcnt 0x0
	v_cmp_ne_u16_e32 vcc_lo, 0, v1
	v_cndmask_b32_e64 v2, 0, 1.0, vcc_lo
.LBB222_1305:
	s_branch .LBB222_1231
.LBB222_1306:
	s_cmp_lt_i32 s0, 5
	s_cbranch_scc1 .LBB222_1311
; %bb.1307:
	s_cmp_lt_i32 s0, 8
	s_cbranch_scc1 .LBB222_1312
; %bb.1308:
	;; [unrolled: 3-line block ×3, first 2 shown]
	s_cmp_gt_i32 s0, 9
	s_cbranch_scc0 .LBB222_1314
; %bb.1310:
	global_load_b64 v[2:3], v[6:7], off
	s_mov_b32 s12, 0
	s_wait_loadcnt 0x0
	v_cvt_f32_f64_e32 v2, v[2:3]
	s_branch .LBB222_1315
.LBB222_1311:
                                        ; implicit-def: $vgpr2
	s_branch .LBB222_1333
.LBB222_1312:
	s_mov_b32 s12, -1
                                        ; implicit-def: $vgpr2
	s_branch .LBB222_1321
.LBB222_1313:
	s_mov_b32 s12, -1
                                        ; implicit-def: $vgpr2
	s_branch .LBB222_1318
.LBB222_1314:
	s_mov_b32 s12, -1
                                        ; implicit-def: $vgpr2
.LBB222_1315:
	s_delay_alu instid0(SALU_CYCLE_1)
	s_and_not1_b32 vcc_lo, exec_lo, s12
	s_cbranch_vccnz .LBB222_1317
; %bb.1316:
	global_load_b32 v2, v[6:7], off
.LBB222_1317:
	s_mov_b32 s12, 0
.LBB222_1318:
	s_delay_alu instid0(SALU_CYCLE_1)
	s_and_not1_b32 vcc_lo, exec_lo, s12
	s_cbranch_vccnz .LBB222_1320
; %bb.1319:
	global_load_b32 v1, v[6:7], off
	s_wait_loadcnt 0x0
	v_cvt_f32_f16_e32 v2, v1
.LBB222_1320:
	s_mov_b32 s12, 0
.LBB222_1321:
	s_delay_alu instid0(SALU_CYCLE_1)
	s_and_not1_b32 vcc_lo, exec_lo, s12
	s_cbranch_vccnz .LBB222_1332
; %bb.1322:
	s_cmp_lt_i32 s0, 6
	s_cbranch_scc1 .LBB222_1325
; %bb.1323:
	s_cmp_gt_i32 s0, 6
	s_cbranch_scc0 .LBB222_1326
; %bb.1324:
	s_wait_loadcnt 0x0
	global_load_b64 v[2:3], v[6:7], off
	s_mov_b32 s12, 0
	s_wait_loadcnt 0x0
	v_cvt_f32_f64_e32 v2, v[2:3]
	s_branch .LBB222_1327
.LBB222_1325:
	s_mov_b32 s12, -1
                                        ; implicit-def: $vgpr2
	s_branch .LBB222_1330
.LBB222_1326:
	s_mov_b32 s12, -1
                                        ; implicit-def: $vgpr2
.LBB222_1327:
	s_delay_alu instid0(SALU_CYCLE_1)
	s_and_not1_b32 vcc_lo, exec_lo, s12
	s_cbranch_vccnz .LBB222_1329
; %bb.1328:
	s_wait_loadcnt 0x0
	global_load_b32 v2, v[6:7], off
.LBB222_1329:
	s_mov_b32 s12, 0
.LBB222_1330:
	s_delay_alu instid0(SALU_CYCLE_1)
	s_and_not1_b32 vcc_lo, exec_lo, s12
	s_cbranch_vccnz .LBB222_1332
; %bb.1331:
	global_load_u16 v1, v[6:7], off
	s_wait_loadcnt 0x0
	v_cvt_f32_f16_e32 v2, v1
.LBB222_1332:
	s_cbranch_execnz .LBB222_1352
.LBB222_1333:
	s_cmp_lt_i32 s0, 2
	s_cbranch_scc1 .LBB222_1337
; %bb.1334:
	s_cmp_lt_i32 s0, 3
	s_cbranch_scc1 .LBB222_1338
; %bb.1335:
	s_cmp_gt_i32 s0, 3
	s_cbranch_scc0 .LBB222_1339
; %bb.1336:
	s_wait_loadcnt 0x0
	global_load_b64 v[2:3], v[6:7], off
	s_mov_b32 s12, 0
	s_wait_loadcnt 0x0
	v_xor_b32_e32 v1, v2, v3
	v_cls_i32_e32 v5, v3
	s_delay_alu instid0(VALU_DEP_2) | instskip(NEXT) | instid1(VALU_DEP_1)
	v_ashrrev_i32_e32 v1, 31, v1
	v_add_nc_u32_e32 v1, 32, v1
	s_delay_alu instid0(VALU_DEP_1) | instskip(NEXT) | instid1(VALU_DEP_1)
	v_add_min_u32_e64 v1, v5, -1, v1
	v_lshlrev_b64_e32 v[2:3], v1, v[2:3]
	v_sub_nc_u32_e32 v1, 32, v1
	s_delay_alu instid0(VALU_DEP_2) | instskip(NEXT) | instid1(VALU_DEP_1)
	v_min_u32_e32 v2, 1, v2
	v_or_b32_e32 v2, v3, v2
	s_delay_alu instid0(VALU_DEP_1) | instskip(NEXT) | instid1(VALU_DEP_1)
	v_cvt_f32_i32_e32 v2, v2
	v_ldexp_f32 v2, v2, v1
	s_branch .LBB222_1340
.LBB222_1337:
	s_mov_b32 s12, -1
                                        ; implicit-def: $vgpr2
	s_branch .LBB222_1346
.LBB222_1338:
	s_mov_b32 s12, -1
                                        ; implicit-def: $vgpr2
	s_branch .LBB222_1343
.LBB222_1339:
	s_mov_b32 s12, -1
                                        ; implicit-def: $vgpr2
.LBB222_1340:
	s_delay_alu instid0(SALU_CYCLE_1)
	s_and_not1_b32 vcc_lo, exec_lo, s12
	s_cbranch_vccnz .LBB222_1342
; %bb.1341:
	global_load_b32 v1, v[6:7], off
	s_wait_loadcnt 0x0
	v_cvt_f32_i32_e32 v2, v1
.LBB222_1342:
	s_mov_b32 s12, 0
.LBB222_1343:
	s_delay_alu instid0(SALU_CYCLE_1)
	s_and_not1_b32 vcc_lo, exec_lo, s12
	s_cbranch_vccnz .LBB222_1345
; %bb.1344:
	global_load_i16 v1, v[6:7], off
	s_wait_loadcnt 0x0
	v_cvt_f32_i32_e32 v2, v1
.LBB222_1345:
	s_mov_b32 s12, 0
.LBB222_1346:
	s_delay_alu instid0(SALU_CYCLE_1)
	s_and_not1_b32 vcc_lo, exec_lo, s12
	s_cbranch_vccnz .LBB222_1352
; %bb.1347:
	s_cmp_gt_i32 s0, 0
	s_mov_b32 s12, 0
	s_cbranch_scc0 .LBB222_1349
; %bb.1348:
	global_load_i8 v1, v[6:7], off
	s_wait_loadcnt 0x0
	v_cvt_f32_i32_e32 v2, v1
	s_branch .LBB222_1350
.LBB222_1349:
	s_mov_b32 s12, -1
                                        ; implicit-def: $vgpr2
.LBB222_1350:
	s_delay_alu instid0(SALU_CYCLE_1)
	s_and_not1_b32 vcc_lo, exec_lo, s12
	s_cbranch_vccnz .LBB222_1352
; %bb.1351:
	global_load_u8 v1, v[6:7], off
	s_wait_loadcnt 0x0
	v_cvt_f32_ubyte0_e32 v2, v1
.LBB222_1352:
.LBB222_1353:
	s_mov_b32 s12, exec_lo
	s_wait_loadcnt 0x0
	s_delay_alu instid0(VALU_DEP_1)
	v_cmpx_o_f32_e32 v2, v2
	s_cbranch_execz .LBB222_1366
; %bb.1354:
	s_cmp_lt_i32 s10, 1
	s_mov_b32 s15, 0
	s_cbranch_scc1 .LBB222_1357
; %bb.1355:
	s_cmp_eq_u32 s10, 1
	s_cbranch_scc0 .LBB222_1360
; %bb.1356:
	v_max_num_f32_e64 v1, s11, s11
	v_max_num_f32_e32 v3, v2, v2
	s_mov_b32 s16, 0
	s_delay_alu instid0(VALU_DEP_1)
	v_min_num_f32_e32 v1, v3, v1
	s_branch .LBB222_1361
.LBB222_1357:
	s_mov_b32 s16, 0
                                        ; implicit-def: $vgpr1
	s_cbranch_execnz .LBB222_1362
.LBB222_1358:
	v_max_num_f32_e32 v2, v2, v2
	s_and_not1_b32 vcc_lo, exec_lo, s16
	s_cbranch_vccnz .LBB222_1363
.LBB222_1359:
	v_max_num_f32_e64 v1, s11, s11
	v_max_num_f32_e64 v3, s2, s2
	s_delay_alu instid0(VALU_DEP_1)
	v_maxmin_num_f32 v1, v2, v1, v3
	s_cbranch_execz .LBB222_1364
	s_branch .LBB222_1365
.LBB222_1360:
	s_mov_b32 s16, -1
                                        ; implicit-def: $vgpr1
.LBB222_1361:
	s_branch .LBB222_1358
.LBB222_1362:
	s_cmp_lg_u32 s10, 0
	s_mov_b32 s15, -1
	s_cselect_b32 s16, -1, 0
	v_max_num_f32_e32 v2, v2, v2
	s_and_not1_b32 vcc_lo, exec_lo, s16
	s_cbranch_vccz .LBB222_1359
.LBB222_1363:
	s_and_not1_b32 vcc_lo, exec_lo, s15
	s_cbranch_vccnz .LBB222_1365
.LBB222_1364:
	v_max_num_f32_e64 v1, s11, s11
	s_delay_alu instid0(VALU_DEP_1)
	v_max_num_f32_e32 v1, v2, v1
.LBB222_1365:
	s_delay_alu instid0(VALU_DEP_1)
	v_mov_b32_e32 v2, v1
.LBB222_1366:
	s_or_b32 exec_lo, exec_lo, s12
	v_add_nc_u32_e32 v4, s9, v4
	s_cmp_lt_i32 s0, 11
	s_delay_alu instid0(VALU_DEP_1) | instskip(NEXT) | instid1(VALU_DEP_1)
	v_ashrrev_i32_e32 v5, 31, v4
	v_add_nc_u64_e32 v[8:9], s[6:7], v[4:5]
	s_cbranch_scc1 .LBB222_1373
; %bb.1367:
	s_cmp_gt_i32 s0, 25
	s_mov_b32 s15, 0
	s_cbranch_scc0 .LBB222_1375
; %bb.1368:
	s_cmp_gt_i32 s0, 28
	s_cbranch_scc0 .LBB222_1376
; %bb.1369:
	s_cmp_gt_i32 s0, 43
	;; [unrolled: 3-line block ×3, first 2 shown]
	s_cbranch_scc0 .LBB222_1379
; %bb.1371:
	s_cmp_eq_u32 s0, 46
	s_mov_b32 s17, 0
	s_cbranch_scc0 .LBB222_1380
; %bb.1372:
	global_load_b32 v1, v[8:9], off
	s_mov_b32 s12, 0
	s_mov_b32 s16, -1
	s_wait_loadcnt 0x0
	v_lshlrev_b32_e32 v6, 16, v1
	s_branch .LBB222_1382
.LBB222_1373:
	s_mov_b32 s16, 0
                                        ; implicit-def: $vgpr6
	s_cbranch_execnz .LBB222_1448
.LBB222_1374:
	s_and_not1_b32 vcc_lo, exec_lo, s16
	s_cbranch_vccnz .LBB222_1645
	s_branch .LBB222_1496
.LBB222_1375:
	s_mov_b32 s17, -1
	s_mov_b32 s16, 0
	s_mov_b32 s12, 0
                                        ; implicit-def: $vgpr6
	s_branch .LBB222_1411
.LBB222_1376:
	s_mov_b32 s17, -1
	s_mov_b32 s16, 0
	s_mov_b32 s12, 0
                                        ; implicit-def: $vgpr6
	s_branch .LBB222_1392
.LBB222_1377:
	s_mov_b32 s17, -1
	s_mov_b32 s16, 0
	s_mov_b32 s12, 0
                                        ; implicit-def: $vgpr6
	s_branch .LBB222_1387
.LBB222_1378:
	s_or_b32 s1, s1, exec_lo
	s_trap 2
	s_cbranch_execz .LBB222_1304
	s_branch .LBB222_1305
.LBB222_1379:
	s_mov_b32 s17, -1
	s_mov_b32 s16, 0
	s_mov_b32 s12, 0
	s_branch .LBB222_1381
.LBB222_1380:
	s_mov_b32 s12, -1
	s_mov_b32 s16, 0
.LBB222_1381:
                                        ; implicit-def: $vgpr6
.LBB222_1382:
	s_and_b32 vcc_lo, exec_lo, s17
	s_cbranch_vccz .LBB222_1386
; %bb.1383:
	s_cmp_eq_u32 s0, 44
	s_cbranch_scc0 .LBB222_1385
; %bb.1384:
	global_load_u8 v1, v[8:9], off
	s_mov_b32 s12, 0
	s_mov_b32 s16, -1
	s_wait_loadcnt 0x0
	v_lshlrev_b32_e32 v3, 23, v1
	v_cmp_ne_u32_e32 vcc_lo, 0xff, v1
	s_delay_alu instid0(VALU_DEP_2) | instskip(SKIP_1) | instid1(VALU_DEP_2)
	v_cndmask_b32_e32 v3, 0x7f800001, v3, vcc_lo
	v_cmp_ne_u32_e32 vcc_lo, 0, v1
	v_cndmask_b32_e32 v6, 0x400000, v3, vcc_lo
	s_branch .LBB222_1386
.LBB222_1385:
	s_mov_b32 s12, -1
                                        ; implicit-def: $vgpr6
.LBB222_1386:
	s_mov_b32 s17, 0
.LBB222_1387:
	s_delay_alu instid0(SALU_CYCLE_1)
	s_and_b32 vcc_lo, exec_lo, s17
	s_cbranch_vccz .LBB222_1391
; %bb.1388:
	s_cmp_eq_u32 s0, 29
	s_cbranch_scc0 .LBB222_1390
; %bb.1389:
	global_load_b64 v[6:7], v[8:9], off
	s_mov_b32 s12, 0
	s_mov_b32 s16, -1
	s_mov_b32 s17, 0
	s_wait_loadcnt 0x0
	v_clz_i32_u32_e32 v1, v7
	s_delay_alu instid0(VALU_DEP_1) | instskip(NEXT) | instid1(VALU_DEP_1)
	v_min_u32_e32 v1, 32, v1
	v_lshlrev_b64_e32 v[6:7], v1, v[6:7]
	v_sub_nc_u32_e32 v1, 32, v1
	s_delay_alu instid0(VALU_DEP_2) | instskip(NEXT) | instid1(VALU_DEP_1)
	v_min_u32_e32 v3, 1, v6
	v_or_b32_e32 v3, v7, v3
	s_delay_alu instid0(VALU_DEP_1) | instskip(NEXT) | instid1(VALU_DEP_1)
	v_cvt_f32_u32_e32 v3, v3
	v_ldexp_f32 v6, v3, v1
	s_branch .LBB222_1392
.LBB222_1390:
	s_mov_b32 s12, -1
                                        ; implicit-def: $vgpr6
.LBB222_1391:
	s_mov_b32 s17, 0
.LBB222_1392:
	s_delay_alu instid0(SALU_CYCLE_1)
	s_and_b32 vcc_lo, exec_lo, s17
	s_cbranch_vccz .LBB222_1410
; %bb.1393:
	s_cmp_lt_i32 s0, 27
	s_cbranch_scc1 .LBB222_1396
; %bb.1394:
	s_cmp_gt_i32 s0, 27
	s_cbranch_scc0 .LBB222_1397
; %bb.1395:
	global_load_b32 v1, v[8:9], off
	s_mov_b32 s16, 0
	s_wait_loadcnt 0x0
	v_cvt_f32_u32_e32 v6, v1
	s_branch .LBB222_1398
.LBB222_1396:
	s_mov_b32 s16, -1
                                        ; implicit-def: $vgpr6
	s_branch .LBB222_1401
.LBB222_1397:
	s_mov_b32 s16, -1
                                        ; implicit-def: $vgpr6
.LBB222_1398:
	s_delay_alu instid0(SALU_CYCLE_1)
	s_and_not1_b32 vcc_lo, exec_lo, s16
	s_cbranch_vccnz .LBB222_1400
; %bb.1399:
	global_load_u16 v1, v[8:9], off
	s_wait_loadcnt 0x0
	v_cvt_f32_u32_e32 v6, v1
.LBB222_1400:
	s_mov_b32 s16, 0
.LBB222_1401:
	s_delay_alu instid0(SALU_CYCLE_1)
	s_and_not1_b32 vcc_lo, exec_lo, s16
	s_cbranch_vccnz .LBB222_1409
; %bb.1402:
	global_load_u8 v1, v[8:9], off
	s_mov_b32 s16, 0
	s_mov_b32 s17, exec_lo
	s_wait_loadcnt 0x0
	v_cmpx_lt_i16_e32 0x7f, v1
	s_xor_b32 s17, exec_lo, s17
	s_cbranch_execz .LBB222_1423
; %bb.1403:
	s_mov_b32 s16, -1
	s_mov_b32 s18, exec_lo
	v_cmpx_eq_u16_e32 0x80, v1
; %bb.1404:
	s_xor_b32 s16, exec_lo, -1
; %bb.1405:
	s_or_b32 exec_lo, exec_lo, s18
	s_delay_alu instid0(SALU_CYCLE_1)
	s_and_b32 s16, s16, exec_lo
	s_or_saveexec_b32 s17, s17
	v_mov_b32_e32 v6, 0x7f800001
	s_xor_b32 exec_lo, exec_lo, s17
	s_cbranch_execnz .LBB222_1424
.LBB222_1406:
	s_or_b32 exec_lo, exec_lo, s17
	s_and_saveexec_b32 s17, s16
	s_cbranch_execz .LBB222_1408
.LBB222_1407:
	v_and_b32_e32 v3, 0xffff, v1
	s_delay_alu instid0(VALU_DEP_1) | instskip(SKIP_1) | instid1(VALU_DEP_2)
	v_and_b32_e32 v5, 7, v3
	v_bfe_u32 v11, v3, 3, 4
	v_clz_i32_u32_e32 v6, v5
	s_delay_alu instid0(VALU_DEP_2) | instskip(NEXT) | instid1(VALU_DEP_2)
	v_cmp_eq_u32_e32 vcc_lo, 0, v11
	v_min_u32_e32 v6, 32, v6
	s_delay_alu instid0(VALU_DEP_1) | instskip(NEXT) | instid1(VALU_DEP_1)
	v_subrev_nc_u32_e32 v7, 28, v6
	v_dual_lshlrev_b32 v3, v7, v3 :: v_dual_sub_nc_u32 v6, 29, v6
	s_delay_alu instid0(VALU_DEP_1) | instskip(NEXT) | instid1(VALU_DEP_1)
	v_dual_lshlrev_b32 v1, 24, v1 :: v_dual_bitop2_b32 v3, 7, v3 bitop3:0x40
	v_dual_cndmask_b32 v6, v11, v6 :: v_dual_cndmask_b32 v3, v5, v3
	s_delay_alu instid0(VALU_DEP_2) | instskip(NEXT) | instid1(VALU_DEP_2)
	v_and_b32_e32 v1, 0x80000000, v1
	v_lshl_add_u32 v5, v6, 23, 0x3b800000
	s_delay_alu instid0(VALU_DEP_3) | instskip(NEXT) | instid1(VALU_DEP_1)
	v_lshlrev_b32_e32 v3, 20, v3
	v_or3_b32 v6, v1, v5, v3
.LBB222_1408:
	s_or_b32 exec_lo, exec_lo, s17
.LBB222_1409:
	s_mov_b32 s16, -1
.LBB222_1410:
	s_mov_b32 s17, 0
.LBB222_1411:
	s_delay_alu instid0(SALU_CYCLE_1)
	s_and_b32 vcc_lo, exec_lo, s17
	s_cbranch_vccz .LBB222_1444
; %bb.1412:
	s_cmp_gt_i32 s0, 22
	s_cbranch_scc0 .LBB222_1422
; %bb.1413:
	s_cmp_lt_i32 s0, 24
	s_cbranch_scc1 .LBB222_1425
; %bb.1414:
	s_cmp_gt_i32 s0, 24
	s_cbranch_scc0 .LBB222_1426
; %bb.1415:
	global_load_u8 v1, v[8:9], off
	s_mov_b32 s16, exec_lo
	s_wait_loadcnt 0x0
	v_cmpx_lt_i16_e32 0x7f, v1
	s_xor_b32 s16, exec_lo, s16
	s_cbranch_execz .LBB222_1438
; %bb.1416:
	s_mov_b32 s15, -1
	s_mov_b32 s17, exec_lo
	v_cmpx_eq_u16_e32 0x80, v1
; %bb.1417:
	s_xor_b32 s15, exec_lo, -1
; %bb.1418:
	s_or_b32 exec_lo, exec_lo, s17
	s_delay_alu instid0(SALU_CYCLE_1)
	s_and_b32 s15, s15, exec_lo
	s_or_saveexec_b32 s16, s16
	v_mov_b32_e32 v6, 0x7f800001
	s_xor_b32 exec_lo, exec_lo, s16
	s_cbranch_execnz .LBB222_1439
.LBB222_1419:
	s_or_b32 exec_lo, exec_lo, s16
	s_and_saveexec_b32 s16, s15
	s_cbranch_execz .LBB222_1421
.LBB222_1420:
	v_and_b32_e32 v3, 0xffff, v1
	s_delay_alu instid0(VALU_DEP_1) | instskip(SKIP_1) | instid1(VALU_DEP_2)
	v_and_b32_e32 v5, 3, v3
	v_bfe_u32 v11, v3, 2, 5
	v_clz_i32_u32_e32 v6, v5
	s_delay_alu instid0(VALU_DEP_2) | instskip(NEXT) | instid1(VALU_DEP_2)
	v_cmp_eq_u32_e32 vcc_lo, 0, v11
	v_min_u32_e32 v6, 32, v6
	s_delay_alu instid0(VALU_DEP_1) | instskip(NEXT) | instid1(VALU_DEP_1)
	v_subrev_nc_u32_e32 v7, 29, v6
	v_dual_lshlrev_b32 v3, v7, v3 :: v_dual_sub_nc_u32 v6, 30, v6
	s_delay_alu instid0(VALU_DEP_1) | instskip(NEXT) | instid1(VALU_DEP_1)
	v_dual_lshlrev_b32 v1, 24, v1 :: v_dual_bitop2_b32 v3, 3, v3 bitop3:0x40
	v_dual_cndmask_b32 v6, v11, v6 :: v_dual_cndmask_b32 v3, v5, v3
	s_delay_alu instid0(VALU_DEP_2) | instskip(NEXT) | instid1(VALU_DEP_2)
	v_and_b32_e32 v1, 0x80000000, v1
	v_lshl_add_u32 v5, v6, 23, 0x37800000
	s_delay_alu instid0(VALU_DEP_3) | instskip(NEXT) | instid1(VALU_DEP_1)
	v_lshlrev_b32_e32 v3, 21, v3
	v_or3_b32 v6, v1, v5, v3
.LBB222_1421:
	s_or_b32 exec_lo, exec_lo, s16
	s_mov_b32 s15, 0
	s_branch .LBB222_1427
.LBB222_1422:
	s_mov_b32 s15, -1
                                        ; implicit-def: $vgpr6
	s_branch .LBB222_1433
.LBB222_1423:
	s_or_saveexec_b32 s17, s17
	v_mov_b32_e32 v6, 0x7f800001
	s_xor_b32 exec_lo, exec_lo, s17
	s_cbranch_execz .LBB222_1406
.LBB222_1424:
	v_cmp_ne_u16_e32 vcc_lo, 0, v1
	v_mov_b32_e32 v6, 0
	s_and_not1_b32 s16, s16, exec_lo
	s_and_b32 s18, vcc_lo, exec_lo
	s_delay_alu instid0(SALU_CYCLE_1)
	s_or_b32 s16, s16, s18
	s_or_b32 exec_lo, exec_lo, s17
	s_and_saveexec_b32 s17, s16
	s_cbranch_execnz .LBB222_1407
	s_branch .LBB222_1408
.LBB222_1425:
	s_mov_b32 s15, -1
                                        ; implicit-def: $vgpr6
	s_branch .LBB222_1430
.LBB222_1426:
	s_mov_b32 s15, -1
                                        ; implicit-def: $vgpr6
.LBB222_1427:
	s_delay_alu instid0(SALU_CYCLE_1)
	s_and_b32 vcc_lo, exec_lo, s15
	s_cbranch_vccz .LBB222_1429
; %bb.1428:
	global_load_u8 v1, v[8:9], off
	s_wait_loadcnt 0x0
	v_lshlrev_b32_e32 v1, 24, v1
	s_delay_alu instid0(VALU_DEP_1) | instskip(NEXT) | instid1(VALU_DEP_1)
	v_and_b32_e32 v3, 0x7f000000, v1
	v_clz_i32_u32_e32 v5, v3
	v_add_nc_u32_e32 v7, 0x1000000, v3
	v_cmp_ne_u32_e32 vcc_lo, 0, v3
	s_delay_alu instid0(VALU_DEP_3) | instskip(NEXT) | instid1(VALU_DEP_1)
	v_min_u32_e32 v5, 32, v5
	v_sub_nc_u32_e64 v5, v5, 4 clamp
	s_delay_alu instid0(VALU_DEP_1) | instskip(NEXT) | instid1(VALU_DEP_1)
	v_dual_lshlrev_b32 v6, v5, v3 :: v_dual_lshlrev_b32 v5, 23, v5
	v_lshrrev_b32_e32 v6, 4, v6
	s_delay_alu instid0(VALU_DEP_1) | instskip(NEXT) | instid1(VALU_DEP_1)
	v_dual_sub_nc_u32 v5, v6, v5 :: v_dual_ashrrev_i32 v6, 8, v7
	v_add_nc_u32_e32 v5, 0x3c000000, v5
	s_delay_alu instid0(VALU_DEP_1) | instskip(NEXT) | instid1(VALU_DEP_1)
	v_and_or_b32 v5, 0x7f800000, v6, v5
	v_cndmask_b32_e32 v3, 0, v5, vcc_lo
	s_delay_alu instid0(VALU_DEP_1)
	v_and_or_b32 v6, 0x80000000, v1, v3
.LBB222_1429:
	s_mov_b32 s15, 0
.LBB222_1430:
	s_delay_alu instid0(SALU_CYCLE_1)
	s_and_not1_b32 vcc_lo, exec_lo, s15
	s_cbranch_vccnz .LBB222_1432
; %bb.1431:
	global_load_u8 v1, v[8:9], off
	s_wait_loadcnt 0x0
	v_lshlrev_b32_e32 v3, 25, v1
	v_lshlrev_b16 v1, 8, v1
	s_delay_alu instid0(VALU_DEP_1) | instskip(SKIP_1) | instid1(VALU_DEP_2)
	v_and_or_b32 v6, 0x7f00, v1, 0.5
	v_bfe_i32 v1, v1, 0, 16
	v_dual_add_f32 v6, -0.5, v6 :: v_dual_lshrrev_b32 v5, 4, v3
	v_cmp_gt_u32_e32 vcc_lo, 0x8000000, v3
	s_delay_alu instid0(VALU_DEP_2) | instskip(NEXT) | instid1(VALU_DEP_1)
	v_or_b32_e32 v5, 0x70000000, v5
	v_mul_f32_e32 v5, 0x7800000, v5
	s_delay_alu instid0(VALU_DEP_1) | instskip(NEXT) | instid1(VALU_DEP_1)
	v_cndmask_b32_e32 v3, v5, v6, vcc_lo
	v_and_or_b32 v6, 0x80000000, v1, v3
.LBB222_1432:
	s_mov_b32 s15, 0
	s_mov_b32 s16, -1
.LBB222_1433:
	s_and_not1_b32 vcc_lo, exec_lo, s15
	s_mov_b32 s15, 0
	s_cbranch_vccnz .LBB222_1444
; %bb.1434:
	s_cmp_gt_i32 s0, 14
	s_cbranch_scc0 .LBB222_1437
; %bb.1435:
	s_cmp_eq_u32 s0, 15
	s_cbranch_scc0 .LBB222_1440
; %bb.1436:
	global_load_u16 v1, v[8:9], off
	s_mov_b32 s12, 0
	s_mov_b32 s16, -1
	s_wait_loadcnt 0x0
	v_lshlrev_b32_e32 v6, 16, v1
	s_branch .LBB222_1442
.LBB222_1437:
	s_mov_b32 s15, -1
	s_branch .LBB222_1441
.LBB222_1438:
	s_or_saveexec_b32 s16, s16
	v_mov_b32_e32 v6, 0x7f800001
	s_xor_b32 exec_lo, exec_lo, s16
	s_cbranch_execz .LBB222_1419
.LBB222_1439:
	v_cmp_ne_u16_e32 vcc_lo, 0, v1
	v_mov_b32_e32 v6, 0
	s_and_not1_b32 s15, s15, exec_lo
	s_and_b32 s17, vcc_lo, exec_lo
	s_delay_alu instid0(SALU_CYCLE_1)
	s_or_b32 s15, s15, s17
	s_or_b32 exec_lo, exec_lo, s16
	s_and_saveexec_b32 s16, s15
	s_cbranch_execnz .LBB222_1420
	s_branch .LBB222_1421
.LBB222_1440:
	s_mov_b32 s12, -1
.LBB222_1441:
                                        ; implicit-def: $vgpr6
.LBB222_1442:
	s_and_b32 vcc_lo, exec_lo, s15
	s_mov_b32 s15, 0
	s_cbranch_vccz .LBB222_1444
; %bb.1443:
	s_cmp_lg_u32 s0, 11
	s_mov_b32 s15, -1
	s_cselect_b32 s12, -1, 0
.LBB222_1444:
	s_delay_alu instid0(SALU_CYCLE_1)
	s_and_b32 vcc_lo, exec_lo, s12
	s_cbranch_vccnz .LBB222_1521
; %bb.1445:
	s_and_not1_b32 vcc_lo, exec_lo, s15
	s_cbranch_vccnz .LBB222_1447
.LBB222_1446:
	global_load_u8 v1, v[8:9], off
	s_mov_b32 s16, -1
	s_wait_loadcnt 0x0
	v_cmp_ne_u16_e32 vcc_lo, 0, v1
	v_cndmask_b32_e64 v6, 0, 1.0, vcc_lo
.LBB222_1447:
	s_branch .LBB222_1374
.LBB222_1448:
	s_cmp_lt_i32 s0, 5
	s_cbranch_scc1 .LBB222_1453
; %bb.1449:
	s_cmp_lt_i32 s0, 8
	s_cbranch_scc1 .LBB222_1454
; %bb.1450:
	s_cmp_lt_i32 s0, 9
	s_cbranch_scc1 .LBB222_1455
; %bb.1451:
	s_cmp_gt_i32 s0, 9
	s_cbranch_scc0 .LBB222_1456
; %bb.1452:
	global_load_b64 v[6:7], v[8:9], off
	s_mov_b32 s12, 0
	s_wait_loadcnt 0x0
	v_cvt_f32_f64_e32 v6, v[6:7]
	s_branch .LBB222_1457
.LBB222_1453:
	s_mov_b32 s12, -1
                                        ; implicit-def: $vgpr6
	s_branch .LBB222_1475
.LBB222_1454:
	s_mov_b32 s12, -1
                                        ; implicit-def: $vgpr6
	s_branch .LBB222_1463
.LBB222_1455:
	s_mov_b32 s12, -1
                                        ; implicit-def: $vgpr6
	s_branch .LBB222_1460
.LBB222_1456:
	s_mov_b32 s12, -1
                                        ; implicit-def: $vgpr6
.LBB222_1457:
	s_delay_alu instid0(SALU_CYCLE_1)
	s_and_not1_b32 vcc_lo, exec_lo, s12
	s_cbranch_vccnz .LBB222_1459
; %bb.1458:
	global_load_b32 v6, v[8:9], off
.LBB222_1459:
	s_mov_b32 s12, 0
.LBB222_1460:
	s_delay_alu instid0(SALU_CYCLE_1)
	s_and_not1_b32 vcc_lo, exec_lo, s12
	s_cbranch_vccnz .LBB222_1462
; %bb.1461:
	global_load_b32 v1, v[8:9], off
	s_wait_loadcnt 0x0
	v_cvt_f32_f16_e32 v6, v1
.LBB222_1462:
	s_mov_b32 s12, 0
.LBB222_1463:
	s_delay_alu instid0(SALU_CYCLE_1)
	s_and_not1_b32 vcc_lo, exec_lo, s12
	s_cbranch_vccnz .LBB222_1474
; %bb.1464:
	s_cmp_lt_i32 s0, 6
	s_cbranch_scc1 .LBB222_1467
; %bb.1465:
	s_cmp_gt_i32 s0, 6
	s_cbranch_scc0 .LBB222_1468
; %bb.1466:
	s_wait_loadcnt 0x0
	global_load_b64 v[6:7], v[8:9], off
	s_mov_b32 s12, 0
	s_wait_loadcnt 0x0
	v_cvt_f32_f64_e32 v6, v[6:7]
	s_branch .LBB222_1469
.LBB222_1467:
	s_mov_b32 s12, -1
                                        ; implicit-def: $vgpr6
	s_branch .LBB222_1472
.LBB222_1468:
	s_mov_b32 s12, -1
                                        ; implicit-def: $vgpr6
.LBB222_1469:
	s_delay_alu instid0(SALU_CYCLE_1)
	s_and_not1_b32 vcc_lo, exec_lo, s12
	s_cbranch_vccnz .LBB222_1471
; %bb.1470:
	s_wait_loadcnt 0x0
	global_load_b32 v6, v[8:9], off
.LBB222_1471:
	s_mov_b32 s12, 0
.LBB222_1472:
	s_delay_alu instid0(SALU_CYCLE_1)
	s_and_not1_b32 vcc_lo, exec_lo, s12
	s_cbranch_vccnz .LBB222_1474
; %bb.1473:
	global_load_u16 v1, v[8:9], off
	s_wait_loadcnt 0x0
	v_cvt_f32_f16_e32 v6, v1
.LBB222_1474:
	s_mov_b32 s12, 0
.LBB222_1475:
	s_delay_alu instid0(SALU_CYCLE_1)
	s_and_not1_b32 vcc_lo, exec_lo, s12
	s_cbranch_vccnz .LBB222_1495
; %bb.1476:
	s_cmp_lt_i32 s0, 2
	s_cbranch_scc1 .LBB222_1480
; %bb.1477:
	s_cmp_lt_i32 s0, 3
	s_cbranch_scc1 .LBB222_1481
; %bb.1478:
	s_cmp_gt_i32 s0, 3
	s_cbranch_scc0 .LBB222_1482
; %bb.1479:
	s_wait_loadcnt 0x0
	global_load_b64 v[6:7], v[8:9], off
	s_mov_b32 s12, 0
	s_wait_loadcnt 0x0
	v_xor_b32_e32 v1, v6, v7
	v_cls_i32_e32 v3, v7
	s_delay_alu instid0(VALU_DEP_2) | instskip(NEXT) | instid1(VALU_DEP_1)
	v_ashrrev_i32_e32 v1, 31, v1
	v_add_nc_u32_e32 v1, 32, v1
	s_delay_alu instid0(VALU_DEP_1) | instskip(NEXT) | instid1(VALU_DEP_1)
	v_add_min_u32_e64 v1, v3, -1, v1
	v_lshlrev_b64_e32 v[6:7], v1, v[6:7]
	v_sub_nc_u32_e32 v1, 32, v1
	s_delay_alu instid0(VALU_DEP_2) | instskip(NEXT) | instid1(VALU_DEP_1)
	v_min_u32_e32 v3, 1, v6
	v_or_b32_e32 v3, v7, v3
	s_delay_alu instid0(VALU_DEP_1) | instskip(NEXT) | instid1(VALU_DEP_1)
	v_cvt_f32_i32_e32 v3, v3
	v_ldexp_f32 v6, v3, v1
	s_branch .LBB222_1483
.LBB222_1480:
	s_mov_b32 s12, -1
                                        ; implicit-def: $vgpr6
	s_branch .LBB222_1489
.LBB222_1481:
	s_mov_b32 s12, -1
                                        ; implicit-def: $vgpr6
	s_branch .LBB222_1486
.LBB222_1482:
	s_mov_b32 s12, -1
                                        ; implicit-def: $vgpr6
.LBB222_1483:
	s_delay_alu instid0(SALU_CYCLE_1)
	s_and_not1_b32 vcc_lo, exec_lo, s12
	s_cbranch_vccnz .LBB222_1485
; %bb.1484:
	global_load_b32 v1, v[8:9], off
	s_wait_loadcnt 0x0
	v_cvt_f32_i32_e32 v6, v1
.LBB222_1485:
	s_mov_b32 s12, 0
.LBB222_1486:
	s_delay_alu instid0(SALU_CYCLE_1)
	s_and_not1_b32 vcc_lo, exec_lo, s12
	s_cbranch_vccnz .LBB222_1488
; %bb.1487:
	global_load_i16 v1, v[8:9], off
	s_wait_loadcnt 0x0
	v_cvt_f32_i32_e32 v6, v1
.LBB222_1488:
	s_mov_b32 s12, 0
.LBB222_1489:
	s_delay_alu instid0(SALU_CYCLE_1)
	s_and_not1_b32 vcc_lo, exec_lo, s12
	s_cbranch_vccnz .LBB222_1495
; %bb.1490:
	s_cmp_gt_i32 s0, 0
	s_mov_b32 s12, 0
	s_cbranch_scc0 .LBB222_1492
; %bb.1491:
	global_load_i8 v1, v[8:9], off
	s_wait_loadcnt 0x0
	v_cvt_f32_i32_e32 v6, v1
	s_branch .LBB222_1493
.LBB222_1492:
	s_mov_b32 s12, -1
                                        ; implicit-def: $vgpr6
.LBB222_1493:
	s_delay_alu instid0(SALU_CYCLE_1)
	s_and_not1_b32 vcc_lo, exec_lo, s12
	s_cbranch_vccnz .LBB222_1495
; %bb.1494:
	global_load_u8 v1, v[8:9], off
	s_wait_loadcnt 0x0
	v_cvt_f32_ubyte0_e32 v6, v1
.LBB222_1495:
.LBB222_1496:
	s_mov_b32 s12, exec_lo
	s_wait_loadcnt 0x0
	s_delay_alu instid0(VALU_DEP_1)
	v_cmpx_o_f32_e32 v6, v6
	s_cbranch_execz .LBB222_1508
; %bb.1497:
	s_cmp_lt_i32 s10, 1
	s_mov_b32 s15, 0
	s_cbranch_scc1 .LBB222_1500
; %bb.1498:
	s_cmp_eq_u32 s10, 1
	s_cbranch_scc0 .LBB222_1501
; %bb.1499:
	v_max_num_f32_e64 v1, s11, s11
	v_max_num_f32_e32 v3, v6, v6
	s_mov_b32 s16, 0
	s_delay_alu instid0(VALU_DEP_1)
	v_min_num_f32_e32 v1, v3, v1
	s_branch .LBB222_1502
.LBB222_1500:
	s_mov_b32 s17, -1
	s_mov_b32 s16, 0
                                        ; implicit-def: $vgpr1
	s_branch .LBB222_1503
.LBB222_1501:
	s_mov_b32 s16, -1
                                        ; implicit-def: $vgpr1
.LBB222_1502:
	s_mov_b32 s17, 0
.LBB222_1503:
	s_delay_alu instid0(SALU_CYCLE_1)
	s_and_b32 vcc_lo, exec_lo, s17
	s_cbranch_vccz .LBB222_1515
; %bb.1504:
	s_cmp_lg_u32 s10, 0
	s_mov_b32 s15, -1
	s_cselect_b32 s16, -1, 0
	v_max_num_f32_e32 v3, v6, v6
	s_and_not1_b32 vcc_lo, exec_lo, s16
	s_cbranch_vccz .LBB222_1516
.LBB222_1505:
	s_and_not1_b32 vcc_lo, exec_lo, s15
	s_cbranch_vccnz .LBB222_1507
.LBB222_1506:
	v_max_num_f32_e64 v1, s11, s11
	s_delay_alu instid0(VALU_DEP_1)
	v_max_num_f32_e32 v1, v3, v1
.LBB222_1507:
	s_delay_alu instid0(VALU_DEP_1)
	v_mov_b32_e32 v6, v1
.LBB222_1508:
	s_or_b32 exec_lo, exec_lo, s12
	v_add_nc_u32_e32 v4, s9, v4
	s_cmp_lt_i32 s0, 11
	s_delay_alu instid0(VALU_DEP_1) | instskip(NEXT) | instid1(VALU_DEP_1)
	v_ashrrev_i32_e32 v5, 31, v4
	v_add_nc_u64_e32 v[8:9], s[6:7], v[4:5]
	s_cbranch_scc1 .LBB222_1517
; %bb.1509:
	s_cmp_gt_i32 s0, 25
	s_mov_b32 s7, 0
	s_cbranch_scc0 .LBB222_1518
; %bb.1510:
	s_cmp_gt_i32 s0, 28
	s_cbranch_scc0 .LBB222_1519
; %bb.1511:
	s_cmp_gt_i32 s0, 43
	;; [unrolled: 3-line block ×3, first 2 shown]
	s_cbranch_scc0 .LBB222_1522
; %bb.1513:
	s_cmp_eq_u32 s0, 46
	s_mov_b32 s12, 0
	s_cbranch_scc0 .LBB222_1523
; %bb.1514:
	global_load_b32 v1, v[8:9], off
	s_mov_b32 s6, 0
	s_mov_b32 s9, -1
	s_wait_loadcnt 0x0
	v_lshlrev_b32_e32 v4, 16, v1
	s_branch .LBB222_1525
.LBB222_1515:
	v_max_num_f32_e32 v3, v6, v6
	s_and_not1_b32 vcc_lo, exec_lo, s16
	s_cbranch_vccnz .LBB222_1505
.LBB222_1516:
	v_max_num_f32_e64 v1, s11, s11
	v_max_num_f32_e64 v5, s2, s2
	s_delay_alu instid0(VALU_DEP_1)
	v_maxmin_num_f32 v1, v3, v1, v5
	s_cbranch_execz .LBB222_1506
	s_branch .LBB222_1507
.LBB222_1517:
	s_mov_b32 s6, -1
	s_mov_b32 s9, 0
                                        ; implicit-def: $vgpr4
	s_branch .LBB222_1591
.LBB222_1518:
	s_mov_b32 s12, -1
	s_mov_b32 s9, 0
	s_mov_b32 s6, 0
                                        ; implicit-def: $vgpr4
	s_branch .LBB222_1554
.LBB222_1519:
	s_mov_b32 s12, -1
	s_mov_b32 s9, 0
	s_mov_b32 s6, 0
                                        ; implicit-def: $vgpr4
	s_branch .LBB222_1535
.LBB222_1520:
	s_mov_b32 s12, -1
	s_mov_b32 s9, 0
	s_mov_b32 s6, 0
                                        ; implicit-def: $vgpr4
	s_branch .LBB222_1530
.LBB222_1521:
	s_or_b32 s1, s1, exec_lo
	s_trap 2
	s_cbranch_execz .LBB222_1446
	s_branch .LBB222_1447
.LBB222_1522:
	s_mov_b32 s12, -1
	s_mov_b32 s9, 0
	s_mov_b32 s6, 0
	s_branch .LBB222_1524
.LBB222_1523:
	s_mov_b32 s6, -1
	s_mov_b32 s9, 0
.LBB222_1524:
                                        ; implicit-def: $vgpr4
.LBB222_1525:
	s_and_b32 vcc_lo, exec_lo, s12
	s_cbranch_vccz .LBB222_1529
; %bb.1526:
	s_cmp_eq_u32 s0, 44
	s_cbranch_scc0 .LBB222_1528
; %bb.1527:
	global_load_u8 v1, v[8:9], off
	s_mov_b32 s6, 0
	s_mov_b32 s9, -1
	s_wait_loadcnt 0x0
	v_lshlrev_b32_e32 v3, 23, v1
	v_cmp_ne_u32_e32 vcc_lo, 0xff, v1
	s_delay_alu instid0(VALU_DEP_2) | instskip(SKIP_1) | instid1(VALU_DEP_2)
	v_cndmask_b32_e32 v3, 0x7f800001, v3, vcc_lo
	v_cmp_ne_u32_e32 vcc_lo, 0, v1
	v_cndmask_b32_e32 v4, 0x400000, v3, vcc_lo
	s_branch .LBB222_1529
.LBB222_1528:
	s_mov_b32 s6, -1
                                        ; implicit-def: $vgpr4
.LBB222_1529:
	s_mov_b32 s12, 0
.LBB222_1530:
	s_delay_alu instid0(SALU_CYCLE_1)
	s_and_b32 vcc_lo, exec_lo, s12
	s_cbranch_vccz .LBB222_1534
; %bb.1531:
	s_cmp_eq_u32 s0, 29
	s_cbranch_scc0 .LBB222_1533
; %bb.1532:
	global_load_b64 v[4:5], v[8:9], off
	s_mov_b32 s6, 0
	s_mov_b32 s9, -1
	s_mov_b32 s12, 0
	s_wait_loadcnt 0x0
	v_clz_i32_u32_e32 v1, v5
	s_delay_alu instid0(VALU_DEP_1) | instskip(NEXT) | instid1(VALU_DEP_1)
	v_min_u32_e32 v1, 32, v1
	v_lshlrev_b64_e32 v[4:5], v1, v[4:5]
	v_sub_nc_u32_e32 v1, 32, v1
	s_delay_alu instid0(VALU_DEP_2) | instskip(NEXT) | instid1(VALU_DEP_1)
	v_min_u32_e32 v3, 1, v4
	v_or_b32_e32 v3, v5, v3
	s_delay_alu instid0(VALU_DEP_1) | instskip(NEXT) | instid1(VALU_DEP_1)
	v_cvt_f32_u32_e32 v3, v3
	v_ldexp_f32 v4, v3, v1
	s_branch .LBB222_1535
.LBB222_1533:
	s_mov_b32 s6, -1
                                        ; implicit-def: $vgpr4
.LBB222_1534:
	s_mov_b32 s12, 0
.LBB222_1535:
	s_delay_alu instid0(SALU_CYCLE_1)
	s_and_b32 vcc_lo, exec_lo, s12
	s_cbranch_vccz .LBB222_1553
; %bb.1536:
	s_cmp_lt_i32 s0, 27
	s_cbranch_scc1 .LBB222_1539
; %bb.1537:
	s_cmp_gt_i32 s0, 27
	s_cbranch_scc0 .LBB222_1540
; %bb.1538:
	global_load_b32 v1, v[8:9], off
	s_mov_b32 s9, 0
	s_wait_loadcnt 0x0
	v_cvt_f32_u32_e32 v4, v1
	s_branch .LBB222_1541
.LBB222_1539:
	s_mov_b32 s9, -1
                                        ; implicit-def: $vgpr4
	s_branch .LBB222_1544
.LBB222_1540:
	s_mov_b32 s9, -1
                                        ; implicit-def: $vgpr4
.LBB222_1541:
	s_delay_alu instid0(SALU_CYCLE_1)
	s_and_not1_b32 vcc_lo, exec_lo, s9
	s_cbranch_vccnz .LBB222_1543
; %bb.1542:
	global_load_u16 v1, v[8:9], off
	s_wait_loadcnt 0x0
	v_cvt_f32_u32_e32 v4, v1
.LBB222_1543:
	s_mov_b32 s9, 0
.LBB222_1544:
	s_delay_alu instid0(SALU_CYCLE_1)
	s_and_not1_b32 vcc_lo, exec_lo, s9
	s_cbranch_vccnz .LBB222_1552
; %bb.1545:
	global_load_u8 v1, v[8:9], off
	s_mov_b32 s9, 0
	s_mov_b32 s12, exec_lo
	s_wait_loadcnt 0x0
	v_cmpx_lt_i16_e32 0x7f, v1
	s_xor_b32 s12, exec_lo, s12
	s_cbranch_execz .LBB222_1566
; %bb.1546:
	s_mov_b32 s9, -1
	s_mov_b32 s15, exec_lo
	v_cmpx_eq_u16_e32 0x80, v1
; %bb.1547:
	s_xor_b32 s9, exec_lo, -1
; %bb.1548:
	s_or_b32 exec_lo, exec_lo, s15
	s_delay_alu instid0(SALU_CYCLE_1)
	s_and_b32 s9, s9, exec_lo
	s_or_saveexec_b32 s12, s12
	v_mov_b32_e32 v4, 0x7f800001
	s_xor_b32 exec_lo, exec_lo, s12
	s_cbranch_execnz .LBB222_1567
.LBB222_1549:
	s_or_b32 exec_lo, exec_lo, s12
	s_and_saveexec_b32 s12, s9
	s_cbranch_execz .LBB222_1551
.LBB222_1550:
	v_and_b32_e32 v3, 0xffff, v1
	s_delay_alu instid0(VALU_DEP_1) | instskip(SKIP_1) | instid1(VALU_DEP_2)
	v_and_b32_e32 v4, 7, v3
	v_bfe_u32 v11, v3, 3, 4
	v_clz_i32_u32_e32 v5, v4
	s_delay_alu instid0(VALU_DEP_2) | instskip(NEXT) | instid1(VALU_DEP_2)
	v_cmp_eq_u32_e32 vcc_lo, 0, v11
	v_min_u32_e32 v5, 32, v5
	s_delay_alu instid0(VALU_DEP_1) | instskip(NEXT) | instid1(VALU_DEP_1)
	v_subrev_nc_u32_e32 v7, 28, v5
	v_dual_lshlrev_b32 v3, v7, v3 :: v_dual_sub_nc_u32 v5, 29, v5
	s_delay_alu instid0(VALU_DEP_1) | instskip(NEXT) | instid1(VALU_DEP_1)
	v_dual_lshlrev_b32 v1, 24, v1 :: v_dual_bitop2_b32 v3, 7, v3 bitop3:0x40
	v_dual_cndmask_b32 v3, v4, v3, vcc_lo :: v_dual_cndmask_b32 v5, v11, v5, vcc_lo
	s_delay_alu instid0(VALU_DEP_2) | instskip(NEXT) | instid1(VALU_DEP_2)
	v_and_b32_e32 v1, 0x80000000, v1
	v_lshlrev_b32_e32 v3, 20, v3
	s_delay_alu instid0(VALU_DEP_3) | instskip(NEXT) | instid1(VALU_DEP_1)
	v_lshl_add_u32 v4, v5, 23, 0x3b800000
	v_or3_b32 v4, v1, v4, v3
.LBB222_1551:
	s_or_b32 exec_lo, exec_lo, s12
.LBB222_1552:
	s_mov_b32 s9, -1
.LBB222_1553:
	s_mov_b32 s12, 0
.LBB222_1554:
	s_delay_alu instid0(SALU_CYCLE_1)
	s_and_b32 vcc_lo, exec_lo, s12
	s_cbranch_vccz .LBB222_1587
; %bb.1555:
	s_cmp_gt_i32 s0, 22
	s_cbranch_scc0 .LBB222_1565
; %bb.1556:
	s_cmp_lt_i32 s0, 24
	s_cbranch_scc1 .LBB222_1568
; %bb.1557:
	s_cmp_gt_i32 s0, 24
	s_cbranch_scc0 .LBB222_1569
; %bb.1558:
	global_load_u8 v1, v[8:9], off
	s_mov_b32 s9, exec_lo
	s_wait_loadcnt 0x0
	v_cmpx_lt_i16_e32 0x7f, v1
	s_xor_b32 s9, exec_lo, s9
	s_cbranch_execz .LBB222_1581
; %bb.1559:
	s_mov_b32 s7, -1
	s_mov_b32 s12, exec_lo
	v_cmpx_eq_u16_e32 0x80, v1
; %bb.1560:
	s_xor_b32 s7, exec_lo, -1
; %bb.1561:
	s_or_b32 exec_lo, exec_lo, s12
	s_delay_alu instid0(SALU_CYCLE_1)
	s_and_b32 s7, s7, exec_lo
	s_or_saveexec_b32 s9, s9
	v_mov_b32_e32 v4, 0x7f800001
	s_xor_b32 exec_lo, exec_lo, s9
	s_cbranch_execnz .LBB222_1582
.LBB222_1562:
	s_or_b32 exec_lo, exec_lo, s9
	s_and_saveexec_b32 s9, s7
	s_cbranch_execz .LBB222_1564
.LBB222_1563:
	v_and_b32_e32 v3, 0xffff, v1
	s_delay_alu instid0(VALU_DEP_1) | instskip(SKIP_1) | instid1(VALU_DEP_2)
	v_and_b32_e32 v4, 3, v3
	v_bfe_u32 v11, v3, 2, 5
	v_clz_i32_u32_e32 v5, v4
	s_delay_alu instid0(VALU_DEP_2) | instskip(NEXT) | instid1(VALU_DEP_2)
	v_cmp_eq_u32_e32 vcc_lo, 0, v11
	v_min_u32_e32 v5, 32, v5
	s_delay_alu instid0(VALU_DEP_1) | instskip(NEXT) | instid1(VALU_DEP_1)
	v_subrev_nc_u32_e32 v7, 29, v5
	v_dual_lshlrev_b32 v3, v7, v3 :: v_dual_sub_nc_u32 v5, 30, v5
	s_delay_alu instid0(VALU_DEP_1) | instskip(NEXT) | instid1(VALU_DEP_1)
	v_dual_lshlrev_b32 v1, 24, v1 :: v_dual_bitop2_b32 v3, 3, v3 bitop3:0x40
	v_dual_cndmask_b32 v3, v4, v3, vcc_lo :: v_dual_cndmask_b32 v5, v11, v5, vcc_lo
	s_delay_alu instid0(VALU_DEP_2) | instskip(NEXT) | instid1(VALU_DEP_2)
	v_and_b32_e32 v1, 0x80000000, v1
	v_lshlrev_b32_e32 v3, 21, v3
	s_delay_alu instid0(VALU_DEP_3) | instskip(NEXT) | instid1(VALU_DEP_1)
	v_lshl_add_u32 v4, v5, 23, 0x37800000
	v_or3_b32 v4, v1, v4, v3
.LBB222_1564:
	s_or_b32 exec_lo, exec_lo, s9
	s_mov_b32 s7, 0
	s_branch .LBB222_1570
.LBB222_1565:
	s_mov_b32 s7, -1
                                        ; implicit-def: $vgpr4
	s_branch .LBB222_1576
.LBB222_1566:
	s_or_saveexec_b32 s12, s12
	v_mov_b32_e32 v4, 0x7f800001
	s_xor_b32 exec_lo, exec_lo, s12
	s_cbranch_execz .LBB222_1549
.LBB222_1567:
	v_cmp_ne_u16_e32 vcc_lo, 0, v1
	v_mov_b32_e32 v4, 0
	s_and_not1_b32 s9, s9, exec_lo
	s_and_b32 s15, vcc_lo, exec_lo
	s_delay_alu instid0(SALU_CYCLE_1)
	s_or_b32 s9, s9, s15
	s_or_b32 exec_lo, exec_lo, s12
	s_and_saveexec_b32 s12, s9
	s_cbranch_execnz .LBB222_1550
	s_branch .LBB222_1551
.LBB222_1568:
	s_mov_b32 s7, -1
                                        ; implicit-def: $vgpr4
	s_branch .LBB222_1573
.LBB222_1569:
	s_mov_b32 s7, -1
                                        ; implicit-def: $vgpr4
.LBB222_1570:
	s_delay_alu instid0(SALU_CYCLE_1)
	s_and_b32 vcc_lo, exec_lo, s7
	s_cbranch_vccz .LBB222_1572
; %bb.1571:
	global_load_u8 v1, v[8:9], off
	s_wait_loadcnt 0x0
	v_lshlrev_b32_e32 v1, 24, v1
	s_delay_alu instid0(VALU_DEP_1) | instskip(NEXT) | instid1(VALU_DEP_1)
	v_and_b32_e32 v3, 0x7f000000, v1
	v_clz_i32_u32_e32 v4, v3
	v_add_nc_u32_e32 v7, 0x1000000, v3
	v_cmp_ne_u32_e32 vcc_lo, 0, v3
	s_delay_alu instid0(VALU_DEP_3) | instskip(NEXT) | instid1(VALU_DEP_1)
	v_min_u32_e32 v4, 32, v4
	v_sub_nc_u32_e64 v4, v4, 4 clamp
	s_delay_alu instid0(VALU_DEP_1) | instskip(NEXT) | instid1(VALU_DEP_1)
	v_dual_lshlrev_b32 v5, v4, v3 :: v_dual_lshlrev_b32 v4, 23, v4
	v_lshrrev_b32_e32 v5, 4, v5
	s_delay_alu instid0(VALU_DEP_1) | instskip(NEXT) | instid1(VALU_DEP_1)
	v_dual_sub_nc_u32 v4, v5, v4 :: v_dual_ashrrev_i32 v5, 8, v7
	v_add_nc_u32_e32 v4, 0x3c000000, v4
	s_delay_alu instid0(VALU_DEP_1) | instskip(NEXT) | instid1(VALU_DEP_1)
	v_and_or_b32 v4, 0x7f800000, v5, v4
	v_cndmask_b32_e32 v3, 0, v4, vcc_lo
	s_delay_alu instid0(VALU_DEP_1)
	v_and_or_b32 v4, 0x80000000, v1, v3
.LBB222_1572:
	s_mov_b32 s7, 0
.LBB222_1573:
	s_delay_alu instid0(SALU_CYCLE_1)
	s_and_not1_b32 vcc_lo, exec_lo, s7
	s_cbranch_vccnz .LBB222_1575
; %bb.1574:
	global_load_u8 v1, v[8:9], off
	s_wait_loadcnt 0x0
	v_lshlrev_b32_e32 v3, 25, v1
	v_lshlrev_b16 v1, 8, v1
	s_delay_alu instid0(VALU_DEP_1) | instskip(NEXT) | instid1(VALU_DEP_3)
	v_and_or_b32 v5, 0x7f00, v1, 0.5
	v_lshrrev_b32_e32 v4, 4, v3
	v_bfe_i32 v1, v1, 0, 16
	s_delay_alu instid0(VALU_DEP_3) | instskip(NEXT) | instid1(VALU_DEP_3)
	v_add_f32_e32 v5, -0.5, v5
	v_or_b32_e32 v4, 0x70000000, v4
	s_delay_alu instid0(VALU_DEP_1) | instskip(SKIP_1) | instid1(VALU_DEP_2)
	v_mul_f32_e32 v4, 0x7800000, v4
	v_cmp_gt_u32_e32 vcc_lo, 0x8000000, v3
	v_cndmask_b32_e32 v3, v4, v5, vcc_lo
	s_delay_alu instid0(VALU_DEP_1)
	v_and_or_b32 v4, 0x80000000, v1, v3
.LBB222_1575:
	s_mov_b32 s7, 0
	s_mov_b32 s9, -1
.LBB222_1576:
	s_and_not1_b32 vcc_lo, exec_lo, s7
	s_mov_b32 s7, 0
	s_cbranch_vccnz .LBB222_1587
; %bb.1577:
	s_cmp_gt_i32 s0, 14
	s_cbranch_scc0 .LBB222_1580
; %bb.1578:
	s_cmp_eq_u32 s0, 15
	s_cbranch_scc0 .LBB222_1583
; %bb.1579:
	global_load_u16 v1, v[8:9], off
	s_mov_b32 s6, 0
	s_mov_b32 s9, -1
	s_wait_loadcnt 0x0
	v_lshlrev_b32_e32 v4, 16, v1
	s_branch .LBB222_1585
.LBB222_1580:
	s_mov_b32 s7, -1
	s_branch .LBB222_1584
.LBB222_1581:
	s_or_saveexec_b32 s9, s9
	v_mov_b32_e32 v4, 0x7f800001
	s_xor_b32 exec_lo, exec_lo, s9
	s_cbranch_execz .LBB222_1562
.LBB222_1582:
	v_cmp_ne_u16_e32 vcc_lo, 0, v1
	v_mov_b32_e32 v4, 0
	s_and_not1_b32 s7, s7, exec_lo
	s_and_b32 s12, vcc_lo, exec_lo
	s_delay_alu instid0(SALU_CYCLE_1)
	s_or_b32 s7, s7, s12
	s_or_b32 exec_lo, exec_lo, s9
	s_and_saveexec_b32 s9, s7
	s_cbranch_execnz .LBB222_1563
	s_branch .LBB222_1564
.LBB222_1583:
	s_mov_b32 s6, -1
.LBB222_1584:
                                        ; implicit-def: $vgpr4
.LBB222_1585:
	s_and_b32 vcc_lo, exec_lo, s7
	s_mov_b32 s7, 0
	s_cbranch_vccz .LBB222_1587
; %bb.1586:
	s_cmp_lg_u32 s0, 11
	s_mov_b32 s7, -1
	s_cselect_b32 s6, -1, 0
.LBB222_1587:
	s_delay_alu instid0(SALU_CYCLE_1)
	s_and_b32 vcc_lo, exec_lo, s6
	s_cbranch_vccnz .LBB222_2135
; %bb.1588:
	s_and_not1_b32 vcc_lo, exec_lo, s7
	s_cbranch_vccnz .LBB222_1590
.LBB222_1589:
	global_load_u8 v1, v[8:9], off
	s_mov_b32 s9, -1
	s_wait_loadcnt 0x0
	v_cmp_ne_u16_e32 vcc_lo, 0, v1
	v_cndmask_b32_e64 v4, 0, 1.0, vcc_lo
.LBB222_1590:
	s_mov_b32 s6, 0
.LBB222_1591:
	s_delay_alu instid0(SALU_CYCLE_1)
	s_and_b32 vcc_lo, exec_lo, s6
	s_cbranch_vccz .LBB222_1640
; %bb.1592:
	s_cmp_lt_i32 s0, 5
	s_cbranch_scc1 .LBB222_1597
; %bb.1593:
	s_cmp_lt_i32 s0, 8
	s_cbranch_scc1 .LBB222_1598
	;; [unrolled: 3-line block ×3, first 2 shown]
; %bb.1595:
	s_cmp_gt_i32 s0, 9
	s_cbranch_scc0 .LBB222_1600
; %bb.1596:
	global_load_b64 v[4:5], v[8:9], off
	s_mov_b32 s6, 0
	s_wait_loadcnt 0x0
	v_cvt_f32_f64_e32 v4, v[4:5]
	s_branch .LBB222_1601
.LBB222_1597:
	s_mov_b32 s6, -1
                                        ; implicit-def: $vgpr4
	s_branch .LBB222_1619
.LBB222_1598:
	s_mov_b32 s6, -1
                                        ; implicit-def: $vgpr4
	s_branch .LBB222_1607
.LBB222_1599:
	s_mov_b32 s6, -1
                                        ; implicit-def: $vgpr4
	s_branch .LBB222_1604
.LBB222_1600:
	s_mov_b32 s6, -1
                                        ; implicit-def: $vgpr4
.LBB222_1601:
	s_delay_alu instid0(SALU_CYCLE_1)
	s_and_not1_b32 vcc_lo, exec_lo, s6
	s_cbranch_vccnz .LBB222_1603
; %bb.1602:
	global_load_b32 v4, v[8:9], off
.LBB222_1603:
	s_mov_b32 s6, 0
.LBB222_1604:
	s_delay_alu instid0(SALU_CYCLE_1)
	s_and_not1_b32 vcc_lo, exec_lo, s6
	s_cbranch_vccnz .LBB222_1606
; %bb.1605:
	global_load_b32 v1, v[8:9], off
	s_wait_loadcnt 0x0
	v_cvt_f32_f16_e32 v4, v1
.LBB222_1606:
	s_mov_b32 s6, 0
.LBB222_1607:
	s_delay_alu instid0(SALU_CYCLE_1)
	s_and_not1_b32 vcc_lo, exec_lo, s6
	s_cbranch_vccnz .LBB222_1618
; %bb.1608:
	s_cmp_lt_i32 s0, 6
	s_cbranch_scc1 .LBB222_1611
; %bb.1609:
	s_cmp_gt_i32 s0, 6
	s_cbranch_scc0 .LBB222_1612
; %bb.1610:
	s_wait_loadcnt 0x0
	global_load_b64 v[4:5], v[8:9], off
	s_mov_b32 s6, 0
	s_wait_loadcnt 0x0
	v_cvt_f32_f64_e32 v4, v[4:5]
	s_branch .LBB222_1613
.LBB222_1611:
	s_mov_b32 s6, -1
                                        ; implicit-def: $vgpr4
	s_branch .LBB222_1616
.LBB222_1612:
	s_mov_b32 s6, -1
                                        ; implicit-def: $vgpr4
.LBB222_1613:
	s_delay_alu instid0(SALU_CYCLE_1)
	s_and_not1_b32 vcc_lo, exec_lo, s6
	s_cbranch_vccnz .LBB222_1615
; %bb.1614:
	s_wait_loadcnt 0x0
	global_load_b32 v4, v[8:9], off
.LBB222_1615:
	s_mov_b32 s6, 0
.LBB222_1616:
	s_delay_alu instid0(SALU_CYCLE_1)
	s_and_not1_b32 vcc_lo, exec_lo, s6
	s_cbranch_vccnz .LBB222_1618
; %bb.1617:
	global_load_u16 v1, v[8:9], off
	s_wait_loadcnt 0x0
	v_cvt_f32_f16_e32 v4, v1
.LBB222_1618:
	s_mov_b32 s6, 0
.LBB222_1619:
	s_delay_alu instid0(SALU_CYCLE_1)
	s_and_not1_b32 vcc_lo, exec_lo, s6
	s_cbranch_vccnz .LBB222_1639
; %bb.1620:
	s_cmp_lt_i32 s0, 2
	s_cbranch_scc1 .LBB222_1624
; %bb.1621:
	s_cmp_lt_i32 s0, 3
	s_cbranch_scc1 .LBB222_1625
; %bb.1622:
	s_cmp_gt_i32 s0, 3
	s_cbranch_scc0 .LBB222_1626
; %bb.1623:
	s_wait_loadcnt 0x0
	global_load_b64 v[4:5], v[8:9], off
	s_mov_b32 s6, 0
	s_wait_loadcnt 0x0
	v_xor_b32_e32 v1, v4, v5
	v_cls_i32_e32 v3, v5
	s_delay_alu instid0(VALU_DEP_2) | instskip(NEXT) | instid1(VALU_DEP_1)
	v_ashrrev_i32_e32 v1, 31, v1
	v_add_nc_u32_e32 v1, 32, v1
	s_delay_alu instid0(VALU_DEP_1) | instskip(NEXT) | instid1(VALU_DEP_1)
	v_add_min_u32_e64 v1, v3, -1, v1
	v_lshlrev_b64_e32 v[4:5], v1, v[4:5]
	v_sub_nc_u32_e32 v1, 32, v1
	s_delay_alu instid0(VALU_DEP_2) | instskip(NEXT) | instid1(VALU_DEP_1)
	v_min_u32_e32 v3, 1, v4
	v_or_b32_e32 v3, v5, v3
	s_delay_alu instid0(VALU_DEP_1) | instskip(NEXT) | instid1(VALU_DEP_1)
	v_cvt_f32_i32_e32 v3, v3
	v_ldexp_f32 v4, v3, v1
	s_branch .LBB222_1627
.LBB222_1624:
	s_mov_b32 s6, -1
                                        ; implicit-def: $vgpr4
	s_branch .LBB222_1633
.LBB222_1625:
	s_mov_b32 s6, -1
                                        ; implicit-def: $vgpr4
	s_branch .LBB222_1630
.LBB222_1626:
	s_mov_b32 s6, -1
                                        ; implicit-def: $vgpr4
.LBB222_1627:
	s_delay_alu instid0(SALU_CYCLE_1)
	s_and_not1_b32 vcc_lo, exec_lo, s6
	s_cbranch_vccnz .LBB222_1629
; %bb.1628:
	global_load_b32 v1, v[8:9], off
	s_wait_loadcnt 0x0
	v_cvt_f32_i32_e32 v4, v1
.LBB222_1629:
	s_mov_b32 s6, 0
.LBB222_1630:
	s_delay_alu instid0(SALU_CYCLE_1)
	s_and_not1_b32 vcc_lo, exec_lo, s6
	s_cbranch_vccnz .LBB222_1632
; %bb.1631:
	global_load_i16 v1, v[8:9], off
	s_wait_loadcnt 0x0
	v_cvt_f32_i32_e32 v4, v1
.LBB222_1632:
	s_mov_b32 s6, 0
.LBB222_1633:
	s_delay_alu instid0(SALU_CYCLE_1)
	s_and_not1_b32 vcc_lo, exec_lo, s6
	s_cbranch_vccnz .LBB222_1639
; %bb.1634:
	s_cmp_gt_i32 s0, 0
	s_mov_b32 s0, 0
	s_cbranch_scc0 .LBB222_1636
; %bb.1635:
	global_load_i8 v1, v[8:9], off
	s_wait_loadcnt 0x0
	v_cvt_f32_i32_e32 v4, v1
	s_branch .LBB222_1637
.LBB222_1636:
	s_mov_b32 s0, -1
                                        ; implicit-def: $vgpr4
.LBB222_1637:
	s_delay_alu instid0(SALU_CYCLE_1)
	s_and_not1_b32 vcc_lo, exec_lo, s0
	s_cbranch_vccnz .LBB222_1639
; %bb.1638:
	global_load_u8 v1, v[8:9], off
	s_wait_loadcnt 0x0
	v_cvt_f32_ubyte0_e32 v4, v1
.LBB222_1639:
	s_mov_b32 s9, -1
.LBB222_1640:
	s_delay_alu instid0(SALU_CYCLE_1)
	s_and_not1_b32 vcc_lo, exec_lo, s9
	s_cbranch_vccnz .LBB222_1645
; %bb.1641:
	s_mov_b32 s0, exec_lo
	s_wait_loadcnt 0x0
	s_delay_alu instid0(VALU_DEP_1)
	v_cmpx_o_f32_e32 v4, v4
	s_cbranch_execz .LBB222_1698
; %bb.1642:
	s_cmp_lt_i32 s10, 1
	s_mov_b32 s6, 0
	s_cbranch_scc1 .LBB222_1690
; %bb.1643:
	s_cmp_eq_u32 s10, 1
	s_cbranch_scc0 .LBB222_1691
; %bb.1644:
	v_max_num_f32_e64 v1, s11, s11
	v_max_num_f32_e32 v3, v4, v4
	s_mov_b32 s7, 0
	s_delay_alu instid0(VALU_DEP_1)
	v_min_num_f32_e32 v1, v3, v1
	s_branch .LBB222_1692
.LBB222_1645:
	s_mov_b32 s0, 0
	s_mov_b32 s3, 0
                                        ; implicit-def: $sgpr15
                                        ; implicit-def: $vgpr0_vgpr1
                                        ; implicit-def: $vgpr4
.LBB222_1646:
	s_and_not1_b32 s2, s14, exec_lo
	s_and_b32 s4, s1, exec_lo
	s_and_b32 s0, s0, exec_lo
	;; [unrolled: 1-line block ×3, first 2 shown]
	s_or_b32 s14, s2, s4
.LBB222_1647:
	s_wait_xcnt 0x0
	s_or_b32 exec_lo, exec_lo, s13
	s_and_saveexec_b32 s2, s14
	s_cbranch_execz .LBB222_1650
; %bb.1648:
	; divergent unreachable
	s_or_b32 exec_lo, exec_lo, s2
	s_and_saveexec_b32 s2, s1
	s_delay_alu instid0(SALU_CYCLE_1)
	s_xor_b32 s1, exec_lo, s2
	s_cbranch_execnz .LBB222_1651
.LBB222_1649:
	s_or_b32 exec_lo, exec_lo, s1
	s_and_saveexec_b32 s1, s0
	s_cbranch_execnz .LBB222_1652
	s_branch .LBB222_1689
.LBB222_1650:
	s_or_b32 exec_lo, exec_lo, s2
	s_and_saveexec_b32 s2, s1
	s_delay_alu instid0(SALU_CYCLE_1)
	s_xor_b32 s1, exec_lo, s2
	s_cbranch_execz .LBB222_1649
.LBB222_1651:
	s_wait_loadcnt 0x0
	s_delay_alu instid0(VALU_DEP_1)
	v_cmp_neq_f32_e32 vcc_lo, 0, v4
	v_cndmask_b32_e64 v2, 0, 1, vcc_lo
	global_store_b8 v[0:1], v2, off
	s_wait_xcnt 0x0
	s_or_b32 exec_lo, exec_lo, s1
	s_and_saveexec_b32 s1, s0
	s_cbranch_execz .LBB222_1689
.LBB222_1652:
	s_sext_i32_i16 s1, s15
	s_mov_b32 s0, -1
	s_cmp_lt_i32 s1, 5
	s_cbranch_scc1 .LBB222_1673
; %bb.1653:
	s_cmp_lt_i32 s1, 8
	s_cbranch_scc1 .LBB222_1663
; %bb.1654:
	;; [unrolled: 3-line block ×3, first 2 shown]
	s_cmp_gt_i32 s1, 9
	s_cbranch_scc0 .LBB222_1657
; %bb.1656:
	s_wait_loadcnt 0x0
	v_cvt_f64_f32_e32 v[6:7], v4
	v_mov_b32_e32 v8, 0
	s_mov_b32 s0, 0
	s_delay_alu instid0(VALU_DEP_1)
	v_mov_b32_e32 v9, v8
	global_store_b128 v[0:1], v[6:9], off
.LBB222_1657:
	s_and_not1_b32 vcc_lo, exec_lo, s0
	s_cbranch_vccnz .LBB222_1659
; %bb.1658:
	v_mov_b32_e32 v5, 0
	s_wait_loadcnt 0x0
	global_store_b64 v[0:1], v[4:5], off
.LBB222_1659:
	s_mov_b32 s0, 0
.LBB222_1660:
	s_delay_alu instid0(SALU_CYCLE_1)
	s_and_not1_b32 vcc_lo, exec_lo, s0
	s_cbranch_vccnz .LBB222_1662
; %bb.1661:
	s_wait_loadcnt 0x0
	v_cvt_f16_f32_e32 v2, v4
	s_delay_alu instid0(VALU_DEP_1)
	v_and_b32_e32 v2, 0xffff, v2
	global_store_b32 v[0:1], v2, off
.LBB222_1662:
	s_mov_b32 s0, 0
.LBB222_1663:
	s_delay_alu instid0(SALU_CYCLE_1)
	s_and_not1_b32 vcc_lo, exec_lo, s0
	s_cbranch_vccnz .LBB222_1672
; %bb.1664:
	s_sext_i32_i16 s1, s15
	s_mov_b32 s0, -1
	s_cmp_lt_i32 s1, 6
	s_cbranch_scc1 .LBB222_1670
; %bb.1665:
	s_cmp_gt_i32 s1, 6
	s_cbranch_scc0 .LBB222_1667
; %bb.1666:
	s_wait_loadcnt 0x0
	v_cvt_f64_f32_e32 v[2:3], v4
	s_mov_b32 s0, 0
	global_store_b64 v[0:1], v[2:3], off
.LBB222_1667:
	s_and_not1_b32 vcc_lo, exec_lo, s0
	s_cbranch_vccnz .LBB222_1669
; %bb.1668:
	s_wait_loadcnt 0x0
	global_store_b32 v[0:1], v4, off
.LBB222_1669:
	s_mov_b32 s0, 0
.LBB222_1670:
	s_delay_alu instid0(SALU_CYCLE_1)
	s_and_not1_b32 vcc_lo, exec_lo, s0
	s_cbranch_vccnz .LBB222_1672
; %bb.1671:
	s_wait_loadcnt 0x0
	v_cvt_f16_f32_e32 v2, v4
	global_store_b16 v[0:1], v2, off
.LBB222_1672:
	s_mov_b32 s0, 0
.LBB222_1673:
	s_delay_alu instid0(SALU_CYCLE_1)
	s_and_not1_b32 vcc_lo, exec_lo, s0
	s_cbranch_vccnz .LBB222_1689
; %bb.1674:
	s_sext_i32_i16 s1, s15
	s_mov_b32 s0, -1
	s_cmp_lt_i32 s1, 2
	s_cbranch_scc1 .LBB222_1684
; %bb.1675:
	s_cmp_lt_i32 s1, 3
	s_cbranch_scc1 .LBB222_1681
; %bb.1676:
	s_cmp_gt_i32 s1, 3
	s_cbranch_scc0 .LBB222_1678
; %bb.1677:
	s_wait_loadcnt 0x0
	v_trunc_f32_e32 v2, v4
	s_mov_b32 s0, 0
	s_delay_alu instid0(VALU_DEP_1) | instskip(NEXT) | instid1(VALU_DEP_1)
	v_mul_f32_e64 v3, 0x2f800000, |v2|
	v_floor_f32_e32 v3, v3
	s_delay_alu instid0(VALU_DEP_1) | instskip(SKIP_2) | instid1(VALU_DEP_3)
	v_fma_f32 v5, 0xcf800000, v3, |v2|
	v_ashrrev_i32_e32 v2, 31, v2
	v_cvt_u32_f32_e32 v6, v3
	v_cvt_u32_f32_e32 v5, v5
	s_delay_alu instid0(VALU_DEP_3) | instskip(NEXT) | instid1(VALU_DEP_3)
	v_mov_b32_e32 v3, v2
	v_xor_b32_e32 v7, v6, v2
	s_delay_alu instid0(VALU_DEP_3) | instskip(NEXT) | instid1(VALU_DEP_1)
	v_xor_b32_e32 v6, v5, v2
	v_sub_nc_u64_e32 v[2:3], v[6:7], v[2:3]
	global_store_b64 v[0:1], v[2:3], off
.LBB222_1678:
	s_and_not1_b32 vcc_lo, exec_lo, s0
	s_cbranch_vccnz .LBB222_1680
; %bb.1679:
	s_wait_loadcnt 0x0
	v_cvt_i32_f32_e32 v2, v4
	global_store_b32 v[0:1], v2, off
.LBB222_1680:
	s_mov_b32 s0, 0
.LBB222_1681:
	s_delay_alu instid0(SALU_CYCLE_1)
	s_and_not1_b32 vcc_lo, exec_lo, s0
	s_cbranch_vccnz .LBB222_1683
; %bb.1682:
	s_wait_loadcnt 0x0
	v_cvt_i32_f32_e32 v2, v4
	global_store_b16 v[0:1], v2, off
.LBB222_1683:
	s_mov_b32 s0, 0
.LBB222_1684:
	s_delay_alu instid0(SALU_CYCLE_1)
	s_and_not1_b32 vcc_lo, exec_lo, s0
	s_cbranch_vccnz .LBB222_1689
; %bb.1685:
	s_sext_i32_i16 s0, s15
	s_delay_alu instid0(SALU_CYCLE_1)
	s_cmp_gt_i32 s0, 0
	s_mov_b32 s0, -1
	s_cbranch_scc0 .LBB222_1687
; %bb.1686:
	s_wait_loadcnt 0x0
	v_cvt_i32_f32_e32 v2, v4
	s_mov_b32 s0, 0
	global_store_b8 v[0:1], v2, off
.LBB222_1687:
	s_and_not1_b32 vcc_lo, exec_lo, s0
	s_cbranch_vccnz .LBB222_1689
; %bb.1688:
	s_wait_loadcnt 0x0
	v_trunc_f32_e32 v2, v4
	s_delay_alu instid0(VALU_DEP_1) | instskip(NEXT) | instid1(VALU_DEP_1)
	v_mul_f32_e64 v3, 0x2f800000, |v2|
	v_floor_f32_e32 v3, v3
	s_delay_alu instid0(VALU_DEP_1) | instskip(SKIP_1) | instid1(VALU_DEP_2)
	v_fma_f32 v3, 0xcf800000, v3, |v2|
	v_ashrrev_i32_e32 v2, 31, v2
	v_cvt_u32_f32_e32 v3, v3
	s_delay_alu instid0(VALU_DEP_1) | instskip(NEXT) | instid1(VALU_DEP_1)
	v_xor_b32_e32 v3, v3, v2
	v_sub_nc_u32_e32 v2, v3, v2
	global_store_b8 v[0:1], v2, off
	s_endpgm
.LBB222_1689:
	s_endpgm
.LBB222_1690:
	s_mov_b32 s9, -1
	s_mov_b32 s7, 0
                                        ; implicit-def: $vgpr1
	s_branch .LBB222_1693
.LBB222_1691:
	s_mov_b32 s7, -1
                                        ; implicit-def: $vgpr1
.LBB222_1692:
	s_mov_b32 s9, 0
.LBB222_1693:
	s_delay_alu instid0(SALU_CYCLE_1)
	s_and_b32 vcc_lo, exec_lo, s9
	s_cbranch_vccz .LBB222_1776
; %bb.1694:
	s_cmp_lg_u32 s10, 0
	s_mov_b32 s6, -1
	s_cselect_b32 s7, -1, 0
	v_max_num_f32_e64 v3, s11, s11
	v_max_num_f32_e32 v4, v4, v4
	s_and_not1_b32 vcc_lo, exec_lo, s7
	s_cbranch_vccz .LBB222_1777
.LBB222_1695:
	s_and_not1_b32 vcc_lo, exec_lo, s6
	s_cbranch_vccnz .LBB222_1697
.LBB222_1696:
	v_max_num_f32_e32 v1, v4, v3
.LBB222_1697:
	s_delay_alu instid0(VALU_DEP_1)
	v_mov_b32_e32 v4, v1
.LBB222_1698:
	s_or_b32 exec_lo, exec_lo, s0
	v_mul_lo_u32 v8, s8, v10
	s_and_b32 s15, s3, 0xff
	s_delay_alu instid0(SALU_CYCLE_1) | instskip(NEXT) | instid1(VALU_DEP_1)
	s_cmp_lt_i32 s15, 11
	v_ashrrev_i32_e32 v9, 31, v8
	s_delay_alu instid0(VALU_DEP_1)
	v_add_nc_u64_e32 v[10:11], s[4:5], v[8:9]
	s_cbranch_scc1 .LBB222_1778
; %bb.1699:
	s_and_b32 s2, 0xffff, s15
	s_mov_b32 s7, -1
	s_mov_b32 s3, 0
	s_cmp_gt_i32 s2, 25
	s_mov_b32 s6, 0
	s_mov_b32 s0, 0
	s_cbranch_scc0 .LBB222_1732
; %bb.1700:
	s_cmp_gt_i32 s2, 28
	s_cbranch_scc0 .LBB222_1715
; %bb.1701:
	s_cmp_gt_i32 s2, 43
	;; [unrolled: 3-line block ×3, first 2 shown]
	s_cbranch_scc0 .LBB222_1705
; %bb.1703:
	s_mov_b32 s0, -1
	s_mov_b32 s7, 0
	s_cmp_eq_u32 s2, 46
	s_cbranch_scc0 .LBB222_1705
; %bb.1704:
	v_bfe_u32 v1, v0, 16, 1
	v_cmp_o_f32_e32 vcc_lo, v0, v0
	s_mov_b32 s0, 0
	s_mov_b32 s6, -1
	s_delay_alu instid0(VALU_DEP_2) | instskip(NEXT) | instid1(VALU_DEP_1)
	v_add3_u32 v1, v0, v1, 0x7fff
	v_lshrrev_b32_e32 v1, 16, v1
	s_delay_alu instid0(VALU_DEP_1)
	v_cndmask_b32_e32 v1, 0x7fc0, v1, vcc_lo
	global_store_b32 v[10:11], v1, off
.LBB222_1705:
	s_and_b32 vcc_lo, exec_lo, s7
	s_cbranch_vccz .LBB222_1710
; %bb.1706:
	s_cmp_eq_u32 s2, 44
	s_mov_b32 s0, -1
	s_cbranch_scc0 .LBB222_1710
; %bb.1707:
	v_bfe_u32 v3, v0, 23, 8
	s_wait_xcnt 0x0
	v_mov_b32_e32 v1, 0xff
	s_mov_b32 s6, exec_lo
	s_delay_alu instid0(VALU_DEP_2)
	v_cmpx_ne_u32_e32 0xff, v3
	s_cbranch_execz .LBB222_1709
; %bb.1708:
	v_and_b32_e32 v1, 0x400000, v0
	v_and_or_b32 v3, 0x3fffff, v0, v3
	s_delay_alu instid0(VALU_DEP_2) | instskip(NEXT) | instid1(VALU_DEP_2)
	v_cmp_ne_u32_e32 vcc_lo, 0, v1
	v_cmp_ne_u32_e64 s0, 0, v3
	v_lshrrev_b32_e32 v1, 23, v0
	s_and_b32 s0, vcc_lo, s0
	s_delay_alu instid0(SALU_CYCLE_1) | instskip(NEXT) | instid1(VALU_DEP_1)
	v_cndmask_b32_e64 v3, 0, 1, s0
	v_add_nc_u32_e32 v1, v1, v3
.LBB222_1709:
	s_or_b32 exec_lo, exec_lo, s6
	s_mov_b32 s0, 0
	s_mov_b32 s6, -1
	global_store_b8 v[10:11], v1, off
.LBB222_1710:
	s_mov_b32 s7, 0
.LBB222_1711:
	s_delay_alu instid0(SALU_CYCLE_1)
	s_and_b32 vcc_lo, exec_lo, s7
	s_cbranch_vccz .LBB222_1714
; %bb.1712:
	s_cmp_eq_u32 s2, 29
	s_mov_b32 s0, -1
	s_cbranch_scc0 .LBB222_1714
; %bb.1713:
	s_wait_xcnt 0x0
	v_trunc_f32_e32 v1, v0
	s_mov_b32 s0, 0
	s_mov_b32 s6, -1
	s_delay_alu instid0(VALU_DEP_1) | instskip(NEXT) | instid1(VALU_DEP_1)
	v_mul_f32_e32 v3, 0x2f800000, v1
	v_floor_f32_e32 v3, v3
	s_delay_alu instid0(VALU_DEP_1) | instskip(SKIP_1) | instid1(VALU_DEP_2)
	v_fmamk_f32 v1, v3, 0xcf800000, v1
	v_cvt_u32_f32_e32 v13, v3
	v_cvt_u32_f32_e32 v12, v1
	global_store_b64 v[10:11], v[12:13], off
.LBB222_1714:
	s_mov_b32 s7, 0
.LBB222_1715:
	s_delay_alu instid0(SALU_CYCLE_1)
	s_and_b32 vcc_lo, exec_lo, s7
	s_cbranch_vccz .LBB222_1731
; %bb.1716:
	s_cmp_lt_i32 s2, 27
	s_mov_b32 s6, -1
	s_cbranch_scc1 .LBB222_1722
; %bb.1717:
	s_wait_xcnt 0x0
	v_cvt_u32_f32_e32 v1, v0
	s_cmp_gt_i32 s2, 27
	s_cbranch_scc0 .LBB222_1719
; %bb.1718:
	s_mov_b32 s6, 0
	global_store_b32 v[10:11], v1, off
.LBB222_1719:
	s_and_not1_b32 vcc_lo, exec_lo, s6
	s_cbranch_vccnz .LBB222_1721
; %bb.1720:
	global_store_b16 v[10:11], v1, off
.LBB222_1721:
	s_mov_b32 s6, 0
.LBB222_1722:
	s_delay_alu instid0(SALU_CYCLE_1)
	s_and_not1_b32 vcc_lo, exec_lo, s6
	s_cbranch_vccnz .LBB222_1730
; %bb.1723:
	s_wait_xcnt 0x0
	v_and_b32_e32 v1, 0x7fffffff, v0
	v_mov_b32_e32 v3, 0x80
	s_mov_b32 s6, exec_lo
	s_delay_alu instid0(VALU_DEP_2)
	v_cmpx_gt_u32_e32 0x43800000, v1
	s_cbranch_execz .LBB222_1729
; %bb.1724:
	v_cmp_lt_u32_e32 vcc_lo, 0x3bffffff, v1
	s_mov_b32 s7, 0
                                        ; implicit-def: $vgpr1
	s_and_saveexec_b32 s9, vcc_lo
	s_delay_alu instid0(SALU_CYCLE_1)
	s_xor_b32 s9, exec_lo, s9
	s_cbranch_execz .LBB222_2136
; %bb.1725:
	v_bfe_u32 v1, v0, 20, 1
	s_mov_b32 s7, exec_lo
	s_delay_alu instid0(VALU_DEP_1) | instskip(NEXT) | instid1(VALU_DEP_1)
	v_add3_u32 v1, v0, v1, 0x487ffff
	v_lshrrev_b32_e32 v1, 20, v1
	s_and_not1_saveexec_b32 s9, s9
	s_cbranch_execnz .LBB222_2137
.LBB222_1726:
	s_or_b32 exec_lo, exec_lo, s9
	v_mov_b32_e32 v3, 0
	s_and_saveexec_b32 s9, s7
.LBB222_1727:
	v_lshrrev_b32_e32 v3, 24, v0
	s_delay_alu instid0(VALU_DEP_1)
	v_and_or_b32 v3, 0x80, v3, v1
.LBB222_1728:
	s_or_b32 exec_lo, exec_lo, s9
.LBB222_1729:
	s_delay_alu instid0(SALU_CYCLE_1)
	s_or_b32 exec_lo, exec_lo, s6
	global_store_b8 v[10:11], v3, off
.LBB222_1730:
	s_mov_b32 s6, -1
.LBB222_1731:
	s_mov_b32 s7, 0
.LBB222_1732:
	s_delay_alu instid0(SALU_CYCLE_1)
	s_and_b32 vcc_lo, exec_lo, s7
	s_cbranch_vccz .LBB222_1772
; %bb.1733:
	s_cmp_gt_i32 s2, 22
	s_mov_b32 s3, -1
	s_cbranch_scc0 .LBB222_1765
; %bb.1734:
	s_cmp_lt_i32 s2, 24
	s_cbranch_scc1 .LBB222_1754
; %bb.1735:
	s_cmp_gt_i32 s2, 24
	s_cbranch_scc0 .LBB222_1743
; %bb.1736:
	s_wait_xcnt 0x0
	v_and_b32_e32 v1, 0x7fffffff, v0
	v_mov_b32_e32 v3, 0x80
	s_mov_b32 s3, exec_lo
	s_delay_alu instid0(VALU_DEP_2)
	v_cmpx_gt_u32_e32 0x47800000, v1
	s_cbranch_execz .LBB222_1742
; %bb.1737:
	v_cmp_lt_u32_e32 vcc_lo, 0x37ffffff, v1
	s_mov_b32 s6, 0
                                        ; implicit-def: $vgpr1
	s_and_saveexec_b32 s7, vcc_lo
	s_delay_alu instid0(SALU_CYCLE_1)
	s_xor_b32 s7, exec_lo, s7
	s_cbranch_execz .LBB222_2139
; %bb.1738:
	v_bfe_u32 v1, v0, 21, 1
	s_mov_b32 s6, exec_lo
	s_delay_alu instid0(VALU_DEP_1) | instskip(NEXT) | instid1(VALU_DEP_1)
	v_add3_u32 v1, v0, v1, 0x88fffff
	v_lshrrev_b32_e32 v1, 21, v1
	s_and_not1_saveexec_b32 s7, s7
	s_cbranch_execnz .LBB222_2140
.LBB222_1739:
	s_or_b32 exec_lo, exec_lo, s7
	v_mov_b32_e32 v3, 0
	s_and_saveexec_b32 s7, s6
.LBB222_1740:
	v_lshrrev_b32_e32 v3, 24, v0
	s_delay_alu instid0(VALU_DEP_1)
	v_and_or_b32 v3, 0x80, v3, v1
.LBB222_1741:
	s_or_b32 exec_lo, exec_lo, s7
.LBB222_1742:
	s_delay_alu instid0(SALU_CYCLE_1)
	s_or_b32 exec_lo, exec_lo, s3
	s_mov_b32 s3, 0
	global_store_b8 v[10:11], v3, off
.LBB222_1743:
	s_and_b32 vcc_lo, exec_lo, s3
	s_cbranch_vccz .LBB222_1753
; %bb.1744:
	s_wait_xcnt 0x0
	v_and_b32_e32 v3, 0x7fffffff, v0
	s_mov_b32 s3, exec_lo
                                        ; implicit-def: $vgpr1
	s_delay_alu instid0(VALU_DEP_1)
	v_cmpx_gt_u32_e32 0x43f00000, v3
	s_xor_b32 s3, exec_lo, s3
	s_cbranch_execz .LBB222_1750
; %bb.1745:
	s_mov_b32 s6, exec_lo
                                        ; implicit-def: $vgpr1
	v_cmpx_lt_u32_e32 0x3c7fffff, v3
	s_xor_b32 s6, exec_lo, s6
; %bb.1746:
	v_bfe_u32 v1, v0, 20, 1
	s_delay_alu instid0(VALU_DEP_1) | instskip(NEXT) | instid1(VALU_DEP_1)
	v_add3_u32 v1, v0, v1, 0x407ffff
	v_and_b32_e32 v3, 0xff00000, v1
	v_lshrrev_b32_e32 v1, 20, v1
	s_delay_alu instid0(VALU_DEP_2) | instskip(NEXT) | instid1(VALU_DEP_2)
	v_cmp_ne_u32_e32 vcc_lo, 0x7f00000, v3
	v_cndmask_b32_e32 v1, 0x7e, v1, vcc_lo
; %bb.1747:
	s_and_not1_saveexec_b32 s6, s6
; %bb.1748:
	v_add_f32_e64 v1, 0x46800000, |v0|
; %bb.1749:
	s_or_b32 exec_lo, exec_lo, s6
                                        ; implicit-def: $vgpr3
.LBB222_1750:
	s_and_not1_saveexec_b32 s3, s3
; %bb.1751:
	v_mov_b32_e32 v1, 0x7f
	v_cmp_lt_u32_e32 vcc_lo, 0x7f800000, v3
	s_delay_alu instid0(VALU_DEP_2)
	v_cndmask_b32_e32 v1, 0x7e, v1, vcc_lo
; %bb.1752:
	s_or_b32 exec_lo, exec_lo, s3
	v_lshrrev_b32_e32 v3, 24, v0
	s_delay_alu instid0(VALU_DEP_1)
	v_and_or_b32 v1, 0x80, v3, v1
	global_store_b8 v[10:11], v1, off
.LBB222_1753:
	s_mov_b32 s3, 0
.LBB222_1754:
	s_delay_alu instid0(SALU_CYCLE_1)
	s_and_not1_b32 vcc_lo, exec_lo, s3
	s_cbranch_vccnz .LBB222_1764
; %bb.1755:
	s_wait_xcnt 0x0
	v_and_b32_e32 v3, 0x7fffffff, v0
	s_mov_b32 s3, exec_lo
                                        ; implicit-def: $vgpr1
	s_delay_alu instid0(VALU_DEP_1)
	v_cmpx_gt_u32_e32 0x47800000, v3
	s_xor_b32 s3, exec_lo, s3
	s_cbranch_execz .LBB222_1761
; %bb.1756:
	s_mov_b32 s6, exec_lo
                                        ; implicit-def: $vgpr1
	v_cmpx_lt_u32_e32 0x387fffff, v3
	s_xor_b32 s6, exec_lo, s6
; %bb.1757:
	v_bfe_u32 v1, v0, 21, 1
	s_delay_alu instid0(VALU_DEP_1) | instskip(NEXT) | instid1(VALU_DEP_1)
	v_add3_u32 v1, v0, v1, 0x80fffff
	v_lshrrev_b32_e32 v1, 21, v1
; %bb.1758:
	s_and_not1_saveexec_b32 s6, s6
; %bb.1759:
	v_add_f32_e64 v1, 0x43000000, |v0|
; %bb.1760:
	s_or_b32 exec_lo, exec_lo, s6
                                        ; implicit-def: $vgpr3
.LBB222_1761:
	s_and_not1_saveexec_b32 s3, s3
; %bb.1762:
	v_mov_b32_e32 v1, 0x7f
	v_cmp_lt_u32_e32 vcc_lo, 0x7f800000, v3
	s_delay_alu instid0(VALU_DEP_2)
	v_cndmask_b32_e32 v1, 0x7c, v1, vcc_lo
; %bb.1763:
	s_or_b32 exec_lo, exec_lo, s3
	v_lshrrev_b32_e32 v3, 24, v0
	s_delay_alu instid0(VALU_DEP_1)
	v_and_or_b32 v1, 0x80, v3, v1
	global_store_b8 v[10:11], v1, off
.LBB222_1764:
	s_mov_b32 s3, 0
	s_mov_b32 s6, -1
.LBB222_1765:
	s_and_not1_b32 vcc_lo, exec_lo, s3
	s_mov_b32 s3, 0
	s_cbranch_vccnz .LBB222_1772
; %bb.1766:
	s_cmp_gt_i32 s2, 14
	s_mov_b32 s3, -1
	s_cbranch_scc0 .LBB222_1770
; %bb.1767:
	s_cmp_eq_u32 s2, 15
	s_mov_b32 s0, -1
	s_cbranch_scc0 .LBB222_1769
; %bb.1768:
	s_wait_xcnt 0x0
	v_bfe_u32 v1, v0, 16, 1
	v_cmp_o_f32_e32 vcc_lo, v0, v0
	s_mov_b32 s0, 0
	s_mov_b32 s6, -1
	s_delay_alu instid0(VALU_DEP_2) | instskip(NEXT) | instid1(VALU_DEP_1)
	v_add3_u32 v1, v0, v1, 0x7fff
	v_lshrrev_b32_e32 v1, 16, v1
	s_delay_alu instid0(VALU_DEP_1)
	v_cndmask_b32_e32 v1, 0x7fc0, v1, vcc_lo
	global_store_b16 v[10:11], v1, off
.LBB222_1769:
	s_mov_b32 s3, 0
.LBB222_1770:
	s_delay_alu instid0(SALU_CYCLE_1)
	s_and_b32 vcc_lo, exec_lo, s3
	s_mov_b32 s3, 0
	s_cbranch_vccz .LBB222_1772
; %bb.1771:
	s_cmp_lg_u32 s2, 11
	s_mov_b32 s3, -1
	s_cselect_b32 s0, -1, 0
.LBB222_1772:
	s_delay_alu instid0(SALU_CYCLE_1)
	s_and_b32 vcc_lo, exec_lo, s0
	s_cbranch_vccnz .LBB222_2138
; %bb.1773:
	s_and_not1_b32 vcc_lo, exec_lo, s3
	s_cbranch_vccnz .LBB222_1775
.LBB222_1774:
	v_cmp_neq_f32_e32 vcc_lo, 0, v0
	s_mov_b32 s6, -1
	s_wait_xcnt 0x0
	v_cndmask_b32_e64 v1, 0, 1, vcc_lo
	global_store_b8 v[10:11], v1, off
.LBB222_1775:
	s_mov_b32 s0, 0
	s_branch .LBB222_1779
.LBB222_1776:
	v_max_num_f32_e64 v3, s11, s11
	v_max_num_f32_e32 v4, v4, v4
	s_and_not1_b32 vcc_lo, exec_lo, s7
	s_cbranch_vccnz .LBB222_1695
.LBB222_1777:
	v_max_num_f32_e64 v1, s2, s2
	s_delay_alu instid0(VALU_DEP_1)
	v_maxmin_num_f32 v1, v4, v3, v1
	s_cbranch_execz .LBB222_1696
	s_branch .LBB222_1697
.LBB222_1778:
	s_mov_b32 s0, -1
	s_mov_b32 s6, 0
.LBB222_1779:
	s_and_b32 vcc_lo, exec_lo, s0
	s_cbranch_vccz .LBB222_1818
; %bb.1780:
	s_and_b32 s0, 0xffff, s15
	s_mov_b32 s2, -1
	s_cmp_lt_i32 s0, 5
	s_cbranch_scc1 .LBB222_1801
; %bb.1781:
	s_cmp_lt_i32 s0, 8
	s_cbranch_scc1 .LBB222_1791
; %bb.1782:
	;; [unrolled: 3-line block ×3, first 2 shown]
	s_cmp_gt_i32 s0, 9
	s_cbranch_scc0 .LBB222_1785
; %bb.1784:
	s_wait_xcnt 0x0
	v_cvt_f64_f32_e32 v[12:13], v0
	v_mov_b32_e32 v14, 0
	s_mov_b32 s2, 0
	s_delay_alu instid0(VALU_DEP_1)
	v_mov_b32_e32 v15, v14
	global_store_b128 v[10:11], v[12:15], off
.LBB222_1785:
	s_and_not1_b32 vcc_lo, exec_lo, s2
	s_cbranch_vccnz .LBB222_1787
; %bb.1786:
	s_wait_xcnt 0x0
	v_mov_b32_e32 v1, 0
	global_store_b64 v[10:11], v[0:1], off
.LBB222_1787:
	s_mov_b32 s2, 0
.LBB222_1788:
	s_delay_alu instid0(SALU_CYCLE_1)
	s_and_not1_b32 vcc_lo, exec_lo, s2
	s_cbranch_vccnz .LBB222_1790
; %bb.1789:
	s_wait_xcnt 0x0
	v_cvt_f16_f32_e32 v1, v0
	s_delay_alu instid0(VALU_DEP_1)
	v_and_b32_e32 v1, 0xffff, v1
	global_store_b32 v[10:11], v1, off
.LBB222_1790:
	s_mov_b32 s2, 0
.LBB222_1791:
	s_delay_alu instid0(SALU_CYCLE_1)
	s_and_not1_b32 vcc_lo, exec_lo, s2
	s_cbranch_vccnz .LBB222_1800
; %bb.1792:
	s_cmp_lt_i32 s0, 6
	s_mov_b32 s2, -1
	s_cbranch_scc1 .LBB222_1798
; %bb.1793:
	s_cmp_gt_i32 s0, 6
	s_cbranch_scc0 .LBB222_1795
; %bb.1794:
	s_wait_xcnt 0x0
	v_cvt_f64_f32_e32 v[12:13], v0
	s_mov_b32 s2, 0
	global_store_b64 v[10:11], v[12:13], off
.LBB222_1795:
	s_and_not1_b32 vcc_lo, exec_lo, s2
	s_cbranch_vccnz .LBB222_1797
; %bb.1796:
	global_store_b32 v[10:11], v0, off
.LBB222_1797:
	s_mov_b32 s2, 0
.LBB222_1798:
	s_delay_alu instid0(SALU_CYCLE_1)
	s_and_not1_b32 vcc_lo, exec_lo, s2
	s_cbranch_vccnz .LBB222_1800
; %bb.1799:
	s_wait_xcnt 0x0
	v_cvt_f16_f32_e32 v1, v0
	global_store_b16 v[10:11], v1, off
.LBB222_1800:
	s_mov_b32 s2, 0
.LBB222_1801:
	s_delay_alu instid0(SALU_CYCLE_1)
	s_and_not1_b32 vcc_lo, exec_lo, s2
	s_cbranch_vccnz .LBB222_1817
; %bb.1802:
	s_cmp_lt_i32 s0, 2
	s_mov_b32 s2, -1
	s_cbranch_scc1 .LBB222_1812
; %bb.1803:
	s_cmp_lt_i32 s0, 3
	s_cbranch_scc1 .LBB222_1809
; %bb.1804:
	s_cmp_gt_i32 s0, 3
	s_cbranch_scc0 .LBB222_1806
; %bb.1805:
	s_wait_xcnt 0x0
	v_trunc_f32_e32 v1, v0
	s_mov_b32 s2, 0
	s_delay_alu instid0(VALU_DEP_1) | instskip(SKIP_1) | instid1(VALU_DEP_2)
	v_mul_f32_e64 v3, 0x2f800000, |v1|
	v_ashrrev_i32_e32 v12, 31, v1
	v_floor_f32_e32 v3, v3
	s_delay_alu instid0(VALU_DEP_1) | instskip(SKIP_1) | instid1(VALU_DEP_4)
	v_fma_f32 v5, 0xcf800000, v3, |v1|
	v_cvt_u32_f32_e32 v1, v3
	v_mov_b32_e32 v13, v12
	s_delay_alu instid0(VALU_DEP_3) | instskip(NEXT) | instid1(VALU_DEP_3)
	v_cvt_u32_f32_e32 v3, v5
	v_xor_b32_e32 v15, v1, v12
	s_delay_alu instid0(VALU_DEP_2) | instskip(NEXT) | instid1(VALU_DEP_1)
	v_xor_b32_e32 v14, v3, v12
	v_sub_nc_u64_e32 v[12:13], v[14:15], v[12:13]
	global_store_b64 v[10:11], v[12:13], off
.LBB222_1806:
	s_and_not1_b32 vcc_lo, exec_lo, s2
	s_cbranch_vccnz .LBB222_1808
; %bb.1807:
	s_wait_xcnt 0x0
	v_cvt_i32_f32_e32 v1, v0
	global_store_b32 v[10:11], v1, off
.LBB222_1808:
	s_mov_b32 s2, 0
.LBB222_1809:
	s_delay_alu instid0(SALU_CYCLE_1)
	s_and_not1_b32 vcc_lo, exec_lo, s2
	s_cbranch_vccnz .LBB222_1811
; %bb.1810:
	s_wait_xcnt 0x0
	v_cvt_i32_f32_e32 v1, v0
	global_store_b16 v[10:11], v1, off
.LBB222_1811:
	s_mov_b32 s2, 0
.LBB222_1812:
	s_delay_alu instid0(SALU_CYCLE_1)
	s_and_not1_b32 vcc_lo, exec_lo, s2
	s_cbranch_vccnz .LBB222_1817
; %bb.1813:
	s_cmp_gt_i32 s0, 0
	s_mov_b32 s0, -1
	s_cbranch_scc0 .LBB222_1815
; %bb.1814:
	s_wait_xcnt 0x0
	v_cvt_i32_f32_e32 v1, v0
	s_mov_b32 s0, 0
	global_store_b8 v[10:11], v1, off
.LBB222_1815:
	s_and_not1_b32 vcc_lo, exec_lo, s0
	s_cbranch_vccnz .LBB222_1817
; %bb.1816:
	s_wait_xcnt 0x0
	v_trunc_f32_e32 v0, v0
	s_delay_alu instid0(VALU_DEP_1) | instskip(NEXT) | instid1(VALU_DEP_1)
	v_mul_f32_e64 v1, 0x2f800000, |v0|
	v_floor_f32_e32 v1, v1
	s_delay_alu instid0(VALU_DEP_1) | instskip(SKIP_1) | instid1(VALU_DEP_2)
	v_fma_f32 v1, 0xcf800000, v1, |v0|
	v_ashrrev_i32_e32 v0, 31, v0
	v_cvt_u32_f32_e32 v1, v1
	s_delay_alu instid0(VALU_DEP_1) | instskip(NEXT) | instid1(VALU_DEP_1)
	v_xor_b32_e32 v1, v1, v0
	v_sub_nc_u32_e32 v0, v1, v0
	global_store_b8 v[10:11], v0, off
.LBB222_1817:
	s_mov_b32 s6, -1
.LBB222_1818:
	s_delay_alu instid0(SALU_CYCLE_1)
	s_and_not1_b32 vcc_lo, exec_lo, s6
	s_cbranch_vccnz .LBB222_2133
; %bb.1819:
	s_lshl_b32 s2, s8, 7
	s_cmp_lt_i32 s15, 11
	s_wait_xcnt 0x0
	v_add_nc_u32_e32 v0, s2, v8
	s_delay_alu instid0(VALU_DEP_1) | instskip(NEXT) | instid1(VALU_DEP_1)
	v_ashrrev_i32_e32 v1, 31, v0
	v_add_nc_u64_e32 v[8:9], s[4:5], v[0:1]
	s_cbranch_scc1 .LBB222_1897
; %bb.1820:
	s_and_b32 s3, 0xffff, s15
	s_mov_b32 s8, -1
	s_mov_b32 s6, 0
	s_cmp_gt_i32 s3, 25
	s_mov_b32 s7, 0
	s_mov_b32 s0, 0
	s_cbranch_scc0 .LBB222_1853
; %bb.1821:
	s_cmp_gt_i32 s3, 28
	s_cbranch_scc0 .LBB222_1836
; %bb.1822:
	s_cmp_gt_i32 s3, 43
	s_cbranch_scc0 .LBB222_1832
; %bb.1823:
	s_cmp_gt_i32 s3, 45
	s_cbranch_scc0 .LBB222_1826
; %bb.1824:
	s_mov_b32 s0, -1
	s_mov_b32 s8, 0
	s_cmp_eq_u32 s3, 46
	s_cbranch_scc0 .LBB222_1826
; %bb.1825:
	v_bfe_u32 v1, v2, 16, 1
	v_cmp_o_f32_e32 vcc_lo, v2, v2
	s_mov_b32 s0, 0
	s_mov_b32 s7, -1
	s_delay_alu instid0(VALU_DEP_2) | instskip(NEXT) | instid1(VALU_DEP_1)
	v_add3_u32 v1, v2, v1, 0x7fff
	v_lshrrev_b32_e32 v1, 16, v1
	s_delay_alu instid0(VALU_DEP_1)
	v_cndmask_b32_e32 v1, 0x7fc0, v1, vcc_lo
	global_store_b32 v[8:9], v1, off
.LBB222_1826:
	s_and_b32 vcc_lo, exec_lo, s8
	s_cbranch_vccz .LBB222_1831
; %bb.1827:
	s_cmp_eq_u32 s3, 44
	s_mov_b32 s0, -1
	s_cbranch_scc0 .LBB222_1831
; %bb.1828:
	v_bfe_u32 v3, v2, 23, 8
	s_wait_xcnt 0x0
	v_mov_b32_e32 v1, 0xff
	s_mov_b32 s7, exec_lo
	s_delay_alu instid0(VALU_DEP_2)
	v_cmpx_ne_u32_e32 0xff, v3
	s_cbranch_execz .LBB222_1830
; %bb.1829:
	v_and_b32_e32 v1, 0x400000, v2
	v_and_or_b32 v3, 0x3fffff, v2, v3
	s_delay_alu instid0(VALU_DEP_2) | instskip(NEXT) | instid1(VALU_DEP_2)
	v_cmp_ne_u32_e32 vcc_lo, 0, v1
	v_cmp_ne_u32_e64 s0, 0, v3
	v_lshrrev_b32_e32 v1, 23, v2
	s_and_b32 s0, vcc_lo, s0
	s_delay_alu instid0(SALU_CYCLE_1) | instskip(NEXT) | instid1(VALU_DEP_1)
	v_cndmask_b32_e64 v3, 0, 1, s0
	v_add_nc_u32_e32 v1, v1, v3
.LBB222_1830:
	s_or_b32 exec_lo, exec_lo, s7
	s_mov_b32 s0, 0
	s_mov_b32 s7, -1
	global_store_b8 v[8:9], v1, off
.LBB222_1831:
	s_mov_b32 s8, 0
.LBB222_1832:
	s_delay_alu instid0(SALU_CYCLE_1)
	s_and_b32 vcc_lo, exec_lo, s8
	s_cbranch_vccz .LBB222_1835
; %bb.1833:
	s_cmp_eq_u32 s3, 29
	s_mov_b32 s0, -1
	s_cbranch_scc0 .LBB222_1835
; %bb.1834:
	s_wait_xcnt 0x0
	v_trunc_f32_e32 v1, v2
	s_mov_b32 s0, 0
	s_mov_b32 s7, -1
	s_delay_alu instid0(VALU_DEP_1) | instskip(NEXT) | instid1(VALU_DEP_1)
	v_mul_f32_e32 v3, 0x2f800000, v1
	v_floor_f32_e32 v3, v3
	s_delay_alu instid0(VALU_DEP_1) | instskip(SKIP_1) | instid1(VALU_DEP_2)
	v_fmamk_f32 v1, v3, 0xcf800000, v1
	v_cvt_u32_f32_e32 v11, v3
	v_cvt_u32_f32_e32 v10, v1
	global_store_b64 v[8:9], v[10:11], off
.LBB222_1835:
	s_mov_b32 s8, 0
.LBB222_1836:
	s_delay_alu instid0(SALU_CYCLE_1)
	s_and_b32 vcc_lo, exec_lo, s8
	s_cbranch_vccz .LBB222_1852
; %bb.1837:
	s_cmp_lt_i32 s3, 27
	s_mov_b32 s7, -1
	s_cbranch_scc1 .LBB222_1843
; %bb.1838:
	s_wait_xcnt 0x0
	v_cvt_u32_f32_e32 v1, v2
	s_cmp_gt_i32 s3, 27
	s_cbranch_scc0 .LBB222_1840
; %bb.1839:
	s_mov_b32 s7, 0
	global_store_b32 v[8:9], v1, off
.LBB222_1840:
	s_and_not1_b32 vcc_lo, exec_lo, s7
	s_cbranch_vccnz .LBB222_1842
; %bb.1841:
	global_store_b16 v[8:9], v1, off
.LBB222_1842:
	s_mov_b32 s7, 0
.LBB222_1843:
	s_delay_alu instid0(SALU_CYCLE_1)
	s_and_not1_b32 vcc_lo, exec_lo, s7
	s_cbranch_vccnz .LBB222_1851
; %bb.1844:
	s_wait_xcnt 0x0
	v_and_b32_e32 v1, 0x7fffffff, v2
	v_mov_b32_e32 v3, 0x80
	s_mov_b32 s7, exec_lo
	s_delay_alu instid0(VALU_DEP_2)
	v_cmpx_gt_u32_e32 0x43800000, v1
	s_cbranch_execz .LBB222_1850
; %bb.1845:
	v_cmp_lt_u32_e32 vcc_lo, 0x3bffffff, v1
	s_mov_b32 s8, 0
                                        ; implicit-def: $vgpr1
	s_and_saveexec_b32 s9, vcc_lo
	s_delay_alu instid0(SALU_CYCLE_1)
	s_xor_b32 s9, exec_lo, s9
	s_cbranch_execz .LBB222_2141
; %bb.1846:
	v_bfe_u32 v1, v2, 20, 1
	s_mov_b32 s8, exec_lo
	s_delay_alu instid0(VALU_DEP_1) | instskip(NEXT) | instid1(VALU_DEP_1)
	v_add3_u32 v1, v2, v1, 0x487ffff
	v_lshrrev_b32_e32 v1, 20, v1
	s_and_not1_saveexec_b32 s9, s9
	s_cbranch_execnz .LBB222_2142
.LBB222_1847:
	s_or_b32 exec_lo, exec_lo, s9
	v_mov_b32_e32 v3, 0
	s_and_saveexec_b32 s9, s8
.LBB222_1848:
	v_lshrrev_b32_e32 v3, 24, v2
	s_delay_alu instid0(VALU_DEP_1)
	v_and_or_b32 v3, 0x80, v3, v1
.LBB222_1849:
	s_or_b32 exec_lo, exec_lo, s9
.LBB222_1850:
	s_delay_alu instid0(SALU_CYCLE_1)
	s_or_b32 exec_lo, exec_lo, s7
	global_store_b8 v[8:9], v3, off
.LBB222_1851:
	s_mov_b32 s7, -1
.LBB222_1852:
	s_mov_b32 s8, 0
.LBB222_1853:
	s_delay_alu instid0(SALU_CYCLE_1)
	s_and_b32 vcc_lo, exec_lo, s8
	s_cbranch_vccz .LBB222_1893
; %bb.1854:
	s_cmp_gt_i32 s3, 22
	s_mov_b32 s6, -1
	s_cbranch_scc0 .LBB222_1886
; %bb.1855:
	s_cmp_lt_i32 s3, 24
	s_cbranch_scc1 .LBB222_1875
; %bb.1856:
	s_cmp_gt_i32 s3, 24
	s_cbranch_scc0 .LBB222_1864
; %bb.1857:
	s_wait_xcnt 0x0
	v_and_b32_e32 v1, 0x7fffffff, v2
	v_mov_b32_e32 v3, 0x80
	s_mov_b32 s6, exec_lo
	s_delay_alu instid0(VALU_DEP_2)
	v_cmpx_gt_u32_e32 0x47800000, v1
	s_cbranch_execz .LBB222_1863
; %bb.1858:
	v_cmp_lt_u32_e32 vcc_lo, 0x37ffffff, v1
	s_mov_b32 s7, 0
                                        ; implicit-def: $vgpr1
	s_and_saveexec_b32 s8, vcc_lo
	s_delay_alu instid0(SALU_CYCLE_1)
	s_xor_b32 s8, exec_lo, s8
	s_cbranch_execz .LBB222_2144
; %bb.1859:
	v_bfe_u32 v1, v2, 21, 1
	s_mov_b32 s7, exec_lo
	s_delay_alu instid0(VALU_DEP_1) | instskip(NEXT) | instid1(VALU_DEP_1)
	v_add3_u32 v1, v2, v1, 0x88fffff
	v_lshrrev_b32_e32 v1, 21, v1
	s_and_not1_saveexec_b32 s8, s8
	s_cbranch_execnz .LBB222_2145
.LBB222_1860:
	s_or_b32 exec_lo, exec_lo, s8
	v_mov_b32_e32 v3, 0
	s_and_saveexec_b32 s8, s7
.LBB222_1861:
	v_lshrrev_b32_e32 v3, 24, v2
	s_delay_alu instid0(VALU_DEP_1)
	v_and_or_b32 v3, 0x80, v3, v1
.LBB222_1862:
	s_or_b32 exec_lo, exec_lo, s8
.LBB222_1863:
	s_delay_alu instid0(SALU_CYCLE_1)
	s_or_b32 exec_lo, exec_lo, s6
	s_mov_b32 s6, 0
	global_store_b8 v[8:9], v3, off
.LBB222_1864:
	s_and_b32 vcc_lo, exec_lo, s6
	s_cbranch_vccz .LBB222_1874
; %bb.1865:
	s_wait_xcnt 0x0
	v_and_b32_e32 v3, 0x7fffffff, v2
	s_mov_b32 s6, exec_lo
                                        ; implicit-def: $vgpr1
	s_delay_alu instid0(VALU_DEP_1)
	v_cmpx_gt_u32_e32 0x43f00000, v3
	s_xor_b32 s6, exec_lo, s6
	s_cbranch_execz .LBB222_1871
; %bb.1866:
	s_mov_b32 s7, exec_lo
                                        ; implicit-def: $vgpr1
	v_cmpx_lt_u32_e32 0x3c7fffff, v3
	s_xor_b32 s7, exec_lo, s7
; %bb.1867:
	v_bfe_u32 v1, v2, 20, 1
	s_delay_alu instid0(VALU_DEP_1) | instskip(NEXT) | instid1(VALU_DEP_1)
	v_add3_u32 v1, v2, v1, 0x407ffff
	v_and_b32_e32 v3, 0xff00000, v1
	v_lshrrev_b32_e32 v1, 20, v1
	s_delay_alu instid0(VALU_DEP_2) | instskip(NEXT) | instid1(VALU_DEP_2)
	v_cmp_ne_u32_e32 vcc_lo, 0x7f00000, v3
	v_cndmask_b32_e32 v1, 0x7e, v1, vcc_lo
; %bb.1868:
	s_and_not1_saveexec_b32 s7, s7
; %bb.1869:
	v_add_f32_e64 v1, 0x46800000, |v2|
; %bb.1870:
	s_or_b32 exec_lo, exec_lo, s7
                                        ; implicit-def: $vgpr3
.LBB222_1871:
	s_and_not1_saveexec_b32 s6, s6
; %bb.1872:
	v_mov_b32_e32 v1, 0x7f
	v_cmp_lt_u32_e32 vcc_lo, 0x7f800000, v3
	s_delay_alu instid0(VALU_DEP_2)
	v_cndmask_b32_e32 v1, 0x7e, v1, vcc_lo
; %bb.1873:
	s_or_b32 exec_lo, exec_lo, s6
	v_lshrrev_b32_e32 v3, 24, v2
	s_delay_alu instid0(VALU_DEP_1)
	v_and_or_b32 v1, 0x80, v3, v1
	global_store_b8 v[8:9], v1, off
.LBB222_1874:
	s_mov_b32 s6, 0
.LBB222_1875:
	s_delay_alu instid0(SALU_CYCLE_1)
	s_and_not1_b32 vcc_lo, exec_lo, s6
	s_cbranch_vccnz .LBB222_1885
; %bb.1876:
	s_wait_xcnt 0x0
	v_and_b32_e32 v3, 0x7fffffff, v2
	s_mov_b32 s6, exec_lo
                                        ; implicit-def: $vgpr1
	s_delay_alu instid0(VALU_DEP_1)
	v_cmpx_gt_u32_e32 0x47800000, v3
	s_xor_b32 s6, exec_lo, s6
	s_cbranch_execz .LBB222_1882
; %bb.1877:
	s_mov_b32 s7, exec_lo
                                        ; implicit-def: $vgpr1
	v_cmpx_lt_u32_e32 0x387fffff, v3
	s_xor_b32 s7, exec_lo, s7
; %bb.1878:
	v_bfe_u32 v1, v2, 21, 1
	s_delay_alu instid0(VALU_DEP_1) | instskip(NEXT) | instid1(VALU_DEP_1)
	v_add3_u32 v1, v2, v1, 0x80fffff
	v_lshrrev_b32_e32 v1, 21, v1
; %bb.1879:
	s_and_not1_saveexec_b32 s7, s7
; %bb.1880:
	v_add_f32_e64 v1, 0x43000000, |v2|
; %bb.1881:
	s_or_b32 exec_lo, exec_lo, s7
                                        ; implicit-def: $vgpr3
.LBB222_1882:
	s_and_not1_saveexec_b32 s6, s6
; %bb.1883:
	v_mov_b32_e32 v1, 0x7f
	v_cmp_lt_u32_e32 vcc_lo, 0x7f800000, v3
	s_delay_alu instid0(VALU_DEP_2)
	v_cndmask_b32_e32 v1, 0x7c, v1, vcc_lo
; %bb.1884:
	s_or_b32 exec_lo, exec_lo, s6
	v_lshrrev_b32_e32 v3, 24, v2
	s_delay_alu instid0(VALU_DEP_1)
	v_and_or_b32 v1, 0x80, v3, v1
	global_store_b8 v[8:9], v1, off
.LBB222_1885:
	s_mov_b32 s6, 0
	s_mov_b32 s7, -1
.LBB222_1886:
	s_and_not1_b32 vcc_lo, exec_lo, s6
	s_mov_b32 s6, 0
	s_cbranch_vccnz .LBB222_1893
; %bb.1887:
	s_cmp_gt_i32 s3, 14
	s_mov_b32 s6, -1
	s_cbranch_scc0 .LBB222_1891
; %bb.1888:
	s_cmp_eq_u32 s3, 15
	s_mov_b32 s0, -1
	s_cbranch_scc0 .LBB222_1890
; %bb.1889:
	s_wait_xcnt 0x0
	v_bfe_u32 v1, v2, 16, 1
	v_cmp_o_f32_e32 vcc_lo, v2, v2
	s_mov_b32 s0, 0
	s_mov_b32 s7, -1
	s_delay_alu instid0(VALU_DEP_2) | instskip(NEXT) | instid1(VALU_DEP_1)
	v_add3_u32 v1, v2, v1, 0x7fff
	v_lshrrev_b32_e32 v1, 16, v1
	s_delay_alu instid0(VALU_DEP_1)
	v_cndmask_b32_e32 v1, 0x7fc0, v1, vcc_lo
	global_store_b16 v[8:9], v1, off
.LBB222_1890:
	s_mov_b32 s6, 0
.LBB222_1891:
	s_delay_alu instid0(SALU_CYCLE_1)
	s_and_b32 vcc_lo, exec_lo, s6
	s_mov_b32 s6, 0
	s_cbranch_vccz .LBB222_1893
; %bb.1892:
	s_cmp_lg_u32 s3, 11
	s_mov_b32 s6, -1
	s_cselect_b32 s0, -1, 0
.LBB222_1893:
	s_delay_alu instid0(SALU_CYCLE_1)
	s_and_b32 vcc_lo, exec_lo, s0
	s_cbranch_vccnz .LBB222_2143
; %bb.1894:
	s_and_not1_b32 vcc_lo, exec_lo, s6
	s_cbranch_vccnz .LBB222_1896
.LBB222_1895:
	v_cmp_neq_f32_e32 vcc_lo, 0, v2
	s_mov_b32 s7, -1
	s_wait_xcnt 0x0
	v_cndmask_b32_e64 v1, 0, 1, vcc_lo
	global_store_b8 v[8:9], v1, off
.LBB222_1896:
	s_mov_b32 s0, 0
	s_branch .LBB222_1898
.LBB222_1897:
	s_mov_b32 s0, -1
	s_mov_b32 s7, 0
.LBB222_1898:
	s_and_b32 vcc_lo, exec_lo, s0
	s_cbranch_vccz .LBB222_1937
; %bb.1899:
	s_and_b32 s0, 0xffff, s15
	s_mov_b32 s3, -1
	s_cmp_lt_i32 s0, 5
	s_cbranch_scc1 .LBB222_1920
; %bb.1900:
	s_cmp_lt_i32 s0, 8
	s_cbranch_scc1 .LBB222_1910
; %bb.1901:
	;; [unrolled: 3-line block ×3, first 2 shown]
	s_cmp_gt_i32 s0, 9
	s_cbranch_scc0 .LBB222_1904
; %bb.1903:
	s_wait_xcnt 0x0
	v_cvt_f64_f32_e32 v[10:11], v2
	v_mov_b32_e32 v12, 0
	s_mov_b32 s3, 0
	s_delay_alu instid0(VALU_DEP_1)
	v_mov_b32_e32 v13, v12
	global_store_b128 v[8:9], v[10:13], off
.LBB222_1904:
	s_and_not1_b32 vcc_lo, exec_lo, s3
	s_cbranch_vccnz .LBB222_1906
; %bb.1905:
	s_wait_xcnt 0x0
	v_mov_b32_e32 v3, 0
	global_store_b64 v[8:9], v[2:3], off
.LBB222_1906:
	s_mov_b32 s3, 0
.LBB222_1907:
	s_delay_alu instid0(SALU_CYCLE_1)
	s_and_not1_b32 vcc_lo, exec_lo, s3
	s_cbranch_vccnz .LBB222_1909
; %bb.1908:
	s_wait_xcnt 0x0
	v_cvt_f16_f32_e32 v1, v2
	s_delay_alu instid0(VALU_DEP_1)
	v_and_b32_e32 v1, 0xffff, v1
	global_store_b32 v[8:9], v1, off
.LBB222_1909:
	s_mov_b32 s3, 0
.LBB222_1910:
	s_delay_alu instid0(SALU_CYCLE_1)
	s_and_not1_b32 vcc_lo, exec_lo, s3
	s_cbranch_vccnz .LBB222_1919
; %bb.1911:
	s_cmp_lt_i32 s0, 6
	s_mov_b32 s3, -1
	s_cbranch_scc1 .LBB222_1917
; %bb.1912:
	s_cmp_gt_i32 s0, 6
	s_cbranch_scc0 .LBB222_1914
; %bb.1913:
	s_wait_xcnt 0x0
	v_cvt_f64_f32_e32 v[10:11], v2
	s_mov_b32 s3, 0
	global_store_b64 v[8:9], v[10:11], off
.LBB222_1914:
	s_and_not1_b32 vcc_lo, exec_lo, s3
	s_cbranch_vccnz .LBB222_1916
; %bb.1915:
	global_store_b32 v[8:9], v2, off
.LBB222_1916:
	s_mov_b32 s3, 0
.LBB222_1917:
	s_delay_alu instid0(SALU_CYCLE_1)
	s_and_not1_b32 vcc_lo, exec_lo, s3
	s_cbranch_vccnz .LBB222_1919
; %bb.1918:
	s_wait_xcnt 0x0
	v_cvt_f16_f32_e32 v1, v2
	global_store_b16 v[8:9], v1, off
.LBB222_1919:
	s_mov_b32 s3, 0
.LBB222_1920:
	s_delay_alu instid0(SALU_CYCLE_1)
	s_and_not1_b32 vcc_lo, exec_lo, s3
	s_cbranch_vccnz .LBB222_1936
; %bb.1921:
	s_cmp_lt_i32 s0, 2
	s_mov_b32 s3, -1
	s_cbranch_scc1 .LBB222_1931
; %bb.1922:
	s_cmp_lt_i32 s0, 3
	s_cbranch_scc1 .LBB222_1928
; %bb.1923:
	s_cmp_gt_i32 s0, 3
	s_cbranch_scc0 .LBB222_1925
; %bb.1924:
	s_wait_xcnt 0x0
	v_trunc_f32_e32 v1, v2
	s_mov_b32 s3, 0
	s_delay_alu instid0(VALU_DEP_1) | instskip(SKIP_1) | instid1(VALU_DEP_2)
	v_mul_f32_e64 v3, 0x2f800000, |v1|
	v_ashrrev_i32_e32 v10, 31, v1
	v_floor_f32_e32 v3, v3
	s_delay_alu instid0(VALU_DEP_1) | instskip(SKIP_1) | instid1(VALU_DEP_4)
	v_fma_f32 v5, 0xcf800000, v3, |v1|
	v_cvt_u32_f32_e32 v1, v3
	v_mov_b32_e32 v11, v10
	s_delay_alu instid0(VALU_DEP_3) | instskip(NEXT) | instid1(VALU_DEP_3)
	v_cvt_u32_f32_e32 v3, v5
	v_xor_b32_e32 v13, v1, v10
	s_delay_alu instid0(VALU_DEP_2) | instskip(NEXT) | instid1(VALU_DEP_1)
	v_xor_b32_e32 v12, v3, v10
	v_sub_nc_u64_e32 v[10:11], v[12:13], v[10:11]
	global_store_b64 v[8:9], v[10:11], off
.LBB222_1925:
	s_and_not1_b32 vcc_lo, exec_lo, s3
	s_cbranch_vccnz .LBB222_1927
; %bb.1926:
	s_wait_xcnt 0x0
	v_cvt_i32_f32_e32 v1, v2
	global_store_b32 v[8:9], v1, off
.LBB222_1927:
	s_mov_b32 s3, 0
.LBB222_1928:
	s_delay_alu instid0(SALU_CYCLE_1)
	s_and_not1_b32 vcc_lo, exec_lo, s3
	s_cbranch_vccnz .LBB222_1930
; %bb.1929:
	s_wait_xcnt 0x0
	v_cvt_i32_f32_e32 v1, v2
	global_store_b16 v[8:9], v1, off
.LBB222_1930:
	s_mov_b32 s3, 0
.LBB222_1931:
	s_delay_alu instid0(SALU_CYCLE_1)
	s_and_not1_b32 vcc_lo, exec_lo, s3
	s_cbranch_vccnz .LBB222_1936
; %bb.1932:
	s_cmp_gt_i32 s0, 0
	s_mov_b32 s0, -1
	s_cbranch_scc0 .LBB222_1934
; %bb.1933:
	s_wait_xcnt 0x0
	v_cvt_i32_f32_e32 v1, v2
	s_mov_b32 s0, 0
	global_store_b8 v[8:9], v1, off
.LBB222_1934:
	s_and_not1_b32 vcc_lo, exec_lo, s0
	s_cbranch_vccnz .LBB222_1936
; %bb.1935:
	s_wait_xcnt 0x0
	v_trunc_f32_e32 v1, v2
	s_delay_alu instid0(VALU_DEP_1) | instskip(NEXT) | instid1(VALU_DEP_1)
	v_mul_f32_e64 v2, 0x2f800000, |v1|
	v_floor_f32_e32 v2, v2
	s_delay_alu instid0(VALU_DEP_1) | instskip(SKIP_1) | instid1(VALU_DEP_2)
	v_fma_f32 v2, 0xcf800000, v2, |v1|
	v_ashrrev_i32_e32 v1, 31, v1
	v_cvt_u32_f32_e32 v2, v2
	s_delay_alu instid0(VALU_DEP_1) | instskip(NEXT) | instid1(VALU_DEP_1)
	v_xor_b32_e32 v2, v2, v1
	v_sub_nc_u32_e32 v1, v2, v1
	global_store_b8 v[8:9], v1, off
.LBB222_1936:
	s_mov_b32 s7, -1
.LBB222_1937:
	s_delay_alu instid0(SALU_CYCLE_1)
	s_and_not1_b32 vcc_lo, exec_lo, s7
	s_cbranch_vccnz .LBB222_2133
; %bb.1938:
	v_add_nc_u32_e32 v0, s2, v0
	s_cmp_lt_i32 s15, 11
	s_wait_xcnt 0x0
	s_delay_alu instid0(VALU_DEP_1) | instskip(NEXT) | instid1(VALU_DEP_1)
	v_ashrrev_i32_e32 v1, 31, v0
	v_add_nc_u64_e32 v[2:3], s[4:5], v[0:1]
	s_cbranch_scc1 .LBB222_2016
; %bb.1939:
	s_and_b32 s3, 0xffff, s15
	s_mov_b32 s8, -1
	s_mov_b32 s6, 0
	s_cmp_gt_i32 s3, 25
	s_mov_b32 s7, 0
	s_mov_b32 s0, 0
	s_cbranch_scc0 .LBB222_1972
; %bb.1940:
	s_cmp_gt_i32 s3, 28
	s_cbranch_scc0 .LBB222_1955
; %bb.1941:
	s_cmp_gt_i32 s3, 43
	;; [unrolled: 3-line block ×3, first 2 shown]
	s_cbranch_scc0 .LBB222_1945
; %bb.1943:
	s_mov_b32 s0, -1
	s_mov_b32 s8, 0
	s_cmp_eq_u32 s3, 46
	s_cbranch_scc0 .LBB222_1945
; %bb.1944:
	v_bfe_u32 v1, v6, 16, 1
	v_cmp_o_f32_e32 vcc_lo, v6, v6
	s_mov_b32 s0, 0
	s_mov_b32 s7, -1
	s_delay_alu instid0(VALU_DEP_2) | instskip(NEXT) | instid1(VALU_DEP_1)
	v_add3_u32 v1, v6, v1, 0x7fff
	v_lshrrev_b32_e32 v1, 16, v1
	s_delay_alu instid0(VALU_DEP_1)
	v_cndmask_b32_e32 v1, 0x7fc0, v1, vcc_lo
	global_store_b32 v[2:3], v1, off
.LBB222_1945:
	s_and_b32 vcc_lo, exec_lo, s8
	s_cbranch_vccz .LBB222_1950
; %bb.1946:
	s_cmp_eq_u32 s3, 44
	s_mov_b32 s0, -1
	s_cbranch_scc0 .LBB222_1950
; %bb.1947:
	v_bfe_u32 v5, v6, 23, 8
	s_wait_xcnt 0x0
	v_mov_b32_e32 v1, 0xff
	s_mov_b32 s7, exec_lo
	s_delay_alu instid0(VALU_DEP_2)
	v_cmpx_ne_u32_e32 0xff, v5
	s_cbranch_execz .LBB222_1949
; %bb.1948:
	v_and_b32_e32 v1, 0x400000, v6
	v_and_or_b32 v5, 0x3fffff, v6, v5
	s_delay_alu instid0(VALU_DEP_2) | instskip(NEXT) | instid1(VALU_DEP_2)
	v_cmp_ne_u32_e32 vcc_lo, 0, v1
	v_cmp_ne_u32_e64 s0, 0, v5
	v_lshrrev_b32_e32 v1, 23, v6
	s_and_b32 s0, vcc_lo, s0
	s_delay_alu instid0(SALU_CYCLE_1) | instskip(NEXT) | instid1(VALU_DEP_1)
	v_cndmask_b32_e64 v5, 0, 1, s0
	v_add_nc_u32_e32 v1, v1, v5
.LBB222_1949:
	s_or_b32 exec_lo, exec_lo, s7
	s_mov_b32 s0, 0
	s_mov_b32 s7, -1
	global_store_b8 v[2:3], v1, off
.LBB222_1950:
	s_mov_b32 s8, 0
.LBB222_1951:
	s_delay_alu instid0(SALU_CYCLE_1)
	s_and_b32 vcc_lo, exec_lo, s8
	s_cbranch_vccz .LBB222_1954
; %bb.1952:
	s_cmp_eq_u32 s3, 29
	s_mov_b32 s0, -1
	s_cbranch_scc0 .LBB222_1954
; %bb.1953:
	s_wait_xcnt 0x0
	v_trunc_f32_e32 v1, v6
	s_mov_b32 s0, 0
	s_mov_b32 s7, -1
	s_delay_alu instid0(VALU_DEP_1) | instskip(NEXT) | instid1(VALU_DEP_1)
	v_mul_f32_e32 v5, 0x2f800000, v1
	v_floor_f32_e32 v5, v5
	s_delay_alu instid0(VALU_DEP_1) | instskip(SKIP_1) | instid1(VALU_DEP_2)
	v_fmamk_f32 v1, v5, 0xcf800000, v1
	v_cvt_u32_f32_e32 v9, v5
	v_cvt_u32_f32_e32 v8, v1
	global_store_b64 v[2:3], v[8:9], off
.LBB222_1954:
	s_mov_b32 s8, 0
.LBB222_1955:
	s_delay_alu instid0(SALU_CYCLE_1)
	s_and_b32 vcc_lo, exec_lo, s8
	s_cbranch_vccz .LBB222_1971
; %bb.1956:
	s_cmp_lt_i32 s3, 27
	s_mov_b32 s7, -1
	s_cbranch_scc1 .LBB222_1962
; %bb.1957:
	s_wait_xcnt 0x0
	v_cvt_u32_f32_e32 v1, v6
	s_cmp_gt_i32 s3, 27
	s_cbranch_scc0 .LBB222_1959
; %bb.1958:
	s_mov_b32 s7, 0
	global_store_b32 v[2:3], v1, off
.LBB222_1959:
	s_and_not1_b32 vcc_lo, exec_lo, s7
	s_cbranch_vccnz .LBB222_1961
; %bb.1960:
	global_store_b16 v[2:3], v1, off
.LBB222_1961:
	s_mov_b32 s7, 0
.LBB222_1962:
	s_delay_alu instid0(SALU_CYCLE_1)
	s_and_not1_b32 vcc_lo, exec_lo, s7
	s_cbranch_vccnz .LBB222_1970
; %bb.1963:
	s_wait_xcnt 0x0
	v_and_b32_e32 v1, 0x7fffffff, v6
	v_mov_b32_e32 v5, 0x80
	s_mov_b32 s7, exec_lo
	s_delay_alu instid0(VALU_DEP_2)
	v_cmpx_gt_u32_e32 0x43800000, v1
	s_cbranch_execz .LBB222_1969
; %bb.1964:
	v_cmp_lt_u32_e32 vcc_lo, 0x3bffffff, v1
	s_mov_b32 s8, 0
                                        ; implicit-def: $vgpr1
	s_and_saveexec_b32 s9, vcc_lo
	s_delay_alu instid0(SALU_CYCLE_1)
	s_xor_b32 s9, exec_lo, s9
	s_cbranch_execz .LBB222_2146
; %bb.1965:
	v_bfe_u32 v1, v6, 20, 1
	s_mov_b32 s8, exec_lo
	s_delay_alu instid0(VALU_DEP_1) | instskip(NEXT) | instid1(VALU_DEP_1)
	v_add3_u32 v1, v6, v1, 0x487ffff
	v_lshrrev_b32_e32 v1, 20, v1
	s_and_not1_saveexec_b32 s9, s9
	s_cbranch_execnz .LBB222_2147
.LBB222_1966:
	s_or_b32 exec_lo, exec_lo, s9
	v_mov_b32_e32 v5, 0
	s_and_saveexec_b32 s9, s8
.LBB222_1967:
	v_lshrrev_b32_e32 v5, 24, v6
	s_delay_alu instid0(VALU_DEP_1)
	v_and_or_b32 v5, 0x80, v5, v1
.LBB222_1968:
	s_or_b32 exec_lo, exec_lo, s9
.LBB222_1969:
	s_delay_alu instid0(SALU_CYCLE_1)
	s_or_b32 exec_lo, exec_lo, s7
	global_store_b8 v[2:3], v5, off
.LBB222_1970:
	s_mov_b32 s7, -1
.LBB222_1971:
	s_mov_b32 s8, 0
.LBB222_1972:
	s_delay_alu instid0(SALU_CYCLE_1)
	s_and_b32 vcc_lo, exec_lo, s8
	s_cbranch_vccz .LBB222_2012
; %bb.1973:
	s_cmp_gt_i32 s3, 22
	s_mov_b32 s6, -1
	s_cbranch_scc0 .LBB222_2005
; %bb.1974:
	s_cmp_lt_i32 s3, 24
	s_cbranch_scc1 .LBB222_1994
; %bb.1975:
	s_cmp_gt_i32 s3, 24
	s_cbranch_scc0 .LBB222_1983
; %bb.1976:
	s_wait_xcnt 0x0
	v_and_b32_e32 v1, 0x7fffffff, v6
	v_mov_b32_e32 v5, 0x80
	s_mov_b32 s6, exec_lo
	s_delay_alu instid0(VALU_DEP_2)
	v_cmpx_gt_u32_e32 0x47800000, v1
	s_cbranch_execz .LBB222_1982
; %bb.1977:
	v_cmp_lt_u32_e32 vcc_lo, 0x37ffffff, v1
	s_mov_b32 s7, 0
                                        ; implicit-def: $vgpr1
	s_and_saveexec_b32 s8, vcc_lo
	s_delay_alu instid0(SALU_CYCLE_1)
	s_xor_b32 s8, exec_lo, s8
	s_cbranch_execz .LBB222_2149
; %bb.1978:
	v_bfe_u32 v1, v6, 21, 1
	s_mov_b32 s7, exec_lo
	s_delay_alu instid0(VALU_DEP_1) | instskip(NEXT) | instid1(VALU_DEP_1)
	v_add3_u32 v1, v6, v1, 0x88fffff
	v_lshrrev_b32_e32 v1, 21, v1
	s_and_not1_saveexec_b32 s8, s8
	s_cbranch_execnz .LBB222_2150
.LBB222_1979:
	s_or_b32 exec_lo, exec_lo, s8
	v_mov_b32_e32 v5, 0
	s_and_saveexec_b32 s8, s7
.LBB222_1980:
	v_lshrrev_b32_e32 v5, 24, v6
	s_delay_alu instid0(VALU_DEP_1)
	v_and_or_b32 v5, 0x80, v5, v1
.LBB222_1981:
	s_or_b32 exec_lo, exec_lo, s8
.LBB222_1982:
	s_delay_alu instid0(SALU_CYCLE_1)
	s_or_b32 exec_lo, exec_lo, s6
	s_mov_b32 s6, 0
	global_store_b8 v[2:3], v5, off
.LBB222_1983:
	s_and_b32 vcc_lo, exec_lo, s6
	s_cbranch_vccz .LBB222_1993
; %bb.1984:
	s_wait_xcnt 0x0
	v_and_b32_e32 v5, 0x7fffffff, v6
	s_mov_b32 s6, exec_lo
                                        ; implicit-def: $vgpr1
	s_delay_alu instid0(VALU_DEP_1)
	v_cmpx_gt_u32_e32 0x43f00000, v5
	s_xor_b32 s6, exec_lo, s6
	s_cbranch_execz .LBB222_1990
; %bb.1985:
	s_mov_b32 s7, exec_lo
                                        ; implicit-def: $vgpr1
	v_cmpx_lt_u32_e32 0x3c7fffff, v5
	s_xor_b32 s7, exec_lo, s7
; %bb.1986:
	v_bfe_u32 v1, v6, 20, 1
	s_delay_alu instid0(VALU_DEP_1) | instskip(NEXT) | instid1(VALU_DEP_1)
	v_add3_u32 v1, v6, v1, 0x407ffff
	v_and_b32_e32 v5, 0xff00000, v1
	v_lshrrev_b32_e32 v1, 20, v1
	s_delay_alu instid0(VALU_DEP_2) | instskip(NEXT) | instid1(VALU_DEP_2)
	v_cmp_ne_u32_e32 vcc_lo, 0x7f00000, v5
	v_cndmask_b32_e32 v1, 0x7e, v1, vcc_lo
; %bb.1987:
	s_and_not1_saveexec_b32 s7, s7
; %bb.1988:
	v_add_f32_e64 v1, 0x46800000, |v6|
; %bb.1989:
	s_or_b32 exec_lo, exec_lo, s7
                                        ; implicit-def: $vgpr5
.LBB222_1990:
	s_and_not1_saveexec_b32 s6, s6
; %bb.1991:
	v_mov_b32_e32 v1, 0x7f
	v_cmp_lt_u32_e32 vcc_lo, 0x7f800000, v5
	s_delay_alu instid0(VALU_DEP_2)
	v_cndmask_b32_e32 v1, 0x7e, v1, vcc_lo
; %bb.1992:
	s_or_b32 exec_lo, exec_lo, s6
	v_lshrrev_b32_e32 v5, 24, v6
	s_delay_alu instid0(VALU_DEP_1)
	v_and_or_b32 v1, 0x80, v5, v1
	global_store_b8 v[2:3], v1, off
.LBB222_1993:
	s_mov_b32 s6, 0
.LBB222_1994:
	s_delay_alu instid0(SALU_CYCLE_1)
	s_and_not1_b32 vcc_lo, exec_lo, s6
	s_cbranch_vccnz .LBB222_2004
; %bb.1995:
	s_wait_xcnt 0x0
	v_and_b32_e32 v5, 0x7fffffff, v6
	s_mov_b32 s6, exec_lo
                                        ; implicit-def: $vgpr1
	s_delay_alu instid0(VALU_DEP_1)
	v_cmpx_gt_u32_e32 0x47800000, v5
	s_xor_b32 s6, exec_lo, s6
	s_cbranch_execz .LBB222_2001
; %bb.1996:
	s_mov_b32 s7, exec_lo
                                        ; implicit-def: $vgpr1
	v_cmpx_lt_u32_e32 0x387fffff, v5
	s_xor_b32 s7, exec_lo, s7
; %bb.1997:
	v_bfe_u32 v1, v6, 21, 1
	s_delay_alu instid0(VALU_DEP_1) | instskip(NEXT) | instid1(VALU_DEP_1)
	v_add3_u32 v1, v6, v1, 0x80fffff
	v_lshrrev_b32_e32 v1, 21, v1
; %bb.1998:
	s_and_not1_saveexec_b32 s7, s7
; %bb.1999:
	v_add_f32_e64 v1, 0x43000000, |v6|
; %bb.2000:
	s_or_b32 exec_lo, exec_lo, s7
                                        ; implicit-def: $vgpr5
.LBB222_2001:
	s_and_not1_saveexec_b32 s6, s6
; %bb.2002:
	v_mov_b32_e32 v1, 0x7f
	v_cmp_lt_u32_e32 vcc_lo, 0x7f800000, v5
	s_delay_alu instid0(VALU_DEP_2)
	v_cndmask_b32_e32 v1, 0x7c, v1, vcc_lo
; %bb.2003:
	s_or_b32 exec_lo, exec_lo, s6
	v_lshrrev_b32_e32 v5, 24, v6
	s_delay_alu instid0(VALU_DEP_1)
	v_and_or_b32 v1, 0x80, v5, v1
	global_store_b8 v[2:3], v1, off
.LBB222_2004:
	s_mov_b32 s6, 0
	s_mov_b32 s7, -1
.LBB222_2005:
	s_and_not1_b32 vcc_lo, exec_lo, s6
	s_mov_b32 s6, 0
	s_cbranch_vccnz .LBB222_2012
; %bb.2006:
	s_cmp_gt_i32 s3, 14
	s_mov_b32 s6, -1
	s_cbranch_scc0 .LBB222_2010
; %bb.2007:
	s_cmp_eq_u32 s3, 15
	s_mov_b32 s0, -1
	s_cbranch_scc0 .LBB222_2009
; %bb.2008:
	s_wait_xcnt 0x0
	v_bfe_u32 v1, v6, 16, 1
	v_cmp_o_f32_e32 vcc_lo, v6, v6
	s_mov_b32 s0, 0
	s_mov_b32 s7, -1
	s_delay_alu instid0(VALU_DEP_2) | instskip(NEXT) | instid1(VALU_DEP_1)
	v_add3_u32 v1, v6, v1, 0x7fff
	v_lshrrev_b32_e32 v1, 16, v1
	s_delay_alu instid0(VALU_DEP_1)
	v_cndmask_b32_e32 v1, 0x7fc0, v1, vcc_lo
	global_store_b16 v[2:3], v1, off
.LBB222_2009:
	s_mov_b32 s6, 0
.LBB222_2010:
	s_delay_alu instid0(SALU_CYCLE_1)
	s_and_b32 vcc_lo, exec_lo, s6
	s_mov_b32 s6, 0
	s_cbranch_vccz .LBB222_2012
; %bb.2011:
	s_cmp_lg_u32 s3, 11
	s_mov_b32 s6, -1
	s_cselect_b32 s0, -1, 0
.LBB222_2012:
	s_delay_alu instid0(SALU_CYCLE_1)
	s_and_b32 vcc_lo, exec_lo, s0
	s_cbranch_vccnz .LBB222_2148
; %bb.2013:
	s_and_not1_b32 vcc_lo, exec_lo, s6
	s_cbranch_vccnz .LBB222_2015
.LBB222_2014:
	v_cmp_neq_f32_e32 vcc_lo, 0, v6
	s_mov_b32 s7, -1
	s_wait_xcnt 0x0
	v_cndmask_b32_e64 v1, 0, 1, vcc_lo
	global_store_b8 v[2:3], v1, off
.LBB222_2015:
	s_mov_b32 s0, 0
	s_branch .LBB222_2017
.LBB222_2016:
	s_mov_b32 s0, -1
	s_mov_b32 s7, 0
.LBB222_2017:
	s_and_b32 vcc_lo, exec_lo, s0
	s_cbranch_vccz .LBB222_2056
; %bb.2018:
	s_and_b32 s0, 0xffff, s15
	s_mov_b32 s3, -1
	s_cmp_lt_i32 s0, 5
	s_cbranch_scc1 .LBB222_2039
; %bb.2019:
	s_cmp_lt_i32 s0, 8
	s_cbranch_scc1 .LBB222_2029
; %bb.2020:
	;; [unrolled: 3-line block ×3, first 2 shown]
	s_cmp_gt_i32 s0, 9
	s_cbranch_scc0 .LBB222_2023
; %bb.2022:
	s_wait_xcnt 0x0
	v_cvt_f64_f32_e32 v[8:9], v6
	v_mov_b32_e32 v10, 0
	s_mov_b32 s3, 0
	s_delay_alu instid0(VALU_DEP_1)
	v_mov_b32_e32 v11, v10
	global_store_b128 v[2:3], v[8:11], off
.LBB222_2023:
	s_and_not1_b32 vcc_lo, exec_lo, s3
	s_cbranch_vccnz .LBB222_2025
; %bb.2024:
	v_mov_b32_e32 v7, 0
	global_store_b64 v[2:3], v[6:7], off
.LBB222_2025:
	s_mov_b32 s3, 0
.LBB222_2026:
	s_delay_alu instid0(SALU_CYCLE_1)
	s_and_not1_b32 vcc_lo, exec_lo, s3
	s_cbranch_vccnz .LBB222_2028
; %bb.2027:
	s_wait_xcnt 0x0
	v_cvt_f16_f32_e32 v1, v6
	s_delay_alu instid0(VALU_DEP_1)
	v_and_b32_e32 v1, 0xffff, v1
	global_store_b32 v[2:3], v1, off
.LBB222_2028:
	s_mov_b32 s3, 0
.LBB222_2029:
	s_delay_alu instid0(SALU_CYCLE_1)
	s_and_not1_b32 vcc_lo, exec_lo, s3
	s_cbranch_vccnz .LBB222_2038
; %bb.2030:
	s_cmp_lt_i32 s0, 6
	s_mov_b32 s3, -1
	s_cbranch_scc1 .LBB222_2036
; %bb.2031:
	s_cmp_gt_i32 s0, 6
	s_cbranch_scc0 .LBB222_2033
; %bb.2032:
	s_wait_xcnt 0x0
	v_cvt_f64_f32_e32 v[8:9], v6
	s_mov_b32 s3, 0
	global_store_b64 v[2:3], v[8:9], off
.LBB222_2033:
	s_and_not1_b32 vcc_lo, exec_lo, s3
	s_cbranch_vccnz .LBB222_2035
; %bb.2034:
	global_store_b32 v[2:3], v6, off
.LBB222_2035:
	s_mov_b32 s3, 0
.LBB222_2036:
	s_delay_alu instid0(SALU_CYCLE_1)
	s_and_not1_b32 vcc_lo, exec_lo, s3
	s_cbranch_vccnz .LBB222_2038
; %bb.2037:
	s_wait_xcnt 0x0
	v_cvt_f16_f32_e32 v1, v6
	global_store_b16 v[2:3], v1, off
.LBB222_2038:
	s_mov_b32 s3, 0
.LBB222_2039:
	s_delay_alu instid0(SALU_CYCLE_1)
	s_and_not1_b32 vcc_lo, exec_lo, s3
	s_cbranch_vccnz .LBB222_2055
; %bb.2040:
	s_cmp_lt_i32 s0, 2
	s_mov_b32 s3, -1
	s_cbranch_scc1 .LBB222_2050
; %bb.2041:
	s_cmp_lt_i32 s0, 3
	s_cbranch_scc1 .LBB222_2047
; %bb.2042:
	s_cmp_gt_i32 s0, 3
	s_cbranch_scc0 .LBB222_2044
; %bb.2043:
	s_wait_xcnt 0x0
	v_trunc_f32_e32 v1, v6
	s_mov_b32 s3, 0
	s_delay_alu instid0(VALU_DEP_1) | instskip(SKIP_1) | instid1(VALU_DEP_2)
	v_mul_f32_e64 v5, 0x2f800000, |v1|
	v_ashrrev_i32_e32 v8, 31, v1
	v_floor_f32_e32 v5, v5
	s_delay_alu instid0(VALU_DEP_1) | instskip(SKIP_1) | instid1(VALU_DEP_4)
	v_fma_f32 v7, 0xcf800000, v5, |v1|
	v_cvt_u32_f32_e32 v1, v5
	v_mov_b32_e32 v9, v8
	s_delay_alu instid0(VALU_DEP_3) | instskip(NEXT) | instid1(VALU_DEP_3)
	v_cvt_u32_f32_e32 v5, v7
	v_xor_b32_e32 v11, v1, v8
	s_delay_alu instid0(VALU_DEP_2) | instskip(NEXT) | instid1(VALU_DEP_1)
	v_xor_b32_e32 v10, v5, v8
	v_sub_nc_u64_e32 v[8:9], v[10:11], v[8:9]
	global_store_b64 v[2:3], v[8:9], off
.LBB222_2044:
	s_and_not1_b32 vcc_lo, exec_lo, s3
	s_cbranch_vccnz .LBB222_2046
; %bb.2045:
	s_wait_xcnt 0x0
	v_cvt_i32_f32_e32 v1, v6
	global_store_b32 v[2:3], v1, off
.LBB222_2046:
	s_mov_b32 s3, 0
.LBB222_2047:
	s_delay_alu instid0(SALU_CYCLE_1)
	s_and_not1_b32 vcc_lo, exec_lo, s3
	s_cbranch_vccnz .LBB222_2049
; %bb.2048:
	s_wait_xcnt 0x0
	v_cvt_i32_f32_e32 v1, v6
	global_store_b16 v[2:3], v1, off
.LBB222_2049:
	s_mov_b32 s3, 0
.LBB222_2050:
	s_delay_alu instid0(SALU_CYCLE_1)
	s_and_not1_b32 vcc_lo, exec_lo, s3
	s_cbranch_vccnz .LBB222_2055
; %bb.2051:
	s_cmp_gt_i32 s0, 0
	s_mov_b32 s0, -1
	s_cbranch_scc0 .LBB222_2053
; %bb.2052:
	s_wait_xcnt 0x0
	v_cvt_i32_f32_e32 v1, v6
	s_mov_b32 s0, 0
	global_store_b8 v[2:3], v1, off
.LBB222_2053:
	s_and_not1_b32 vcc_lo, exec_lo, s0
	s_cbranch_vccnz .LBB222_2055
; %bb.2054:
	s_wait_xcnt 0x0
	v_trunc_f32_e32 v1, v6
	s_delay_alu instid0(VALU_DEP_1) | instskip(NEXT) | instid1(VALU_DEP_1)
	v_mul_f32_e64 v5, 0x2f800000, |v1|
	v_floor_f32_e32 v5, v5
	s_delay_alu instid0(VALU_DEP_1) | instskip(SKIP_1) | instid1(VALU_DEP_2)
	v_fma_f32 v5, 0xcf800000, v5, |v1|
	v_ashrrev_i32_e32 v1, 31, v1
	v_cvt_u32_f32_e32 v5, v5
	s_delay_alu instid0(VALU_DEP_1) | instskip(NEXT) | instid1(VALU_DEP_1)
	v_xor_b32_e32 v5, v5, v1
	v_sub_nc_u32_e32 v1, v5, v1
	global_store_b8 v[2:3], v1, off
.LBB222_2055:
	s_mov_b32 s7, -1
.LBB222_2056:
	s_delay_alu instid0(SALU_CYCLE_1)
	s_and_not1_b32 vcc_lo, exec_lo, s7
	s_cbranch_vccnz .LBB222_2133
; %bb.2057:
	v_add_nc_u32_e32 v0, s2, v0
	s_cmp_lt_i32 s15, 11
	s_wait_xcnt 0x0
	s_delay_alu instid0(VALU_DEP_1) | instskip(NEXT) | instid1(VALU_DEP_1)
	v_ashrrev_i32_e32 v1, 31, v0
	v_add_nc_u64_e32 v[0:1], s[4:5], v[0:1]
	s_cbranch_scc1 .LBB222_2134
; %bb.2058:
	s_and_b32 s2, 0xffff, s15
	s_mov_b32 s4, -1
	s_mov_b32 s3, 0
	s_cmp_gt_i32 s2, 25
	s_mov_b32 s0, 0
	s_cbranch_scc0 .LBB222_2091
; %bb.2059:
	s_cmp_gt_i32 s2, 28
	s_cbranch_scc0 .LBB222_2075
; %bb.2060:
	s_cmp_gt_i32 s2, 43
	s_cbranch_scc0 .LBB222_2071
; %bb.2061:
	s_cmp_gt_i32 s2, 45
	s_cbranch_scc0 .LBB222_2065
; %bb.2062:
	s_cmp_eq_u32 s2, 46
	s_mov_b32 s0, -1
	s_cbranch_scc0 .LBB222_2064
; %bb.2063:
	v_bfe_u32 v2, v4, 16, 1
	v_cmp_o_f32_e32 vcc_lo, v4, v4
	s_mov_b32 s0, 0
	s_delay_alu instid0(VALU_DEP_2) | instskip(NEXT) | instid1(VALU_DEP_1)
	v_add3_u32 v2, v4, v2, 0x7fff
	v_lshrrev_b32_e32 v2, 16, v2
	s_delay_alu instid0(VALU_DEP_1)
	v_cndmask_b32_e32 v2, 0x7fc0, v2, vcc_lo
	global_store_b32 v[0:1], v2, off
.LBB222_2064:
	s_mov_b32 s4, 0
.LBB222_2065:
	s_delay_alu instid0(SALU_CYCLE_1)
	s_and_b32 vcc_lo, exec_lo, s4
	s_cbranch_vccz .LBB222_2070
; %bb.2066:
	s_cmp_eq_u32 s2, 44
	s_mov_b32 s0, -1
	s_cbranch_scc0 .LBB222_2070
; %bb.2067:
	v_bfe_u32 v3, v4, 23, 8
	s_wait_xcnt 0x0
	v_mov_b32_e32 v2, 0xff
	s_mov_b32 s4, exec_lo
	s_delay_alu instid0(VALU_DEP_2)
	v_cmpx_ne_u32_e32 0xff, v3
	s_cbranch_execz .LBB222_2069
; %bb.2068:
	v_and_b32_e32 v2, 0x400000, v4
	v_and_or_b32 v3, 0x3fffff, v4, v3
	s_delay_alu instid0(VALU_DEP_2) | instskip(NEXT) | instid1(VALU_DEP_2)
	v_cmp_ne_u32_e32 vcc_lo, 0, v2
	v_cmp_ne_u32_e64 s0, 0, v3
	v_lshrrev_b32_e32 v2, 23, v4
	s_and_b32 s0, vcc_lo, s0
	s_delay_alu instid0(SALU_CYCLE_1) | instskip(NEXT) | instid1(VALU_DEP_1)
	v_cndmask_b32_e64 v3, 0, 1, s0
	v_add_nc_u32_e32 v2, v2, v3
.LBB222_2069:
	s_or_b32 exec_lo, exec_lo, s4
	s_mov_b32 s0, 0
	global_store_b8 v[0:1], v2, off
.LBB222_2070:
	s_mov_b32 s4, 0
.LBB222_2071:
	s_delay_alu instid0(SALU_CYCLE_1)
	s_and_b32 vcc_lo, exec_lo, s4
	s_cbranch_vccz .LBB222_2074
; %bb.2072:
	s_cmp_eq_u32 s2, 29
	s_mov_b32 s0, -1
	s_cbranch_scc0 .LBB222_2074
; %bb.2073:
	s_wait_xcnt 0x0
	v_trunc_f32_e32 v2, v4
	s_mov_b32 s0, 0
	s_delay_alu instid0(VALU_DEP_1) | instskip(NEXT) | instid1(VALU_DEP_1)
	v_mul_f32_e32 v3, 0x2f800000, v2
	v_floor_f32_e32 v3, v3
	s_delay_alu instid0(VALU_DEP_1) | instskip(SKIP_1) | instid1(VALU_DEP_2)
	v_fmamk_f32 v2, v3, 0xcf800000, v2
	v_cvt_u32_f32_e32 v3, v3
	v_cvt_u32_f32_e32 v2, v2
	global_store_b64 v[0:1], v[2:3], off
.LBB222_2074:
	s_mov_b32 s4, 0
.LBB222_2075:
	s_delay_alu instid0(SALU_CYCLE_1)
	s_and_b32 vcc_lo, exec_lo, s4
	s_cbranch_vccz .LBB222_2090
; %bb.2076:
	s_cmp_lt_i32 s2, 27
	s_mov_b32 s4, -1
	s_cbranch_scc1 .LBB222_2082
; %bb.2077:
	s_wait_xcnt 0x0
	v_cvt_u32_f32_e32 v2, v4
	s_cmp_gt_i32 s2, 27
	s_cbranch_scc0 .LBB222_2079
; %bb.2078:
	s_mov_b32 s4, 0
	global_store_b32 v[0:1], v2, off
.LBB222_2079:
	s_and_not1_b32 vcc_lo, exec_lo, s4
	s_cbranch_vccnz .LBB222_2081
; %bb.2080:
	global_store_b16 v[0:1], v2, off
.LBB222_2081:
	s_mov_b32 s4, 0
.LBB222_2082:
	s_delay_alu instid0(SALU_CYCLE_1)
	s_and_not1_b32 vcc_lo, exec_lo, s4
	s_cbranch_vccnz .LBB222_2090
; %bb.2083:
	s_wait_xcnt 0x0
	v_and_b32_e32 v2, 0x7fffffff, v4
	v_mov_b32_e32 v3, 0x80
	s_mov_b32 s4, exec_lo
	s_delay_alu instid0(VALU_DEP_2)
	v_cmpx_gt_u32_e32 0x43800000, v2
	s_cbranch_execz .LBB222_2089
; %bb.2084:
	v_cmp_lt_u32_e32 vcc_lo, 0x3bffffff, v2
	s_mov_b32 s5, 0
                                        ; implicit-def: $vgpr2
	s_and_saveexec_b32 s6, vcc_lo
	s_delay_alu instid0(SALU_CYCLE_1)
	s_xor_b32 s6, exec_lo, s6
	s_cbranch_execz .LBB222_2151
; %bb.2085:
	v_bfe_u32 v2, v4, 20, 1
	s_mov_b32 s5, exec_lo
	s_delay_alu instid0(VALU_DEP_1) | instskip(NEXT) | instid1(VALU_DEP_1)
	v_add3_u32 v2, v4, v2, 0x487ffff
	v_lshrrev_b32_e32 v2, 20, v2
	s_and_not1_saveexec_b32 s6, s6
	s_cbranch_execnz .LBB222_2152
.LBB222_2086:
	s_or_b32 exec_lo, exec_lo, s6
	v_mov_b32_e32 v3, 0
	s_and_saveexec_b32 s6, s5
.LBB222_2087:
	v_lshrrev_b32_e32 v3, 24, v4
	s_delay_alu instid0(VALU_DEP_1)
	v_and_or_b32 v3, 0x80, v3, v2
.LBB222_2088:
	s_or_b32 exec_lo, exec_lo, s6
.LBB222_2089:
	s_delay_alu instid0(SALU_CYCLE_1)
	s_or_b32 exec_lo, exec_lo, s4
	global_store_b8 v[0:1], v3, off
.LBB222_2090:
	s_mov_b32 s4, 0
.LBB222_2091:
	s_delay_alu instid0(SALU_CYCLE_1)
	s_and_b32 vcc_lo, exec_lo, s4
	s_cbranch_vccz .LBB222_2131
; %bb.2092:
	s_cmp_gt_i32 s2, 22
	s_mov_b32 s3, -1
	s_cbranch_scc0 .LBB222_2124
; %bb.2093:
	s_cmp_lt_i32 s2, 24
	s_cbranch_scc1 .LBB222_2113
; %bb.2094:
	s_cmp_gt_i32 s2, 24
	s_cbranch_scc0 .LBB222_2102
; %bb.2095:
	s_wait_xcnt 0x0
	v_and_b32_e32 v2, 0x7fffffff, v4
	v_mov_b32_e32 v3, 0x80
	s_mov_b32 s3, exec_lo
	s_delay_alu instid0(VALU_DEP_2)
	v_cmpx_gt_u32_e32 0x47800000, v2
	s_cbranch_execz .LBB222_2101
; %bb.2096:
	v_cmp_lt_u32_e32 vcc_lo, 0x37ffffff, v2
	s_mov_b32 s4, 0
                                        ; implicit-def: $vgpr2
	s_and_saveexec_b32 s5, vcc_lo
	s_delay_alu instid0(SALU_CYCLE_1)
	s_xor_b32 s5, exec_lo, s5
	s_cbranch_execz .LBB222_2154
; %bb.2097:
	v_bfe_u32 v2, v4, 21, 1
	s_mov_b32 s4, exec_lo
	s_delay_alu instid0(VALU_DEP_1) | instskip(NEXT) | instid1(VALU_DEP_1)
	v_add3_u32 v2, v4, v2, 0x88fffff
	v_lshrrev_b32_e32 v2, 21, v2
	s_and_not1_saveexec_b32 s5, s5
	s_cbranch_execnz .LBB222_2155
.LBB222_2098:
	s_or_b32 exec_lo, exec_lo, s5
	v_mov_b32_e32 v3, 0
	s_and_saveexec_b32 s5, s4
.LBB222_2099:
	v_lshrrev_b32_e32 v3, 24, v4
	s_delay_alu instid0(VALU_DEP_1)
	v_and_or_b32 v3, 0x80, v3, v2
.LBB222_2100:
	s_or_b32 exec_lo, exec_lo, s5
.LBB222_2101:
	s_delay_alu instid0(SALU_CYCLE_1)
	s_or_b32 exec_lo, exec_lo, s3
	s_mov_b32 s3, 0
	global_store_b8 v[0:1], v3, off
.LBB222_2102:
	s_and_b32 vcc_lo, exec_lo, s3
	s_cbranch_vccz .LBB222_2112
; %bb.2103:
	s_wait_xcnt 0x0
	v_and_b32_e32 v3, 0x7fffffff, v4
	s_mov_b32 s3, exec_lo
                                        ; implicit-def: $vgpr2
	s_delay_alu instid0(VALU_DEP_1)
	v_cmpx_gt_u32_e32 0x43f00000, v3
	s_xor_b32 s3, exec_lo, s3
	s_cbranch_execz .LBB222_2109
; %bb.2104:
	s_mov_b32 s4, exec_lo
                                        ; implicit-def: $vgpr2
	v_cmpx_lt_u32_e32 0x3c7fffff, v3
	s_xor_b32 s4, exec_lo, s4
; %bb.2105:
	v_bfe_u32 v2, v4, 20, 1
	s_delay_alu instid0(VALU_DEP_1) | instskip(NEXT) | instid1(VALU_DEP_1)
	v_add3_u32 v2, v4, v2, 0x407ffff
	v_and_b32_e32 v3, 0xff00000, v2
	v_lshrrev_b32_e32 v2, 20, v2
	s_delay_alu instid0(VALU_DEP_2) | instskip(NEXT) | instid1(VALU_DEP_2)
	v_cmp_ne_u32_e32 vcc_lo, 0x7f00000, v3
	v_cndmask_b32_e32 v2, 0x7e, v2, vcc_lo
; %bb.2106:
	s_and_not1_saveexec_b32 s4, s4
; %bb.2107:
	v_add_f32_e64 v2, 0x46800000, |v4|
; %bb.2108:
	s_or_b32 exec_lo, exec_lo, s4
                                        ; implicit-def: $vgpr3
.LBB222_2109:
	s_and_not1_saveexec_b32 s3, s3
; %bb.2110:
	v_mov_b32_e32 v2, 0x7f
	v_cmp_lt_u32_e32 vcc_lo, 0x7f800000, v3
	s_delay_alu instid0(VALU_DEP_2)
	v_cndmask_b32_e32 v2, 0x7e, v2, vcc_lo
; %bb.2111:
	s_or_b32 exec_lo, exec_lo, s3
	v_lshrrev_b32_e32 v3, 24, v4
	s_delay_alu instid0(VALU_DEP_1)
	v_and_or_b32 v2, 0x80, v3, v2
	global_store_b8 v[0:1], v2, off
.LBB222_2112:
	s_mov_b32 s3, 0
.LBB222_2113:
	s_delay_alu instid0(SALU_CYCLE_1)
	s_and_not1_b32 vcc_lo, exec_lo, s3
	s_cbranch_vccnz .LBB222_2123
; %bb.2114:
	s_wait_xcnt 0x0
	v_and_b32_e32 v3, 0x7fffffff, v4
	s_mov_b32 s3, exec_lo
                                        ; implicit-def: $vgpr2
	s_delay_alu instid0(VALU_DEP_1)
	v_cmpx_gt_u32_e32 0x47800000, v3
	s_xor_b32 s3, exec_lo, s3
	s_cbranch_execz .LBB222_2120
; %bb.2115:
	s_mov_b32 s4, exec_lo
                                        ; implicit-def: $vgpr2
	v_cmpx_lt_u32_e32 0x387fffff, v3
	s_xor_b32 s4, exec_lo, s4
; %bb.2116:
	v_bfe_u32 v2, v4, 21, 1
	s_delay_alu instid0(VALU_DEP_1) | instskip(NEXT) | instid1(VALU_DEP_1)
	v_add3_u32 v2, v4, v2, 0x80fffff
	v_lshrrev_b32_e32 v2, 21, v2
; %bb.2117:
	s_and_not1_saveexec_b32 s4, s4
; %bb.2118:
	v_add_f32_e64 v2, 0x43000000, |v4|
; %bb.2119:
	s_or_b32 exec_lo, exec_lo, s4
                                        ; implicit-def: $vgpr3
.LBB222_2120:
	s_and_not1_saveexec_b32 s3, s3
; %bb.2121:
	v_mov_b32_e32 v2, 0x7f
	v_cmp_lt_u32_e32 vcc_lo, 0x7f800000, v3
	s_delay_alu instid0(VALU_DEP_2)
	v_cndmask_b32_e32 v2, 0x7c, v2, vcc_lo
; %bb.2122:
	s_or_b32 exec_lo, exec_lo, s3
	v_lshrrev_b32_e32 v3, 24, v4
	s_delay_alu instid0(VALU_DEP_1)
	v_and_or_b32 v2, 0x80, v3, v2
	global_store_b8 v[0:1], v2, off
.LBB222_2123:
	s_mov_b32 s3, 0
.LBB222_2124:
	s_delay_alu instid0(SALU_CYCLE_1)
	s_and_not1_b32 vcc_lo, exec_lo, s3
	s_mov_b32 s3, 0
	s_cbranch_vccnz .LBB222_2131
; %bb.2125:
	s_cmp_gt_i32 s2, 14
	s_mov_b32 s3, -1
	s_cbranch_scc0 .LBB222_2129
; %bb.2126:
	s_cmp_eq_u32 s2, 15
	s_mov_b32 s0, -1
	s_cbranch_scc0 .LBB222_2128
; %bb.2127:
	s_wait_xcnt 0x0
	v_bfe_u32 v2, v4, 16, 1
	v_cmp_o_f32_e32 vcc_lo, v4, v4
	s_mov_b32 s0, 0
	s_delay_alu instid0(VALU_DEP_2) | instskip(NEXT) | instid1(VALU_DEP_1)
	v_add3_u32 v2, v4, v2, 0x7fff
	v_lshrrev_b32_e32 v2, 16, v2
	s_delay_alu instid0(VALU_DEP_1)
	v_cndmask_b32_e32 v2, 0x7fc0, v2, vcc_lo
	global_store_b16 v[0:1], v2, off
.LBB222_2128:
	s_mov_b32 s3, 0
.LBB222_2129:
	s_delay_alu instid0(SALU_CYCLE_1)
	s_and_b32 vcc_lo, exec_lo, s3
	s_mov_b32 s3, 0
	s_cbranch_vccz .LBB222_2131
; %bb.2130:
	s_cmp_lg_u32 s2, 11
	s_mov_b32 s3, -1
	s_cselect_b32 s0, -1, 0
.LBB222_2131:
	s_delay_alu instid0(SALU_CYCLE_1)
	s_and_b32 vcc_lo, exec_lo, s0
	s_cbranch_vccnz .LBB222_2153
.LBB222_2132:
	s_mov_b32 s0, 0
	s_branch .LBB222_1646
.LBB222_2133:
	s_mov_b32 s0, 0
	s_mov_b32 s3, 0
                                        ; implicit-def: $sgpr15
                                        ; implicit-def: $vgpr0_vgpr1
	s_branch .LBB222_1646
.LBB222_2134:
	s_mov_b32 s3, 0
	s_mov_b32 s0, -1
	s_branch .LBB222_1646
.LBB222_2135:
	s_or_b32 s1, s1, exec_lo
	s_trap 2
	s_cbranch_execz .LBB222_1589
	s_branch .LBB222_1590
.LBB222_2136:
	s_and_not1_saveexec_b32 s9, s9
	s_cbranch_execz .LBB222_1726
.LBB222_2137:
	v_add_f32_e64 v1, 0x46000000, |v0|
	s_and_not1_b32 s7, s7, exec_lo
	s_delay_alu instid0(VALU_DEP_1) | instskip(NEXT) | instid1(VALU_DEP_1)
	v_and_b32_e32 v1, 0xff, v1
	v_cmp_ne_u32_e32 vcc_lo, 0, v1
	s_and_b32 s10, vcc_lo, exec_lo
	s_delay_alu instid0(SALU_CYCLE_1)
	s_or_b32 s7, s7, s10
	s_or_b32 exec_lo, exec_lo, s9
	v_mov_b32_e32 v3, 0
	s_and_saveexec_b32 s9, s7
	s_cbranch_execnz .LBB222_1727
	s_branch .LBB222_1728
.LBB222_2138:
	s_or_b32 s1, s1, exec_lo
	s_trap 2
	s_cbranch_execz .LBB222_1774
	s_branch .LBB222_1775
.LBB222_2139:
	s_and_not1_saveexec_b32 s7, s7
	s_cbranch_execz .LBB222_1739
.LBB222_2140:
	v_add_f32_e64 v1, 0x42800000, |v0|
	s_and_not1_b32 s6, s6, exec_lo
	s_delay_alu instid0(VALU_DEP_1) | instskip(NEXT) | instid1(VALU_DEP_1)
	v_and_b32_e32 v1, 0xff, v1
	v_cmp_ne_u32_e32 vcc_lo, 0, v1
	s_and_b32 s9, vcc_lo, exec_lo
	s_delay_alu instid0(SALU_CYCLE_1)
	s_or_b32 s6, s6, s9
	s_or_b32 exec_lo, exec_lo, s7
	v_mov_b32_e32 v3, 0
	s_and_saveexec_b32 s7, s6
	s_cbranch_execnz .LBB222_1740
	s_branch .LBB222_1741
.LBB222_2141:
	s_and_not1_saveexec_b32 s9, s9
	s_cbranch_execz .LBB222_1847
.LBB222_2142:
	v_add_f32_e64 v1, 0x46000000, |v2|
	s_and_not1_b32 s8, s8, exec_lo
	s_delay_alu instid0(VALU_DEP_1) | instskip(NEXT) | instid1(VALU_DEP_1)
	v_and_b32_e32 v1, 0xff, v1
	v_cmp_ne_u32_e32 vcc_lo, 0, v1
	s_and_b32 s10, vcc_lo, exec_lo
	s_delay_alu instid0(SALU_CYCLE_1)
	s_or_b32 s8, s8, s10
	s_or_b32 exec_lo, exec_lo, s9
	v_mov_b32_e32 v3, 0
	s_and_saveexec_b32 s9, s8
	s_cbranch_execnz .LBB222_1848
	s_branch .LBB222_1849
.LBB222_2143:
	s_or_b32 s1, s1, exec_lo
	s_trap 2
	s_cbranch_execz .LBB222_1895
	s_branch .LBB222_1896
.LBB222_2144:
	s_and_not1_saveexec_b32 s8, s8
	s_cbranch_execz .LBB222_1860
.LBB222_2145:
	v_add_f32_e64 v1, 0x42800000, |v2|
	s_and_not1_b32 s7, s7, exec_lo
	s_delay_alu instid0(VALU_DEP_1) | instskip(NEXT) | instid1(VALU_DEP_1)
	v_and_b32_e32 v1, 0xff, v1
	v_cmp_ne_u32_e32 vcc_lo, 0, v1
	s_and_b32 s9, vcc_lo, exec_lo
	s_delay_alu instid0(SALU_CYCLE_1)
	s_or_b32 s7, s7, s9
	s_or_b32 exec_lo, exec_lo, s8
	v_mov_b32_e32 v3, 0
	s_and_saveexec_b32 s8, s7
	s_cbranch_execnz .LBB222_1861
	s_branch .LBB222_1862
.LBB222_2146:
	s_and_not1_saveexec_b32 s9, s9
	s_cbranch_execz .LBB222_1966
.LBB222_2147:
	v_add_f32_e64 v1, 0x46000000, |v6|
	s_and_not1_b32 s8, s8, exec_lo
	s_delay_alu instid0(VALU_DEP_1) | instskip(NEXT) | instid1(VALU_DEP_1)
	v_and_b32_e32 v1, 0xff, v1
	v_cmp_ne_u32_e32 vcc_lo, 0, v1
	s_and_b32 s10, vcc_lo, exec_lo
	s_delay_alu instid0(SALU_CYCLE_1)
	s_or_b32 s8, s8, s10
	s_or_b32 exec_lo, exec_lo, s9
	v_mov_b32_e32 v5, 0
	s_and_saveexec_b32 s9, s8
	s_cbranch_execnz .LBB222_1967
	s_branch .LBB222_1968
.LBB222_2148:
	s_or_b32 s1, s1, exec_lo
	s_trap 2
	s_cbranch_execz .LBB222_2014
	s_branch .LBB222_2015
.LBB222_2149:
	s_and_not1_saveexec_b32 s8, s8
	s_cbranch_execz .LBB222_1979
.LBB222_2150:
	v_add_f32_e64 v1, 0x42800000, |v6|
	s_and_not1_b32 s7, s7, exec_lo
	s_delay_alu instid0(VALU_DEP_1) | instskip(NEXT) | instid1(VALU_DEP_1)
	v_and_b32_e32 v1, 0xff, v1
	v_cmp_ne_u32_e32 vcc_lo, 0, v1
	s_and_b32 s9, vcc_lo, exec_lo
	s_delay_alu instid0(SALU_CYCLE_1)
	s_or_b32 s7, s7, s9
	s_or_b32 exec_lo, exec_lo, s8
	v_mov_b32_e32 v5, 0
	s_and_saveexec_b32 s8, s7
	s_cbranch_execnz .LBB222_1980
	s_branch .LBB222_1981
.LBB222_2151:
	s_and_not1_saveexec_b32 s6, s6
	s_cbranch_execz .LBB222_2086
.LBB222_2152:
	v_add_f32_e64 v2, 0x46000000, |v4|
	s_and_not1_b32 s5, s5, exec_lo
	s_delay_alu instid0(VALU_DEP_1) | instskip(NEXT) | instid1(VALU_DEP_1)
	v_and_b32_e32 v2, 0xff, v2
	v_cmp_ne_u32_e32 vcc_lo, 0, v2
	s_and_b32 s7, vcc_lo, exec_lo
	s_delay_alu instid0(SALU_CYCLE_1)
	s_or_b32 s5, s5, s7
	s_or_b32 exec_lo, exec_lo, s6
	v_mov_b32_e32 v3, 0
	s_and_saveexec_b32 s6, s5
	s_cbranch_execnz .LBB222_2087
	s_branch .LBB222_2088
.LBB222_2153:
	s_mov_b32 s3, 0
	s_or_b32 s1, s1, exec_lo
	s_trap 2
	s_branch .LBB222_2132
.LBB222_2154:
	s_and_not1_saveexec_b32 s5, s5
	s_cbranch_execz .LBB222_2098
.LBB222_2155:
	v_add_f32_e64 v2, 0x42800000, |v4|
	s_and_not1_b32 s4, s4, exec_lo
	s_delay_alu instid0(VALU_DEP_1) | instskip(NEXT) | instid1(VALU_DEP_1)
	v_and_b32_e32 v2, 0xff, v2
	v_cmp_ne_u32_e32 vcc_lo, 0, v2
	s_and_b32 s6, vcc_lo, exec_lo
	s_delay_alu instid0(SALU_CYCLE_1)
	s_or_b32 s4, s4, s6
	s_or_b32 exec_lo, exec_lo, s5
	v_mov_b32_e32 v3, 0
	s_and_saveexec_b32 s5, s4
	s_cbranch_execnz .LBB222_2099
	s_branch .LBB222_2100
	.section	.rodata,"a",@progbits
	.p2align	6, 0x0
	.amdhsa_kernel _ZN2at6native32elementwise_kernel_manual_unrollILi128ELi4EZNS0_15gpu_kernel_implIZZZNS0_12_GLOBAL__N_119launch_clamp_scalarERNS_18TensorIteratorBaseEN3c106ScalarES7_NS0_6detail11ClampLimitsEENKUlvE_clEvENKUlvE5_clEvEUlfE_EEvS5_RKT_EUlibE_EEviT1_
		.amdhsa_group_segment_fixed_size 0
		.amdhsa_private_segment_fixed_size 0
		.amdhsa_kernarg_size 48
		.amdhsa_user_sgpr_count 2
		.amdhsa_user_sgpr_dispatch_ptr 0
		.amdhsa_user_sgpr_queue_ptr 0
		.amdhsa_user_sgpr_kernarg_segment_ptr 1
		.amdhsa_user_sgpr_dispatch_id 0
		.amdhsa_user_sgpr_kernarg_preload_length 0
		.amdhsa_user_sgpr_kernarg_preload_offset 0
		.amdhsa_user_sgpr_private_segment_size 0
		.amdhsa_wavefront_size32 1
		.amdhsa_uses_dynamic_stack 0
		.amdhsa_enable_private_segment 0
		.amdhsa_system_sgpr_workgroup_id_x 1
		.amdhsa_system_sgpr_workgroup_id_y 0
		.amdhsa_system_sgpr_workgroup_id_z 0
		.amdhsa_system_sgpr_workgroup_info 0
		.amdhsa_system_vgpr_workitem_id 0
		.amdhsa_next_free_vgpr 16
		.amdhsa_next_free_sgpr 29
		.amdhsa_named_barrier_count 0
		.amdhsa_reserve_vcc 1
		.amdhsa_float_round_mode_32 0
		.amdhsa_float_round_mode_16_64 0
		.amdhsa_float_denorm_mode_32 3
		.amdhsa_float_denorm_mode_16_64 3
		.amdhsa_fp16_overflow 0
		.amdhsa_memory_ordered 1
		.amdhsa_forward_progress 1
		.amdhsa_inst_pref_size 255
		.amdhsa_round_robin_scheduling 0
		.amdhsa_exception_fp_ieee_invalid_op 0
		.amdhsa_exception_fp_denorm_src 0
		.amdhsa_exception_fp_ieee_div_zero 0
		.amdhsa_exception_fp_ieee_overflow 0
		.amdhsa_exception_fp_ieee_underflow 0
		.amdhsa_exception_fp_ieee_inexact 0
		.amdhsa_exception_int_div_zero 0
	.end_amdhsa_kernel
	.section	.text._ZN2at6native32elementwise_kernel_manual_unrollILi128ELi4EZNS0_15gpu_kernel_implIZZZNS0_12_GLOBAL__N_119launch_clamp_scalarERNS_18TensorIteratorBaseEN3c106ScalarES7_NS0_6detail11ClampLimitsEENKUlvE_clEvENKUlvE5_clEvEUlfE_EEvS5_RKT_EUlibE_EEviT1_,"axG",@progbits,_ZN2at6native32elementwise_kernel_manual_unrollILi128ELi4EZNS0_15gpu_kernel_implIZZZNS0_12_GLOBAL__N_119launch_clamp_scalarERNS_18TensorIteratorBaseEN3c106ScalarES7_NS0_6detail11ClampLimitsEENKUlvE_clEvENKUlvE5_clEvEUlfE_EEvS5_RKT_EUlibE_EEviT1_,comdat
.Lfunc_end222:
	.size	_ZN2at6native32elementwise_kernel_manual_unrollILi128ELi4EZNS0_15gpu_kernel_implIZZZNS0_12_GLOBAL__N_119launch_clamp_scalarERNS_18TensorIteratorBaseEN3c106ScalarES7_NS0_6detail11ClampLimitsEENKUlvE_clEvENKUlvE5_clEvEUlfE_EEvS5_RKT_EUlibE_EEviT1_, .Lfunc_end222-_ZN2at6native32elementwise_kernel_manual_unrollILi128ELi4EZNS0_15gpu_kernel_implIZZZNS0_12_GLOBAL__N_119launch_clamp_scalarERNS_18TensorIteratorBaseEN3c106ScalarES7_NS0_6detail11ClampLimitsEENKUlvE_clEvENKUlvE5_clEvEUlfE_EEvS5_RKT_EUlibE_EEviT1_
                                        ; -- End function
	.set _ZN2at6native32elementwise_kernel_manual_unrollILi128ELi4EZNS0_15gpu_kernel_implIZZZNS0_12_GLOBAL__N_119launch_clamp_scalarERNS_18TensorIteratorBaseEN3c106ScalarES7_NS0_6detail11ClampLimitsEENKUlvE_clEvENKUlvE5_clEvEUlfE_EEvS5_RKT_EUlibE_EEviT1_.num_vgpr, 16
	.set _ZN2at6native32elementwise_kernel_manual_unrollILi128ELi4EZNS0_15gpu_kernel_implIZZZNS0_12_GLOBAL__N_119launch_clamp_scalarERNS_18TensorIteratorBaseEN3c106ScalarES7_NS0_6detail11ClampLimitsEENKUlvE_clEvENKUlvE5_clEvEUlfE_EEvS5_RKT_EUlibE_EEviT1_.num_agpr, 0
	.set _ZN2at6native32elementwise_kernel_manual_unrollILi128ELi4EZNS0_15gpu_kernel_implIZZZNS0_12_GLOBAL__N_119launch_clamp_scalarERNS_18TensorIteratorBaseEN3c106ScalarES7_NS0_6detail11ClampLimitsEENKUlvE_clEvENKUlvE5_clEvEUlfE_EEvS5_RKT_EUlibE_EEviT1_.numbered_sgpr, 29
	.set _ZN2at6native32elementwise_kernel_manual_unrollILi128ELi4EZNS0_15gpu_kernel_implIZZZNS0_12_GLOBAL__N_119launch_clamp_scalarERNS_18TensorIteratorBaseEN3c106ScalarES7_NS0_6detail11ClampLimitsEENKUlvE_clEvENKUlvE5_clEvEUlfE_EEvS5_RKT_EUlibE_EEviT1_.num_named_barrier, 0
	.set _ZN2at6native32elementwise_kernel_manual_unrollILi128ELi4EZNS0_15gpu_kernel_implIZZZNS0_12_GLOBAL__N_119launch_clamp_scalarERNS_18TensorIteratorBaseEN3c106ScalarES7_NS0_6detail11ClampLimitsEENKUlvE_clEvENKUlvE5_clEvEUlfE_EEvS5_RKT_EUlibE_EEviT1_.private_seg_size, 0
	.set _ZN2at6native32elementwise_kernel_manual_unrollILi128ELi4EZNS0_15gpu_kernel_implIZZZNS0_12_GLOBAL__N_119launch_clamp_scalarERNS_18TensorIteratorBaseEN3c106ScalarES7_NS0_6detail11ClampLimitsEENKUlvE_clEvENKUlvE5_clEvEUlfE_EEvS5_RKT_EUlibE_EEviT1_.uses_vcc, 1
	.set _ZN2at6native32elementwise_kernel_manual_unrollILi128ELi4EZNS0_15gpu_kernel_implIZZZNS0_12_GLOBAL__N_119launch_clamp_scalarERNS_18TensorIteratorBaseEN3c106ScalarES7_NS0_6detail11ClampLimitsEENKUlvE_clEvENKUlvE5_clEvEUlfE_EEvS5_RKT_EUlibE_EEviT1_.uses_flat_scratch, 0
	.set _ZN2at6native32elementwise_kernel_manual_unrollILi128ELi4EZNS0_15gpu_kernel_implIZZZNS0_12_GLOBAL__N_119launch_clamp_scalarERNS_18TensorIteratorBaseEN3c106ScalarES7_NS0_6detail11ClampLimitsEENKUlvE_clEvENKUlvE5_clEvEUlfE_EEvS5_RKT_EUlibE_EEviT1_.has_dyn_sized_stack, 0
	.set _ZN2at6native32elementwise_kernel_manual_unrollILi128ELi4EZNS0_15gpu_kernel_implIZZZNS0_12_GLOBAL__N_119launch_clamp_scalarERNS_18TensorIteratorBaseEN3c106ScalarES7_NS0_6detail11ClampLimitsEENKUlvE_clEvENKUlvE5_clEvEUlfE_EEvS5_RKT_EUlibE_EEviT1_.has_recursion, 0
	.set _ZN2at6native32elementwise_kernel_manual_unrollILi128ELi4EZNS0_15gpu_kernel_implIZZZNS0_12_GLOBAL__N_119launch_clamp_scalarERNS_18TensorIteratorBaseEN3c106ScalarES7_NS0_6detail11ClampLimitsEENKUlvE_clEvENKUlvE5_clEvEUlfE_EEvS5_RKT_EUlibE_EEviT1_.has_indirect_call, 0
	.section	.AMDGPU.csdata,"",@progbits
; Kernel info:
; codeLenInByte = 38672
; TotalNumSgprs: 31
; NumVgprs: 16
; ScratchSize: 0
; MemoryBound: 1
; FloatMode: 240
; IeeeMode: 1
; LDSByteSize: 0 bytes/workgroup (compile time only)
; SGPRBlocks: 0
; VGPRBlocks: 0
; NumSGPRsForWavesPerEU: 31
; NumVGPRsForWavesPerEU: 16
; NamedBarCnt: 0
; Occupancy: 16
; WaveLimiterHint : 0
; COMPUTE_PGM_RSRC2:SCRATCH_EN: 0
; COMPUTE_PGM_RSRC2:USER_SGPR: 2
; COMPUTE_PGM_RSRC2:TRAP_HANDLER: 0
; COMPUTE_PGM_RSRC2:TGID_X_EN: 1
; COMPUTE_PGM_RSRC2:TGID_Y_EN: 0
; COMPUTE_PGM_RSRC2:TGID_Z_EN: 0
; COMPUTE_PGM_RSRC2:TIDIG_COMP_CNT: 0
	.section	.text._ZN2at6native32elementwise_kernel_manual_unrollILi128ELi4EZNS0_15gpu_kernel_implIZZZNS0_12_GLOBAL__N_119launch_clamp_scalarERNS_18TensorIteratorBaseEN3c106ScalarES7_NS0_6detail11ClampLimitsEENKUlvE_clEvENKUlvE5_clEvEUlfE_EEvS5_RKT_EUlibE0_EEviT1_,"axG",@progbits,_ZN2at6native32elementwise_kernel_manual_unrollILi128ELi4EZNS0_15gpu_kernel_implIZZZNS0_12_GLOBAL__N_119launch_clamp_scalarERNS_18TensorIteratorBaseEN3c106ScalarES7_NS0_6detail11ClampLimitsEENKUlvE_clEvENKUlvE5_clEvEUlfE_EEvS5_RKT_EUlibE0_EEviT1_,comdat
	.globl	_ZN2at6native32elementwise_kernel_manual_unrollILi128ELi4EZNS0_15gpu_kernel_implIZZZNS0_12_GLOBAL__N_119launch_clamp_scalarERNS_18TensorIteratorBaseEN3c106ScalarES7_NS0_6detail11ClampLimitsEENKUlvE_clEvENKUlvE5_clEvEUlfE_EEvS5_RKT_EUlibE0_EEviT1_ ; -- Begin function _ZN2at6native32elementwise_kernel_manual_unrollILi128ELi4EZNS0_15gpu_kernel_implIZZZNS0_12_GLOBAL__N_119launch_clamp_scalarERNS_18TensorIteratorBaseEN3c106ScalarES7_NS0_6detail11ClampLimitsEENKUlvE_clEvENKUlvE5_clEvEUlfE_EEvS5_RKT_EUlibE0_EEviT1_
	.p2align	8
	.type	_ZN2at6native32elementwise_kernel_manual_unrollILi128ELi4EZNS0_15gpu_kernel_implIZZZNS0_12_GLOBAL__N_119launch_clamp_scalarERNS_18TensorIteratorBaseEN3c106ScalarES7_NS0_6detail11ClampLimitsEENKUlvE_clEvENKUlvE5_clEvEUlfE_EEvS5_RKT_EUlibE0_EEviT1_,@function
_ZN2at6native32elementwise_kernel_manual_unrollILi128ELi4EZNS0_15gpu_kernel_implIZZZNS0_12_GLOBAL__N_119launch_clamp_scalarERNS_18TensorIteratorBaseEN3c106ScalarES7_NS0_6detail11ClampLimitsEENKUlvE_clEvENKUlvE5_clEvEUlfE_EEvS5_RKT_EUlibE0_EEviT1_: ; @_ZN2at6native32elementwise_kernel_manual_unrollILi128ELi4EZNS0_15gpu_kernel_implIZZZNS0_12_GLOBAL__N_119launch_clamp_scalarERNS_18TensorIteratorBaseEN3c106ScalarES7_NS0_6detail11ClampLimitsEENKUlvE_clEvENKUlvE5_clEvEUlfE_EEvS5_RKT_EUlibE0_EEviT1_
; %bb.0:
	s_clause 0x1
	s_load_b32 s33, s[0:1], 0x8
	s_load_b32 s39, s[0:1], 0x0
	s_bfe_u32 s2, ttmp6, 0x4000c
	s_and_b32 s3, ttmp6, 15
	s_add_co_i32 s2, s2, 1
	s_getreg_b32 s4, hwreg(HW_REG_IB_STS2, 6, 4)
	s_mul_i32 s2, ttmp9, s2
	s_mov_b32 s35, 0
	s_add_co_i32 s3, s3, s2
	s_cmp_eq_u32 s4, 0
	s_mov_b32 s27, -1
	s_cselect_b32 s2, ttmp9, s3
	s_mov_b32 s8, 0
	v_lshl_or_b32 v0, s2, 9, v0
	s_add_nc_u64 s[2:3], s[0:1], 8
	s_wait_xcnt 0x0
	s_mov_b32 s0, exec_lo
	s_delay_alu instid0(VALU_DEP_1) | instskip(SKIP_2) | instid1(SALU_CYCLE_1)
	v_or_b32_e32 v9, 0x180, v0
	s_wait_kmcnt 0x0
	s_add_co_i32 s34, s33, -1
	s_cmp_gt_u32 s34, 1
	s_cselect_b32 s36, -1, 0
	v_cmpx_le_i32_e64 s39, v9
	s_xor_b32 s37, exec_lo, s0
	s_cbranch_execz .LBB223_1149
; %bb.1:
	s_clause 0x3
	s_load_b128 s[12:15], s[2:3], 0x4
	s_load_b64 s[0:1], s[2:3], 0x14
	s_load_b256 s[4:11], s[2:3], 0x148
	s_load_b128 s[16:19], s[2:3], 0xc4
	s_cmp_lg_u32 s33, 0
	s_mov_b32 s21, 0
	s_cselect_b32 s41, -1, 0
	s_min_u32 s40, s34, 15
	s_cmp_gt_u32 s33, 1
	s_add_nc_u64 s[24:25], s[2:3], 0xc4
	s_mov_b32 s23, s21
	s_mov_b32 s43, s21
	s_cselect_b32 s38, -1, 0
	s_mov_b32 s42, s21
	s_mov_b32 s44, exec_lo
	s_wait_kmcnt 0x0
	s_mov_b32 s20, s13
	s_mov_b32 s22, s0
	s_bfe_u32 s13, s11, 0x80008
	v_cmpx_gt_i32_e64 s39, v0
	s_cbranch_execz .LBB223_280
; %bb.2:
	s_and_not1_b32 vcc_lo, exec_lo, s36
	s_cbranch_vccnz .LBB223_8
; %bb.3:
	s_and_not1_b32 vcc_lo, exec_lo, s41
	s_cbranch_vccnz .LBB223_9
; %bb.4:
	s_add_co_i32 s0, s40, 1
	s_cmp_eq_u32 s34, 2
	s_cbranch_scc1 .LBB223_10
; %bb.5:
	v_dual_mov_b32 v4, 0 :: v_dual_mov_b32 v2, 0
	v_mov_b32_e32 v1, v0
	s_and_b32 s26, s0, 28
	s_mov_b32 s27, 0
	s_mov_b64 s[28:29], s[2:3]
	s_mov_b64 s[30:31], s[24:25]
.LBB223_6:                              ; =>This Inner Loop Header: Depth=1
	s_clause 0x1
	s_load_b256 s[48:55], s[28:29], 0x4
	s_load_b128 s[64:67], s[28:29], 0x24
	s_load_b256 s[56:63], s[30:31], 0x0
	s_add_co_i32 s27, s27, 4
	s_wait_xcnt 0x0
	s_add_nc_u64 s[28:29], s[28:29], 48
	s_cmp_lg_u32 s26, s27
	s_add_nc_u64 s[30:31], s[30:31], 32
	s_wait_kmcnt 0x0
	v_mul_hi_u32 v3, s49, v1
	s_delay_alu instid0(VALU_DEP_1) | instskip(NEXT) | instid1(VALU_DEP_1)
	v_add_nc_u32_e32 v3, v1, v3
	v_lshrrev_b32_e32 v3, s50, v3
	s_delay_alu instid0(VALU_DEP_1) | instskip(NEXT) | instid1(VALU_DEP_1)
	v_mul_hi_u32 v5, s52, v3
	v_add_nc_u32_e32 v5, v3, v5
	s_delay_alu instid0(VALU_DEP_1) | instskip(NEXT) | instid1(VALU_DEP_1)
	v_lshrrev_b32_e32 v5, s53, v5
	v_mul_hi_u32 v6, s55, v5
	s_delay_alu instid0(VALU_DEP_1) | instskip(SKIP_1) | instid1(VALU_DEP_1)
	v_add_nc_u32_e32 v6, v5, v6
	v_mul_lo_u32 v7, v3, s48
	v_sub_nc_u32_e32 v1, v1, v7
	v_mul_lo_u32 v7, v5, s51
	s_delay_alu instid0(VALU_DEP_4) | instskip(NEXT) | instid1(VALU_DEP_3)
	v_lshrrev_b32_e32 v6, s64, v6
	v_mad_u32 v2, v1, s57, v2
	v_mad_u32 v1, v1, s56, v4
	s_delay_alu instid0(VALU_DEP_4) | instskip(NEXT) | instid1(VALU_DEP_4)
	v_sub_nc_u32_e32 v3, v3, v7
	v_mul_hi_u32 v8, s66, v6
	v_mul_lo_u32 v4, v6, s54
	s_delay_alu instid0(VALU_DEP_3) | instskip(SKIP_1) | instid1(VALU_DEP_4)
	v_mad_u32 v2, v3, s59, v2
	v_mad_u32 v3, v3, s58, v1
	v_add_nc_u32_e32 v7, v6, v8
	s_delay_alu instid0(VALU_DEP_1) | instskip(NEXT) | instid1(VALU_DEP_1)
	v_dual_sub_nc_u32 v4, v5, v4 :: v_dual_lshrrev_b32 v1, s67, v7
	v_mad_u32 v2, v4, s61, v2
	s_delay_alu instid0(VALU_DEP_4) | instskip(NEXT) | instid1(VALU_DEP_3)
	v_mad_u32 v3, v4, s60, v3
	v_mul_lo_u32 v5, v1, s65
	s_delay_alu instid0(VALU_DEP_1) | instskip(NEXT) | instid1(VALU_DEP_1)
	v_sub_nc_u32_e32 v4, v6, v5
	v_mad_u32 v2, v4, s63, v2
	s_delay_alu instid0(VALU_DEP_4)
	v_mad_u32 v4, v4, s62, v3
	s_cbranch_scc1 .LBB223_6
; %bb.7:
	s_delay_alu instid0(VALU_DEP_2)
	v_mov_b32_e32 v5, v2
	s_and_b32 s0, s0, 3
	s_mov_b32 s27, 0
	s_cmp_eq_u32 s0, 0
	s_cbranch_scc0 .LBB223_11
	s_branch .LBB223_14
.LBB223_8:
                                        ; implicit-def: $vgpr2
                                        ; implicit-def: $vgpr4
	s_branch .LBB223_15
.LBB223_9:
	v_dual_mov_b32 v2, 0 :: v_dual_mov_b32 v4, 0
	s_branch .LBB223_14
.LBB223_10:
	v_mov_b64_e32 v[4:5], 0
	v_mov_b32_e32 v1, v0
	s_mov_b32 s26, 0
                                        ; implicit-def: $vgpr2
	s_and_b32 s0, s0, 3
	s_mov_b32 s27, 0
	s_cmp_eq_u32 s0, 0
	s_cbranch_scc1 .LBB223_14
.LBB223_11:
	s_lshl_b32 s28, s26, 3
	s_mov_b32 s29, s27
	s_mul_u64 s[30:31], s[26:27], 12
	s_add_nc_u64 s[28:29], s[2:3], s[28:29]
	s_delay_alu instid0(SALU_CYCLE_1)
	s_add_nc_u64 s[26:27], s[28:29], 0xc4
	s_add_nc_u64 s[28:29], s[2:3], s[30:31]
.LBB223_12:                             ; =>This Inner Loop Header: Depth=1
	s_load_b96 s[48:50], s[28:29], 0x4
	s_load_b64 s[30:31], s[26:27], 0x0
	s_add_co_i32 s0, s0, -1
	s_wait_xcnt 0x0
	s_add_nc_u64 s[28:29], s[28:29], 12
	s_cmp_lg_u32 s0, 0
	s_add_nc_u64 s[26:27], s[26:27], 8
	s_wait_kmcnt 0x0
	v_mul_hi_u32 v2, s49, v1
	s_delay_alu instid0(VALU_DEP_1) | instskip(NEXT) | instid1(VALU_DEP_1)
	v_add_nc_u32_e32 v2, v1, v2
	v_lshrrev_b32_e32 v2, s50, v2
	s_delay_alu instid0(VALU_DEP_1) | instskip(NEXT) | instid1(VALU_DEP_1)
	v_mul_lo_u32 v3, v2, s48
	v_sub_nc_u32_e32 v1, v1, v3
	s_delay_alu instid0(VALU_DEP_1)
	v_mad_u32 v5, v1, s31, v5
	v_mad_u32 v4, v1, s30, v4
	v_mov_b32_e32 v1, v2
	s_cbranch_scc1 .LBB223_12
; %bb.13:
	s_delay_alu instid0(VALU_DEP_3)
	v_mov_b32_e32 v2, v5
.LBB223_14:
	s_cbranch_execnz .LBB223_17
.LBB223_15:
	v_mov_b32_e32 v1, 0
	s_and_not1_b32 vcc_lo, exec_lo, s38
	s_delay_alu instid0(VALU_DEP_1) | instskip(NEXT) | instid1(VALU_DEP_1)
	v_mul_u64_e32 v[2:3], s[20:21], v[0:1]
	v_add_nc_u32_e32 v2, v0, v3
	s_delay_alu instid0(VALU_DEP_1) | instskip(NEXT) | instid1(VALU_DEP_1)
	v_lshrrev_b32_e32 v6, s14, v2
	v_mul_lo_u32 v2, v6, s12
	s_delay_alu instid0(VALU_DEP_1) | instskip(NEXT) | instid1(VALU_DEP_1)
	v_sub_nc_u32_e32 v3, v0, v2
	v_mul_lo_u32 v2, v3, s17
	v_mul_lo_u32 v4, v3, s16
	s_cbranch_vccnz .LBB223_17
; %bb.16:
	v_mov_b32_e32 v7, v1
	s_delay_alu instid0(VALU_DEP_1) | instskip(NEXT) | instid1(VALU_DEP_1)
	v_mul_u64_e32 v[8:9], s[22:23], v[6:7]
	v_add_nc_u32_e32 v1, v6, v9
	s_delay_alu instid0(VALU_DEP_1) | instskip(NEXT) | instid1(VALU_DEP_1)
	v_lshrrev_b32_e32 v1, s1, v1
	v_mul_lo_u32 v1, v1, s15
	s_delay_alu instid0(VALU_DEP_1) | instskip(NEXT) | instid1(VALU_DEP_1)
	v_sub_nc_u32_e32 v1, v6, v1
	v_mad_u32 v4, v1, s18, v4
	v_mad_u32 v2, v1, s19, v2
.LBB223_17:
	v_mov_b32_e32 v3, 0
	s_and_b32 s0, 0xffff, s13
	s_delay_alu instid0(SALU_CYCLE_1) | instskip(NEXT) | instid1(VALU_DEP_1)
	s_cmp_lt_i32 s0, 11
	v_add_nc_u64_e32 v[6:7], s[6:7], v[2:3]
	s_cbranch_scc1 .LBB223_24
; %bb.18:
	s_cmp_gt_i32 s0, 25
	s_cbranch_scc0 .LBB223_30
; %bb.19:
	s_cmp_gt_i32 s0, 28
	s_cbranch_scc0 .LBB223_31
	;; [unrolled: 3-line block ×4, first 2 shown]
; %bb.22:
	s_cmp_eq_u32 s0, 46
	s_mov_b32 s28, 0
	s_cbranch_scc0 .LBB223_55
; %bb.23:
	global_load_b32 v1, v[6:7], off
	s_mov_b32 s27, -1
	s_mov_b32 s26, 0
	s_wait_loadcnt 0x0
	v_lshlrev_b32_e32 v2, 16, v1
	s_branch .LBB223_57
.LBB223_24:
	s_mov_b32 s26, 0
	s_mov_b32 s27, 0
                                        ; implicit-def: $vgpr2
	s_cbranch_execnz .LBB223_230
.LBB223_25:
	s_and_not1_b32 vcc_lo, exec_lo, s27
	s_cbranch_vccnz .LBB223_277
.LBB223_26:
	s_mov_b32 s0, exec_lo
	s_wait_loadcnt 0x0
	s_delay_alu instid0(VALU_DEP_1)
	v_cmpx_o_f32_e32 v2, v2
	s_cbranch_execz .LBB223_42
; %bb.27:
	s_cmp_lt_i32 s8, 1
	s_mov_b32 s27, 0
	s_cbranch_scc1 .LBB223_32
; %bb.28:
	s_cmp_eq_u32 s8, 1
	s_cbranch_scc0 .LBB223_36
; %bb.29:
	v_max_num_f32_e64 v1, s9, s9
	v_max_num_f32_e32 v3, v2, v2
	s_mov_b32 s28, 0
	s_delay_alu instid0(VALU_DEP_1)
	v_min_num_f32_e32 v1, v3, v1
	s_branch .LBB223_37
.LBB223_30:
	s_mov_b32 s26, 0
	s_mov_b32 s27, 0
                                        ; implicit-def: $vgpr2
	s_cbranch_execnz .LBB223_195
	s_branch .LBB223_229
.LBB223_31:
	s_mov_b32 s28, -1
	s_mov_b32 s26, 0
	s_mov_b32 s27, 0
                                        ; implicit-def: $vgpr2
	s_branch .LBB223_176
.LBB223_32:
	s_mov_b32 s28, 0
                                        ; implicit-def: $vgpr1
	s_cbranch_execnz .LBB223_38
.LBB223_33:
	s_and_not1_b32 vcc_lo, exec_lo, s28
	s_cbranch_vccnz .LBB223_39
.LBB223_34:
	v_max_num_f32_e64 v1, s9, s9
	v_max_num_f32_e32 v3, v2, v2
	v_max_num_f32_e64 v5, s10, s10
	s_delay_alu instid0(VALU_DEP_1)
	v_maxmin_num_f32 v1, v3, v1, v5
	s_cbranch_execz .LBB223_40
	s_branch .LBB223_41
.LBB223_35:
	s_mov_b32 s28, -1
	s_mov_b32 s26, 0
	s_mov_b32 s27, 0
                                        ; implicit-def: $vgpr2
	s_branch .LBB223_171
.LBB223_36:
	s_mov_b32 s28, -1
                                        ; implicit-def: $vgpr1
.LBB223_37:
	s_branch .LBB223_33
.LBB223_38:
	s_cmp_lg_u32 s8, 0
	s_mov_b32 s27, -1
	s_cselect_b32 s28, -1, 0
	s_delay_alu instid0(SALU_CYCLE_1)
	s_and_not1_b32 vcc_lo, exec_lo, s28
	s_cbranch_vccz .LBB223_34
.LBB223_39:
	s_and_not1_b32 vcc_lo, exec_lo, s27
	s_cbranch_vccnz .LBB223_41
.LBB223_40:
	v_max_num_f32_e64 v1, s9, s9
	v_max_num_f32_e32 v2, v2, v2
	s_delay_alu instid0(VALU_DEP_1)
	v_max_num_f32_e32 v1, v2, v1
.LBB223_41:
	s_delay_alu instid0(VALU_DEP_1)
	v_mov_b32_e32 v2, v1
.LBB223_42:
	s_or_b32 exec_lo, exec_lo, s0
	v_mov_b32_e32 v5, 0
	s_and_b32 s27, s11, 0xff
	s_delay_alu instid0(SALU_CYCLE_1) | instskip(NEXT) | instid1(VALU_DEP_1)
	s_cmp_lt_i32 s27, 11
	v_add_nc_u64_e32 v[4:5], s[4:5], v[4:5]
	s_cbranch_scc1 .LBB223_49
; %bb.43:
	s_and_b32 s28, 0xffff, s27
	s_delay_alu instid0(SALU_CYCLE_1)
	s_cmp_gt_i32 s28, 25
	s_cbranch_scc0 .LBB223_51
; %bb.44:
	s_cmp_gt_i32 s28, 28
	s_cbranch_scc0 .LBB223_52
; %bb.45:
	;; [unrolled: 3-line block ×4, first 2 shown]
	s_mov_b32 s30, 0
	s_mov_b32 s0, -1
	s_cmp_eq_u32 s28, 46
	s_mov_b32 s29, 0
	s_cbranch_scc0 .LBB223_61
; %bb.48:
	v_bfe_u32 v1, v2, 16, 1
	v_cmp_o_f32_e32 vcc_lo, v2, v2
	s_mov_b32 s29, -1
	s_mov_b32 s0, 0
	s_delay_alu instid0(VALU_DEP_2) | instskip(NEXT) | instid1(VALU_DEP_1)
	v_add3_u32 v1, v2, v1, 0x7fff
	v_lshrrev_b32_e32 v1, 16, v1
	s_delay_alu instid0(VALU_DEP_1)
	v_cndmask_b32_e32 v1, 0x7fc0, v1, vcc_lo
	global_store_b32 v[4:5], v1, off
	s_branch .LBB223_61
.LBB223_49:
	s_mov_b32 s0, 0
	s_mov_b32 s29, 0
	s_cbranch_execnz .LBB223_130
.LBB223_50:
	s_and_not1_b32 vcc_lo, exec_lo, s29
	s_cbranch_vccz .LBB223_168
	s_branch .LBB223_278
.LBB223_51:
	s_mov_b32 s30, -1
	s_mov_b32 s0, 0
	s_mov_b32 s29, 0
	s_branch .LBB223_88
.LBB223_52:
	s_mov_b32 s30, -1
	s_mov_b32 s0, 0
	s_mov_b32 s29, 0
	s_branch .LBB223_71
.LBB223_53:
	s_mov_b32 s28, -1
	s_mov_b32 s26, 0
	s_branch .LBB223_56
.LBB223_54:
	s_mov_b32 s30, -1
	s_mov_b32 s0, 0
	s_mov_b32 s29, 0
	s_branch .LBB223_67
.LBB223_55:
	s_mov_b32 s26, -1
.LBB223_56:
	s_mov_b32 s27, 0
                                        ; implicit-def: $vgpr2
.LBB223_57:
	s_and_b32 vcc_lo, exec_lo, s28
	s_cbranch_vccz .LBB223_170
; %bb.58:
	s_cmp_eq_u32 s0, 44
	s_cbranch_scc0 .LBB223_169
; %bb.59:
	global_load_u8 v1, v[6:7], off
	s_mov_b32 s26, 0
	s_mov_b32 s27, -1
	s_wait_loadcnt 0x0
	v_lshlrev_b32_e32 v2, 23, v1
	v_cmp_ne_u32_e32 vcc_lo, 0xff, v1
	s_delay_alu instid0(VALU_DEP_2) | instskip(SKIP_1) | instid1(VALU_DEP_2)
	v_cndmask_b32_e32 v2, 0x7f800001, v2, vcc_lo
	v_cmp_ne_u32_e32 vcc_lo, 0, v1
	v_cndmask_b32_e32 v2, 0x400000, v2, vcc_lo
	s_branch .LBB223_170
.LBB223_60:
	s_mov_b32 s30, -1
	s_mov_b32 s0, 0
	s_mov_b32 s29, 0
.LBB223_61:
	s_and_b32 vcc_lo, exec_lo, s30
	s_cbranch_vccz .LBB223_66
; %bb.62:
	s_cmp_eq_u32 s28, 44
	s_mov_b32 s0, -1
	s_cbranch_scc0 .LBB223_66
; %bb.63:
	v_bfe_u32 v3, v2, 23, 8
	s_wait_xcnt 0x0
	v_mov_b32_e32 v1, 0xff
	s_mov_b32 s29, exec_lo
	s_delay_alu instid0(VALU_DEP_2)
	v_cmpx_ne_u32_e32 0xff, v3
	s_cbranch_execz .LBB223_65
; %bb.64:
	v_and_b32_e32 v1, 0x400000, v2
	v_and_or_b32 v3, 0x3fffff, v2, v3
	s_delay_alu instid0(VALU_DEP_2) | instskip(NEXT) | instid1(VALU_DEP_2)
	v_cmp_ne_u32_e32 vcc_lo, 0, v1
	v_cmp_ne_u32_e64 s0, 0, v3
	v_lshrrev_b32_e32 v1, 23, v2
	s_and_b32 s0, vcc_lo, s0
	s_delay_alu instid0(SALU_CYCLE_1) | instskip(NEXT) | instid1(VALU_DEP_1)
	v_cndmask_b32_e64 v3, 0, 1, s0
	v_add_nc_u32_e32 v1, v1, v3
.LBB223_65:
	s_or_b32 exec_lo, exec_lo, s29
	s_mov_b32 s29, -1
	s_mov_b32 s0, 0
	global_store_b8 v[4:5], v1, off
.LBB223_66:
	s_mov_b32 s30, 0
.LBB223_67:
	s_delay_alu instid0(SALU_CYCLE_1)
	s_and_b32 vcc_lo, exec_lo, s30
	s_cbranch_vccz .LBB223_70
; %bb.68:
	s_cmp_eq_u32 s28, 29
	s_mov_b32 s0, -1
	s_cbranch_scc0 .LBB223_70
; %bb.69:
	s_wait_xcnt 0x0
	v_trunc_f32_e32 v1, v2
	s_mov_b32 s29, -1
	s_mov_b32 s0, 0
	s_mov_b32 s30, 0
	s_delay_alu instid0(VALU_DEP_1) | instskip(NEXT) | instid1(VALU_DEP_1)
	v_mul_f32_e32 v3, 0x2f800000, v1
	v_floor_f32_e32 v3, v3
	s_delay_alu instid0(VALU_DEP_1) | instskip(SKIP_1) | instid1(VALU_DEP_2)
	v_fmamk_f32 v1, v3, 0xcf800000, v1
	v_cvt_u32_f32_e32 v7, v3
	v_cvt_u32_f32_e32 v6, v1
	global_store_b64 v[4:5], v[6:7], off
	s_branch .LBB223_71
.LBB223_70:
	s_mov_b32 s30, 0
.LBB223_71:
	s_delay_alu instid0(SALU_CYCLE_1)
	s_and_b32 vcc_lo, exec_lo, s30
	s_cbranch_vccz .LBB223_87
; %bb.72:
	s_cmp_lt_i32 s28, 27
	s_mov_b32 s29, -1
	s_cbranch_scc1 .LBB223_78
; %bb.73:
	s_wait_xcnt 0x0
	v_cvt_u32_f32_e32 v1, v2
	s_cmp_gt_i32 s28, 27
	s_cbranch_scc0 .LBB223_75
; %bb.74:
	s_mov_b32 s29, 0
	global_store_b32 v[4:5], v1, off
.LBB223_75:
	s_and_not1_b32 vcc_lo, exec_lo, s29
	s_cbranch_vccnz .LBB223_77
; %bb.76:
	global_store_b16 v[4:5], v1, off
.LBB223_77:
	s_mov_b32 s29, 0
.LBB223_78:
	s_delay_alu instid0(SALU_CYCLE_1)
	s_and_not1_b32 vcc_lo, exec_lo, s29
	s_cbranch_vccnz .LBB223_86
; %bb.79:
	s_wait_xcnt 0x0
	v_and_b32_e32 v1, 0x7fffffff, v2
	v_mov_b32_e32 v3, 0x80
	s_mov_b32 s29, exec_lo
	s_delay_alu instid0(VALU_DEP_2)
	v_cmpx_gt_u32_e32 0x43800000, v1
	s_cbranch_execz .LBB223_85
; %bb.80:
	v_cmp_lt_u32_e32 vcc_lo, 0x3bffffff, v1
	s_mov_b32 s30, 0
                                        ; implicit-def: $vgpr1
	s_and_saveexec_b32 s31, vcc_lo
	s_delay_alu instid0(SALU_CYCLE_1)
	s_xor_b32 s31, exec_lo, s31
	s_cbranch_execz .LBB223_337
; %bb.81:
	v_bfe_u32 v1, v2, 20, 1
	s_mov_b32 s30, exec_lo
	s_delay_alu instid0(VALU_DEP_1) | instskip(NEXT) | instid1(VALU_DEP_1)
	v_add3_u32 v1, v2, v1, 0x487ffff
	v_lshrrev_b32_e32 v1, 20, v1
	s_and_not1_saveexec_b32 s31, s31
	s_cbranch_execnz .LBB223_338
.LBB223_82:
	s_or_b32 exec_lo, exec_lo, s31
	v_mov_b32_e32 v3, 0
	s_and_saveexec_b32 s31, s30
.LBB223_83:
	v_lshrrev_b32_e32 v3, 24, v2
	s_delay_alu instid0(VALU_DEP_1)
	v_and_or_b32 v3, 0x80, v3, v1
.LBB223_84:
	s_or_b32 exec_lo, exec_lo, s31
.LBB223_85:
	s_delay_alu instid0(SALU_CYCLE_1)
	s_or_b32 exec_lo, exec_lo, s29
	global_store_b8 v[4:5], v3, off
.LBB223_86:
	s_mov_b32 s29, -1
.LBB223_87:
	s_mov_b32 s30, 0
.LBB223_88:
	s_delay_alu instid0(SALU_CYCLE_1)
	s_and_b32 vcc_lo, exec_lo, s30
	s_cbranch_vccz .LBB223_129
; %bb.89:
	s_cmp_gt_i32 s28, 22
	s_mov_b32 s30, -1
	s_cbranch_scc0 .LBB223_121
; %bb.90:
	s_cmp_lt_i32 s28, 24
	s_mov_b32 s29, -1
	s_cbranch_scc1 .LBB223_110
; %bb.91:
	s_cmp_gt_i32 s28, 24
	s_cbranch_scc0 .LBB223_99
; %bb.92:
	s_wait_xcnt 0x0
	v_and_b32_e32 v1, 0x7fffffff, v2
	v_mov_b32_e32 v3, 0x80
	s_mov_b32 s29, exec_lo
	s_delay_alu instid0(VALU_DEP_2)
	v_cmpx_gt_u32_e32 0x47800000, v1
	s_cbranch_execz .LBB223_98
; %bb.93:
	v_cmp_lt_u32_e32 vcc_lo, 0x37ffffff, v1
	s_mov_b32 s30, 0
                                        ; implicit-def: $vgpr1
	s_and_saveexec_b32 s31, vcc_lo
	s_delay_alu instid0(SALU_CYCLE_1)
	s_xor_b32 s31, exec_lo, s31
	s_cbranch_execz .LBB223_341
; %bb.94:
	v_bfe_u32 v1, v2, 21, 1
	s_mov_b32 s30, exec_lo
	s_delay_alu instid0(VALU_DEP_1) | instskip(NEXT) | instid1(VALU_DEP_1)
	v_add3_u32 v1, v2, v1, 0x88fffff
	v_lshrrev_b32_e32 v1, 21, v1
	s_and_not1_saveexec_b32 s31, s31
	s_cbranch_execnz .LBB223_342
.LBB223_95:
	s_or_b32 exec_lo, exec_lo, s31
	v_mov_b32_e32 v3, 0
	s_and_saveexec_b32 s31, s30
.LBB223_96:
	v_lshrrev_b32_e32 v3, 24, v2
	s_delay_alu instid0(VALU_DEP_1)
	v_and_or_b32 v3, 0x80, v3, v1
.LBB223_97:
	s_or_b32 exec_lo, exec_lo, s31
.LBB223_98:
	s_delay_alu instid0(SALU_CYCLE_1)
	s_or_b32 exec_lo, exec_lo, s29
	s_mov_b32 s29, 0
	global_store_b8 v[4:5], v3, off
.LBB223_99:
	s_and_b32 vcc_lo, exec_lo, s29
	s_cbranch_vccz .LBB223_109
; %bb.100:
	s_wait_xcnt 0x0
	v_and_b32_e32 v3, 0x7fffffff, v2
	s_mov_b32 s29, exec_lo
                                        ; implicit-def: $vgpr1
	s_delay_alu instid0(VALU_DEP_1)
	v_cmpx_gt_u32_e32 0x43f00000, v3
	s_xor_b32 s29, exec_lo, s29
	s_cbranch_execz .LBB223_106
; %bb.101:
	s_mov_b32 s30, exec_lo
                                        ; implicit-def: $vgpr1
	v_cmpx_lt_u32_e32 0x3c7fffff, v3
	s_xor_b32 s30, exec_lo, s30
; %bb.102:
	v_bfe_u32 v1, v2, 20, 1
	s_delay_alu instid0(VALU_DEP_1) | instskip(NEXT) | instid1(VALU_DEP_1)
	v_add3_u32 v1, v2, v1, 0x407ffff
	v_and_b32_e32 v3, 0xff00000, v1
	v_lshrrev_b32_e32 v1, 20, v1
	s_delay_alu instid0(VALU_DEP_2) | instskip(NEXT) | instid1(VALU_DEP_2)
	v_cmp_ne_u32_e32 vcc_lo, 0x7f00000, v3
	v_cndmask_b32_e32 v1, 0x7e, v1, vcc_lo
; %bb.103:
	s_and_not1_saveexec_b32 s30, s30
; %bb.104:
	v_add_f32_e64 v1, 0x46800000, |v2|
; %bb.105:
	s_or_b32 exec_lo, exec_lo, s30
                                        ; implicit-def: $vgpr3
.LBB223_106:
	s_and_not1_saveexec_b32 s29, s29
; %bb.107:
	v_mov_b32_e32 v1, 0x7f
	v_cmp_lt_u32_e32 vcc_lo, 0x7f800000, v3
	s_delay_alu instid0(VALU_DEP_2)
	v_cndmask_b32_e32 v1, 0x7e, v1, vcc_lo
; %bb.108:
	s_or_b32 exec_lo, exec_lo, s29
	v_lshrrev_b32_e32 v3, 24, v2
	s_delay_alu instid0(VALU_DEP_1)
	v_and_or_b32 v1, 0x80, v3, v1
	global_store_b8 v[4:5], v1, off
.LBB223_109:
	s_mov_b32 s29, 0
.LBB223_110:
	s_delay_alu instid0(SALU_CYCLE_1)
	s_and_not1_b32 vcc_lo, exec_lo, s29
	s_cbranch_vccnz .LBB223_120
; %bb.111:
	s_wait_xcnt 0x0
	v_and_b32_e32 v3, 0x7fffffff, v2
	s_mov_b32 s29, exec_lo
                                        ; implicit-def: $vgpr1
	s_delay_alu instid0(VALU_DEP_1)
	v_cmpx_gt_u32_e32 0x47800000, v3
	s_xor_b32 s29, exec_lo, s29
	s_cbranch_execz .LBB223_117
; %bb.112:
	s_mov_b32 s30, exec_lo
                                        ; implicit-def: $vgpr1
	v_cmpx_lt_u32_e32 0x387fffff, v3
	s_xor_b32 s30, exec_lo, s30
; %bb.113:
	v_bfe_u32 v1, v2, 21, 1
	s_delay_alu instid0(VALU_DEP_1) | instskip(NEXT) | instid1(VALU_DEP_1)
	v_add3_u32 v1, v2, v1, 0x80fffff
	v_lshrrev_b32_e32 v1, 21, v1
; %bb.114:
	s_and_not1_saveexec_b32 s30, s30
; %bb.115:
	v_add_f32_e64 v1, 0x43000000, |v2|
; %bb.116:
	s_or_b32 exec_lo, exec_lo, s30
                                        ; implicit-def: $vgpr3
.LBB223_117:
	s_and_not1_saveexec_b32 s29, s29
; %bb.118:
	v_mov_b32_e32 v1, 0x7f
	v_cmp_lt_u32_e32 vcc_lo, 0x7f800000, v3
	s_delay_alu instid0(VALU_DEP_2)
	v_cndmask_b32_e32 v1, 0x7c, v1, vcc_lo
; %bb.119:
	s_or_b32 exec_lo, exec_lo, s29
	v_lshrrev_b32_e32 v3, 24, v2
	s_delay_alu instid0(VALU_DEP_1)
	v_and_or_b32 v1, 0x80, v3, v1
	global_store_b8 v[4:5], v1, off
.LBB223_120:
	s_mov_b32 s30, 0
	s_mov_b32 s29, -1
.LBB223_121:
	s_and_not1_b32 vcc_lo, exec_lo, s30
	s_cbranch_vccnz .LBB223_129
; %bb.122:
	s_cmp_gt_i32 s28, 14
	s_mov_b32 s30, -1
	s_cbranch_scc0 .LBB223_126
; %bb.123:
	s_cmp_eq_u32 s28, 15
	s_mov_b32 s0, -1
	s_cbranch_scc0 .LBB223_125
; %bb.124:
	s_wait_xcnt 0x0
	v_bfe_u32 v1, v2, 16, 1
	v_cmp_o_f32_e32 vcc_lo, v2, v2
	s_mov_b32 s29, -1
	s_mov_b32 s0, 0
	s_delay_alu instid0(VALU_DEP_2) | instskip(NEXT) | instid1(VALU_DEP_1)
	v_add3_u32 v1, v2, v1, 0x7fff
	v_lshrrev_b32_e32 v1, 16, v1
	s_delay_alu instid0(VALU_DEP_1)
	v_cndmask_b32_e32 v1, 0x7fc0, v1, vcc_lo
	global_store_b16 v[4:5], v1, off
.LBB223_125:
	s_mov_b32 s30, 0
.LBB223_126:
	s_delay_alu instid0(SALU_CYCLE_1)
	s_and_b32 vcc_lo, exec_lo, s30
	s_cbranch_vccz .LBB223_129
; %bb.127:
	s_cmp_eq_u32 s28, 11
	s_mov_b32 s0, -1
	s_cbranch_scc0 .LBB223_129
; %bb.128:
	v_cmp_neq_f32_e32 vcc_lo, 0, v2
	s_mov_b32 s0, 0
	s_mov_b32 s29, -1
	s_wait_xcnt 0x0
	v_cndmask_b32_e64 v1, 0, 1, vcc_lo
	global_store_b8 v[4:5], v1, off
.LBB223_129:
	s_branch .LBB223_50
.LBB223_130:
	s_and_b32 s27, 0xffff, s27
	s_mov_b32 s28, -1
	s_cmp_lt_i32 s27, 5
	s_cbranch_scc1 .LBB223_151
; %bb.131:
	s_cmp_lt_i32 s27, 8
	s_cbranch_scc1 .LBB223_141
; %bb.132:
	;; [unrolled: 3-line block ×3, first 2 shown]
	s_cmp_gt_i32 s27, 9
	s_cbranch_scc0 .LBB223_135
; %bb.134:
	s_wait_xcnt 0x0
	v_cvt_f64_f32_e32 v[6:7], v2
	v_mov_b32_e32 v8, 0
	s_mov_b32 s28, 0
	s_delay_alu instid0(VALU_DEP_1)
	v_mov_b32_e32 v9, v8
	global_store_b128 v[4:5], v[6:9], off
.LBB223_135:
	s_and_not1_b32 vcc_lo, exec_lo, s28
	s_cbranch_vccnz .LBB223_137
; %bb.136:
	s_wait_xcnt 0x0
	v_mov_b32_e32 v3, 0
	global_store_b64 v[4:5], v[2:3], off
.LBB223_137:
	s_mov_b32 s28, 0
.LBB223_138:
	s_delay_alu instid0(SALU_CYCLE_1)
	s_and_not1_b32 vcc_lo, exec_lo, s28
	s_cbranch_vccnz .LBB223_140
; %bb.139:
	s_wait_xcnt 0x0
	v_cvt_f16_f32_e32 v1, v2
	s_delay_alu instid0(VALU_DEP_1)
	v_and_b32_e32 v1, 0xffff, v1
	global_store_b32 v[4:5], v1, off
.LBB223_140:
	s_mov_b32 s28, 0
.LBB223_141:
	s_delay_alu instid0(SALU_CYCLE_1)
	s_and_not1_b32 vcc_lo, exec_lo, s28
	s_cbranch_vccnz .LBB223_150
; %bb.142:
	s_cmp_lt_i32 s27, 6
	s_mov_b32 s28, -1
	s_cbranch_scc1 .LBB223_148
; %bb.143:
	s_cmp_gt_i32 s27, 6
	s_cbranch_scc0 .LBB223_145
; %bb.144:
	s_wait_xcnt 0x0
	v_cvt_f64_f32_e32 v[6:7], v2
	s_mov_b32 s28, 0
	global_store_b64 v[4:5], v[6:7], off
.LBB223_145:
	s_and_not1_b32 vcc_lo, exec_lo, s28
	s_cbranch_vccnz .LBB223_147
; %bb.146:
	global_store_b32 v[4:5], v2, off
.LBB223_147:
	s_mov_b32 s28, 0
.LBB223_148:
	s_delay_alu instid0(SALU_CYCLE_1)
	s_and_not1_b32 vcc_lo, exec_lo, s28
	s_cbranch_vccnz .LBB223_150
; %bb.149:
	s_wait_xcnt 0x0
	v_cvt_f16_f32_e32 v1, v2
	global_store_b16 v[4:5], v1, off
.LBB223_150:
	s_mov_b32 s28, 0
.LBB223_151:
	s_delay_alu instid0(SALU_CYCLE_1)
	s_and_not1_b32 vcc_lo, exec_lo, s28
	s_cbranch_vccnz .LBB223_167
; %bb.152:
	s_cmp_lt_i32 s27, 2
	s_mov_b32 s28, -1
	s_cbranch_scc1 .LBB223_162
; %bb.153:
	s_cmp_lt_i32 s27, 3
	s_cbranch_scc1 .LBB223_159
; %bb.154:
	s_cmp_gt_i32 s27, 3
	s_cbranch_scc0 .LBB223_156
; %bb.155:
	s_wait_xcnt 0x0
	v_trunc_f32_e32 v1, v2
	s_mov_b32 s28, 0
	s_delay_alu instid0(VALU_DEP_1) | instskip(SKIP_1) | instid1(VALU_DEP_2)
	v_mul_f32_e64 v3, 0x2f800000, |v1|
	v_ashrrev_i32_e32 v6, 31, v1
	v_floor_f32_e32 v3, v3
	s_delay_alu instid0(VALU_DEP_1) | instskip(SKIP_1) | instid1(VALU_DEP_2)
	v_fma_f32 v7, 0xcf800000, v3, |v1|
	v_cvt_u32_f32_e32 v1, v3
	v_cvt_u32_f32_e32 v3, v7
	s_delay_alu instid0(VALU_DEP_2) | instskip(NEXT) | instid1(VALU_DEP_2)
	v_dual_mov_b32 v7, v6 :: v_dual_bitop2_b32 v9, v1, v6 bitop3:0x14
	v_xor_b32_e32 v8, v3, v6
	s_delay_alu instid0(VALU_DEP_1)
	v_sub_nc_u64_e32 v[6:7], v[8:9], v[6:7]
	global_store_b64 v[4:5], v[6:7], off
.LBB223_156:
	s_and_not1_b32 vcc_lo, exec_lo, s28
	s_cbranch_vccnz .LBB223_158
; %bb.157:
	s_wait_xcnt 0x0
	v_cvt_i32_f32_e32 v1, v2
	global_store_b32 v[4:5], v1, off
.LBB223_158:
	s_mov_b32 s28, 0
.LBB223_159:
	s_delay_alu instid0(SALU_CYCLE_1)
	s_and_not1_b32 vcc_lo, exec_lo, s28
	s_cbranch_vccnz .LBB223_161
; %bb.160:
	s_wait_xcnt 0x0
	v_cvt_i32_f32_e32 v1, v2
	global_store_b16 v[4:5], v1, off
.LBB223_161:
	s_mov_b32 s28, 0
.LBB223_162:
	s_delay_alu instid0(SALU_CYCLE_1)
	s_and_not1_b32 vcc_lo, exec_lo, s28
	s_cbranch_vccnz .LBB223_167
; %bb.163:
	s_cmp_gt_i32 s27, 0
	s_mov_b32 s27, -1
	s_cbranch_scc0 .LBB223_165
; %bb.164:
	s_wait_xcnt 0x0
	v_cvt_i32_f32_e32 v1, v2
	s_mov_b32 s27, 0
	global_store_b8 v[4:5], v1, off
.LBB223_165:
	s_and_not1_b32 vcc_lo, exec_lo, s27
	s_cbranch_vccnz .LBB223_167
; %bb.166:
	s_wait_xcnt 0x0
	v_trunc_f32_e32 v1, v2
	s_delay_alu instid0(VALU_DEP_1) | instskip(NEXT) | instid1(VALU_DEP_1)
	v_mul_f32_e64 v2, 0x2f800000, |v1|
	v_floor_f32_e32 v2, v2
	s_delay_alu instid0(VALU_DEP_1) | instskip(SKIP_1) | instid1(VALU_DEP_2)
	v_fma_f32 v2, 0xcf800000, v2, |v1|
	v_ashrrev_i32_e32 v1, 31, v1
	v_cvt_u32_f32_e32 v2, v2
	s_delay_alu instid0(VALU_DEP_1) | instskip(NEXT) | instid1(VALU_DEP_1)
	v_xor_b32_e32 v2, v2, v1
	v_sub_nc_u32_e32 v1, v2, v1
	global_store_b8 v[4:5], v1, off
.LBB223_167:
.LBB223_168:
	v_add_nc_u32_e32 v0, 0x80, v0
	s_mov_b32 s27, -1
	s_branch .LBB223_279
.LBB223_169:
	s_mov_b32 s26, -1
                                        ; implicit-def: $vgpr2
.LBB223_170:
	s_mov_b32 s28, 0
.LBB223_171:
	s_delay_alu instid0(SALU_CYCLE_1)
	s_and_b32 vcc_lo, exec_lo, s28
	s_cbranch_vccz .LBB223_175
; %bb.172:
	s_cmp_eq_u32 s0, 29
	s_cbranch_scc0 .LBB223_174
; %bb.173:
	global_load_b64 v[2:3], v[6:7], off
	s_mov_b32 s27, -1
	s_mov_b32 s26, 0
	s_mov_b32 s28, 0
	s_wait_loadcnt 0x0
	v_clz_i32_u32_e32 v1, v3
	s_delay_alu instid0(VALU_DEP_1) | instskip(NEXT) | instid1(VALU_DEP_1)
	v_min_u32_e32 v1, 32, v1
	v_lshlrev_b64_e32 v[2:3], v1, v[2:3]
	v_sub_nc_u32_e32 v1, 32, v1
	s_delay_alu instid0(VALU_DEP_2) | instskip(NEXT) | instid1(VALU_DEP_1)
	v_min_u32_e32 v2, 1, v2
	v_or_b32_e32 v2, v3, v2
	s_delay_alu instid0(VALU_DEP_1) | instskip(NEXT) | instid1(VALU_DEP_1)
	v_cvt_f32_u32_e32 v2, v2
	v_ldexp_f32 v2, v2, v1
	s_branch .LBB223_176
.LBB223_174:
	s_mov_b32 s26, -1
                                        ; implicit-def: $vgpr2
.LBB223_175:
	s_mov_b32 s28, 0
.LBB223_176:
	s_delay_alu instid0(SALU_CYCLE_1)
	s_and_b32 vcc_lo, exec_lo, s28
	s_cbranch_vccz .LBB223_194
; %bb.177:
	s_cmp_lt_i32 s0, 27
	s_cbranch_scc1 .LBB223_180
; %bb.178:
	s_cmp_gt_i32 s0, 27
	s_cbranch_scc0 .LBB223_181
; %bb.179:
	global_load_b32 v1, v[6:7], off
	s_mov_b32 s27, 0
	s_wait_loadcnt 0x0
	v_cvt_f32_u32_e32 v2, v1
	s_branch .LBB223_182
.LBB223_180:
	s_mov_b32 s27, -1
                                        ; implicit-def: $vgpr2
	s_branch .LBB223_185
.LBB223_181:
	s_mov_b32 s27, -1
                                        ; implicit-def: $vgpr2
.LBB223_182:
	s_delay_alu instid0(SALU_CYCLE_1)
	s_and_not1_b32 vcc_lo, exec_lo, s27
	s_cbranch_vccnz .LBB223_184
; %bb.183:
	global_load_u16 v1, v[6:7], off
	s_wait_loadcnt 0x0
	v_cvt_f32_u32_e32 v2, v1
.LBB223_184:
	s_mov_b32 s27, 0
.LBB223_185:
	s_delay_alu instid0(SALU_CYCLE_1)
	s_and_not1_b32 vcc_lo, exec_lo, s27
	s_cbranch_vccnz .LBB223_193
; %bb.186:
	global_load_u8 v1, v[6:7], off
	s_mov_b32 s27, 0
	s_mov_b32 s28, exec_lo
	s_wait_loadcnt 0x0
	v_cmpx_lt_i16_e32 0x7f, v1
	s_xor_b32 s28, exec_lo, s28
	s_cbranch_execz .LBB223_206
; %bb.187:
	s_mov_b32 s27, -1
	s_mov_b32 s29, exec_lo
	v_cmpx_eq_u16_e32 0x80, v1
; %bb.188:
	s_xor_b32 s27, exec_lo, -1
; %bb.189:
	s_or_b32 exec_lo, exec_lo, s29
	s_delay_alu instid0(SALU_CYCLE_1)
	s_and_b32 s27, s27, exec_lo
	s_or_saveexec_b32 s28, s28
	v_mov_b32_e32 v2, 0x7f800001
	s_xor_b32 exec_lo, exec_lo, s28
	s_cbranch_execnz .LBB223_207
.LBB223_190:
	s_or_b32 exec_lo, exec_lo, s28
	s_and_saveexec_b32 s28, s27
	s_cbranch_execz .LBB223_192
.LBB223_191:
	v_and_b32_e32 v2, 0xffff, v1
	s_delay_alu instid0(VALU_DEP_1) | instskip(SKIP_1) | instid1(VALU_DEP_2)
	v_and_b32_e32 v3, 7, v2
	v_bfe_u32 v9, v2, 3, 4
	v_clz_i32_u32_e32 v5, v3
	s_delay_alu instid0(VALU_DEP_2) | instskip(NEXT) | instid1(VALU_DEP_2)
	v_cmp_eq_u32_e32 vcc_lo, 0, v9
	v_min_u32_e32 v5, 32, v5
	s_delay_alu instid0(VALU_DEP_1) | instskip(NEXT) | instid1(VALU_DEP_1)
	v_subrev_nc_u32_e32 v8, 28, v5
	v_dual_lshlrev_b32 v2, v8, v2 :: v_dual_sub_nc_u32 v5, 29, v5
	s_delay_alu instid0(VALU_DEP_1) | instskip(NEXT) | instid1(VALU_DEP_1)
	v_dual_lshlrev_b32 v1, 24, v1 :: v_dual_bitop2_b32 v2, 7, v2 bitop3:0x40
	v_dual_cndmask_b32 v2, v3, v2 :: v_dual_cndmask_b32 v5, v9, v5
	s_delay_alu instid0(VALU_DEP_2) | instskip(NEXT) | instid1(VALU_DEP_2)
	v_and_b32_e32 v1, 0x80000000, v1
	v_lshlrev_b32_e32 v2, 20, v2
	s_delay_alu instid0(VALU_DEP_3) | instskip(NEXT) | instid1(VALU_DEP_1)
	v_lshl_add_u32 v3, v5, 23, 0x3b800000
	v_or3_b32 v2, v1, v3, v2
.LBB223_192:
	s_or_b32 exec_lo, exec_lo, s28
.LBB223_193:
	s_mov_b32 s27, -1
.LBB223_194:
	s_branch .LBB223_229
.LBB223_195:
	s_cmp_gt_i32 s0, 22
	s_cbranch_scc0 .LBB223_205
; %bb.196:
	s_cmp_lt_i32 s0, 24
	s_cbranch_scc1 .LBB223_208
; %bb.197:
	s_cmp_gt_i32 s0, 24
	s_cbranch_scc0 .LBB223_209
; %bb.198:
	global_load_u8 v1, v[6:7], off
	s_mov_b32 s27, 0
	s_mov_b32 s28, exec_lo
	s_wait_loadcnt 0x0
	v_cmpx_lt_i16_e32 0x7f, v1
	s_xor_b32 s28, exec_lo, s28
	s_cbranch_execz .LBB223_221
; %bb.199:
	s_mov_b32 s27, -1
	s_mov_b32 s29, exec_lo
	v_cmpx_eq_u16_e32 0x80, v1
; %bb.200:
	s_xor_b32 s27, exec_lo, -1
; %bb.201:
	s_or_b32 exec_lo, exec_lo, s29
	s_delay_alu instid0(SALU_CYCLE_1)
	s_and_b32 s27, s27, exec_lo
	s_or_saveexec_b32 s28, s28
	v_mov_b32_e32 v2, 0x7f800001
	s_xor_b32 exec_lo, exec_lo, s28
	s_cbranch_execnz .LBB223_222
.LBB223_202:
	s_or_b32 exec_lo, exec_lo, s28
	s_and_saveexec_b32 s28, s27
	s_cbranch_execz .LBB223_204
.LBB223_203:
	v_and_b32_e32 v2, 0xffff, v1
	s_delay_alu instid0(VALU_DEP_1) | instskip(SKIP_1) | instid1(VALU_DEP_2)
	v_and_b32_e32 v3, 3, v2
	v_bfe_u32 v9, v2, 2, 5
	v_clz_i32_u32_e32 v5, v3
	s_delay_alu instid0(VALU_DEP_2) | instskip(NEXT) | instid1(VALU_DEP_2)
	v_cmp_eq_u32_e32 vcc_lo, 0, v9
	v_min_u32_e32 v5, 32, v5
	s_delay_alu instid0(VALU_DEP_1) | instskip(NEXT) | instid1(VALU_DEP_1)
	v_subrev_nc_u32_e32 v8, 29, v5
	v_dual_lshlrev_b32 v2, v8, v2 :: v_dual_sub_nc_u32 v5, 30, v5
	s_delay_alu instid0(VALU_DEP_1) | instskip(NEXT) | instid1(VALU_DEP_1)
	v_dual_lshlrev_b32 v1, 24, v1 :: v_dual_bitop2_b32 v2, 3, v2 bitop3:0x40
	v_dual_cndmask_b32 v2, v3, v2 :: v_dual_cndmask_b32 v5, v9, v5
	s_delay_alu instid0(VALU_DEP_2) | instskip(NEXT) | instid1(VALU_DEP_2)
	v_and_b32_e32 v1, 0x80000000, v1
	v_lshlrev_b32_e32 v2, 21, v2
	s_delay_alu instid0(VALU_DEP_3) | instskip(NEXT) | instid1(VALU_DEP_1)
	v_lshl_add_u32 v3, v5, 23, 0x37800000
	v_or3_b32 v2, v1, v3, v2
.LBB223_204:
	s_or_b32 exec_lo, exec_lo, s28
	s_mov_b32 s27, 0
	s_branch .LBB223_210
.LBB223_205:
	s_mov_b32 s28, -1
                                        ; implicit-def: $vgpr2
	s_branch .LBB223_216
.LBB223_206:
	s_or_saveexec_b32 s28, s28
	v_mov_b32_e32 v2, 0x7f800001
	s_xor_b32 exec_lo, exec_lo, s28
	s_cbranch_execz .LBB223_190
.LBB223_207:
	v_cmp_ne_u16_e32 vcc_lo, 0, v1
	v_mov_b32_e32 v2, 0
	s_and_not1_b32 s27, s27, exec_lo
	s_and_b32 s29, vcc_lo, exec_lo
	s_delay_alu instid0(SALU_CYCLE_1)
	s_or_b32 s27, s27, s29
	s_or_b32 exec_lo, exec_lo, s28
	s_and_saveexec_b32 s28, s27
	s_cbranch_execnz .LBB223_191
	s_branch .LBB223_192
.LBB223_208:
	s_mov_b32 s27, -1
                                        ; implicit-def: $vgpr2
	s_branch .LBB223_213
.LBB223_209:
	s_mov_b32 s27, -1
                                        ; implicit-def: $vgpr2
.LBB223_210:
	s_delay_alu instid0(SALU_CYCLE_1)
	s_and_b32 vcc_lo, exec_lo, s27
	s_cbranch_vccz .LBB223_212
; %bb.211:
	global_load_u8 v1, v[6:7], off
	s_wait_loadcnt 0x0
	v_lshlrev_b32_e32 v1, 24, v1
	s_delay_alu instid0(VALU_DEP_1) | instskip(NEXT) | instid1(VALU_DEP_1)
	v_and_b32_e32 v2, 0x7f000000, v1
	v_clz_i32_u32_e32 v3, v2
	v_add_nc_u32_e32 v8, 0x1000000, v2
	v_cmp_ne_u32_e32 vcc_lo, 0, v2
	s_delay_alu instid0(VALU_DEP_3) | instskip(NEXT) | instid1(VALU_DEP_1)
	v_min_u32_e32 v3, 32, v3
	v_sub_nc_u32_e64 v3, v3, 4 clamp
	s_delay_alu instid0(VALU_DEP_1) | instskip(NEXT) | instid1(VALU_DEP_1)
	v_dual_lshlrev_b32 v5, v3, v2 :: v_dual_lshlrev_b32 v3, 23, v3
	v_lshrrev_b32_e32 v5, 4, v5
	s_delay_alu instid0(VALU_DEP_1) | instskip(NEXT) | instid1(VALU_DEP_1)
	v_dual_sub_nc_u32 v3, v5, v3 :: v_dual_ashrrev_i32 v5, 8, v8
	v_add_nc_u32_e32 v3, 0x3c000000, v3
	s_delay_alu instid0(VALU_DEP_1) | instskip(NEXT) | instid1(VALU_DEP_1)
	v_and_or_b32 v3, 0x7f800000, v5, v3
	v_cndmask_b32_e32 v2, 0, v3, vcc_lo
	s_delay_alu instid0(VALU_DEP_1)
	v_and_or_b32 v2, 0x80000000, v1, v2
.LBB223_212:
	s_mov_b32 s27, 0
.LBB223_213:
	s_delay_alu instid0(SALU_CYCLE_1)
	s_and_not1_b32 vcc_lo, exec_lo, s27
	s_cbranch_vccnz .LBB223_215
; %bb.214:
	global_load_u8 v1, v[6:7], off
	s_wait_loadcnt 0x0
	v_lshlrev_b32_e32 v2, 25, v1
	v_lshlrev_b16 v1, 8, v1
	s_delay_alu instid0(VALU_DEP_1) | instskip(NEXT) | instid1(VALU_DEP_3)
	v_and_or_b32 v5, 0x7f00, v1, 0.5
	v_lshrrev_b32_e32 v3, 4, v2
	v_bfe_i32 v1, v1, 0, 16
	s_delay_alu instid0(VALU_DEP_3) | instskip(NEXT) | instid1(VALU_DEP_3)
	v_add_f32_e32 v5, -0.5, v5
	v_or_b32_e32 v3, 0x70000000, v3
	s_delay_alu instid0(VALU_DEP_1) | instskip(SKIP_1) | instid1(VALU_DEP_2)
	v_mul_f32_e32 v3, 0x7800000, v3
	v_cmp_gt_u32_e32 vcc_lo, 0x8000000, v2
	v_cndmask_b32_e32 v2, v3, v5, vcc_lo
	s_delay_alu instid0(VALU_DEP_1)
	v_and_or_b32 v2, 0x80000000, v1, v2
.LBB223_215:
	s_mov_b32 s28, 0
	s_mov_b32 s27, -1
.LBB223_216:
	s_and_not1_b32 vcc_lo, exec_lo, s28
	s_cbranch_vccnz .LBB223_229
; %bb.217:
	s_cmp_gt_i32 s0, 14
	s_cbranch_scc0 .LBB223_220
; %bb.218:
	s_cmp_eq_u32 s0, 15
	s_cbranch_scc0 .LBB223_223
; %bb.219:
	global_load_u16 v1, v[6:7], off
	s_mov_b32 s27, -1
	s_mov_b32 s26, 0
	s_wait_loadcnt 0x0
	v_lshlrev_b32_e32 v2, 16, v1
	s_branch .LBB223_224
.LBB223_220:
	s_mov_b32 s28, -1
                                        ; implicit-def: $vgpr2
	s_branch .LBB223_225
.LBB223_221:
	s_or_saveexec_b32 s28, s28
	v_mov_b32_e32 v2, 0x7f800001
	s_xor_b32 exec_lo, exec_lo, s28
	s_cbranch_execz .LBB223_202
.LBB223_222:
	v_cmp_ne_u16_e32 vcc_lo, 0, v1
	v_mov_b32_e32 v2, 0
	s_and_not1_b32 s27, s27, exec_lo
	s_and_b32 s29, vcc_lo, exec_lo
	s_delay_alu instid0(SALU_CYCLE_1)
	s_or_b32 s27, s27, s29
	s_or_b32 exec_lo, exec_lo, s28
	s_and_saveexec_b32 s28, s27
	s_cbranch_execnz .LBB223_203
	s_branch .LBB223_204
.LBB223_223:
	s_mov_b32 s26, -1
                                        ; implicit-def: $vgpr2
.LBB223_224:
	s_mov_b32 s28, 0
.LBB223_225:
	s_delay_alu instid0(SALU_CYCLE_1)
	s_and_b32 vcc_lo, exec_lo, s28
	s_cbranch_vccz .LBB223_229
; %bb.226:
	s_cmp_eq_u32 s0, 11
	s_cbranch_scc0 .LBB223_228
; %bb.227:
	global_load_u8 v1, v[6:7], off
	s_mov_b32 s26, 0
	s_mov_b32 s27, -1
	s_wait_loadcnt 0x0
	v_cmp_ne_u16_e32 vcc_lo, 0, v1
	v_cndmask_b32_e64 v2, 0, 1.0, vcc_lo
	s_branch .LBB223_229
.LBB223_228:
	s_mov_b32 s26, -1
                                        ; implicit-def: $vgpr2
.LBB223_229:
	s_branch .LBB223_25
.LBB223_230:
	s_cmp_lt_i32 s0, 5
	s_cbranch_scc1 .LBB223_235
; %bb.231:
	s_cmp_lt_i32 s0, 8
	s_cbranch_scc1 .LBB223_236
; %bb.232:
	s_cmp_lt_i32 s0, 9
	s_cbranch_scc1 .LBB223_237
; %bb.233:
	s_cmp_gt_i32 s0, 9
	s_cbranch_scc0 .LBB223_238
; %bb.234:
	global_load_b64 v[2:3], v[6:7], off
	s_mov_b32 s27, 0
	s_wait_loadcnt 0x0
	v_cvt_f32_f64_e32 v2, v[2:3]
	s_branch .LBB223_239
.LBB223_235:
                                        ; implicit-def: $vgpr2
	s_branch .LBB223_257
.LBB223_236:
	s_mov_b32 s27, -1
                                        ; implicit-def: $vgpr2
	s_branch .LBB223_245
.LBB223_237:
	s_mov_b32 s27, -1
                                        ; implicit-def: $vgpr2
	s_branch .LBB223_242
.LBB223_238:
	s_mov_b32 s27, -1
                                        ; implicit-def: $vgpr2
.LBB223_239:
	s_delay_alu instid0(SALU_CYCLE_1)
	s_and_not1_b32 vcc_lo, exec_lo, s27
	s_cbranch_vccnz .LBB223_241
; %bb.240:
	global_load_b32 v2, v[6:7], off
.LBB223_241:
	s_mov_b32 s27, 0
.LBB223_242:
	s_delay_alu instid0(SALU_CYCLE_1)
	s_and_not1_b32 vcc_lo, exec_lo, s27
	s_cbranch_vccnz .LBB223_244
; %bb.243:
	global_load_b32 v1, v[6:7], off
	s_wait_loadcnt 0x0
	v_cvt_f32_f16_e32 v2, v1
.LBB223_244:
	s_mov_b32 s27, 0
.LBB223_245:
	s_delay_alu instid0(SALU_CYCLE_1)
	s_and_not1_b32 vcc_lo, exec_lo, s27
	s_cbranch_vccnz .LBB223_256
; %bb.246:
	s_cmp_lt_i32 s0, 6
	s_cbranch_scc1 .LBB223_249
; %bb.247:
	s_cmp_gt_i32 s0, 6
	s_cbranch_scc0 .LBB223_250
; %bb.248:
	s_wait_loadcnt 0x0
	global_load_b64 v[2:3], v[6:7], off
	s_mov_b32 s27, 0
	s_wait_loadcnt 0x0
	v_cvt_f32_f64_e32 v2, v[2:3]
	s_branch .LBB223_251
.LBB223_249:
	s_mov_b32 s27, -1
                                        ; implicit-def: $vgpr2
	s_branch .LBB223_254
.LBB223_250:
	s_mov_b32 s27, -1
                                        ; implicit-def: $vgpr2
.LBB223_251:
	s_delay_alu instid0(SALU_CYCLE_1)
	s_and_not1_b32 vcc_lo, exec_lo, s27
	s_cbranch_vccnz .LBB223_253
; %bb.252:
	s_wait_loadcnt 0x0
	global_load_b32 v2, v[6:7], off
.LBB223_253:
	s_mov_b32 s27, 0
.LBB223_254:
	s_delay_alu instid0(SALU_CYCLE_1)
	s_and_not1_b32 vcc_lo, exec_lo, s27
	s_cbranch_vccnz .LBB223_256
; %bb.255:
	global_load_u16 v1, v[6:7], off
	s_wait_loadcnt 0x0
	v_cvt_f32_f16_e32 v2, v1
.LBB223_256:
	s_cbranch_execnz .LBB223_276
.LBB223_257:
	s_cmp_lt_i32 s0, 2
	s_cbranch_scc1 .LBB223_261
; %bb.258:
	s_cmp_lt_i32 s0, 3
	s_cbranch_scc1 .LBB223_262
; %bb.259:
	s_cmp_gt_i32 s0, 3
	s_cbranch_scc0 .LBB223_263
; %bb.260:
	s_wait_loadcnt 0x0
	global_load_b64 v[2:3], v[6:7], off
	s_mov_b32 s27, 0
	s_wait_loadcnt 0x0
	v_xor_b32_e32 v1, v2, v3
	v_cls_i32_e32 v5, v3
	s_delay_alu instid0(VALU_DEP_2) | instskip(NEXT) | instid1(VALU_DEP_1)
	v_ashrrev_i32_e32 v1, 31, v1
	v_add_nc_u32_e32 v1, 32, v1
	s_delay_alu instid0(VALU_DEP_1) | instskip(NEXT) | instid1(VALU_DEP_1)
	v_add_min_u32_e64 v1, v5, -1, v1
	v_lshlrev_b64_e32 v[2:3], v1, v[2:3]
	v_sub_nc_u32_e32 v1, 32, v1
	s_delay_alu instid0(VALU_DEP_2) | instskip(NEXT) | instid1(VALU_DEP_1)
	v_min_u32_e32 v2, 1, v2
	v_or_b32_e32 v2, v3, v2
	s_delay_alu instid0(VALU_DEP_1) | instskip(NEXT) | instid1(VALU_DEP_1)
	v_cvt_f32_i32_e32 v2, v2
	v_ldexp_f32 v2, v2, v1
	s_branch .LBB223_264
.LBB223_261:
	s_mov_b32 s27, -1
                                        ; implicit-def: $vgpr2
	s_branch .LBB223_270
.LBB223_262:
	s_mov_b32 s27, -1
                                        ; implicit-def: $vgpr2
	s_branch .LBB223_267
.LBB223_263:
	s_mov_b32 s27, -1
                                        ; implicit-def: $vgpr2
.LBB223_264:
	s_delay_alu instid0(SALU_CYCLE_1)
	s_and_not1_b32 vcc_lo, exec_lo, s27
	s_cbranch_vccnz .LBB223_266
; %bb.265:
	global_load_b32 v1, v[6:7], off
	s_wait_loadcnt 0x0
	v_cvt_f32_i32_e32 v2, v1
.LBB223_266:
	s_mov_b32 s27, 0
.LBB223_267:
	s_delay_alu instid0(SALU_CYCLE_1)
	s_and_not1_b32 vcc_lo, exec_lo, s27
	s_cbranch_vccnz .LBB223_269
; %bb.268:
	global_load_i16 v1, v[6:7], off
	s_wait_loadcnt 0x0
	v_cvt_f32_i32_e32 v2, v1
.LBB223_269:
	s_mov_b32 s27, 0
.LBB223_270:
	s_delay_alu instid0(SALU_CYCLE_1)
	s_and_not1_b32 vcc_lo, exec_lo, s27
	s_cbranch_vccnz .LBB223_276
; %bb.271:
	s_cmp_gt_i32 s0, 0
	s_mov_b32 s0, 0
	s_cbranch_scc0 .LBB223_273
; %bb.272:
	global_load_i8 v1, v[6:7], off
	s_wait_loadcnt 0x0
	v_cvt_f32_i32_e32 v2, v1
	s_branch .LBB223_274
.LBB223_273:
	s_mov_b32 s0, -1
                                        ; implicit-def: $vgpr2
.LBB223_274:
	s_delay_alu instid0(SALU_CYCLE_1)
	s_and_not1_b32 vcc_lo, exec_lo, s0
	s_cbranch_vccnz .LBB223_276
; %bb.275:
	global_load_u8 v1, v[6:7], off
	s_wait_loadcnt 0x0
	v_cvt_f32_ubyte0_e32 v2, v1
.LBB223_276:
	s_branch .LBB223_26
.LBB223_277:
	s_mov_b32 s0, 0
.LBB223_278:
	s_mov_b32 s27, 0
                                        ; implicit-def: $vgpr0
.LBB223_279:
	s_and_b32 s42, s0, exec_lo
	s_and_b32 s43, s26, exec_lo
	s_or_not1_b32 s27, s27, exec_lo
.LBB223_280:
	s_wait_xcnt 0x0
	s_or_b32 exec_lo, exec_lo, s44
	s_mov_b32 s26, 0
	s_mov_b32 s0, 0
                                        ; implicit-def: $vgpr6_vgpr7
                                        ; implicit-def: $vgpr4
                                        ; implicit-def: $vgpr2
	s_and_saveexec_b32 s44, s27
	s_cbranch_execz .LBB223_288
; %bb.281:
	s_mov_b32 s0, -1
	s_mov_b32 s45, s43
	s_mov_b32 s46, s42
	s_mov_b32 s47, exec_lo
	v_cmpx_gt_i32_e64 s39, v0
	s_cbranch_execz .LBB223_573
; %bb.282:
	s_and_not1_b32 vcc_lo, exec_lo, s36
	s_cbranch_vccnz .LBB223_291
; %bb.283:
	s_and_not1_b32 vcc_lo, exec_lo, s41
	s_cbranch_vccnz .LBB223_292
; %bb.284:
	s_add_co_i32 s0, s40, 1
	s_cmp_eq_u32 s34, 2
	s_cbranch_scc1 .LBB223_293
; %bb.285:
	s_wait_loadcnt 0x0
	v_dual_mov_b32 v4, 0 :: v_dual_mov_b32 v2, 0
	v_mov_b32_e32 v1, v0
	s_and_b32 s26, s0, 28
	s_mov_b32 s27, 0
	s_mov_b64 s[28:29], s[2:3]
	s_mov_b64 s[30:31], s[24:25]
.LBB223_286:                            ; =>This Inner Loop Header: Depth=1
	s_clause 0x1
	s_load_b256 s[48:55], s[28:29], 0x4
	s_load_b128 s[64:67], s[28:29], 0x24
	s_load_b256 s[56:63], s[30:31], 0x0
	s_add_co_i32 s27, s27, 4
	s_wait_xcnt 0x0
	s_add_nc_u64 s[28:29], s[28:29], 48
	s_cmp_eq_u32 s26, s27
	s_add_nc_u64 s[30:31], s[30:31], 32
	s_wait_kmcnt 0x0
	v_mul_hi_u32 v3, s49, v1
	s_delay_alu instid0(VALU_DEP_1) | instskip(NEXT) | instid1(VALU_DEP_1)
	v_add_nc_u32_e32 v3, v1, v3
	v_lshrrev_b32_e32 v3, s50, v3
	s_delay_alu instid0(VALU_DEP_1) | instskip(NEXT) | instid1(VALU_DEP_1)
	v_mul_hi_u32 v5, s52, v3
	v_add_nc_u32_e32 v5, v3, v5
	s_delay_alu instid0(VALU_DEP_1) | instskip(NEXT) | instid1(VALU_DEP_1)
	v_lshrrev_b32_e32 v5, s53, v5
	v_mul_hi_u32 v6, s55, v5
	s_delay_alu instid0(VALU_DEP_1) | instskip(SKIP_1) | instid1(VALU_DEP_1)
	v_add_nc_u32_e32 v6, v5, v6
	v_mul_lo_u32 v7, v3, s48
	v_sub_nc_u32_e32 v1, v1, v7
	v_mul_lo_u32 v7, v5, s51
	s_delay_alu instid0(VALU_DEP_4) | instskip(NEXT) | instid1(VALU_DEP_3)
	v_lshrrev_b32_e32 v6, s64, v6
	v_mad_u32 v2, v1, s57, v2
	v_mad_u32 v1, v1, s56, v4
	s_delay_alu instid0(VALU_DEP_4) | instskip(NEXT) | instid1(VALU_DEP_4)
	v_sub_nc_u32_e32 v3, v3, v7
	v_mul_hi_u32 v8, s66, v6
	v_mul_lo_u32 v4, v6, s54
	s_delay_alu instid0(VALU_DEP_3) | instskip(SKIP_1) | instid1(VALU_DEP_4)
	v_mad_u32 v2, v3, s59, v2
	v_mad_u32 v3, v3, s58, v1
	v_add_nc_u32_e32 v7, v6, v8
	s_delay_alu instid0(VALU_DEP_1) | instskip(NEXT) | instid1(VALU_DEP_1)
	v_dual_sub_nc_u32 v4, v5, v4 :: v_dual_lshrrev_b32 v1, s67, v7
	v_mad_u32 v2, v4, s61, v2
	s_delay_alu instid0(VALU_DEP_4) | instskip(NEXT) | instid1(VALU_DEP_3)
	v_mad_u32 v3, v4, s60, v3
	v_mul_lo_u32 v5, v1, s65
	s_delay_alu instid0(VALU_DEP_1) | instskip(NEXT) | instid1(VALU_DEP_1)
	v_sub_nc_u32_e32 v4, v6, v5
	v_mad_u32 v2, v4, s63, v2
	s_delay_alu instid0(VALU_DEP_4)
	v_mad_u32 v4, v4, s62, v3
	s_cbranch_scc0 .LBB223_286
; %bb.287:
	s_delay_alu instid0(VALU_DEP_2)
	v_mov_b32_e32 v5, v2
	s_branch .LBB223_294
.LBB223_288:
	s_or_b32 exec_lo, exec_lo, s44
	s_mov_b32 s1, 0
	s_and_saveexec_b32 s6, s43
	s_cbranch_execnz .LBB223_969
.LBB223_289:
	s_or_b32 exec_lo, exec_lo, s6
	s_and_saveexec_b32 s6, s21
	s_delay_alu instid0(SALU_CYCLE_1)
	s_xor_b32 s6, exec_lo, s6
	s_cbranch_execz .LBB223_970
.LBB223_290:
	global_load_u8 v0, v[6:7], off
	s_or_b32 s0, s0, exec_lo
	s_wait_loadcnt 0x0
	v_cmp_ne_u16_e32 vcc_lo, 0, v0
	v_cndmask_b32_e64 v2, 0, 1.0, vcc_lo
	s_wait_xcnt 0x0
	s_or_b32 exec_lo, exec_lo, s6
	s_and_saveexec_b32 s6, s26
	s_cbranch_execz .LBB223_1016
	s_branch .LBB223_971
.LBB223_291:
                                        ; implicit-def: $vgpr2
                                        ; implicit-def: $vgpr4
	s_and_not1_b32 vcc_lo, exec_lo, s0
	s_cbranch_vccnz .LBB223_301
	s_branch .LBB223_299
.LBB223_292:
	s_wait_loadcnt 0x0
	v_dual_mov_b32 v2, 0 :: v_dual_mov_b32 v4, 0
	s_branch .LBB223_298
.LBB223_293:
	v_mov_b64_e32 v[4:5], 0
	v_mov_b32_e32 v1, v0
                                        ; implicit-def: $vgpr2
.LBB223_294:
	s_and_b32 s0, s0, 3
	s_mov_b32 s27, 0
	s_cmp_eq_u32 s0, 0
	s_cbranch_scc1 .LBB223_298
; %bb.295:
	s_lshl_b32 s28, s26, 3
	s_mov_b32 s29, s27
	s_mul_u64 s[30:31], s[26:27], 12
	s_add_nc_u64 s[28:29], s[2:3], s[28:29]
	s_delay_alu instid0(SALU_CYCLE_1)
	s_add_nc_u64 s[26:27], s[28:29], 0xc4
	s_add_nc_u64 s[28:29], s[2:3], s[30:31]
.LBB223_296:                            ; =>This Inner Loop Header: Depth=1
	s_load_b96 s[48:50], s[28:29], 0x4
	s_load_b64 s[30:31], s[26:27], 0x0
	s_add_co_i32 s0, s0, -1
	s_wait_xcnt 0x0
	s_add_nc_u64 s[28:29], s[28:29], 12
	s_cmp_lg_u32 s0, 0
	s_add_nc_u64 s[26:27], s[26:27], 8
	s_wait_loadcnt 0x0
	s_wait_kmcnt 0x0
	v_mul_hi_u32 v2, s49, v1
	s_delay_alu instid0(VALU_DEP_1) | instskip(NEXT) | instid1(VALU_DEP_1)
	v_add_nc_u32_e32 v2, v1, v2
	v_lshrrev_b32_e32 v2, s50, v2
	s_delay_alu instid0(VALU_DEP_1) | instskip(NEXT) | instid1(VALU_DEP_1)
	v_mul_lo_u32 v3, v2, s48
	v_sub_nc_u32_e32 v1, v1, v3
	s_delay_alu instid0(VALU_DEP_1)
	v_mad_u32 v5, v1, s31, v5
	v_mad_u32 v4, v1, s30, v4
	v_mov_b32_e32 v1, v2
	s_cbranch_scc1 .LBB223_296
; %bb.297:
	s_delay_alu instid0(VALU_DEP_3)
	v_mov_b32_e32 v2, v5
.LBB223_298:
	s_cbranch_execnz .LBB223_301
.LBB223_299:
	v_mov_b32_e32 v1, 0
	s_and_not1_b32 vcc_lo, exec_lo, s38
	s_wait_loadcnt 0x0
	s_delay_alu instid0(VALU_DEP_1) | instskip(NEXT) | instid1(VALU_DEP_1)
	v_mul_u64_e32 v[2:3], s[20:21], v[0:1]
	v_add_nc_u32_e32 v2, v0, v3
	s_delay_alu instid0(VALU_DEP_1) | instskip(NEXT) | instid1(VALU_DEP_1)
	v_lshrrev_b32_e32 v6, s14, v2
	v_mul_lo_u32 v2, v6, s12
	s_delay_alu instid0(VALU_DEP_1) | instskip(NEXT) | instid1(VALU_DEP_1)
	v_sub_nc_u32_e32 v3, v0, v2
	v_mul_lo_u32 v2, v3, s17
	v_mul_lo_u32 v4, v3, s16
	s_cbranch_vccnz .LBB223_301
; %bb.300:
	v_mov_b32_e32 v7, v1
	s_delay_alu instid0(VALU_DEP_1) | instskip(NEXT) | instid1(VALU_DEP_1)
	v_mul_u64_e32 v[8:9], s[22:23], v[6:7]
	v_add_nc_u32_e32 v1, v6, v9
	s_delay_alu instid0(VALU_DEP_1) | instskip(NEXT) | instid1(VALU_DEP_1)
	v_lshrrev_b32_e32 v1, s1, v1
	v_mul_lo_u32 v1, v1, s15
	s_delay_alu instid0(VALU_DEP_1) | instskip(NEXT) | instid1(VALU_DEP_1)
	v_sub_nc_u32_e32 v1, v6, v1
	v_mad_u32 v4, v1, s18, v4
	v_mad_u32 v2, v1, s19, v2
.LBB223_301:
	v_mov_b32_e32 v3, 0
	s_and_b32 s0, 0xffff, s13
	s_delay_alu instid0(SALU_CYCLE_1) | instskip(SKIP_1) | instid1(VALU_DEP_1)
	s_cmp_lt_i32 s0, 11
	s_wait_loadcnt 0x0
	v_add_nc_u64_e32 v[6:7], s[6:7], v[2:3]
	s_cbranch_scc1 .LBB223_308
; %bb.302:
	s_cmp_gt_i32 s0, 25
	s_cbranch_scc0 .LBB223_314
; %bb.303:
	s_cmp_gt_i32 s0, 28
	s_cbranch_scc0 .LBB223_315
; %bb.304:
	s_cmp_gt_i32 s0, 43
	s_cbranch_scc0 .LBB223_317
; %bb.305:
	s_cmp_gt_i32 s0, 45
	s_cbranch_scc0 .LBB223_339
; %bb.306:
	s_cmp_eq_u32 s0, 46
	s_mov_b32 s28, 0
	s_cbranch_scc0 .LBB223_343
; %bb.307:
	global_load_b32 v1, v[6:7], off
	s_mov_b32 s27, -1
	s_mov_b32 s26, 0
	s_wait_loadcnt 0x0
	v_lshlrev_b32_e32 v2, 16, v1
	s_branch .LBB223_345
.LBB223_308:
	s_mov_b32 s27, 0
	s_mov_b32 s26, s43
                                        ; implicit-def: $vgpr2
	s_cbranch_execnz .LBB223_522
.LBB223_309:
	s_and_not1_b32 vcc_lo, exec_lo, s27
	s_cbranch_vccnz .LBB223_570
.LBB223_310:
	s_mov_b32 s0, exec_lo
	s_wait_loadcnt 0x0
	s_delay_alu instid0(VALU_DEP_1)
	v_cmpx_o_f32_e32 v2, v2
	s_cbranch_execz .LBB223_325
; %bb.311:
	s_cmp_lt_i32 s8, 1
	s_mov_b32 s27, 0
	s_cbranch_scc1 .LBB223_316
; %bb.312:
	s_cmp_eq_u32 s8, 1
	s_cbranch_scc0 .LBB223_318
; %bb.313:
	v_max_num_f32_e64 v1, s9, s9
	v_max_num_f32_e32 v3, v2, v2
	s_mov_b32 s28, 0
	s_delay_alu instid0(VALU_DEP_1)
	v_min_num_f32_e32 v1, v3, v1
	s_branch .LBB223_319
.LBB223_314:
	s_mov_b32 s28, -1
	s_mov_b32 s27, 0
	s_mov_b32 s26, s43
                                        ; implicit-def: $vgpr2
	s_branch .LBB223_486
.LBB223_315:
	s_mov_b32 s28, -1
	s_mov_b32 s27, 0
	s_mov_b32 s26, s43
                                        ; implicit-def: $vgpr2
	s_branch .LBB223_467
.LBB223_316:
	s_mov_b32 s29, -1
	s_mov_b32 s28, 0
                                        ; implicit-def: $vgpr1
	s_branch .LBB223_320
.LBB223_317:
	s_mov_b32 s28, -1
	s_mov_b32 s27, 0
	s_mov_b32 s26, s43
                                        ; implicit-def: $vgpr2
	s_branch .LBB223_462
.LBB223_318:
	s_mov_b32 s28, -1
                                        ; implicit-def: $vgpr1
.LBB223_319:
	s_mov_b32 s29, 0
.LBB223_320:
	s_delay_alu instid0(SALU_CYCLE_1)
	s_and_b32 vcc_lo, exec_lo, s29
	s_cbranch_vccz .LBB223_332
; %bb.321:
	s_cmp_lg_u32 s8, 0
	s_mov_b32 s27, -1
	s_cselect_b32 s28, -1, 0
	s_delay_alu instid0(SALU_CYCLE_1)
	s_and_not1_b32 vcc_lo, exec_lo, s28
	s_cbranch_vccz .LBB223_333
.LBB223_322:
	s_and_not1_b32 vcc_lo, exec_lo, s27
	s_cbranch_vccnz .LBB223_324
.LBB223_323:
	v_max_num_f32_e64 v1, s9, s9
	v_max_num_f32_e32 v2, v2, v2
	s_delay_alu instid0(VALU_DEP_1)
	v_max_num_f32_e32 v1, v2, v1
.LBB223_324:
	s_delay_alu instid0(VALU_DEP_1)
	v_mov_b32_e32 v2, v1
.LBB223_325:
	s_or_b32 exec_lo, exec_lo, s0
	v_mov_b32_e32 v5, 0
	s_and_b32 s27, s11, 0xff
	s_delay_alu instid0(SALU_CYCLE_1) | instskip(NEXT) | instid1(VALU_DEP_1)
	s_cmp_lt_i32 s27, 11
	v_add_nc_u64_e32 v[4:5], s[4:5], v[4:5]
	s_cbranch_scc1 .LBB223_334
; %bb.326:
	s_and_b32 s28, 0xffff, s27
	s_delay_alu instid0(SALU_CYCLE_1)
	s_cmp_gt_i32 s28, 25
	s_cbranch_scc0 .LBB223_335
; %bb.327:
	s_cmp_gt_i32 s28, 28
	s_cbranch_scc0 .LBB223_336
; %bb.328:
	;; [unrolled: 3-line block ×4, first 2 shown]
	s_mov_b32 s30, 0
	s_mov_b32 s0, -1
	s_cmp_eq_u32 s28, 46
	s_mov_b32 s29, 0
	s_cbranch_scc0 .LBB223_349
; %bb.331:
	v_bfe_u32 v1, v2, 16, 1
	v_cmp_o_f32_e32 vcc_lo, v2, v2
	s_mov_b32 s29, -1
	s_mov_b32 s0, 0
	s_delay_alu instid0(VALU_DEP_2) | instskip(NEXT) | instid1(VALU_DEP_1)
	v_add3_u32 v1, v2, v1, 0x7fff
	v_lshrrev_b32_e32 v1, 16, v1
	s_delay_alu instid0(VALU_DEP_1)
	v_cndmask_b32_e32 v1, 0x7fc0, v1, vcc_lo
	global_store_b32 v[4:5], v1, off
	s_branch .LBB223_349
.LBB223_332:
	s_and_not1_b32 vcc_lo, exec_lo, s28
	s_cbranch_vccnz .LBB223_322
.LBB223_333:
	v_max_num_f32_e64 v1, s9, s9
	v_max_num_f32_e32 v3, v2, v2
	v_max_num_f32_e64 v5, s10, s10
	s_delay_alu instid0(VALU_DEP_1)
	v_maxmin_num_f32 v1, v3, v1, v5
	s_cbranch_execz .LBB223_323
	s_branch .LBB223_324
.LBB223_334:
	s_mov_b32 s28, -1
	s_mov_b32 s29, 0
	s_mov_b32 s0, s42
	s_branch .LBB223_418
.LBB223_335:
	s_mov_b32 s30, -1
	s_mov_b32 s29, 0
	s_mov_b32 s0, s42
	s_branch .LBB223_376
.LBB223_336:
	s_mov_b32 s30, -1
	s_mov_b32 s29, 0
	s_mov_b32 s0, s42
	s_branch .LBB223_359
.LBB223_337:
	s_and_not1_saveexec_b32 s31, s31
	s_cbranch_execz .LBB223_82
.LBB223_338:
	v_add_f32_e64 v1, 0x46000000, |v2|
	s_and_not1_b32 s30, s30, exec_lo
	s_delay_alu instid0(VALU_DEP_1) | instskip(NEXT) | instid1(VALU_DEP_1)
	v_and_b32_e32 v1, 0xff, v1
	v_cmp_ne_u32_e32 vcc_lo, 0, v1
	s_and_b32 s42, vcc_lo, exec_lo
	s_delay_alu instid0(SALU_CYCLE_1)
	s_or_b32 s30, s30, s42
	s_or_b32 exec_lo, exec_lo, s31
	v_mov_b32_e32 v3, 0
	s_and_saveexec_b32 s31, s30
	s_cbranch_execnz .LBB223_83
	s_branch .LBB223_84
.LBB223_339:
	s_mov_b32 s28, -1
	s_mov_b32 s27, 0
	s_mov_b32 s26, s43
	s_branch .LBB223_344
.LBB223_340:
	s_mov_b32 s30, -1
	s_mov_b32 s29, 0
	s_mov_b32 s0, s42
	s_branch .LBB223_355
.LBB223_341:
	s_and_not1_saveexec_b32 s31, s31
	s_cbranch_execz .LBB223_95
.LBB223_342:
	v_add_f32_e64 v1, 0x42800000, |v2|
	s_and_not1_b32 s30, s30, exec_lo
	s_delay_alu instid0(VALU_DEP_1) | instskip(NEXT) | instid1(VALU_DEP_1)
	v_and_b32_e32 v1, 0xff, v1
	v_cmp_ne_u32_e32 vcc_lo, 0, v1
	s_and_b32 s42, vcc_lo, exec_lo
	s_delay_alu instid0(SALU_CYCLE_1)
	s_or_b32 s30, s30, s42
	s_or_b32 exec_lo, exec_lo, s31
	v_mov_b32_e32 v3, 0
	s_and_saveexec_b32 s31, s30
	s_cbranch_execnz .LBB223_96
	s_branch .LBB223_97
.LBB223_343:
	s_mov_b32 s26, -1
	s_mov_b32 s27, 0
.LBB223_344:
                                        ; implicit-def: $vgpr2
.LBB223_345:
	s_and_b32 vcc_lo, exec_lo, s28
	s_cbranch_vccz .LBB223_461
; %bb.346:
	s_cmp_eq_u32 s0, 44
	s_cbranch_scc0 .LBB223_460
; %bb.347:
	global_load_u8 v1, v[6:7], off
	s_mov_b32 s26, 0
	s_mov_b32 s27, -1
	s_wait_loadcnt 0x0
	v_lshlrev_b32_e32 v2, 23, v1
	v_cmp_ne_u32_e32 vcc_lo, 0xff, v1
	s_delay_alu instid0(VALU_DEP_2) | instskip(SKIP_1) | instid1(VALU_DEP_2)
	v_cndmask_b32_e32 v2, 0x7f800001, v2, vcc_lo
	v_cmp_ne_u32_e32 vcc_lo, 0, v1
	v_cndmask_b32_e32 v2, 0x400000, v2, vcc_lo
	s_branch .LBB223_461
.LBB223_348:
	s_mov_b32 s30, -1
	s_mov_b32 s29, 0
	s_mov_b32 s0, s42
.LBB223_349:
	s_and_b32 vcc_lo, exec_lo, s30
	s_cbranch_vccz .LBB223_354
; %bb.350:
	s_cmp_eq_u32 s28, 44
	s_mov_b32 s0, -1
	s_cbranch_scc0 .LBB223_354
; %bb.351:
	v_bfe_u32 v3, v2, 23, 8
	s_wait_xcnt 0x0
	v_mov_b32_e32 v1, 0xff
	s_mov_b32 s29, exec_lo
	s_delay_alu instid0(VALU_DEP_2)
	v_cmpx_ne_u32_e32 0xff, v3
	s_cbranch_execz .LBB223_353
; %bb.352:
	v_and_b32_e32 v1, 0x400000, v2
	v_and_or_b32 v3, 0x3fffff, v2, v3
	s_delay_alu instid0(VALU_DEP_2) | instskip(NEXT) | instid1(VALU_DEP_2)
	v_cmp_ne_u32_e32 vcc_lo, 0, v1
	v_cmp_ne_u32_e64 s0, 0, v3
	v_lshrrev_b32_e32 v1, 23, v2
	s_and_b32 s0, vcc_lo, s0
	s_delay_alu instid0(SALU_CYCLE_1) | instskip(NEXT) | instid1(VALU_DEP_1)
	v_cndmask_b32_e64 v3, 0, 1, s0
	v_add_nc_u32_e32 v1, v1, v3
.LBB223_353:
	s_or_b32 exec_lo, exec_lo, s29
	s_mov_b32 s29, -1
	s_mov_b32 s0, 0
	global_store_b8 v[4:5], v1, off
.LBB223_354:
	s_mov_b32 s30, 0
.LBB223_355:
	s_delay_alu instid0(SALU_CYCLE_1)
	s_and_b32 vcc_lo, exec_lo, s30
	s_cbranch_vccz .LBB223_358
; %bb.356:
	s_cmp_eq_u32 s28, 29
	s_mov_b32 s0, -1
	s_cbranch_scc0 .LBB223_358
; %bb.357:
	s_wait_xcnt 0x0
	v_trunc_f32_e32 v1, v2
	s_mov_b32 s29, -1
	s_mov_b32 s0, 0
	s_mov_b32 s30, 0
	s_delay_alu instid0(VALU_DEP_1) | instskip(NEXT) | instid1(VALU_DEP_1)
	v_mul_f32_e32 v3, 0x2f800000, v1
	v_floor_f32_e32 v3, v3
	s_delay_alu instid0(VALU_DEP_1) | instskip(SKIP_1) | instid1(VALU_DEP_2)
	v_fmamk_f32 v1, v3, 0xcf800000, v1
	v_cvt_u32_f32_e32 v7, v3
	v_cvt_u32_f32_e32 v6, v1
	global_store_b64 v[4:5], v[6:7], off
	s_branch .LBB223_359
.LBB223_358:
	s_mov_b32 s30, 0
.LBB223_359:
	s_delay_alu instid0(SALU_CYCLE_1)
	s_and_b32 vcc_lo, exec_lo, s30
	s_cbranch_vccz .LBB223_375
; %bb.360:
	s_cmp_lt_i32 s28, 27
	s_mov_b32 s29, -1
	s_cbranch_scc1 .LBB223_366
; %bb.361:
	s_wait_xcnt 0x0
	v_cvt_u32_f32_e32 v1, v2
	s_cmp_gt_i32 s28, 27
	s_cbranch_scc0 .LBB223_363
; %bb.362:
	s_mov_b32 s29, 0
	global_store_b32 v[4:5], v1, off
.LBB223_363:
	s_and_not1_b32 vcc_lo, exec_lo, s29
	s_cbranch_vccnz .LBB223_365
; %bb.364:
	global_store_b16 v[4:5], v1, off
.LBB223_365:
	s_mov_b32 s29, 0
.LBB223_366:
	s_delay_alu instid0(SALU_CYCLE_1)
	s_and_not1_b32 vcc_lo, exec_lo, s29
	s_cbranch_vccnz .LBB223_374
; %bb.367:
	s_wait_xcnt 0x0
	v_and_b32_e32 v1, 0x7fffffff, v2
	v_mov_b32_e32 v3, 0x80
	s_mov_b32 s29, exec_lo
	s_delay_alu instid0(VALU_DEP_2)
	v_cmpx_gt_u32_e32 0x43800000, v1
	s_cbranch_execz .LBB223_373
; %bb.368:
	v_cmp_lt_u32_e32 vcc_lo, 0x3bffffff, v1
	s_mov_b32 s30, 0
                                        ; implicit-def: $vgpr1
	s_and_saveexec_b32 s31, vcc_lo
	s_delay_alu instid0(SALU_CYCLE_1)
	s_xor_b32 s31, exec_lo, s31
	s_cbranch_execz .LBB223_603
; %bb.369:
	v_bfe_u32 v1, v2, 20, 1
	s_mov_b32 s30, exec_lo
	s_delay_alu instid0(VALU_DEP_1) | instskip(NEXT) | instid1(VALU_DEP_1)
	v_add3_u32 v1, v2, v1, 0x487ffff
	v_lshrrev_b32_e32 v1, 20, v1
	s_and_not1_saveexec_b32 s31, s31
	s_cbranch_execnz .LBB223_604
.LBB223_370:
	s_or_b32 exec_lo, exec_lo, s31
	v_mov_b32_e32 v3, 0
	s_and_saveexec_b32 s31, s30
.LBB223_371:
	v_lshrrev_b32_e32 v3, 24, v2
	s_delay_alu instid0(VALU_DEP_1)
	v_and_or_b32 v3, 0x80, v3, v1
.LBB223_372:
	s_or_b32 exec_lo, exec_lo, s31
.LBB223_373:
	s_delay_alu instid0(SALU_CYCLE_1)
	s_or_b32 exec_lo, exec_lo, s29
	global_store_b8 v[4:5], v3, off
.LBB223_374:
	s_mov_b32 s29, -1
.LBB223_375:
	s_mov_b32 s30, 0
.LBB223_376:
	s_delay_alu instid0(SALU_CYCLE_1)
	s_and_b32 vcc_lo, exec_lo, s30
	s_cbranch_vccz .LBB223_417
; %bb.377:
	s_cmp_gt_i32 s28, 22
	s_mov_b32 s30, -1
	s_cbranch_scc0 .LBB223_409
; %bb.378:
	s_cmp_lt_i32 s28, 24
	s_mov_b32 s29, -1
	s_cbranch_scc1 .LBB223_398
; %bb.379:
	s_cmp_gt_i32 s28, 24
	s_cbranch_scc0 .LBB223_387
; %bb.380:
	s_wait_xcnt 0x0
	v_and_b32_e32 v1, 0x7fffffff, v2
	v_mov_b32_e32 v3, 0x80
	s_mov_b32 s29, exec_lo
	s_delay_alu instid0(VALU_DEP_2)
	v_cmpx_gt_u32_e32 0x47800000, v1
	s_cbranch_execz .LBB223_386
; %bb.381:
	v_cmp_lt_u32_e32 vcc_lo, 0x37ffffff, v1
	s_mov_b32 s30, 0
                                        ; implicit-def: $vgpr1
	s_and_saveexec_b32 s31, vcc_lo
	s_delay_alu instid0(SALU_CYCLE_1)
	s_xor_b32 s31, exec_lo, s31
	s_cbranch_execz .LBB223_606
; %bb.382:
	v_bfe_u32 v1, v2, 21, 1
	s_mov_b32 s30, exec_lo
	s_delay_alu instid0(VALU_DEP_1) | instskip(NEXT) | instid1(VALU_DEP_1)
	v_add3_u32 v1, v2, v1, 0x88fffff
	v_lshrrev_b32_e32 v1, 21, v1
	s_and_not1_saveexec_b32 s31, s31
	s_cbranch_execnz .LBB223_607
.LBB223_383:
	s_or_b32 exec_lo, exec_lo, s31
	v_mov_b32_e32 v3, 0
	s_and_saveexec_b32 s31, s30
.LBB223_384:
	v_lshrrev_b32_e32 v3, 24, v2
	s_delay_alu instid0(VALU_DEP_1)
	v_and_or_b32 v3, 0x80, v3, v1
.LBB223_385:
	s_or_b32 exec_lo, exec_lo, s31
.LBB223_386:
	s_delay_alu instid0(SALU_CYCLE_1)
	s_or_b32 exec_lo, exec_lo, s29
	s_mov_b32 s29, 0
	global_store_b8 v[4:5], v3, off
.LBB223_387:
	s_and_b32 vcc_lo, exec_lo, s29
	s_cbranch_vccz .LBB223_397
; %bb.388:
	s_wait_xcnt 0x0
	v_and_b32_e32 v3, 0x7fffffff, v2
	s_mov_b32 s29, exec_lo
                                        ; implicit-def: $vgpr1
	s_delay_alu instid0(VALU_DEP_1)
	v_cmpx_gt_u32_e32 0x43f00000, v3
	s_xor_b32 s29, exec_lo, s29
	s_cbranch_execz .LBB223_394
; %bb.389:
	s_mov_b32 s30, exec_lo
                                        ; implicit-def: $vgpr1
	v_cmpx_lt_u32_e32 0x3c7fffff, v3
	s_xor_b32 s30, exec_lo, s30
; %bb.390:
	v_bfe_u32 v1, v2, 20, 1
	s_delay_alu instid0(VALU_DEP_1) | instskip(NEXT) | instid1(VALU_DEP_1)
	v_add3_u32 v1, v2, v1, 0x407ffff
	v_and_b32_e32 v3, 0xff00000, v1
	v_lshrrev_b32_e32 v1, 20, v1
	s_delay_alu instid0(VALU_DEP_2) | instskip(NEXT) | instid1(VALU_DEP_2)
	v_cmp_ne_u32_e32 vcc_lo, 0x7f00000, v3
	v_cndmask_b32_e32 v1, 0x7e, v1, vcc_lo
; %bb.391:
	s_and_not1_saveexec_b32 s30, s30
; %bb.392:
	v_add_f32_e64 v1, 0x46800000, |v2|
; %bb.393:
	s_or_b32 exec_lo, exec_lo, s30
                                        ; implicit-def: $vgpr3
.LBB223_394:
	s_and_not1_saveexec_b32 s29, s29
; %bb.395:
	v_mov_b32_e32 v1, 0x7f
	v_cmp_lt_u32_e32 vcc_lo, 0x7f800000, v3
	s_delay_alu instid0(VALU_DEP_2)
	v_cndmask_b32_e32 v1, 0x7e, v1, vcc_lo
; %bb.396:
	s_or_b32 exec_lo, exec_lo, s29
	v_lshrrev_b32_e32 v3, 24, v2
	s_delay_alu instid0(VALU_DEP_1)
	v_and_or_b32 v1, 0x80, v3, v1
	global_store_b8 v[4:5], v1, off
.LBB223_397:
	s_mov_b32 s29, 0
.LBB223_398:
	s_delay_alu instid0(SALU_CYCLE_1)
	s_and_not1_b32 vcc_lo, exec_lo, s29
	s_cbranch_vccnz .LBB223_408
; %bb.399:
	s_wait_xcnt 0x0
	v_and_b32_e32 v3, 0x7fffffff, v2
	s_mov_b32 s29, exec_lo
                                        ; implicit-def: $vgpr1
	s_delay_alu instid0(VALU_DEP_1)
	v_cmpx_gt_u32_e32 0x47800000, v3
	s_xor_b32 s29, exec_lo, s29
	s_cbranch_execz .LBB223_405
; %bb.400:
	s_mov_b32 s30, exec_lo
                                        ; implicit-def: $vgpr1
	v_cmpx_lt_u32_e32 0x387fffff, v3
	s_xor_b32 s30, exec_lo, s30
; %bb.401:
	v_bfe_u32 v1, v2, 21, 1
	s_delay_alu instid0(VALU_DEP_1) | instskip(NEXT) | instid1(VALU_DEP_1)
	v_add3_u32 v1, v2, v1, 0x80fffff
	v_lshrrev_b32_e32 v1, 21, v1
; %bb.402:
	s_and_not1_saveexec_b32 s30, s30
; %bb.403:
	v_add_f32_e64 v1, 0x43000000, |v2|
; %bb.404:
	s_or_b32 exec_lo, exec_lo, s30
                                        ; implicit-def: $vgpr3
.LBB223_405:
	s_and_not1_saveexec_b32 s29, s29
; %bb.406:
	v_mov_b32_e32 v1, 0x7f
	v_cmp_lt_u32_e32 vcc_lo, 0x7f800000, v3
	s_delay_alu instid0(VALU_DEP_2)
	v_cndmask_b32_e32 v1, 0x7c, v1, vcc_lo
; %bb.407:
	s_or_b32 exec_lo, exec_lo, s29
	v_lshrrev_b32_e32 v3, 24, v2
	s_delay_alu instid0(VALU_DEP_1)
	v_and_or_b32 v1, 0x80, v3, v1
	global_store_b8 v[4:5], v1, off
.LBB223_408:
	s_mov_b32 s30, 0
	s_mov_b32 s29, -1
.LBB223_409:
	s_and_not1_b32 vcc_lo, exec_lo, s30
	s_cbranch_vccnz .LBB223_417
; %bb.410:
	s_cmp_gt_i32 s28, 14
	s_mov_b32 s30, -1
	s_cbranch_scc0 .LBB223_414
; %bb.411:
	s_cmp_eq_u32 s28, 15
	s_mov_b32 s0, -1
	s_cbranch_scc0 .LBB223_413
; %bb.412:
	s_wait_xcnt 0x0
	v_bfe_u32 v1, v2, 16, 1
	v_cmp_o_f32_e32 vcc_lo, v2, v2
	s_mov_b32 s29, -1
	s_mov_b32 s0, 0
	s_delay_alu instid0(VALU_DEP_2) | instskip(NEXT) | instid1(VALU_DEP_1)
	v_add3_u32 v1, v2, v1, 0x7fff
	v_lshrrev_b32_e32 v1, 16, v1
	s_delay_alu instid0(VALU_DEP_1)
	v_cndmask_b32_e32 v1, 0x7fc0, v1, vcc_lo
	global_store_b16 v[4:5], v1, off
.LBB223_413:
	s_mov_b32 s30, 0
.LBB223_414:
	s_delay_alu instid0(SALU_CYCLE_1)
	s_and_b32 vcc_lo, exec_lo, s30
	s_cbranch_vccz .LBB223_417
; %bb.415:
	s_cmp_eq_u32 s28, 11
	s_mov_b32 s0, -1
	s_cbranch_scc0 .LBB223_417
; %bb.416:
	v_cmp_neq_f32_e32 vcc_lo, 0, v2
	s_mov_b32 s0, 0
	s_mov_b32 s29, -1
	s_wait_xcnt 0x0
	v_cndmask_b32_e64 v1, 0, 1, vcc_lo
	global_store_b8 v[4:5], v1, off
.LBB223_417:
	s_mov_b32 s28, 0
.LBB223_418:
	s_delay_alu instid0(SALU_CYCLE_1)
	s_and_b32 vcc_lo, exec_lo, s28
	s_cbranch_vccz .LBB223_457
; %bb.419:
	s_and_b32 s27, 0xffff, s27
	s_mov_b32 s28, -1
	s_cmp_lt_i32 s27, 5
	s_cbranch_scc1 .LBB223_440
; %bb.420:
	s_cmp_lt_i32 s27, 8
	s_cbranch_scc1 .LBB223_430
; %bb.421:
	;; [unrolled: 3-line block ×3, first 2 shown]
	s_cmp_gt_i32 s27, 9
	s_cbranch_scc0 .LBB223_424
; %bb.423:
	s_wait_xcnt 0x0
	v_cvt_f64_f32_e32 v[6:7], v2
	v_mov_b32_e32 v8, 0
	s_mov_b32 s28, 0
	s_delay_alu instid0(VALU_DEP_1)
	v_mov_b32_e32 v9, v8
	global_store_b128 v[4:5], v[6:9], off
.LBB223_424:
	s_and_not1_b32 vcc_lo, exec_lo, s28
	s_cbranch_vccnz .LBB223_426
; %bb.425:
	s_wait_xcnt 0x0
	v_mov_b32_e32 v3, 0
	global_store_b64 v[4:5], v[2:3], off
.LBB223_426:
	s_mov_b32 s28, 0
.LBB223_427:
	s_delay_alu instid0(SALU_CYCLE_1)
	s_and_not1_b32 vcc_lo, exec_lo, s28
	s_cbranch_vccnz .LBB223_429
; %bb.428:
	s_wait_xcnt 0x0
	v_cvt_f16_f32_e32 v1, v2
	s_delay_alu instid0(VALU_DEP_1)
	v_and_b32_e32 v1, 0xffff, v1
	global_store_b32 v[4:5], v1, off
.LBB223_429:
	s_mov_b32 s28, 0
.LBB223_430:
	s_delay_alu instid0(SALU_CYCLE_1)
	s_and_not1_b32 vcc_lo, exec_lo, s28
	s_cbranch_vccnz .LBB223_439
; %bb.431:
	s_cmp_lt_i32 s27, 6
	s_mov_b32 s28, -1
	s_cbranch_scc1 .LBB223_437
; %bb.432:
	s_cmp_gt_i32 s27, 6
	s_cbranch_scc0 .LBB223_434
; %bb.433:
	s_wait_xcnt 0x0
	v_cvt_f64_f32_e32 v[6:7], v2
	s_mov_b32 s28, 0
	global_store_b64 v[4:5], v[6:7], off
.LBB223_434:
	s_and_not1_b32 vcc_lo, exec_lo, s28
	s_cbranch_vccnz .LBB223_436
; %bb.435:
	global_store_b32 v[4:5], v2, off
.LBB223_436:
	s_mov_b32 s28, 0
.LBB223_437:
	s_delay_alu instid0(SALU_CYCLE_1)
	s_and_not1_b32 vcc_lo, exec_lo, s28
	s_cbranch_vccnz .LBB223_439
; %bb.438:
	s_wait_xcnt 0x0
	v_cvt_f16_f32_e32 v1, v2
	global_store_b16 v[4:5], v1, off
.LBB223_439:
	s_mov_b32 s28, 0
.LBB223_440:
	s_delay_alu instid0(SALU_CYCLE_1)
	s_and_not1_b32 vcc_lo, exec_lo, s28
	s_cbranch_vccnz .LBB223_456
; %bb.441:
	s_cmp_lt_i32 s27, 2
	s_mov_b32 s28, -1
	s_cbranch_scc1 .LBB223_451
; %bb.442:
	s_cmp_lt_i32 s27, 3
	s_cbranch_scc1 .LBB223_448
; %bb.443:
	s_cmp_gt_i32 s27, 3
	s_cbranch_scc0 .LBB223_445
; %bb.444:
	s_wait_xcnt 0x0
	v_trunc_f32_e32 v1, v2
	s_mov_b32 s28, 0
	s_delay_alu instid0(VALU_DEP_1) | instskip(SKIP_1) | instid1(VALU_DEP_2)
	v_mul_f32_e64 v3, 0x2f800000, |v1|
	v_ashrrev_i32_e32 v6, 31, v1
	v_floor_f32_e32 v3, v3
	s_delay_alu instid0(VALU_DEP_1) | instskip(SKIP_1) | instid1(VALU_DEP_2)
	v_fma_f32 v7, 0xcf800000, v3, |v1|
	v_cvt_u32_f32_e32 v1, v3
	v_cvt_u32_f32_e32 v3, v7
	s_delay_alu instid0(VALU_DEP_2) | instskip(NEXT) | instid1(VALU_DEP_2)
	v_dual_mov_b32 v7, v6 :: v_dual_bitop2_b32 v9, v1, v6 bitop3:0x14
	v_xor_b32_e32 v8, v3, v6
	s_delay_alu instid0(VALU_DEP_1)
	v_sub_nc_u64_e32 v[6:7], v[8:9], v[6:7]
	global_store_b64 v[4:5], v[6:7], off
.LBB223_445:
	s_and_not1_b32 vcc_lo, exec_lo, s28
	s_cbranch_vccnz .LBB223_447
; %bb.446:
	s_wait_xcnt 0x0
	v_cvt_i32_f32_e32 v1, v2
	global_store_b32 v[4:5], v1, off
.LBB223_447:
	s_mov_b32 s28, 0
.LBB223_448:
	s_delay_alu instid0(SALU_CYCLE_1)
	s_and_not1_b32 vcc_lo, exec_lo, s28
	s_cbranch_vccnz .LBB223_450
; %bb.449:
	s_wait_xcnt 0x0
	v_cvt_i32_f32_e32 v1, v2
	global_store_b16 v[4:5], v1, off
.LBB223_450:
	s_mov_b32 s28, 0
.LBB223_451:
	s_delay_alu instid0(SALU_CYCLE_1)
	s_and_not1_b32 vcc_lo, exec_lo, s28
	s_cbranch_vccnz .LBB223_456
; %bb.452:
	s_cmp_gt_i32 s27, 0
	s_mov_b32 s27, -1
	s_cbranch_scc0 .LBB223_454
; %bb.453:
	s_wait_xcnt 0x0
	v_cvt_i32_f32_e32 v1, v2
	s_mov_b32 s27, 0
	global_store_b8 v[4:5], v1, off
.LBB223_454:
	s_and_not1_b32 vcc_lo, exec_lo, s27
	s_cbranch_vccnz .LBB223_456
; %bb.455:
	s_wait_xcnt 0x0
	v_trunc_f32_e32 v1, v2
	s_delay_alu instid0(VALU_DEP_1) | instskip(NEXT) | instid1(VALU_DEP_1)
	v_mul_f32_e64 v2, 0x2f800000, |v1|
	v_floor_f32_e32 v2, v2
	s_delay_alu instid0(VALU_DEP_1) | instskip(SKIP_1) | instid1(VALU_DEP_2)
	v_fma_f32 v2, 0xcf800000, v2, |v1|
	v_ashrrev_i32_e32 v1, 31, v1
	v_cvt_u32_f32_e32 v2, v2
	s_delay_alu instid0(VALU_DEP_1) | instskip(NEXT) | instid1(VALU_DEP_1)
	v_xor_b32_e32 v2, v2, v1
	v_sub_nc_u32_e32 v1, v2, v1
	global_store_b8 v[4:5], v1, off
.LBB223_456:
	s_mov_b32 s29, -1
.LBB223_457:
	s_delay_alu instid0(SALU_CYCLE_1)
	s_and_not1_b32 vcc_lo, exec_lo, s29
	s_cbranch_vccnz .LBB223_459
; %bb.458:
	v_add_nc_u32_e32 v0, 0x80, v0
	s_mov_b32 s27, -1
	s_branch .LBB223_572
.LBB223_459:
	s_mov_b32 s27, 0
	s_branch .LBB223_571
.LBB223_460:
	s_mov_b32 s26, -1
                                        ; implicit-def: $vgpr2
.LBB223_461:
	s_mov_b32 s28, 0
.LBB223_462:
	s_delay_alu instid0(SALU_CYCLE_1)
	s_and_b32 vcc_lo, exec_lo, s28
	s_cbranch_vccz .LBB223_466
; %bb.463:
	s_cmp_eq_u32 s0, 29
	s_cbranch_scc0 .LBB223_465
; %bb.464:
	global_load_b64 v[2:3], v[6:7], off
	s_mov_b32 s27, -1
	s_mov_b32 s26, 0
	s_mov_b32 s28, 0
	s_wait_loadcnt 0x0
	v_clz_i32_u32_e32 v1, v3
	s_delay_alu instid0(VALU_DEP_1) | instskip(NEXT) | instid1(VALU_DEP_1)
	v_min_u32_e32 v1, 32, v1
	v_lshlrev_b64_e32 v[2:3], v1, v[2:3]
	v_sub_nc_u32_e32 v1, 32, v1
	s_delay_alu instid0(VALU_DEP_2) | instskip(NEXT) | instid1(VALU_DEP_1)
	v_min_u32_e32 v2, 1, v2
	v_or_b32_e32 v2, v3, v2
	s_delay_alu instid0(VALU_DEP_1) | instskip(NEXT) | instid1(VALU_DEP_1)
	v_cvt_f32_u32_e32 v2, v2
	v_ldexp_f32 v2, v2, v1
	s_branch .LBB223_467
.LBB223_465:
	s_mov_b32 s26, -1
                                        ; implicit-def: $vgpr2
.LBB223_466:
	s_mov_b32 s28, 0
.LBB223_467:
	s_delay_alu instid0(SALU_CYCLE_1)
	s_and_b32 vcc_lo, exec_lo, s28
	s_cbranch_vccz .LBB223_485
; %bb.468:
	s_cmp_lt_i32 s0, 27
	s_cbranch_scc1 .LBB223_471
; %bb.469:
	s_cmp_gt_i32 s0, 27
	s_cbranch_scc0 .LBB223_472
; %bb.470:
	global_load_b32 v1, v[6:7], off
	s_mov_b32 s27, 0
	s_wait_loadcnt 0x0
	v_cvt_f32_u32_e32 v2, v1
	s_branch .LBB223_473
.LBB223_471:
	s_mov_b32 s27, -1
                                        ; implicit-def: $vgpr2
	s_branch .LBB223_476
.LBB223_472:
	s_mov_b32 s27, -1
                                        ; implicit-def: $vgpr2
.LBB223_473:
	s_delay_alu instid0(SALU_CYCLE_1)
	s_and_not1_b32 vcc_lo, exec_lo, s27
	s_cbranch_vccnz .LBB223_475
; %bb.474:
	global_load_u16 v1, v[6:7], off
	s_wait_loadcnt 0x0
	v_cvt_f32_u32_e32 v2, v1
.LBB223_475:
	s_mov_b32 s27, 0
.LBB223_476:
	s_delay_alu instid0(SALU_CYCLE_1)
	s_and_not1_b32 vcc_lo, exec_lo, s27
	s_cbranch_vccnz .LBB223_484
; %bb.477:
	global_load_u8 v1, v[6:7], off
	s_mov_b32 s27, 0
	s_mov_b32 s28, exec_lo
	s_wait_loadcnt 0x0
	v_cmpx_lt_i16_e32 0x7f, v1
	s_xor_b32 s28, exec_lo, s28
	s_cbranch_execz .LBB223_498
; %bb.478:
	s_mov_b32 s27, -1
	s_mov_b32 s29, exec_lo
	v_cmpx_eq_u16_e32 0x80, v1
; %bb.479:
	s_xor_b32 s27, exec_lo, -1
; %bb.480:
	s_or_b32 exec_lo, exec_lo, s29
	s_delay_alu instid0(SALU_CYCLE_1)
	s_and_b32 s27, s27, exec_lo
	s_or_saveexec_b32 s28, s28
	v_mov_b32_e32 v2, 0x7f800001
	s_xor_b32 exec_lo, exec_lo, s28
	s_cbranch_execnz .LBB223_499
.LBB223_481:
	s_or_b32 exec_lo, exec_lo, s28
	s_and_saveexec_b32 s28, s27
	s_cbranch_execz .LBB223_483
.LBB223_482:
	v_and_b32_e32 v2, 0xffff, v1
	s_delay_alu instid0(VALU_DEP_1) | instskip(SKIP_1) | instid1(VALU_DEP_2)
	v_and_b32_e32 v3, 7, v2
	v_bfe_u32 v9, v2, 3, 4
	v_clz_i32_u32_e32 v5, v3
	s_delay_alu instid0(VALU_DEP_2) | instskip(NEXT) | instid1(VALU_DEP_2)
	v_cmp_eq_u32_e32 vcc_lo, 0, v9
	v_min_u32_e32 v5, 32, v5
	s_delay_alu instid0(VALU_DEP_1) | instskip(NEXT) | instid1(VALU_DEP_1)
	v_subrev_nc_u32_e32 v8, 28, v5
	v_dual_lshlrev_b32 v2, v8, v2 :: v_dual_sub_nc_u32 v5, 29, v5
	s_delay_alu instid0(VALU_DEP_1) | instskip(NEXT) | instid1(VALU_DEP_1)
	v_dual_lshlrev_b32 v1, 24, v1 :: v_dual_bitop2_b32 v2, 7, v2 bitop3:0x40
	v_dual_cndmask_b32 v2, v3, v2 :: v_dual_cndmask_b32 v5, v9, v5
	s_delay_alu instid0(VALU_DEP_2) | instskip(NEXT) | instid1(VALU_DEP_2)
	v_and_b32_e32 v1, 0x80000000, v1
	v_lshlrev_b32_e32 v2, 20, v2
	s_delay_alu instid0(VALU_DEP_3) | instskip(NEXT) | instid1(VALU_DEP_1)
	v_lshl_add_u32 v3, v5, 23, 0x3b800000
	v_or3_b32 v2, v1, v3, v2
.LBB223_483:
	s_or_b32 exec_lo, exec_lo, s28
.LBB223_484:
	s_mov_b32 s27, -1
.LBB223_485:
	s_mov_b32 s28, 0
.LBB223_486:
	s_delay_alu instid0(SALU_CYCLE_1)
	s_and_b32 vcc_lo, exec_lo, s28
	s_cbranch_vccz .LBB223_521
; %bb.487:
	s_cmp_gt_i32 s0, 22
	s_cbranch_scc0 .LBB223_497
; %bb.488:
	s_cmp_lt_i32 s0, 24
	s_cbranch_scc1 .LBB223_500
; %bb.489:
	s_cmp_gt_i32 s0, 24
	s_cbranch_scc0 .LBB223_501
; %bb.490:
	global_load_u8 v1, v[6:7], off
	s_mov_b32 s27, 0
	s_mov_b32 s28, exec_lo
	s_wait_loadcnt 0x0
	v_cmpx_lt_i16_e32 0x7f, v1
	s_xor_b32 s28, exec_lo, s28
	s_cbranch_execz .LBB223_513
; %bb.491:
	s_mov_b32 s27, -1
	s_mov_b32 s29, exec_lo
	v_cmpx_eq_u16_e32 0x80, v1
; %bb.492:
	s_xor_b32 s27, exec_lo, -1
; %bb.493:
	s_or_b32 exec_lo, exec_lo, s29
	s_delay_alu instid0(SALU_CYCLE_1)
	s_and_b32 s27, s27, exec_lo
	s_or_saveexec_b32 s28, s28
	v_mov_b32_e32 v2, 0x7f800001
	s_xor_b32 exec_lo, exec_lo, s28
	s_cbranch_execnz .LBB223_514
.LBB223_494:
	s_or_b32 exec_lo, exec_lo, s28
	s_and_saveexec_b32 s28, s27
	s_cbranch_execz .LBB223_496
.LBB223_495:
	v_and_b32_e32 v2, 0xffff, v1
	s_delay_alu instid0(VALU_DEP_1) | instskip(SKIP_1) | instid1(VALU_DEP_2)
	v_and_b32_e32 v3, 3, v2
	v_bfe_u32 v9, v2, 2, 5
	v_clz_i32_u32_e32 v5, v3
	s_delay_alu instid0(VALU_DEP_2) | instskip(NEXT) | instid1(VALU_DEP_2)
	v_cmp_eq_u32_e32 vcc_lo, 0, v9
	v_min_u32_e32 v5, 32, v5
	s_delay_alu instid0(VALU_DEP_1) | instskip(NEXT) | instid1(VALU_DEP_1)
	v_subrev_nc_u32_e32 v8, 29, v5
	v_dual_lshlrev_b32 v2, v8, v2 :: v_dual_sub_nc_u32 v5, 30, v5
	s_delay_alu instid0(VALU_DEP_1) | instskip(NEXT) | instid1(VALU_DEP_1)
	v_dual_lshlrev_b32 v1, 24, v1 :: v_dual_bitop2_b32 v2, 3, v2 bitop3:0x40
	v_dual_cndmask_b32 v2, v3, v2 :: v_dual_cndmask_b32 v5, v9, v5
	s_delay_alu instid0(VALU_DEP_2) | instskip(NEXT) | instid1(VALU_DEP_2)
	v_and_b32_e32 v1, 0x80000000, v1
	v_lshlrev_b32_e32 v2, 21, v2
	s_delay_alu instid0(VALU_DEP_3) | instskip(NEXT) | instid1(VALU_DEP_1)
	v_lshl_add_u32 v3, v5, 23, 0x37800000
	v_or3_b32 v2, v1, v3, v2
.LBB223_496:
	s_or_b32 exec_lo, exec_lo, s28
	s_mov_b32 s27, 0
	s_branch .LBB223_502
.LBB223_497:
	s_mov_b32 s28, -1
                                        ; implicit-def: $vgpr2
	s_branch .LBB223_508
.LBB223_498:
	s_or_saveexec_b32 s28, s28
	v_mov_b32_e32 v2, 0x7f800001
	s_xor_b32 exec_lo, exec_lo, s28
	s_cbranch_execz .LBB223_481
.LBB223_499:
	v_cmp_ne_u16_e32 vcc_lo, 0, v1
	v_mov_b32_e32 v2, 0
	s_and_not1_b32 s27, s27, exec_lo
	s_and_b32 s29, vcc_lo, exec_lo
	s_delay_alu instid0(SALU_CYCLE_1)
	s_or_b32 s27, s27, s29
	s_or_b32 exec_lo, exec_lo, s28
	s_and_saveexec_b32 s28, s27
	s_cbranch_execnz .LBB223_482
	s_branch .LBB223_483
.LBB223_500:
	s_mov_b32 s27, -1
                                        ; implicit-def: $vgpr2
	s_branch .LBB223_505
.LBB223_501:
	s_mov_b32 s27, -1
                                        ; implicit-def: $vgpr2
.LBB223_502:
	s_delay_alu instid0(SALU_CYCLE_1)
	s_and_b32 vcc_lo, exec_lo, s27
	s_cbranch_vccz .LBB223_504
; %bb.503:
	global_load_u8 v1, v[6:7], off
	s_wait_loadcnt 0x0
	v_lshlrev_b32_e32 v1, 24, v1
	s_delay_alu instid0(VALU_DEP_1) | instskip(NEXT) | instid1(VALU_DEP_1)
	v_and_b32_e32 v2, 0x7f000000, v1
	v_clz_i32_u32_e32 v3, v2
	v_add_nc_u32_e32 v8, 0x1000000, v2
	v_cmp_ne_u32_e32 vcc_lo, 0, v2
	s_delay_alu instid0(VALU_DEP_3) | instskip(NEXT) | instid1(VALU_DEP_1)
	v_min_u32_e32 v3, 32, v3
	v_sub_nc_u32_e64 v3, v3, 4 clamp
	s_delay_alu instid0(VALU_DEP_1) | instskip(NEXT) | instid1(VALU_DEP_1)
	v_dual_lshlrev_b32 v5, v3, v2 :: v_dual_lshlrev_b32 v3, 23, v3
	v_lshrrev_b32_e32 v5, 4, v5
	s_delay_alu instid0(VALU_DEP_1) | instskip(NEXT) | instid1(VALU_DEP_1)
	v_dual_sub_nc_u32 v3, v5, v3 :: v_dual_ashrrev_i32 v5, 8, v8
	v_add_nc_u32_e32 v3, 0x3c000000, v3
	s_delay_alu instid0(VALU_DEP_1) | instskip(NEXT) | instid1(VALU_DEP_1)
	v_and_or_b32 v3, 0x7f800000, v5, v3
	v_cndmask_b32_e32 v2, 0, v3, vcc_lo
	s_delay_alu instid0(VALU_DEP_1)
	v_and_or_b32 v2, 0x80000000, v1, v2
.LBB223_504:
	s_mov_b32 s27, 0
.LBB223_505:
	s_delay_alu instid0(SALU_CYCLE_1)
	s_and_not1_b32 vcc_lo, exec_lo, s27
	s_cbranch_vccnz .LBB223_507
; %bb.506:
	global_load_u8 v1, v[6:7], off
	s_wait_loadcnt 0x0
	v_lshlrev_b32_e32 v2, 25, v1
	v_lshlrev_b16 v1, 8, v1
	s_delay_alu instid0(VALU_DEP_1) | instskip(NEXT) | instid1(VALU_DEP_3)
	v_and_or_b32 v5, 0x7f00, v1, 0.5
	v_lshrrev_b32_e32 v3, 4, v2
	v_bfe_i32 v1, v1, 0, 16
	s_delay_alu instid0(VALU_DEP_3) | instskip(NEXT) | instid1(VALU_DEP_3)
	v_add_f32_e32 v5, -0.5, v5
	v_or_b32_e32 v3, 0x70000000, v3
	s_delay_alu instid0(VALU_DEP_1) | instskip(SKIP_1) | instid1(VALU_DEP_2)
	v_mul_f32_e32 v3, 0x7800000, v3
	v_cmp_gt_u32_e32 vcc_lo, 0x8000000, v2
	v_cndmask_b32_e32 v2, v3, v5, vcc_lo
	s_delay_alu instid0(VALU_DEP_1)
	v_and_or_b32 v2, 0x80000000, v1, v2
.LBB223_507:
	s_mov_b32 s28, 0
	s_mov_b32 s27, -1
.LBB223_508:
	s_and_not1_b32 vcc_lo, exec_lo, s28
	s_cbranch_vccnz .LBB223_521
; %bb.509:
	s_cmp_gt_i32 s0, 14
	s_cbranch_scc0 .LBB223_512
; %bb.510:
	s_cmp_eq_u32 s0, 15
	s_cbranch_scc0 .LBB223_515
; %bb.511:
	global_load_u16 v1, v[6:7], off
	s_mov_b32 s27, -1
	s_mov_b32 s26, 0
	s_wait_loadcnt 0x0
	v_lshlrev_b32_e32 v2, 16, v1
	s_branch .LBB223_516
.LBB223_512:
	s_mov_b32 s28, -1
                                        ; implicit-def: $vgpr2
	s_branch .LBB223_517
.LBB223_513:
	s_or_saveexec_b32 s28, s28
	v_mov_b32_e32 v2, 0x7f800001
	s_xor_b32 exec_lo, exec_lo, s28
	s_cbranch_execz .LBB223_494
.LBB223_514:
	v_cmp_ne_u16_e32 vcc_lo, 0, v1
	v_mov_b32_e32 v2, 0
	s_and_not1_b32 s27, s27, exec_lo
	s_and_b32 s29, vcc_lo, exec_lo
	s_delay_alu instid0(SALU_CYCLE_1)
	s_or_b32 s27, s27, s29
	s_or_b32 exec_lo, exec_lo, s28
	s_and_saveexec_b32 s28, s27
	s_cbranch_execnz .LBB223_495
	s_branch .LBB223_496
.LBB223_515:
	s_mov_b32 s26, -1
                                        ; implicit-def: $vgpr2
.LBB223_516:
	s_mov_b32 s28, 0
.LBB223_517:
	s_delay_alu instid0(SALU_CYCLE_1)
	s_and_b32 vcc_lo, exec_lo, s28
	s_cbranch_vccz .LBB223_521
; %bb.518:
	s_cmp_eq_u32 s0, 11
	s_cbranch_scc0 .LBB223_520
; %bb.519:
	global_load_u8 v1, v[6:7], off
	s_mov_b32 s26, 0
	s_mov_b32 s27, -1
	s_wait_loadcnt 0x0
	v_cmp_ne_u16_e32 vcc_lo, 0, v1
	v_cndmask_b32_e64 v2, 0, 1.0, vcc_lo
	s_branch .LBB223_521
.LBB223_520:
	s_mov_b32 s26, -1
                                        ; implicit-def: $vgpr2
.LBB223_521:
	s_branch .LBB223_309
.LBB223_522:
	s_cmp_lt_i32 s0, 5
	s_cbranch_scc1 .LBB223_527
; %bb.523:
	s_cmp_lt_i32 s0, 8
	s_cbranch_scc1 .LBB223_528
; %bb.524:
	;; [unrolled: 3-line block ×3, first 2 shown]
	s_cmp_gt_i32 s0, 9
	s_cbranch_scc0 .LBB223_530
; %bb.526:
	global_load_b64 v[2:3], v[6:7], off
	s_mov_b32 s27, 0
	s_wait_loadcnt 0x0
	v_cvt_f32_f64_e32 v2, v[2:3]
	s_branch .LBB223_531
.LBB223_527:
	s_mov_b32 s27, -1
                                        ; implicit-def: $vgpr2
	s_branch .LBB223_549
.LBB223_528:
	s_mov_b32 s27, -1
                                        ; implicit-def: $vgpr2
	s_branch .LBB223_537
.LBB223_529:
	s_mov_b32 s27, -1
                                        ; implicit-def: $vgpr2
	s_branch .LBB223_534
.LBB223_530:
	s_mov_b32 s27, -1
                                        ; implicit-def: $vgpr2
.LBB223_531:
	s_delay_alu instid0(SALU_CYCLE_1)
	s_and_not1_b32 vcc_lo, exec_lo, s27
	s_cbranch_vccnz .LBB223_533
; %bb.532:
	global_load_b32 v2, v[6:7], off
.LBB223_533:
	s_mov_b32 s27, 0
.LBB223_534:
	s_delay_alu instid0(SALU_CYCLE_1)
	s_and_not1_b32 vcc_lo, exec_lo, s27
	s_cbranch_vccnz .LBB223_536
; %bb.535:
	global_load_b32 v1, v[6:7], off
	s_wait_loadcnt 0x0
	v_cvt_f32_f16_e32 v2, v1
.LBB223_536:
	s_mov_b32 s27, 0
.LBB223_537:
	s_delay_alu instid0(SALU_CYCLE_1)
	s_and_not1_b32 vcc_lo, exec_lo, s27
	s_cbranch_vccnz .LBB223_548
; %bb.538:
	s_cmp_lt_i32 s0, 6
	s_cbranch_scc1 .LBB223_541
; %bb.539:
	s_cmp_gt_i32 s0, 6
	s_cbranch_scc0 .LBB223_542
; %bb.540:
	s_wait_loadcnt 0x0
	global_load_b64 v[2:3], v[6:7], off
	s_mov_b32 s27, 0
	s_wait_loadcnt 0x0
	v_cvt_f32_f64_e32 v2, v[2:3]
	s_branch .LBB223_543
.LBB223_541:
	s_mov_b32 s27, -1
                                        ; implicit-def: $vgpr2
	s_branch .LBB223_546
.LBB223_542:
	s_mov_b32 s27, -1
                                        ; implicit-def: $vgpr2
.LBB223_543:
	s_delay_alu instid0(SALU_CYCLE_1)
	s_and_not1_b32 vcc_lo, exec_lo, s27
	s_cbranch_vccnz .LBB223_545
; %bb.544:
	s_wait_loadcnt 0x0
	global_load_b32 v2, v[6:7], off
.LBB223_545:
	s_mov_b32 s27, 0
.LBB223_546:
	s_delay_alu instid0(SALU_CYCLE_1)
	s_and_not1_b32 vcc_lo, exec_lo, s27
	s_cbranch_vccnz .LBB223_548
; %bb.547:
	global_load_u16 v1, v[6:7], off
	s_wait_loadcnt 0x0
	v_cvt_f32_f16_e32 v2, v1
.LBB223_548:
	s_mov_b32 s27, 0
.LBB223_549:
	s_delay_alu instid0(SALU_CYCLE_1)
	s_and_not1_b32 vcc_lo, exec_lo, s27
	s_cbranch_vccnz .LBB223_569
; %bb.550:
	s_cmp_lt_i32 s0, 2
	s_cbranch_scc1 .LBB223_554
; %bb.551:
	s_cmp_lt_i32 s0, 3
	s_cbranch_scc1 .LBB223_555
; %bb.552:
	s_cmp_gt_i32 s0, 3
	s_cbranch_scc0 .LBB223_556
; %bb.553:
	s_wait_loadcnt 0x0
	global_load_b64 v[2:3], v[6:7], off
	s_mov_b32 s27, 0
	s_wait_loadcnt 0x0
	v_xor_b32_e32 v1, v2, v3
	v_cls_i32_e32 v5, v3
	s_delay_alu instid0(VALU_DEP_2) | instskip(NEXT) | instid1(VALU_DEP_1)
	v_ashrrev_i32_e32 v1, 31, v1
	v_add_nc_u32_e32 v1, 32, v1
	s_delay_alu instid0(VALU_DEP_1) | instskip(NEXT) | instid1(VALU_DEP_1)
	v_add_min_u32_e64 v1, v5, -1, v1
	v_lshlrev_b64_e32 v[2:3], v1, v[2:3]
	v_sub_nc_u32_e32 v1, 32, v1
	s_delay_alu instid0(VALU_DEP_2) | instskip(NEXT) | instid1(VALU_DEP_1)
	v_min_u32_e32 v2, 1, v2
	v_or_b32_e32 v2, v3, v2
	s_delay_alu instid0(VALU_DEP_1) | instskip(NEXT) | instid1(VALU_DEP_1)
	v_cvt_f32_i32_e32 v2, v2
	v_ldexp_f32 v2, v2, v1
	s_branch .LBB223_557
.LBB223_554:
	s_mov_b32 s27, -1
                                        ; implicit-def: $vgpr2
	s_branch .LBB223_563
.LBB223_555:
	s_mov_b32 s27, -1
                                        ; implicit-def: $vgpr2
	s_branch .LBB223_560
.LBB223_556:
	s_mov_b32 s27, -1
                                        ; implicit-def: $vgpr2
.LBB223_557:
	s_delay_alu instid0(SALU_CYCLE_1)
	s_and_not1_b32 vcc_lo, exec_lo, s27
	s_cbranch_vccnz .LBB223_559
; %bb.558:
	global_load_b32 v1, v[6:7], off
	s_wait_loadcnt 0x0
	v_cvt_f32_i32_e32 v2, v1
.LBB223_559:
	s_mov_b32 s27, 0
.LBB223_560:
	s_delay_alu instid0(SALU_CYCLE_1)
	s_and_not1_b32 vcc_lo, exec_lo, s27
	s_cbranch_vccnz .LBB223_562
; %bb.561:
	global_load_i16 v1, v[6:7], off
	s_wait_loadcnt 0x0
	v_cvt_f32_i32_e32 v2, v1
.LBB223_562:
	s_mov_b32 s27, 0
.LBB223_563:
	s_delay_alu instid0(SALU_CYCLE_1)
	s_and_not1_b32 vcc_lo, exec_lo, s27
	s_cbranch_vccnz .LBB223_569
; %bb.564:
	s_cmp_gt_i32 s0, 0
	s_mov_b32 s0, 0
	s_cbranch_scc0 .LBB223_566
; %bb.565:
	global_load_i8 v1, v[6:7], off
	s_wait_loadcnt 0x0
	v_cvt_f32_i32_e32 v2, v1
	s_branch .LBB223_567
.LBB223_566:
	s_mov_b32 s0, -1
                                        ; implicit-def: $vgpr2
.LBB223_567:
	s_delay_alu instid0(SALU_CYCLE_1)
	s_and_not1_b32 vcc_lo, exec_lo, s0
	s_cbranch_vccnz .LBB223_569
; %bb.568:
	global_load_u8 v1, v[6:7], off
	s_wait_loadcnt 0x0
	v_cvt_f32_ubyte0_e32 v2, v1
.LBB223_569:
	s_branch .LBB223_310
.LBB223_570:
	s_mov_b32 s27, 0
	s_mov_b32 s0, s42
.LBB223_571:
                                        ; implicit-def: $vgpr0
.LBB223_572:
	s_and_not1_b32 s28, s42, exec_lo
	s_and_b32 s0, s0, exec_lo
	s_and_not1_b32 s29, s43, exec_lo
	s_and_b32 s26, s26, exec_lo
	s_or_b32 s46, s28, s0
	s_or_b32 s45, s29, s26
	s_or_not1_b32 s0, s27, exec_lo
.LBB223_573:
	s_wait_xcnt 0x0
	s_or_b32 exec_lo, exec_lo, s47
	s_mov_b32 s27, 0
	s_mov_b32 s26, 0
	;; [unrolled: 1-line block ×3, first 2 shown]
                                        ; implicit-def: $vgpr6_vgpr7
                                        ; implicit-def: $vgpr4
                                        ; implicit-def: $vgpr2
	s_and_saveexec_b32 s47, s0
	s_cbranch_execz .LBB223_968
; %bb.574:
	s_mov_b32 s29, -1
	s_mov_b32 s0, s45
	s_mov_b32 s30, s46
	s_mov_b32 s48, exec_lo
	v_cmpx_gt_i32_e64 s39, v0
	s_cbranch_execz .LBB223_865
; %bb.575:
	s_and_not1_b32 vcc_lo, exec_lo, s36
	s_cbranch_vccnz .LBB223_581
; %bb.576:
	s_and_not1_b32 vcc_lo, exec_lo, s41
	s_cbranch_vccnz .LBB223_582
; %bb.577:
	s_add_co_i32 s0, s40, 1
	s_cmp_eq_u32 s34, 2
	s_cbranch_scc1 .LBB223_583
; %bb.578:
	s_wait_loadcnt 0x0
	v_dual_mov_b32 v4, 0 :: v_dual_mov_b32 v2, 0
	v_mov_b32_e32 v1, v0
	s_and_b32 s26, s0, 28
	s_mov_b64 s[28:29], s[2:3]
	s_mov_b64 s[30:31], s[24:25]
.LBB223_579:                            ; =>This Inner Loop Header: Depth=1
	s_clause 0x1
	s_load_b256 s[52:59], s[28:29], 0x4
	s_load_b128 s[68:71], s[28:29], 0x24
	s_load_b256 s[60:67], s[30:31], 0x0
	s_add_co_i32 s27, s27, 4
	s_wait_xcnt 0x0
	s_add_nc_u64 s[28:29], s[28:29], 48
	s_cmp_eq_u32 s26, s27
	s_add_nc_u64 s[30:31], s[30:31], 32
	s_wait_kmcnt 0x0
	v_mul_hi_u32 v3, s53, v1
	s_delay_alu instid0(VALU_DEP_1) | instskip(NEXT) | instid1(VALU_DEP_1)
	v_add_nc_u32_e32 v3, v1, v3
	v_lshrrev_b32_e32 v3, s54, v3
	s_delay_alu instid0(VALU_DEP_1) | instskip(NEXT) | instid1(VALU_DEP_1)
	v_mul_hi_u32 v5, s56, v3
	v_add_nc_u32_e32 v5, v3, v5
	s_delay_alu instid0(VALU_DEP_1) | instskip(NEXT) | instid1(VALU_DEP_1)
	v_lshrrev_b32_e32 v5, s57, v5
	v_mul_hi_u32 v6, s59, v5
	s_delay_alu instid0(VALU_DEP_1) | instskip(SKIP_1) | instid1(VALU_DEP_1)
	v_add_nc_u32_e32 v6, v5, v6
	v_mul_lo_u32 v7, v3, s52
	v_sub_nc_u32_e32 v1, v1, v7
	v_mul_lo_u32 v7, v5, s55
	s_delay_alu instid0(VALU_DEP_4) | instskip(NEXT) | instid1(VALU_DEP_3)
	v_lshrrev_b32_e32 v6, s68, v6
	v_mad_u32 v2, v1, s61, v2
	v_mad_u32 v1, v1, s60, v4
	s_delay_alu instid0(VALU_DEP_4) | instskip(NEXT) | instid1(VALU_DEP_4)
	v_sub_nc_u32_e32 v3, v3, v7
	v_mul_hi_u32 v8, s70, v6
	v_mul_lo_u32 v4, v6, s58
	s_delay_alu instid0(VALU_DEP_3) | instskip(SKIP_1) | instid1(VALU_DEP_4)
	v_mad_u32 v2, v3, s63, v2
	v_mad_u32 v3, v3, s62, v1
	v_add_nc_u32_e32 v7, v6, v8
	s_delay_alu instid0(VALU_DEP_1) | instskip(NEXT) | instid1(VALU_DEP_1)
	v_dual_sub_nc_u32 v4, v5, v4 :: v_dual_lshrrev_b32 v1, s71, v7
	v_mad_u32 v2, v4, s65, v2
	s_delay_alu instid0(VALU_DEP_4) | instskip(NEXT) | instid1(VALU_DEP_3)
	v_mad_u32 v3, v4, s64, v3
	v_mul_lo_u32 v5, v1, s69
	s_delay_alu instid0(VALU_DEP_1) | instskip(NEXT) | instid1(VALU_DEP_1)
	v_sub_nc_u32_e32 v4, v6, v5
	v_mad_u32 v2, v4, s67, v2
	s_delay_alu instid0(VALU_DEP_4)
	v_mad_u32 v4, v4, s66, v3
	s_cbranch_scc0 .LBB223_579
; %bb.580:
	s_delay_alu instid0(VALU_DEP_2)
	v_mov_b32_e32 v5, v2
	s_branch .LBB223_584
.LBB223_581:
	s_mov_b32 s0, -1
                                        ; implicit-def: $vgpr2
                                        ; implicit-def: $vgpr4
	s_branch .LBB223_589
.LBB223_582:
	s_wait_loadcnt 0x0
	v_dual_mov_b32 v2, 0 :: v_dual_mov_b32 v4, 0
	s_branch .LBB223_588
.LBB223_583:
	v_mov_b64_e32 v[4:5], 0
	v_mov_b32_e32 v1, v0
                                        ; implicit-def: $vgpr2
.LBB223_584:
	s_and_b32 s0, s0, 3
	s_mov_b32 s27, 0
	s_cmp_eq_u32 s0, 0
	s_cbranch_scc1 .LBB223_588
; %bb.585:
	s_lshl_b32 s28, s26, 3
	s_mov_b32 s29, s27
	s_mul_u64 s[30:31], s[26:27], 12
	s_add_nc_u64 s[28:29], s[2:3], s[28:29]
	s_delay_alu instid0(SALU_CYCLE_1)
	s_add_nc_u64 s[26:27], s[28:29], 0xc4
	s_add_nc_u64 s[28:29], s[2:3], s[30:31]
.LBB223_586:                            ; =>This Inner Loop Header: Depth=1
	s_load_b96 s[52:54], s[28:29], 0x4
	s_load_b64 s[30:31], s[26:27], 0x0
	s_add_co_i32 s0, s0, -1
	s_wait_xcnt 0x0
	s_add_nc_u64 s[28:29], s[28:29], 12
	s_cmp_lg_u32 s0, 0
	s_add_nc_u64 s[26:27], s[26:27], 8
	s_wait_loadcnt 0x0
	s_wait_kmcnt 0x0
	v_mul_hi_u32 v2, s53, v1
	s_delay_alu instid0(VALU_DEP_1) | instskip(NEXT) | instid1(VALU_DEP_1)
	v_add_nc_u32_e32 v2, v1, v2
	v_lshrrev_b32_e32 v2, s54, v2
	s_delay_alu instid0(VALU_DEP_1) | instskip(NEXT) | instid1(VALU_DEP_1)
	v_mul_lo_u32 v3, v2, s52
	v_sub_nc_u32_e32 v1, v1, v3
	s_delay_alu instid0(VALU_DEP_1)
	v_mad_u32 v5, v1, s31, v5
	v_mad_u32 v4, v1, s30, v4
	v_mov_b32_e32 v1, v2
	s_cbranch_scc1 .LBB223_586
; %bb.587:
	s_delay_alu instid0(VALU_DEP_3)
	v_mov_b32_e32 v2, v5
.LBB223_588:
	s_mov_b32 s0, 0
.LBB223_589:
	s_delay_alu instid0(SALU_CYCLE_1)
	s_and_not1_b32 vcc_lo, exec_lo, s0
	s_cbranch_vccnz .LBB223_592
; %bb.590:
	v_mov_b32_e32 v1, 0
	s_and_not1_b32 vcc_lo, exec_lo, s38
	s_wait_loadcnt 0x0
	s_delay_alu instid0(VALU_DEP_1) | instskip(NEXT) | instid1(VALU_DEP_1)
	v_mul_u64_e32 v[2:3], s[20:21], v[0:1]
	v_add_nc_u32_e32 v2, v0, v3
	s_delay_alu instid0(VALU_DEP_1) | instskip(NEXT) | instid1(VALU_DEP_1)
	v_lshrrev_b32_e32 v6, s14, v2
	v_mul_lo_u32 v2, v6, s12
	s_delay_alu instid0(VALU_DEP_1) | instskip(NEXT) | instid1(VALU_DEP_1)
	v_sub_nc_u32_e32 v3, v0, v2
	v_mul_lo_u32 v2, v3, s17
	v_mul_lo_u32 v4, v3, s16
	s_cbranch_vccnz .LBB223_592
; %bb.591:
	v_mov_b32_e32 v7, v1
	s_delay_alu instid0(VALU_DEP_1) | instskip(NEXT) | instid1(VALU_DEP_1)
	v_mul_u64_e32 v[8:9], s[22:23], v[6:7]
	v_add_nc_u32_e32 v1, v6, v9
	s_delay_alu instid0(VALU_DEP_1) | instskip(NEXT) | instid1(VALU_DEP_1)
	v_lshrrev_b32_e32 v1, s1, v1
	v_mul_lo_u32 v1, v1, s15
	s_delay_alu instid0(VALU_DEP_1) | instskip(NEXT) | instid1(VALU_DEP_1)
	v_sub_nc_u32_e32 v1, v6, v1
	v_mad_u32 v4, v1, s18, v4
	v_mad_u32 v2, v1, s19, v2
.LBB223_592:
	v_mov_b32_e32 v3, 0
	s_and_b32 s0, 0xffff, s13
	s_delay_alu instid0(SALU_CYCLE_1) | instskip(SKIP_1) | instid1(VALU_DEP_1)
	s_cmp_lt_i32 s0, 11
	s_wait_loadcnt 0x0
	v_add_nc_u64_e32 v[6:7], s[6:7], v[2:3]
	s_cbranch_scc1 .LBB223_599
; %bb.593:
	s_cmp_gt_i32 s0, 25
	s_cbranch_scc0 .LBB223_600
; %bb.594:
	s_cmp_gt_i32 s0, 28
	s_cbranch_scc0 .LBB223_601
	;; [unrolled: 3-line block ×4, first 2 shown]
; %bb.597:
	s_cmp_eq_u32 s0, 46
	s_mov_b32 s28, 0
	s_cbranch_scc0 .LBB223_608
; %bb.598:
	global_load_b32 v1, v[6:7], off
	s_mov_b32 s27, -1
	s_mov_b32 s26, 0
	s_wait_loadcnt 0x0
	v_lshlrev_b32_e32 v2, 16, v1
	s_branch .LBB223_610
.LBB223_599:
	s_mov_b32 s28, -1
	s_mov_b32 s27, 0
	s_mov_b32 s26, s45
                                        ; implicit-def: $vgpr2
	s_branch .LBB223_675
.LBB223_600:
	s_mov_b32 s28, -1
	s_mov_b32 s27, 0
	s_mov_b32 s26, s45
                                        ; implicit-def: $vgpr2
	s_branch .LBB223_639
.LBB223_601:
	s_mov_b32 s28, -1
	s_mov_b32 s27, 0
	s_mov_b32 s26, s45
                                        ; implicit-def: $vgpr2
	s_branch .LBB223_620
.LBB223_602:
	s_mov_b32 s28, -1
	s_mov_b32 s27, 0
	s_mov_b32 s26, s45
                                        ; implicit-def: $vgpr2
	s_branch .LBB223_615
.LBB223_603:
	s_and_not1_saveexec_b32 s31, s31
	s_cbranch_execz .LBB223_370
.LBB223_604:
	v_add_f32_e64 v1, 0x46000000, |v2|
	s_and_not1_b32 s30, s30, exec_lo
	s_delay_alu instid0(VALU_DEP_1) | instskip(NEXT) | instid1(VALU_DEP_1)
	v_and_b32_e32 v1, 0xff, v1
	v_cmp_ne_u32_e32 vcc_lo, 0, v1
	s_and_b32 s45, vcc_lo, exec_lo
	s_delay_alu instid0(SALU_CYCLE_1)
	s_or_b32 s30, s30, s45
	s_or_b32 exec_lo, exec_lo, s31
	v_mov_b32_e32 v3, 0
	s_and_saveexec_b32 s31, s30
	s_cbranch_execnz .LBB223_371
	s_branch .LBB223_372
.LBB223_605:
	s_mov_b32 s28, -1
	s_mov_b32 s27, 0
	s_mov_b32 s26, s45
	s_branch .LBB223_609
.LBB223_606:
	s_and_not1_saveexec_b32 s31, s31
	s_cbranch_execz .LBB223_383
.LBB223_607:
	v_add_f32_e64 v1, 0x42800000, |v2|
	s_and_not1_b32 s30, s30, exec_lo
	s_delay_alu instid0(VALU_DEP_1) | instskip(NEXT) | instid1(VALU_DEP_1)
	v_and_b32_e32 v1, 0xff, v1
	v_cmp_ne_u32_e32 vcc_lo, 0, v1
	s_and_b32 s45, vcc_lo, exec_lo
	s_delay_alu instid0(SALU_CYCLE_1)
	s_or_b32 s30, s30, s45
	s_or_b32 exec_lo, exec_lo, s31
	v_mov_b32_e32 v3, 0
	s_and_saveexec_b32 s31, s30
	s_cbranch_execnz .LBB223_384
	s_branch .LBB223_385
.LBB223_608:
	s_mov_b32 s26, -1
	s_mov_b32 s27, 0
.LBB223_609:
                                        ; implicit-def: $vgpr2
.LBB223_610:
	s_and_b32 vcc_lo, exec_lo, s28
	s_cbranch_vccz .LBB223_614
; %bb.611:
	s_cmp_eq_u32 s0, 44
	s_cbranch_scc0 .LBB223_613
; %bb.612:
	global_load_u8 v1, v[6:7], off
	s_mov_b32 s26, 0
	s_mov_b32 s27, -1
	s_wait_loadcnt 0x0
	v_lshlrev_b32_e32 v2, 23, v1
	v_cmp_ne_u32_e32 vcc_lo, 0xff, v1
	s_delay_alu instid0(VALU_DEP_2) | instskip(SKIP_1) | instid1(VALU_DEP_2)
	v_cndmask_b32_e32 v2, 0x7f800001, v2, vcc_lo
	v_cmp_ne_u32_e32 vcc_lo, 0, v1
	v_cndmask_b32_e32 v2, 0x400000, v2, vcc_lo
	s_branch .LBB223_614
.LBB223_613:
	s_mov_b32 s26, -1
                                        ; implicit-def: $vgpr2
.LBB223_614:
	s_mov_b32 s28, 0
.LBB223_615:
	s_delay_alu instid0(SALU_CYCLE_1)
	s_and_b32 vcc_lo, exec_lo, s28
	s_cbranch_vccz .LBB223_619
; %bb.616:
	s_cmp_eq_u32 s0, 29
	s_cbranch_scc0 .LBB223_618
; %bb.617:
	global_load_b64 v[2:3], v[6:7], off
	s_mov_b32 s27, -1
	s_mov_b32 s26, 0
	s_mov_b32 s28, 0
	s_wait_loadcnt 0x0
	v_clz_i32_u32_e32 v1, v3
	s_delay_alu instid0(VALU_DEP_1) | instskip(NEXT) | instid1(VALU_DEP_1)
	v_min_u32_e32 v1, 32, v1
	v_lshlrev_b64_e32 v[2:3], v1, v[2:3]
	v_sub_nc_u32_e32 v1, 32, v1
	s_delay_alu instid0(VALU_DEP_2) | instskip(NEXT) | instid1(VALU_DEP_1)
	v_min_u32_e32 v2, 1, v2
	v_or_b32_e32 v2, v3, v2
	s_delay_alu instid0(VALU_DEP_1) | instskip(NEXT) | instid1(VALU_DEP_1)
	v_cvt_f32_u32_e32 v2, v2
	v_ldexp_f32 v2, v2, v1
	s_branch .LBB223_620
.LBB223_618:
	s_mov_b32 s26, -1
                                        ; implicit-def: $vgpr2
.LBB223_619:
	s_mov_b32 s28, 0
.LBB223_620:
	s_delay_alu instid0(SALU_CYCLE_1)
	s_and_b32 vcc_lo, exec_lo, s28
	s_cbranch_vccz .LBB223_638
; %bb.621:
	s_cmp_lt_i32 s0, 27
	s_cbranch_scc1 .LBB223_624
; %bb.622:
	s_cmp_gt_i32 s0, 27
	s_cbranch_scc0 .LBB223_625
; %bb.623:
	global_load_b32 v1, v[6:7], off
	s_mov_b32 s27, 0
	s_wait_loadcnt 0x0
	v_cvt_f32_u32_e32 v2, v1
	s_branch .LBB223_626
.LBB223_624:
	s_mov_b32 s27, -1
                                        ; implicit-def: $vgpr2
	s_branch .LBB223_629
.LBB223_625:
	s_mov_b32 s27, -1
                                        ; implicit-def: $vgpr2
.LBB223_626:
	s_delay_alu instid0(SALU_CYCLE_1)
	s_and_not1_b32 vcc_lo, exec_lo, s27
	s_cbranch_vccnz .LBB223_628
; %bb.627:
	global_load_u16 v1, v[6:7], off
	s_wait_loadcnt 0x0
	v_cvt_f32_u32_e32 v2, v1
.LBB223_628:
	s_mov_b32 s27, 0
.LBB223_629:
	s_delay_alu instid0(SALU_CYCLE_1)
	s_and_not1_b32 vcc_lo, exec_lo, s27
	s_cbranch_vccnz .LBB223_637
; %bb.630:
	global_load_u8 v1, v[6:7], off
	s_mov_b32 s27, 0
	s_mov_b32 s28, exec_lo
	s_wait_loadcnt 0x0
	v_cmpx_lt_i16_e32 0x7f, v1
	s_xor_b32 s28, exec_lo, s28
	s_cbranch_execz .LBB223_651
; %bb.631:
	s_mov_b32 s27, -1
	s_mov_b32 s29, exec_lo
	v_cmpx_eq_u16_e32 0x80, v1
; %bb.632:
	s_xor_b32 s27, exec_lo, -1
; %bb.633:
	s_or_b32 exec_lo, exec_lo, s29
	s_delay_alu instid0(SALU_CYCLE_1)
	s_and_b32 s27, s27, exec_lo
	s_or_saveexec_b32 s28, s28
	v_mov_b32_e32 v2, 0x7f800001
	s_xor_b32 exec_lo, exec_lo, s28
	s_cbranch_execnz .LBB223_652
.LBB223_634:
	s_or_b32 exec_lo, exec_lo, s28
	s_and_saveexec_b32 s28, s27
	s_cbranch_execz .LBB223_636
.LBB223_635:
	v_and_b32_e32 v2, 0xffff, v1
	s_delay_alu instid0(VALU_DEP_1) | instskip(SKIP_1) | instid1(VALU_DEP_2)
	v_and_b32_e32 v3, 7, v2
	v_bfe_u32 v9, v2, 3, 4
	v_clz_i32_u32_e32 v5, v3
	s_delay_alu instid0(VALU_DEP_2) | instskip(NEXT) | instid1(VALU_DEP_2)
	v_cmp_eq_u32_e32 vcc_lo, 0, v9
	v_min_u32_e32 v5, 32, v5
	s_delay_alu instid0(VALU_DEP_1) | instskip(NEXT) | instid1(VALU_DEP_1)
	v_subrev_nc_u32_e32 v8, 28, v5
	v_dual_lshlrev_b32 v2, v8, v2 :: v_dual_sub_nc_u32 v5, 29, v5
	s_delay_alu instid0(VALU_DEP_1) | instskip(NEXT) | instid1(VALU_DEP_1)
	v_dual_lshlrev_b32 v1, 24, v1 :: v_dual_bitop2_b32 v2, 7, v2 bitop3:0x40
	v_dual_cndmask_b32 v2, v3, v2 :: v_dual_cndmask_b32 v5, v9, v5
	s_delay_alu instid0(VALU_DEP_2) | instskip(NEXT) | instid1(VALU_DEP_2)
	v_and_b32_e32 v1, 0x80000000, v1
	v_lshlrev_b32_e32 v2, 20, v2
	s_delay_alu instid0(VALU_DEP_3) | instskip(NEXT) | instid1(VALU_DEP_1)
	v_lshl_add_u32 v3, v5, 23, 0x3b800000
	v_or3_b32 v2, v1, v3, v2
.LBB223_636:
	s_or_b32 exec_lo, exec_lo, s28
.LBB223_637:
	s_mov_b32 s27, -1
.LBB223_638:
	s_mov_b32 s28, 0
.LBB223_639:
	s_delay_alu instid0(SALU_CYCLE_1)
	s_and_b32 vcc_lo, exec_lo, s28
	s_cbranch_vccz .LBB223_674
; %bb.640:
	s_cmp_gt_i32 s0, 22
	s_cbranch_scc0 .LBB223_650
; %bb.641:
	s_cmp_lt_i32 s0, 24
	s_cbranch_scc1 .LBB223_653
; %bb.642:
	s_cmp_gt_i32 s0, 24
	s_cbranch_scc0 .LBB223_654
; %bb.643:
	global_load_u8 v1, v[6:7], off
	s_mov_b32 s27, 0
	s_mov_b32 s28, exec_lo
	s_wait_loadcnt 0x0
	v_cmpx_lt_i16_e32 0x7f, v1
	s_xor_b32 s28, exec_lo, s28
	s_cbranch_execz .LBB223_666
; %bb.644:
	s_mov_b32 s27, -1
	s_mov_b32 s29, exec_lo
	v_cmpx_eq_u16_e32 0x80, v1
; %bb.645:
	s_xor_b32 s27, exec_lo, -1
; %bb.646:
	s_or_b32 exec_lo, exec_lo, s29
	s_delay_alu instid0(SALU_CYCLE_1)
	s_and_b32 s27, s27, exec_lo
	s_or_saveexec_b32 s28, s28
	v_mov_b32_e32 v2, 0x7f800001
	s_xor_b32 exec_lo, exec_lo, s28
	s_cbranch_execnz .LBB223_667
.LBB223_647:
	s_or_b32 exec_lo, exec_lo, s28
	s_and_saveexec_b32 s28, s27
	s_cbranch_execz .LBB223_649
.LBB223_648:
	v_and_b32_e32 v2, 0xffff, v1
	s_delay_alu instid0(VALU_DEP_1) | instskip(SKIP_1) | instid1(VALU_DEP_2)
	v_and_b32_e32 v3, 3, v2
	v_bfe_u32 v9, v2, 2, 5
	v_clz_i32_u32_e32 v5, v3
	s_delay_alu instid0(VALU_DEP_2) | instskip(NEXT) | instid1(VALU_DEP_2)
	v_cmp_eq_u32_e32 vcc_lo, 0, v9
	v_min_u32_e32 v5, 32, v5
	s_delay_alu instid0(VALU_DEP_1) | instskip(NEXT) | instid1(VALU_DEP_1)
	v_subrev_nc_u32_e32 v8, 29, v5
	v_dual_lshlrev_b32 v2, v8, v2 :: v_dual_sub_nc_u32 v5, 30, v5
	s_delay_alu instid0(VALU_DEP_1) | instskip(NEXT) | instid1(VALU_DEP_1)
	v_dual_lshlrev_b32 v1, 24, v1 :: v_dual_bitop2_b32 v2, 3, v2 bitop3:0x40
	v_dual_cndmask_b32 v2, v3, v2 :: v_dual_cndmask_b32 v5, v9, v5
	s_delay_alu instid0(VALU_DEP_2) | instskip(NEXT) | instid1(VALU_DEP_2)
	v_and_b32_e32 v1, 0x80000000, v1
	v_lshlrev_b32_e32 v2, 21, v2
	s_delay_alu instid0(VALU_DEP_3) | instskip(NEXT) | instid1(VALU_DEP_1)
	v_lshl_add_u32 v3, v5, 23, 0x37800000
	v_or3_b32 v2, v1, v3, v2
.LBB223_649:
	s_or_b32 exec_lo, exec_lo, s28
	s_mov_b32 s27, 0
	s_branch .LBB223_655
.LBB223_650:
	s_mov_b32 s28, -1
                                        ; implicit-def: $vgpr2
	s_branch .LBB223_661
.LBB223_651:
	s_or_saveexec_b32 s28, s28
	v_mov_b32_e32 v2, 0x7f800001
	s_xor_b32 exec_lo, exec_lo, s28
	s_cbranch_execz .LBB223_634
.LBB223_652:
	v_cmp_ne_u16_e32 vcc_lo, 0, v1
	v_mov_b32_e32 v2, 0
	s_and_not1_b32 s27, s27, exec_lo
	s_and_b32 s29, vcc_lo, exec_lo
	s_delay_alu instid0(SALU_CYCLE_1)
	s_or_b32 s27, s27, s29
	s_or_b32 exec_lo, exec_lo, s28
	s_and_saveexec_b32 s28, s27
	s_cbranch_execnz .LBB223_635
	s_branch .LBB223_636
.LBB223_653:
	s_mov_b32 s27, -1
                                        ; implicit-def: $vgpr2
	s_branch .LBB223_658
.LBB223_654:
	s_mov_b32 s27, -1
                                        ; implicit-def: $vgpr2
.LBB223_655:
	s_delay_alu instid0(SALU_CYCLE_1)
	s_and_b32 vcc_lo, exec_lo, s27
	s_cbranch_vccz .LBB223_657
; %bb.656:
	global_load_u8 v1, v[6:7], off
	s_wait_loadcnt 0x0
	v_lshlrev_b32_e32 v1, 24, v1
	s_delay_alu instid0(VALU_DEP_1) | instskip(NEXT) | instid1(VALU_DEP_1)
	v_and_b32_e32 v2, 0x7f000000, v1
	v_clz_i32_u32_e32 v3, v2
	v_add_nc_u32_e32 v8, 0x1000000, v2
	v_cmp_ne_u32_e32 vcc_lo, 0, v2
	s_delay_alu instid0(VALU_DEP_3) | instskip(NEXT) | instid1(VALU_DEP_1)
	v_min_u32_e32 v3, 32, v3
	v_sub_nc_u32_e64 v3, v3, 4 clamp
	s_delay_alu instid0(VALU_DEP_1) | instskip(NEXT) | instid1(VALU_DEP_1)
	v_dual_lshlrev_b32 v5, v3, v2 :: v_dual_lshlrev_b32 v3, 23, v3
	v_lshrrev_b32_e32 v5, 4, v5
	s_delay_alu instid0(VALU_DEP_1) | instskip(NEXT) | instid1(VALU_DEP_1)
	v_dual_sub_nc_u32 v3, v5, v3 :: v_dual_ashrrev_i32 v5, 8, v8
	v_add_nc_u32_e32 v3, 0x3c000000, v3
	s_delay_alu instid0(VALU_DEP_1) | instskip(NEXT) | instid1(VALU_DEP_1)
	v_and_or_b32 v3, 0x7f800000, v5, v3
	v_cndmask_b32_e32 v2, 0, v3, vcc_lo
	s_delay_alu instid0(VALU_DEP_1)
	v_and_or_b32 v2, 0x80000000, v1, v2
.LBB223_657:
	s_mov_b32 s27, 0
.LBB223_658:
	s_delay_alu instid0(SALU_CYCLE_1)
	s_and_not1_b32 vcc_lo, exec_lo, s27
	s_cbranch_vccnz .LBB223_660
; %bb.659:
	global_load_u8 v1, v[6:7], off
	s_wait_loadcnt 0x0
	v_lshlrev_b32_e32 v2, 25, v1
	v_lshlrev_b16 v1, 8, v1
	s_delay_alu instid0(VALU_DEP_1) | instskip(NEXT) | instid1(VALU_DEP_3)
	v_and_or_b32 v5, 0x7f00, v1, 0.5
	v_lshrrev_b32_e32 v3, 4, v2
	v_bfe_i32 v1, v1, 0, 16
	s_delay_alu instid0(VALU_DEP_3) | instskip(NEXT) | instid1(VALU_DEP_3)
	v_add_f32_e32 v5, -0.5, v5
	v_or_b32_e32 v3, 0x70000000, v3
	s_delay_alu instid0(VALU_DEP_1) | instskip(SKIP_1) | instid1(VALU_DEP_2)
	v_mul_f32_e32 v3, 0x7800000, v3
	v_cmp_gt_u32_e32 vcc_lo, 0x8000000, v2
	v_cndmask_b32_e32 v2, v3, v5, vcc_lo
	s_delay_alu instid0(VALU_DEP_1)
	v_and_or_b32 v2, 0x80000000, v1, v2
.LBB223_660:
	s_mov_b32 s28, 0
	s_mov_b32 s27, -1
.LBB223_661:
	s_and_not1_b32 vcc_lo, exec_lo, s28
	s_cbranch_vccnz .LBB223_674
; %bb.662:
	s_cmp_gt_i32 s0, 14
	s_cbranch_scc0 .LBB223_665
; %bb.663:
	s_cmp_eq_u32 s0, 15
	s_cbranch_scc0 .LBB223_668
; %bb.664:
	global_load_u16 v1, v[6:7], off
	s_mov_b32 s27, -1
	s_mov_b32 s26, 0
	s_wait_loadcnt 0x0
	v_lshlrev_b32_e32 v2, 16, v1
	s_branch .LBB223_669
.LBB223_665:
	s_mov_b32 s28, -1
                                        ; implicit-def: $vgpr2
	s_branch .LBB223_670
.LBB223_666:
	s_or_saveexec_b32 s28, s28
	v_mov_b32_e32 v2, 0x7f800001
	s_xor_b32 exec_lo, exec_lo, s28
	s_cbranch_execz .LBB223_647
.LBB223_667:
	v_cmp_ne_u16_e32 vcc_lo, 0, v1
	v_mov_b32_e32 v2, 0
	s_and_not1_b32 s27, s27, exec_lo
	s_and_b32 s29, vcc_lo, exec_lo
	s_delay_alu instid0(SALU_CYCLE_1)
	s_or_b32 s27, s27, s29
	s_or_b32 exec_lo, exec_lo, s28
	s_and_saveexec_b32 s28, s27
	s_cbranch_execnz .LBB223_648
	s_branch .LBB223_649
.LBB223_668:
	s_mov_b32 s26, -1
                                        ; implicit-def: $vgpr2
.LBB223_669:
	s_mov_b32 s28, 0
.LBB223_670:
	s_delay_alu instid0(SALU_CYCLE_1)
	s_and_b32 vcc_lo, exec_lo, s28
	s_cbranch_vccz .LBB223_674
; %bb.671:
	s_cmp_eq_u32 s0, 11
	s_cbranch_scc0 .LBB223_673
; %bb.672:
	global_load_u8 v1, v[6:7], off
	s_mov_b32 s26, 0
	s_mov_b32 s27, -1
	s_wait_loadcnt 0x0
	v_cmp_ne_u16_e32 vcc_lo, 0, v1
	v_cndmask_b32_e64 v2, 0, 1.0, vcc_lo
	s_branch .LBB223_674
.LBB223_673:
	s_mov_b32 s26, -1
                                        ; implicit-def: $vgpr2
.LBB223_674:
	s_mov_b32 s28, 0
.LBB223_675:
	s_delay_alu instid0(SALU_CYCLE_1)
	s_and_b32 vcc_lo, exec_lo, s28
	s_cbranch_vccz .LBB223_724
; %bb.676:
	s_cmp_lt_i32 s0, 5
	s_cbranch_scc1 .LBB223_681
; %bb.677:
	s_cmp_lt_i32 s0, 8
	s_cbranch_scc1 .LBB223_682
	;; [unrolled: 3-line block ×3, first 2 shown]
; %bb.679:
	s_cmp_gt_i32 s0, 9
	s_cbranch_scc0 .LBB223_684
; %bb.680:
	global_load_b64 v[2:3], v[6:7], off
	s_mov_b32 s27, 0
	s_wait_loadcnt 0x0
	v_cvt_f32_f64_e32 v2, v[2:3]
	s_branch .LBB223_685
.LBB223_681:
	s_mov_b32 s27, -1
                                        ; implicit-def: $vgpr2
	s_branch .LBB223_703
.LBB223_682:
	s_mov_b32 s27, -1
                                        ; implicit-def: $vgpr2
	s_branch .LBB223_691
.LBB223_683:
	s_mov_b32 s27, -1
                                        ; implicit-def: $vgpr2
	s_branch .LBB223_688
.LBB223_684:
	s_mov_b32 s27, -1
                                        ; implicit-def: $vgpr2
.LBB223_685:
	s_delay_alu instid0(SALU_CYCLE_1)
	s_and_not1_b32 vcc_lo, exec_lo, s27
	s_cbranch_vccnz .LBB223_687
; %bb.686:
	global_load_b32 v2, v[6:7], off
.LBB223_687:
	s_mov_b32 s27, 0
.LBB223_688:
	s_delay_alu instid0(SALU_CYCLE_1)
	s_and_not1_b32 vcc_lo, exec_lo, s27
	s_cbranch_vccnz .LBB223_690
; %bb.689:
	global_load_b32 v1, v[6:7], off
	s_wait_loadcnt 0x0
	v_cvt_f32_f16_e32 v2, v1
.LBB223_690:
	s_mov_b32 s27, 0
.LBB223_691:
	s_delay_alu instid0(SALU_CYCLE_1)
	s_and_not1_b32 vcc_lo, exec_lo, s27
	s_cbranch_vccnz .LBB223_702
; %bb.692:
	s_cmp_lt_i32 s0, 6
	s_cbranch_scc1 .LBB223_695
; %bb.693:
	s_cmp_gt_i32 s0, 6
	s_cbranch_scc0 .LBB223_696
; %bb.694:
	s_wait_loadcnt 0x0
	global_load_b64 v[2:3], v[6:7], off
	s_mov_b32 s27, 0
	s_wait_loadcnt 0x0
	v_cvt_f32_f64_e32 v2, v[2:3]
	s_branch .LBB223_697
.LBB223_695:
	s_mov_b32 s27, -1
                                        ; implicit-def: $vgpr2
	s_branch .LBB223_700
.LBB223_696:
	s_mov_b32 s27, -1
                                        ; implicit-def: $vgpr2
.LBB223_697:
	s_delay_alu instid0(SALU_CYCLE_1)
	s_and_not1_b32 vcc_lo, exec_lo, s27
	s_cbranch_vccnz .LBB223_699
; %bb.698:
	s_wait_loadcnt 0x0
	global_load_b32 v2, v[6:7], off
.LBB223_699:
	s_mov_b32 s27, 0
.LBB223_700:
	s_delay_alu instid0(SALU_CYCLE_1)
	s_and_not1_b32 vcc_lo, exec_lo, s27
	s_cbranch_vccnz .LBB223_702
; %bb.701:
	global_load_u16 v1, v[6:7], off
	s_wait_loadcnt 0x0
	v_cvt_f32_f16_e32 v2, v1
.LBB223_702:
	s_mov_b32 s27, 0
.LBB223_703:
	s_delay_alu instid0(SALU_CYCLE_1)
	s_and_not1_b32 vcc_lo, exec_lo, s27
	s_cbranch_vccnz .LBB223_723
; %bb.704:
	s_cmp_lt_i32 s0, 2
	s_cbranch_scc1 .LBB223_708
; %bb.705:
	s_cmp_lt_i32 s0, 3
	s_cbranch_scc1 .LBB223_709
; %bb.706:
	s_cmp_gt_i32 s0, 3
	s_cbranch_scc0 .LBB223_710
; %bb.707:
	s_wait_loadcnt 0x0
	global_load_b64 v[2:3], v[6:7], off
	s_mov_b32 s27, 0
	s_wait_loadcnt 0x0
	v_xor_b32_e32 v1, v2, v3
	v_cls_i32_e32 v5, v3
	s_delay_alu instid0(VALU_DEP_2) | instskip(NEXT) | instid1(VALU_DEP_1)
	v_ashrrev_i32_e32 v1, 31, v1
	v_add_nc_u32_e32 v1, 32, v1
	s_delay_alu instid0(VALU_DEP_1) | instskip(NEXT) | instid1(VALU_DEP_1)
	v_add_min_u32_e64 v1, v5, -1, v1
	v_lshlrev_b64_e32 v[2:3], v1, v[2:3]
	v_sub_nc_u32_e32 v1, 32, v1
	s_delay_alu instid0(VALU_DEP_2) | instskip(NEXT) | instid1(VALU_DEP_1)
	v_min_u32_e32 v2, 1, v2
	v_or_b32_e32 v2, v3, v2
	s_delay_alu instid0(VALU_DEP_1) | instskip(NEXT) | instid1(VALU_DEP_1)
	v_cvt_f32_i32_e32 v2, v2
	v_ldexp_f32 v2, v2, v1
	s_branch .LBB223_711
.LBB223_708:
	s_mov_b32 s27, -1
                                        ; implicit-def: $vgpr2
	s_branch .LBB223_717
.LBB223_709:
	s_mov_b32 s27, -1
                                        ; implicit-def: $vgpr2
	s_branch .LBB223_714
.LBB223_710:
	s_mov_b32 s27, -1
                                        ; implicit-def: $vgpr2
.LBB223_711:
	s_delay_alu instid0(SALU_CYCLE_1)
	s_and_not1_b32 vcc_lo, exec_lo, s27
	s_cbranch_vccnz .LBB223_713
; %bb.712:
	global_load_b32 v1, v[6:7], off
	s_wait_loadcnt 0x0
	v_cvt_f32_i32_e32 v2, v1
.LBB223_713:
	s_mov_b32 s27, 0
.LBB223_714:
	s_delay_alu instid0(SALU_CYCLE_1)
	s_and_not1_b32 vcc_lo, exec_lo, s27
	s_cbranch_vccnz .LBB223_716
; %bb.715:
	global_load_i16 v1, v[6:7], off
	s_wait_loadcnt 0x0
	v_cvt_f32_i32_e32 v2, v1
.LBB223_716:
	s_mov_b32 s27, 0
.LBB223_717:
	s_delay_alu instid0(SALU_CYCLE_1)
	s_and_not1_b32 vcc_lo, exec_lo, s27
	s_cbranch_vccnz .LBB223_723
; %bb.718:
	s_cmp_gt_i32 s0, 0
	s_mov_b32 s0, 0
	s_cbranch_scc0 .LBB223_720
; %bb.719:
	global_load_i8 v1, v[6:7], off
	s_wait_loadcnt 0x0
	v_cvt_f32_i32_e32 v2, v1
	s_branch .LBB223_721
.LBB223_720:
	s_mov_b32 s0, -1
                                        ; implicit-def: $vgpr2
.LBB223_721:
	s_delay_alu instid0(SALU_CYCLE_1)
	s_and_not1_b32 vcc_lo, exec_lo, s0
	s_cbranch_vccnz .LBB223_723
; %bb.722:
	global_load_u8 v1, v[6:7], off
	s_wait_loadcnt 0x0
	v_cvt_f32_ubyte0_e32 v2, v1
.LBB223_723:
	s_mov_b32 s27, -1
.LBB223_724:
	s_delay_alu instid0(SALU_CYCLE_1)
	s_and_not1_b32 vcc_lo, exec_lo, s27
	s_cbranch_vccnz .LBB223_729
; %bb.725:
	s_mov_b32 s0, exec_lo
	s_wait_loadcnt 0x0
	s_delay_alu instid0(VALU_DEP_1)
	v_cmpx_o_f32_e32 v2, v2
	s_cbranch_execz .LBB223_738
; %bb.726:
	s_cmp_lt_i32 s8, 1
	s_mov_b32 s27, 0
	s_cbranch_scc1 .LBB223_730
; %bb.727:
	s_cmp_eq_u32 s8, 1
	s_cbranch_scc0 .LBB223_731
; %bb.728:
	v_max_num_f32_e64 v1, s9, s9
	v_max_num_f32_e32 v3, v2, v2
	s_mov_b32 s28, 0
	s_delay_alu instid0(VALU_DEP_1)
	v_min_num_f32_e32 v1, v3, v1
	s_branch .LBB223_732
.LBB223_729:
	s_mov_b32 s27, 0
	s_mov_b32 s0, s46
	s_branch .LBB223_863
.LBB223_730:
	s_mov_b32 s29, -1
	s_mov_b32 s28, 0
                                        ; implicit-def: $vgpr1
	s_branch .LBB223_733
.LBB223_731:
	s_mov_b32 s28, -1
                                        ; implicit-def: $vgpr1
.LBB223_732:
	s_mov_b32 s29, 0
.LBB223_733:
	s_delay_alu instid0(SALU_CYCLE_1)
	s_and_b32 vcc_lo, exec_lo, s29
	s_cbranch_vccz .LBB223_745
; %bb.734:
	s_cmp_lg_u32 s8, 0
	s_mov_b32 s27, -1
	s_cselect_b32 s28, -1, 0
	s_delay_alu instid0(SALU_CYCLE_1)
	s_and_not1_b32 vcc_lo, exec_lo, s28
	s_cbranch_vccz .LBB223_746
.LBB223_735:
	s_and_not1_b32 vcc_lo, exec_lo, s27
	s_cbranch_vccnz .LBB223_737
.LBB223_736:
	v_max_num_f32_e64 v1, s9, s9
	v_max_num_f32_e32 v2, v2, v2
	s_delay_alu instid0(VALU_DEP_1)
	v_max_num_f32_e32 v1, v2, v1
.LBB223_737:
	s_delay_alu instid0(VALU_DEP_1)
	v_mov_b32_e32 v2, v1
.LBB223_738:
	s_or_b32 exec_lo, exec_lo, s0
	v_mov_b32_e32 v5, 0
	s_and_b32 s27, s11, 0xff
	s_delay_alu instid0(SALU_CYCLE_1) | instskip(NEXT) | instid1(VALU_DEP_1)
	s_cmp_lt_i32 s27, 11
	v_add_nc_u64_e32 v[4:5], s[4:5], v[4:5]
	s_cbranch_scc1 .LBB223_747
; %bb.739:
	s_and_b32 s28, 0xffff, s27
	s_delay_alu instid0(SALU_CYCLE_1)
	s_cmp_gt_i32 s28, 25
	s_cbranch_scc0 .LBB223_748
; %bb.740:
	s_cmp_gt_i32 s28, 28
	s_cbranch_scc0 .LBB223_749
; %bb.741:
	;; [unrolled: 3-line block ×4, first 2 shown]
	s_mov_b32 s30, 0
	s_mov_b32 s0, -1
	s_cmp_eq_u32 s28, 46
	s_mov_b32 s29, 0
	s_cbranch_scc0 .LBB223_752
; %bb.744:
	v_bfe_u32 v1, v2, 16, 1
	v_cmp_o_f32_e32 vcc_lo, v2, v2
	s_mov_b32 s29, -1
	s_mov_b32 s0, 0
	s_delay_alu instid0(VALU_DEP_2) | instskip(NEXT) | instid1(VALU_DEP_1)
	v_add3_u32 v1, v2, v1, 0x7fff
	v_lshrrev_b32_e32 v1, 16, v1
	s_delay_alu instid0(VALU_DEP_1)
	v_cndmask_b32_e32 v1, 0x7fc0, v1, vcc_lo
	global_store_b32 v[4:5], v1, off
	s_branch .LBB223_752
.LBB223_745:
	s_and_not1_b32 vcc_lo, exec_lo, s28
	s_cbranch_vccnz .LBB223_735
.LBB223_746:
	v_max_num_f32_e64 v1, s9, s9
	v_max_num_f32_e32 v3, v2, v2
	v_max_num_f32_e64 v5, s10, s10
	s_delay_alu instid0(VALU_DEP_1)
	v_maxmin_num_f32 v1, v3, v1, v5
	s_cbranch_execz .LBB223_736
	s_branch .LBB223_737
.LBB223_747:
	s_mov_b32 s28, -1
	s_mov_b32 s29, 0
	s_mov_b32 s0, s46
	s_branch .LBB223_821
.LBB223_748:
	s_mov_b32 s30, -1
	s_mov_b32 s29, 0
	s_mov_b32 s0, s46
	s_branch .LBB223_779
.LBB223_749:
	s_mov_b32 s30, -1
	s_mov_b32 s29, 0
	s_mov_b32 s0, s46
	s_branch .LBB223_762
.LBB223_750:
	s_mov_b32 s30, -1
	s_mov_b32 s29, 0
	s_mov_b32 s0, s46
	s_branch .LBB223_758
.LBB223_751:
	s_mov_b32 s30, -1
	s_mov_b32 s29, 0
	s_mov_b32 s0, s46
.LBB223_752:
	s_and_b32 vcc_lo, exec_lo, s30
	s_cbranch_vccz .LBB223_757
; %bb.753:
	s_cmp_eq_u32 s28, 44
	s_mov_b32 s0, -1
	s_cbranch_scc0 .LBB223_757
; %bb.754:
	v_bfe_u32 v3, v2, 23, 8
	s_wait_xcnt 0x0
	v_mov_b32_e32 v1, 0xff
	s_mov_b32 s29, exec_lo
	s_delay_alu instid0(VALU_DEP_2)
	v_cmpx_ne_u32_e32 0xff, v3
	s_cbranch_execz .LBB223_756
; %bb.755:
	v_and_b32_e32 v1, 0x400000, v2
	v_and_or_b32 v3, 0x3fffff, v2, v3
	s_delay_alu instid0(VALU_DEP_2) | instskip(NEXT) | instid1(VALU_DEP_2)
	v_cmp_ne_u32_e32 vcc_lo, 0, v1
	v_cmp_ne_u32_e64 s0, 0, v3
	v_lshrrev_b32_e32 v1, 23, v2
	s_and_b32 s0, vcc_lo, s0
	s_delay_alu instid0(SALU_CYCLE_1) | instskip(NEXT) | instid1(VALU_DEP_1)
	v_cndmask_b32_e64 v3, 0, 1, s0
	v_add_nc_u32_e32 v1, v1, v3
.LBB223_756:
	s_or_b32 exec_lo, exec_lo, s29
	s_mov_b32 s29, -1
	s_mov_b32 s0, 0
	global_store_b8 v[4:5], v1, off
.LBB223_757:
	s_mov_b32 s30, 0
.LBB223_758:
	s_delay_alu instid0(SALU_CYCLE_1)
	s_and_b32 vcc_lo, exec_lo, s30
	s_cbranch_vccz .LBB223_761
; %bb.759:
	s_cmp_eq_u32 s28, 29
	s_mov_b32 s0, -1
	s_cbranch_scc0 .LBB223_761
; %bb.760:
	s_wait_xcnt 0x0
	v_trunc_f32_e32 v1, v2
	s_mov_b32 s29, -1
	s_mov_b32 s0, 0
	s_mov_b32 s30, 0
	s_delay_alu instid0(VALU_DEP_1) | instskip(NEXT) | instid1(VALU_DEP_1)
	v_mul_f32_e32 v3, 0x2f800000, v1
	v_floor_f32_e32 v3, v3
	s_delay_alu instid0(VALU_DEP_1) | instskip(SKIP_1) | instid1(VALU_DEP_2)
	v_fmamk_f32 v1, v3, 0xcf800000, v1
	v_cvt_u32_f32_e32 v7, v3
	v_cvt_u32_f32_e32 v6, v1
	global_store_b64 v[4:5], v[6:7], off
	s_branch .LBB223_762
.LBB223_761:
	s_mov_b32 s30, 0
.LBB223_762:
	s_delay_alu instid0(SALU_CYCLE_1)
	s_and_b32 vcc_lo, exec_lo, s30
	s_cbranch_vccz .LBB223_778
; %bb.763:
	s_cmp_lt_i32 s28, 27
	s_mov_b32 s29, -1
	s_cbranch_scc1 .LBB223_769
; %bb.764:
	s_wait_xcnt 0x0
	v_cvt_u32_f32_e32 v1, v2
	s_cmp_gt_i32 s28, 27
	s_cbranch_scc0 .LBB223_766
; %bb.765:
	s_mov_b32 s29, 0
	global_store_b32 v[4:5], v1, off
.LBB223_766:
	s_and_not1_b32 vcc_lo, exec_lo, s29
	s_cbranch_vccnz .LBB223_768
; %bb.767:
	global_store_b16 v[4:5], v1, off
.LBB223_768:
	s_mov_b32 s29, 0
.LBB223_769:
	s_delay_alu instid0(SALU_CYCLE_1)
	s_and_not1_b32 vcc_lo, exec_lo, s29
	s_cbranch_vccnz .LBB223_777
; %bb.770:
	s_wait_xcnt 0x0
	v_and_b32_e32 v1, 0x7fffffff, v2
	v_mov_b32_e32 v3, 0x80
	s_mov_b32 s29, exec_lo
	s_delay_alu instid0(VALU_DEP_2)
	v_cmpx_gt_u32_e32 0x43800000, v1
	s_cbranch_execz .LBB223_776
; %bb.771:
	v_cmp_lt_u32_e32 vcc_lo, 0x3bffffff, v1
	s_mov_b32 s30, 0
                                        ; implicit-def: $vgpr1
	s_and_saveexec_b32 s31, vcc_lo
	s_delay_alu instid0(SALU_CYCLE_1)
	s_xor_b32 s31, exec_lo, s31
	s_cbranch_execz .LBB223_895
; %bb.772:
	v_bfe_u32 v1, v2, 20, 1
	s_mov_b32 s30, exec_lo
	s_delay_alu instid0(VALU_DEP_1) | instskip(NEXT) | instid1(VALU_DEP_1)
	v_add3_u32 v1, v2, v1, 0x487ffff
	v_lshrrev_b32_e32 v1, 20, v1
	s_and_not1_saveexec_b32 s31, s31
	s_cbranch_execnz .LBB223_896
.LBB223_773:
	s_or_b32 exec_lo, exec_lo, s31
	v_mov_b32_e32 v3, 0
	s_and_saveexec_b32 s31, s30
.LBB223_774:
	v_lshrrev_b32_e32 v3, 24, v2
	s_delay_alu instid0(VALU_DEP_1)
	v_and_or_b32 v3, 0x80, v3, v1
.LBB223_775:
	s_or_b32 exec_lo, exec_lo, s31
.LBB223_776:
	s_delay_alu instid0(SALU_CYCLE_1)
	s_or_b32 exec_lo, exec_lo, s29
	global_store_b8 v[4:5], v3, off
.LBB223_777:
	s_mov_b32 s29, -1
.LBB223_778:
	s_mov_b32 s30, 0
.LBB223_779:
	s_delay_alu instid0(SALU_CYCLE_1)
	s_and_b32 vcc_lo, exec_lo, s30
	s_cbranch_vccz .LBB223_820
; %bb.780:
	s_cmp_gt_i32 s28, 22
	s_mov_b32 s30, -1
	s_cbranch_scc0 .LBB223_812
; %bb.781:
	s_cmp_lt_i32 s28, 24
	s_mov_b32 s29, -1
	s_cbranch_scc1 .LBB223_801
; %bb.782:
	s_cmp_gt_i32 s28, 24
	s_cbranch_scc0 .LBB223_790
; %bb.783:
	s_wait_xcnt 0x0
	v_and_b32_e32 v1, 0x7fffffff, v2
	v_mov_b32_e32 v3, 0x80
	s_mov_b32 s29, exec_lo
	s_delay_alu instid0(VALU_DEP_2)
	v_cmpx_gt_u32_e32 0x47800000, v1
	s_cbranch_execz .LBB223_789
; %bb.784:
	v_cmp_lt_u32_e32 vcc_lo, 0x37ffffff, v1
	s_mov_b32 s30, 0
                                        ; implicit-def: $vgpr1
	s_and_saveexec_b32 s31, vcc_lo
	s_delay_alu instid0(SALU_CYCLE_1)
	s_xor_b32 s31, exec_lo, s31
	s_cbranch_execz .LBB223_898
; %bb.785:
	v_bfe_u32 v1, v2, 21, 1
	s_mov_b32 s30, exec_lo
	s_delay_alu instid0(VALU_DEP_1) | instskip(NEXT) | instid1(VALU_DEP_1)
	v_add3_u32 v1, v2, v1, 0x88fffff
	v_lshrrev_b32_e32 v1, 21, v1
	s_and_not1_saveexec_b32 s31, s31
	s_cbranch_execnz .LBB223_899
.LBB223_786:
	s_or_b32 exec_lo, exec_lo, s31
	v_mov_b32_e32 v3, 0
	s_and_saveexec_b32 s31, s30
.LBB223_787:
	v_lshrrev_b32_e32 v3, 24, v2
	s_delay_alu instid0(VALU_DEP_1)
	v_and_or_b32 v3, 0x80, v3, v1
.LBB223_788:
	s_or_b32 exec_lo, exec_lo, s31
.LBB223_789:
	s_delay_alu instid0(SALU_CYCLE_1)
	s_or_b32 exec_lo, exec_lo, s29
	s_mov_b32 s29, 0
	global_store_b8 v[4:5], v3, off
.LBB223_790:
	s_and_b32 vcc_lo, exec_lo, s29
	s_cbranch_vccz .LBB223_800
; %bb.791:
	s_wait_xcnt 0x0
	v_and_b32_e32 v3, 0x7fffffff, v2
	s_mov_b32 s29, exec_lo
                                        ; implicit-def: $vgpr1
	s_delay_alu instid0(VALU_DEP_1)
	v_cmpx_gt_u32_e32 0x43f00000, v3
	s_xor_b32 s29, exec_lo, s29
	s_cbranch_execz .LBB223_797
; %bb.792:
	s_mov_b32 s30, exec_lo
                                        ; implicit-def: $vgpr1
	v_cmpx_lt_u32_e32 0x3c7fffff, v3
	s_xor_b32 s30, exec_lo, s30
; %bb.793:
	v_bfe_u32 v1, v2, 20, 1
	s_delay_alu instid0(VALU_DEP_1) | instskip(NEXT) | instid1(VALU_DEP_1)
	v_add3_u32 v1, v2, v1, 0x407ffff
	v_and_b32_e32 v3, 0xff00000, v1
	v_lshrrev_b32_e32 v1, 20, v1
	s_delay_alu instid0(VALU_DEP_2) | instskip(NEXT) | instid1(VALU_DEP_2)
	v_cmp_ne_u32_e32 vcc_lo, 0x7f00000, v3
	v_cndmask_b32_e32 v1, 0x7e, v1, vcc_lo
; %bb.794:
	s_and_not1_saveexec_b32 s30, s30
; %bb.795:
	v_add_f32_e64 v1, 0x46800000, |v2|
; %bb.796:
	s_or_b32 exec_lo, exec_lo, s30
                                        ; implicit-def: $vgpr3
.LBB223_797:
	s_and_not1_saveexec_b32 s29, s29
; %bb.798:
	v_mov_b32_e32 v1, 0x7f
	v_cmp_lt_u32_e32 vcc_lo, 0x7f800000, v3
	s_delay_alu instid0(VALU_DEP_2)
	v_cndmask_b32_e32 v1, 0x7e, v1, vcc_lo
; %bb.799:
	s_or_b32 exec_lo, exec_lo, s29
	v_lshrrev_b32_e32 v3, 24, v2
	s_delay_alu instid0(VALU_DEP_1)
	v_and_or_b32 v1, 0x80, v3, v1
	global_store_b8 v[4:5], v1, off
.LBB223_800:
	s_mov_b32 s29, 0
.LBB223_801:
	s_delay_alu instid0(SALU_CYCLE_1)
	s_and_not1_b32 vcc_lo, exec_lo, s29
	s_cbranch_vccnz .LBB223_811
; %bb.802:
	s_wait_xcnt 0x0
	v_and_b32_e32 v3, 0x7fffffff, v2
	s_mov_b32 s29, exec_lo
                                        ; implicit-def: $vgpr1
	s_delay_alu instid0(VALU_DEP_1)
	v_cmpx_gt_u32_e32 0x47800000, v3
	s_xor_b32 s29, exec_lo, s29
	s_cbranch_execz .LBB223_808
; %bb.803:
	s_mov_b32 s30, exec_lo
                                        ; implicit-def: $vgpr1
	v_cmpx_lt_u32_e32 0x387fffff, v3
	s_xor_b32 s30, exec_lo, s30
; %bb.804:
	v_bfe_u32 v1, v2, 21, 1
	s_delay_alu instid0(VALU_DEP_1) | instskip(NEXT) | instid1(VALU_DEP_1)
	v_add3_u32 v1, v2, v1, 0x80fffff
	v_lshrrev_b32_e32 v1, 21, v1
; %bb.805:
	s_and_not1_saveexec_b32 s30, s30
; %bb.806:
	v_add_f32_e64 v1, 0x43000000, |v2|
; %bb.807:
	s_or_b32 exec_lo, exec_lo, s30
                                        ; implicit-def: $vgpr3
.LBB223_808:
	s_and_not1_saveexec_b32 s29, s29
; %bb.809:
	v_mov_b32_e32 v1, 0x7f
	v_cmp_lt_u32_e32 vcc_lo, 0x7f800000, v3
	s_delay_alu instid0(VALU_DEP_2)
	v_cndmask_b32_e32 v1, 0x7c, v1, vcc_lo
; %bb.810:
	s_or_b32 exec_lo, exec_lo, s29
	v_lshrrev_b32_e32 v3, 24, v2
	s_delay_alu instid0(VALU_DEP_1)
	v_and_or_b32 v1, 0x80, v3, v1
	global_store_b8 v[4:5], v1, off
.LBB223_811:
	s_mov_b32 s30, 0
	s_mov_b32 s29, -1
.LBB223_812:
	s_and_not1_b32 vcc_lo, exec_lo, s30
	s_cbranch_vccnz .LBB223_820
; %bb.813:
	s_cmp_gt_i32 s28, 14
	s_mov_b32 s30, -1
	s_cbranch_scc0 .LBB223_817
; %bb.814:
	s_cmp_eq_u32 s28, 15
	s_mov_b32 s0, -1
	s_cbranch_scc0 .LBB223_816
; %bb.815:
	s_wait_xcnt 0x0
	v_bfe_u32 v1, v2, 16, 1
	v_cmp_o_f32_e32 vcc_lo, v2, v2
	s_mov_b32 s29, -1
	s_mov_b32 s0, 0
	s_delay_alu instid0(VALU_DEP_2) | instskip(NEXT) | instid1(VALU_DEP_1)
	v_add3_u32 v1, v2, v1, 0x7fff
	v_lshrrev_b32_e32 v1, 16, v1
	s_delay_alu instid0(VALU_DEP_1)
	v_cndmask_b32_e32 v1, 0x7fc0, v1, vcc_lo
	global_store_b16 v[4:5], v1, off
.LBB223_816:
	s_mov_b32 s30, 0
.LBB223_817:
	s_delay_alu instid0(SALU_CYCLE_1)
	s_and_b32 vcc_lo, exec_lo, s30
	s_cbranch_vccz .LBB223_820
; %bb.818:
	s_cmp_eq_u32 s28, 11
	s_mov_b32 s0, -1
	s_cbranch_scc0 .LBB223_820
; %bb.819:
	v_cmp_neq_f32_e32 vcc_lo, 0, v2
	s_mov_b32 s0, 0
	s_mov_b32 s29, -1
	s_wait_xcnt 0x0
	v_cndmask_b32_e64 v1, 0, 1, vcc_lo
	global_store_b8 v[4:5], v1, off
.LBB223_820:
	s_mov_b32 s28, 0
.LBB223_821:
	s_delay_alu instid0(SALU_CYCLE_1)
	s_and_b32 vcc_lo, exec_lo, s28
	s_cbranch_vccz .LBB223_860
; %bb.822:
	s_and_b32 s27, 0xffff, s27
	s_mov_b32 s28, -1
	s_cmp_lt_i32 s27, 5
	s_cbranch_scc1 .LBB223_843
; %bb.823:
	s_cmp_lt_i32 s27, 8
	s_cbranch_scc1 .LBB223_833
; %bb.824:
	;; [unrolled: 3-line block ×3, first 2 shown]
	s_cmp_gt_i32 s27, 9
	s_cbranch_scc0 .LBB223_827
; %bb.826:
	s_wait_xcnt 0x0
	v_cvt_f64_f32_e32 v[6:7], v2
	v_mov_b32_e32 v8, 0
	s_mov_b32 s28, 0
	s_delay_alu instid0(VALU_DEP_1)
	v_mov_b32_e32 v9, v8
	global_store_b128 v[4:5], v[6:9], off
.LBB223_827:
	s_and_not1_b32 vcc_lo, exec_lo, s28
	s_cbranch_vccnz .LBB223_829
; %bb.828:
	s_wait_xcnt 0x0
	v_mov_b32_e32 v3, 0
	global_store_b64 v[4:5], v[2:3], off
.LBB223_829:
	s_mov_b32 s28, 0
.LBB223_830:
	s_delay_alu instid0(SALU_CYCLE_1)
	s_and_not1_b32 vcc_lo, exec_lo, s28
	s_cbranch_vccnz .LBB223_832
; %bb.831:
	s_wait_xcnt 0x0
	v_cvt_f16_f32_e32 v1, v2
	s_delay_alu instid0(VALU_DEP_1)
	v_and_b32_e32 v1, 0xffff, v1
	global_store_b32 v[4:5], v1, off
.LBB223_832:
	s_mov_b32 s28, 0
.LBB223_833:
	s_delay_alu instid0(SALU_CYCLE_1)
	s_and_not1_b32 vcc_lo, exec_lo, s28
	s_cbranch_vccnz .LBB223_842
; %bb.834:
	s_cmp_lt_i32 s27, 6
	s_mov_b32 s28, -1
	s_cbranch_scc1 .LBB223_840
; %bb.835:
	s_cmp_gt_i32 s27, 6
	s_cbranch_scc0 .LBB223_837
; %bb.836:
	s_wait_xcnt 0x0
	v_cvt_f64_f32_e32 v[6:7], v2
	s_mov_b32 s28, 0
	global_store_b64 v[4:5], v[6:7], off
.LBB223_837:
	s_and_not1_b32 vcc_lo, exec_lo, s28
	s_cbranch_vccnz .LBB223_839
; %bb.838:
	global_store_b32 v[4:5], v2, off
.LBB223_839:
	s_mov_b32 s28, 0
.LBB223_840:
	s_delay_alu instid0(SALU_CYCLE_1)
	s_and_not1_b32 vcc_lo, exec_lo, s28
	s_cbranch_vccnz .LBB223_842
; %bb.841:
	s_wait_xcnt 0x0
	v_cvt_f16_f32_e32 v1, v2
	global_store_b16 v[4:5], v1, off
.LBB223_842:
	s_mov_b32 s28, 0
.LBB223_843:
	s_delay_alu instid0(SALU_CYCLE_1)
	s_and_not1_b32 vcc_lo, exec_lo, s28
	s_cbranch_vccnz .LBB223_859
; %bb.844:
	s_cmp_lt_i32 s27, 2
	s_mov_b32 s28, -1
	s_cbranch_scc1 .LBB223_854
; %bb.845:
	s_cmp_lt_i32 s27, 3
	s_cbranch_scc1 .LBB223_851
; %bb.846:
	s_cmp_gt_i32 s27, 3
	s_cbranch_scc0 .LBB223_848
; %bb.847:
	s_wait_xcnt 0x0
	v_trunc_f32_e32 v1, v2
	s_mov_b32 s28, 0
	s_delay_alu instid0(VALU_DEP_1) | instskip(SKIP_1) | instid1(VALU_DEP_2)
	v_mul_f32_e64 v3, 0x2f800000, |v1|
	v_ashrrev_i32_e32 v6, 31, v1
	v_floor_f32_e32 v3, v3
	s_delay_alu instid0(VALU_DEP_1) | instskip(SKIP_1) | instid1(VALU_DEP_2)
	v_fma_f32 v7, 0xcf800000, v3, |v1|
	v_cvt_u32_f32_e32 v1, v3
	v_cvt_u32_f32_e32 v3, v7
	s_delay_alu instid0(VALU_DEP_2) | instskip(NEXT) | instid1(VALU_DEP_2)
	v_dual_mov_b32 v7, v6 :: v_dual_bitop2_b32 v9, v1, v6 bitop3:0x14
	v_xor_b32_e32 v8, v3, v6
	s_delay_alu instid0(VALU_DEP_1)
	v_sub_nc_u64_e32 v[6:7], v[8:9], v[6:7]
	global_store_b64 v[4:5], v[6:7], off
.LBB223_848:
	s_and_not1_b32 vcc_lo, exec_lo, s28
	s_cbranch_vccnz .LBB223_850
; %bb.849:
	s_wait_xcnt 0x0
	v_cvt_i32_f32_e32 v1, v2
	global_store_b32 v[4:5], v1, off
.LBB223_850:
	s_mov_b32 s28, 0
.LBB223_851:
	s_delay_alu instid0(SALU_CYCLE_1)
	s_and_not1_b32 vcc_lo, exec_lo, s28
	s_cbranch_vccnz .LBB223_853
; %bb.852:
	s_wait_xcnt 0x0
	v_cvt_i32_f32_e32 v1, v2
	global_store_b16 v[4:5], v1, off
.LBB223_853:
	s_mov_b32 s28, 0
.LBB223_854:
	s_delay_alu instid0(SALU_CYCLE_1)
	s_and_not1_b32 vcc_lo, exec_lo, s28
	s_cbranch_vccnz .LBB223_859
; %bb.855:
	s_cmp_gt_i32 s27, 0
	s_mov_b32 s27, -1
	s_cbranch_scc0 .LBB223_857
; %bb.856:
	s_wait_xcnt 0x0
	v_cvt_i32_f32_e32 v1, v2
	s_mov_b32 s27, 0
	global_store_b8 v[4:5], v1, off
.LBB223_857:
	s_and_not1_b32 vcc_lo, exec_lo, s27
	s_cbranch_vccnz .LBB223_859
; %bb.858:
	s_wait_xcnt 0x0
	v_trunc_f32_e32 v1, v2
	s_delay_alu instid0(VALU_DEP_1) | instskip(NEXT) | instid1(VALU_DEP_1)
	v_mul_f32_e64 v2, 0x2f800000, |v1|
	v_floor_f32_e32 v2, v2
	s_delay_alu instid0(VALU_DEP_1) | instskip(SKIP_1) | instid1(VALU_DEP_2)
	v_fma_f32 v2, 0xcf800000, v2, |v1|
	v_ashrrev_i32_e32 v1, 31, v1
	v_cvt_u32_f32_e32 v2, v2
	s_delay_alu instid0(VALU_DEP_1) | instskip(NEXT) | instid1(VALU_DEP_1)
	v_xor_b32_e32 v2, v2, v1
	v_sub_nc_u32_e32 v1, v2, v1
	global_store_b8 v[4:5], v1, off
.LBB223_859:
	s_mov_b32 s29, -1
.LBB223_860:
	s_delay_alu instid0(SALU_CYCLE_1)
	s_and_not1_b32 vcc_lo, exec_lo, s29
	s_cbranch_vccnz .LBB223_862
; %bb.861:
	v_add_nc_u32_e32 v0, 0x80, v0
	s_mov_b32 s27, -1
	s_branch .LBB223_864
.LBB223_862:
	s_mov_b32 s27, 0
.LBB223_863:
                                        ; implicit-def: $vgpr0
.LBB223_864:
	s_and_not1_b32 s28, s46, exec_lo
	s_and_b32 s0, s0, exec_lo
	s_and_not1_b32 s29, s45, exec_lo
	s_and_b32 s26, s26, exec_lo
	s_or_b32 s30, s28, s0
	s_or_b32 s0, s29, s26
	s_or_not1_b32 s29, s27, exec_lo
.LBB223_865:
	s_wait_xcnt 0x0
	s_or_b32 exec_lo, exec_lo, s48
	s_mov_b32 s27, 0
	s_mov_b32 s26, 0
	;; [unrolled: 1-line block ×3, first 2 shown]
                                        ; implicit-def: $vgpr6_vgpr7
                                        ; implicit-def: $vgpr4
                                        ; implicit-def: $vgpr2
	s_and_saveexec_b32 s31, s29
	s_cbranch_execz .LBB223_967
; %bb.866:
	v_cmp_gt_i32_e32 vcc_lo, s39, v0
	s_mov_b32 s29, s0
                                        ; implicit-def: $vgpr6_vgpr7
                                        ; implicit-def: $vgpr4
                                        ; implicit-def: $vgpr2
	s_and_saveexec_b32 s39, vcc_lo
	s_cbranch_execz .LBB223_966
; %bb.867:
	s_and_not1_b32 vcc_lo, exec_lo, s36
	s_cbranch_vccnz .LBB223_873
; %bb.868:
	s_and_not1_b32 vcc_lo, exec_lo, s41
	s_cbranch_vccnz .LBB223_874
; %bb.869:
	s_add_co_i32 s40, s40, 1
	s_cmp_eq_u32 s34, 2
	s_cbranch_scc1 .LBB223_875
; %bb.870:
	s_wait_loadcnt 0x0
	v_dual_mov_b32 v4, 0 :: v_dual_mov_b32 v2, 0
	v_mov_b32_e32 v1, v0
	s_and_b32 s26, s40, 28
	s_mov_b64 s[28:29], s[2:3]
.LBB223_871:                            ; =>This Inner Loop Header: Depth=1
	s_clause 0x1
	s_load_b256 s[48:55], s[28:29], 0x4
	s_load_b128 s[64:67], s[28:29], 0x24
	s_load_b256 s[56:63], s[24:25], 0x0
	s_add_co_i32 s27, s27, 4
	s_wait_xcnt 0x0
	s_add_nc_u64 s[28:29], s[28:29], 48
	s_cmp_eq_u32 s26, s27
	s_add_nc_u64 s[24:25], s[24:25], 32
	s_wait_kmcnt 0x0
	v_mul_hi_u32 v3, s49, v1
	s_delay_alu instid0(VALU_DEP_1) | instskip(NEXT) | instid1(VALU_DEP_1)
	v_add_nc_u32_e32 v3, v1, v3
	v_lshrrev_b32_e32 v3, s50, v3
	s_delay_alu instid0(VALU_DEP_1) | instskip(NEXT) | instid1(VALU_DEP_1)
	v_mul_hi_u32 v5, s52, v3
	v_add_nc_u32_e32 v5, v3, v5
	s_delay_alu instid0(VALU_DEP_1) | instskip(NEXT) | instid1(VALU_DEP_1)
	v_lshrrev_b32_e32 v5, s53, v5
	v_mul_hi_u32 v6, s55, v5
	s_delay_alu instid0(VALU_DEP_1) | instskip(SKIP_1) | instid1(VALU_DEP_1)
	v_add_nc_u32_e32 v6, v5, v6
	v_mul_lo_u32 v7, v3, s48
	v_sub_nc_u32_e32 v1, v1, v7
	v_mul_lo_u32 v7, v5, s51
	s_delay_alu instid0(VALU_DEP_4) | instskip(NEXT) | instid1(VALU_DEP_3)
	v_lshrrev_b32_e32 v6, s64, v6
	v_mad_u32 v2, v1, s57, v2
	v_mad_u32 v1, v1, s56, v4
	s_delay_alu instid0(VALU_DEP_4) | instskip(NEXT) | instid1(VALU_DEP_4)
	v_sub_nc_u32_e32 v3, v3, v7
	v_mul_hi_u32 v8, s66, v6
	v_mul_lo_u32 v4, v6, s54
	s_delay_alu instid0(VALU_DEP_3) | instskip(SKIP_1) | instid1(VALU_DEP_4)
	v_mad_u32 v2, v3, s59, v2
	v_mad_u32 v3, v3, s58, v1
	v_add_nc_u32_e32 v7, v6, v8
	s_delay_alu instid0(VALU_DEP_1) | instskip(NEXT) | instid1(VALU_DEP_1)
	v_dual_sub_nc_u32 v4, v5, v4 :: v_dual_lshrrev_b32 v1, s67, v7
	v_mad_u32 v2, v4, s61, v2
	s_delay_alu instid0(VALU_DEP_4) | instskip(NEXT) | instid1(VALU_DEP_3)
	v_mad_u32 v3, v4, s60, v3
	v_mul_lo_u32 v5, v1, s65
	s_delay_alu instid0(VALU_DEP_1) | instskip(NEXT) | instid1(VALU_DEP_1)
	v_sub_nc_u32_e32 v4, v6, v5
	v_mad_u32 v2, v4, s63, v2
	s_delay_alu instid0(VALU_DEP_4)
	v_mad_u32 v4, v4, s62, v3
	s_cbranch_scc0 .LBB223_871
; %bb.872:
	s_delay_alu instid0(VALU_DEP_2)
	v_mov_b32_e32 v5, v2
	s_branch .LBB223_876
.LBB223_873:
	s_mov_b32 s24, -1
                                        ; implicit-def: $vgpr2
                                        ; implicit-def: $vgpr4
	s_branch .LBB223_881
.LBB223_874:
	s_wait_loadcnt 0x0
	v_dual_mov_b32 v2, 0 :: v_dual_mov_b32 v4, 0
	s_branch .LBB223_880
.LBB223_875:
	v_mov_b64_e32 v[4:5], 0
	v_mov_b32_e32 v1, v0
                                        ; implicit-def: $vgpr2
.LBB223_876:
	s_and_b32 s28, s40, 3
	s_mov_b32 s27, 0
	s_cmp_eq_u32 s28, 0
	s_cbranch_scc1 .LBB223_880
; %bb.877:
	s_lshl_b32 s24, s26, 3
	s_mov_b32 s25, s27
	s_mul_u64 s[26:27], s[26:27], 12
	s_add_nc_u64 s[24:25], s[2:3], s[24:25]
	s_add_nc_u64 s[26:27], s[2:3], s[26:27]
	;; [unrolled: 1-line block ×3, first 2 shown]
.LBB223_878:                            ; =>This Inner Loop Header: Depth=1
	s_load_b96 s[48:50], s[26:27], 0x4
	s_load_b64 s[40:41], s[24:25], 0x0
	s_add_co_i32 s28, s28, -1
	s_wait_xcnt 0x0
	s_add_nc_u64 s[26:27], s[26:27], 12
	s_cmp_lg_u32 s28, 0
	s_add_nc_u64 s[24:25], s[24:25], 8
	s_wait_loadcnt 0x0
	s_wait_kmcnt 0x0
	v_mul_hi_u32 v2, s49, v1
	s_delay_alu instid0(VALU_DEP_1) | instskip(NEXT) | instid1(VALU_DEP_1)
	v_add_nc_u32_e32 v2, v1, v2
	v_lshrrev_b32_e32 v2, s50, v2
	s_delay_alu instid0(VALU_DEP_1) | instskip(NEXT) | instid1(VALU_DEP_1)
	v_mul_lo_u32 v3, v2, s48
	v_sub_nc_u32_e32 v1, v1, v3
	s_delay_alu instid0(VALU_DEP_1)
	v_mad_u32 v5, v1, s41, v5
	v_mad_u32 v4, v1, s40, v4
	v_mov_b32_e32 v1, v2
	s_cbranch_scc1 .LBB223_878
; %bb.879:
	s_delay_alu instid0(VALU_DEP_3)
	v_mov_b32_e32 v2, v5
.LBB223_880:
	s_mov_b32 s24, 0
.LBB223_881:
	s_delay_alu instid0(SALU_CYCLE_1)
	s_and_not1_b32 vcc_lo, exec_lo, s24
	s_cbranch_vccnz .LBB223_884
; %bb.882:
	v_mov_b32_e32 v1, 0
	s_and_not1_b32 vcc_lo, exec_lo, s38
	s_wait_loadcnt 0x0
	s_delay_alu instid0(VALU_DEP_1) | instskip(NEXT) | instid1(VALU_DEP_1)
	v_mul_u64_e32 v[2:3], s[20:21], v[0:1]
	v_add_nc_u32_e32 v2, v0, v3
	s_delay_alu instid0(VALU_DEP_1) | instskip(NEXT) | instid1(VALU_DEP_1)
	v_lshrrev_b32_e32 v6, s14, v2
	v_mul_lo_u32 v2, v6, s12
	s_delay_alu instid0(VALU_DEP_1) | instskip(NEXT) | instid1(VALU_DEP_1)
	v_sub_nc_u32_e32 v0, v0, v2
	v_mul_lo_u32 v2, v0, s17
	v_mul_lo_u32 v4, v0, s16
	s_cbranch_vccnz .LBB223_884
; %bb.883:
	v_mov_b32_e32 v7, v1
	s_delay_alu instid0(VALU_DEP_1) | instskip(NEXT) | instid1(VALU_DEP_1)
	v_mul_u64_e32 v[0:1], s[22:23], v[6:7]
	v_add_nc_u32_e32 v0, v6, v1
	s_delay_alu instid0(VALU_DEP_1) | instskip(NEXT) | instid1(VALU_DEP_1)
	v_lshrrev_b32_e32 v0, s1, v0
	v_mul_lo_u32 v0, v0, s15
	s_delay_alu instid0(VALU_DEP_1) | instskip(NEXT) | instid1(VALU_DEP_1)
	v_sub_nc_u32_e32 v0, v6, v0
	v_mad_u32 v4, v0, s18, v4
	v_mad_u32 v2, v0, s19, v2
.LBB223_884:
	v_mov_b32_e32 v3, 0
	s_and_b32 s1, 0xffff, s13
	s_delay_alu instid0(SALU_CYCLE_1) | instskip(SKIP_1) | instid1(VALU_DEP_1)
	s_cmp_lt_i32 s1, 11
	s_wait_loadcnt 0x0
	v_add_nc_u64_e32 v[6:7], s[6:7], v[2:3]
	s_cbranch_scc1 .LBB223_891
; %bb.885:
	s_cmp_gt_i32 s1, 25
	s_mov_b32 s7, 0
	s_cbranch_scc0 .LBB223_892
; %bb.886:
	s_cmp_gt_i32 s1, 28
	s_cbranch_scc0 .LBB223_893
; %bb.887:
	s_cmp_gt_i32 s1, 43
	;; [unrolled: 3-line block ×3, first 2 shown]
	s_cbranch_scc0 .LBB223_897
; %bb.889:
	s_cmp_eq_u32 s1, 46
	s_mov_b32 s14, 0
	s_cbranch_scc0 .LBB223_900
; %bb.890:
	global_load_b32 v0, v[6:7], off
	s_mov_b32 s6, 0
	s_mov_b32 s12, -1
	s_wait_loadcnt 0x0
	v_lshlrev_b32_e32 v2, 16, v0
	s_branch .LBB223_902
.LBB223_891:
	s_mov_b32 s1, -1
	s_mov_b32 s12, 0
	s_mov_b32 s7, 0
	;; [unrolled: 1-line block ×3, first 2 shown]
                                        ; implicit-def: $vgpr2
	s_branch .LBB223_965
.LBB223_892:
	s_mov_b32 s14, -1
	s_mov_b32 s12, 0
	s_mov_b32 s6, s0
                                        ; implicit-def: $vgpr2
	s_branch .LBB223_931
.LBB223_893:
	s_mov_b32 s14, -1
	s_mov_b32 s12, 0
	s_mov_b32 s6, s0
                                        ; implicit-def: $vgpr2
	s_branch .LBB223_912
.LBB223_894:
	s_mov_b32 s14, -1
	s_mov_b32 s12, 0
	s_mov_b32 s6, s0
                                        ; implicit-def: $vgpr2
	s_branch .LBB223_907
.LBB223_895:
	s_and_not1_saveexec_b32 s31, s31
	s_cbranch_execz .LBB223_773
.LBB223_896:
	v_add_f32_e64 v1, 0x46000000, |v2|
	s_and_not1_b32 s30, s30, exec_lo
	s_delay_alu instid0(VALU_DEP_1) | instskip(NEXT) | instid1(VALU_DEP_1)
	v_and_b32_e32 v1, 0xff, v1
	v_cmp_ne_u32_e32 vcc_lo, 0, v1
	s_and_b32 s49, vcc_lo, exec_lo
	s_delay_alu instid0(SALU_CYCLE_1)
	s_or_b32 s30, s30, s49
	s_or_b32 exec_lo, exec_lo, s31
	v_mov_b32_e32 v3, 0
	s_and_saveexec_b32 s31, s30
	s_cbranch_execnz .LBB223_774
	s_branch .LBB223_775
.LBB223_897:
	s_mov_b32 s14, -1
	s_mov_b32 s12, 0
	s_mov_b32 s6, s0
	s_branch .LBB223_901
.LBB223_898:
	s_and_not1_saveexec_b32 s31, s31
	s_cbranch_execz .LBB223_786
.LBB223_899:
	v_add_f32_e64 v1, 0x42800000, |v2|
	s_and_not1_b32 s30, s30, exec_lo
	s_delay_alu instid0(VALU_DEP_1) | instskip(NEXT) | instid1(VALU_DEP_1)
	v_and_b32_e32 v1, 0xff, v1
	v_cmp_ne_u32_e32 vcc_lo, 0, v1
	s_and_b32 s49, vcc_lo, exec_lo
	s_delay_alu instid0(SALU_CYCLE_1)
	s_or_b32 s30, s30, s49
	s_or_b32 exec_lo, exec_lo, s31
	v_mov_b32_e32 v3, 0
	s_and_saveexec_b32 s31, s30
	s_cbranch_execnz .LBB223_787
	s_branch .LBB223_788
.LBB223_900:
	s_mov_b32 s6, -1
	s_mov_b32 s12, 0
.LBB223_901:
                                        ; implicit-def: $vgpr2
.LBB223_902:
	s_and_b32 vcc_lo, exec_lo, s14
	s_cbranch_vccz .LBB223_906
; %bb.903:
	s_cmp_eq_u32 s1, 44
	s_cbranch_scc0 .LBB223_905
; %bb.904:
	global_load_u8 v0, v[6:7], off
	s_mov_b32 s6, 0
	s_mov_b32 s12, -1
	s_wait_loadcnt 0x0
	v_lshlrev_b32_e32 v1, 23, v0
	v_cmp_ne_u32_e32 vcc_lo, 0xff, v0
	s_delay_alu instid0(VALU_DEP_2) | instskip(SKIP_1) | instid1(VALU_DEP_2)
	v_cndmask_b32_e32 v1, 0x7f800001, v1, vcc_lo
	v_cmp_ne_u32_e32 vcc_lo, 0, v0
	v_cndmask_b32_e32 v2, 0x400000, v1, vcc_lo
	s_branch .LBB223_906
.LBB223_905:
	s_mov_b32 s6, -1
                                        ; implicit-def: $vgpr2
.LBB223_906:
	s_mov_b32 s14, 0
.LBB223_907:
	s_delay_alu instid0(SALU_CYCLE_1)
	s_and_b32 vcc_lo, exec_lo, s14
	s_cbranch_vccz .LBB223_911
; %bb.908:
	s_cmp_eq_u32 s1, 29
	s_cbranch_scc0 .LBB223_910
; %bb.909:
	global_load_b64 v[0:1], v[6:7], off
	s_mov_b32 s6, 0
	s_mov_b32 s12, -1
	s_mov_b32 s14, 0
	s_wait_loadcnt 0x0
	v_clz_i32_u32_e32 v2, v1
	s_delay_alu instid0(VALU_DEP_1) | instskip(NEXT) | instid1(VALU_DEP_1)
	v_min_u32_e32 v2, 32, v2
	v_lshlrev_b64_e32 v[0:1], v2, v[0:1]
	s_delay_alu instid0(VALU_DEP_1) | instskip(NEXT) | instid1(VALU_DEP_1)
	v_min_u32_e32 v0, 1, v0
	v_dual_sub_nc_u32 v1, 32, v2 :: v_dual_bitop2_b32 v0, v1, v0 bitop3:0x54
	s_delay_alu instid0(VALU_DEP_1) | instskip(NEXT) | instid1(VALU_DEP_1)
	v_cvt_f32_u32_e32 v0, v0
	v_ldexp_f32 v2, v0, v1
	s_branch .LBB223_912
.LBB223_910:
	s_mov_b32 s6, -1
                                        ; implicit-def: $vgpr2
.LBB223_911:
	s_mov_b32 s14, 0
.LBB223_912:
	s_delay_alu instid0(SALU_CYCLE_1)
	s_and_b32 vcc_lo, exec_lo, s14
	s_cbranch_vccz .LBB223_930
; %bb.913:
	s_cmp_lt_i32 s1, 27
	s_cbranch_scc1 .LBB223_916
; %bb.914:
	s_cmp_gt_i32 s1, 27
	s_cbranch_scc0 .LBB223_917
; %bb.915:
	global_load_b32 v0, v[6:7], off
	s_mov_b32 s12, 0
	s_wait_loadcnt 0x0
	v_cvt_f32_u32_e32 v2, v0
	s_branch .LBB223_918
.LBB223_916:
	s_mov_b32 s12, -1
                                        ; implicit-def: $vgpr2
	s_branch .LBB223_921
.LBB223_917:
	s_mov_b32 s12, -1
                                        ; implicit-def: $vgpr2
.LBB223_918:
	s_delay_alu instid0(SALU_CYCLE_1)
	s_and_not1_b32 vcc_lo, exec_lo, s12
	s_cbranch_vccnz .LBB223_920
; %bb.919:
	global_load_u16 v0, v[6:7], off
	s_wait_loadcnt 0x0
	v_cvt_f32_u32_e32 v2, v0
.LBB223_920:
	s_mov_b32 s12, 0
.LBB223_921:
	s_delay_alu instid0(SALU_CYCLE_1)
	s_and_not1_b32 vcc_lo, exec_lo, s12
	s_cbranch_vccnz .LBB223_929
; %bb.922:
	global_load_u8 v0, v[6:7], off
	s_mov_b32 s12, 0
	s_mov_b32 s14, exec_lo
	s_wait_loadcnt 0x0
	v_cmpx_lt_i16_e32 0x7f, v0
	s_xor_b32 s14, exec_lo, s14
	s_cbranch_execz .LBB223_943
; %bb.923:
	s_mov_b32 s12, -1
	s_mov_b32 s15, exec_lo
	v_cmpx_eq_u16_e32 0x80, v0
; %bb.924:
	s_xor_b32 s12, exec_lo, -1
; %bb.925:
	s_or_b32 exec_lo, exec_lo, s15
	s_delay_alu instid0(SALU_CYCLE_1)
	s_and_b32 s12, s12, exec_lo
	s_or_saveexec_b32 s14, s14
	v_mov_b32_e32 v2, 0x7f800001
	s_xor_b32 exec_lo, exec_lo, s14
	s_cbranch_execnz .LBB223_944
.LBB223_926:
	s_or_b32 exec_lo, exec_lo, s14
	s_and_saveexec_b32 s14, s12
	s_cbranch_execz .LBB223_928
.LBB223_927:
	v_and_b32_e32 v1, 0xffff, v0
	s_delay_alu instid0(VALU_DEP_1) | instskip(SKIP_1) | instid1(VALU_DEP_2)
	v_and_b32_e32 v2, 7, v1
	v_bfe_u32 v8, v1, 3, 4
	v_clz_i32_u32_e32 v3, v2
	s_delay_alu instid0(VALU_DEP_2) | instskip(NEXT) | instid1(VALU_DEP_2)
	v_cmp_eq_u32_e32 vcc_lo, 0, v8
	v_min_u32_e32 v3, 32, v3
	s_delay_alu instid0(VALU_DEP_1) | instskip(NEXT) | instid1(VALU_DEP_1)
	v_subrev_nc_u32_e32 v5, 28, v3
	v_dual_lshlrev_b32 v1, v5, v1 :: v_dual_sub_nc_u32 v3, 29, v3
	s_delay_alu instid0(VALU_DEP_1) | instskip(NEXT) | instid1(VALU_DEP_1)
	v_dual_lshlrev_b32 v0, 24, v0 :: v_dual_bitop2_b32 v1, 7, v1 bitop3:0x40
	v_dual_cndmask_b32 v3, v8, v3, vcc_lo :: v_dual_cndmask_b32 v1, v2, v1, vcc_lo
	s_delay_alu instid0(VALU_DEP_2) | instskip(NEXT) | instid1(VALU_DEP_2)
	v_and_b32_e32 v0, 0x80000000, v0
	v_lshl_add_u32 v2, v3, 23, 0x3b800000
	s_delay_alu instid0(VALU_DEP_3) | instskip(NEXT) | instid1(VALU_DEP_1)
	v_lshlrev_b32_e32 v1, 20, v1
	v_or3_b32 v2, v0, v2, v1
.LBB223_928:
	s_or_b32 exec_lo, exec_lo, s14
.LBB223_929:
	s_mov_b32 s12, -1
.LBB223_930:
	s_mov_b32 s14, 0
.LBB223_931:
	s_delay_alu instid0(SALU_CYCLE_1)
	s_and_b32 vcc_lo, exec_lo, s14
	s_cbranch_vccz .LBB223_964
; %bb.932:
	s_cmp_gt_i32 s1, 22
	s_cbranch_scc0 .LBB223_942
; %bb.933:
	s_cmp_lt_i32 s1, 24
	s_cbranch_scc1 .LBB223_945
; %bb.934:
	s_cmp_gt_i32 s1, 24
	s_cbranch_scc0 .LBB223_946
; %bb.935:
	global_load_u8 v0, v[6:7], off
	s_mov_b32 s12, exec_lo
	s_wait_loadcnt 0x0
	v_cmpx_lt_i16_e32 0x7f, v0
	s_xor_b32 s12, exec_lo, s12
	s_cbranch_execz .LBB223_958
; %bb.936:
	s_mov_b32 s7, -1
	s_mov_b32 s14, exec_lo
	v_cmpx_eq_u16_e32 0x80, v0
; %bb.937:
	s_xor_b32 s7, exec_lo, -1
; %bb.938:
	s_or_b32 exec_lo, exec_lo, s14
	s_delay_alu instid0(SALU_CYCLE_1)
	s_and_b32 s7, s7, exec_lo
	s_or_saveexec_b32 s12, s12
	v_mov_b32_e32 v2, 0x7f800001
	s_xor_b32 exec_lo, exec_lo, s12
	s_cbranch_execnz .LBB223_959
.LBB223_939:
	s_or_b32 exec_lo, exec_lo, s12
	s_and_saveexec_b32 s12, s7
	s_cbranch_execz .LBB223_941
.LBB223_940:
	v_and_b32_e32 v1, 0xffff, v0
	s_delay_alu instid0(VALU_DEP_1) | instskip(SKIP_1) | instid1(VALU_DEP_2)
	v_and_b32_e32 v2, 3, v1
	v_bfe_u32 v8, v1, 2, 5
	v_clz_i32_u32_e32 v3, v2
	s_delay_alu instid0(VALU_DEP_2) | instskip(NEXT) | instid1(VALU_DEP_2)
	v_cmp_eq_u32_e32 vcc_lo, 0, v8
	v_min_u32_e32 v3, 32, v3
	s_delay_alu instid0(VALU_DEP_1) | instskip(NEXT) | instid1(VALU_DEP_1)
	v_subrev_nc_u32_e32 v5, 29, v3
	v_dual_lshlrev_b32 v1, v5, v1 :: v_dual_sub_nc_u32 v3, 30, v3
	s_delay_alu instid0(VALU_DEP_1) | instskip(NEXT) | instid1(VALU_DEP_1)
	v_dual_lshlrev_b32 v0, 24, v0 :: v_dual_bitop2_b32 v1, 3, v1 bitop3:0x40
	v_dual_cndmask_b32 v3, v8, v3, vcc_lo :: v_dual_cndmask_b32 v1, v2, v1, vcc_lo
	s_delay_alu instid0(VALU_DEP_2) | instskip(NEXT) | instid1(VALU_DEP_2)
	v_and_b32_e32 v0, 0x80000000, v0
	v_lshl_add_u32 v2, v3, 23, 0x37800000
	s_delay_alu instid0(VALU_DEP_3) | instskip(NEXT) | instid1(VALU_DEP_1)
	v_lshlrev_b32_e32 v1, 21, v1
	v_or3_b32 v2, v0, v2, v1
.LBB223_941:
	s_or_b32 exec_lo, exec_lo, s12
	s_mov_b32 s7, 0
	s_branch .LBB223_947
.LBB223_942:
	s_mov_b32 s7, -1
                                        ; implicit-def: $vgpr2
	s_branch .LBB223_953
.LBB223_943:
	s_or_saveexec_b32 s14, s14
	v_mov_b32_e32 v2, 0x7f800001
	s_xor_b32 exec_lo, exec_lo, s14
	s_cbranch_execz .LBB223_926
.LBB223_944:
	v_cmp_ne_u16_e32 vcc_lo, 0, v0
	v_mov_b32_e32 v2, 0
	s_and_not1_b32 s12, s12, exec_lo
	s_and_b32 s15, vcc_lo, exec_lo
	s_delay_alu instid0(SALU_CYCLE_1)
	s_or_b32 s12, s12, s15
	s_or_b32 exec_lo, exec_lo, s14
	s_and_saveexec_b32 s14, s12
	s_cbranch_execnz .LBB223_927
	s_branch .LBB223_928
.LBB223_945:
	s_mov_b32 s7, -1
                                        ; implicit-def: $vgpr2
	s_branch .LBB223_950
.LBB223_946:
	s_mov_b32 s7, -1
                                        ; implicit-def: $vgpr2
.LBB223_947:
	s_delay_alu instid0(SALU_CYCLE_1)
	s_and_b32 vcc_lo, exec_lo, s7
	s_cbranch_vccz .LBB223_949
; %bb.948:
	global_load_u8 v0, v[6:7], off
	s_wait_loadcnt 0x0
	v_lshlrev_b32_e32 v0, 24, v0
	s_delay_alu instid0(VALU_DEP_1) | instskip(NEXT) | instid1(VALU_DEP_1)
	v_and_b32_e32 v1, 0x7f000000, v0
	v_clz_i32_u32_e32 v2, v1
	v_add_nc_u32_e32 v5, 0x1000000, v1
	v_cmp_ne_u32_e32 vcc_lo, 0, v1
	s_delay_alu instid0(VALU_DEP_3) | instskip(NEXT) | instid1(VALU_DEP_1)
	v_min_u32_e32 v2, 32, v2
	v_sub_nc_u32_e64 v2, v2, 4 clamp
	s_delay_alu instid0(VALU_DEP_1) | instskip(NEXT) | instid1(VALU_DEP_1)
	v_dual_lshlrev_b32 v3, v2, v1 :: v_dual_lshlrev_b32 v2, 23, v2
	v_lshrrev_b32_e32 v3, 4, v3
	s_delay_alu instid0(VALU_DEP_1) | instskip(NEXT) | instid1(VALU_DEP_1)
	v_dual_sub_nc_u32 v2, v3, v2 :: v_dual_ashrrev_i32 v3, 8, v5
	v_add_nc_u32_e32 v2, 0x3c000000, v2
	s_delay_alu instid0(VALU_DEP_1) | instskip(NEXT) | instid1(VALU_DEP_1)
	v_and_or_b32 v2, 0x7f800000, v3, v2
	v_cndmask_b32_e32 v1, 0, v2, vcc_lo
	s_delay_alu instid0(VALU_DEP_1)
	v_and_or_b32 v2, 0x80000000, v0, v1
.LBB223_949:
	s_mov_b32 s7, 0
.LBB223_950:
	s_delay_alu instid0(SALU_CYCLE_1)
	s_and_not1_b32 vcc_lo, exec_lo, s7
	s_cbranch_vccnz .LBB223_952
; %bb.951:
	global_load_u8 v0, v[6:7], off
	s_wait_loadcnt 0x0
	v_lshlrev_b32_e32 v1, 25, v0
	v_lshlrev_b16 v0, 8, v0
	s_delay_alu instid0(VALU_DEP_1) | instskip(SKIP_1) | instid1(VALU_DEP_2)
	v_and_or_b32 v3, 0x7f00, v0, 0.5
	v_bfe_i32 v0, v0, 0, 16
	v_dual_add_f32 v3, -0.5, v3 :: v_dual_lshrrev_b32 v2, 4, v1
	v_cmp_gt_u32_e32 vcc_lo, 0x8000000, v1
	s_delay_alu instid0(VALU_DEP_2) | instskip(NEXT) | instid1(VALU_DEP_1)
	v_or_b32_e32 v2, 0x70000000, v2
	v_mul_f32_e32 v2, 0x7800000, v2
	s_delay_alu instid0(VALU_DEP_1) | instskip(NEXT) | instid1(VALU_DEP_1)
	v_cndmask_b32_e32 v1, v2, v3, vcc_lo
	v_and_or_b32 v2, 0x80000000, v0, v1
.LBB223_952:
	s_mov_b32 s7, 0
	s_mov_b32 s12, -1
.LBB223_953:
	s_and_not1_b32 vcc_lo, exec_lo, s7
	s_mov_b32 s7, 0
	s_cbranch_vccnz .LBB223_964
; %bb.954:
	s_cmp_gt_i32 s1, 14
	s_cbranch_scc0 .LBB223_957
; %bb.955:
	s_cmp_eq_u32 s1, 15
	s_cbranch_scc0 .LBB223_960
; %bb.956:
	global_load_u16 v0, v[6:7], off
	s_mov_b32 s6, 0
	s_mov_b32 s12, -1
	s_wait_loadcnt 0x0
	v_lshlrev_b32_e32 v2, 16, v0
	s_branch .LBB223_962
.LBB223_957:
	s_mov_b32 s7, -1
	s_branch .LBB223_961
.LBB223_958:
	s_or_saveexec_b32 s12, s12
	v_mov_b32_e32 v2, 0x7f800001
	s_xor_b32 exec_lo, exec_lo, s12
	s_cbranch_execz .LBB223_939
.LBB223_959:
	v_cmp_ne_u16_e32 vcc_lo, 0, v0
	v_mov_b32_e32 v2, 0
	s_and_not1_b32 s7, s7, exec_lo
	s_and_b32 s14, vcc_lo, exec_lo
	s_delay_alu instid0(SALU_CYCLE_1)
	s_or_b32 s7, s7, s14
	s_or_b32 exec_lo, exec_lo, s12
	s_and_saveexec_b32 s12, s7
	s_cbranch_execnz .LBB223_940
	s_branch .LBB223_941
.LBB223_960:
	s_mov_b32 s6, -1
.LBB223_961:
                                        ; implicit-def: $vgpr2
.LBB223_962:
	s_and_b32 vcc_lo, exec_lo, s7
	s_mov_b32 s7, 0
	s_cbranch_vccz .LBB223_964
; %bb.963:
	s_cmp_lg_u32 s1, 11
	s_mov_b32 s7, -1
	s_cselect_b32 s1, -1, 0
	s_and_not1_b32 s6, s6, exec_lo
	s_and_b32 s1, s1, exec_lo
	s_delay_alu instid0(SALU_CYCLE_1)
	s_or_b32 s6, s6, s1
.LBB223_964:
	s_mov_b32 s1, 0
.LBB223_965:
	s_delay_alu instid0(SALU_CYCLE_1)
	s_and_b32 s26, s1, exec_lo
	s_and_not1_b32 s1, s0, exec_lo
	s_and_b32 s6, s6, exec_lo
	s_and_b32 s28, s12, exec_lo
	;; [unrolled: 1-line block ×3, first 2 shown]
	s_or_b32 s29, s1, s6
.LBB223_966:
	s_wait_xcnt 0x0
	s_or_b32 exec_lo, exec_lo, s39
	s_delay_alu instid0(SALU_CYCLE_1)
	s_and_not1_b32 s0, s0, exec_lo
	s_and_b32 s1, s29, exec_lo
	s_and_b32 s28, s28, exec_lo
	s_and_b32 s26, s26, exec_lo
	s_and_b32 s27, s27, exec_lo
	s_or_b32 s0, s0, s1
.LBB223_967:
	s_or_b32 exec_lo, exec_lo, s31
	s_delay_alu instid0(SALU_CYCLE_1)
	s_and_not1_b32 s1, s46, exec_lo
	s_and_b32 s6, s30, exec_lo
	s_and_b32 s0, s0, exec_lo
	s_or_b32 s46, s1, s6
	s_and_not1_b32 s1, s45, exec_lo
	s_and_b32 s28, s28, exec_lo
	s_and_b32 s26, s26, exec_lo
	;; [unrolled: 1-line block ×3, first 2 shown]
	s_or_b32 s45, s1, s0
.LBB223_968:
	s_or_b32 exec_lo, exec_lo, s47
	s_delay_alu instid0(SALU_CYCLE_1)
	s_and_not1_b32 s0, s42, exec_lo
	s_and_b32 s1, s46, exec_lo
	s_and_b32 s6, s45, exec_lo
	s_or_b32 s42, s0, s1
	s_and_not1_b32 s1, s43, exec_lo
	s_and_b32 s0, s28, exec_lo
	s_and_b32 s26, s26, exec_lo
	;; [unrolled: 1-line block ×3, first 2 shown]
	s_or_b32 s43, s1, s6
	s_or_b32 exec_lo, exec_lo, s44
	s_mov_b32 s1, 0
	s_and_saveexec_b32 s6, s43
	s_cbranch_execz .LBB223_289
.LBB223_969:
	s_mov_b32 s1, exec_lo
	s_and_not1_b32 s21, s21, exec_lo
	s_trap 2
	s_or_b32 exec_lo, exec_lo, s6
	s_and_saveexec_b32 s6, s21
	s_delay_alu instid0(SALU_CYCLE_1)
	s_xor_b32 s6, exec_lo, s6
	s_cbranch_execnz .LBB223_290
.LBB223_970:
	s_or_b32 exec_lo, exec_lo, s6
	s_and_saveexec_b32 s6, s26
	s_cbranch_execz .LBB223_1016
.LBB223_971:
	s_sext_i32_i16 s7, s13
	s_delay_alu instid0(SALU_CYCLE_1)
	s_cmp_lt_i32 s7, 5
	s_cbranch_scc1 .LBB223_976
; %bb.972:
	s_cmp_lt_i32 s7, 8
	s_cbranch_scc1 .LBB223_977
; %bb.973:
	;; [unrolled: 3-line block ×3, first 2 shown]
	s_cmp_gt_i32 s7, 9
	s_cbranch_scc0 .LBB223_979
; %bb.975:
	global_load_b64 v[0:1], v[6:7], off
	s_mov_b32 s7, 0
	s_wait_loadcnt 0x0
	v_cvt_f32_f64_e32 v2, v[0:1]
	s_branch .LBB223_980
.LBB223_976:
                                        ; implicit-def: $vgpr2
	s_branch .LBB223_997
.LBB223_977:
                                        ; implicit-def: $vgpr2
	s_branch .LBB223_986
.LBB223_978:
	s_mov_b32 s7, -1
                                        ; implicit-def: $vgpr2
	s_branch .LBB223_983
.LBB223_979:
	s_mov_b32 s7, -1
                                        ; implicit-def: $vgpr2
.LBB223_980:
	s_delay_alu instid0(SALU_CYCLE_1)
	s_and_not1_b32 vcc_lo, exec_lo, s7
	s_cbranch_vccnz .LBB223_982
; %bb.981:
	s_wait_loadcnt 0x0
	global_load_b32 v2, v[6:7], off
.LBB223_982:
	s_mov_b32 s7, 0
.LBB223_983:
	s_delay_alu instid0(SALU_CYCLE_1)
	s_and_not1_b32 vcc_lo, exec_lo, s7
	s_cbranch_vccnz .LBB223_985
; %bb.984:
	global_load_b32 v0, v[6:7], off
	s_wait_loadcnt 0x0
	v_cvt_f32_f16_e32 v2, v0
.LBB223_985:
	s_cbranch_execnz .LBB223_996
.LBB223_986:
	s_sext_i32_i16 s7, s13
	s_delay_alu instid0(SALU_CYCLE_1)
	s_cmp_lt_i32 s7, 6
	s_cbranch_scc1 .LBB223_989
; %bb.987:
	s_cmp_gt_i32 s7, 6
	s_cbranch_scc0 .LBB223_990
; %bb.988:
	global_load_b64 v[0:1], v[6:7], off
	s_mov_b32 s7, 0
	s_wait_loadcnt 0x0
	v_cvt_f32_f64_e32 v2, v[0:1]
	s_branch .LBB223_991
.LBB223_989:
	s_mov_b32 s7, -1
                                        ; implicit-def: $vgpr2
	s_branch .LBB223_994
.LBB223_990:
	s_mov_b32 s7, -1
                                        ; implicit-def: $vgpr2
.LBB223_991:
	s_delay_alu instid0(SALU_CYCLE_1)
	s_and_not1_b32 vcc_lo, exec_lo, s7
	s_cbranch_vccnz .LBB223_993
; %bb.992:
	s_wait_loadcnt 0x0
	global_load_b32 v2, v[6:7], off
.LBB223_993:
	s_mov_b32 s7, 0
.LBB223_994:
	s_delay_alu instid0(SALU_CYCLE_1)
	s_and_not1_b32 vcc_lo, exec_lo, s7
	s_cbranch_vccnz .LBB223_996
; %bb.995:
	global_load_u16 v0, v[6:7], off
	s_wait_loadcnt 0x0
	v_cvt_f32_f16_e32 v2, v0
.LBB223_996:
	s_cbranch_execnz .LBB223_1015
.LBB223_997:
	s_sext_i32_i16 s7, s13
	s_delay_alu instid0(SALU_CYCLE_1)
	s_cmp_lt_i32 s7, 2
	s_cbranch_scc1 .LBB223_1001
; %bb.998:
	s_cmp_lt_i32 s7, 3
	s_cbranch_scc1 .LBB223_1002
; %bb.999:
	s_cmp_gt_i32 s7, 3
	s_cbranch_scc0 .LBB223_1003
; %bb.1000:
	global_load_b64 v[0:1], v[6:7], off
	s_mov_b32 s7, 0
	s_wait_loadcnt 0x0
	v_xor_b32_e32 v2, v0, v1
	v_cls_i32_e32 v3, v1
	s_delay_alu instid0(VALU_DEP_2) | instskip(NEXT) | instid1(VALU_DEP_1)
	v_ashrrev_i32_e32 v2, 31, v2
	v_add_nc_u32_e32 v2, 32, v2
	s_delay_alu instid0(VALU_DEP_1) | instskip(NEXT) | instid1(VALU_DEP_1)
	v_add_min_u32_e64 v2, v3, -1, v2
	v_lshlrev_b64_e32 v[0:1], v2, v[0:1]
	s_delay_alu instid0(VALU_DEP_1) | instskip(NEXT) | instid1(VALU_DEP_1)
	v_min_u32_e32 v0, 1, v0
	v_dual_sub_nc_u32 v1, 32, v2 :: v_dual_bitop2_b32 v0, v1, v0 bitop3:0x54
	s_delay_alu instid0(VALU_DEP_1) | instskip(NEXT) | instid1(VALU_DEP_1)
	v_cvt_f32_i32_e32 v0, v0
	v_ldexp_f32 v2, v0, v1
	s_branch .LBB223_1004
.LBB223_1001:
                                        ; implicit-def: $vgpr2
	s_branch .LBB223_1010
.LBB223_1002:
	s_mov_b32 s7, -1
                                        ; implicit-def: $vgpr2
	s_branch .LBB223_1007
.LBB223_1003:
	s_mov_b32 s7, -1
                                        ; implicit-def: $vgpr2
.LBB223_1004:
	s_delay_alu instid0(SALU_CYCLE_1)
	s_and_not1_b32 vcc_lo, exec_lo, s7
	s_cbranch_vccnz .LBB223_1006
; %bb.1005:
	global_load_b32 v0, v[6:7], off
	s_wait_loadcnt 0x0
	v_cvt_f32_i32_e32 v2, v0
.LBB223_1006:
	s_mov_b32 s7, 0
.LBB223_1007:
	s_delay_alu instid0(SALU_CYCLE_1)
	s_and_not1_b32 vcc_lo, exec_lo, s7
	s_cbranch_vccnz .LBB223_1009
; %bb.1008:
	global_load_i16 v0, v[6:7], off
	s_wait_loadcnt 0x0
	v_cvt_f32_i32_e32 v2, v0
.LBB223_1009:
	s_cbranch_execnz .LBB223_1015
.LBB223_1010:
	s_sext_i32_i16 s7, s13
	s_delay_alu instid0(SALU_CYCLE_1)
	s_cmp_gt_i32 s7, 0
	s_mov_b32 s7, 0
	s_cbranch_scc0 .LBB223_1012
; %bb.1011:
	global_load_i8 v0, v[6:7], off
	s_wait_loadcnt 0x0
	v_cvt_f32_i32_e32 v2, v0
	s_branch .LBB223_1013
.LBB223_1012:
	s_mov_b32 s7, -1
                                        ; implicit-def: $vgpr2
.LBB223_1013:
	s_delay_alu instid0(SALU_CYCLE_1)
	s_and_not1_b32 vcc_lo, exec_lo, s7
	s_cbranch_vccnz .LBB223_1015
; %bb.1014:
	global_load_u8 v0, v[6:7], off
	s_wait_loadcnt 0x0
	v_cvt_f32_ubyte0_e32 v2, v0
.LBB223_1015:
	s_or_b32 s0, s0, exec_lo
.LBB223_1016:
	s_wait_xcnt 0x0
	s_or_b32 exec_lo, exec_lo, s6
	s_mov_b32 s13, 0
	s_mov_b32 s12, 0
                                        ; implicit-def: $sgpr6
                                        ; implicit-def: $vgpr0_vgpr1
	s_and_saveexec_b32 s7, s0
	s_cbranch_execz .LBB223_1023
; %bb.1017:
	s_mov_b32 s0, exec_lo
	s_wait_loadcnt 0x0
	s_delay_alu instid0(VALU_DEP_1)
	v_cmpx_o_f32_e32 v2, v2
	s_cbranch_execz .LBB223_1032
; %bb.1018:
	s_cmp_lt_i32 s8, 1
	s_mov_b32 s6, 0
	s_cbranch_scc1 .LBB223_1026
; %bb.1019:
	s_cmp_eq_u32 s8, 1
	s_cbranch_scc0 .LBB223_1027
; %bb.1020:
	v_max_num_f32_e64 v0, s9, s9
	v_max_num_f32_e32 v1, v2, v2
	s_delay_alu instid0(VALU_DEP_1)
	v_min_num_f32_e32 v0, v1, v0
	s_and_b32 vcc_lo, exec_lo, s13
	s_cbranch_vccnz .LBB223_1028
.LBB223_1021:
	s_and_not1_b32 vcc_lo, exec_lo, s12
	s_cbranch_vccnz .LBB223_1029
.LBB223_1022:
	v_max_num_f32_e64 v0, s9, s9
	v_max_num_f32_e32 v1, v2, v2
	v_max_num_f32_e64 v3, s10, s10
	s_delay_alu instid0(VALU_DEP_1)
	v_maxmin_num_f32 v0, v1, v0, v3
	s_cbranch_execz .LBB223_1030
	s_branch .LBB223_1031
.LBB223_1023:
	s_or_b32 exec_lo, exec_lo, s7
	s_and_saveexec_b32 s0, s42
	s_cbranch_execnz .LBB223_1109
.LBB223_1024:
	s_or_b32 exec_lo, exec_lo, s0
	s_and_saveexec_b32 s0, s13
	s_delay_alu instid0(SALU_CYCLE_1)
	s_xor_b32 s0, exec_lo, s0
	s_cbranch_execz .LBB223_1110
.LBB223_1025:
	s_wait_loadcnt 0x0
	s_delay_alu instid0(VALU_DEP_1)
	v_cmp_neq_f32_e32 vcc_lo, 0, v2
	v_cndmask_b32_e64 v3, 0, 1, vcc_lo
	global_store_b8 v[0:1], v3, off
	s_wait_xcnt 0x0
	s_or_b32 exec_lo, exec_lo, s0
	s_and_saveexec_b32 s0, s12
	s_delay_alu instid0(SALU_CYCLE_1)
	s_xor_b32 s0, exec_lo, s0
	s_cbranch_execz .LBB223_1148
	s_branch .LBB223_1111
.LBB223_1026:
                                        ; implicit-def: $vgpr0
	s_cbranch_execnz .LBB223_1028
	s_branch .LBB223_1021
.LBB223_1027:
	s_mov_b32 s12, -1
                                        ; implicit-def: $vgpr0
	s_and_b32 vcc_lo, exec_lo, s13
	s_cbranch_vccz .LBB223_1021
.LBB223_1028:
	s_cmp_lg_u32 s8, 0
	s_mov_b32 s6, -1
	s_cselect_b32 s12, -1, 0
	s_delay_alu instid0(SALU_CYCLE_1)
	s_and_not1_b32 vcc_lo, exec_lo, s12
	s_cbranch_vccz .LBB223_1022
.LBB223_1029:
	s_and_not1_b32 vcc_lo, exec_lo, s6
	s_cbranch_vccnz .LBB223_1031
.LBB223_1030:
	v_max_num_f32_e64 v0, s9, s9
	v_max_num_f32_e32 v1, v2, v2
	s_delay_alu instid0(VALU_DEP_1)
	v_max_num_f32_e32 v0, v1, v0
.LBB223_1031:
	s_delay_alu instid0(VALU_DEP_1)
	v_mov_b32_e32 v2, v0
.LBB223_1032:
	s_or_b32 exec_lo, exec_lo, s0
	v_mov_b32_e32 v5, 0
	s_and_b32 s6, s11, 0xff
	s_delay_alu instid0(SALU_CYCLE_1) | instskip(NEXT) | instid1(VALU_DEP_1)
	s_cmp_lt_i32 s6, 11
	v_add_nc_u64_e32 v[0:1], s[4:5], v[4:5]
	s_cbranch_scc1 .LBB223_1039
; %bb.1033:
	s_and_b32 s4, 0xffff, s6
	s_mov_b32 s5, -1
	s_cmp_gt_i32 s4, 25
	s_mov_b32 s0, s42
	s_cbranch_scc0 .LBB223_1067
; %bb.1034:
	s_cmp_gt_i32 s4, 28
	s_mov_b32 s0, s42
	s_cbranch_scc0 .LBB223_1051
; %bb.1035:
	;; [unrolled: 4-line block ×4, first 2 shown]
	s_cmp_eq_u32 s4, 46
	s_mov_b32 s0, -1
	s_cbranch_scc0 .LBB223_1040
; %bb.1038:
	v_bfe_u32 v3, v2, 16, 1
	v_cmp_o_f32_e32 vcc_lo, v2, v2
	s_mov_b32 s0, 0
	s_mov_b32 s5, 0
	s_delay_alu instid0(VALU_DEP_2) | instskip(NEXT) | instid1(VALU_DEP_1)
	v_add3_u32 v3, v2, v3, 0x7fff
	v_lshrrev_b32_e32 v3, 16, v3
	s_delay_alu instid0(VALU_DEP_1)
	v_cndmask_b32_e32 v3, 0x7fc0, v3, vcc_lo
	global_store_b32 v[0:1], v3, off
	s_branch .LBB223_1041
.LBB223_1039:
	s_mov_b32 s8, 0
	s_mov_b32 s5, -1
	s_mov_b32 s0, s42
	s_branch .LBB223_1108
.LBB223_1040:
	s_mov_b32 s5, 0
.LBB223_1041:
	s_delay_alu instid0(SALU_CYCLE_1)
	s_and_b32 vcc_lo, exec_lo, s5
	s_cbranch_vccz .LBB223_1046
; %bb.1042:
	s_cmp_eq_u32 s4, 44
	s_mov_b32 s0, -1
	s_cbranch_scc0 .LBB223_1046
; %bb.1043:
	v_bfe_u32 v4, v2, 23, 8
	s_wait_xcnt 0x0
	v_mov_b32_e32 v3, 0xff
	s_mov_b32 s5, exec_lo
	s_delay_alu instid0(VALU_DEP_2)
	v_cmpx_ne_u32_e32 0xff, v4
	s_cbranch_execz .LBB223_1045
; %bb.1044:
	v_and_b32_e32 v3, 0x400000, v2
	v_and_or_b32 v4, 0x3fffff, v2, v4
	s_delay_alu instid0(VALU_DEP_2) | instskip(NEXT) | instid1(VALU_DEP_2)
	v_cmp_ne_u32_e32 vcc_lo, 0, v3
	v_cmp_ne_u32_e64 s0, 0, v4
	v_lshrrev_b32_e32 v3, 23, v2
	s_and_b32 s0, vcc_lo, s0
	s_delay_alu instid0(SALU_CYCLE_1) | instskip(NEXT) | instid1(VALU_DEP_1)
	v_cndmask_b32_e64 v4, 0, 1, s0
	v_add_nc_u32_e32 v3, v3, v4
.LBB223_1045:
	s_or_b32 exec_lo, exec_lo, s5
	s_mov_b32 s0, 0
	global_store_b8 v[0:1], v3, off
.LBB223_1046:
	s_mov_b32 s5, 0
.LBB223_1047:
	s_delay_alu instid0(SALU_CYCLE_1)
	s_and_b32 vcc_lo, exec_lo, s5
	s_cbranch_vccz .LBB223_1050
; %bb.1048:
	s_cmp_eq_u32 s4, 29
	s_mov_b32 s0, -1
	s_cbranch_scc0 .LBB223_1050
; %bb.1049:
	s_wait_xcnt 0x0
	v_trunc_f32_e32 v3, v2
	s_mov_b32 s0, 0
	s_mov_b32 s5, 0
	s_delay_alu instid0(VALU_DEP_1) | instskip(NEXT) | instid1(VALU_DEP_1)
	v_mul_f32_e32 v4, 0x2f800000, v3
	v_floor_f32_e32 v4, v4
	s_delay_alu instid0(VALU_DEP_1) | instskip(SKIP_1) | instid1(VALU_DEP_2)
	v_fmamk_f32 v3, v4, 0xcf800000, v3
	v_cvt_u32_f32_e32 v5, v4
	v_cvt_u32_f32_e32 v4, v3
	global_store_b64 v[0:1], v[4:5], off
	s_branch .LBB223_1051
.LBB223_1050:
	s_mov_b32 s5, 0
.LBB223_1051:
	s_delay_alu instid0(SALU_CYCLE_1)
	s_and_b32 vcc_lo, exec_lo, s5
	s_cbranch_vccz .LBB223_1066
; %bb.1052:
	s_cmp_lt_i32 s4, 27
	s_mov_b32 s5, -1
	s_cbranch_scc1 .LBB223_1058
; %bb.1053:
	s_cmp_gt_i32 s4, 27
	s_cbranch_scc0 .LBB223_1055
; %bb.1054:
	s_wait_xcnt 0x0
	v_cvt_u32_f32_e32 v3, v2
	s_mov_b32 s5, 0
	global_store_b32 v[0:1], v3, off
.LBB223_1055:
	s_and_not1_b32 vcc_lo, exec_lo, s5
	s_cbranch_vccnz .LBB223_1057
; %bb.1056:
	s_wait_xcnt 0x0
	v_cvt_u32_f32_e32 v3, v2
	global_store_b16 v[0:1], v3, off
.LBB223_1057:
	s_mov_b32 s5, 0
.LBB223_1058:
	s_delay_alu instid0(SALU_CYCLE_1)
	s_and_not1_b32 vcc_lo, exec_lo, s5
	s_cbranch_vccnz .LBB223_1066
; %bb.1059:
	s_wait_xcnt 0x0
	v_and_b32_e32 v3, 0x7fffffff, v2
	v_mov_b32_e32 v4, 0x80
	s_mov_b32 s5, exec_lo
	s_delay_alu instid0(VALU_DEP_2)
	v_cmpx_gt_u32_e32 0x43800000, v3
	s_cbranch_execz .LBB223_1065
; %bb.1060:
	v_cmp_lt_u32_e32 vcc_lo, 0x3bffffff, v3
	s_mov_b32 s8, 0
                                        ; implicit-def: $vgpr3
	s_and_saveexec_b32 s9, vcc_lo
	s_delay_alu instid0(SALU_CYCLE_1)
	s_xor_b32 s9, exec_lo, s9
	s_cbranch_execz .LBB223_1223
; %bb.1061:
	v_bfe_u32 v3, v2, 20, 1
	s_mov_b32 s8, exec_lo
	s_delay_alu instid0(VALU_DEP_1) | instskip(NEXT) | instid1(VALU_DEP_1)
	v_add3_u32 v3, v2, v3, 0x487ffff
	v_lshrrev_b32_e32 v3, 20, v3
	s_and_not1_saveexec_b32 s9, s9
	s_cbranch_execnz .LBB223_1224
.LBB223_1062:
	s_or_b32 exec_lo, exec_lo, s9
	v_mov_b32_e32 v4, 0
	s_and_saveexec_b32 s9, s8
.LBB223_1063:
	v_lshrrev_b32_e32 v4, 24, v2
	s_delay_alu instid0(VALU_DEP_1)
	v_and_or_b32 v4, 0x80, v4, v3
.LBB223_1064:
	s_or_b32 exec_lo, exec_lo, s9
.LBB223_1065:
	s_delay_alu instid0(SALU_CYCLE_1)
	s_or_b32 exec_lo, exec_lo, s5
	global_store_b8 v[0:1], v4, off
.LBB223_1066:
	s_mov_b32 s5, 0
.LBB223_1067:
	s_delay_alu instid0(SALU_CYCLE_1)
	s_and_b32 vcc_lo, exec_lo, s5
	s_mov_b32 s5, 0
	s_cbranch_vccz .LBB223_1107
; %bb.1068:
	s_cmp_gt_i32 s4, 22
	s_mov_b32 s8, -1
	s_cbranch_scc0 .LBB223_1100
; %bb.1069:
	s_cmp_lt_i32 s4, 24
	s_cbranch_scc1 .LBB223_1089
; %bb.1070:
	s_cmp_gt_i32 s4, 24
	s_cbranch_scc0 .LBB223_1078
; %bb.1071:
	s_wait_xcnt 0x0
	v_and_b32_e32 v3, 0x7fffffff, v2
	v_mov_b32_e32 v4, 0x80
	s_mov_b32 s8, exec_lo
	s_delay_alu instid0(VALU_DEP_2)
	v_cmpx_gt_u32_e32 0x47800000, v3
	s_cbranch_execz .LBB223_1077
; %bb.1072:
	v_cmp_lt_u32_e32 vcc_lo, 0x37ffffff, v3
	s_mov_b32 s9, 0
                                        ; implicit-def: $vgpr3
	s_and_saveexec_b32 s10, vcc_lo
	s_delay_alu instid0(SALU_CYCLE_1)
	s_xor_b32 s10, exec_lo, s10
	s_cbranch_execz .LBB223_1362
; %bb.1073:
	v_bfe_u32 v3, v2, 21, 1
	s_mov_b32 s9, exec_lo
	s_delay_alu instid0(VALU_DEP_1) | instskip(NEXT) | instid1(VALU_DEP_1)
	v_add3_u32 v3, v2, v3, 0x88fffff
	v_lshrrev_b32_e32 v3, 21, v3
	s_and_not1_saveexec_b32 s10, s10
	s_cbranch_execnz .LBB223_1363
.LBB223_1074:
	s_or_b32 exec_lo, exec_lo, s10
	v_mov_b32_e32 v4, 0
	s_and_saveexec_b32 s10, s9
.LBB223_1075:
	v_lshrrev_b32_e32 v4, 24, v2
	s_delay_alu instid0(VALU_DEP_1)
	v_and_or_b32 v4, 0x80, v4, v3
.LBB223_1076:
	s_or_b32 exec_lo, exec_lo, s10
.LBB223_1077:
	s_delay_alu instid0(SALU_CYCLE_1)
	s_or_b32 exec_lo, exec_lo, s8
	s_mov_b32 s8, 0
	global_store_b8 v[0:1], v4, off
.LBB223_1078:
	s_and_b32 vcc_lo, exec_lo, s8
	s_cbranch_vccz .LBB223_1088
; %bb.1079:
	s_wait_xcnt 0x0
	v_and_b32_e32 v4, 0x7fffffff, v2
	s_mov_b32 s8, exec_lo
                                        ; implicit-def: $vgpr3
	s_delay_alu instid0(VALU_DEP_1)
	v_cmpx_gt_u32_e32 0x43f00000, v4
	s_xor_b32 s8, exec_lo, s8
	s_cbranch_execz .LBB223_1085
; %bb.1080:
	s_mov_b32 s9, exec_lo
                                        ; implicit-def: $vgpr3
	v_cmpx_lt_u32_e32 0x3c7fffff, v4
	s_xor_b32 s9, exec_lo, s9
; %bb.1081:
	v_bfe_u32 v3, v2, 20, 1
	s_delay_alu instid0(VALU_DEP_1) | instskip(NEXT) | instid1(VALU_DEP_1)
	v_add3_u32 v3, v2, v3, 0x407ffff
	v_and_b32_e32 v4, 0xff00000, v3
	v_lshrrev_b32_e32 v3, 20, v3
	s_delay_alu instid0(VALU_DEP_2) | instskip(NEXT) | instid1(VALU_DEP_2)
	v_cmp_ne_u32_e32 vcc_lo, 0x7f00000, v4
	v_cndmask_b32_e32 v3, 0x7e, v3, vcc_lo
; %bb.1082:
	s_and_not1_saveexec_b32 s9, s9
; %bb.1083:
	v_add_f32_e64 v3, 0x46800000, |v2|
; %bb.1084:
	s_or_b32 exec_lo, exec_lo, s9
                                        ; implicit-def: $vgpr4
.LBB223_1085:
	s_and_not1_saveexec_b32 s8, s8
; %bb.1086:
	v_mov_b32_e32 v3, 0x7f
	v_cmp_lt_u32_e32 vcc_lo, 0x7f800000, v4
	s_delay_alu instid0(VALU_DEP_2)
	v_cndmask_b32_e32 v3, 0x7e, v3, vcc_lo
; %bb.1087:
	s_or_b32 exec_lo, exec_lo, s8
	v_lshrrev_b32_e32 v4, 24, v2
	s_delay_alu instid0(VALU_DEP_1)
	v_and_or_b32 v3, 0x80, v4, v3
	global_store_b8 v[0:1], v3, off
.LBB223_1088:
	s_mov_b32 s8, 0
.LBB223_1089:
	s_delay_alu instid0(SALU_CYCLE_1)
	s_and_not1_b32 vcc_lo, exec_lo, s8
	s_cbranch_vccnz .LBB223_1099
; %bb.1090:
	s_wait_xcnt 0x0
	v_and_b32_e32 v4, 0x7fffffff, v2
	s_mov_b32 s8, exec_lo
                                        ; implicit-def: $vgpr3
	s_delay_alu instid0(VALU_DEP_1)
	v_cmpx_gt_u32_e32 0x47800000, v4
	s_xor_b32 s8, exec_lo, s8
	s_cbranch_execz .LBB223_1096
; %bb.1091:
	s_mov_b32 s9, exec_lo
                                        ; implicit-def: $vgpr3
	v_cmpx_lt_u32_e32 0x387fffff, v4
	s_xor_b32 s9, exec_lo, s9
; %bb.1092:
	v_bfe_u32 v3, v2, 21, 1
	s_delay_alu instid0(VALU_DEP_1) | instskip(NEXT) | instid1(VALU_DEP_1)
	v_add3_u32 v3, v2, v3, 0x80fffff
	v_lshrrev_b32_e32 v3, 21, v3
; %bb.1093:
	s_and_not1_saveexec_b32 s9, s9
; %bb.1094:
	v_add_f32_e64 v3, 0x43000000, |v2|
; %bb.1095:
	s_or_b32 exec_lo, exec_lo, s9
                                        ; implicit-def: $vgpr4
.LBB223_1096:
	s_and_not1_saveexec_b32 s8, s8
; %bb.1097:
	v_mov_b32_e32 v3, 0x7f
	v_cmp_lt_u32_e32 vcc_lo, 0x7f800000, v4
	s_delay_alu instid0(VALU_DEP_2)
	v_cndmask_b32_e32 v3, 0x7c, v3, vcc_lo
; %bb.1098:
	s_or_b32 exec_lo, exec_lo, s8
	v_lshrrev_b32_e32 v4, 24, v2
	s_delay_alu instid0(VALU_DEP_1)
	v_and_or_b32 v3, 0x80, v4, v3
	global_store_b8 v[0:1], v3, off
.LBB223_1099:
	s_mov_b32 s8, 0
.LBB223_1100:
	s_delay_alu instid0(SALU_CYCLE_1)
	s_and_not1_b32 vcc_lo, exec_lo, s8
	s_mov_b32 s8, 0
	s_cbranch_vccnz .LBB223_1108
; %bb.1101:
	s_cmp_gt_i32 s4, 14
	s_mov_b32 s8, -1
	s_cbranch_scc0 .LBB223_1105
; %bb.1102:
	s_cmp_eq_u32 s4, 15
	s_mov_b32 s0, -1
	s_cbranch_scc0 .LBB223_1104
; %bb.1103:
	s_wait_xcnt 0x0
	v_bfe_u32 v3, v2, 16, 1
	v_cmp_o_f32_e32 vcc_lo, v2, v2
	s_mov_b32 s0, 0
	s_delay_alu instid0(VALU_DEP_2) | instskip(NEXT) | instid1(VALU_DEP_1)
	v_add3_u32 v3, v2, v3, 0x7fff
	v_lshrrev_b32_e32 v3, 16, v3
	s_delay_alu instid0(VALU_DEP_1)
	v_cndmask_b32_e32 v3, 0x7fc0, v3, vcc_lo
	global_store_b16 v[0:1], v3, off
.LBB223_1104:
	s_mov_b32 s8, 0
.LBB223_1105:
	s_delay_alu instid0(SALU_CYCLE_1)
	s_and_b32 vcc_lo, exec_lo, s8
	s_mov_b32 s8, 0
	s_cbranch_vccz .LBB223_1108
; %bb.1106:
	s_cmp_lg_u32 s4, 11
	s_mov_b32 s8, -1
	s_cselect_b32 s4, -1, 0
	s_and_not1_b32 s0, s0, exec_lo
	s_and_b32 s4, s4, exec_lo
	s_delay_alu instid0(SALU_CYCLE_1)
	s_or_b32 s0, s0, s4
	s_branch .LBB223_1108
.LBB223_1107:
	s_mov_b32 s8, 0
.LBB223_1108:
	s_and_not1_b32 s4, s42, exec_lo
	s_and_b32 s0, s0, exec_lo
	s_and_b32 s12, s5, exec_lo
	;; [unrolled: 1-line block ×3, first 2 shown]
	s_or_b32 s42, s4, s0
	s_wait_xcnt 0x0
	s_or_b32 exec_lo, exec_lo, s7
	s_and_saveexec_b32 s0, s42
	s_cbranch_execz .LBB223_1024
.LBB223_1109:
	s_or_b32 s1, s1, exec_lo
	s_and_not1_b32 s13, s13, exec_lo
	s_trap 2
	s_or_b32 exec_lo, exec_lo, s0
	s_and_saveexec_b32 s0, s13
	s_delay_alu instid0(SALU_CYCLE_1)
	s_xor_b32 s0, exec_lo, s0
	s_cbranch_execnz .LBB223_1025
.LBB223_1110:
	s_or_b32 exec_lo, exec_lo, s0
	s_and_saveexec_b32 s0, s12
	s_delay_alu instid0(SALU_CYCLE_1)
	s_xor_b32 s0, exec_lo, s0
	s_cbranch_execz .LBB223_1148
.LBB223_1111:
	s_sext_i32_i16 s5, s6
	s_mov_b32 s4, -1
	s_cmp_lt_i32 s5, 5
	s_cbranch_scc1 .LBB223_1132
; %bb.1112:
	s_cmp_lt_i32 s5, 8
	s_cbranch_scc1 .LBB223_1122
; %bb.1113:
	;; [unrolled: 3-line block ×3, first 2 shown]
	s_cmp_gt_i32 s5, 9
	s_cbranch_scc0 .LBB223_1116
; %bb.1115:
	s_wait_loadcnt 0x0
	v_cvt_f64_f32_e32 v[4:5], v2
	v_mov_b32_e32 v6, 0
	s_mov_b32 s4, 0
	s_delay_alu instid0(VALU_DEP_1)
	v_mov_b32_e32 v7, v6
	global_store_b128 v[0:1], v[4:7], off
.LBB223_1116:
	s_and_not1_b32 vcc_lo, exec_lo, s4
	s_cbranch_vccnz .LBB223_1118
; %bb.1117:
	v_mov_b32_e32 v3, 0
	s_wait_loadcnt 0x0
	global_store_b64 v[0:1], v[2:3], off
.LBB223_1118:
	s_mov_b32 s4, 0
.LBB223_1119:
	s_delay_alu instid0(SALU_CYCLE_1)
	s_and_not1_b32 vcc_lo, exec_lo, s4
	s_cbranch_vccnz .LBB223_1121
; %bb.1120:
	s_wait_loadcnt 0x0
	v_cvt_f16_f32_e32 v3, v2
	s_delay_alu instid0(VALU_DEP_1)
	v_and_b32_e32 v3, 0xffff, v3
	global_store_b32 v[0:1], v3, off
.LBB223_1121:
	s_mov_b32 s4, 0
.LBB223_1122:
	s_delay_alu instid0(SALU_CYCLE_1)
	s_and_not1_b32 vcc_lo, exec_lo, s4
	s_cbranch_vccnz .LBB223_1131
; %bb.1123:
	s_sext_i32_i16 s5, s6
	s_mov_b32 s4, -1
	s_cmp_lt_i32 s5, 6
	s_cbranch_scc1 .LBB223_1129
; %bb.1124:
	s_cmp_gt_i32 s5, 6
	s_cbranch_scc0 .LBB223_1126
; %bb.1125:
	s_wait_loadcnt 0x0
	v_cvt_f64_f32_e32 v[4:5], v2
	s_mov_b32 s4, 0
	global_store_b64 v[0:1], v[4:5], off
.LBB223_1126:
	s_and_not1_b32 vcc_lo, exec_lo, s4
	s_cbranch_vccnz .LBB223_1128
; %bb.1127:
	s_wait_loadcnt 0x0
	global_store_b32 v[0:1], v2, off
.LBB223_1128:
	s_mov_b32 s4, 0
.LBB223_1129:
	s_delay_alu instid0(SALU_CYCLE_1)
	s_and_not1_b32 vcc_lo, exec_lo, s4
	s_cbranch_vccnz .LBB223_1131
; %bb.1130:
	s_wait_loadcnt 0x0
	v_cvt_f16_f32_e32 v3, v2
	global_store_b16 v[0:1], v3, off
.LBB223_1131:
	s_mov_b32 s4, 0
.LBB223_1132:
	s_delay_alu instid0(SALU_CYCLE_1)
	s_and_not1_b32 vcc_lo, exec_lo, s4
	s_cbranch_vccnz .LBB223_1148
; %bb.1133:
	s_sext_i32_i16 s5, s6
	s_mov_b32 s4, -1
	s_cmp_lt_i32 s5, 2
	s_cbranch_scc1 .LBB223_1143
; %bb.1134:
	s_cmp_lt_i32 s5, 3
	s_cbranch_scc1 .LBB223_1140
; %bb.1135:
	s_cmp_gt_i32 s5, 3
	s_cbranch_scc0 .LBB223_1137
; %bb.1136:
	s_wait_loadcnt 0x0
	v_trunc_f32_e32 v3, v2
	s_mov_b32 s4, 0
	s_delay_alu instid0(VALU_DEP_1) | instskip(NEXT) | instid1(VALU_DEP_1)
	v_mul_f32_e64 v4, 0x2f800000, |v3|
	v_floor_f32_e32 v5, v4
	v_ashrrev_i32_e32 v4, 31, v3
	s_delay_alu instid0(VALU_DEP_2) | instskip(SKIP_1) | instid1(VALU_DEP_3)
	v_fma_f32 v6, 0xcf800000, v5, |v3|
	v_cvt_u32_f32_e32 v3, v5
	v_mov_b32_e32 v5, v4
	s_delay_alu instid0(VALU_DEP_3) | instskip(NEXT) | instid1(VALU_DEP_3)
	v_cvt_u32_f32_e32 v6, v6
	v_xor_b32_e32 v7, v3, v4
	s_delay_alu instid0(VALU_DEP_2) | instskip(NEXT) | instid1(VALU_DEP_1)
	v_xor_b32_e32 v6, v6, v4
	v_sub_nc_u64_e32 v[4:5], v[6:7], v[4:5]
	global_store_b64 v[0:1], v[4:5], off
.LBB223_1137:
	s_and_not1_b32 vcc_lo, exec_lo, s4
	s_cbranch_vccnz .LBB223_1139
; %bb.1138:
	s_wait_loadcnt 0x0
	v_cvt_i32_f32_e32 v3, v2
	global_store_b32 v[0:1], v3, off
.LBB223_1139:
	s_mov_b32 s4, 0
.LBB223_1140:
	s_delay_alu instid0(SALU_CYCLE_1)
	s_and_not1_b32 vcc_lo, exec_lo, s4
	s_cbranch_vccnz .LBB223_1142
; %bb.1141:
	s_wait_loadcnt 0x0
	v_cvt_i32_f32_e32 v3, v2
	global_store_b16 v[0:1], v3, off
.LBB223_1142:
	s_mov_b32 s4, 0
.LBB223_1143:
	s_delay_alu instid0(SALU_CYCLE_1)
	s_and_not1_b32 vcc_lo, exec_lo, s4
	s_cbranch_vccnz .LBB223_1148
; %bb.1144:
	s_sext_i32_i16 s4, s6
	s_delay_alu instid0(SALU_CYCLE_1)
	s_cmp_gt_i32 s4, 0
	s_mov_b32 s4, -1
	s_cbranch_scc0 .LBB223_1146
; %bb.1145:
	s_wait_loadcnt 0x0
	v_cvt_i32_f32_e32 v3, v2
	s_mov_b32 s4, 0
	global_store_b8 v[0:1], v3, off
.LBB223_1146:
	s_and_not1_b32 vcc_lo, exec_lo, s4
	s_cbranch_vccnz .LBB223_1148
; %bb.1147:
	s_wait_loadcnt 0x0
	v_trunc_f32_e32 v2, v2
	s_delay_alu instid0(VALU_DEP_1) | instskip(NEXT) | instid1(VALU_DEP_1)
	v_mul_f32_e64 v3, 0x2f800000, |v2|
	v_floor_f32_e32 v3, v3
	s_delay_alu instid0(VALU_DEP_1) | instskip(SKIP_1) | instid1(VALU_DEP_2)
	v_fma_f32 v3, 0xcf800000, v3, |v2|
	v_ashrrev_i32_e32 v2, 31, v2
	v_cvt_u32_f32_e32 v3, v3
	s_delay_alu instid0(VALU_DEP_1) | instskip(NEXT) | instid1(VALU_DEP_1)
	v_xor_b32_e32 v3, v3, v2
	v_sub_nc_u32_e32 v2, v3, v2
	global_store_b8 v[0:1], v2, off
.LBB223_1148:
	s_wait_xcnt 0x0
	s_or_b32 exec_lo, exec_lo, s0
	s_delay_alu instid0(SALU_CYCLE_1)
	s_and_b32 s8, s1, exec_lo
                                        ; implicit-def: $vgpr9
                                        ; implicit-def: $vgpr0
.LBB223_1149:
	s_or_saveexec_b32 s9, s37
	s_mov_b32 s0, 0
                                        ; implicit-def: $vgpr2_vgpr3
                                        ; implicit-def: $sgpr1
                                        ; implicit-def: $vgpr12
	s_xor_b32 exec_lo, exec_lo, s9
	s_cbranch_execz .LBB223_1772
; %bb.1150:
	v_cndmask_b32_e64 v1, 0, 1, s36
	s_and_not1_b32 vcc_lo, exec_lo, s36
	s_cbranch_vccnz .LBB223_1156
; %bb.1151:
	s_cmp_lg_u32 s33, 0
	s_mov_b32 s10, 0
	s_cbranch_scc0 .LBB223_1157
; %bb.1152:
	s_min_u32 s1, s34, 15
	s_delay_alu instid0(SALU_CYCLE_1)
	s_add_co_i32 s1, s1, 1
	s_cmp_eq_u32 s34, 2
	s_cbranch_scc1 .LBB223_1158
; %bb.1153:
	v_dual_mov_b32 v6, 0 :: v_dual_mov_b32 v8, 0
	s_wait_loadcnt 0x0
	v_mov_b32_e32 v2, v0
	s_and_b32 s0, s1, 28
	s_add_nc_u64 s[4:5], s[2:3], 0xc4
	s_mov_b32 s11, 0
	s_mov_b64 s[6:7], s[2:3]
.LBB223_1154:                           ; =>This Inner Loop Header: Depth=1
	s_clause 0x1
	s_load_b256 s[12:19], s[6:7], 0x4
	s_load_b128 s[28:31], s[6:7], 0x24
	s_load_b256 s[20:27], s[4:5], 0x0
	s_add_co_i32 s11, s11, 4
	s_wait_xcnt 0x0
	s_add_nc_u64 s[6:7], s[6:7], 48
	s_cmp_lg_u32 s0, s11
	s_add_nc_u64 s[4:5], s[4:5], 32
	s_wait_kmcnt 0x0
	v_mul_hi_u32 v3, s13, v2
	s_delay_alu instid0(VALU_DEP_1) | instskip(NEXT) | instid1(VALU_DEP_1)
	v_add_nc_u32_e32 v3, v2, v3
	v_lshrrev_b32_e32 v3, s14, v3
	s_delay_alu instid0(VALU_DEP_1) | instskip(NEXT) | instid1(VALU_DEP_1)
	v_mul_hi_u32 v4, s16, v3
	v_add_nc_u32_e32 v4, v3, v4
	s_delay_alu instid0(VALU_DEP_1) | instskip(NEXT) | instid1(VALU_DEP_1)
	v_lshrrev_b32_e32 v4, s17, v4
	v_mul_hi_u32 v5, s19, v4
	s_delay_alu instid0(VALU_DEP_1) | instskip(SKIP_1) | instid1(VALU_DEP_1)
	v_add_nc_u32_e32 v5, v4, v5
	v_mul_lo_u32 v7, v3, s12
	v_sub_nc_u32_e32 v2, v2, v7
	v_mul_lo_u32 v7, v4, s15
	s_delay_alu instid0(VALU_DEP_4) | instskip(NEXT) | instid1(VALU_DEP_3)
	v_lshrrev_b32_e32 v5, s28, v5
	v_mad_u32 v8, v2, s21, v8
	v_mad_u32 v2, v2, s20, v6
	s_delay_alu instid0(VALU_DEP_4) | instskip(NEXT) | instid1(VALU_DEP_4)
	v_sub_nc_u32_e32 v3, v3, v7
	v_mul_hi_u32 v10, s30, v5
	v_mul_lo_u32 v6, v5, s18
	s_delay_alu instid0(VALU_DEP_3) | instskip(SKIP_1) | instid1(VALU_DEP_4)
	v_mad_u32 v8, v3, s23, v8
	v_mad_u32 v3, v3, s22, v2
	v_add_nc_u32_e32 v7, v5, v10
	s_delay_alu instid0(VALU_DEP_1) | instskip(NEXT) | instid1(VALU_DEP_1)
	v_dual_sub_nc_u32 v4, v4, v6 :: v_dual_lshrrev_b32 v2, s31, v7
	v_mad_u32 v7, v4, s25, v8
	s_delay_alu instid0(VALU_DEP_4) | instskip(NEXT) | instid1(VALU_DEP_3)
	v_mad_u32 v3, v4, s24, v3
	v_mul_lo_u32 v6, v2, s29
	s_delay_alu instid0(VALU_DEP_1) | instskip(NEXT) | instid1(VALU_DEP_1)
	v_sub_nc_u32_e32 v4, v5, v6
	v_mad_u32 v8, v4, s27, v7
	s_delay_alu instid0(VALU_DEP_4)
	v_mad_u32 v6, v4, s26, v3
	s_cbranch_scc1 .LBB223_1154
; %bb.1155:
	s_delay_alu instid0(VALU_DEP_2)
	v_mov_b32_e32 v7, v8
	s_and_b32 s6, s1, 3
	s_mov_b32 s1, 0
	s_cmp_eq_u32 s6, 0
	s_cbranch_scc0 .LBB223_1159
	s_branch .LBB223_1162
.LBB223_1156:
	s_mov_b32 s10, -1
                                        ; implicit-def: $vgpr8
                                        ; implicit-def: $vgpr6
	s_branch .LBB223_1162
.LBB223_1157:
	v_dual_mov_b32 v8, 0 :: v_dual_mov_b32 v6, 0
	s_branch .LBB223_1162
.LBB223_1158:
	v_mov_b64_e32 v[6:7], 0
	s_wait_loadcnt 0x0
	v_mov_b32_e32 v2, v0
                                        ; implicit-def: $vgpr8
	s_and_b32 s6, s1, 3
	s_mov_b32 s1, 0
	s_cmp_eq_u32 s6, 0
	s_cbranch_scc1 .LBB223_1162
.LBB223_1159:
	s_lshl_b32 s4, s0, 3
	s_mov_b32 s5, s1
	s_mul_u64 s[12:13], s[0:1], 12
	s_add_nc_u64 s[4:5], s[2:3], s[4:5]
	s_delay_alu instid0(SALU_CYCLE_1)
	s_add_nc_u64 s[0:1], s[4:5], 0xc4
	s_add_nc_u64 s[4:5], s[2:3], s[12:13]
.LBB223_1160:                           ; =>This Inner Loop Header: Depth=1
	s_load_b96 s[12:14], s[4:5], 0x4
	s_add_co_i32 s6, s6, -1
	s_wait_xcnt 0x0
	s_add_nc_u64 s[4:5], s[4:5], 12
	s_cmp_lg_u32 s6, 0
	s_wait_kmcnt 0x0
	v_mul_hi_u32 v3, s13, v2
	s_delay_alu instid0(VALU_DEP_1) | instskip(NEXT) | instid1(VALU_DEP_1)
	v_add_nc_u32_e32 v3, v2, v3
	v_lshrrev_b32_e32 v3, s14, v3
	s_load_b64 s[14:15], s[0:1], 0x0
	s_wait_xcnt 0x0
	s_add_nc_u64 s[0:1], s[0:1], 8
	s_delay_alu instid0(VALU_DEP_1) | instskip(NEXT) | instid1(VALU_DEP_1)
	v_mul_lo_u32 v4, v3, s12
	v_sub_nc_u32_e32 v2, v2, v4
	s_wait_kmcnt 0x0
	s_delay_alu instid0(VALU_DEP_1)
	v_mad_u32 v7, v2, s15, v7
	v_mad_u32 v6, v2, s14, v6
	v_mov_b32_e32 v2, v3
	s_cbranch_scc1 .LBB223_1160
; %bb.1161:
	s_delay_alu instid0(VALU_DEP_3)
	v_mov_b32_e32 v8, v7
.LBB223_1162:
	s_and_not1_b32 vcc_lo, exec_lo, s10
	s_cbranch_vccnz .LBB223_1165
; %bb.1163:
	s_clause 0x1
	s_load_b96 s[4:6], s[2:3], 0x4
	s_load_b64 s[0:1], s[2:3], 0xc4
	s_cmp_lt_u32 s33, 2
	s_wait_loadcnt 0x0
	s_wait_kmcnt 0x0
	v_mul_hi_u32 v2, s5, v0
	s_delay_alu instid0(VALU_DEP_1) | instskip(NEXT) | instid1(VALU_DEP_1)
	v_add_nc_u32_e32 v2, v0, v2
	v_lshrrev_b32_e32 v2, s6, v2
	s_delay_alu instid0(VALU_DEP_1) | instskip(NEXT) | instid1(VALU_DEP_1)
	v_mul_lo_u32 v3, v2, s4
	v_sub_nc_u32_e32 v3, v0, v3
	s_delay_alu instid0(VALU_DEP_1)
	v_mul_lo_u32 v8, v3, s1
	v_mul_lo_u32 v6, v3, s0
	s_cbranch_scc1 .LBB223_1165
; %bb.1164:
	s_clause 0x1
	s_load_b96 s[4:6], s[2:3], 0x10
	s_load_b64 s[0:1], s[2:3], 0xcc
	s_wait_kmcnt 0x0
	v_mul_hi_u32 v3, s5, v2
	s_delay_alu instid0(VALU_DEP_1) | instskip(NEXT) | instid1(VALU_DEP_1)
	v_add_nc_u32_e32 v3, v2, v3
	v_lshrrev_b32_e32 v3, s6, v3
	s_delay_alu instid0(VALU_DEP_1) | instskip(NEXT) | instid1(VALU_DEP_1)
	v_mul_lo_u32 v3, v3, s4
	v_sub_nc_u32_e32 v2, v2, v3
	s_delay_alu instid0(VALU_DEP_1)
	v_mad_u32 v6, v2, s0, v6
	v_mad_u32 v8, v2, s1, v8
.LBB223_1165:
	v_cmp_ne_u32_e32 vcc_lo, 1, v1
	s_wait_loadcnt 0x0
	v_add_nc_u32_e32 v2, 0x80, v0
	s_cbranch_vccnz .LBB223_1171
; %bb.1166:
	s_cmp_lg_u32 s33, 0
	s_mov_b32 s10, 0
	s_cbranch_scc0 .LBB223_1172
; %bb.1167:
	s_min_u32 s1, s34, 15
	s_delay_alu instid0(SALU_CYCLE_1)
	s_add_co_i32 s1, s1, 1
	s_cmp_eq_u32 s34, 2
	s_cbranch_scc1 .LBB223_1173
; %bb.1168:
	v_dual_mov_b32 v4, 0 :: v_dual_mov_b32 v10, 0
	v_mov_b32_e32 v3, v2
	s_and_b32 s0, s1, 28
	s_add_nc_u64 s[4:5], s[2:3], 0xc4
	s_mov_b32 s11, 0
	s_mov_b64 s[6:7], s[2:3]
.LBB223_1169:                           ; =>This Inner Loop Header: Depth=1
	s_clause 0x1
	s_load_b256 s[12:19], s[6:7], 0x4
	s_load_b128 s[28:31], s[6:7], 0x24
	s_load_b256 s[20:27], s[4:5], 0x0
	s_add_co_i32 s11, s11, 4
	s_wait_xcnt 0x0
	s_add_nc_u64 s[6:7], s[6:7], 48
	s_cmp_lg_u32 s0, s11
	s_add_nc_u64 s[4:5], s[4:5], 32
	s_wait_kmcnt 0x0
	v_mul_hi_u32 v5, s13, v3
	s_delay_alu instid0(VALU_DEP_1) | instskip(NEXT) | instid1(VALU_DEP_1)
	v_add_nc_u32_e32 v5, v3, v5
	v_lshrrev_b32_e32 v5, s14, v5
	s_delay_alu instid0(VALU_DEP_1) | instskip(NEXT) | instid1(VALU_DEP_1)
	v_mul_hi_u32 v7, s16, v5
	v_add_nc_u32_e32 v7, v5, v7
	s_delay_alu instid0(VALU_DEP_1) | instskip(NEXT) | instid1(VALU_DEP_1)
	v_lshrrev_b32_e32 v7, s17, v7
	v_mul_hi_u32 v11, s19, v7
	s_delay_alu instid0(VALU_DEP_1) | instskip(SKIP_1) | instid1(VALU_DEP_1)
	v_add_nc_u32_e32 v11, v7, v11
	v_mul_lo_u32 v12, v5, s12
	v_sub_nc_u32_e32 v3, v3, v12
	v_mul_lo_u32 v12, v7, s15
	s_delay_alu instid0(VALU_DEP_4) | instskip(NEXT) | instid1(VALU_DEP_3)
	v_lshrrev_b32_e32 v11, s28, v11
	v_mad_u32 v10, v3, s21, v10
	v_mad_u32 v3, v3, s20, v4
	s_delay_alu instid0(VALU_DEP_4) | instskip(NEXT) | instid1(VALU_DEP_4)
	v_sub_nc_u32_e32 v4, v5, v12
	v_mul_hi_u32 v13, s30, v11
	v_mul_lo_u32 v5, v11, s18
	s_delay_alu instid0(VALU_DEP_3) | instskip(SKIP_1) | instid1(VALU_DEP_4)
	v_mad_u32 v10, v4, s23, v10
	v_mad_u32 v4, v4, s22, v3
	v_add_nc_u32_e32 v12, v11, v13
	s_delay_alu instid0(VALU_DEP_1) | instskip(NEXT) | instid1(VALU_DEP_1)
	v_dual_sub_nc_u32 v5, v7, v5 :: v_dual_lshrrev_b32 v3, s31, v12
	v_mad_u32 v10, v5, s25, v10
	s_delay_alu instid0(VALU_DEP_4) | instskip(NEXT) | instid1(VALU_DEP_3)
	v_mad_u32 v4, v5, s24, v4
	v_mul_lo_u32 v7, v3, s29
	s_delay_alu instid0(VALU_DEP_1) | instskip(NEXT) | instid1(VALU_DEP_1)
	v_sub_nc_u32_e32 v5, v11, v7
	v_mad_u32 v10, v5, s27, v10
	s_delay_alu instid0(VALU_DEP_4)
	v_mad_u32 v4, v5, s26, v4
	s_cbranch_scc1 .LBB223_1169
; %bb.1170:
	s_delay_alu instid0(VALU_DEP_2)
	v_mov_b32_e32 v5, v10
	s_and_b32 s6, s1, 3
	s_mov_b32 s1, 0
	s_cmp_eq_u32 s6, 0
	s_cbranch_scc0 .LBB223_1174
	s_branch .LBB223_1177
.LBB223_1171:
	s_mov_b32 s10, -1
                                        ; implicit-def: $vgpr10
                                        ; implicit-def: $vgpr4
	s_branch .LBB223_1177
.LBB223_1172:
	v_dual_mov_b32 v10, 0 :: v_dual_mov_b32 v4, 0
	s_branch .LBB223_1177
.LBB223_1173:
	v_mov_b64_e32 v[4:5], 0
	v_mov_b32_e32 v3, v2
	s_mov_b32 s0, 0
                                        ; implicit-def: $vgpr10
	s_and_b32 s6, s1, 3
	s_mov_b32 s1, 0
	s_cmp_eq_u32 s6, 0
	s_cbranch_scc1 .LBB223_1177
.LBB223_1174:
	s_lshl_b32 s4, s0, 3
	s_mov_b32 s5, s1
	s_mul_u64 s[12:13], s[0:1], 12
	s_add_nc_u64 s[4:5], s[2:3], s[4:5]
	s_delay_alu instid0(SALU_CYCLE_1)
	s_add_nc_u64 s[0:1], s[4:5], 0xc4
	s_add_nc_u64 s[4:5], s[2:3], s[12:13]
.LBB223_1175:                           ; =>This Inner Loop Header: Depth=1
	s_load_b96 s[12:14], s[4:5], 0x4
	s_add_co_i32 s6, s6, -1
	s_wait_xcnt 0x0
	s_add_nc_u64 s[4:5], s[4:5], 12
	s_cmp_lg_u32 s6, 0
	s_wait_kmcnt 0x0
	v_mul_hi_u32 v7, s13, v3
	s_delay_alu instid0(VALU_DEP_1) | instskip(NEXT) | instid1(VALU_DEP_1)
	v_add_nc_u32_e32 v7, v3, v7
	v_lshrrev_b32_e32 v7, s14, v7
	s_load_b64 s[14:15], s[0:1], 0x0
	s_wait_xcnt 0x0
	s_add_nc_u64 s[0:1], s[0:1], 8
	s_delay_alu instid0(VALU_DEP_1) | instskip(NEXT) | instid1(VALU_DEP_1)
	v_mul_lo_u32 v10, v7, s12
	v_sub_nc_u32_e32 v3, v3, v10
	s_wait_kmcnt 0x0
	s_delay_alu instid0(VALU_DEP_1)
	v_mad_u32 v5, v3, s15, v5
	v_mad_u32 v4, v3, s14, v4
	v_mov_b32_e32 v3, v7
	s_cbranch_scc1 .LBB223_1175
; %bb.1176:
	s_delay_alu instid0(VALU_DEP_3)
	v_mov_b32_e32 v10, v5
.LBB223_1177:
	s_and_not1_b32 vcc_lo, exec_lo, s10
	s_cbranch_vccnz .LBB223_1180
; %bb.1178:
	s_clause 0x1
	s_load_b96 s[4:6], s[2:3], 0x4
	s_load_b64 s[0:1], s[2:3], 0xc4
	s_cmp_lt_u32 s33, 2
	s_wait_kmcnt 0x0
	v_mul_hi_u32 v3, s5, v2
	s_delay_alu instid0(VALU_DEP_1) | instskip(NEXT) | instid1(VALU_DEP_1)
	v_add_nc_u32_e32 v3, v2, v3
	v_lshrrev_b32_e32 v3, s6, v3
	s_delay_alu instid0(VALU_DEP_1) | instskip(NEXT) | instid1(VALU_DEP_1)
	v_mul_lo_u32 v4, v3, s4
	v_sub_nc_u32_e32 v2, v2, v4
	s_delay_alu instid0(VALU_DEP_1)
	v_mul_lo_u32 v10, v2, s1
	v_mul_lo_u32 v4, v2, s0
	s_cbranch_scc1 .LBB223_1180
; %bb.1179:
	s_clause 0x1
	s_load_b96 s[4:6], s[2:3], 0x10
	s_load_b64 s[0:1], s[2:3], 0xcc
	s_wait_kmcnt 0x0
	v_mul_hi_u32 v2, s5, v3
	s_delay_alu instid0(VALU_DEP_1) | instskip(NEXT) | instid1(VALU_DEP_1)
	v_add_nc_u32_e32 v2, v3, v2
	v_lshrrev_b32_e32 v2, s6, v2
	s_delay_alu instid0(VALU_DEP_1) | instskip(NEXT) | instid1(VALU_DEP_1)
	v_mul_lo_u32 v2, v2, s4
	v_sub_nc_u32_e32 v2, v3, v2
	s_delay_alu instid0(VALU_DEP_1)
	v_mad_u32 v4, v2, s0, v4
	v_mad_u32 v10, v2, s1, v10
.LBB223_1180:
	v_cmp_ne_u32_e32 vcc_lo, 1, v1
	v_add_nc_u32_e32 v0, 0x100, v0
	s_cbranch_vccnz .LBB223_1186
; %bb.1181:
	s_cmp_lg_u32 s33, 0
	s_mov_b32 s10, 0
	s_cbranch_scc0 .LBB223_1187
; %bb.1182:
	s_min_u32 s1, s34, 15
	s_delay_alu instid0(SALU_CYCLE_1)
	s_add_co_i32 s1, s1, 1
	s_cmp_eq_u32 s34, 2
	s_cbranch_scc1 .LBB223_1188
; %bb.1183:
	v_dual_mov_b32 v2, 0 :: v_dual_mov_b32 v14, 0
	v_mov_b32_e32 v5, v0
	s_and_b32 s0, s1, 28
	s_add_nc_u64 s[4:5], s[2:3], 0xc4
	s_mov_b32 s11, 0
	s_mov_b64 s[6:7], s[2:3]
.LBB223_1184:                           ; =>This Inner Loop Header: Depth=1
	s_clause 0x1
	s_load_b256 s[12:19], s[6:7], 0x4
	s_load_b128 s[28:31], s[6:7], 0x24
	s_load_b256 s[20:27], s[4:5], 0x0
	s_add_co_i32 s11, s11, 4
	s_wait_xcnt 0x0
	s_add_nc_u64 s[6:7], s[6:7], 48
	s_cmp_lg_u32 s0, s11
	s_add_nc_u64 s[4:5], s[4:5], 32
	s_wait_kmcnt 0x0
	v_mul_hi_u32 v3, s13, v5
	s_delay_alu instid0(VALU_DEP_1) | instskip(NEXT) | instid1(VALU_DEP_1)
	v_add_nc_u32_e32 v3, v5, v3
	v_lshrrev_b32_e32 v3, s14, v3
	s_delay_alu instid0(VALU_DEP_1) | instskip(SKIP_1) | instid1(VALU_DEP_1)
	v_mul_hi_u32 v7, s16, v3
	v_mul_lo_u32 v12, v3, s12
	v_dual_add_nc_u32 v7, v3, v7 :: v_dual_sub_nc_u32 v5, v5, v12
	s_delay_alu instid0(VALU_DEP_1) | instskip(NEXT) | instid1(VALU_DEP_2)
	v_lshrrev_b32_e32 v7, s17, v7
	v_mad_u32 v14, v5, s21, v14
	v_mad_u32 v2, v5, s20, v2
	s_delay_alu instid0(VALU_DEP_3) | instskip(NEXT) | instid1(VALU_DEP_1)
	v_mul_hi_u32 v11, s19, v7
	v_add_nc_u32_e32 v11, v7, v11
	s_delay_alu instid0(VALU_DEP_1) | instskip(NEXT) | instid1(VALU_DEP_1)
	v_lshrrev_b32_e32 v11, s28, v11
	v_mul_hi_u32 v13, s30, v11
	s_delay_alu instid0(VALU_DEP_1) | instskip(NEXT) | instid1(VALU_DEP_1)
	v_add_nc_u32_e32 v5, v11, v13
	v_lshrrev_b32_e32 v5, s31, v5
	v_mul_lo_u32 v12, v7, s15
	s_delay_alu instid0(VALU_DEP_1) | instskip(SKIP_1) | instid1(VALU_DEP_2)
	v_sub_nc_u32_e32 v3, v3, v12
	v_mul_lo_u32 v12, v11, s18
	v_mad_u32 v13, v3, s23, v14
	v_mad_u32 v2, v3, s22, v2
	s_delay_alu instid0(VALU_DEP_3) | instskip(SKIP_1) | instid1(VALU_DEP_2)
	v_sub_nc_u32_e32 v3, v7, v12
	v_mul_lo_u32 v7, v5, s29
	v_mad_u32 v12, v3, s25, v13
	s_delay_alu instid0(VALU_DEP_4) | instskip(NEXT) | instid1(VALU_DEP_3)
	v_mad_u32 v2, v3, s24, v2
	v_sub_nc_u32_e32 v3, v11, v7
	s_delay_alu instid0(VALU_DEP_1) | instskip(NEXT) | instid1(VALU_DEP_3)
	v_mad_u32 v14, v3, s27, v12
	v_mad_u32 v2, v3, s26, v2
	s_cbranch_scc1 .LBB223_1184
; %bb.1185:
	s_delay_alu instid0(VALU_DEP_2)
	v_mov_b32_e32 v3, v14
	s_and_b32 s6, s1, 3
	s_mov_b32 s1, 0
	s_cmp_eq_u32 s6, 0
	s_cbranch_scc0 .LBB223_1189
	s_branch .LBB223_1192
.LBB223_1186:
	s_mov_b32 s10, -1
                                        ; implicit-def: $vgpr14
                                        ; implicit-def: $vgpr2
	s_branch .LBB223_1192
.LBB223_1187:
	v_dual_mov_b32 v14, 0 :: v_dual_mov_b32 v2, 0
	s_branch .LBB223_1192
.LBB223_1188:
	v_mov_b64_e32 v[2:3], 0
	v_mov_b32_e32 v5, v0
	s_mov_b32 s0, 0
                                        ; implicit-def: $vgpr14
	s_and_b32 s6, s1, 3
	s_mov_b32 s1, 0
	s_cmp_eq_u32 s6, 0
	s_cbranch_scc1 .LBB223_1192
.LBB223_1189:
	s_lshl_b32 s4, s0, 3
	s_mov_b32 s5, s1
	s_mul_u64 s[12:13], s[0:1], 12
	s_add_nc_u64 s[4:5], s[2:3], s[4:5]
	s_delay_alu instid0(SALU_CYCLE_1)
	s_add_nc_u64 s[0:1], s[4:5], 0xc4
	s_add_nc_u64 s[4:5], s[2:3], s[12:13]
.LBB223_1190:                           ; =>This Inner Loop Header: Depth=1
	s_load_b96 s[12:14], s[4:5], 0x4
	s_add_co_i32 s6, s6, -1
	s_wait_xcnt 0x0
	s_add_nc_u64 s[4:5], s[4:5], 12
	s_cmp_lg_u32 s6, 0
	s_wait_kmcnt 0x0
	v_mul_hi_u32 v7, s13, v5
	s_delay_alu instid0(VALU_DEP_1) | instskip(NEXT) | instid1(VALU_DEP_1)
	v_add_nc_u32_e32 v7, v5, v7
	v_lshrrev_b32_e32 v7, s14, v7
	s_load_b64 s[14:15], s[0:1], 0x0
	s_wait_xcnt 0x0
	s_add_nc_u64 s[0:1], s[0:1], 8
	s_delay_alu instid0(VALU_DEP_1) | instskip(NEXT) | instid1(VALU_DEP_1)
	v_mul_lo_u32 v11, v7, s12
	v_sub_nc_u32_e32 v5, v5, v11
	s_wait_kmcnt 0x0
	s_delay_alu instid0(VALU_DEP_1)
	v_mad_u32 v3, v5, s15, v3
	v_mad_u32 v2, v5, s14, v2
	v_mov_b32_e32 v5, v7
	s_cbranch_scc1 .LBB223_1190
; %bb.1191:
	s_delay_alu instid0(VALU_DEP_3)
	v_mov_b32_e32 v14, v3
.LBB223_1192:
	s_and_not1_b32 vcc_lo, exec_lo, s10
	s_cbranch_vccnz .LBB223_1195
; %bb.1193:
	s_clause 0x1
	s_load_b96 s[4:6], s[2:3], 0x4
	s_load_b64 s[0:1], s[2:3], 0xc4
	s_cmp_lt_u32 s33, 2
	s_wait_kmcnt 0x0
	v_mul_hi_u32 v2, s5, v0
	s_delay_alu instid0(VALU_DEP_1) | instskip(NEXT) | instid1(VALU_DEP_1)
	v_add_nc_u32_e32 v2, v0, v2
	v_lshrrev_b32_e32 v3, s6, v2
	s_delay_alu instid0(VALU_DEP_1) | instskip(NEXT) | instid1(VALU_DEP_1)
	v_mul_lo_u32 v2, v3, s4
	v_sub_nc_u32_e32 v0, v0, v2
	s_delay_alu instid0(VALU_DEP_1)
	v_mul_lo_u32 v14, v0, s1
	v_mul_lo_u32 v2, v0, s0
	s_cbranch_scc1 .LBB223_1195
; %bb.1194:
	s_clause 0x1
	s_load_b96 s[4:6], s[2:3], 0x10
	s_load_b64 s[0:1], s[2:3], 0xcc
	s_wait_kmcnt 0x0
	v_mul_hi_u32 v0, s5, v3
	s_delay_alu instid0(VALU_DEP_1) | instskip(NEXT) | instid1(VALU_DEP_1)
	v_add_nc_u32_e32 v0, v3, v0
	v_lshrrev_b32_e32 v0, s6, v0
	s_delay_alu instid0(VALU_DEP_1) | instskip(NEXT) | instid1(VALU_DEP_1)
	v_mul_lo_u32 v0, v0, s4
	v_sub_nc_u32_e32 v0, v3, v0
	s_delay_alu instid0(VALU_DEP_1)
	v_mad_u32 v2, v0, s0, v2
	v_mad_u32 v14, v0, s1, v14
.LBB223_1195:
	v_cmp_ne_u32_e32 vcc_lo, 1, v1
	s_cbranch_vccnz .LBB223_1201
; %bb.1196:
	s_cmp_lg_u32 s33, 0
	s_mov_b32 s10, 0
	s_cbranch_scc0 .LBB223_1202
; %bb.1197:
	s_min_u32 s1, s34, 15
	s_delay_alu instid0(SALU_CYCLE_1)
	s_add_co_i32 s1, s1, 1
	s_cmp_eq_u32 s34, 2
	s_cbranch_scc1 .LBB223_1203
; %bb.1198:
	v_dual_mov_b32 v0, 0 :: v_dual_mov_b32 v12, 0
	v_mov_b32_e32 v3, v9
	s_and_b32 s0, s1, 28
	s_add_nc_u64 s[4:5], s[2:3], 0xc4
	s_mov_b32 s11, 0
	s_mov_b64 s[6:7], s[2:3]
.LBB223_1199:                           ; =>This Inner Loop Header: Depth=1
	s_clause 0x1
	s_load_b256 s[12:19], s[6:7], 0x4
	s_load_b128 s[28:31], s[6:7], 0x24
	s_load_b256 s[20:27], s[4:5], 0x0
	s_add_co_i32 s11, s11, 4
	s_wait_xcnt 0x0
	s_add_nc_u64 s[6:7], s[6:7], 48
	s_cmp_lg_u32 s0, s11
	s_add_nc_u64 s[4:5], s[4:5], 32
	s_wait_kmcnt 0x0
	v_mul_hi_u32 v1, s13, v3
	s_delay_alu instid0(VALU_DEP_1) | instskip(NEXT) | instid1(VALU_DEP_1)
	v_add_nc_u32_e32 v1, v3, v1
	v_lshrrev_b32_e32 v1, s14, v1
	s_delay_alu instid0(VALU_DEP_1) | instskip(NEXT) | instid1(VALU_DEP_1)
	v_mul_lo_u32 v11, v1, s12
	v_sub_nc_u32_e32 v3, v3, v11
	v_mul_hi_u32 v5, s16, v1
	s_delay_alu instid0(VALU_DEP_2) | instskip(SKIP_1) | instid1(VALU_DEP_3)
	v_mad_u32 v12, v3, s21, v12
	v_mad_u32 v0, v3, s20, v0
	v_add_nc_u32_e32 v5, v1, v5
	s_delay_alu instid0(VALU_DEP_1) | instskip(NEXT) | instid1(VALU_DEP_1)
	v_lshrrev_b32_e32 v5, s17, v5
	v_mul_lo_u32 v11, v5, s15
	s_delay_alu instid0(VALU_DEP_1) | instskip(SKIP_1) | instid1(VALU_DEP_2)
	v_sub_nc_u32_e32 v1, v1, v11
	v_mul_hi_u32 v7, s19, v5
	v_mad_u32 v12, v1, s23, v12
	v_mad_u32 v0, v1, s22, v0
	s_delay_alu instid0(VALU_DEP_3) | instskip(NEXT) | instid1(VALU_DEP_1)
	v_add_nc_u32_e32 v7, v5, v7
	v_lshrrev_b32_e32 v7, s28, v7
	s_delay_alu instid0(VALU_DEP_1) | instskip(SKIP_1) | instid1(VALU_DEP_1)
	v_mul_hi_u32 v13, s30, v7
	v_mul_lo_u32 v11, v7, s18
	v_dual_add_nc_u32 v3, v7, v13 :: v_dual_sub_nc_u32 v1, v5, v11
	s_delay_alu instid0(VALU_DEP_1) | instskip(NEXT) | instid1(VALU_DEP_2)
	v_lshrrev_b32_e32 v3, s31, v3
	v_mad_u32 v11, v1, s25, v12
	v_mad_u32 v0, v1, s24, v0
	s_delay_alu instid0(VALU_DEP_3) | instskip(NEXT) | instid1(VALU_DEP_1)
	v_mul_lo_u32 v5, v3, s29
	v_sub_nc_u32_e32 v1, v7, v5
	s_delay_alu instid0(VALU_DEP_1) | instskip(NEXT) | instid1(VALU_DEP_4)
	v_mad_u32 v12, v1, s27, v11
	v_mad_u32 v0, v1, s26, v0
	s_cbranch_scc1 .LBB223_1199
; %bb.1200:
	s_delay_alu instid0(VALU_DEP_2)
	v_mov_b32_e32 v1, v12
	s_and_b32 s6, s1, 3
	s_mov_b32 s1, 0
	s_cmp_eq_u32 s6, 0
	s_cbranch_scc0 .LBB223_1204
	s_branch .LBB223_1207
.LBB223_1201:
	s_mov_b32 s10, -1
                                        ; implicit-def: $vgpr12
                                        ; implicit-def: $vgpr0
	s_branch .LBB223_1207
.LBB223_1202:
	v_dual_mov_b32 v12, 0 :: v_dual_mov_b32 v0, 0
	s_branch .LBB223_1207
.LBB223_1203:
	v_mov_b64_e32 v[0:1], 0
	v_mov_b32_e32 v3, v9
	s_mov_b32 s0, 0
                                        ; implicit-def: $vgpr12
	s_and_b32 s6, s1, 3
	s_mov_b32 s1, 0
	s_cmp_eq_u32 s6, 0
	s_cbranch_scc1 .LBB223_1207
.LBB223_1204:
	s_lshl_b32 s4, s0, 3
	s_mov_b32 s5, s1
	s_mul_u64 s[12:13], s[0:1], 12
	s_add_nc_u64 s[4:5], s[2:3], s[4:5]
	s_delay_alu instid0(SALU_CYCLE_1)
	s_add_nc_u64 s[0:1], s[4:5], 0xc4
	s_add_nc_u64 s[4:5], s[2:3], s[12:13]
.LBB223_1205:                           ; =>This Inner Loop Header: Depth=1
	s_load_b96 s[12:14], s[4:5], 0x4
	s_add_co_i32 s6, s6, -1
	s_wait_xcnt 0x0
	s_add_nc_u64 s[4:5], s[4:5], 12
	s_cmp_lg_u32 s6, 0
	s_wait_kmcnt 0x0
	v_mul_hi_u32 v5, s13, v3
	s_delay_alu instid0(VALU_DEP_1) | instskip(NEXT) | instid1(VALU_DEP_1)
	v_add_nc_u32_e32 v5, v3, v5
	v_lshrrev_b32_e32 v5, s14, v5
	s_load_b64 s[14:15], s[0:1], 0x0
	s_wait_xcnt 0x0
	s_add_nc_u64 s[0:1], s[0:1], 8
	s_delay_alu instid0(VALU_DEP_1) | instskip(NEXT) | instid1(VALU_DEP_1)
	v_mul_lo_u32 v7, v5, s12
	v_sub_nc_u32_e32 v3, v3, v7
	s_wait_kmcnt 0x0
	s_delay_alu instid0(VALU_DEP_1)
	v_mad_u32 v1, v3, s15, v1
	v_mad_u32 v0, v3, s14, v0
	v_mov_b32_e32 v3, v5
	s_cbranch_scc1 .LBB223_1205
; %bb.1206:
	s_delay_alu instid0(VALU_DEP_3)
	v_mov_b32_e32 v12, v1
.LBB223_1207:
	s_and_not1_b32 vcc_lo, exec_lo, s10
	s_cbranch_vccnz .LBB223_1210
; %bb.1208:
	s_clause 0x1
	s_load_b96 s[4:6], s[2:3], 0x4
	s_load_b64 s[0:1], s[2:3], 0xc4
	s_cmp_lt_u32 s33, 2
	s_wait_kmcnt 0x0
	v_mul_hi_u32 v0, s5, v9
	s_delay_alu instid0(VALU_DEP_1) | instskip(NEXT) | instid1(VALU_DEP_1)
	v_add_nc_u32_e32 v0, v9, v0
	v_lshrrev_b32_e32 v1, s6, v0
	s_delay_alu instid0(VALU_DEP_1) | instskip(NEXT) | instid1(VALU_DEP_1)
	v_mul_lo_u32 v0, v1, s4
	v_sub_nc_u32_e32 v0, v9, v0
	s_delay_alu instid0(VALU_DEP_1)
	v_mul_lo_u32 v12, v0, s1
	v_mul_lo_u32 v0, v0, s0
	s_cbranch_scc1 .LBB223_1210
; %bb.1209:
	s_clause 0x1
	s_load_b96 s[4:6], s[2:3], 0x10
	s_load_b64 s[0:1], s[2:3], 0xcc
	s_wait_kmcnt 0x0
	v_mul_hi_u32 v3, s5, v1
	s_delay_alu instid0(VALU_DEP_1) | instskip(NEXT) | instid1(VALU_DEP_1)
	v_add_nc_u32_e32 v3, v1, v3
	v_lshrrev_b32_e32 v3, s6, v3
	s_delay_alu instid0(VALU_DEP_1) | instskip(NEXT) | instid1(VALU_DEP_1)
	v_mul_lo_u32 v3, v3, s4
	v_sub_nc_u32_e32 v1, v1, v3
	s_delay_alu instid0(VALU_DEP_1)
	v_mad_u32 v0, v1, s0, v0
	v_mad_u32 v12, v1, s1, v12
.LBB223_1210:
	v_mov_b32_e32 v9, 0
	s_load_b128 s[4:7], s[2:3], 0x148
	global_load_u8 v1, v9, s[2:3] offset:357
	s_wait_kmcnt 0x0
	v_add_nc_u64_e32 v[16:17], s[6:7], v[8:9]
	s_wait_loadcnt 0x0
	v_and_b32_e32 v3, 0xffff, v1
	v_readfirstlane_b32 s11, v1
	s_delay_alu instid0(VALU_DEP_2)
	v_cmp_gt_i32_e32 vcc_lo, 11, v3
	s_cbranch_vccnz .LBB223_1217
; %bb.1211:
	s_and_b32 s0, 0xffff, s11
	s_mov_b32 s12, 0
	s_cmp_gt_i32 s0, 25
	s_cbranch_scc0 .LBB223_1219
; %bb.1212:
	s_cmp_gt_i32 s0, 28
	s_cbranch_scc0 .LBB223_1220
; %bb.1213:
	;; [unrolled: 3-line block ×4, first 2 shown]
	s_cmp_eq_u32 s0, 46
	s_mov_b32 s10, 0
	s_cbranch_scc0 .LBB223_1225
; %bb.1216:
	global_load_b32 v1, v[16:17], off
	s_mov_b32 s1, 0
	s_mov_b32 s13, -1
	s_wait_loadcnt 0x0
	v_lshlrev_b32_e32 v8, 16, v1
	s_branch .LBB223_1227
.LBB223_1217:
	s_mov_b32 s13, 0
	s_mov_b32 s10, s8
                                        ; implicit-def: $vgpr8
	s_cbranch_execnz .LBB223_1290
.LBB223_1218:
	s_and_not1_b32 vcc_lo, exec_lo, s13
	s_cbranch_vccz .LBB223_1335
	s_branch .LBB223_1770
.LBB223_1219:
	s_mov_b32 s13, 0
	s_mov_b32 s1, 0
                                        ; implicit-def: $vgpr8
	s_cbranch_execnz .LBB223_1255
	s_branch .LBB223_1286
.LBB223_1220:
	s_mov_b32 s10, -1
	s_mov_b32 s13, 0
	s_mov_b32 s1, 0
                                        ; implicit-def: $vgpr8
	s_branch .LBB223_1236
.LBB223_1221:
	s_mov_b32 s13, 0
	s_mov_b32 s1, 0
                                        ; implicit-def: $vgpr8
	s_cbranch_execnz .LBB223_1232
	s_branch .LBB223_1235
.LBB223_1222:
	s_mov_b32 s10, -1
	s_mov_b32 s13, 0
	s_mov_b32 s1, 0
	s_branch .LBB223_1226
.LBB223_1223:
	s_and_not1_saveexec_b32 s9, s9
	s_cbranch_execz .LBB223_1062
.LBB223_1224:
	v_add_f32_e64 v3, 0x46000000, |v2|
	s_and_not1_b32 s8, s8, exec_lo
	s_delay_alu instid0(VALU_DEP_1) | instskip(NEXT) | instid1(VALU_DEP_1)
	v_and_b32_e32 v3, 0xff, v3
	v_cmp_ne_u32_e32 vcc_lo, 0, v3
	s_and_b32 s10, vcc_lo, exec_lo
	s_delay_alu instid0(SALU_CYCLE_1)
	s_or_b32 s8, s8, s10
	s_or_b32 exec_lo, exec_lo, s9
	v_mov_b32_e32 v4, 0
	s_and_saveexec_b32 s9, s8
	s_cbranch_execnz .LBB223_1063
	s_branch .LBB223_1064
.LBB223_1225:
	s_mov_b32 s1, -1
	s_mov_b32 s13, 0
.LBB223_1226:
                                        ; implicit-def: $vgpr8
.LBB223_1227:
	s_and_b32 vcc_lo, exec_lo, s10
	s_cbranch_vccz .LBB223_1230
; %bb.1228:
	s_cmp_eq_u32 s0, 44
	s_cbranch_scc0 .LBB223_1231
; %bb.1229:
	global_load_u8 v1, v[16:17], off
	s_mov_b32 s1, 0
	s_mov_b32 s13, -1
	s_wait_loadcnt 0x0
	v_lshlrev_b32_e32 v3, 23, v1
	v_cmp_ne_u32_e32 vcc_lo, 0xff, v1
	s_delay_alu instid0(VALU_DEP_2) | instskip(SKIP_1) | instid1(VALU_DEP_2)
	v_cndmask_b32_e32 v3, 0x7f800001, v3, vcc_lo
	v_cmp_ne_u32_e32 vcc_lo, 0, v1
	v_cndmask_b32_e32 v8, 0x400000, v3, vcc_lo
.LBB223_1230:
	s_branch .LBB223_1235
.LBB223_1231:
	s_mov_b32 s1, -1
                                        ; implicit-def: $vgpr8
	s_branch .LBB223_1235
.LBB223_1232:
	s_cmp_eq_u32 s0, 29
	s_cbranch_scc0 .LBB223_1234
; %bb.1233:
	global_load_b64 v[8:9], v[16:17], off
	s_mov_b32 s1, 0
	s_mov_b32 s13, -1
	s_mov_b32 s10, 0
	s_wait_loadcnt 0x0
	v_clz_i32_u32_e32 v1, v9
	s_delay_alu instid0(VALU_DEP_1) | instskip(NEXT) | instid1(VALU_DEP_1)
	v_min_u32_e32 v1, 32, v1
	v_lshlrev_b64_e32 v[8:9], v1, v[8:9]
	v_sub_nc_u32_e32 v1, 32, v1
	s_delay_alu instid0(VALU_DEP_2) | instskip(NEXT) | instid1(VALU_DEP_1)
	v_min_u32_e32 v3, 1, v8
	v_or_b32_e32 v3, v9, v3
	s_delay_alu instid0(VALU_DEP_1) | instskip(NEXT) | instid1(VALU_DEP_1)
	v_cvt_f32_u32_e32 v3, v3
	v_ldexp_f32 v8, v3, v1
	s_branch .LBB223_1236
.LBB223_1234:
	s_mov_b32 s1, -1
                                        ; implicit-def: $vgpr8
.LBB223_1235:
	s_mov_b32 s10, 0
.LBB223_1236:
	s_delay_alu instid0(SALU_CYCLE_1)
	s_and_b32 vcc_lo, exec_lo, s10
	s_cbranch_vccz .LBB223_1254
; %bb.1237:
	s_cmp_lt_i32 s0, 27
	s_cbranch_scc1 .LBB223_1240
; %bb.1238:
	s_cmp_gt_i32 s0, 27
	s_cbranch_scc0 .LBB223_1241
; %bb.1239:
	global_load_b32 v1, v[16:17], off
	s_mov_b32 s10, 0
	s_wait_loadcnt 0x0
	v_cvt_f32_u32_e32 v8, v1
	s_branch .LBB223_1242
.LBB223_1240:
	s_mov_b32 s10, -1
                                        ; implicit-def: $vgpr8
	s_branch .LBB223_1245
.LBB223_1241:
	s_mov_b32 s10, -1
                                        ; implicit-def: $vgpr8
.LBB223_1242:
	s_delay_alu instid0(SALU_CYCLE_1)
	s_and_not1_b32 vcc_lo, exec_lo, s10
	s_cbranch_vccnz .LBB223_1244
; %bb.1243:
	global_load_u16 v1, v[16:17], off
	s_wait_loadcnt 0x0
	v_cvt_f32_u32_e32 v8, v1
.LBB223_1244:
	s_mov_b32 s10, 0
.LBB223_1245:
	s_delay_alu instid0(SALU_CYCLE_1)
	s_and_not1_b32 vcc_lo, exec_lo, s10
	s_cbranch_vccnz .LBB223_1253
; %bb.1246:
	global_load_u8 v1, v[16:17], off
	s_mov_b32 s10, 0
	s_mov_b32 s13, exec_lo
	s_wait_loadcnt 0x0
	v_cmpx_lt_i16_e32 0x7f, v1
	s_xor_b32 s13, exec_lo, s13
	s_cbranch_execz .LBB223_1266
; %bb.1247:
	s_mov_b32 s10, -1
	s_mov_b32 s14, exec_lo
	v_cmpx_eq_u16_e32 0x80, v1
; %bb.1248:
	s_xor_b32 s10, exec_lo, -1
; %bb.1249:
	s_or_b32 exec_lo, exec_lo, s14
	s_delay_alu instid0(SALU_CYCLE_1)
	s_and_b32 s10, s10, exec_lo
	s_or_saveexec_b32 s13, s13
	v_mov_b32_e32 v8, 0x7f800001
	s_xor_b32 exec_lo, exec_lo, s13
	s_cbranch_execnz .LBB223_1267
.LBB223_1250:
	s_or_b32 exec_lo, exec_lo, s13
	s_and_saveexec_b32 s13, s10
	s_cbranch_execz .LBB223_1252
.LBB223_1251:
	v_and_b32_e32 v3, 0xffff, v1
	s_delay_alu instid0(VALU_DEP_1) | instskip(SKIP_1) | instid1(VALU_DEP_2)
	v_dual_lshlrev_b32 v1, 24, v1 :: v_dual_bitop2_b32 v5, 7, v3 bitop3:0x40
	v_bfe_u32 v9, v3, 3, 4
	v_and_b32_e32 v1, 0x80000000, v1
	s_delay_alu instid0(VALU_DEP_3) | instskip(NEXT) | instid1(VALU_DEP_3)
	v_clz_i32_u32_e32 v7, v5
	v_cmp_eq_u32_e32 vcc_lo, 0, v9
	s_delay_alu instid0(VALU_DEP_2) | instskip(NEXT) | instid1(VALU_DEP_1)
	v_min_u32_e32 v7, 32, v7
	v_subrev_nc_u32_e32 v8, 28, v7
	v_sub_nc_u32_e32 v7, 29, v7
	s_delay_alu instid0(VALU_DEP_2) | instskip(NEXT) | instid1(VALU_DEP_2)
	v_lshlrev_b32_e32 v3, v8, v3
	v_cndmask_b32_e32 v7, v9, v7, vcc_lo
	s_delay_alu instid0(VALU_DEP_2) | instskip(NEXT) | instid1(VALU_DEP_1)
	v_and_b32_e32 v3, 7, v3
	v_cndmask_b32_e32 v3, v5, v3, vcc_lo
	s_delay_alu instid0(VALU_DEP_3) | instskip(NEXT) | instid1(VALU_DEP_2)
	v_lshl_add_u32 v5, v7, 23, 0x3b800000
	v_lshlrev_b32_e32 v3, 20, v3
	s_delay_alu instid0(VALU_DEP_1)
	v_or3_b32 v8, v1, v5, v3
.LBB223_1252:
	s_or_b32 exec_lo, exec_lo, s13
.LBB223_1253:
	s_mov_b32 s13, -1
.LBB223_1254:
	s_branch .LBB223_1286
.LBB223_1255:
	s_cmp_gt_i32 s0, 22
	s_cbranch_scc0 .LBB223_1265
; %bb.1256:
	s_cmp_lt_i32 s0, 24
	s_cbranch_scc1 .LBB223_1268
; %bb.1257:
	s_cmp_gt_i32 s0, 24
	s_cbranch_scc0 .LBB223_1269
; %bb.1258:
	global_load_u8 v1, v[16:17], off
	s_mov_b32 s10, 0
	s_mov_b32 s12, exec_lo
	s_wait_loadcnt 0x0
	v_cmpx_lt_i16_e32 0x7f, v1
	s_xor_b32 s12, exec_lo, s12
	s_cbranch_execz .LBB223_1280
; %bb.1259:
	s_mov_b32 s10, -1
	s_mov_b32 s13, exec_lo
	v_cmpx_eq_u16_e32 0x80, v1
; %bb.1260:
	s_xor_b32 s10, exec_lo, -1
; %bb.1261:
	s_or_b32 exec_lo, exec_lo, s13
	s_delay_alu instid0(SALU_CYCLE_1)
	s_and_b32 s10, s10, exec_lo
	s_or_saveexec_b32 s12, s12
	v_mov_b32_e32 v8, 0x7f800001
	s_xor_b32 exec_lo, exec_lo, s12
	s_cbranch_execnz .LBB223_1281
.LBB223_1262:
	s_or_b32 exec_lo, exec_lo, s12
	s_and_saveexec_b32 s12, s10
	s_cbranch_execz .LBB223_1264
.LBB223_1263:
	v_and_b32_e32 v3, 0xffff, v1
	s_delay_alu instid0(VALU_DEP_1) | instskip(SKIP_1) | instid1(VALU_DEP_2)
	v_dual_lshlrev_b32 v1, 24, v1 :: v_dual_bitop2_b32 v5, 3, v3 bitop3:0x40
	v_bfe_u32 v9, v3, 2, 5
	v_and_b32_e32 v1, 0x80000000, v1
	s_delay_alu instid0(VALU_DEP_3) | instskip(NEXT) | instid1(VALU_DEP_3)
	v_clz_i32_u32_e32 v7, v5
	v_cmp_eq_u32_e32 vcc_lo, 0, v9
	s_delay_alu instid0(VALU_DEP_2) | instskip(NEXT) | instid1(VALU_DEP_1)
	v_min_u32_e32 v7, 32, v7
	v_subrev_nc_u32_e32 v8, 29, v7
	v_sub_nc_u32_e32 v7, 30, v7
	s_delay_alu instid0(VALU_DEP_2) | instskip(NEXT) | instid1(VALU_DEP_2)
	v_lshlrev_b32_e32 v3, v8, v3
	v_cndmask_b32_e32 v7, v9, v7, vcc_lo
	s_delay_alu instid0(VALU_DEP_2) | instskip(NEXT) | instid1(VALU_DEP_1)
	v_and_b32_e32 v3, 3, v3
	v_cndmask_b32_e32 v3, v5, v3, vcc_lo
	s_delay_alu instid0(VALU_DEP_3) | instskip(NEXT) | instid1(VALU_DEP_2)
	v_lshl_add_u32 v5, v7, 23, 0x37800000
	v_lshlrev_b32_e32 v3, 21, v3
	s_delay_alu instid0(VALU_DEP_1)
	v_or3_b32 v8, v1, v5, v3
.LBB223_1264:
	s_or_b32 exec_lo, exec_lo, s12
	s_mov_b32 s10, 0
	s_branch .LBB223_1270
.LBB223_1265:
                                        ; implicit-def: $vgpr8
	s_mov_b32 s12, 0
	s_branch .LBB223_1276
.LBB223_1266:
	s_or_saveexec_b32 s13, s13
	v_mov_b32_e32 v8, 0x7f800001
	s_xor_b32 exec_lo, exec_lo, s13
	s_cbranch_execz .LBB223_1250
.LBB223_1267:
	v_cmp_ne_u16_e32 vcc_lo, 0, v1
	v_mov_b32_e32 v8, 0
	s_and_not1_b32 s10, s10, exec_lo
	s_and_b32 s14, vcc_lo, exec_lo
	s_delay_alu instid0(SALU_CYCLE_1)
	s_or_b32 s10, s10, s14
	s_or_b32 exec_lo, exec_lo, s13
	s_and_saveexec_b32 s13, s10
	s_cbranch_execnz .LBB223_1251
	s_branch .LBB223_1252
.LBB223_1268:
	s_mov_b32 s10, -1
                                        ; implicit-def: $vgpr8
	s_branch .LBB223_1273
.LBB223_1269:
	s_mov_b32 s10, -1
                                        ; implicit-def: $vgpr8
.LBB223_1270:
	s_delay_alu instid0(SALU_CYCLE_1)
	s_and_b32 vcc_lo, exec_lo, s10
	s_cbranch_vccz .LBB223_1272
; %bb.1271:
	global_load_u8 v1, v[16:17], off
	s_wait_loadcnt 0x0
	v_lshlrev_b32_e32 v1, 24, v1
	s_delay_alu instid0(VALU_DEP_1) | instskip(NEXT) | instid1(VALU_DEP_1)
	v_and_b32_e32 v3, 0x7f000000, v1
	v_clz_i32_u32_e32 v5, v3
	v_cmp_ne_u32_e32 vcc_lo, 0, v3
	v_add_nc_u32_e32 v8, 0x1000000, v3
	s_delay_alu instid0(VALU_DEP_3) | instskip(NEXT) | instid1(VALU_DEP_1)
	v_min_u32_e32 v5, 32, v5
	v_sub_nc_u32_e64 v5, v5, 4 clamp
	s_delay_alu instid0(VALU_DEP_1) | instskip(NEXT) | instid1(VALU_DEP_1)
	v_dual_lshlrev_b32 v7, v5, v3 :: v_dual_lshlrev_b32 v5, 23, v5
	v_lshrrev_b32_e32 v7, 4, v7
	s_delay_alu instid0(VALU_DEP_1) | instskip(NEXT) | instid1(VALU_DEP_1)
	v_dual_sub_nc_u32 v5, v7, v5 :: v_dual_ashrrev_i32 v7, 8, v8
	v_add_nc_u32_e32 v5, 0x3c000000, v5
	s_delay_alu instid0(VALU_DEP_1) | instskip(NEXT) | instid1(VALU_DEP_1)
	v_and_or_b32 v5, 0x7f800000, v7, v5
	v_cndmask_b32_e32 v3, 0, v5, vcc_lo
	s_delay_alu instid0(VALU_DEP_1)
	v_and_or_b32 v8, 0x80000000, v1, v3
.LBB223_1272:
	s_mov_b32 s10, 0
.LBB223_1273:
	s_delay_alu instid0(SALU_CYCLE_1)
	s_and_not1_b32 vcc_lo, exec_lo, s10
	s_cbranch_vccnz .LBB223_1275
; %bb.1274:
	global_load_u8 v1, v[16:17], off
	s_wait_loadcnt 0x0
	v_lshlrev_b32_e32 v3, 25, v1
	v_lshlrev_b16 v1, 8, v1
	s_delay_alu instid0(VALU_DEP_1) | instskip(SKIP_1) | instid1(VALU_DEP_2)
	v_and_or_b32 v7, 0x7f00, v1, 0.5
	v_bfe_i32 v1, v1, 0, 16
	v_add_f32_e32 v7, -0.5, v7
	v_lshrrev_b32_e32 v5, 4, v3
	v_cmp_gt_u32_e32 vcc_lo, 0x8000000, v3
	s_delay_alu instid0(VALU_DEP_2) | instskip(NEXT) | instid1(VALU_DEP_1)
	v_or_b32_e32 v5, 0x70000000, v5
	v_mul_f32_e32 v5, 0x7800000, v5
	s_delay_alu instid0(VALU_DEP_1) | instskip(NEXT) | instid1(VALU_DEP_1)
	v_cndmask_b32_e32 v3, v5, v7, vcc_lo
	v_and_or_b32 v8, 0x80000000, v1, v3
.LBB223_1275:
	s_mov_b32 s13, -1
	s_mov_b32 s12, 0
	s_cbranch_execnz .LBB223_1286
.LBB223_1276:
	s_cmp_gt_i32 s0, 14
	s_cbranch_scc0 .LBB223_1279
; %bb.1277:
	s_cmp_eq_u32 s0, 15
	s_cbranch_scc0 .LBB223_1282
; %bb.1278:
	global_load_u16 v1, v[16:17], off
	s_mov_b32 s1, 0
	s_mov_b32 s13, -1
	s_wait_loadcnt 0x0
	v_lshlrev_b32_e32 v8, 16, v1
	s_branch .LBB223_1283
.LBB223_1279:
	s_mov_b32 s10, -1
                                        ; implicit-def: $vgpr8
	s_branch .LBB223_1284
.LBB223_1280:
	s_or_saveexec_b32 s12, s12
	v_mov_b32_e32 v8, 0x7f800001
	s_xor_b32 exec_lo, exec_lo, s12
	s_cbranch_execz .LBB223_1262
.LBB223_1281:
	v_cmp_ne_u16_e32 vcc_lo, 0, v1
	v_mov_b32_e32 v8, 0
	s_and_not1_b32 s10, s10, exec_lo
	s_and_b32 s13, vcc_lo, exec_lo
	s_delay_alu instid0(SALU_CYCLE_1)
	s_or_b32 s10, s10, s13
	s_or_b32 exec_lo, exec_lo, s12
	s_and_saveexec_b32 s12, s10
	s_cbranch_execnz .LBB223_1263
	s_branch .LBB223_1264
.LBB223_1282:
	s_mov_b32 s1, -1
                                        ; implicit-def: $vgpr8
.LBB223_1283:
	s_mov_b32 s10, 0
.LBB223_1284:
	s_delay_alu instid0(SALU_CYCLE_1)
	s_and_b32 vcc_lo, exec_lo, s10
	s_cbranch_vccz .LBB223_1286
; %bb.1285:
	s_cmp_lg_u32 s0, 11
	s_mov_b32 s12, -1
	s_cselect_b32 s1, -1, 0
.LBB223_1286:
	s_delay_alu instid0(SALU_CYCLE_1)
	s_and_b32 vcc_lo, exec_lo, s1
	s_mov_b32 s10, s8
	s_cbranch_vccnz .LBB223_1360
; %bb.1287:
	s_and_not1_b32 vcc_lo, exec_lo, s12
	s_cbranch_vccnz .LBB223_1289
.LBB223_1288:
	global_load_u8 v1, v[16:17], off
	s_mov_b32 s13, -1
	s_wait_loadcnt 0x0
	v_cmp_ne_u16_e32 vcc_lo, 0, v1
	v_cndmask_b32_e64 v8, 0, 1.0, vcc_lo
.LBB223_1289:
	s_branch .LBB223_1218
.LBB223_1290:
	s_and_b32 s0, 0xffff, s11
	s_delay_alu instid0(SALU_CYCLE_1)
	s_cmp_lt_i32 s0, 5
	s_cbranch_scc1 .LBB223_1295
; %bb.1291:
	s_cmp_lt_i32 s0, 8
	s_cbranch_scc1 .LBB223_1296
; %bb.1292:
	;; [unrolled: 3-line block ×3, first 2 shown]
	s_cmp_gt_i32 s0, 9
	s_cbranch_scc0 .LBB223_1298
; %bb.1294:
	global_load_b64 v[8:9], v[16:17], off
	s_mov_b32 s1, 0
	s_wait_loadcnt 0x0
	v_cvt_f32_f64_e32 v8, v[8:9]
	s_branch .LBB223_1299
.LBB223_1295:
                                        ; implicit-def: $vgpr8
	s_branch .LBB223_1316
.LBB223_1296:
                                        ; implicit-def: $vgpr8
	s_branch .LBB223_1305
.LBB223_1297:
	s_mov_b32 s1, -1
                                        ; implicit-def: $vgpr8
	s_branch .LBB223_1302
.LBB223_1298:
	s_mov_b32 s1, -1
                                        ; implicit-def: $vgpr8
.LBB223_1299:
	s_delay_alu instid0(SALU_CYCLE_1)
	s_and_not1_b32 vcc_lo, exec_lo, s1
	s_cbranch_vccnz .LBB223_1301
; %bb.1300:
	global_load_b32 v8, v[16:17], off
.LBB223_1301:
	s_mov_b32 s1, 0
.LBB223_1302:
	s_delay_alu instid0(SALU_CYCLE_1)
	s_and_not1_b32 vcc_lo, exec_lo, s1
	s_cbranch_vccnz .LBB223_1304
; %bb.1303:
	global_load_b32 v1, v[16:17], off
	s_wait_loadcnt 0x0
	v_cvt_f32_f16_e32 v8, v1
.LBB223_1304:
	s_cbranch_execnz .LBB223_1315
.LBB223_1305:
	s_cmp_lt_i32 s0, 6
	s_cbranch_scc1 .LBB223_1308
; %bb.1306:
	s_cmp_gt_i32 s0, 6
	s_cbranch_scc0 .LBB223_1309
; %bb.1307:
	s_wait_loadcnt 0x0
	global_load_b64 v[8:9], v[16:17], off
	s_mov_b32 s1, 0
	s_wait_loadcnt 0x0
	v_cvt_f32_f64_e32 v8, v[8:9]
	s_branch .LBB223_1310
.LBB223_1308:
	s_mov_b32 s1, -1
                                        ; implicit-def: $vgpr8
	s_branch .LBB223_1313
.LBB223_1309:
	s_mov_b32 s1, -1
                                        ; implicit-def: $vgpr8
.LBB223_1310:
	s_delay_alu instid0(SALU_CYCLE_1)
	s_and_not1_b32 vcc_lo, exec_lo, s1
	s_cbranch_vccnz .LBB223_1312
; %bb.1311:
	s_wait_loadcnt 0x0
	global_load_b32 v8, v[16:17], off
.LBB223_1312:
	s_mov_b32 s1, 0
.LBB223_1313:
	s_delay_alu instid0(SALU_CYCLE_1)
	s_and_not1_b32 vcc_lo, exec_lo, s1
	s_cbranch_vccnz .LBB223_1315
; %bb.1314:
	global_load_u16 v1, v[16:17], off
	s_wait_loadcnt 0x0
	v_cvt_f32_f16_e32 v8, v1
.LBB223_1315:
	s_cbranch_execnz .LBB223_1334
.LBB223_1316:
	s_cmp_lt_i32 s0, 2
	s_cbranch_scc1 .LBB223_1320
; %bb.1317:
	s_cmp_lt_i32 s0, 3
	s_cbranch_scc1 .LBB223_1321
; %bb.1318:
	s_cmp_gt_i32 s0, 3
	s_cbranch_scc0 .LBB223_1322
; %bb.1319:
	s_wait_loadcnt 0x0
	global_load_b64 v[8:9], v[16:17], off
	s_mov_b32 s1, 0
	s_wait_loadcnt 0x0
	v_xor_b32_e32 v1, v8, v9
	v_cls_i32_e32 v3, v9
	s_delay_alu instid0(VALU_DEP_2) | instskip(NEXT) | instid1(VALU_DEP_1)
	v_ashrrev_i32_e32 v1, 31, v1
	v_add_nc_u32_e32 v1, 32, v1
	s_delay_alu instid0(VALU_DEP_1) | instskip(NEXT) | instid1(VALU_DEP_1)
	v_add_min_u32_e64 v1, v3, -1, v1
	v_lshlrev_b64_e32 v[8:9], v1, v[8:9]
	v_sub_nc_u32_e32 v1, 32, v1
	s_delay_alu instid0(VALU_DEP_2) | instskip(NEXT) | instid1(VALU_DEP_1)
	v_min_u32_e32 v3, 1, v8
	v_or_b32_e32 v3, v9, v3
	s_delay_alu instid0(VALU_DEP_1) | instskip(NEXT) | instid1(VALU_DEP_1)
	v_cvt_f32_i32_e32 v3, v3
	v_ldexp_f32 v8, v3, v1
	s_branch .LBB223_1323
.LBB223_1320:
                                        ; implicit-def: $vgpr8
	s_branch .LBB223_1329
.LBB223_1321:
	s_mov_b32 s1, -1
                                        ; implicit-def: $vgpr8
	s_branch .LBB223_1326
.LBB223_1322:
	s_mov_b32 s1, -1
                                        ; implicit-def: $vgpr8
.LBB223_1323:
	s_delay_alu instid0(SALU_CYCLE_1)
	s_and_not1_b32 vcc_lo, exec_lo, s1
	s_cbranch_vccnz .LBB223_1325
; %bb.1324:
	global_load_b32 v1, v[16:17], off
	s_wait_loadcnt 0x0
	v_cvt_f32_i32_e32 v8, v1
.LBB223_1325:
	s_mov_b32 s1, 0
.LBB223_1326:
	s_delay_alu instid0(SALU_CYCLE_1)
	s_and_not1_b32 vcc_lo, exec_lo, s1
	s_cbranch_vccnz .LBB223_1328
; %bb.1327:
	global_load_i16 v1, v[16:17], off
	s_wait_loadcnt 0x0
	v_cvt_f32_i32_e32 v8, v1
.LBB223_1328:
	s_cbranch_execnz .LBB223_1334
.LBB223_1329:
	s_cmp_gt_i32 s0, 0
	s_mov_b32 s0, 0
	s_cbranch_scc0 .LBB223_1331
; %bb.1330:
	global_load_i8 v1, v[16:17], off
	s_wait_loadcnt 0x0
	v_cvt_f32_i32_e32 v8, v1
	s_branch .LBB223_1332
.LBB223_1331:
	s_mov_b32 s0, -1
                                        ; implicit-def: $vgpr8
.LBB223_1332:
	s_delay_alu instid0(SALU_CYCLE_1)
	s_and_not1_b32 vcc_lo, exec_lo, s0
	s_cbranch_vccnz .LBB223_1334
; %bb.1333:
	global_load_u8 v1, v[16:17], off
	s_wait_loadcnt 0x0
	v_cvt_f32_ubyte0_e32 v8, v1
.LBB223_1334:
.LBB223_1335:
	s_mov_b32 s12, exec_lo
	s_wait_loadcnt 0x0
	s_delay_alu instid0(VALU_DEP_1)
	v_cmpx_o_f32_e32 v8, v8
	s_cbranch_execz .LBB223_1348
; %bb.1336:
	s_load_b64 s[0:1], s[2:3], 0x158
	s_mov_b32 s13, 0
	s_wait_kmcnt 0x0
	s_cmp_lt_i32 s0, 1
	s_cbranch_scc1 .LBB223_1339
; %bb.1337:
	s_cmp_eq_u32 s0, 1
	s_cbranch_scc0 .LBB223_1340
; %bb.1338:
	v_max_num_f32_e64 v1, s1, s1
	v_max_num_f32_e32 v3, v8, v8
	s_mov_b32 s14, 0
	s_delay_alu instid0(VALU_DEP_1)
	v_min_num_f32_e32 v1, v3, v1
	s_branch .LBB223_1341
.LBB223_1339:
	s_mov_b32 s14, 0
                                        ; implicit-def: $vgpr1
	s_cbranch_execnz .LBB223_1342
	s_branch .LBB223_1343
.LBB223_1340:
	s_mov_b32 s14, -1
                                        ; implicit-def: $vgpr1
.LBB223_1341:
	s_branch .LBB223_1343
.LBB223_1342:
	s_cmp_lg_u32 s0, 0
	s_mov_b32 s13, -1
	s_cselect_b32 s14, -1, 0
.LBB223_1343:
	s_delay_alu instid0(SALU_CYCLE_1)
	s_and_not1_b32 vcc_lo, exec_lo, s14
	s_cbranch_vccnz .LBB223_1345
; %bb.1344:
	s_load_b32 s0, s[2:3], 0x160
	v_max_num_f32_e64 v1, s1, s1
	v_max_num_f32_e32 v3, v8, v8
	s_wait_kmcnt 0x0
	v_max_num_f32_e64 v5, s0, s0
	s_delay_alu instid0(VALU_DEP_1)
	v_maxmin_num_f32 v1, v3, v1, v5
	s_cbranch_execz .LBB223_1346
	s_branch .LBB223_1347
.LBB223_1345:
	s_and_not1_b32 vcc_lo, exec_lo, s13
	s_cbranch_vccnz .LBB223_1347
.LBB223_1346:
	v_max_num_f32_e64 v1, s1, s1
	v_max_num_f32_e32 v3, v8, v8
	s_delay_alu instid0(VALU_DEP_1)
	v_max_num_f32_e32 v1, v3, v1
.LBB223_1347:
	s_delay_alu instid0(VALU_DEP_1)
	v_mov_b32_e32 v8, v1
.LBB223_1348:
	s_or_b32 exec_lo, exec_lo, s12
	v_mov_b32_e32 v11, 0
	s_and_b32 s11, 0xffff, s11
	s_delay_alu instid0(SALU_CYCLE_1) | instskip(NEXT) | instid1(VALU_DEP_1)
	s_cmp_lt_i32 s11, 11
	v_add_nc_u64_e32 v[16:17], s[6:7], v[10:11]
	s_cbranch_scc1 .LBB223_1355
; %bb.1349:
	s_cmp_gt_i32 s11, 25
	s_mov_b32 s1, 0
	s_cbranch_scc0 .LBB223_1357
; %bb.1350:
	s_cmp_gt_i32 s11, 28
	s_cbranch_scc0 .LBB223_1358
; %bb.1351:
	s_cmp_gt_i32 s11, 43
	s_cbranch_scc0 .LBB223_1359
; %bb.1352:
	s_cmp_gt_i32 s11, 45
	s_cbranch_scc0 .LBB223_1361
; %bb.1353:
	s_cmp_eq_u32 s11, 46
	s_mov_b32 s13, 0
	s_cbranch_scc0 .LBB223_1364
; %bb.1354:
	global_load_b32 v1, v[16:17], off
	s_mov_b32 s0, 0
	s_mov_b32 s12, -1
	s_wait_loadcnt 0x0
	v_lshlrev_b32_e32 v10, 16, v1
	s_branch .LBB223_1366
.LBB223_1355:
	s_mov_b32 s12, 0
                                        ; implicit-def: $vgpr10
	s_cbranch_execnz .LBB223_1431
.LBB223_1356:
	s_and_not1_b32 vcc_lo, exec_lo, s12
	s_cbranch_vccnz .LBB223_1770
	s_branch .LBB223_1478
.LBB223_1357:
	s_mov_b32 s12, 0
	s_mov_b32 s0, 0
                                        ; implicit-def: $vgpr10
	s_cbranch_execnz .LBB223_1395
	s_branch .LBB223_1427
.LBB223_1358:
	s_mov_b32 s13, -1
	s_mov_b32 s12, 0
	s_mov_b32 s0, 0
                                        ; implicit-def: $vgpr10
	s_branch .LBB223_1376
.LBB223_1359:
	s_mov_b32 s13, -1
	s_mov_b32 s12, 0
	s_mov_b32 s0, 0
                                        ; implicit-def: $vgpr10
	s_branch .LBB223_1371
.LBB223_1360:
	s_or_b32 s10, s8, exec_lo
	s_trap 2
	s_cbranch_execz .LBB223_1288
	s_branch .LBB223_1289
.LBB223_1361:
	s_mov_b32 s13, -1
	s_mov_b32 s12, 0
	s_mov_b32 s0, 0
	s_branch .LBB223_1365
.LBB223_1362:
	s_and_not1_saveexec_b32 s10, s10
	s_cbranch_execz .LBB223_1074
.LBB223_1363:
	v_add_f32_e64 v3, 0x42800000, |v2|
	s_and_not1_b32 s9, s9, exec_lo
	s_delay_alu instid0(VALU_DEP_1) | instskip(NEXT) | instid1(VALU_DEP_1)
	v_and_b32_e32 v3, 0xff, v3
	v_cmp_ne_u32_e32 vcc_lo, 0, v3
	s_and_b32 s11, vcc_lo, exec_lo
	s_delay_alu instid0(SALU_CYCLE_1)
	s_or_b32 s9, s9, s11
	s_or_b32 exec_lo, exec_lo, s10
	v_mov_b32_e32 v4, 0
	s_and_saveexec_b32 s10, s9
	s_cbranch_execnz .LBB223_1075
	s_branch .LBB223_1076
.LBB223_1364:
	s_mov_b32 s0, -1
	s_mov_b32 s12, 0
.LBB223_1365:
                                        ; implicit-def: $vgpr10
.LBB223_1366:
	s_and_b32 vcc_lo, exec_lo, s13
	s_cbranch_vccz .LBB223_1370
; %bb.1367:
	s_cmp_eq_u32 s11, 44
	s_cbranch_scc0 .LBB223_1369
; %bb.1368:
	global_load_u8 v1, v[16:17], off
	s_mov_b32 s0, 0
	s_mov_b32 s12, -1
	s_wait_loadcnt 0x0
	v_lshlrev_b32_e32 v3, 23, v1
	v_cmp_ne_u32_e32 vcc_lo, 0xff, v1
	s_delay_alu instid0(VALU_DEP_2) | instskip(SKIP_1) | instid1(VALU_DEP_2)
	v_cndmask_b32_e32 v3, 0x7f800001, v3, vcc_lo
	v_cmp_ne_u32_e32 vcc_lo, 0, v1
	v_cndmask_b32_e32 v10, 0x400000, v3, vcc_lo
	s_branch .LBB223_1370
.LBB223_1369:
	s_mov_b32 s0, -1
                                        ; implicit-def: $vgpr10
.LBB223_1370:
	s_mov_b32 s13, 0
.LBB223_1371:
	s_delay_alu instid0(SALU_CYCLE_1)
	s_and_b32 vcc_lo, exec_lo, s13
	s_cbranch_vccz .LBB223_1375
; %bb.1372:
	s_cmp_eq_u32 s11, 29
	s_cbranch_scc0 .LBB223_1374
; %bb.1373:
	global_load_b64 v[10:11], v[16:17], off
	s_mov_b32 s0, 0
	s_mov_b32 s12, -1
	s_mov_b32 s13, 0
	s_wait_loadcnt 0x0
	v_clz_i32_u32_e32 v1, v11
	s_delay_alu instid0(VALU_DEP_1) | instskip(NEXT) | instid1(VALU_DEP_1)
	v_min_u32_e32 v1, 32, v1
	v_lshlrev_b64_e32 v[10:11], v1, v[10:11]
	v_sub_nc_u32_e32 v1, 32, v1
	s_delay_alu instid0(VALU_DEP_2) | instskip(NEXT) | instid1(VALU_DEP_1)
	v_min_u32_e32 v3, 1, v10
	v_or_b32_e32 v3, v11, v3
	s_delay_alu instid0(VALU_DEP_1) | instskip(NEXT) | instid1(VALU_DEP_1)
	v_cvt_f32_u32_e32 v3, v3
	v_ldexp_f32 v10, v3, v1
	s_branch .LBB223_1376
.LBB223_1374:
	s_mov_b32 s0, -1
                                        ; implicit-def: $vgpr10
.LBB223_1375:
	s_mov_b32 s13, 0
.LBB223_1376:
	s_delay_alu instid0(SALU_CYCLE_1)
	s_and_b32 vcc_lo, exec_lo, s13
	s_cbranch_vccz .LBB223_1394
; %bb.1377:
	s_cmp_lt_i32 s11, 27
	s_cbranch_scc1 .LBB223_1380
; %bb.1378:
	s_cmp_gt_i32 s11, 27
	s_cbranch_scc0 .LBB223_1381
; %bb.1379:
	global_load_b32 v1, v[16:17], off
	s_mov_b32 s12, 0
	s_wait_loadcnt 0x0
	v_cvt_f32_u32_e32 v10, v1
	s_branch .LBB223_1382
.LBB223_1380:
	s_mov_b32 s12, -1
                                        ; implicit-def: $vgpr10
	s_branch .LBB223_1385
.LBB223_1381:
	s_mov_b32 s12, -1
                                        ; implicit-def: $vgpr10
.LBB223_1382:
	s_delay_alu instid0(SALU_CYCLE_1)
	s_and_not1_b32 vcc_lo, exec_lo, s12
	s_cbranch_vccnz .LBB223_1384
; %bb.1383:
	global_load_u16 v1, v[16:17], off
	s_wait_loadcnt 0x0
	v_cvt_f32_u32_e32 v10, v1
.LBB223_1384:
	s_mov_b32 s12, 0
.LBB223_1385:
	s_delay_alu instid0(SALU_CYCLE_1)
	s_and_not1_b32 vcc_lo, exec_lo, s12
	s_cbranch_vccnz .LBB223_1393
; %bb.1386:
	global_load_u8 v1, v[16:17], off
	s_mov_b32 s12, 0
	s_mov_b32 s13, exec_lo
	s_wait_loadcnt 0x0
	v_cmpx_lt_i16_e32 0x7f, v1
	s_xor_b32 s13, exec_lo, s13
	s_cbranch_execz .LBB223_1406
; %bb.1387:
	s_mov_b32 s12, -1
	s_mov_b32 s14, exec_lo
	v_cmpx_eq_u16_e32 0x80, v1
; %bb.1388:
	s_xor_b32 s12, exec_lo, -1
; %bb.1389:
	s_or_b32 exec_lo, exec_lo, s14
	s_delay_alu instid0(SALU_CYCLE_1)
	s_and_b32 s12, s12, exec_lo
	s_or_saveexec_b32 s13, s13
	v_mov_b32_e32 v10, 0x7f800001
	s_xor_b32 exec_lo, exec_lo, s13
	s_cbranch_execnz .LBB223_1407
.LBB223_1390:
	s_or_b32 exec_lo, exec_lo, s13
	s_and_saveexec_b32 s13, s12
	s_cbranch_execz .LBB223_1392
.LBB223_1391:
	v_and_b32_e32 v3, 0xffff, v1
	s_delay_alu instid0(VALU_DEP_1) | instskip(SKIP_1) | instid1(VALU_DEP_2)
	v_dual_lshlrev_b32 v1, 24, v1 :: v_dual_bitop2_b32 v5, 7, v3 bitop3:0x40
	v_bfe_u32 v10, v3, 3, 4
	v_and_b32_e32 v1, 0x80000000, v1
	s_delay_alu instid0(VALU_DEP_3) | instskip(NEXT) | instid1(VALU_DEP_3)
	v_clz_i32_u32_e32 v7, v5
	v_cmp_eq_u32_e32 vcc_lo, 0, v10
	s_delay_alu instid0(VALU_DEP_2) | instskip(NEXT) | instid1(VALU_DEP_1)
	v_min_u32_e32 v7, 32, v7
	v_subrev_nc_u32_e32 v9, 28, v7
	v_sub_nc_u32_e32 v7, 29, v7
	s_delay_alu instid0(VALU_DEP_2) | instskip(NEXT) | instid1(VALU_DEP_2)
	v_lshlrev_b32_e32 v3, v9, v3
	v_cndmask_b32_e32 v7, v10, v7, vcc_lo
	s_delay_alu instid0(VALU_DEP_2) | instskip(NEXT) | instid1(VALU_DEP_1)
	v_and_b32_e32 v3, 7, v3
	v_cndmask_b32_e32 v3, v5, v3, vcc_lo
	s_delay_alu instid0(VALU_DEP_3) | instskip(NEXT) | instid1(VALU_DEP_2)
	v_lshl_add_u32 v5, v7, 23, 0x3b800000
	v_lshlrev_b32_e32 v3, 20, v3
	s_delay_alu instid0(VALU_DEP_1)
	v_or3_b32 v10, v1, v5, v3
.LBB223_1392:
	s_or_b32 exec_lo, exec_lo, s13
.LBB223_1393:
	s_mov_b32 s12, -1
.LBB223_1394:
	s_branch .LBB223_1427
.LBB223_1395:
	s_cmp_gt_i32 s11, 22
	s_cbranch_scc0 .LBB223_1405
; %bb.1396:
	s_cmp_lt_i32 s11, 24
	s_cbranch_scc1 .LBB223_1408
; %bb.1397:
	s_cmp_gt_i32 s11, 24
	s_cbranch_scc0 .LBB223_1409
; %bb.1398:
	global_load_u8 v1, v[16:17], off
	s_mov_b32 s12, exec_lo
	s_wait_loadcnt 0x0
	v_cmpx_lt_i16_e32 0x7f, v1
	s_xor_b32 s12, exec_lo, s12
	s_cbranch_execz .LBB223_1421
; %bb.1399:
	s_mov_b32 s1, -1
	s_mov_b32 s13, exec_lo
	v_cmpx_eq_u16_e32 0x80, v1
; %bb.1400:
	s_xor_b32 s1, exec_lo, -1
; %bb.1401:
	s_or_b32 exec_lo, exec_lo, s13
	s_delay_alu instid0(SALU_CYCLE_1)
	s_and_b32 s1, s1, exec_lo
	s_or_saveexec_b32 s12, s12
	v_mov_b32_e32 v10, 0x7f800001
	s_xor_b32 exec_lo, exec_lo, s12
	s_cbranch_execnz .LBB223_1422
.LBB223_1402:
	s_or_b32 exec_lo, exec_lo, s12
	s_and_saveexec_b32 s12, s1
	s_cbranch_execz .LBB223_1404
.LBB223_1403:
	v_and_b32_e32 v3, 0xffff, v1
	s_delay_alu instid0(VALU_DEP_1) | instskip(SKIP_1) | instid1(VALU_DEP_2)
	v_dual_lshlrev_b32 v1, 24, v1 :: v_dual_bitop2_b32 v5, 3, v3 bitop3:0x40
	v_bfe_u32 v10, v3, 2, 5
	v_and_b32_e32 v1, 0x80000000, v1
	s_delay_alu instid0(VALU_DEP_3) | instskip(NEXT) | instid1(VALU_DEP_3)
	v_clz_i32_u32_e32 v7, v5
	v_cmp_eq_u32_e32 vcc_lo, 0, v10
	s_delay_alu instid0(VALU_DEP_2) | instskip(NEXT) | instid1(VALU_DEP_1)
	v_min_u32_e32 v7, 32, v7
	v_subrev_nc_u32_e32 v9, 29, v7
	v_sub_nc_u32_e32 v7, 30, v7
	s_delay_alu instid0(VALU_DEP_2) | instskip(NEXT) | instid1(VALU_DEP_2)
	v_lshlrev_b32_e32 v3, v9, v3
	v_cndmask_b32_e32 v7, v10, v7, vcc_lo
	s_delay_alu instid0(VALU_DEP_2) | instskip(NEXT) | instid1(VALU_DEP_1)
	v_and_b32_e32 v3, 3, v3
	v_cndmask_b32_e32 v3, v5, v3, vcc_lo
	s_delay_alu instid0(VALU_DEP_3) | instskip(NEXT) | instid1(VALU_DEP_2)
	v_lshl_add_u32 v5, v7, 23, 0x37800000
	v_lshlrev_b32_e32 v3, 21, v3
	s_delay_alu instid0(VALU_DEP_1)
	v_or3_b32 v10, v1, v5, v3
.LBB223_1404:
	s_or_b32 exec_lo, exec_lo, s12
	s_mov_b32 s1, 0
	s_branch .LBB223_1410
.LBB223_1405:
	s_mov_b32 s1, -1
                                        ; implicit-def: $vgpr10
	s_branch .LBB223_1416
.LBB223_1406:
	s_or_saveexec_b32 s13, s13
	v_mov_b32_e32 v10, 0x7f800001
	s_xor_b32 exec_lo, exec_lo, s13
	s_cbranch_execz .LBB223_1390
.LBB223_1407:
	v_cmp_ne_u16_e32 vcc_lo, 0, v1
	v_mov_b32_e32 v10, 0
	s_and_not1_b32 s12, s12, exec_lo
	s_and_b32 s14, vcc_lo, exec_lo
	s_delay_alu instid0(SALU_CYCLE_1)
	s_or_b32 s12, s12, s14
	s_or_b32 exec_lo, exec_lo, s13
	s_and_saveexec_b32 s13, s12
	s_cbranch_execnz .LBB223_1391
	s_branch .LBB223_1392
.LBB223_1408:
	s_mov_b32 s1, -1
                                        ; implicit-def: $vgpr10
	s_branch .LBB223_1413
.LBB223_1409:
	s_mov_b32 s1, -1
                                        ; implicit-def: $vgpr10
.LBB223_1410:
	s_delay_alu instid0(SALU_CYCLE_1)
	s_and_b32 vcc_lo, exec_lo, s1
	s_cbranch_vccz .LBB223_1412
; %bb.1411:
	global_load_u8 v1, v[16:17], off
	s_wait_loadcnt 0x0
	v_lshlrev_b32_e32 v1, 24, v1
	s_delay_alu instid0(VALU_DEP_1) | instskip(NEXT) | instid1(VALU_DEP_1)
	v_and_b32_e32 v3, 0x7f000000, v1
	v_clz_i32_u32_e32 v5, v3
	v_add_nc_u32_e32 v9, 0x1000000, v3
	v_cmp_ne_u32_e32 vcc_lo, 0, v3
	s_delay_alu instid0(VALU_DEP_3) | instskip(NEXT) | instid1(VALU_DEP_1)
	v_min_u32_e32 v5, 32, v5
	v_sub_nc_u32_e64 v5, v5, 4 clamp
	s_delay_alu instid0(VALU_DEP_1) | instskip(NEXT) | instid1(VALU_DEP_1)
	v_dual_lshlrev_b32 v7, v5, v3 :: v_dual_lshlrev_b32 v5, 23, v5
	v_lshrrev_b32_e32 v7, 4, v7
	s_delay_alu instid0(VALU_DEP_1) | instskip(SKIP_1) | instid1(VALU_DEP_2)
	v_sub_nc_u32_e32 v5, v7, v5
	v_ashrrev_i32_e32 v7, 8, v9
	v_add_nc_u32_e32 v5, 0x3c000000, v5
	s_delay_alu instid0(VALU_DEP_1) | instskip(NEXT) | instid1(VALU_DEP_1)
	v_and_or_b32 v5, 0x7f800000, v7, v5
	v_cndmask_b32_e32 v3, 0, v5, vcc_lo
	s_delay_alu instid0(VALU_DEP_1)
	v_and_or_b32 v10, 0x80000000, v1, v3
.LBB223_1412:
	s_mov_b32 s1, 0
.LBB223_1413:
	s_delay_alu instid0(SALU_CYCLE_1)
	s_and_not1_b32 vcc_lo, exec_lo, s1
	s_cbranch_vccnz .LBB223_1415
; %bb.1414:
	global_load_u8 v1, v[16:17], off
	s_wait_loadcnt 0x0
	v_lshlrev_b32_e32 v3, 25, v1
	v_lshlrev_b16 v1, 8, v1
	s_delay_alu instid0(VALU_DEP_1) | instskip(SKIP_1) | instid1(VALU_DEP_2)
	v_and_or_b32 v7, 0x7f00, v1, 0.5
	v_bfe_i32 v1, v1, 0, 16
	v_add_f32_e32 v7, -0.5, v7
	v_lshrrev_b32_e32 v5, 4, v3
	v_cmp_gt_u32_e32 vcc_lo, 0x8000000, v3
	s_delay_alu instid0(VALU_DEP_2) | instskip(NEXT) | instid1(VALU_DEP_1)
	v_or_b32_e32 v5, 0x70000000, v5
	v_mul_f32_e32 v5, 0x7800000, v5
	s_delay_alu instid0(VALU_DEP_1) | instskip(NEXT) | instid1(VALU_DEP_1)
	v_cndmask_b32_e32 v3, v5, v7, vcc_lo
	v_and_or_b32 v10, 0x80000000, v1, v3
.LBB223_1415:
	s_mov_b32 s1, 0
	s_mov_b32 s12, -1
.LBB223_1416:
	s_and_not1_b32 vcc_lo, exec_lo, s1
	s_mov_b32 s1, 0
	s_cbranch_vccnz .LBB223_1427
; %bb.1417:
	s_cmp_gt_i32 s11, 14
	s_cbranch_scc0 .LBB223_1420
; %bb.1418:
	s_cmp_eq_u32 s11, 15
	s_cbranch_scc0 .LBB223_1423
; %bb.1419:
	global_load_u16 v1, v[16:17], off
	s_mov_b32 s0, 0
	s_mov_b32 s12, -1
	s_wait_loadcnt 0x0
	v_lshlrev_b32_e32 v10, 16, v1
	s_branch .LBB223_1425
.LBB223_1420:
	s_mov_b32 s1, -1
	s_branch .LBB223_1424
.LBB223_1421:
	s_or_saveexec_b32 s12, s12
	v_mov_b32_e32 v10, 0x7f800001
	s_xor_b32 exec_lo, exec_lo, s12
	s_cbranch_execz .LBB223_1402
.LBB223_1422:
	v_cmp_ne_u16_e32 vcc_lo, 0, v1
	v_mov_b32_e32 v10, 0
	s_and_not1_b32 s1, s1, exec_lo
	s_and_b32 s13, vcc_lo, exec_lo
	s_delay_alu instid0(SALU_CYCLE_1)
	s_or_b32 s1, s1, s13
	s_or_b32 exec_lo, exec_lo, s12
	s_and_saveexec_b32 s12, s1
	s_cbranch_execnz .LBB223_1403
	s_branch .LBB223_1404
.LBB223_1423:
	s_mov_b32 s0, -1
.LBB223_1424:
                                        ; implicit-def: $vgpr10
.LBB223_1425:
	s_and_b32 vcc_lo, exec_lo, s1
	s_mov_b32 s1, 0
	s_cbranch_vccz .LBB223_1427
; %bb.1426:
	s_cmp_lg_u32 s11, 11
	s_mov_b32 s1, -1
	s_cselect_b32 s0, -1, 0
.LBB223_1427:
	s_delay_alu instid0(SALU_CYCLE_1)
	s_and_b32 vcc_lo, exec_lo, s0
	s_cbranch_vccnz .LBB223_1503
; %bb.1428:
	s_and_not1_b32 vcc_lo, exec_lo, s1
	s_cbranch_vccnz .LBB223_1430
.LBB223_1429:
	global_load_u8 v1, v[16:17], off
	s_mov_b32 s12, -1
	s_wait_loadcnt 0x0
	v_cmp_ne_u16_e32 vcc_lo, 0, v1
	v_cndmask_b32_e64 v10, 0, 1.0, vcc_lo
.LBB223_1430:
	s_branch .LBB223_1356
.LBB223_1431:
	s_cmp_lt_i32 s11, 5
	s_cbranch_scc1 .LBB223_1436
; %bb.1432:
	s_cmp_lt_i32 s11, 8
	s_cbranch_scc1 .LBB223_1437
; %bb.1433:
	;; [unrolled: 3-line block ×3, first 2 shown]
	s_cmp_gt_i32 s11, 9
	s_cbranch_scc0 .LBB223_1439
; %bb.1435:
	global_load_b64 v[10:11], v[16:17], off
	s_mov_b32 s0, 0
	s_wait_loadcnt 0x0
	v_cvt_f32_f64_e32 v10, v[10:11]
	s_branch .LBB223_1440
.LBB223_1436:
                                        ; implicit-def: $vgpr10
	s_branch .LBB223_1458
.LBB223_1437:
	s_mov_b32 s0, -1
                                        ; implicit-def: $vgpr10
	s_branch .LBB223_1446
.LBB223_1438:
	s_mov_b32 s0, -1
                                        ; implicit-def: $vgpr10
	s_branch .LBB223_1443
.LBB223_1439:
	s_mov_b32 s0, -1
                                        ; implicit-def: $vgpr10
.LBB223_1440:
	s_delay_alu instid0(SALU_CYCLE_1)
	s_and_not1_b32 vcc_lo, exec_lo, s0
	s_cbranch_vccnz .LBB223_1442
; %bb.1441:
	global_load_b32 v10, v[16:17], off
.LBB223_1442:
	s_mov_b32 s0, 0
.LBB223_1443:
	s_delay_alu instid0(SALU_CYCLE_1)
	s_and_not1_b32 vcc_lo, exec_lo, s0
	s_cbranch_vccnz .LBB223_1445
; %bb.1444:
	global_load_b32 v1, v[16:17], off
	s_wait_loadcnt 0x0
	v_cvt_f32_f16_e32 v10, v1
.LBB223_1445:
	s_mov_b32 s0, 0
.LBB223_1446:
	s_delay_alu instid0(SALU_CYCLE_1)
	s_and_not1_b32 vcc_lo, exec_lo, s0
	s_cbranch_vccnz .LBB223_1457
; %bb.1447:
	s_cmp_lt_i32 s11, 6
	s_cbranch_scc1 .LBB223_1450
; %bb.1448:
	s_cmp_gt_i32 s11, 6
	s_cbranch_scc0 .LBB223_1451
; %bb.1449:
	s_wait_loadcnt 0x0
	global_load_b64 v[10:11], v[16:17], off
	s_mov_b32 s0, 0
	s_wait_loadcnt 0x0
	v_cvt_f32_f64_e32 v10, v[10:11]
	s_branch .LBB223_1452
.LBB223_1450:
	s_mov_b32 s0, -1
                                        ; implicit-def: $vgpr10
	s_branch .LBB223_1455
.LBB223_1451:
	s_mov_b32 s0, -1
                                        ; implicit-def: $vgpr10
.LBB223_1452:
	s_delay_alu instid0(SALU_CYCLE_1)
	s_and_not1_b32 vcc_lo, exec_lo, s0
	s_cbranch_vccnz .LBB223_1454
; %bb.1453:
	s_wait_loadcnt 0x0
	global_load_b32 v10, v[16:17], off
.LBB223_1454:
	s_mov_b32 s0, 0
.LBB223_1455:
	s_delay_alu instid0(SALU_CYCLE_1)
	s_and_not1_b32 vcc_lo, exec_lo, s0
	s_cbranch_vccnz .LBB223_1457
; %bb.1456:
	global_load_u16 v1, v[16:17], off
	s_wait_loadcnt 0x0
	v_cvt_f32_f16_e32 v10, v1
.LBB223_1457:
	s_cbranch_execnz .LBB223_1477
.LBB223_1458:
	s_cmp_lt_i32 s11, 2
	s_cbranch_scc1 .LBB223_1462
; %bb.1459:
	s_cmp_lt_i32 s11, 3
	s_cbranch_scc1 .LBB223_1463
; %bb.1460:
	s_cmp_gt_i32 s11, 3
	s_cbranch_scc0 .LBB223_1464
; %bb.1461:
	s_wait_loadcnt 0x0
	global_load_b64 v[10:11], v[16:17], off
	s_mov_b32 s0, 0
	s_wait_loadcnt 0x0
	v_xor_b32_e32 v1, v10, v11
	v_cls_i32_e32 v3, v11
	s_delay_alu instid0(VALU_DEP_2) | instskip(NEXT) | instid1(VALU_DEP_1)
	v_ashrrev_i32_e32 v1, 31, v1
	v_add_nc_u32_e32 v1, 32, v1
	s_delay_alu instid0(VALU_DEP_1) | instskip(NEXT) | instid1(VALU_DEP_1)
	v_add_min_u32_e64 v1, v3, -1, v1
	v_lshlrev_b64_e32 v[10:11], v1, v[10:11]
	v_sub_nc_u32_e32 v1, 32, v1
	s_delay_alu instid0(VALU_DEP_2) | instskip(NEXT) | instid1(VALU_DEP_1)
	v_min_u32_e32 v3, 1, v10
	v_or_b32_e32 v3, v11, v3
	s_delay_alu instid0(VALU_DEP_1) | instskip(NEXT) | instid1(VALU_DEP_1)
	v_cvt_f32_i32_e32 v3, v3
	v_ldexp_f32 v10, v3, v1
	s_branch .LBB223_1465
.LBB223_1462:
	s_mov_b32 s0, -1
                                        ; implicit-def: $vgpr10
	s_branch .LBB223_1471
.LBB223_1463:
	s_mov_b32 s0, -1
                                        ; implicit-def: $vgpr10
	s_branch .LBB223_1468
.LBB223_1464:
	s_mov_b32 s0, -1
                                        ; implicit-def: $vgpr10
.LBB223_1465:
	s_delay_alu instid0(SALU_CYCLE_1)
	s_and_not1_b32 vcc_lo, exec_lo, s0
	s_cbranch_vccnz .LBB223_1467
; %bb.1466:
	global_load_b32 v1, v[16:17], off
	s_wait_loadcnt 0x0
	v_cvt_f32_i32_e32 v10, v1
.LBB223_1467:
	s_mov_b32 s0, 0
.LBB223_1468:
	s_delay_alu instid0(SALU_CYCLE_1)
	s_and_not1_b32 vcc_lo, exec_lo, s0
	s_cbranch_vccnz .LBB223_1470
; %bb.1469:
	global_load_i16 v1, v[16:17], off
	s_wait_loadcnt 0x0
	v_cvt_f32_i32_e32 v10, v1
.LBB223_1470:
	s_mov_b32 s0, 0
.LBB223_1471:
	s_delay_alu instid0(SALU_CYCLE_1)
	s_and_not1_b32 vcc_lo, exec_lo, s0
	s_cbranch_vccnz .LBB223_1477
; %bb.1472:
	s_cmp_gt_i32 s11, 0
	s_mov_b32 s0, 0
	s_cbranch_scc0 .LBB223_1474
; %bb.1473:
	global_load_i8 v1, v[16:17], off
	s_wait_loadcnt 0x0
	v_cvt_f32_i32_e32 v10, v1
	s_branch .LBB223_1475
.LBB223_1474:
	s_mov_b32 s0, -1
                                        ; implicit-def: $vgpr10
.LBB223_1475:
	s_delay_alu instid0(SALU_CYCLE_1)
	s_and_not1_b32 vcc_lo, exec_lo, s0
	s_cbranch_vccnz .LBB223_1477
; %bb.1476:
	global_load_u8 v1, v[16:17], off
	s_wait_loadcnt 0x0
	v_cvt_f32_ubyte0_e32 v10, v1
.LBB223_1477:
.LBB223_1478:
	s_mov_b32 s12, exec_lo
	s_wait_loadcnt 0x0
	s_delay_alu instid0(VALU_DEP_1)
	v_cmpx_o_f32_e32 v10, v10
	s_cbranch_execz .LBB223_1491
; %bb.1479:
	s_load_b64 s[0:1], s[2:3], 0x158
	s_mov_b32 s13, 0
	s_wait_kmcnt 0x0
	s_cmp_lt_i32 s0, 1
	s_cbranch_scc1 .LBB223_1482
; %bb.1480:
	s_cmp_eq_u32 s0, 1
	s_cbranch_scc0 .LBB223_1485
; %bb.1481:
	v_max_num_f32_e64 v1, s1, s1
	v_max_num_f32_e32 v3, v10, v10
	s_mov_b32 s14, 0
	s_delay_alu instid0(VALU_DEP_1)
	v_min_num_f32_e32 v1, v3, v1
	s_branch .LBB223_1486
.LBB223_1482:
	s_mov_b32 s14, 0
                                        ; implicit-def: $vgpr1
	s_cbranch_execnz .LBB223_1487
.LBB223_1483:
	s_and_not1_b32 vcc_lo, exec_lo, s14
	s_cbranch_vccnz .LBB223_1488
.LBB223_1484:
	s_load_b32 s0, s[2:3], 0x160
	v_max_num_f32_e64 v1, s1, s1
	v_max_num_f32_e32 v3, v10, v10
	s_wait_kmcnt 0x0
	v_max_num_f32_e64 v5, s0, s0
	s_delay_alu instid0(VALU_DEP_1)
	v_maxmin_num_f32 v1, v3, v1, v5
	s_cbranch_execz .LBB223_1489
	s_branch .LBB223_1490
.LBB223_1485:
	s_mov_b32 s14, -1
                                        ; implicit-def: $vgpr1
.LBB223_1486:
	s_branch .LBB223_1483
.LBB223_1487:
	s_cmp_lg_u32 s0, 0
	s_mov_b32 s13, -1
	s_cselect_b32 s14, -1, 0
	s_delay_alu instid0(SALU_CYCLE_1)
	s_and_not1_b32 vcc_lo, exec_lo, s14
	s_cbranch_vccz .LBB223_1484
.LBB223_1488:
	s_and_not1_b32 vcc_lo, exec_lo, s13
	s_cbranch_vccnz .LBB223_1490
.LBB223_1489:
	v_max_num_f32_e64 v1, s1, s1
	v_max_num_f32_e32 v3, v10, v10
	s_delay_alu instid0(VALU_DEP_1)
	v_max_num_f32_e32 v1, v3, v1
.LBB223_1490:
	s_delay_alu instid0(VALU_DEP_1)
	v_mov_b32_e32 v10, v1
.LBB223_1491:
	s_or_b32 exec_lo, exec_lo, s12
	v_mov_b32_e32 v15, 0
	s_cmp_lt_i32 s11, 11
	s_delay_alu instid0(VALU_DEP_1)
	v_add_nc_u64_e32 v[16:17], s[6:7], v[14:15]
	s_cbranch_scc1 .LBB223_1498
; %bb.1492:
	s_cmp_gt_i32 s11, 25
	s_mov_b32 s1, 0
	s_cbranch_scc0 .LBB223_1500
; %bb.1493:
	s_cmp_gt_i32 s11, 28
	s_cbranch_scc0 .LBB223_1501
; %bb.1494:
	s_cmp_gt_i32 s11, 43
	s_cbranch_scc0 .LBB223_1502
; %bb.1495:
	s_cmp_gt_i32 s11, 45
	s_cbranch_scc0 .LBB223_1504
; %bb.1496:
	s_cmp_eq_u32 s11, 46
	s_mov_b32 s13, 0
	s_cbranch_scc0 .LBB223_1505
; %bb.1497:
	global_load_b32 v1, v[16:17], off
	s_mov_b32 s0, 0
	s_mov_b32 s12, -1
	s_wait_loadcnt 0x0
	v_lshlrev_b32_e32 v14, 16, v1
	s_branch .LBB223_1507
.LBB223_1498:
	s_mov_b32 s12, 0
                                        ; implicit-def: $vgpr14
	s_cbranch_execnz .LBB223_1573
.LBB223_1499:
	s_and_not1_b32 vcc_lo, exec_lo, s12
	s_cbranch_vccnz .LBB223_1770
	s_branch .LBB223_1621
.LBB223_1500:
	s_mov_b32 s13, -1
	s_mov_b32 s12, 0
	s_mov_b32 s0, 0
                                        ; implicit-def: $vgpr14
	s_branch .LBB223_1536
.LBB223_1501:
	s_mov_b32 s13, -1
	s_mov_b32 s12, 0
	s_mov_b32 s0, 0
                                        ; implicit-def: $vgpr14
	s_branch .LBB223_1517
.LBB223_1502:
	s_mov_b32 s13, -1
	s_mov_b32 s12, 0
	s_mov_b32 s0, 0
                                        ; implicit-def: $vgpr14
	s_branch .LBB223_1512
.LBB223_1503:
	s_or_b32 s10, s10, exec_lo
	s_trap 2
	s_cbranch_execz .LBB223_1429
	s_branch .LBB223_1430
.LBB223_1504:
	s_mov_b32 s13, -1
	s_mov_b32 s12, 0
	s_mov_b32 s0, 0
	s_branch .LBB223_1506
.LBB223_1505:
	s_mov_b32 s0, -1
	s_mov_b32 s12, 0
.LBB223_1506:
                                        ; implicit-def: $vgpr14
.LBB223_1507:
	s_and_b32 vcc_lo, exec_lo, s13
	s_cbranch_vccz .LBB223_1511
; %bb.1508:
	s_cmp_eq_u32 s11, 44
	s_cbranch_scc0 .LBB223_1510
; %bb.1509:
	global_load_u8 v1, v[16:17], off
	s_mov_b32 s0, 0
	s_mov_b32 s12, -1
	s_wait_loadcnt 0x0
	v_lshlrev_b32_e32 v3, 23, v1
	v_cmp_ne_u32_e32 vcc_lo, 0xff, v1
	s_delay_alu instid0(VALU_DEP_2) | instskip(SKIP_1) | instid1(VALU_DEP_2)
	v_cndmask_b32_e32 v3, 0x7f800001, v3, vcc_lo
	v_cmp_ne_u32_e32 vcc_lo, 0, v1
	v_cndmask_b32_e32 v14, 0x400000, v3, vcc_lo
	s_branch .LBB223_1511
.LBB223_1510:
	s_mov_b32 s0, -1
                                        ; implicit-def: $vgpr14
.LBB223_1511:
	s_mov_b32 s13, 0
.LBB223_1512:
	s_delay_alu instid0(SALU_CYCLE_1)
	s_and_b32 vcc_lo, exec_lo, s13
	s_cbranch_vccz .LBB223_1516
; %bb.1513:
	s_cmp_eq_u32 s11, 29
	s_cbranch_scc0 .LBB223_1515
; %bb.1514:
	global_load_b64 v[14:15], v[16:17], off
	s_mov_b32 s0, 0
	s_mov_b32 s12, -1
	s_mov_b32 s13, 0
	s_wait_loadcnt 0x0
	v_clz_i32_u32_e32 v1, v15
	s_delay_alu instid0(VALU_DEP_1) | instskip(NEXT) | instid1(VALU_DEP_1)
	v_min_u32_e32 v1, 32, v1
	v_lshlrev_b64_e32 v[14:15], v1, v[14:15]
	v_sub_nc_u32_e32 v1, 32, v1
	s_delay_alu instid0(VALU_DEP_2) | instskip(NEXT) | instid1(VALU_DEP_1)
	v_min_u32_e32 v3, 1, v14
	v_or_b32_e32 v3, v15, v3
	s_delay_alu instid0(VALU_DEP_1) | instskip(NEXT) | instid1(VALU_DEP_1)
	v_cvt_f32_u32_e32 v3, v3
	v_ldexp_f32 v14, v3, v1
	s_branch .LBB223_1517
.LBB223_1515:
	s_mov_b32 s0, -1
                                        ; implicit-def: $vgpr14
.LBB223_1516:
	s_mov_b32 s13, 0
.LBB223_1517:
	s_delay_alu instid0(SALU_CYCLE_1)
	s_and_b32 vcc_lo, exec_lo, s13
	s_cbranch_vccz .LBB223_1535
; %bb.1518:
	s_cmp_lt_i32 s11, 27
	s_cbranch_scc1 .LBB223_1521
; %bb.1519:
	s_cmp_gt_i32 s11, 27
	s_cbranch_scc0 .LBB223_1522
; %bb.1520:
	global_load_b32 v1, v[16:17], off
	s_mov_b32 s12, 0
	s_wait_loadcnt 0x0
	v_cvt_f32_u32_e32 v14, v1
	s_branch .LBB223_1523
.LBB223_1521:
	s_mov_b32 s12, -1
                                        ; implicit-def: $vgpr14
	s_branch .LBB223_1526
.LBB223_1522:
	s_mov_b32 s12, -1
                                        ; implicit-def: $vgpr14
.LBB223_1523:
	s_delay_alu instid0(SALU_CYCLE_1)
	s_and_not1_b32 vcc_lo, exec_lo, s12
	s_cbranch_vccnz .LBB223_1525
; %bb.1524:
	global_load_u16 v1, v[16:17], off
	s_wait_loadcnt 0x0
	v_cvt_f32_u32_e32 v14, v1
.LBB223_1525:
	s_mov_b32 s12, 0
.LBB223_1526:
	s_delay_alu instid0(SALU_CYCLE_1)
	s_and_not1_b32 vcc_lo, exec_lo, s12
	s_cbranch_vccnz .LBB223_1534
; %bb.1527:
	global_load_u8 v1, v[16:17], off
	s_mov_b32 s12, 0
	s_mov_b32 s13, exec_lo
	s_wait_loadcnt 0x0
	v_cmpx_lt_i16_e32 0x7f, v1
	s_xor_b32 s13, exec_lo, s13
	s_cbranch_execz .LBB223_1548
; %bb.1528:
	s_mov_b32 s12, -1
	s_mov_b32 s14, exec_lo
	v_cmpx_eq_u16_e32 0x80, v1
; %bb.1529:
	s_xor_b32 s12, exec_lo, -1
; %bb.1530:
	s_or_b32 exec_lo, exec_lo, s14
	s_delay_alu instid0(SALU_CYCLE_1)
	s_and_b32 s12, s12, exec_lo
	s_or_saveexec_b32 s13, s13
	v_mov_b32_e32 v14, 0x7f800001
	s_xor_b32 exec_lo, exec_lo, s13
	s_cbranch_execnz .LBB223_1549
.LBB223_1531:
	s_or_b32 exec_lo, exec_lo, s13
	s_and_saveexec_b32 s13, s12
	s_cbranch_execz .LBB223_1533
.LBB223_1532:
	v_and_b32_e32 v3, 0xffff, v1
	s_delay_alu instid0(VALU_DEP_1) | instskip(SKIP_1) | instid1(VALU_DEP_2)
	v_dual_lshlrev_b32 v1, 24, v1 :: v_dual_bitop2_b32 v5, 7, v3 bitop3:0x40
	v_bfe_u32 v11, v3, 3, 4
	v_and_b32_e32 v1, 0x80000000, v1
	s_delay_alu instid0(VALU_DEP_3) | instskip(NEXT) | instid1(VALU_DEP_3)
	v_clz_i32_u32_e32 v7, v5
	v_cmp_eq_u32_e32 vcc_lo, 0, v11
	s_delay_alu instid0(VALU_DEP_2) | instskip(NEXT) | instid1(VALU_DEP_1)
	v_min_u32_e32 v7, 32, v7
	v_subrev_nc_u32_e32 v9, 28, v7
	v_sub_nc_u32_e32 v7, 29, v7
	s_delay_alu instid0(VALU_DEP_2) | instskip(NEXT) | instid1(VALU_DEP_2)
	v_lshlrev_b32_e32 v3, v9, v3
	v_cndmask_b32_e32 v7, v11, v7, vcc_lo
	s_delay_alu instid0(VALU_DEP_2) | instskip(NEXT) | instid1(VALU_DEP_1)
	v_and_b32_e32 v3, 7, v3
	v_cndmask_b32_e32 v3, v5, v3, vcc_lo
	s_delay_alu instid0(VALU_DEP_3) | instskip(NEXT) | instid1(VALU_DEP_2)
	v_lshl_add_u32 v5, v7, 23, 0x3b800000
	v_lshlrev_b32_e32 v3, 20, v3
	s_delay_alu instid0(VALU_DEP_1)
	v_or3_b32 v14, v1, v5, v3
.LBB223_1533:
	s_or_b32 exec_lo, exec_lo, s13
.LBB223_1534:
	s_mov_b32 s12, -1
.LBB223_1535:
	s_mov_b32 s13, 0
.LBB223_1536:
	s_delay_alu instid0(SALU_CYCLE_1)
	s_and_b32 vcc_lo, exec_lo, s13
	s_cbranch_vccz .LBB223_1569
; %bb.1537:
	s_cmp_gt_i32 s11, 22
	s_cbranch_scc0 .LBB223_1547
; %bb.1538:
	s_cmp_lt_i32 s11, 24
	s_cbranch_scc1 .LBB223_1550
; %bb.1539:
	s_cmp_gt_i32 s11, 24
	s_cbranch_scc0 .LBB223_1551
; %bb.1540:
	global_load_u8 v1, v[16:17], off
	s_mov_b32 s12, exec_lo
	s_wait_loadcnt 0x0
	v_cmpx_lt_i16_e32 0x7f, v1
	s_xor_b32 s12, exec_lo, s12
	s_cbranch_execz .LBB223_1563
; %bb.1541:
	s_mov_b32 s1, -1
	s_mov_b32 s13, exec_lo
	v_cmpx_eq_u16_e32 0x80, v1
; %bb.1542:
	s_xor_b32 s1, exec_lo, -1
; %bb.1543:
	s_or_b32 exec_lo, exec_lo, s13
	s_delay_alu instid0(SALU_CYCLE_1)
	s_and_b32 s1, s1, exec_lo
	s_or_saveexec_b32 s12, s12
	v_mov_b32_e32 v14, 0x7f800001
	s_xor_b32 exec_lo, exec_lo, s12
	s_cbranch_execnz .LBB223_1564
.LBB223_1544:
	s_or_b32 exec_lo, exec_lo, s12
	s_and_saveexec_b32 s12, s1
	s_cbranch_execz .LBB223_1546
.LBB223_1545:
	v_and_b32_e32 v3, 0xffff, v1
	s_delay_alu instid0(VALU_DEP_1) | instskip(SKIP_1) | instid1(VALU_DEP_2)
	v_dual_lshlrev_b32 v1, 24, v1 :: v_dual_bitop2_b32 v5, 3, v3 bitop3:0x40
	v_bfe_u32 v11, v3, 2, 5
	v_and_b32_e32 v1, 0x80000000, v1
	s_delay_alu instid0(VALU_DEP_3) | instskip(NEXT) | instid1(VALU_DEP_3)
	v_clz_i32_u32_e32 v7, v5
	v_cmp_eq_u32_e32 vcc_lo, 0, v11
	s_delay_alu instid0(VALU_DEP_2) | instskip(NEXT) | instid1(VALU_DEP_1)
	v_min_u32_e32 v7, 32, v7
	v_subrev_nc_u32_e32 v9, 29, v7
	v_sub_nc_u32_e32 v7, 30, v7
	s_delay_alu instid0(VALU_DEP_2) | instskip(NEXT) | instid1(VALU_DEP_2)
	v_lshlrev_b32_e32 v3, v9, v3
	v_cndmask_b32_e32 v7, v11, v7, vcc_lo
	s_delay_alu instid0(VALU_DEP_2) | instskip(NEXT) | instid1(VALU_DEP_1)
	v_and_b32_e32 v3, 3, v3
	v_cndmask_b32_e32 v3, v5, v3, vcc_lo
	s_delay_alu instid0(VALU_DEP_3) | instskip(NEXT) | instid1(VALU_DEP_2)
	v_lshl_add_u32 v5, v7, 23, 0x37800000
	v_lshlrev_b32_e32 v3, 21, v3
	s_delay_alu instid0(VALU_DEP_1)
	v_or3_b32 v14, v1, v5, v3
.LBB223_1546:
	s_or_b32 exec_lo, exec_lo, s12
	s_mov_b32 s1, 0
	s_branch .LBB223_1552
.LBB223_1547:
	s_mov_b32 s1, -1
                                        ; implicit-def: $vgpr14
	s_branch .LBB223_1558
.LBB223_1548:
	s_or_saveexec_b32 s13, s13
	v_mov_b32_e32 v14, 0x7f800001
	s_xor_b32 exec_lo, exec_lo, s13
	s_cbranch_execz .LBB223_1531
.LBB223_1549:
	v_cmp_ne_u16_e32 vcc_lo, 0, v1
	v_mov_b32_e32 v14, 0
	s_and_not1_b32 s12, s12, exec_lo
	s_and_b32 s14, vcc_lo, exec_lo
	s_delay_alu instid0(SALU_CYCLE_1)
	s_or_b32 s12, s12, s14
	s_or_b32 exec_lo, exec_lo, s13
	s_and_saveexec_b32 s13, s12
	s_cbranch_execnz .LBB223_1532
	s_branch .LBB223_1533
.LBB223_1550:
	s_mov_b32 s1, -1
                                        ; implicit-def: $vgpr14
	s_branch .LBB223_1555
.LBB223_1551:
	s_mov_b32 s1, -1
                                        ; implicit-def: $vgpr14
.LBB223_1552:
	s_delay_alu instid0(SALU_CYCLE_1)
	s_and_b32 vcc_lo, exec_lo, s1
	s_cbranch_vccz .LBB223_1554
; %bb.1553:
	global_load_u8 v1, v[16:17], off
	s_wait_loadcnt 0x0
	v_lshlrev_b32_e32 v1, 24, v1
	s_delay_alu instid0(VALU_DEP_1) | instskip(NEXT) | instid1(VALU_DEP_1)
	v_and_b32_e32 v3, 0x7f000000, v1
	v_clz_i32_u32_e32 v5, v3
	v_add_nc_u32_e32 v9, 0x1000000, v3
	v_cmp_ne_u32_e32 vcc_lo, 0, v3
	s_delay_alu instid0(VALU_DEP_3) | instskip(NEXT) | instid1(VALU_DEP_1)
	v_min_u32_e32 v5, 32, v5
	v_sub_nc_u32_e64 v5, v5, 4 clamp
	s_delay_alu instid0(VALU_DEP_1) | instskip(NEXT) | instid1(VALU_DEP_1)
	v_dual_lshlrev_b32 v7, v5, v3 :: v_dual_lshlrev_b32 v5, 23, v5
	v_lshrrev_b32_e32 v7, 4, v7
	s_delay_alu instid0(VALU_DEP_1) | instskip(SKIP_1) | instid1(VALU_DEP_2)
	v_sub_nc_u32_e32 v5, v7, v5
	v_ashrrev_i32_e32 v7, 8, v9
	v_add_nc_u32_e32 v5, 0x3c000000, v5
	s_delay_alu instid0(VALU_DEP_1) | instskip(NEXT) | instid1(VALU_DEP_1)
	v_and_or_b32 v5, 0x7f800000, v7, v5
	v_cndmask_b32_e32 v3, 0, v5, vcc_lo
	s_delay_alu instid0(VALU_DEP_1)
	v_and_or_b32 v14, 0x80000000, v1, v3
.LBB223_1554:
	s_mov_b32 s1, 0
.LBB223_1555:
	s_delay_alu instid0(SALU_CYCLE_1)
	s_and_not1_b32 vcc_lo, exec_lo, s1
	s_cbranch_vccnz .LBB223_1557
; %bb.1556:
	global_load_u8 v1, v[16:17], off
	s_wait_loadcnt 0x0
	v_lshlrev_b32_e32 v3, 25, v1
	v_lshlrev_b16 v1, 8, v1
	s_delay_alu instid0(VALU_DEP_1) | instskip(SKIP_1) | instid1(VALU_DEP_2)
	v_and_or_b32 v7, 0x7f00, v1, 0.5
	v_bfe_i32 v1, v1, 0, 16
	v_add_f32_e32 v7, -0.5, v7
	v_lshrrev_b32_e32 v5, 4, v3
	v_cmp_gt_u32_e32 vcc_lo, 0x8000000, v3
	s_delay_alu instid0(VALU_DEP_2) | instskip(NEXT) | instid1(VALU_DEP_1)
	v_or_b32_e32 v5, 0x70000000, v5
	v_mul_f32_e32 v5, 0x7800000, v5
	s_delay_alu instid0(VALU_DEP_1) | instskip(NEXT) | instid1(VALU_DEP_1)
	v_cndmask_b32_e32 v3, v5, v7, vcc_lo
	v_and_or_b32 v14, 0x80000000, v1, v3
.LBB223_1557:
	s_mov_b32 s1, 0
	s_mov_b32 s12, -1
.LBB223_1558:
	s_and_not1_b32 vcc_lo, exec_lo, s1
	s_mov_b32 s1, 0
	s_cbranch_vccnz .LBB223_1569
; %bb.1559:
	s_cmp_gt_i32 s11, 14
	s_cbranch_scc0 .LBB223_1562
; %bb.1560:
	s_cmp_eq_u32 s11, 15
	s_cbranch_scc0 .LBB223_1565
; %bb.1561:
	global_load_u16 v1, v[16:17], off
	s_mov_b32 s0, 0
	s_mov_b32 s12, -1
	s_wait_loadcnt 0x0
	v_lshlrev_b32_e32 v14, 16, v1
	s_branch .LBB223_1567
.LBB223_1562:
	s_mov_b32 s1, -1
	s_branch .LBB223_1566
.LBB223_1563:
	s_or_saveexec_b32 s12, s12
	v_mov_b32_e32 v14, 0x7f800001
	s_xor_b32 exec_lo, exec_lo, s12
	s_cbranch_execz .LBB223_1544
.LBB223_1564:
	v_cmp_ne_u16_e32 vcc_lo, 0, v1
	v_mov_b32_e32 v14, 0
	s_and_not1_b32 s1, s1, exec_lo
	s_and_b32 s13, vcc_lo, exec_lo
	s_delay_alu instid0(SALU_CYCLE_1)
	s_or_b32 s1, s1, s13
	s_or_b32 exec_lo, exec_lo, s12
	s_and_saveexec_b32 s12, s1
	s_cbranch_execnz .LBB223_1545
	s_branch .LBB223_1546
.LBB223_1565:
	s_mov_b32 s0, -1
.LBB223_1566:
                                        ; implicit-def: $vgpr14
.LBB223_1567:
	s_and_b32 vcc_lo, exec_lo, s1
	s_mov_b32 s1, 0
	s_cbranch_vccz .LBB223_1569
; %bb.1568:
	s_cmp_lg_u32 s11, 11
	s_mov_b32 s1, -1
	s_cselect_b32 s0, -1, 0
.LBB223_1569:
	s_delay_alu instid0(SALU_CYCLE_1)
	s_and_b32 vcc_lo, exec_lo, s0
	s_cbranch_vccnz .LBB223_1646
; %bb.1570:
	s_and_not1_b32 vcc_lo, exec_lo, s1
	s_cbranch_vccnz .LBB223_1572
.LBB223_1571:
	global_load_u8 v1, v[16:17], off
	s_mov_b32 s12, -1
	s_wait_loadcnt 0x0
	v_cmp_ne_u16_e32 vcc_lo, 0, v1
	v_cndmask_b32_e64 v14, 0, 1.0, vcc_lo
.LBB223_1572:
	s_branch .LBB223_1499
.LBB223_1573:
	s_cmp_lt_i32 s11, 5
	s_cbranch_scc1 .LBB223_1578
; %bb.1574:
	s_cmp_lt_i32 s11, 8
	s_cbranch_scc1 .LBB223_1579
; %bb.1575:
	;; [unrolled: 3-line block ×3, first 2 shown]
	s_cmp_gt_i32 s11, 9
	s_cbranch_scc0 .LBB223_1581
; %bb.1577:
	global_load_b64 v[14:15], v[16:17], off
	s_mov_b32 s0, 0
	s_wait_loadcnt 0x0
	v_cvt_f32_f64_e32 v14, v[14:15]
	s_branch .LBB223_1582
.LBB223_1578:
	s_mov_b32 s0, -1
                                        ; implicit-def: $vgpr14
	s_branch .LBB223_1600
.LBB223_1579:
	s_mov_b32 s0, -1
                                        ; implicit-def: $vgpr14
	s_branch .LBB223_1588
.LBB223_1580:
	s_mov_b32 s0, -1
                                        ; implicit-def: $vgpr14
	s_branch .LBB223_1585
.LBB223_1581:
	s_mov_b32 s0, -1
                                        ; implicit-def: $vgpr14
.LBB223_1582:
	s_delay_alu instid0(SALU_CYCLE_1)
	s_and_not1_b32 vcc_lo, exec_lo, s0
	s_cbranch_vccnz .LBB223_1584
; %bb.1583:
	global_load_b32 v14, v[16:17], off
.LBB223_1584:
	s_mov_b32 s0, 0
.LBB223_1585:
	s_delay_alu instid0(SALU_CYCLE_1)
	s_and_not1_b32 vcc_lo, exec_lo, s0
	s_cbranch_vccnz .LBB223_1587
; %bb.1586:
	global_load_b32 v1, v[16:17], off
	s_wait_loadcnt 0x0
	v_cvt_f32_f16_e32 v14, v1
.LBB223_1587:
	s_mov_b32 s0, 0
.LBB223_1588:
	s_delay_alu instid0(SALU_CYCLE_1)
	s_and_not1_b32 vcc_lo, exec_lo, s0
	s_cbranch_vccnz .LBB223_1599
; %bb.1589:
	s_cmp_lt_i32 s11, 6
	s_cbranch_scc1 .LBB223_1592
; %bb.1590:
	s_cmp_gt_i32 s11, 6
	s_cbranch_scc0 .LBB223_1593
; %bb.1591:
	s_wait_loadcnt 0x0
	global_load_b64 v[14:15], v[16:17], off
	s_mov_b32 s0, 0
	s_wait_loadcnt 0x0
	v_cvt_f32_f64_e32 v14, v[14:15]
	s_branch .LBB223_1594
.LBB223_1592:
	s_mov_b32 s0, -1
                                        ; implicit-def: $vgpr14
	s_branch .LBB223_1597
.LBB223_1593:
	s_mov_b32 s0, -1
                                        ; implicit-def: $vgpr14
.LBB223_1594:
	s_delay_alu instid0(SALU_CYCLE_1)
	s_and_not1_b32 vcc_lo, exec_lo, s0
	s_cbranch_vccnz .LBB223_1596
; %bb.1595:
	s_wait_loadcnt 0x0
	global_load_b32 v14, v[16:17], off
.LBB223_1596:
	s_mov_b32 s0, 0
.LBB223_1597:
	s_delay_alu instid0(SALU_CYCLE_1)
	s_and_not1_b32 vcc_lo, exec_lo, s0
	s_cbranch_vccnz .LBB223_1599
; %bb.1598:
	global_load_u16 v1, v[16:17], off
	s_wait_loadcnt 0x0
	v_cvt_f32_f16_e32 v14, v1
.LBB223_1599:
	s_mov_b32 s0, 0
.LBB223_1600:
	s_delay_alu instid0(SALU_CYCLE_1)
	s_and_not1_b32 vcc_lo, exec_lo, s0
	s_cbranch_vccnz .LBB223_1620
; %bb.1601:
	s_cmp_lt_i32 s11, 2
	s_cbranch_scc1 .LBB223_1605
; %bb.1602:
	s_cmp_lt_i32 s11, 3
	s_cbranch_scc1 .LBB223_1606
; %bb.1603:
	s_cmp_gt_i32 s11, 3
	s_cbranch_scc0 .LBB223_1607
; %bb.1604:
	s_wait_loadcnt 0x0
	global_load_b64 v[14:15], v[16:17], off
	s_mov_b32 s0, 0
	s_wait_loadcnt 0x0
	v_xor_b32_e32 v1, v14, v15
	v_cls_i32_e32 v3, v15
	s_delay_alu instid0(VALU_DEP_2) | instskip(NEXT) | instid1(VALU_DEP_1)
	v_ashrrev_i32_e32 v1, 31, v1
	v_add_nc_u32_e32 v1, 32, v1
	s_delay_alu instid0(VALU_DEP_1) | instskip(NEXT) | instid1(VALU_DEP_1)
	v_add_min_u32_e64 v1, v3, -1, v1
	v_lshlrev_b64_e32 v[14:15], v1, v[14:15]
	v_sub_nc_u32_e32 v1, 32, v1
	s_delay_alu instid0(VALU_DEP_2) | instskip(NEXT) | instid1(VALU_DEP_1)
	v_min_u32_e32 v3, 1, v14
	v_or_b32_e32 v3, v15, v3
	s_delay_alu instid0(VALU_DEP_1) | instskip(NEXT) | instid1(VALU_DEP_1)
	v_cvt_f32_i32_e32 v3, v3
	v_ldexp_f32 v14, v3, v1
	s_branch .LBB223_1608
.LBB223_1605:
	s_mov_b32 s0, -1
                                        ; implicit-def: $vgpr14
	s_branch .LBB223_1614
.LBB223_1606:
	s_mov_b32 s0, -1
                                        ; implicit-def: $vgpr14
	s_branch .LBB223_1611
.LBB223_1607:
	s_mov_b32 s0, -1
                                        ; implicit-def: $vgpr14
.LBB223_1608:
	s_delay_alu instid0(SALU_CYCLE_1)
	s_and_not1_b32 vcc_lo, exec_lo, s0
	s_cbranch_vccnz .LBB223_1610
; %bb.1609:
	global_load_b32 v1, v[16:17], off
	s_wait_loadcnt 0x0
	v_cvt_f32_i32_e32 v14, v1
.LBB223_1610:
	s_mov_b32 s0, 0
.LBB223_1611:
	s_delay_alu instid0(SALU_CYCLE_1)
	s_and_not1_b32 vcc_lo, exec_lo, s0
	s_cbranch_vccnz .LBB223_1613
; %bb.1612:
	global_load_i16 v1, v[16:17], off
	s_wait_loadcnt 0x0
	v_cvt_f32_i32_e32 v14, v1
.LBB223_1613:
	s_mov_b32 s0, 0
.LBB223_1614:
	s_delay_alu instid0(SALU_CYCLE_1)
	s_and_not1_b32 vcc_lo, exec_lo, s0
	s_cbranch_vccnz .LBB223_1620
; %bb.1615:
	s_cmp_gt_i32 s11, 0
	s_mov_b32 s0, 0
	s_cbranch_scc0 .LBB223_1617
; %bb.1616:
	global_load_i8 v1, v[16:17], off
	s_wait_loadcnt 0x0
	v_cvt_f32_i32_e32 v14, v1
	s_branch .LBB223_1618
.LBB223_1617:
	s_mov_b32 s0, -1
                                        ; implicit-def: $vgpr14
.LBB223_1618:
	s_delay_alu instid0(SALU_CYCLE_1)
	s_and_not1_b32 vcc_lo, exec_lo, s0
	s_cbranch_vccnz .LBB223_1620
; %bb.1619:
	global_load_u8 v1, v[16:17], off
	s_wait_loadcnt 0x0
	v_cvt_f32_ubyte0_e32 v14, v1
.LBB223_1620:
.LBB223_1621:
	s_mov_b32 s12, exec_lo
	s_wait_loadcnt 0x0
	s_delay_alu instid0(VALU_DEP_1)
	v_cmpx_o_f32_e32 v14, v14
	s_cbranch_execz .LBB223_1633
; %bb.1622:
	s_load_b64 s[0:1], s[2:3], 0x158
	s_mov_b32 s13, 0
	s_wait_kmcnt 0x0
	s_cmp_lt_i32 s0, 1
	s_cbranch_scc1 .LBB223_1625
; %bb.1623:
	s_cmp_eq_u32 s0, 1
	s_cbranch_scc0 .LBB223_1626
; %bb.1624:
	v_max_num_f32_e64 v1, s1, s1
	v_max_num_f32_e32 v3, v14, v14
	s_mov_b32 s14, 0
	s_delay_alu instid0(VALU_DEP_1)
	v_min_num_f32_e32 v1, v3, v1
	s_branch .LBB223_1627
.LBB223_1625:
	s_mov_b32 s15, -1
	s_mov_b32 s14, 0
                                        ; implicit-def: $vgpr1
	s_branch .LBB223_1628
.LBB223_1626:
	s_mov_b32 s14, -1
                                        ; implicit-def: $vgpr1
.LBB223_1627:
	s_mov_b32 s15, 0
.LBB223_1628:
	s_delay_alu instid0(SALU_CYCLE_1)
	s_and_b32 vcc_lo, exec_lo, s15
	s_cbranch_vccz .LBB223_1640
; %bb.1629:
	s_cmp_lg_u32 s0, 0
	s_mov_b32 s13, -1
	s_cselect_b32 s14, -1, 0
	s_delay_alu instid0(SALU_CYCLE_1)
	s_and_not1_b32 vcc_lo, exec_lo, s14
	s_cbranch_vccz .LBB223_1641
.LBB223_1630:
	s_and_not1_b32 vcc_lo, exec_lo, s13
	s_cbranch_vccnz .LBB223_1632
.LBB223_1631:
	v_max_num_f32_e64 v1, s1, s1
	v_max_num_f32_e32 v3, v14, v14
	s_delay_alu instid0(VALU_DEP_1)
	v_max_num_f32_e32 v1, v3, v1
.LBB223_1632:
	s_delay_alu instid0(VALU_DEP_1)
	v_mov_b32_e32 v14, v1
.LBB223_1633:
	s_or_b32 exec_lo, exec_lo, s12
	v_mov_b32_e32 v13, 0
	s_cmp_lt_i32 s11, 11
	s_delay_alu instid0(VALU_DEP_1)
	v_add_nc_u64_e32 v[16:17], s[6:7], v[12:13]
	s_cbranch_scc1 .LBB223_1642
; %bb.1634:
	s_cmp_gt_i32 s11, 25
	s_mov_b32 s1, 0
	s_cbranch_scc0 .LBB223_1643
; %bb.1635:
	s_cmp_gt_i32 s11, 28
	s_cbranch_scc0 .LBB223_1644
; %bb.1636:
	s_cmp_gt_i32 s11, 43
	s_cbranch_scc0 .LBB223_1645
; %bb.1637:
	s_cmp_gt_i32 s11, 45
	s_cbranch_scc0 .LBB223_1647
; %bb.1638:
	s_cmp_eq_u32 s11, 46
	s_mov_b32 s7, 0
	s_cbranch_scc0 .LBB223_1648
; %bb.1639:
	global_load_b32 v1, v[16:17], off
	s_mov_b32 s0, 0
	s_mov_b32 s6, -1
	s_wait_loadcnt 0x0
	v_lshlrev_b32_e32 v12, 16, v1
	s_branch .LBB223_1650
.LBB223_1640:
	s_and_not1_b32 vcc_lo, exec_lo, s14
	s_cbranch_vccnz .LBB223_1630
.LBB223_1641:
	s_load_b32 s0, s[2:3], 0x160
	v_max_num_f32_e64 v1, s1, s1
	v_max_num_f32_e32 v3, v14, v14
	s_wait_kmcnt 0x0
	v_max_num_f32_e64 v5, s0, s0
	s_delay_alu instid0(VALU_DEP_1)
	v_maxmin_num_f32 v1, v3, v1, v5
	s_cbranch_execz .LBB223_1631
	s_branch .LBB223_1632
.LBB223_1642:
	s_mov_b32 s0, -1
	s_mov_b32 s6, 0
                                        ; implicit-def: $vgpr12
	s_branch .LBB223_1716
.LBB223_1643:
	s_mov_b32 s7, -1
	s_mov_b32 s6, 0
	s_mov_b32 s0, 0
                                        ; implicit-def: $vgpr12
	s_branch .LBB223_1679
.LBB223_1644:
	s_mov_b32 s7, -1
	s_mov_b32 s6, 0
	s_mov_b32 s0, 0
                                        ; implicit-def: $vgpr12
	s_branch .LBB223_1660
.LBB223_1645:
	s_mov_b32 s7, -1
	s_mov_b32 s6, 0
	s_mov_b32 s0, 0
                                        ; implicit-def: $vgpr12
	s_branch .LBB223_1655
.LBB223_1646:
	s_or_b32 s10, s10, exec_lo
	s_trap 2
	s_cbranch_execz .LBB223_1571
	s_branch .LBB223_1572
.LBB223_1647:
	s_mov_b32 s7, -1
	s_mov_b32 s6, 0
	s_mov_b32 s0, 0
	s_branch .LBB223_1649
.LBB223_1648:
	s_mov_b32 s0, -1
	s_mov_b32 s6, 0
.LBB223_1649:
                                        ; implicit-def: $vgpr12
.LBB223_1650:
	s_and_b32 vcc_lo, exec_lo, s7
	s_cbranch_vccz .LBB223_1654
; %bb.1651:
	s_cmp_eq_u32 s11, 44
	s_cbranch_scc0 .LBB223_1653
; %bb.1652:
	global_load_u8 v1, v[16:17], off
	s_mov_b32 s0, 0
	s_mov_b32 s6, -1
	s_wait_loadcnt 0x0
	v_lshlrev_b32_e32 v3, 23, v1
	v_cmp_ne_u32_e32 vcc_lo, 0xff, v1
	s_delay_alu instid0(VALU_DEP_2) | instskip(SKIP_1) | instid1(VALU_DEP_2)
	v_cndmask_b32_e32 v3, 0x7f800001, v3, vcc_lo
	v_cmp_ne_u32_e32 vcc_lo, 0, v1
	v_cndmask_b32_e32 v12, 0x400000, v3, vcc_lo
	s_branch .LBB223_1654
.LBB223_1653:
	s_mov_b32 s0, -1
                                        ; implicit-def: $vgpr12
.LBB223_1654:
	s_mov_b32 s7, 0
.LBB223_1655:
	s_delay_alu instid0(SALU_CYCLE_1)
	s_and_b32 vcc_lo, exec_lo, s7
	s_cbranch_vccz .LBB223_1659
; %bb.1656:
	s_cmp_eq_u32 s11, 29
	s_cbranch_scc0 .LBB223_1658
; %bb.1657:
	global_load_b64 v[12:13], v[16:17], off
	s_mov_b32 s0, 0
	s_mov_b32 s6, -1
	s_mov_b32 s7, 0
	s_wait_loadcnt 0x0
	v_clz_i32_u32_e32 v1, v13
	s_delay_alu instid0(VALU_DEP_1) | instskip(NEXT) | instid1(VALU_DEP_1)
	v_min_u32_e32 v1, 32, v1
	v_lshlrev_b64_e32 v[12:13], v1, v[12:13]
	v_sub_nc_u32_e32 v1, 32, v1
	s_delay_alu instid0(VALU_DEP_2) | instskip(NEXT) | instid1(VALU_DEP_1)
	v_min_u32_e32 v3, 1, v12
	v_or_b32_e32 v3, v13, v3
	s_delay_alu instid0(VALU_DEP_1) | instskip(NEXT) | instid1(VALU_DEP_1)
	v_cvt_f32_u32_e32 v3, v3
	v_ldexp_f32 v12, v3, v1
	s_branch .LBB223_1660
.LBB223_1658:
	s_mov_b32 s0, -1
                                        ; implicit-def: $vgpr12
.LBB223_1659:
	s_mov_b32 s7, 0
.LBB223_1660:
	s_delay_alu instid0(SALU_CYCLE_1)
	s_and_b32 vcc_lo, exec_lo, s7
	s_cbranch_vccz .LBB223_1678
; %bb.1661:
	s_cmp_lt_i32 s11, 27
	s_cbranch_scc1 .LBB223_1664
; %bb.1662:
	s_cmp_gt_i32 s11, 27
	s_cbranch_scc0 .LBB223_1665
; %bb.1663:
	global_load_b32 v1, v[16:17], off
	s_mov_b32 s6, 0
	s_wait_loadcnt 0x0
	v_cvt_f32_u32_e32 v12, v1
	s_branch .LBB223_1666
.LBB223_1664:
	s_mov_b32 s6, -1
                                        ; implicit-def: $vgpr12
	s_branch .LBB223_1669
.LBB223_1665:
	s_mov_b32 s6, -1
                                        ; implicit-def: $vgpr12
.LBB223_1666:
	s_delay_alu instid0(SALU_CYCLE_1)
	s_and_not1_b32 vcc_lo, exec_lo, s6
	s_cbranch_vccnz .LBB223_1668
; %bb.1667:
	global_load_u16 v1, v[16:17], off
	s_wait_loadcnt 0x0
	v_cvt_f32_u32_e32 v12, v1
.LBB223_1668:
	s_mov_b32 s6, 0
.LBB223_1669:
	s_delay_alu instid0(SALU_CYCLE_1)
	s_and_not1_b32 vcc_lo, exec_lo, s6
	s_cbranch_vccnz .LBB223_1677
; %bb.1670:
	global_load_u8 v1, v[16:17], off
	s_mov_b32 s6, 0
	s_mov_b32 s7, exec_lo
	s_wait_loadcnt 0x0
	v_cmpx_lt_i16_e32 0x7f, v1
	s_xor_b32 s7, exec_lo, s7
	s_cbranch_execz .LBB223_1691
; %bb.1671:
	s_mov_b32 s6, -1
	s_mov_b32 s12, exec_lo
	v_cmpx_eq_u16_e32 0x80, v1
; %bb.1672:
	s_xor_b32 s6, exec_lo, -1
; %bb.1673:
	s_or_b32 exec_lo, exec_lo, s12
	s_delay_alu instid0(SALU_CYCLE_1)
	s_and_b32 s6, s6, exec_lo
	s_or_saveexec_b32 s7, s7
	v_mov_b32_e32 v12, 0x7f800001
	s_xor_b32 exec_lo, exec_lo, s7
	s_cbranch_execnz .LBB223_1692
.LBB223_1674:
	s_or_b32 exec_lo, exec_lo, s7
	s_and_saveexec_b32 s7, s6
	s_cbranch_execz .LBB223_1676
.LBB223_1675:
	v_and_b32_e32 v3, 0xffff, v1
	s_delay_alu instid0(VALU_DEP_1) | instskip(SKIP_1) | instid1(VALU_DEP_2)
	v_dual_lshlrev_b32 v1, 24, v1 :: v_dual_bitop2_b32 v5, 7, v3 bitop3:0x40
	v_bfe_u32 v11, v3, 3, 4
	v_and_b32_e32 v1, 0x80000000, v1
	s_delay_alu instid0(VALU_DEP_3) | instskip(NEXT) | instid1(VALU_DEP_3)
	v_clz_i32_u32_e32 v7, v5
	v_cmp_eq_u32_e32 vcc_lo, 0, v11
	s_delay_alu instid0(VALU_DEP_2) | instskip(NEXT) | instid1(VALU_DEP_1)
	v_min_u32_e32 v7, 32, v7
	v_subrev_nc_u32_e32 v9, 28, v7
	v_sub_nc_u32_e32 v7, 29, v7
	s_delay_alu instid0(VALU_DEP_2) | instskip(NEXT) | instid1(VALU_DEP_2)
	v_lshlrev_b32_e32 v3, v9, v3
	v_cndmask_b32_e32 v7, v11, v7, vcc_lo
	s_delay_alu instid0(VALU_DEP_2) | instskip(NEXT) | instid1(VALU_DEP_1)
	v_and_b32_e32 v3, 7, v3
	v_cndmask_b32_e32 v3, v5, v3, vcc_lo
	s_delay_alu instid0(VALU_DEP_3) | instskip(NEXT) | instid1(VALU_DEP_2)
	v_lshl_add_u32 v5, v7, 23, 0x3b800000
	v_lshlrev_b32_e32 v3, 20, v3
	s_delay_alu instid0(VALU_DEP_1)
	v_or3_b32 v12, v1, v5, v3
.LBB223_1676:
	s_or_b32 exec_lo, exec_lo, s7
.LBB223_1677:
	s_mov_b32 s6, -1
.LBB223_1678:
	s_mov_b32 s7, 0
.LBB223_1679:
	s_delay_alu instid0(SALU_CYCLE_1)
	s_and_b32 vcc_lo, exec_lo, s7
	s_cbranch_vccz .LBB223_1712
; %bb.1680:
	s_cmp_gt_i32 s11, 22
	s_cbranch_scc0 .LBB223_1690
; %bb.1681:
	s_cmp_lt_i32 s11, 24
	s_cbranch_scc1 .LBB223_1693
; %bb.1682:
	s_cmp_gt_i32 s11, 24
	s_cbranch_scc0 .LBB223_1694
; %bb.1683:
	global_load_u8 v1, v[16:17], off
	s_mov_b32 s6, exec_lo
	s_wait_loadcnt 0x0
	v_cmpx_lt_i16_e32 0x7f, v1
	s_xor_b32 s6, exec_lo, s6
	s_cbranch_execz .LBB223_1706
; %bb.1684:
	s_mov_b32 s1, -1
	s_mov_b32 s7, exec_lo
	v_cmpx_eq_u16_e32 0x80, v1
; %bb.1685:
	s_xor_b32 s1, exec_lo, -1
; %bb.1686:
	s_or_b32 exec_lo, exec_lo, s7
	s_delay_alu instid0(SALU_CYCLE_1)
	s_and_b32 s1, s1, exec_lo
	s_or_saveexec_b32 s6, s6
	v_mov_b32_e32 v12, 0x7f800001
	s_xor_b32 exec_lo, exec_lo, s6
	s_cbranch_execnz .LBB223_1707
.LBB223_1687:
	s_or_b32 exec_lo, exec_lo, s6
	s_and_saveexec_b32 s6, s1
	s_cbranch_execz .LBB223_1689
.LBB223_1688:
	v_and_b32_e32 v3, 0xffff, v1
	s_delay_alu instid0(VALU_DEP_1) | instskip(SKIP_1) | instid1(VALU_DEP_2)
	v_dual_lshlrev_b32 v1, 24, v1 :: v_dual_bitop2_b32 v5, 3, v3 bitop3:0x40
	v_bfe_u32 v11, v3, 2, 5
	v_and_b32_e32 v1, 0x80000000, v1
	s_delay_alu instid0(VALU_DEP_3) | instskip(NEXT) | instid1(VALU_DEP_3)
	v_clz_i32_u32_e32 v7, v5
	v_cmp_eq_u32_e32 vcc_lo, 0, v11
	s_delay_alu instid0(VALU_DEP_2) | instskip(NEXT) | instid1(VALU_DEP_1)
	v_min_u32_e32 v7, 32, v7
	v_subrev_nc_u32_e32 v9, 29, v7
	v_sub_nc_u32_e32 v7, 30, v7
	s_delay_alu instid0(VALU_DEP_2) | instskip(NEXT) | instid1(VALU_DEP_2)
	v_lshlrev_b32_e32 v3, v9, v3
	v_cndmask_b32_e32 v7, v11, v7, vcc_lo
	s_delay_alu instid0(VALU_DEP_2) | instskip(NEXT) | instid1(VALU_DEP_1)
	v_and_b32_e32 v3, 3, v3
	v_cndmask_b32_e32 v3, v5, v3, vcc_lo
	s_delay_alu instid0(VALU_DEP_3) | instskip(NEXT) | instid1(VALU_DEP_2)
	v_lshl_add_u32 v5, v7, 23, 0x37800000
	v_lshlrev_b32_e32 v3, 21, v3
	s_delay_alu instid0(VALU_DEP_1)
	v_or3_b32 v12, v1, v5, v3
.LBB223_1689:
	s_or_b32 exec_lo, exec_lo, s6
	s_mov_b32 s1, 0
	s_branch .LBB223_1695
.LBB223_1690:
	s_mov_b32 s1, -1
                                        ; implicit-def: $vgpr12
	s_branch .LBB223_1701
.LBB223_1691:
	s_or_saveexec_b32 s7, s7
	v_mov_b32_e32 v12, 0x7f800001
	s_xor_b32 exec_lo, exec_lo, s7
	s_cbranch_execz .LBB223_1674
.LBB223_1692:
	v_cmp_ne_u16_e32 vcc_lo, 0, v1
	v_mov_b32_e32 v12, 0
	s_and_not1_b32 s6, s6, exec_lo
	s_and_b32 s12, vcc_lo, exec_lo
	s_delay_alu instid0(SALU_CYCLE_1)
	s_or_b32 s6, s6, s12
	s_or_b32 exec_lo, exec_lo, s7
	s_and_saveexec_b32 s7, s6
	s_cbranch_execnz .LBB223_1675
	s_branch .LBB223_1676
.LBB223_1693:
	s_mov_b32 s1, -1
                                        ; implicit-def: $vgpr12
	s_branch .LBB223_1698
.LBB223_1694:
	s_mov_b32 s1, -1
                                        ; implicit-def: $vgpr12
.LBB223_1695:
	s_delay_alu instid0(SALU_CYCLE_1)
	s_and_b32 vcc_lo, exec_lo, s1
	s_cbranch_vccz .LBB223_1697
; %bb.1696:
	global_load_u8 v1, v[16:17], off
	s_wait_loadcnt 0x0
	v_lshlrev_b32_e32 v1, 24, v1
	s_delay_alu instid0(VALU_DEP_1) | instskip(NEXT) | instid1(VALU_DEP_1)
	v_and_b32_e32 v3, 0x7f000000, v1
	v_clz_i32_u32_e32 v5, v3
	v_add_nc_u32_e32 v9, 0x1000000, v3
	v_cmp_ne_u32_e32 vcc_lo, 0, v3
	s_delay_alu instid0(VALU_DEP_3) | instskip(NEXT) | instid1(VALU_DEP_1)
	v_min_u32_e32 v5, 32, v5
	v_sub_nc_u32_e64 v5, v5, 4 clamp
	s_delay_alu instid0(VALU_DEP_1) | instskip(NEXT) | instid1(VALU_DEP_1)
	v_dual_lshlrev_b32 v7, v5, v3 :: v_dual_lshlrev_b32 v5, 23, v5
	v_lshrrev_b32_e32 v7, 4, v7
	s_delay_alu instid0(VALU_DEP_1) | instskip(SKIP_1) | instid1(VALU_DEP_2)
	v_sub_nc_u32_e32 v5, v7, v5
	v_ashrrev_i32_e32 v7, 8, v9
	v_add_nc_u32_e32 v5, 0x3c000000, v5
	s_delay_alu instid0(VALU_DEP_1) | instskip(NEXT) | instid1(VALU_DEP_1)
	v_and_or_b32 v5, 0x7f800000, v7, v5
	v_cndmask_b32_e32 v3, 0, v5, vcc_lo
	s_delay_alu instid0(VALU_DEP_1)
	v_and_or_b32 v12, 0x80000000, v1, v3
.LBB223_1697:
	s_mov_b32 s1, 0
.LBB223_1698:
	s_delay_alu instid0(SALU_CYCLE_1)
	s_and_not1_b32 vcc_lo, exec_lo, s1
	s_cbranch_vccnz .LBB223_1700
; %bb.1699:
	global_load_u8 v1, v[16:17], off
	s_wait_loadcnt 0x0
	v_lshlrev_b32_e32 v3, 25, v1
	v_lshlrev_b16 v1, 8, v1
	s_delay_alu instid0(VALU_DEP_1) | instskip(SKIP_1) | instid1(VALU_DEP_2)
	v_and_or_b32 v7, 0x7f00, v1, 0.5
	v_bfe_i32 v1, v1, 0, 16
	v_add_f32_e32 v7, -0.5, v7
	v_lshrrev_b32_e32 v5, 4, v3
	v_cmp_gt_u32_e32 vcc_lo, 0x8000000, v3
	s_delay_alu instid0(VALU_DEP_2) | instskip(NEXT) | instid1(VALU_DEP_1)
	v_or_b32_e32 v5, 0x70000000, v5
	v_mul_f32_e32 v5, 0x7800000, v5
	s_delay_alu instid0(VALU_DEP_1) | instskip(NEXT) | instid1(VALU_DEP_1)
	v_cndmask_b32_e32 v3, v5, v7, vcc_lo
	v_and_or_b32 v12, 0x80000000, v1, v3
.LBB223_1700:
	s_mov_b32 s1, 0
	s_mov_b32 s6, -1
.LBB223_1701:
	s_and_not1_b32 vcc_lo, exec_lo, s1
	s_mov_b32 s1, 0
	s_cbranch_vccnz .LBB223_1712
; %bb.1702:
	s_cmp_gt_i32 s11, 14
	s_cbranch_scc0 .LBB223_1705
; %bb.1703:
	s_cmp_eq_u32 s11, 15
	s_cbranch_scc0 .LBB223_1708
; %bb.1704:
	global_load_u16 v1, v[16:17], off
	s_mov_b32 s0, 0
	s_mov_b32 s6, -1
	s_wait_loadcnt 0x0
	v_lshlrev_b32_e32 v12, 16, v1
	s_branch .LBB223_1710
.LBB223_1705:
	s_mov_b32 s1, -1
	s_branch .LBB223_1709
.LBB223_1706:
	s_or_saveexec_b32 s6, s6
	v_mov_b32_e32 v12, 0x7f800001
	s_xor_b32 exec_lo, exec_lo, s6
	s_cbranch_execz .LBB223_1687
.LBB223_1707:
	v_cmp_ne_u16_e32 vcc_lo, 0, v1
	v_mov_b32_e32 v12, 0
	s_and_not1_b32 s1, s1, exec_lo
	s_and_b32 s7, vcc_lo, exec_lo
	s_delay_alu instid0(SALU_CYCLE_1)
	s_or_b32 s1, s1, s7
	s_or_b32 exec_lo, exec_lo, s6
	s_and_saveexec_b32 s6, s1
	s_cbranch_execnz .LBB223_1688
	s_branch .LBB223_1689
.LBB223_1708:
	s_mov_b32 s0, -1
.LBB223_1709:
                                        ; implicit-def: $vgpr12
.LBB223_1710:
	s_and_b32 vcc_lo, exec_lo, s1
	s_mov_b32 s1, 0
	s_cbranch_vccz .LBB223_1712
; %bb.1711:
	s_cmp_lg_u32 s11, 11
	s_mov_b32 s1, -1
	s_cselect_b32 s0, -1, 0
.LBB223_1712:
	s_delay_alu instid0(SALU_CYCLE_1)
	s_and_b32 vcc_lo, exec_lo, s0
	s_cbranch_vccnz .LBB223_2260
; %bb.1713:
	s_and_not1_b32 vcc_lo, exec_lo, s1
	s_cbranch_vccnz .LBB223_1715
.LBB223_1714:
	global_load_u8 v1, v[16:17], off
	s_mov_b32 s6, -1
	s_wait_loadcnt 0x0
	v_cmp_ne_u16_e32 vcc_lo, 0, v1
	v_cndmask_b32_e64 v12, 0, 1.0, vcc_lo
.LBB223_1715:
	s_mov_b32 s0, 0
.LBB223_1716:
	s_delay_alu instid0(SALU_CYCLE_1)
	s_and_b32 vcc_lo, exec_lo, s0
	s_cbranch_vccz .LBB223_1765
; %bb.1717:
	s_cmp_lt_i32 s11, 5
	s_cbranch_scc1 .LBB223_1722
; %bb.1718:
	s_cmp_lt_i32 s11, 8
	s_cbranch_scc1 .LBB223_1723
; %bb.1719:
	s_cmp_lt_i32 s11, 9
	s_cbranch_scc1 .LBB223_1724
; %bb.1720:
	s_cmp_gt_i32 s11, 9
	s_cbranch_scc0 .LBB223_1725
; %bb.1721:
	global_load_b64 v[12:13], v[16:17], off
	s_mov_b32 s0, 0
	s_wait_loadcnt 0x0
	v_cvt_f32_f64_e32 v12, v[12:13]
	s_branch .LBB223_1726
.LBB223_1722:
	s_mov_b32 s0, -1
                                        ; implicit-def: $vgpr12
	s_branch .LBB223_1744
.LBB223_1723:
	s_mov_b32 s0, -1
                                        ; implicit-def: $vgpr12
	s_branch .LBB223_1732
.LBB223_1724:
	s_mov_b32 s0, -1
                                        ; implicit-def: $vgpr12
	s_branch .LBB223_1729
.LBB223_1725:
	s_mov_b32 s0, -1
                                        ; implicit-def: $vgpr12
.LBB223_1726:
	s_delay_alu instid0(SALU_CYCLE_1)
	s_and_not1_b32 vcc_lo, exec_lo, s0
	s_cbranch_vccnz .LBB223_1728
; %bb.1727:
	global_load_b32 v12, v[16:17], off
.LBB223_1728:
	s_mov_b32 s0, 0
.LBB223_1729:
	s_delay_alu instid0(SALU_CYCLE_1)
	s_and_not1_b32 vcc_lo, exec_lo, s0
	s_cbranch_vccnz .LBB223_1731
; %bb.1730:
	global_load_b32 v1, v[16:17], off
	s_wait_loadcnt 0x0
	v_cvt_f32_f16_e32 v12, v1
.LBB223_1731:
	s_mov_b32 s0, 0
.LBB223_1732:
	s_delay_alu instid0(SALU_CYCLE_1)
	s_and_not1_b32 vcc_lo, exec_lo, s0
	s_cbranch_vccnz .LBB223_1743
; %bb.1733:
	s_cmp_lt_i32 s11, 6
	s_cbranch_scc1 .LBB223_1736
; %bb.1734:
	s_cmp_gt_i32 s11, 6
	s_cbranch_scc0 .LBB223_1737
; %bb.1735:
	s_wait_loadcnt 0x0
	global_load_b64 v[12:13], v[16:17], off
	s_mov_b32 s0, 0
	s_wait_loadcnt 0x0
	v_cvt_f32_f64_e32 v12, v[12:13]
	s_branch .LBB223_1738
.LBB223_1736:
	s_mov_b32 s0, -1
                                        ; implicit-def: $vgpr12
	s_branch .LBB223_1741
.LBB223_1737:
	s_mov_b32 s0, -1
                                        ; implicit-def: $vgpr12
.LBB223_1738:
	s_delay_alu instid0(SALU_CYCLE_1)
	s_and_not1_b32 vcc_lo, exec_lo, s0
	s_cbranch_vccnz .LBB223_1740
; %bb.1739:
	s_wait_loadcnt 0x0
	global_load_b32 v12, v[16:17], off
.LBB223_1740:
	s_mov_b32 s0, 0
.LBB223_1741:
	s_delay_alu instid0(SALU_CYCLE_1)
	s_and_not1_b32 vcc_lo, exec_lo, s0
	s_cbranch_vccnz .LBB223_1743
; %bb.1742:
	global_load_u16 v1, v[16:17], off
	s_wait_loadcnt 0x0
	v_cvt_f32_f16_e32 v12, v1
.LBB223_1743:
	s_mov_b32 s0, 0
.LBB223_1744:
	s_delay_alu instid0(SALU_CYCLE_1)
	s_and_not1_b32 vcc_lo, exec_lo, s0
	s_cbranch_vccnz .LBB223_1764
; %bb.1745:
	s_cmp_lt_i32 s11, 2
	s_cbranch_scc1 .LBB223_1749
; %bb.1746:
	s_cmp_lt_i32 s11, 3
	s_cbranch_scc1 .LBB223_1750
; %bb.1747:
	s_cmp_gt_i32 s11, 3
	s_cbranch_scc0 .LBB223_1751
; %bb.1748:
	s_wait_loadcnt 0x0
	global_load_b64 v[12:13], v[16:17], off
	s_mov_b32 s0, 0
	s_wait_loadcnt 0x0
	v_xor_b32_e32 v1, v12, v13
	v_cls_i32_e32 v3, v13
	s_delay_alu instid0(VALU_DEP_2) | instskip(NEXT) | instid1(VALU_DEP_1)
	v_ashrrev_i32_e32 v1, 31, v1
	v_add_nc_u32_e32 v1, 32, v1
	s_delay_alu instid0(VALU_DEP_1) | instskip(NEXT) | instid1(VALU_DEP_1)
	v_add_min_u32_e64 v1, v3, -1, v1
	v_lshlrev_b64_e32 v[12:13], v1, v[12:13]
	v_sub_nc_u32_e32 v1, 32, v1
	s_delay_alu instid0(VALU_DEP_2) | instskip(NEXT) | instid1(VALU_DEP_1)
	v_min_u32_e32 v3, 1, v12
	v_or_b32_e32 v3, v13, v3
	s_delay_alu instid0(VALU_DEP_1) | instskip(NEXT) | instid1(VALU_DEP_1)
	v_cvt_f32_i32_e32 v3, v3
	v_ldexp_f32 v12, v3, v1
	s_branch .LBB223_1752
.LBB223_1749:
	s_mov_b32 s0, -1
                                        ; implicit-def: $vgpr12
	s_branch .LBB223_1758
.LBB223_1750:
	s_mov_b32 s0, -1
                                        ; implicit-def: $vgpr12
	s_branch .LBB223_1755
.LBB223_1751:
	s_mov_b32 s0, -1
                                        ; implicit-def: $vgpr12
.LBB223_1752:
	s_delay_alu instid0(SALU_CYCLE_1)
	s_and_not1_b32 vcc_lo, exec_lo, s0
	s_cbranch_vccnz .LBB223_1754
; %bb.1753:
	global_load_b32 v1, v[16:17], off
	s_wait_loadcnt 0x0
	v_cvt_f32_i32_e32 v12, v1
.LBB223_1754:
	s_mov_b32 s0, 0
.LBB223_1755:
	s_delay_alu instid0(SALU_CYCLE_1)
	s_and_not1_b32 vcc_lo, exec_lo, s0
	s_cbranch_vccnz .LBB223_1757
; %bb.1756:
	global_load_i16 v1, v[16:17], off
	s_wait_loadcnt 0x0
	v_cvt_f32_i32_e32 v12, v1
.LBB223_1757:
	s_mov_b32 s0, 0
.LBB223_1758:
	s_delay_alu instid0(SALU_CYCLE_1)
	s_and_not1_b32 vcc_lo, exec_lo, s0
	s_cbranch_vccnz .LBB223_1764
; %bb.1759:
	s_cmp_gt_i32 s11, 0
	s_mov_b32 s0, 0
	s_cbranch_scc0 .LBB223_1761
; %bb.1760:
	global_load_i8 v1, v[16:17], off
	s_wait_loadcnt 0x0
	v_cvt_f32_i32_e32 v12, v1
	s_branch .LBB223_1762
.LBB223_1761:
	s_mov_b32 s0, -1
                                        ; implicit-def: $vgpr12
.LBB223_1762:
	s_delay_alu instid0(SALU_CYCLE_1)
	s_and_not1_b32 vcc_lo, exec_lo, s0
	s_cbranch_vccnz .LBB223_1764
; %bb.1763:
	global_load_u8 v1, v[16:17], off
	s_wait_loadcnt 0x0
	v_cvt_f32_ubyte0_e32 v12, v1
.LBB223_1764:
	s_mov_b32 s6, -1
.LBB223_1765:
	s_delay_alu instid0(SALU_CYCLE_1)
	s_and_not1_b32 vcc_lo, exec_lo, s6
	s_cbranch_vccnz .LBB223_1770
; %bb.1766:
	s_mov_b32 s6, exec_lo
	s_wait_loadcnt 0x0
	s_delay_alu instid0(VALU_DEP_1)
	v_cmpx_o_f32_e32 v12, v12
	s_cbranch_execz .LBB223_1823
; %bb.1767:
	s_load_b64 s[0:1], s[2:3], 0x158
	s_mov_b32 s7, 0
	s_wait_kmcnt 0x0
	s_cmp_lt_i32 s0, 1
	s_cbranch_scc1 .LBB223_1815
; %bb.1768:
	s_cmp_eq_u32 s0, 1
	s_cbranch_scc0 .LBB223_1816
; %bb.1769:
	v_max_num_f32_e64 v1, s1, s1
	v_max_num_f32_e32 v3, v12, v12
	s_mov_b32 s11, 0
	s_delay_alu instid0(VALU_DEP_1)
	v_min_num_f32_e32 v1, v3, v1
	s_branch .LBB223_1817
.LBB223_1770:
	s_mov_b32 s0, 0
	s_wait_xcnt 0x0
	s_mov_b32 s3, 0
                                        ; implicit-def: $vgpr2_vgpr3
                                        ; implicit-def: $sgpr1
                                        ; implicit-def: $vgpr12
.LBB223_1771:
	s_and_not1_b32 s2, s8, exec_lo
	s_and_b32 s4, s10, exec_lo
	s_and_b32 s0, s0, exec_lo
	;; [unrolled: 1-line block ×3, first 2 shown]
	s_or_b32 s8, s2, s4
.LBB223_1772:
	s_wait_xcnt 0x0
	s_or_b32 exec_lo, exec_lo, s9
	s_and_saveexec_b32 s2, s8
	s_cbranch_execz .LBB223_1775
; %bb.1773:
	; divergent unreachable
	s_or_b32 exec_lo, exec_lo, s2
	s_and_saveexec_b32 s2, s35
	s_delay_alu instid0(SALU_CYCLE_1)
	s_xor_b32 s2, exec_lo, s2
	s_cbranch_execnz .LBB223_1776
.LBB223_1774:
	s_or_b32 exec_lo, exec_lo, s2
	s_and_saveexec_b32 s2, s0
	s_cbranch_execnz .LBB223_1777
	s_branch .LBB223_1814
.LBB223_1775:
	s_or_b32 exec_lo, exec_lo, s2
	s_and_saveexec_b32 s2, s35
	s_delay_alu instid0(SALU_CYCLE_1)
	s_xor_b32 s2, exec_lo, s2
	s_cbranch_execz .LBB223_1774
.LBB223_1776:
	s_wait_loadcnt 0x0
	s_delay_alu instid0(VALU_DEP_1)
	v_cmp_neq_f32_e32 vcc_lo, 0, v12
	v_cndmask_b32_e64 v0, 0, 1, vcc_lo
	global_store_b8 v[2:3], v0, off
	s_wait_xcnt 0x0
	s_or_b32 exec_lo, exec_lo, s2
	s_and_saveexec_b32 s2, s0
	s_cbranch_execz .LBB223_1814
.LBB223_1777:
	s_sext_i32_i16 s2, s1
	s_mov_b32 s0, -1
	s_cmp_lt_i32 s2, 5
	s_cbranch_scc1 .LBB223_1798
; %bb.1778:
	s_cmp_lt_i32 s2, 8
	s_cbranch_scc1 .LBB223_1788
; %bb.1779:
	;; [unrolled: 3-line block ×3, first 2 shown]
	s_cmp_gt_i32 s2, 9
	s_cbranch_scc0 .LBB223_1782
; %bb.1781:
	s_wait_loadcnt 0x0
	v_cvt_f64_f32_e32 v[4:5], v12
	v_mov_b32_e32 v6, 0
	s_mov_b32 s0, 0
	s_delay_alu instid0(VALU_DEP_1)
	v_mov_b32_e32 v7, v6
	global_store_b128 v[2:3], v[4:7], off
.LBB223_1782:
	s_and_not1_b32 vcc_lo, exec_lo, s0
	s_cbranch_vccnz .LBB223_1784
; %bb.1783:
	v_mov_b32_e32 v13, 0
	s_wait_loadcnt 0x0
	global_store_b64 v[2:3], v[12:13], off
.LBB223_1784:
	s_mov_b32 s0, 0
.LBB223_1785:
	s_delay_alu instid0(SALU_CYCLE_1)
	s_and_not1_b32 vcc_lo, exec_lo, s0
	s_cbranch_vccnz .LBB223_1787
; %bb.1786:
	s_wait_loadcnt 0x0
	v_cvt_f16_f32_e32 v0, v12
	s_delay_alu instid0(VALU_DEP_1)
	v_and_b32_e32 v0, 0xffff, v0
	global_store_b32 v[2:3], v0, off
.LBB223_1787:
	s_mov_b32 s0, 0
.LBB223_1788:
	s_delay_alu instid0(SALU_CYCLE_1)
	s_and_not1_b32 vcc_lo, exec_lo, s0
	s_cbranch_vccnz .LBB223_1797
; %bb.1789:
	s_sext_i32_i16 s2, s1
	s_mov_b32 s0, -1
	s_cmp_lt_i32 s2, 6
	s_cbranch_scc1 .LBB223_1795
; %bb.1790:
	s_cmp_gt_i32 s2, 6
	s_cbranch_scc0 .LBB223_1792
; %bb.1791:
	s_wait_loadcnt 0x0
	v_cvt_f64_f32_e32 v[0:1], v12
	s_mov_b32 s0, 0
	global_store_b64 v[2:3], v[0:1], off
.LBB223_1792:
	s_and_not1_b32 vcc_lo, exec_lo, s0
	s_cbranch_vccnz .LBB223_1794
; %bb.1793:
	s_wait_loadcnt 0x0
	global_store_b32 v[2:3], v12, off
.LBB223_1794:
	s_mov_b32 s0, 0
.LBB223_1795:
	s_delay_alu instid0(SALU_CYCLE_1)
	s_and_not1_b32 vcc_lo, exec_lo, s0
	s_cbranch_vccnz .LBB223_1797
; %bb.1796:
	s_wait_loadcnt 0x0
	v_cvt_f16_f32_e32 v0, v12
	global_store_b16 v[2:3], v0, off
.LBB223_1797:
	s_mov_b32 s0, 0
.LBB223_1798:
	s_delay_alu instid0(SALU_CYCLE_1)
	s_and_not1_b32 vcc_lo, exec_lo, s0
	s_cbranch_vccnz .LBB223_1814
; %bb.1799:
	s_sext_i32_i16 s2, s1
	s_mov_b32 s0, -1
	s_cmp_lt_i32 s2, 2
	s_cbranch_scc1 .LBB223_1809
; %bb.1800:
	s_cmp_lt_i32 s2, 3
	s_cbranch_scc1 .LBB223_1806
; %bb.1801:
	s_cmp_gt_i32 s2, 3
	s_cbranch_scc0 .LBB223_1803
; %bb.1802:
	s_wait_loadcnt 0x0
	v_trunc_f32_e32 v0, v12
	s_mov_b32 s0, 0
	s_delay_alu instid0(VALU_DEP_1) | instskip(NEXT) | instid1(VALU_DEP_1)
	v_mul_f32_e64 v1, 0x2f800000, |v0|
	v_floor_f32_e32 v1, v1
	s_delay_alu instid0(VALU_DEP_1) | instskip(SKIP_2) | instid1(VALU_DEP_3)
	v_fma_f32 v4, 0xcf800000, v1, |v0|
	v_ashrrev_i32_e32 v0, 31, v0
	v_cvt_u32_f32_e32 v5, v1
	v_cvt_u32_f32_e32 v4, v4
	s_delay_alu instid0(VALU_DEP_2) | instskip(NEXT) | instid1(VALU_DEP_2)
	v_dual_mov_b32 v1, v0 :: v_dual_bitop2_b32 v5, v5, v0 bitop3:0x14
	v_xor_b32_e32 v4, v4, v0
	s_delay_alu instid0(VALU_DEP_1)
	v_sub_nc_u64_e32 v[0:1], v[4:5], v[0:1]
	global_store_b64 v[2:3], v[0:1], off
.LBB223_1803:
	s_and_not1_b32 vcc_lo, exec_lo, s0
	s_cbranch_vccnz .LBB223_1805
; %bb.1804:
	s_wait_loadcnt 0x0
	v_cvt_i32_f32_e32 v0, v12
	global_store_b32 v[2:3], v0, off
.LBB223_1805:
	s_mov_b32 s0, 0
.LBB223_1806:
	s_delay_alu instid0(SALU_CYCLE_1)
	s_and_not1_b32 vcc_lo, exec_lo, s0
	s_cbranch_vccnz .LBB223_1808
; %bb.1807:
	s_wait_loadcnt 0x0
	v_cvt_i32_f32_e32 v0, v12
	global_store_b16 v[2:3], v0, off
.LBB223_1808:
	s_mov_b32 s0, 0
.LBB223_1809:
	s_delay_alu instid0(SALU_CYCLE_1)
	s_and_not1_b32 vcc_lo, exec_lo, s0
	s_cbranch_vccnz .LBB223_1814
; %bb.1810:
	s_sext_i32_i16 s0, s1
	s_delay_alu instid0(SALU_CYCLE_1)
	s_cmp_gt_i32 s0, 0
	s_mov_b32 s0, -1
	s_cbranch_scc0 .LBB223_1812
; %bb.1811:
	s_wait_loadcnt 0x0
	v_cvt_i32_f32_e32 v0, v12
	s_mov_b32 s0, 0
	global_store_b8 v[2:3], v0, off
.LBB223_1812:
	s_and_not1_b32 vcc_lo, exec_lo, s0
	s_cbranch_vccnz .LBB223_1814
; %bb.1813:
	s_wait_loadcnt 0x0
	v_trunc_f32_e32 v0, v12
	s_delay_alu instid0(VALU_DEP_1) | instskip(NEXT) | instid1(VALU_DEP_1)
	v_mul_f32_e64 v1, 0x2f800000, |v0|
	v_floor_f32_e32 v1, v1
	s_delay_alu instid0(VALU_DEP_1) | instskip(SKIP_1) | instid1(VALU_DEP_2)
	v_fma_f32 v1, 0xcf800000, v1, |v0|
	v_ashrrev_i32_e32 v0, 31, v0
	v_cvt_u32_f32_e32 v1, v1
	s_delay_alu instid0(VALU_DEP_1) | instskip(NEXT) | instid1(VALU_DEP_1)
	v_xor_b32_e32 v1, v1, v0
	v_sub_nc_u32_e32 v0, v1, v0
	global_store_b8 v[2:3], v0, off
	s_endpgm
.LBB223_1814:
	s_endpgm
.LBB223_1815:
	s_mov_b32 s12, -1
	s_mov_b32 s11, 0
                                        ; implicit-def: $vgpr1
	s_branch .LBB223_1818
.LBB223_1816:
	s_mov_b32 s11, -1
                                        ; implicit-def: $vgpr1
.LBB223_1817:
	s_mov_b32 s12, 0
.LBB223_1818:
	s_delay_alu instid0(SALU_CYCLE_1)
	s_and_b32 vcc_lo, exec_lo, s12
	s_cbranch_vccz .LBB223_1901
; %bb.1819:
	s_cmp_lg_u32 s0, 0
	s_mov_b32 s7, -1
	s_cselect_b32 s11, -1, 0
	s_delay_alu instid0(SALU_CYCLE_1)
	s_and_not1_b32 vcc_lo, exec_lo, s11
	s_cbranch_vccz .LBB223_1902
.LBB223_1820:
	s_and_not1_b32 vcc_lo, exec_lo, s7
	s_cbranch_vccnz .LBB223_1822
.LBB223_1821:
	v_max_num_f32_e64 v1, s1, s1
	v_max_num_f32_e32 v3, v12, v12
	s_delay_alu instid0(VALU_DEP_1)
	v_max_num_f32_e32 v1, v3, v1
.LBB223_1822:
	s_delay_alu instid0(VALU_DEP_1)
	v_mov_b32_e32 v12, v1
.LBB223_1823:
	s_or_b32 exec_lo, exec_lo, s6
	s_load_b32 s0, s[2:3], 0x164
	v_mov_b32_e32 v7, 0
	s_delay_alu instid0(VALU_DEP_1) | instskip(SKIP_2) | instid1(SALU_CYCLE_1)
	v_add_nc_u64_e32 v[6:7], s[4:5], v[6:7]
	s_wait_kmcnt 0x0
	s_and_b32 s1, s0, 0xff
	s_cmp_lt_i32 s1, 11
	s_cbranch_scc1 .LBB223_1903
; %bb.1824:
	s_and_b32 s2, 0xffff, s1
	s_mov_b32 s7, -1
	s_mov_b32 s3, 0
	s_cmp_gt_i32 s2, 25
	s_mov_b32 s6, 0
	s_mov_b32 s0, 0
	s_cbranch_scc0 .LBB223_1857
; %bb.1825:
	s_cmp_gt_i32 s2, 28
	s_cbranch_scc0 .LBB223_1840
; %bb.1826:
	s_cmp_gt_i32 s2, 43
	;; [unrolled: 3-line block ×3, first 2 shown]
	s_cbranch_scc0 .LBB223_1830
; %bb.1828:
	s_mov_b32 s0, -1
	s_mov_b32 s7, 0
	s_cmp_eq_u32 s2, 46
	s_cbranch_scc0 .LBB223_1830
; %bb.1829:
	v_bfe_u32 v1, v8, 16, 1
	v_cmp_o_f32_e32 vcc_lo, v8, v8
	s_mov_b32 s0, 0
	s_mov_b32 s6, -1
	s_delay_alu instid0(VALU_DEP_2) | instskip(NEXT) | instid1(VALU_DEP_1)
	v_add3_u32 v1, v8, v1, 0x7fff
	v_lshrrev_b32_e32 v1, 16, v1
	s_delay_alu instid0(VALU_DEP_1)
	v_cndmask_b32_e32 v1, 0x7fc0, v1, vcc_lo
	global_store_b32 v[6:7], v1, off
.LBB223_1830:
	s_and_b32 vcc_lo, exec_lo, s7
	s_cbranch_vccz .LBB223_1835
; %bb.1831:
	s_cmp_eq_u32 s2, 44
	s_mov_b32 s0, -1
	s_cbranch_scc0 .LBB223_1835
; %bb.1832:
	v_bfe_u32 v3, v8, 23, 8
	s_wait_xcnt 0x0
	v_mov_b32_e32 v1, 0xff
	s_mov_b32 s6, exec_lo
	s_delay_alu instid0(VALU_DEP_2)
	v_cmpx_ne_u32_e32 0xff, v3
	s_cbranch_execz .LBB223_1834
; %bb.1833:
	v_and_b32_e32 v1, 0x400000, v8
	v_and_or_b32 v3, 0x3fffff, v8, v3
	s_delay_alu instid0(VALU_DEP_2) | instskip(NEXT) | instid1(VALU_DEP_2)
	v_cmp_ne_u32_e32 vcc_lo, 0, v1
	v_cmp_ne_u32_e64 s0, 0, v3
	v_lshrrev_b32_e32 v1, 23, v8
	s_and_b32 s0, vcc_lo, s0
	s_delay_alu instid0(SALU_CYCLE_1) | instskip(NEXT) | instid1(VALU_DEP_1)
	v_cndmask_b32_e64 v3, 0, 1, s0
	v_add_nc_u32_e32 v1, v1, v3
.LBB223_1834:
	s_or_b32 exec_lo, exec_lo, s6
	s_mov_b32 s0, 0
	s_mov_b32 s6, -1
	global_store_b8 v[6:7], v1, off
.LBB223_1835:
	s_mov_b32 s7, 0
.LBB223_1836:
	s_delay_alu instid0(SALU_CYCLE_1)
	s_and_b32 vcc_lo, exec_lo, s7
	s_cbranch_vccz .LBB223_1839
; %bb.1837:
	s_cmp_eq_u32 s2, 29
	s_mov_b32 s0, -1
	s_cbranch_scc0 .LBB223_1839
; %bb.1838:
	s_wait_xcnt 0x0
	v_trunc_f32_e32 v1, v8
	s_mov_b32 s0, 0
	s_mov_b32 s6, -1
	s_delay_alu instid0(VALU_DEP_1) | instskip(NEXT) | instid1(VALU_DEP_1)
	v_mul_f32_e32 v3, 0x2f800000, v1
	v_floor_f32_e32 v3, v3
	s_delay_alu instid0(VALU_DEP_1) | instskip(SKIP_1) | instid1(VALU_DEP_2)
	v_fmamk_f32 v1, v3, 0xcf800000, v1
	v_cvt_u32_f32_e32 v17, v3
	v_cvt_u32_f32_e32 v16, v1
	global_store_b64 v[6:7], v[16:17], off
.LBB223_1839:
	s_mov_b32 s7, 0
.LBB223_1840:
	s_delay_alu instid0(SALU_CYCLE_1)
	s_and_b32 vcc_lo, exec_lo, s7
	s_cbranch_vccz .LBB223_1856
; %bb.1841:
	s_cmp_lt_i32 s2, 27
	s_mov_b32 s6, -1
	s_cbranch_scc1 .LBB223_1847
; %bb.1842:
	s_wait_xcnt 0x0
	v_cvt_u32_f32_e32 v1, v8
	s_cmp_gt_i32 s2, 27
	s_cbranch_scc0 .LBB223_1844
; %bb.1843:
	s_mov_b32 s6, 0
	global_store_b32 v[6:7], v1, off
.LBB223_1844:
	s_and_not1_b32 vcc_lo, exec_lo, s6
	s_cbranch_vccnz .LBB223_1846
; %bb.1845:
	global_store_b16 v[6:7], v1, off
.LBB223_1846:
	s_mov_b32 s6, 0
.LBB223_1847:
	s_delay_alu instid0(SALU_CYCLE_1)
	s_and_not1_b32 vcc_lo, exec_lo, s6
	s_cbranch_vccnz .LBB223_1855
; %bb.1848:
	s_wait_xcnt 0x0
	v_and_b32_e32 v1, 0x7fffffff, v8
	v_mov_b32_e32 v3, 0x80
	s_mov_b32 s6, exec_lo
	s_delay_alu instid0(VALU_DEP_2)
	v_cmpx_gt_u32_e32 0x43800000, v1
	s_cbranch_execz .LBB223_1854
; %bb.1849:
	v_cmp_lt_u32_e32 vcc_lo, 0x3bffffff, v1
	s_mov_b32 s7, 0
                                        ; implicit-def: $vgpr1
	s_and_saveexec_b32 s11, vcc_lo
	s_delay_alu instid0(SALU_CYCLE_1)
	s_xor_b32 s11, exec_lo, s11
	s_cbranch_execz .LBB223_2261
; %bb.1850:
	v_bfe_u32 v1, v8, 20, 1
	s_mov_b32 s7, exec_lo
	s_delay_alu instid0(VALU_DEP_1) | instskip(NEXT) | instid1(VALU_DEP_1)
	v_add3_u32 v1, v8, v1, 0x487ffff
	v_lshrrev_b32_e32 v1, 20, v1
	s_and_not1_saveexec_b32 s11, s11
	s_cbranch_execnz .LBB223_2262
.LBB223_1851:
	s_or_b32 exec_lo, exec_lo, s11
	v_mov_b32_e32 v3, 0
	s_and_saveexec_b32 s11, s7
.LBB223_1852:
	v_lshrrev_b32_e32 v3, 24, v8
	s_delay_alu instid0(VALU_DEP_1)
	v_and_or_b32 v3, 0x80, v3, v1
.LBB223_1853:
	s_or_b32 exec_lo, exec_lo, s11
.LBB223_1854:
	s_delay_alu instid0(SALU_CYCLE_1)
	s_or_b32 exec_lo, exec_lo, s6
	global_store_b8 v[6:7], v3, off
.LBB223_1855:
	s_mov_b32 s6, -1
.LBB223_1856:
	s_mov_b32 s7, 0
.LBB223_1857:
	s_delay_alu instid0(SALU_CYCLE_1)
	s_and_b32 vcc_lo, exec_lo, s7
	s_cbranch_vccz .LBB223_1897
; %bb.1858:
	s_cmp_gt_i32 s2, 22
	s_mov_b32 s3, -1
	s_cbranch_scc0 .LBB223_1890
; %bb.1859:
	s_cmp_lt_i32 s2, 24
	s_cbranch_scc1 .LBB223_1879
; %bb.1860:
	s_cmp_gt_i32 s2, 24
	s_cbranch_scc0 .LBB223_1868
; %bb.1861:
	s_wait_xcnt 0x0
	v_and_b32_e32 v1, 0x7fffffff, v8
	v_mov_b32_e32 v3, 0x80
	s_mov_b32 s3, exec_lo
	s_delay_alu instid0(VALU_DEP_2)
	v_cmpx_gt_u32_e32 0x47800000, v1
	s_cbranch_execz .LBB223_1867
; %bb.1862:
	v_cmp_lt_u32_e32 vcc_lo, 0x37ffffff, v1
	s_mov_b32 s6, 0
                                        ; implicit-def: $vgpr1
	s_and_saveexec_b32 s7, vcc_lo
	s_delay_alu instid0(SALU_CYCLE_1)
	s_xor_b32 s7, exec_lo, s7
	s_cbranch_execz .LBB223_2264
; %bb.1863:
	v_bfe_u32 v1, v8, 21, 1
	s_mov_b32 s6, exec_lo
	s_delay_alu instid0(VALU_DEP_1) | instskip(NEXT) | instid1(VALU_DEP_1)
	v_add3_u32 v1, v8, v1, 0x88fffff
	v_lshrrev_b32_e32 v1, 21, v1
	s_and_not1_saveexec_b32 s7, s7
	s_cbranch_execnz .LBB223_2265
.LBB223_1864:
	s_or_b32 exec_lo, exec_lo, s7
	v_mov_b32_e32 v3, 0
	s_and_saveexec_b32 s7, s6
.LBB223_1865:
	v_lshrrev_b32_e32 v3, 24, v8
	s_delay_alu instid0(VALU_DEP_1)
	v_and_or_b32 v3, 0x80, v3, v1
.LBB223_1866:
	s_or_b32 exec_lo, exec_lo, s7
.LBB223_1867:
	s_delay_alu instid0(SALU_CYCLE_1)
	s_or_b32 exec_lo, exec_lo, s3
	s_mov_b32 s3, 0
	global_store_b8 v[6:7], v3, off
.LBB223_1868:
	s_and_b32 vcc_lo, exec_lo, s3
	s_cbranch_vccz .LBB223_1878
; %bb.1869:
	s_wait_xcnt 0x0
	v_and_b32_e32 v3, 0x7fffffff, v8
	s_mov_b32 s3, exec_lo
                                        ; implicit-def: $vgpr1
	s_delay_alu instid0(VALU_DEP_1)
	v_cmpx_gt_u32_e32 0x43f00000, v3
	s_xor_b32 s3, exec_lo, s3
	s_cbranch_execz .LBB223_1875
; %bb.1870:
	s_mov_b32 s6, exec_lo
                                        ; implicit-def: $vgpr1
	v_cmpx_lt_u32_e32 0x3c7fffff, v3
	s_xor_b32 s6, exec_lo, s6
; %bb.1871:
	v_bfe_u32 v1, v8, 20, 1
	s_delay_alu instid0(VALU_DEP_1) | instskip(NEXT) | instid1(VALU_DEP_1)
	v_add3_u32 v1, v8, v1, 0x407ffff
	v_and_b32_e32 v3, 0xff00000, v1
	v_lshrrev_b32_e32 v1, 20, v1
	s_delay_alu instid0(VALU_DEP_2) | instskip(NEXT) | instid1(VALU_DEP_2)
	v_cmp_ne_u32_e32 vcc_lo, 0x7f00000, v3
	v_cndmask_b32_e32 v1, 0x7e, v1, vcc_lo
; %bb.1872:
	s_and_not1_saveexec_b32 s6, s6
; %bb.1873:
	v_add_f32_e64 v1, 0x46800000, |v8|
; %bb.1874:
	s_or_b32 exec_lo, exec_lo, s6
                                        ; implicit-def: $vgpr3
.LBB223_1875:
	s_and_not1_saveexec_b32 s3, s3
; %bb.1876:
	v_mov_b32_e32 v1, 0x7f
	v_cmp_lt_u32_e32 vcc_lo, 0x7f800000, v3
	s_delay_alu instid0(VALU_DEP_2)
	v_cndmask_b32_e32 v1, 0x7e, v1, vcc_lo
; %bb.1877:
	s_or_b32 exec_lo, exec_lo, s3
	v_lshrrev_b32_e32 v3, 24, v8
	s_delay_alu instid0(VALU_DEP_1)
	v_and_or_b32 v1, 0x80, v3, v1
	global_store_b8 v[6:7], v1, off
.LBB223_1878:
	s_mov_b32 s3, 0
.LBB223_1879:
	s_delay_alu instid0(SALU_CYCLE_1)
	s_and_not1_b32 vcc_lo, exec_lo, s3
	s_cbranch_vccnz .LBB223_1889
; %bb.1880:
	s_wait_xcnt 0x0
	v_and_b32_e32 v3, 0x7fffffff, v8
	s_mov_b32 s3, exec_lo
                                        ; implicit-def: $vgpr1
	s_delay_alu instid0(VALU_DEP_1)
	v_cmpx_gt_u32_e32 0x47800000, v3
	s_xor_b32 s3, exec_lo, s3
	s_cbranch_execz .LBB223_1886
; %bb.1881:
	s_mov_b32 s6, exec_lo
                                        ; implicit-def: $vgpr1
	v_cmpx_lt_u32_e32 0x387fffff, v3
	s_xor_b32 s6, exec_lo, s6
; %bb.1882:
	v_bfe_u32 v1, v8, 21, 1
	s_delay_alu instid0(VALU_DEP_1) | instskip(NEXT) | instid1(VALU_DEP_1)
	v_add3_u32 v1, v8, v1, 0x80fffff
	v_lshrrev_b32_e32 v1, 21, v1
; %bb.1883:
	s_and_not1_saveexec_b32 s6, s6
; %bb.1884:
	v_add_f32_e64 v1, 0x43000000, |v8|
; %bb.1885:
	s_or_b32 exec_lo, exec_lo, s6
                                        ; implicit-def: $vgpr3
.LBB223_1886:
	s_and_not1_saveexec_b32 s3, s3
; %bb.1887:
	v_mov_b32_e32 v1, 0x7f
	v_cmp_lt_u32_e32 vcc_lo, 0x7f800000, v3
	s_delay_alu instid0(VALU_DEP_2)
	v_cndmask_b32_e32 v1, 0x7c, v1, vcc_lo
; %bb.1888:
	s_or_b32 exec_lo, exec_lo, s3
	v_lshrrev_b32_e32 v3, 24, v8
	s_delay_alu instid0(VALU_DEP_1)
	v_and_or_b32 v1, 0x80, v3, v1
	global_store_b8 v[6:7], v1, off
.LBB223_1889:
	s_mov_b32 s3, 0
	s_mov_b32 s6, -1
.LBB223_1890:
	s_and_not1_b32 vcc_lo, exec_lo, s3
	s_mov_b32 s3, 0
	s_cbranch_vccnz .LBB223_1897
; %bb.1891:
	s_cmp_gt_i32 s2, 14
	s_mov_b32 s3, -1
	s_cbranch_scc0 .LBB223_1895
; %bb.1892:
	s_cmp_eq_u32 s2, 15
	s_mov_b32 s0, -1
	s_cbranch_scc0 .LBB223_1894
; %bb.1893:
	s_wait_xcnt 0x0
	v_bfe_u32 v1, v8, 16, 1
	v_cmp_o_f32_e32 vcc_lo, v8, v8
	s_mov_b32 s0, 0
	s_mov_b32 s6, -1
	s_delay_alu instid0(VALU_DEP_2) | instskip(NEXT) | instid1(VALU_DEP_1)
	v_add3_u32 v1, v8, v1, 0x7fff
	v_lshrrev_b32_e32 v1, 16, v1
	s_delay_alu instid0(VALU_DEP_1)
	v_cndmask_b32_e32 v1, 0x7fc0, v1, vcc_lo
	global_store_b16 v[6:7], v1, off
.LBB223_1894:
	s_mov_b32 s3, 0
.LBB223_1895:
	s_delay_alu instid0(SALU_CYCLE_1)
	s_and_b32 vcc_lo, exec_lo, s3
	s_mov_b32 s3, 0
	s_cbranch_vccz .LBB223_1897
; %bb.1896:
	s_cmp_lg_u32 s2, 11
	s_mov_b32 s3, -1
	s_cselect_b32 s0, -1, 0
.LBB223_1897:
	s_delay_alu instid0(SALU_CYCLE_1)
	s_and_b32 vcc_lo, exec_lo, s0
	s_cbranch_vccnz .LBB223_2263
; %bb.1898:
	s_and_not1_b32 vcc_lo, exec_lo, s3
	s_cbranch_vccnz .LBB223_1900
.LBB223_1899:
	v_cmp_neq_f32_e32 vcc_lo, 0, v8
	s_mov_b32 s6, -1
	s_wait_xcnt 0x0
	v_cndmask_b32_e64 v1, 0, 1, vcc_lo
	global_store_b8 v[6:7], v1, off
.LBB223_1900:
	s_mov_b32 s0, 0
	s_branch .LBB223_1904
.LBB223_1901:
	s_and_not1_b32 vcc_lo, exec_lo, s11
	s_cbranch_vccnz .LBB223_1820
.LBB223_1902:
	s_load_b32 s0, s[2:3], 0x160
	v_max_num_f32_e64 v1, s1, s1
	v_max_num_f32_e32 v3, v12, v12
	s_wait_kmcnt 0x0
	v_max_num_f32_e64 v5, s0, s0
	s_delay_alu instid0(VALU_DEP_1)
	v_maxmin_num_f32 v1, v3, v1, v5
	s_cbranch_execz .LBB223_1821
	s_branch .LBB223_1822
.LBB223_1903:
	s_mov_b32 s0, -1
	s_mov_b32 s6, 0
.LBB223_1904:
	s_and_b32 vcc_lo, exec_lo, s0
	s_cbranch_vccz .LBB223_1943
; %bb.1905:
	s_and_b32 s0, 0xffff, s1
	s_mov_b32 s2, -1
	s_cmp_lt_i32 s0, 5
	s_cbranch_scc1 .LBB223_1926
; %bb.1906:
	s_cmp_lt_i32 s0, 8
	s_cbranch_scc1 .LBB223_1916
; %bb.1907:
	;; [unrolled: 3-line block ×3, first 2 shown]
	s_cmp_gt_i32 s0, 9
	s_cbranch_scc0 .LBB223_1910
; %bb.1909:
	s_wait_xcnt 0x0
	v_cvt_f64_f32_e32 v[16:17], v8
	v_mov_b32_e32 v18, 0
	s_mov_b32 s2, 0
	s_delay_alu instid0(VALU_DEP_1)
	v_mov_b32_e32 v19, v18
	global_store_b128 v[6:7], v[16:19], off
.LBB223_1910:
	s_and_not1_b32 vcc_lo, exec_lo, s2
	s_cbranch_vccnz .LBB223_1912
; %bb.1911:
	v_mov_b32_e32 v9, 0
	global_store_b64 v[6:7], v[8:9], off
.LBB223_1912:
	s_mov_b32 s2, 0
.LBB223_1913:
	s_delay_alu instid0(SALU_CYCLE_1)
	s_and_not1_b32 vcc_lo, exec_lo, s2
	s_cbranch_vccnz .LBB223_1915
; %bb.1914:
	s_wait_xcnt 0x0
	v_cvt_f16_f32_e32 v1, v8
	s_delay_alu instid0(VALU_DEP_1)
	v_and_b32_e32 v1, 0xffff, v1
	global_store_b32 v[6:7], v1, off
.LBB223_1915:
	s_mov_b32 s2, 0
.LBB223_1916:
	s_delay_alu instid0(SALU_CYCLE_1)
	s_and_not1_b32 vcc_lo, exec_lo, s2
	s_cbranch_vccnz .LBB223_1925
; %bb.1917:
	s_cmp_lt_i32 s0, 6
	s_mov_b32 s2, -1
	s_cbranch_scc1 .LBB223_1923
; %bb.1918:
	s_cmp_gt_i32 s0, 6
	s_cbranch_scc0 .LBB223_1920
; %bb.1919:
	s_wait_xcnt 0x0
	v_cvt_f64_f32_e32 v[16:17], v8
	s_mov_b32 s2, 0
	global_store_b64 v[6:7], v[16:17], off
.LBB223_1920:
	s_and_not1_b32 vcc_lo, exec_lo, s2
	s_cbranch_vccnz .LBB223_1922
; %bb.1921:
	global_store_b32 v[6:7], v8, off
.LBB223_1922:
	s_mov_b32 s2, 0
.LBB223_1923:
	s_delay_alu instid0(SALU_CYCLE_1)
	s_and_not1_b32 vcc_lo, exec_lo, s2
	s_cbranch_vccnz .LBB223_1925
; %bb.1924:
	s_wait_xcnt 0x0
	v_cvt_f16_f32_e32 v1, v8
	global_store_b16 v[6:7], v1, off
.LBB223_1925:
	s_mov_b32 s2, 0
.LBB223_1926:
	s_delay_alu instid0(SALU_CYCLE_1)
	s_and_not1_b32 vcc_lo, exec_lo, s2
	s_cbranch_vccnz .LBB223_1942
; %bb.1927:
	s_cmp_lt_i32 s0, 2
	s_mov_b32 s2, -1
	s_cbranch_scc1 .LBB223_1937
; %bb.1928:
	s_cmp_lt_i32 s0, 3
	s_cbranch_scc1 .LBB223_1934
; %bb.1929:
	s_cmp_gt_i32 s0, 3
	s_cbranch_scc0 .LBB223_1931
; %bb.1930:
	s_wait_xcnt 0x0
	v_trunc_f32_e32 v1, v8
	s_mov_b32 s2, 0
	s_delay_alu instid0(VALU_DEP_1) | instskip(SKIP_1) | instid1(VALU_DEP_2)
	v_mul_f32_e64 v3, 0x2f800000, |v1|
	v_ashrrev_i32_e32 v16, 31, v1
	v_floor_f32_e32 v3, v3
	s_delay_alu instid0(VALU_DEP_1) | instskip(SKIP_1) | instid1(VALU_DEP_4)
	v_fma_f32 v5, 0xcf800000, v3, |v1|
	v_cvt_u32_f32_e32 v1, v3
	v_mov_b32_e32 v17, v16
	s_delay_alu instid0(VALU_DEP_3) | instskip(NEXT) | instid1(VALU_DEP_3)
	v_cvt_u32_f32_e32 v3, v5
	v_xor_b32_e32 v19, v1, v16
	s_delay_alu instid0(VALU_DEP_2) | instskip(NEXT) | instid1(VALU_DEP_1)
	v_xor_b32_e32 v18, v3, v16
	v_sub_nc_u64_e32 v[16:17], v[18:19], v[16:17]
	global_store_b64 v[6:7], v[16:17], off
.LBB223_1931:
	s_and_not1_b32 vcc_lo, exec_lo, s2
	s_cbranch_vccnz .LBB223_1933
; %bb.1932:
	s_wait_xcnt 0x0
	v_cvt_i32_f32_e32 v1, v8
	global_store_b32 v[6:7], v1, off
.LBB223_1933:
	s_mov_b32 s2, 0
.LBB223_1934:
	s_delay_alu instid0(SALU_CYCLE_1)
	s_and_not1_b32 vcc_lo, exec_lo, s2
	s_cbranch_vccnz .LBB223_1936
; %bb.1935:
	s_wait_xcnt 0x0
	v_cvt_i32_f32_e32 v1, v8
	global_store_b16 v[6:7], v1, off
.LBB223_1936:
	s_mov_b32 s2, 0
.LBB223_1937:
	s_delay_alu instid0(SALU_CYCLE_1)
	s_and_not1_b32 vcc_lo, exec_lo, s2
	s_cbranch_vccnz .LBB223_1942
; %bb.1938:
	s_cmp_gt_i32 s0, 0
	s_mov_b32 s0, -1
	s_cbranch_scc0 .LBB223_1940
; %bb.1939:
	s_wait_xcnt 0x0
	v_cvt_i32_f32_e32 v1, v8
	s_mov_b32 s0, 0
	global_store_b8 v[6:7], v1, off
.LBB223_1940:
	s_and_not1_b32 vcc_lo, exec_lo, s0
	s_cbranch_vccnz .LBB223_1942
; %bb.1941:
	s_wait_xcnt 0x0
	v_trunc_f32_e32 v1, v8
	s_delay_alu instid0(VALU_DEP_1) | instskip(NEXT) | instid1(VALU_DEP_1)
	v_mul_f32_e64 v3, 0x2f800000, |v1|
	v_floor_f32_e32 v3, v3
	s_delay_alu instid0(VALU_DEP_1) | instskip(SKIP_1) | instid1(VALU_DEP_2)
	v_fma_f32 v3, 0xcf800000, v3, |v1|
	v_ashrrev_i32_e32 v1, 31, v1
	v_cvt_u32_f32_e32 v3, v3
	s_delay_alu instid0(VALU_DEP_1) | instskip(NEXT) | instid1(VALU_DEP_1)
	v_xor_b32_e32 v3, v3, v1
	v_sub_nc_u32_e32 v1, v3, v1
	global_store_b8 v[6:7], v1, off
.LBB223_1942:
	s_mov_b32 s6, -1
.LBB223_1943:
	s_delay_alu instid0(SALU_CYCLE_1)
	s_and_not1_b32 vcc_lo, exec_lo, s6
	s_cbranch_vccnz .LBB223_2258
; %bb.1944:
	v_mov_b32_e32 v5, 0
	s_and_b32 s2, 0xffff, s1
	s_delay_alu instid0(SALU_CYCLE_1) | instskip(NEXT) | instid1(VALU_DEP_1)
	s_cmp_lt_i32 s2, 11
	v_add_nc_u64_e32 v[4:5], s[4:5], v[4:5]
	s_cbranch_scc1 .LBB223_2022
; %bb.1945:
	s_mov_b32 s7, -1
	s_mov_b32 s3, 0
	s_cmp_gt_i32 s2, 25
	s_mov_b32 s6, 0
	s_mov_b32 s0, 0
	s_cbranch_scc0 .LBB223_1978
; %bb.1946:
	s_cmp_gt_i32 s2, 28
	s_cbranch_scc0 .LBB223_1961
; %bb.1947:
	s_cmp_gt_i32 s2, 43
	s_cbranch_scc0 .LBB223_1957
; %bb.1948:
	s_cmp_gt_i32 s2, 45
	s_cbranch_scc0 .LBB223_1951
; %bb.1949:
	s_mov_b32 s0, -1
	s_mov_b32 s7, 0
	s_cmp_eq_u32 s2, 46
	s_cbranch_scc0 .LBB223_1951
; %bb.1950:
	s_wait_xcnt 0x0
	v_bfe_u32 v1, v10, 16, 1
	v_cmp_o_f32_e32 vcc_lo, v10, v10
	s_mov_b32 s0, 0
	s_mov_b32 s6, -1
	s_delay_alu instid0(VALU_DEP_2) | instskip(NEXT) | instid1(VALU_DEP_1)
	v_add3_u32 v1, v10, v1, 0x7fff
	v_lshrrev_b32_e32 v1, 16, v1
	s_delay_alu instid0(VALU_DEP_1)
	v_cndmask_b32_e32 v1, 0x7fc0, v1, vcc_lo
	global_store_b32 v[4:5], v1, off
.LBB223_1951:
	s_and_b32 vcc_lo, exec_lo, s7
	s_cbranch_vccz .LBB223_1956
; %bb.1952:
	s_cmp_eq_u32 s2, 44
	s_mov_b32 s0, -1
	s_cbranch_scc0 .LBB223_1956
; %bb.1953:
	s_wait_xcnt 0x0
	v_bfe_u32 v3, v10, 23, 8
	v_mov_b32_e32 v1, 0xff
	s_mov_b32 s6, exec_lo
	s_delay_alu instid0(VALU_DEP_2)
	v_cmpx_ne_u32_e32 0xff, v3
	s_cbranch_execz .LBB223_1955
; %bb.1954:
	v_and_b32_e32 v1, 0x400000, v10
	v_and_or_b32 v3, 0x3fffff, v10, v3
	s_delay_alu instid0(VALU_DEP_2) | instskip(NEXT) | instid1(VALU_DEP_2)
	v_cmp_ne_u32_e32 vcc_lo, 0, v1
	v_cmp_ne_u32_e64 s0, 0, v3
	v_lshrrev_b32_e32 v1, 23, v10
	s_and_b32 s0, vcc_lo, s0
	s_delay_alu instid0(SALU_CYCLE_1) | instskip(NEXT) | instid1(VALU_DEP_1)
	v_cndmask_b32_e64 v3, 0, 1, s0
	v_add_nc_u32_e32 v1, v1, v3
.LBB223_1955:
	s_or_b32 exec_lo, exec_lo, s6
	s_mov_b32 s0, 0
	s_mov_b32 s6, -1
	global_store_b8 v[4:5], v1, off
.LBB223_1956:
	s_mov_b32 s7, 0
.LBB223_1957:
	s_delay_alu instid0(SALU_CYCLE_1)
	s_and_b32 vcc_lo, exec_lo, s7
	s_cbranch_vccz .LBB223_1960
; %bb.1958:
	s_cmp_eq_u32 s2, 29
	s_mov_b32 s0, -1
	s_cbranch_scc0 .LBB223_1960
; %bb.1959:
	s_wait_xcnt 0x0
	v_trunc_f32_e32 v1, v10
	s_mov_b32 s0, 0
	s_mov_b32 s6, -1
	s_delay_alu instid0(VALU_DEP_1) | instskip(NEXT) | instid1(VALU_DEP_1)
	v_mul_f32_e32 v3, 0x2f800000, v1
	v_floor_f32_e32 v3, v3
	s_delay_alu instid0(VALU_DEP_1) | instskip(SKIP_1) | instid1(VALU_DEP_2)
	v_fmamk_f32 v1, v3, 0xcf800000, v1
	v_cvt_u32_f32_e32 v7, v3
	v_cvt_u32_f32_e32 v6, v1
	global_store_b64 v[4:5], v[6:7], off
.LBB223_1960:
	s_mov_b32 s7, 0
.LBB223_1961:
	s_delay_alu instid0(SALU_CYCLE_1)
	s_and_b32 vcc_lo, exec_lo, s7
	s_cbranch_vccz .LBB223_1977
; %bb.1962:
	s_cmp_lt_i32 s2, 27
	s_mov_b32 s6, -1
	s_cbranch_scc1 .LBB223_1968
; %bb.1963:
	s_cmp_gt_i32 s2, 27
	s_cbranch_scc0 .LBB223_1965
; %bb.1964:
	s_wait_xcnt 0x0
	v_cvt_u32_f32_e32 v1, v10
	s_mov_b32 s6, 0
	global_store_b32 v[4:5], v1, off
.LBB223_1965:
	s_and_not1_b32 vcc_lo, exec_lo, s6
	s_cbranch_vccnz .LBB223_1967
; %bb.1966:
	s_wait_xcnt 0x0
	v_cvt_u32_f32_e32 v1, v10
	global_store_b16 v[4:5], v1, off
.LBB223_1967:
	s_mov_b32 s6, 0
.LBB223_1968:
	s_delay_alu instid0(SALU_CYCLE_1)
	s_and_not1_b32 vcc_lo, exec_lo, s6
	s_cbranch_vccnz .LBB223_1976
; %bb.1969:
	s_wait_xcnt 0x0
	v_and_b32_e32 v1, 0x7fffffff, v10
	v_mov_b32_e32 v3, 0x80
	s_mov_b32 s6, exec_lo
	s_delay_alu instid0(VALU_DEP_2)
	v_cmpx_gt_u32_e32 0x43800000, v1
	s_cbranch_execz .LBB223_1975
; %bb.1970:
	v_cmp_lt_u32_e32 vcc_lo, 0x3bffffff, v1
	s_mov_b32 s7, 0
                                        ; implicit-def: $vgpr1
	s_and_saveexec_b32 s11, vcc_lo
	s_delay_alu instid0(SALU_CYCLE_1)
	s_xor_b32 s11, exec_lo, s11
	s_cbranch_execz .LBB223_2266
; %bb.1971:
	v_bfe_u32 v1, v10, 20, 1
	s_mov_b32 s7, exec_lo
	s_delay_alu instid0(VALU_DEP_1) | instskip(NEXT) | instid1(VALU_DEP_1)
	v_add3_u32 v1, v10, v1, 0x487ffff
	v_lshrrev_b32_e32 v1, 20, v1
	s_and_not1_saveexec_b32 s11, s11
	s_cbranch_execnz .LBB223_2267
.LBB223_1972:
	s_or_b32 exec_lo, exec_lo, s11
	v_mov_b32_e32 v3, 0
	s_and_saveexec_b32 s11, s7
.LBB223_1973:
	v_lshrrev_b32_e32 v3, 24, v10
	s_delay_alu instid0(VALU_DEP_1)
	v_and_or_b32 v3, 0x80, v3, v1
.LBB223_1974:
	s_or_b32 exec_lo, exec_lo, s11
.LBB223_1975:
	s_delay_alu instid0(SALU_CYCLE_1)
	s_or_b32 exec_lo, exec_lo, s6
	global_store_b8 v[4:5], v3, off
.LBB223_1976:
	s_mov_b32 s6, -1
.LBB223_1977:
	s_mov_b32 s7, 0
.LBB223_1978:
	s_delay_alu instid0(SALU_CYCLE_1)
	s_and_b32 vcc_lo, exec_lo, s7
	s_cbranch_vccz .LBB223_2018
; %bb.1979:
	s_cmp_gt_i32 s2, 22
	s_mov_b32 s3, -1
	s_cbranch_scc0 .LBB223_2011
; %bb.1980:
	s_cmp_lt_i32 s2, 24
	s_cbranch_scc1 .LBB223_2000
; %bb.1981:
	s_cmp_gt_i32 s2, 24
	s_cbranch_scc0 .LBB223_1989
; %bb.1982:
	s_wait_xcnt 0x0
	v_and_b32_e32 v1, 0x7fffffff, v10
	v_mov_b32_e32 v3, 0x80
	s_mov_b32 s3, exec_lo
	s_delay_alu instid0(VALU_DEP_2)
	v_cmpx_gt_u32_e32 0x47800000, v1
	s_cbranch_execz .LBB223_1988
; %bb.1983:
	v_cmp_lt_u32_e32 vcc_lo, 0x37ffffff, v1
	s_mov_b32 s6, 0
                                        ; implicit-def: $vgpr1
	s_and_saveexec_b32 s7, vcc_lo
	s_delay_alu instid0(SALU_CYCLE_1)
	s_xor_b32 s7, exec_lo, s7
	s_cbranch_execz .LBB223_2269
; %bb.1984:
	v_bfe_u32 v1, v10, 21, 1
	s_mov_b32 s6, exec_lo
	s_delay_alu instid0(VALU_DEP_1) | instskip(NEXT) | instid1(VALU_DEP_1)
	v_add3_u32 v1, v10, v1, 0x88fffff
	v_lshrrev_b32_e32 v1, 21, v1
	s_and_not1_saveexec_b32 s7, s7
	s_cbranch_execnz .LBB223_2270
.LBB223_1985:
	s_or_b32 exec_lo, exec_lo, s7
	v_mov_b32_e32 v3, 0
	s_and_saveexec_b32 s7, s6
.LBB223_1986:
	v_lshrrev_b32_e32 v3, 24, v10
	s_delay_alu instid0(VALU_DEP_1)
	v_and_or_b32 v3, 0x80, v3, v1
.LBB223_1987:
	s_or_b32 exec_lo, exec_lo, s7
.LBB223_1988:
	s_delay_alu instid0(SALU_CYCLE_1)
	s_or_b32 exec_lo, exec_lo, s3
	s_mov_b32 s3, 0
	global_store_b8 v[4:5], v3, off
.LBB223_1989:
	s_and_b32 vcc_lo, exec_lo, s3
	s_cbranch_vccz .LBB223_1999
; %bb.1990:
	s_wait_xcnt 0x0
	v_and_b32_e32 v3, 0x7fffffff, v10
	s_mov_b32 s3, exec_lo
                                        ; implicit-def: $vgpr1
	s_delay_alu instid0(VALU_DEP_1)
	v_cmpx_gt_u32_e32 0x43f00000, v3
	s_xor_b32 s3, exec_lo, s3
	s_cbranch_execz .LBB223_1996
; %bb.1991:
	s_mov_b32 s6, exec_lo
                                        ; implicit-def: $vgpr1
	v_cmpx_lt_u32_e32 0x3c7fffff, v3
	s_xor_b32 s6, exec_lo, s6
; %bb.1992:
	v_bfe_u32 v1, v10, 20, 1
	s_delay_alu instid0(VALU_DEP_1) | instskip(NEXT) | instid1(VALU_DEP_1)
	v_add3_u32 v1, v10, v1, 0x407ffff
	v_and_b32_e32 v3, 0xff00000, v1
	v_lshrrev_b32_e32 v1, 20, v1
	s_delay_alu instid0(VALU_DEP_2) | instskip(NEXT) | instid1(VALU_DEP_2)
	v_cmp_ne_u32_e32 vcc_lo, 0x7f00000, v3
	v_cndmask_b32_e32 v1, 0x7e, v1, vcc_lo
; %bb.1993:
	s_and_not1_saveexec_b32 s6, s6
; %bb.1994:
	v_add_f32_e64 v1, 0x46800000, |v10|
; %bb.1995:
	s_or_b32 exec_lo, exec_lo, s6
                                        ; implicit-def: $vgpr3
.LBB223_1996:
	s_and_not1_saveexec_b32 s3, s3
; %bb.1997:
	v_mov_b32_e32 v1, 0x7f
	v_cmp_lt_u32_e32 vcc_lo, 0x7f800000, v3
	s_delay_alu instid0(VALU_DEP_2)
	v_cndmask_b32_e32 v1, 0x7e, v1, vcc_lo
; %bb.1998:
	s_or_b32 exec_lo, exec_lo, s3
	v_lshrrev_b32_e32 v3, 24, v10
	s_delay_alu instid0(VALU_DEP_1)
	v_and_or_b32 v1, 0x80, v3, v1
	global_store_b8 v[4:5], v1, off
.LBB223_1999:
	s_mov_b32 s3, 0
.LBB223_2000:
	s_delay_alu instid0(SALU_CYCLE_1)
	s_and_not1_b32 vcc_lo, exec_lo, s3
	s_cbranch_vccnz .LBB223_2010
; %bb.2001:
	s_wait_xcnt 0x0
	v_and_b32_e32 v3, 0x7fffffff, v10
	s_mov_b32 s3, exec_lo
                                        ; implicit-def: $vgpr1
	s_delay_alu instid0(VALU_DEP_1)
	v_cmpx_gt_u32_e32 0x47800000, v3
	s_xor_b32 s3, exec_lo, s3
	s_cbranch_execz .LBB223_2007
; %bb.2002:
	s_mov_b32 s6, exec_lo
                                        ; implicit-def: $vgpr1
	v_cmpx_lt_u32_e32 0x387fffff, v3
	s_xor_b32 s6, exec_lo, s6
; %bb.2003:
	v_bfe_u32 v1, v10, 21, 1
	s_delay_alu instid0(VALU_DEP_1) | instskip(NEXT) | instid1(VALU_DEP_1)
	v_add3_u32 v1, v10, v1, 0x80fffff
	v_lshrrev_b32_e32 v1, 21, v1
; %bb.2004:
	s_and_not1_saveexec_b32 s6, s6
; %bb.2005:
	v_add_f32_e64 v1, 0x43000000, |v10|
; %bb.2006:
	s_or_b32 exec_lo, exec_lo, s6
                                        ; implicit-def: $vgpr3
.LBB223_2007:
	s_and_not1_saveexec_b32 s3, s3
; %bb.2008:
	v_mov_b32_e32 v1, 0x7f
	v_cmp_lt_u32_e32 vcc_lo, 0x7f800000, v3
	s_delay_alu instid0(VALU_DEP_2)
	v_cndmask_b32_e32 v1, 0x7c, v1, vcc_lo
; %bb.2009:
	s_or_b32 exec_lo, exec_lo, s3
	v_lshrrev_b32_e32 v3, 24, v10
	s_delay_alu instid0(VALU_DEP_1)
	v_and_or_b32 v1, 0x80, v3, v1
	global_store_b8 v[4:5], v1, off
.LBB223_2010:
	s_mov_b32 s3, 0
	s_mov_b32 s6, -1
.LBB223_2011:
	s_and_not1_b32 vcc_lo, exec_lo, s3
	s_mov_b32 s3, 0
	s_cbranch_vccnz .LBB223_2018
; %bb.2012:
	s_cmp_gt_i32 s2, 14
	s_mov_b32 s3, -1
	s_cbranch_scc0 .LBB223_2016
; %bb.2013:
	s_cmp_eq_u32 s2, 15
	s_mov_b32 s0, -1
	s_cbranch_scc0 .LBB223_2015
; %bb.2014:
	s_wait_xcnt 0x0
	v_bfe_u32 v1, v10, 16, 1
	v_cmp_o_f32_e32 vcc_lo, v10, v10
	s_mov_b32 s0, 0
	s_mov_b32 s6, -1
	s_delay_alu instid0(VALU_DEP_2) | instskip(NEXT) | instid1(VALU_DEP_1)
	v_add3_u32 v1, v10, v1, 0x7fff
	v_lshrrev_b32_e32 v1, 16, v1
	s_delay_alu instid0(VALU_DEP_1)
	v_cndmask_b32_e32 v1, 0x7fc0, v1, vcc_lo
	global_store_b16 v[4:5], v1, off
.LBB223_2015:
	s_mov_b32 s3, 0
.LBB223_2016:
	s_delay_alu instid0(SALU_CYCLE_1)
	s_and_b32 vcc_lo, exec_lo, s3
	s_mov_b32 s3, 0
	s_cbranch_vccz .LBB223_2018
; %bb.2017:
	s_cmp_lg_u32 s2, 11
	s_mov_b32 s3, -1
	s_cselect_b32 s0, -1, 0
.LBB223_2018:
	s_delay_alu instid0(SALU_CYCLE_1)
	s_and_b32 vcc_lo, exec_lo, s0
	s_cbranch_vccnz .LBB223_2268
; %bb.2019:
	s_and_not1_b32 vcc_lo, exec_lo, s3
	s_cbranch_vccnz .LBB223_2021
.LBB223_2020:
	v_cmp_neq_f32_e32 vcc_lo, 0, v10
	s_mov_b32 s6, -1
	s_wait_xcnt 0x0
	v_cndmask_b32_e64 v1, 0, 1, vcc_lo
	global_store_b8 v[4:5], v1, off
.LBB223_2021:
	s_mov_b32 s0, 0
	s_branch .LBB223_2023
.LBB223_2022:
	s_mov_b32 s0, -1
	s_mov_b32 s6, 0
.LBB223_2023:
	s_and_b32 vcc_lo, exec_lo, s0
	s_cbranch_vccz .LBB223_2062
; %bb.2024:
	s_cmp_lt_i32 s2, 5
	s_mov_b32 s0, -1
	s_cbranch_scc1 .LBB223_2045
; %bb.2025:
	s_cmp_lt_i32 s2, 8
	s_cbranch_scc1 .LBB223_2035
; %bb.2026:
	s_cmp_lt_i32 s2, 9
	s_cbranch_scc1 .LBB223_2032
; %bb.2027:
	s_cmp_gt_i32 s2, 9
	s_cbranch_scc0 .LBB223_2029
; %bb.2028:
	s_wait_xcnt 0x0
	v_cvt_f64_f32_e32 v[6:7], v10
	v_mov_b32_e32 v8, 0
	s_mov_b32 s0, 0
	s_delay_alu instid0(VALU_DEP_1)
	v_mov_b32_e32 v9, v8
	global_store_b128 v[4:5], v[6:9], off
.LBB223_2029:
	s_and_not1_b32 vcc_lo, exec_lo, s0
	s_cbranch_vccnz .LBB223_2031
; %bb.2030:
	v_mov_b32_e32 v11, 0
	global_store_b64 v[4:5], v[10:11], off
.LBB223_2031:
	s_mov_b32 s0, 0
.LBB223_2032:
	s_delay_alu instid0(SALU_CYCLE_1)
	s_and_not1_b32 vcc_lo, exec_lo, s0
	s_cbranch_vccnz .LBB223_2034
; %bb.2033:
	s_wait_xcnt 0x0
	v_cvt_f16_f32_e32 v1, v10
	s_delay_alu instid0(VALU_DEP_1)
	v_and_b32_e32 v1, 0xffff, v1
	global_store_b32 v[4:5], v1, off
.LBB223_2034:
	s_mov_b32 s0, 0
.LBB223_2035:
	s_delay_alu instid0(SALU_CYCLE_1)
	s_and_not1_b32 vcc_lo, exec_lo, s0
	s_cbranch_vccnz .LBB223_2044
; %bb.2036:
	s_cmp_lt_i32 s2, 6
	s_mov_b32 s0, -1
	s_cbranch_scc1 .LBB223_2042
; %bb.2037:
	s_cmp_gt_i32 s2, 6
	s_cbranch_scc0 .LBB223_2039
; %bb.2038:
	s_wait_xcnt 0x0
	v_cvt_f64_f32_e32 v[6:7], v10
	s_mov_b32 s0, 0
	global_store_b64 v[4:5], v[6:7], off
.LBB223_2039:
	s_and_not1_b32 vcc_lo, exec_lo, s0
	s_cbranch_vccnz .LBB223_2041
; %bb.2040:
	global_store_b32 v[4:5], v10, off
.LBB223_2041:
	s_mov_b32 s0, 0
.LBB223_2042:
	s_delay_alu instid0(SALU_CYCLE_1)
	s_and_not1_b32 vcc_lo, exec_lo, s0
	s_cbranch_vccnz .LBB223_2044
; %bb.2043:
	s_wait_xcnt 0x0
	v_cvt_f16_f32_e32 v1, v10
	global_store_b16 v[4:5], v1, off
.LBB223_2044:
	s_mov_b32 s0, 0
.LBB223_2045:
	s_delay_alu instid0(SALU_CYCLE_1)
	s_and_not1_b32 vcc_lo, exec_lo, s0
	s_cbranch_vccnz .LBB223_2061
; %bb.2046:
	s_cmp_lt_i32 s2, 2
	s_mov_b32 s0, -1
	s_cbranch_scc1 .LBB223_2056
; %bb.2047:
	s_cmp_lt_i32 s2, 3
	s_cbranch_scc1 .LBB223_2053
; %bb.2048:
	s_cmp_gt_i32 s2, 3
	s_cbranch_scc0 .LBB223_2050
; %bb.2049:
	s_wait_xcnt 0x0
	v_trunc_f32_e32 v1, v10
	s_mov_b32 s0, 0
	s_delay_alu instid0(VALU_DEP_1) | instskip(SKIP_1) | instid1(VALU_DEP_2)
	v_mul_f32_e64 v3, 0x2f800000, |v1|
	v_ashrrev_i32_e32 v6, 31, v1
	v_floor_f32_e32 v3, v3
	s_delay_alu instid0(VALU_DEP_1) | instskip(SKIP_1) | instid1(VALU_DEP_2)
	v_fma_f32 v7, 0xcf800000, v3, |v1|
	v_cvt_u32_f32_e32 v1, v3
	v_cvt_u32_f32_e32 v3, v7
	s_delay_alu instid0(VALU_DEP_2) | instskip(NEXT) | instid1(VALU_DEP_2)
	v_dual_mov_b32 v7, v6 :: v_dual_bitop2_b32 v9, v1, v6 bitop3:0x14
	v_xor_b32_e32 v8, v3, v6
	s_delay_alu instid0(VALU_DEP_1)
	v_sub_nc_u64_e32 v[6:7], v[8:9], v[6:7]
	global_store_b64 v[4:5], v[6:7], off
.LBB223_2050:
	s_and_not1_b32 vcc_lo, exec_lo, s0
	s_cbranch_vccnz .LBB223_2052
; %bb.2051:
	s_wait_xcnt 0x0
	v_cvt_i32_f32_e32 v1, v10
	global_store_b32 v[4:5], v1, off
.LBB223_2052:
	s_mov_b32 s0, 0
.LBB223_2053:
	s_delay_alu instid0(SALU_CYCLE_1)
	s_and_not1_b32 vcc_lo, exec_lo, s0
	s_cbranch_vccnz .LBB223_2055
; %bb.2054:
	s_wait_xcnt 0x0
	v_cvt_i32_f32_e32 v1, v10
	global_store_b16 v[4:5], v1, off
.LBB223_2055:
	s_mov_b32 s0, 0
.LBB223_2056:
	s_delay_alu instid0(SALU_CYCLE_1)
	s_and_not1_b32 vcc_lo, exec_lo, s0
	s_cbranch_vccnz .LBB223_2061
; %bb.2057:
	s_cmp_gt_i32 s2, 0
	s_mov_b32 s0, -1
	s_cbranch_scc0 .LBB223_2059
; %bb.2058:
	s_wait_xcnt 0x0
	v_cvt_i32_f32_e32 v1, v10
	s_mov_b32 s0, 0
	global_store_b8 v[4:5], v1, off
.LBB223_2059:
	s_and_not1_b32 vcc_lo, exec_lo, s0
	s_cbranch_vccnz .LBB223_2061
; %bb.2060:
	s_wait_xcnt 0x0
	v_trunc_f32_e32 v1, v10
	s_delay_alu instid0(VALU_DEP_1) | instskip(NEXT) | instid1(VALU_DEP_1)
	v_mul_f32_e64 v3, 0x2f800000, |v1|
	v_floor_f32_e32 v3, v3
	s_delay_alu instid0(VALU_DEP_1) | instskip(SKIP_1) | instid1(VALU_DEP_2)
	v_fma_f32 v3, 0xcf800000, v3, |v1|
	v_ashrrev_i32_e32 v1, 31, v1
	v_cvt_u32_f32_e32 v3, v3
	s_delay_alu instid0(VALU_DEP_1) | instskip(NEXT) | instid1(VALU_DEP_1)
	v_xor_b32_e32 v3, v3, v1
	v_sub_nc_u32_e32 v1, v3, v1
	global_store_b8 v[4:5], v1, off
.LBB223_2061:
	s_mov_b32 s6, -1
.LBB223_2062:
	s_delay_alu instid0(SALU_CYCLE_1)
	s_and_not1_b32 vcc_lo, exec_lo, s6
	s_cbranch_vccnz .LBB223_2258
; %bb.2063:
	s_wait_xcnt 0x0
	v_mov_b32_e32 v3, 0
	s_cmp_lt_i32 s2, 11
	s_delay_alu instid0(VALU_DEP_1)
	v_add_nc_u64_e32 v[2:3], s[4:5], v[2:3]
	s_cbranch_scc1 .LBB223_2141
; %bb.2064:
	s_mov_b32 s7, -1
	s_mov_b32 s3, 0
	s_cmp_gt_i32 s2, 25
	s_mov_b32 s6, 0
	s_mov_b32 s0, 0
	s_cbranch_scc0 .LBB223_2097
; %bb.2065:
	s_cmp_gt_i32 s2, 28
	s_cbranch_scc0 .LBB223_2080
; %bb.2066:
	s_cmp_gt_i32 s2, 43
	;; [unrolled: 3-line block ×3, first 2 shown]
	s_cbranch_scc0 .LBB223_2070
; %bb.2068:
	s_mov_b32 s0, -1
	s_mov_b32 s7, 0
	s_cmp_eq_u32 s2, 46
	s_cbranch_scc0 .LBB223_2070
; %bb.2069:
	v_bfe_u32 v1, v14, 16, 1
	v_cmp_o_f32_e32 vcc_lo, v14, v14
	s_mov_b32 s0, 0
	s_mov_b32 s6, -1
	s_delay_alu instid0(VALU_DEP_2) | instskip(NEXT) | instid1(VALU_DEP_1)
	v_add3_u32 v1, v14, v1, 0x7fff
	v_lshrrev_b32_e32 v1, 16, v1
	s_delay_alu instid0(VALU_DEP_1)
	v_cndmask_b32_e32 v1, 0x7fc0, v1, vcc_lo
	global_store_b32 v[2:3], v1, off
.LBB223_2070:
	s_and_b32 vcc_lo, exec_lo, s7
	s_cbranch_vccz .LBB223_2075
; %bb.2071:
	s_cmp_eq_u32 s2, 44
	s_mov_b32 s0, -1
	s_cbranch_scc0 .LBB223_2075
; %bb.2072:
	v_bfe_u32 v4, v14, 23, 8
	s_wait_xcnt 0x0
	v_mov_b32_e32 v1, 0xff
	s_mov_b32 s6, exec_lo
	s_delay_alu instid0(VALU_DEP_2)
	v_cmpx_ne_u32_e32 0xff, v4
	s_cbranch_execz .LBB223_2074
; %bb.2073:
	v_and_b32_e32 v1, 0x400000, v14
	v_and_or_b32 v4, 0x3fffff, v14, v4
	s_delay_alu instid0(VALU_DEP_2) | instskip(NEXT) | instid1(VALU_DEP_2)
	v_cmp_ne_u32_e32 vcc_lo, 0, v1
	v_cmp_ne_u32_e64 s0, 0, v4
	v_lshrrev_b32_e32 v1, 23, v14
	s_and_b32 s0, vcc_lo, s0
	s_delay_alu instid0(SALU_CYCLE_1) | instskip(NEXT) | instid1(VALU_DEP_1)
	v_cndmask_b32_e64 v4, 0, 1, s0
	v_add_nc_u32_e32 v1, v1, v4
.LBB223_2074:
	s_or_b32 exec_lo, exec_lo, s6
	s_mov_b32 s0, 0
	s_mov_b32 s6, -1
	global_store_b8 v[2:3], v1, off
.LBB223_2075:
	s_mov_b32 s7, 0
.LBB223_2076:
	s_delay_alu instid0(SALU_CYCLE_1)
	s_and_b32 vcc_lo, exec_lo, s7
	s_cbranch_vccz .LBB223_2079
; %bb.2077:
	s_cmp_eq_u32 s2, 29
	s_mov_b32 s0, -1
	s_cbranch_scc0 .LBB223_2079
; %bb.2078:
	s_wait_xcnt 0x0
	v_trunc_f32_e32 v1, v14
	s_mov_b32 s0, 0
	s_mov_b32 s6, -1
	s_delay_alu instid0(VALU_DEP_1) | instskip(NEXT) | instid1(VALU_DEP_1)
	v_mul_f32_e32 v4, 0x2f800000, v1
	v_floor_f32_e32 v4, v4
	s_delay_alu instid0(VALU_DEP_1) | instskip(SKIP_1) | instid1(VALU_DEP_2)
	v_fmamk_f32 v1, v4, 0xcf800000, v1
	v_cvt_u32_f32_e32 v5, v4
	v_cvt_u32_f32_e32 v4, v1
	global_store_b64 v[2:3], v[4:5], off
.LBB223_2079:
	s_mov_b32 s7, 0
.LBB223_2080:
	s_delay_alu instid0(SALU_CYCLE_1)
	s_and_b32 vcc_lo, exec_lo, s7
	s_cbranch_vccz .LBB223_2096
; %bb.2081:
	s_cmp_lt_i32 s2, 27
	s_mov_b32 s6, -1
	s_cbranch_scc1 .LBB223_2087
; %bb.2082:
	s_wait_xcnt 0x0
	v_cvt_u32_f32_e32 v1, v14
	s_cmp_gt_i32 s2, 27
	s_cbranch_scc0 .LBB223_2084
; %bb.2083:
	s_mov_b32 s6, 0
	global_store_b32 v[2:3], v1, off
.LBB223_2084:
	s_and_not1_b32 vcc_lo, exec_lo, s6
	s_cbranch_vccnz .LBB223_2086
; %bb.2085:
	global_store_b16 v[2:3], v1, off
.LBB223_2086:
	s_mov_b32 s6, 0
.LBB223_2087:
	s_delay_alu instid0(SALU_CYCLE_1)
	s_and_not1_b32 vcc_lo, exec_lo, s6
	s_cbranch_vccnz .LBB223_2095
; %bb.2088:
	s_wait_xcnt 0x0
	v_and_b32_e32 v1, 0x7fffffff, v14
	v_mov_b32_e32 v4, 0x80
	s_mov_b32 s6, exec_lo
	s_delay_alu instid0(VALU_DEP_2)
	v_cmpx_gt_u32_e32 0x43800000, v1
	s_cbranch_execz .LBB223_2094
; %bb.2089:
	v_cmp_lt_u32_e32 vcc_lo, 0x3bffffff, v1
	s_mov_b32 s7, 0
                                        ; implicit-def: $vgpr1
	s_and_saveexec_b32 s11, vcc_lo
	s_delay_alu instid0(SALU_CYCLE_1)
	s_xor_b32 s11, exec_lo, s11
	s_cbranch_execz .LBB223_2271
; %bb.2090:
	v_bfe_u32 v1, v14, 20, 1
	s_mov_b32 s7, exec_lo
	s_delay_alu instid0(VALU_DEP_1) | instskip(NEXT) | instid1(VALU_DEP_1)
	v_add3_u32 v1, v14, v1, 0x487ffff
	v_lshrrev_b32_e32 v1, 20, v1
	s_and_not1_saveexec_b32 s11, s11
	s_cbranch_execnz .LBB223_2272
.LBB223_2091:
	s_or_b32 exec_lo, exec_lo, s11
	v_mov_b32_e32 v4, 0
	s_and_saveexec_b32 s11, s7
.LBB223_2092:
	v_lshrrev_b32_e32 v4, 24, v14
	s_delay_alu instid0(VALU_DEP_1)
	v_and_or_b32 v4, 0x80, v4, v1
.LBB223_2093:
	s_or_b32 exec_lo, exec_lo, s11
.LBB223_2094:
	s_delay_alu instid0(SALU_CYCLE_1)
	s_or_b32 exec_lo, exec_lo, s6
	global_store_b8 v[2:3], v4, off
.LBB223_2095:
	s_mov_b32 s6, -1
.LBB223_2096:
	s_mov_b32 s7, 0
.LBB223_2097:
	s_delay_alu instid0(SALU_CYCLE_1)
	s_and_b32 vcc_lo, exec_lo, s7
	s_cbranch_vccz .LBB223_2137
; %bb.2098:
	s_cmp_gt_i32 s2, 22
	s_mov_b32 s3, -1
	s_cbranch_scc0 .LBB223_2130
; %bb.2099:
	s_cmp_lt_i32 s2, 24
	s_cbranch_scc1 .LBB223_2119
; %bb.2100:
	s_cmp_gt_i32 s2, 24
	s_cbranch_scc0 .LBB223_2108
; %bb.2101:
	s_wait_xcnt 0x0
	v_and_b32_e32 v1, 0x7fffffff, v14
	v_mov_b32_e32 v4, 0x80
	s_mov_b32 s3, exec_lo
	s_delay_alu instid0(VALU_DEP_2)
	v_cmpx_gt_u32_e32 0x47800000, v1
	s_cbranch_execz .LBB223_2107
; %bb.2102:
	v_cmp_lt_u32_e32 vcc_lo, 0x37ffffff, v1
	s_mov_b32 s6, 0
                                        ; implicit-def: $vgpr1
	s_and_saveexec_b32 s7, vcc_lo
	s_delay_alu instid0(SALU_CYCLE_1)
	s_xor_b32 s7, exec_lo, s7
	s_cbranch_execz .LBB223_2274
; %bb.2103:
	v_bfe_u32 v1, v14, 21, 1
	s_mov_b32 s6, exec_lo
	s_delay_alu instid0(VALU_DEP_1) | instskip(NEXT) | instid1(VALU_DEP_1)
	v_add3_u32 v1, v14, v1, 0x88fffff
	v_lshrrev_b32_e32 v1, 21, v1
	s_and_not1_saveexec_b32 s7, s7
	s_cbranch_execnz .LBB223_2275
.LBB223_2104:
	s_or_b32 exec_lo, exec_lo, s7
	v_mov_b32_e32 v4, 0
	s_and_saveexec_b32 s7, s6
.LBB223_2105:
	v_lshrrev_b32_e32 v4, 24, v14
	s_delay_alu instid0(VALU_DEP_1)
	v_and_or_b32 v4, 0x80, v4, v1
.LBB223_2106:
	s_or_b32 exec_lo, exec_lo, s7
.LBB223_2107:
	s_delay_alu instid0(SALU_CYCLE_1)
	s_or_b32 exec_lo, exec_lo, s3
	s_mov_b32 s3, 0
	global_store_b8 v[2:3], v4, off
.LBB223_2108:
	s_and_b32 vcc_lo, exec_lo, s3
	s_cbranch_vccz .LBB223_2118
; %bb.2109:
	s_wait_xcnt 0x0
	v_and_b32_e32 v4, 0x7fffffff, v14
	s_mov_b32 s3, exec_lo
                                        ; implicit-def: $vgpr1
	s_delay_alu instid0(VALU_DEP_1)
	v_cmpx_gt_u32_e32 0x43f00000, v4
	s_xor_b32 s3, exec_lo, s3
	s_cbranch_execz .LBB223_2115
; %bb.2110:
	s_mov_b32 s6, exec_lo
                                        ; implicit-def: $vgpr1
	v_cmpx_lt_u32_e32 0x3c7fffff, v4
	s_xor_b32 s6, exec_lo, s6
; %bb.2111:
	v_bfe_u32 v1, v14, 20, 1
	s_delay_alu instid0(VALU_DEP_1) | instskip(NEXT) | instid1(VALU_DEP_1)
	v_add3_u32 v1, v14, v1, 0x407ffff
	v_and_b32_e32 v4, 0xff00000, v1
	v_lshrrev_b32_e32 v1, 20, v1
	s_delay_alu instid0(VALU_DEP_2) | instskip(NEXT) | instid1(VALU_DEP_2)
	v_cmp_ne_u32_e32 vcc_lo, 0x7f00000, v4
	v_cndmask_b32_e32 v1, 0x7e, v1, vcc_lo
; %bb.2112:
	s_and_not1_saveexec_b32 s6, s6
; %bb.2113:
	v_add_f32_e64 v1, 0x46800000, |v14|
; %bb.2114:
	s_or_b32 exec_lo, exec_lo, s6
                                        ; implicit-def: $vgpr4
.LBB223_2115:
	s_and_not1_saveexec_b32 s3, s3
; %bb.2116:
	v_mov_b32_e32 v1, 0x7f
	v_cmp_lt_u32_e32 vcc_lo, 0x7f800000, v4
	s_delay_alu instid0(VALU_DEP_2)
	v_cndmask_b32_e32 v1, 0x7e, v1, vcc_lo
; %bb.2117:
	s_or_b32 exec_lo, exec_lo, s3
	v_lshrrev_b32_e32 v4, 24, v14
	s_delay_alu instid0(VALU_DEP_1)
	v_and_or_b32 v1, 0x80, v4, v1
	global_store_b8 v[2:3], v1, off
.LBB223_2118:
	s_mov_b32 s3, 0
.LBB223_2119:
	s_delay_alu instid0(SALU_CYCLE_1)
	s_and_not1_b32 vcc_lo, exec_lo, s3
	s_cbranch_vccnz .LBB223_2129
; %bb.2120:
	s_wait_xcnt 0x0
	v_and_b32_e32 v4, 0x7fffffff, v14
	s_mov_b32 s3, exec_lo
                                        ; implicit-def: $vgpr1
	s_delay_alu instid0(VALU_DEP_1)
	v_cmpx_gt_u32_e32 0x47800000, v4
	s_xor_b32 s3, exec_lo, s3
	s_cbranch_execz .LBB223_2126
; %bb.2121:
	s_mov_b32 s6, exec_lo
                                        ; implicit-def: $vgpr1
	v_cmpx_lt_u32_e32 0x387fffff, v4
	s_xor_b32 s6, exec_lo, s6
; %bb.2122:
	v_bfe_u32 v1, v14, 21, 1
	s_delay_alu instid0(VALU_DEP_1) | instskip(NEXT) | instid1(VALU_DEP_1)
	v_add3_u32 v1, v14, v1, 0x80fffff
	v_lshrrev_b32_e32 v1, 21, v1
; %bb.2123:
	s_and_not1_saveexec_b32 s6, s6
; %bb.2124:
	v_add_f32_e64 v1, 0x43000000, |v14|
; %bb.2125:
	s_or_b32 exec_lo, exec_lo, s6
                                        ; implicit-def: $vgpr4
.LBB223_2126:
	s_and_not1_saveexec_b32 s3, s3
; %bb.2127:
	v_mov_b32_e32 v1, 0x7f
	v_cmp_lt_u32_e32 vcc_lo, 0x7f800000, v4
	s_delay_alu instid0(VALU_DEP_2)
	v_cndmask_b32_e32 v1, 0x7c, v1, vcc_lo
; %bb.2128:
	s_or_b32 exec_lo, exec_lo, s3
	v_lshrrev_b32_e32 v4, 24, v14
	s_delay_alu instid0(VALU_DEP_1)
	v_and_or_b32 v1, 0x80, v4, v1
	global_store_b8 v[2:3], v1, off
.LBB223_2129:
	s_mov_b32 s3, 0
	s_mov_b32 s6, -1
.LBB223_2130:
	s_and_not1_b32 vcc_lo, exec_lo, s3
	s_mov_b32 s3, 0
	s_cbranch_vccnz .LBB223_2137
; %bb.2131:
	s_cmp_gt_i32 s2, 14
	s_mov_b32 s3, -1
	s_cbranch_scc0 .LBB223_2135
; %bb.2132:
	s_cmp_eq_u32 s2, 15
	s_mov_b32 s0, -1
	s_cbranch_scc0 .LBB223_2134
; %bb.2133:
	s_wait_xcnt 0x0
	v_bfe_u32 v1, v14, 16, 1
	v_cmp_o_f32_e32 vcc_lo, v14, v14
	s_mov_b32 s0, 0
	s_mov_b32 s6, -1
	s_delay_alu instid0(VALU_DEP_2) | instskip(NEXT) | instid1(VALU_DEP_1)
	v_add3_u32 v1, v14, v1, 0x7fff
	v_lshrrev_b32_e32 v1, 16, v1
	s_delay_alu instid0(VALU_DEP_1)
	v_cndmask_b32_e32 v1, 0x7fc0, v1, vcc_lo
	global_store_b16 v[2:3], v1, off
.LBB223_2134:
	s_mov_b32 s3, 0
.LBB223_2135:
	s_delay_alu instid0(SALU_CYCLE_1)
	s_and_b32 vcc_lo, exec_lo, s3
	s_mov_b32 s3, 0
	s_cbranch_vccz .LBB223_2137
; %bb.2136:
	s_cmp_lg_u32 s2, 11
	s_mov_b32 s3, -1
	s_cselect_b32 s0, -1, 0
.LBB223_2137:
	s_delay_alu instid0(SALU_CYCLE_1)
	s_and_b32 vcc_lo, exec_lo, s0
	s_cbranch_vccnz .LBB223_2273
; %bb.2138:
	s_and_not1_b32 vcc_lo, exec_lo, s3
	s_cbranch_vccnz .LBB223_2140
.LBB223_2139:
	v_cmp_neq_f32_e32 vcc_lo, 0, v14
	s_mov_b32 s6, -1
	s_wait_xcnt 0x0
	v_cndmask_b32_e64 v1, 0, 1, vcc_lo
	global_store_b8 v[2:3], v1, off
.LBB223_2140:
	s_mov_b32 s0, 0
	s_branch .LBB223_2142
.LBB223_2141:
	s_mov_b32 s0, -1
	s_mov_b32 s6, 0
.LBB223_2142:
	s_and_b32 vcc_lo, exec_lo, s0
	s_cbranch_vccz .LBB223_2181
; %bb.2143:
	s_cmp_lt_i32 s2, 5
	s_mov_b32 s0, -1
	s_cbranch_scc1 .LBB223_2164
; %bb.2144:
	s_cmp_lt_i32 s2, 8
	s_cbranch_scc1 .LBB223_2154
; %bb.2145:
	s_cmp_lt_i32 s2, 9
	s_cbranch_scc1 .LBB223_2151
; %bb.2146:
	s_cmp_gt_i32 s2, 9
	s_cbranch_scc0 .LBB223_2148
; %bb.2147:
	s_wait_xcnt 0x0
	v_cvt_f64_f32_e32 v[4:5], v14
	v_mov_b32_e32 v6, 0
	s_mov_b32 s0, 0
	s_delay_alu instid0(VALU_DEP_1)
	v_mov_b32_e32 v7, v6
	global_store_b128 v[2:3], v[4:7], off
.LBB223_2148:
	s_and_not1_b32 vcc_lo, exec_lo, s0
	s_cbranch_vccnz .LBB223_2150
; %bb.2149:
	v_mov_b32_e32 v15, 0
	global_store_b64 v[2:3], v[14:15], off
.LBB223_2150:
	s_mov_b32 s0, 0
.LBB223_2151:
	s_delay_alu instid0(SALU_CYCLE_1)
	s_and_not1_b32 vcc_lo, exec_lo, s0
	s_cbranch_vccnz .LBB223_2153
; %bb.2152:
	s_wait_xcnt 0x0
	v_cvt_f16_f32_e32 v1, v14
	s_delay_alu instid0(VALU_DEP_1)
	v_and_b32_e32 v1, 0xffff, v1
	global_store_b32 v[2:3], v1, off
.LBB223_2153:
	s_mov_b32 s0, 0
.LBB223_2154:
	s_delay_alu instid0(SALU_CYCLE_1)
	s_and_not1_b32 vcc_lo, exec_lo, s0
	s_cbranch_vccnz .LBB223_2163
; %bb.2155:
	s_cmp_lt_i32 s2, 6
	s_mov_b32 s0, -1
	s_cbranch_scc1 .LBB223_2161
; %bb.2156:
	s_cmp_gt_i32 s2, 6
	s_cbranch_scc0 .LBB223_2158
; %bb.2157:
	s_wait_xcnt 0x0
	v_cvt_f64_f32_e32 v[4:5], v14
	s_mov_b32 s0, 0
	global_store_b64 v[2:3], v[4:5], off
.LBB223_2158:
	s_and_not1_b32 vcc_lo, exec_lo, s0
	s_cbranch_vccnz .LBB223_2160
; %bb.2159:
	global_store_b32 v[2:3], v14, off
.LBB223_2160:
	s_mov_b32 s0, 0
.LBB223_2161:
	s_delay_alu instid0(SALU_CYCLE_1)
	s_and_not1_b32 vcc_lo, exec_lo, s0
	s_cbranch_vccnz .LBB223_2163
; %bb.2162:
	s_wait_xcnt 0x0
	v_cvt_f16_f32_e32 v1, v14
	global_store_b16 v[2:3], v1, off
.LBB223_2163:
	s_mov_b32 s0, 0
.LBB223_2164:
	s_delay_alu instid0(SALU_CYCLE_1)
	s_and_not1_b32 vcc_lo, exec_lo, s0
	s_cbranch_vccnz .LBB223_2180
; %bb.2165:
	s_cmp_lt_i32 s2, 2
	s_mov_b32 s0, -1
	s_cbranch_scc1 .LBB223_2175
; %bb.2166:
	s_cmp_lt_i32 s2, 3
	s_cbranch_scc1 .LBB223_2172
; %bb.2167:
	s_cmp_gt_i32 s2, 3
	s_cbranch_scc0 .LBB223_2169
; %bb.2168:
	s_wait_xcnt 0x0
	v_trunc_f32_e32 v1, v14
	s_mov_b32 s0, 0
	s_delay_alu instid0(VALU_DEP_1) | instskip(NEXT) | instid1(VALU_DEP_1)
	v_mul_f32_e64 v4, 0x2f800000, |v1|
	v_floor_f32_e32 v5, v4
	v_ashrrev_i32_e32 v4, 31, v1
	s_delay_alu instid0(VALU_DEP_2) | instskip(SKIP_1) | instid1(VALU_DEP_3)
	v_fma_f32 v6, 0xcf800000, v5, |v1|
	v_cvt_u32_f32_e32 v1, v5
	v_mov_b32_e32 v5, v4
	s_delay_alu instid0(VALU_DEP_3) | instskip(NEXT) | instid1(VALU_DEP_3)
	v_cvt_u32_f32_e32 v6, v6
	v_xor_b32_e32 v7, v1, v4
	s_delay_alu instid0(VALU_DEP_2) | instskip(NEXT) | instid1(VALU_DEP_1)
	v_xor_b32_e32 v6, v6, v4
	v_sub_nc_u64_e32 v[4:5], v[6:7], v[4:5]
	global_store_b64 v[2:3], v[4:5], off
.LBB223_2169:
	s_and_not1_b32 vcc_lo, exec_lo, s0
	s_cbranch_vccnz .LBB223_2171
; %bb.2170:
	s_wait_xcnt 0x0
	v_cvt_i32_f32_e32 v1, v14
	global_store_b32 v[2:3], v1, off
.LBB223_2171:
	s_mov_b32 s0, 0
.LBB223_2172:
	s_delay_alu instid0(SALU_CYCLE_1)
	s_and_not1_b32 vcc_lo, exec_lo, s0
	s_cbranch_vccnz .LBB223_2174
; %bb.2173:
	s_wait_xcnt 0x0
	v_cvt_i32_f32_e32 v1, v14
	global_store_b16 v[2:3], v1, off
.LBB223_2174:
	s_mov_b32 s0, 0
.LBB223_2175:
	s_delay_alu instid0(SALU_CYCLE_1)
	s_and_not1_b32 vcc_lo, exec_lo, s0
	s_cbranch_vccnz .LBB223_2180
; %bb.2176:
	s_cmp_gt_i32 s2, 0
	s_mov_b32 s0, -1
	s_cbranch_scc0 .LBB223_2178
; %bb.2177:
	s_wait_xcnt 0x0
	v_cvt_i32_f32_e32 v1, v14
	s_mov_b32 s0, 0
	global_store_b8 v[2:3], v1, off
.LBB223_2178:
	s_and_not1_b32 vcc_lo, exec_lo, s0
	s_cbranch_vccnz .LBB223_2180
; %bb.2179:
	s_wait_xcnt 0x0
	v_trunc_f32_e32 v1, v14
	s_delay_alu instid0(VALU_DEP_1) | instskip(NEXT) | instid1(VALU_DEP_1)
	v_mul_f32_e64 v4, 0x2f800000, |v1|
	v_floor_f32_e32 v4, v4
	s_delay_alu instid0(VALU_DEP_1) | instskip(SKIP_1) | instid1(VALU_DEP_2)
	v_fma_f32 v4, 0xcf800000, v4, |v1|
	v_ashrrev_i32_e32 v1, 31, v1
	v_cvt_u32_f32_e32 v4, v4
	s_delay_alu instid0(VALU_DEP_1) | instskip(NEXT) | instid1(VALU_DEP_1)
	v_xor_b32_e32 v4, v4, v1
	v_sub_nc_u32_e32 v1, v4, v1
	global_store_b8 v[2:3], v1, off
.LBB223_2180:
	s_mov_b32 s6, -1
.LBB223_2181:
	s_delay_alu instid0(SALU_CYCLE_1)
	s_and_not1_b32 vcc_lo, exec_lo, s6
	s_cbranch_vccnz .LBB223_2258
; %bb.2182:
	s_wait_xcnt 0x0
	v_mov_b32_e32 v1, 0
	s_cmp_lt_i32 s2, 11
	s_delay_alu instid0(VALU_DEP_1)
	v_add_nc_u64_e32 v[2:3], s[4:5], v[0:1]
	s_cbranch_scc1 .LBB223_2259
; %bb.2183:
	s_mov_b32 s4, -1
	s_mov_b32 s3, 0
	s_cmp_gt_i32 s2, 25
	s_mov_b32 s0, 0
	s_cbranch_scc0 .LBB223_2216
; %bb.2184:
	s_cmp_gt_i32 s2, 28
	s_cbranch_scc0 .LBB223_2200
; %bb.2185:
	s_cmp_gt_i32 s2, 43
	;; [unrolled: 3-line block ×3, first 2 shown]
	s_cbranch_scc0 .LBB223_2190
; %bb.2187:
	s_cmp_eq_u32 s2, 46
	s_mov_b32 s0, -1
	s_cbranch_scc0 .LBB223_2189
; %bb.2188:
	v_bfe_u32 v0, v12, 16, 1
	v_cmp_o_f32_e32 vcc_lo, v12, v12
	s_mov_b32 s0, 0
	s_delay_alu instid0(VALU_DEP_2) | instskip(NEXT) | instid1(VALU_DEP_1)
	v_add3_u32 v0, v12, v0, 0x7fff
	v_lshrrev_b32_e32 v0, 16, v0
	s_delay_alu instid0(VALU_DEP_1)
	v_cndmask_b32_e32 v0, 0x7fc0, v0, vcc_lo
	global_store_b32 v[2:3], v0, off
.LBB223_2189:
	s_mov_b32 s4, 0
.LBB223_2190:
	s_delay_alu instid0(SALU_CYCLE_1)
	s_and_b32 vcc_lo, exec_lo, s4
	s_cbranch_vccz .LBB223_2195
; %bb.2191:
	s_cmp_eq_u32 s2, 44
	s_mov_b32 s0, -1
	s_cbranch_scc0 .LBB223_2195
; %bb.2192:
	v_bfe_u32 v1, v12, 23, 8
	s_wait_xcnt 0x0
	v_mov_b32_e32 v0, 0xff
	s_mov_b32 s4, exec_lo
	s_delay_alu instid0(VALU_DEP_2)
	v_cmpx_ne_u32_e32 0xff, v1
	s_cbranch_execz .LBB223_2194
; %bb.2193:
	v_and_b32_e32 v0, 0x400000, v12
	v_and_or_b32 v1, 0x3fffff, v12, v1
	s_delay_alu instid0(VALU_DEP_2) | instskip(NEXT) | instid1(VALU_DEP_2)
	v_cmp_ne_u32_e32 vcc_lo, 0, v0
	v_cmp_ne_u32_e64 s0, 0, v1
	v_lshrrev_b32_e32 v0, 23, v12
	s_and_b32 s0, vcc_lo, s0
	s_delay_alu instid0(SALU_CYCLE_1) | instskip(NEXT) | instid1(VALU_DEP_1)
	v_cndmask_b32_e64 v1, 0, 1, s0
	v_add_nc_u32_e32 v0, v0, v1
.LBB223_2194:
	s_or_b32 exec_lo, exec_lo, s4
	s_mov_b32 s0, 0
	global_store_b8 v[2:3], v0, off
.LBB223_2195:
	s_mov_b32 s4, 0
.LBB223_2196:
	s_delay_alu instid0(SALU_CYCLE_1)
	s_and_b32 vcc_lo, exec_lo, s4
	s_cbranch_vccz .LBB223_2199
; %bb.2197:
	s_cmp_eq_u32 s2, 29
	s_mov_b32 s0, -1
	s_cbranch_scc0 .LBB223_2199
; %bb.2198:
	s_wait_xcnt 0x0
	v_trunc_f32_e32 v0, v12
	s_mov_b32 s0, 0
	s_delay_alu instid0(VALU_DEP_1) | instskip(NEXT) | instid1(VALU_DEP_1)
	v_mul_f32_e32 v1, 0x2f800000, v0
	v_floor_f32_e32 v1, v1
	s_delay_alu instid0(VALU_DEP_1) | instskip(SKIP_1) | instid1(VALU_DEP_2)
	v_fmamk_f32 v0, v1, 0xcf800000, v0
	v_cvt_u32_f32_e32 v1, v1
	v_cvt_u32_f32_e32 v0, v0
	global_store_b64 v[2:3], v[0:1], off
.LBB223_2199:
	s_mov_b32 s4, 0
.LBB223_2200:
	s_delay_alu instid0(SALU_CYCLE_1)
	s_and_b32 vcc_lo, exec_lo, s4
	s_cbranch_vccz .LBB223_2215
; %bb.2201:
	s_cmp_lt_i32 s2, 27
	s_mov_b32 s4, -1
	s_cbranch_scc1 .LBB223_2207
; %bb.2202:
	s_cmp_gt_i32 s2, 27
	s_cbranch_scc0 .LBB223_2204
; %bb.2203:
	s_wait_xcnt 0x0
	v_cvt_u32_f32_e32 v0, v12
	s_mov_b32 s4, 0
	global_store_b32 v[2:3], v0, off
.LBB223_2204:
	s_and_not1_b32 vcc_lo, exec_lo, s4
	s_cbranch_vccnz .LBB223_2206
; %bb.2205:
	s_wait_xcnt 0x0
	v_cvt_u32_f32_e32 v0, v12
	global_store_b16 v[2:3], v0, off
.LBB223_2206:
	s_mov_b32 s4, 0
.LBB223_2207:
	s_delay_alu instid0(SALU_CYCLE_1)
	s_and_not1_b32 vcc_lo, exec_lo, s4
	s_cbranch_vccnz .LBB223_2215
; %bb.2208:
	s_wait_xcnt 0x0
	v_and_b32_e32 v0, 0x7fffffff, v12
	v_mov_b32_e32 v1, 0x80
	s_mov_b32 s4, exec_lo
	s_delay_alu instid0(VALU_DEP_2)
	v_cmpx_gt_u32_e32 0x43800000, v0
	s_cbranch_execz .LBB223_2214
; %bb.2209:
	v_cmp_lt_u32_e32 vcc_lo, 0x3bffffff, v0
	s_mov_b32 s5, 0
                                        ; implicit-def: $vgpr0
	s_and_saveexec_b32 s6, vcc_lo
	s_delay_alu instid0(SALU_CYCLE_1)
	s_xor_b32 s6, exec_lo, s6
	s_cbranch_execz .LBB223_2276
; %bb.2210:
	v_bfe_u32 v0, v12, 20, 1
	s_mov_b32 s5, exec_lo
	s_delay_alu instid0(VALU_DEP_1) | instskip(NEXT) | instid1(VALU_DEP_1)
	v_add3_u32 v0, v12, v0, 0x487ffff
	v_lshrrev_b32_e32 v0, 20, v0
	s_and_not1_saveexec_b32 s6, s6
	s_cbranch_execnz .LBB223_2277
.LBB223_2211:
	s_or_b32 exec_lo, exec_lo, s6
	v_mov_b32_e32 v1, 0
	s_and_saveexec_b32 s6, s5
.LBB223_2212:
	v_lshrrev_b32_e32 v1, 24, v12
	s_delay_alu instid0(VALU_DEP_1)
	v_and_or_b32 v1, 0x80, v1, v0
.LBB223_2213:
	s_or_b32 exec_lo, exec_lo, s6
.LBB223_2214:
	s_delay_alu instid0(SALU_CYCLE_1)
	s_or_b32 exec_lo, exec_lo, s4
	global_store_b8 v[2:3], v1, off
.LBB223_2215:
	s_mov_b32 s4, 0
.LBB223_2216:
	s_delay_alu instid0(SALU_CYCLE_1)
	s_and_b32 vcc_lo, exec_lo, s4
	s_cbranch_vccz .LBB223_2256
; %bb.2217:
	s_cmp_gt_i32 s2, 22
	s_mov_b32 s3, -1
	s_cbranch_scc0 .LBB223_2249
; %bb.2218:
	s_cmp_lt_i32 s2, 24
	s_cbranch_scc1 .LBB223_2238
; %bb.2219:
	s_cmp_gt_i32 s2, 24
	s_cbranch_scc0 .LBB223_2227
; %bb.2220:
	s_wait_xcnt 0x0
	v_and_b32_e32 v0, 0x7fffffff, v12
	v_mov_b32_e32 v1, 0x80
	s_mov_b32 s3, exec_lo
	s_delay_alu instid0(VALU_DEP_2)
	v_cmpx_gt_u32_e32 0x47800000, v0
	s_cbranch_execz .LBB223_2226
; %bb.2221:
	v_cmp_lt_u32_e32 vcc_lo, 0x37ffffff, v0
	s_mov_b32 s4, 0
                                        ; implicit-def: $vgpr0
	s_and_saveexec_b32 s5, vcc_lo
	s_delay_alu instid0(SALU_CYCLE_1)
	s_xor_b32 s5, exec_lo, s5
	s_cbranch_execz .LBB223_2279
; %bb.2222:
	v_bfe_u32 v0, v12, 21, 1
	s_mov_b32 s4, exec_lo
	s_delay_alu instid0(VALU_DEP_1) | instskip(NEXT) | instid1(VALU_DEP_1)
	v_add3_u32 v0, v12, v0, 0x88fffff
	v_lshrrev_b32_e32 v0, 21, v0
	s_and_not1_saveexec_b32 s5, s5
	s_cbranch_execnz .LBB223_2280
.LBB223_2223:
	s_or_b32 exec_lo, exec_lo, s5
	v_mov_b32_e32 v1, 0
	s_and_saveexec_b32 s5, s4
.LBB223_2224:
	v_lshrrev_b32_e32 v1, 24, v12
	s_delay_alu instid0(VALU_DEP_1)
	v_and_or_b32 v1, 0x80, v1, v0
.LBB223_2225:
	s_or_b32 exec_lo, exec_lo, s5
.LBB223_2226:
	s_delay_alu instid0(SALU_CYCLE_1)
	s_or_b32 exec_lo, exec_lo, s3
	s_mov_b32 s3, 0
	global_store_b8 v[2:3], v1, off
.LBB223_2227:
	s_and_b32 vcc_lo, exec_lo, s3
	s_cbranch_vccz .LBB223_2237
; %bb.2228:
	s_wait_xcnt 0x0
	v_and_b32_e32 v1, 0x7fffffff, v12
	s_mov_b32 s3, exec_lo
                                        ; implicit-def: $vgpr0
	s_delay_alu instid0(VALU_DEP_1)
	v_cmpx_gt_u32_e32 0x43f00000, v1
	s_xor_b32 s3, exec_lo, s3
	s_cbranch_execz .LBB223_2234
; %bb.2229:
	s_mov_b32 s4, exec_lo
                                        ; implicit-def: $vgpr0
	v_cmpx_lt_u32_e32 0x3c7fffff, v1
	s_xor_b32 s4, exec_lo, s4
; %bb.2230:
	v_bfe_u32 v0, v12, 20, 1
	s_delay_alu instid0(VALU_DEP_1) | instskip(NEXT) | instid1(VALU_DEP_1)
	v_add3_u32 v0, v12, v0, 0x407ffff
	v_and_b32_e32 v1, 0xff00000, v0
	v_lshrrev_b32_e32 v0, 20, v0
	s_delay_alu instid0(VALU_DEP_2) | instskip(NEXT) | instid1(VALU_DEP_2)
	v_cmp_ne_u32_e32 vcc_lo, 0x7f00000, v1
	v_cndmask_b32_e32 v0, 0x7e, v0, vcc_lo
; %bb.2231:
	s_and_not1_saveexec_b32 s4, s4
; %bb.2232:
	v_add_f32_e64 v0, 0x46800000, |v12|
; %bb.2233:
	s_or_b32 exec_lo, exec_lo, s4
                                        ; implicit-def: $vgpr1
.LBB223_2234:
	s_and_not1_saveexec_b32 s3, s3
; %bb.2235:
	v_mov_b32_e32 v0, 0x7f
	v_cmp_lt_u32_e32 vcc_lo, 0x7f800000, v1
	s_delay_alu instid0(VALU_DEP_2)
	v_cndmask_b32_e32 v0, 0x7e, v0, vcc_lo
; %bb.2236:
	s_or_b32 exec_lo, exec_lo, s3
	v_lshrrev_b32_e32 v1, 24, v12
	s_delay_alu instid0(VALU_DEP_1)
	v_and_or_b32 v0, 0x80, v1, v0
	global_store_b8 v[2:3], v0, off
.LBB223_2237:
	s_mov_b32 s3, 0
.LBB223_2238:
	s_delay_alu instid0(SALU_CYCLE_1)
	s_and_not1_b32 vcc_lo, exec_lo, s3
	s_cbranch_vccnz .LBB223_2248
; %bb.2239:
	s_wait_xcnt 0x0
	v_and_b32_e32 v1, 0x7fffffff, v12
	s_mov_b32 s3, exec_lo
                                        ; implicit-def: $vgpr0
	s_delay_alu instid0(VALU_DEP_1)
	v_cmpx_gt_u32_e32 0x47800000, v1
	s_xor_b32 s3, exec_lo, s3
	s_cbranch_execz .LBB223_2245
; %bb.2240:
	s_mov_b32 s4, exec_lo
                                        ; implicit-def: $vgpr0
	v_cmpx_lt_u32_e32 0x387fffff, v1
	s_xor_b32 s4, exec_lo, s4
; %bb.2241:
	v_bfe_u32 v0, v12, 21, 1
	s_delay_alu instid0(VALU_DEP_1) | instskip(NEXT) | instid1(VALU_DEP_1)
	v_add3_u32 v0, v12, v0, 0x80fffff
	v_lshrrev_b32_e32 v0, 21, v0
; %bb.2242:
	s_and_not1_saveexec_b32 s4, s4
; %bb.2243:
	v_add_f32_e64 v0, 0x43000000, |v12|
; %bb.2244:
	s_or_b32 exec_lo, exec_lo, s4
                                        ; implicit-def: $vgpr1
.LBB223_2245:
	s_and_not1_saveexec_b32 s3, s3
; %bb.2246:
	v_mov_b32_e32 v0, 0x7f
	v_cmp_lt_u32_e32 vcc_lo, 0x7f800000, v1
	s_delay_alu instid0(VALU_DEP_2)
	v_cndmask_b32_e32 v0, 0x7c, v0, vcc_lo
; %bb.2247:
	s_or_b32 exec_lo, exec_lo, s3
	v_lshrrev_b32_e32 v1, 24, v12
	s_delay_alu instid0(VALU_DEP_1)
	v_and_or_b32 v0, 0x80, v1, v0
	global_store_b8 v[2:3], v0, off
.LBB223_2248:
	s_mov_b32 s3, 0
.LBB223_2249:
	s_delay_alu instid0(SALU_CYCLE_1)
	s_and_not1_b32 vcc_lo, exec_lo, s3
	s_mov_b32 s3, 0
	s_cbranch_vccnz .LBB223_2256
; %bb.2250:
	s_cmp_gt_i32 s2, 14
	s_mov_b32 s3, -1
	s_cbranch_scc0 .LBB223_2254
; %bb.2251:
	s_cmp_eq_u32 s2, 15
	s_mov_b32 s0, -1
	s_cbranch_scc0 .LBB223_2253
; %bb.2252:
	s_wait_xcnt 0x0
	v_bfe_u32 v0, v12, 16, 1
	v_cmp_o_f32_e32 vcc_lo, v12, v12
	s_mov_b32 s0, 0
	s_delay_alu instid0(VALU_DEP_2) | instskip(NEXT) | instid1(VALU_DEP_1)
	v_add3_u32 v0, v12, v0, 0x7fff
	v_lshrrev_b32_e32 v0, 16, v0
	s_delay_alu instid0(VALU_DEP_1)
	v_cndmask_b32_e32 v0, 0x7fc0, v0, vcc_lo
	global_store_b16 v[2:3], v0, off
.LBB223_2253:
	s_mov_b32 s3, 0
.LBB223_2254:
	s_delay_alu instid0(SALU_CYCLE_1)
	s_and_b32 vcc_lo, exec_lo, s3
	s_mov_b32 s3, 0
	s_cbranch_vccz .LBB223_2256
; %bb.2255:
	s_cmp_lg_u32 s2, 11
	s_mov_b32 s3, -1
	s_cselect_b32 s0, -1, 0
.LBB223_2256:
	s_delay_alu instid0(SALU_CYCLE_1)
	s_and_b32 vcc_lo, exec_lo, s0
	s_cbranch_vccnz .LBB223_2278
.LBB223_2257:
	s_mov_b32 s0, 0
	s_branch .LBB223_1771
.LBB223_2258:
	s_mov_b32 s0, 0
	s_mov_b32 s3, 0
                                        ; implicit-def: $vgpr2_vgpr3
                                        ; implicit-def: $sgpr1
	s_branch .LBB223_1771
.LBB223_2259:
	s_mov_b32 s3, 0
	s_mov_b32 s0, -1
	s_branch .LBB223_1771
.LBB223_2260:
	s_or_b32 s10, s10, exec_lo
	s_trap 2
	s_cbranch_execz .LBB223_1714
	s_branch .LBB223_1715
.LBB223_2261:
	s_and_not1_saveexec_b32 s11, s11
	s_cbranch_execz .LBB223_1851
.LBB223_2262:
	v_add_f32_e64 v1, 0x46000000, |v8|
	s_and_not1_b32 s7, s7, exec_lo
	s_delay_alu instid0(VALU_DEP_1) | instskip(NEXT) | instid1(VALU_DEP_1)
	v_and_b32_e32 v1, 0xff, v1
	v_cmp_ne_u32_e32 vcc_lo, 0, v1
	s_and_b32 s12, vcc_lo, exec_lo
	s_delay_alu instid0(SALU_CYCLE_1)
	s_or_b32 s7, s7, s12
	s_or_b32 exec_lo, exec_lo, s11
	v_mov_b32_e32 v3, 0
	s_and_saveexec_b32 s11, s7
	s_cbranch_execnz .LBB223_1852
	s_branch .LBB223_1853
.LBB223_2263:
	s_or_b32 s10, s10, exec_lo
	s_trap 2
	s_cbranch_execz .LBB223_1899
	s_branch .LBB223_1900
.LBB223_2264:
	s_and_not1_saveexec_b32 s7, s7
	s_cbranch_execz .LBB223_1864
.LBB223_2265:
	v_add_f32_e64 v1, 0x42800000, |v8|
	s_and_not1_b32 s6, s6, exec_lo
	s_delay_alu instid0(VALU_DEP_1) | instskip(NEXT) | instid1(VALU_DEP_1)
	v_and_b32_e32 v1, 0xff, v1
	v_cmp_ne_u32_e32 vcc_lo, 0, v1
	s_and_b32 s11, vcc_lo, exec_lo
	s_delay_alu instid0(SALU_CYCLE_1)
	s_or_b32 s6, s6, s11
	s_or_b32 exec_lo, exec_lo, s7
	v_mov_b32_e32 v3, 0
	s_and_saveexec_b32 s7, s6
	s_cbranch_execnz .LBB223_1865
	s_branch .LBB223_1866
.LBB223_2266:
	s_and_not1_saveexec_b32 s11, s11
	s_cbranch_execz .LBB223_1972
.LBB223_2267:
	v_add_f32_e64 v1, 0x46000000, |v10|
	s_and_not1_b32 s7, s7, exec_lo
	s_delay_alu instid0(VALU_DEP_1) | instskip(NEXT) | instid1(VALU_DEP_1)
	v_and_b32_e32 v1, 0xff, v1
	v_cmp_ne_u32_e32 vcc_lo, 0, v1
	s_and_b32 s12, vcc_lo, exec_lo
	s_delay_alu instid0(SALU_CYCLE_1)
	s_or_b32 s7, s7, s12
	s_or_b32 exec_lo, exec_lo, s11
	v_mov_b32_e32 v3, 0
	s_and_saveexec_b32 s11, s7
	s_cbranch_execnz .LBB223_1973
	s_branch .LBB223_1974
.LBB223_2268:
	s_or_b32 s10, s10, exec_lo
	s_trap 2
	s_cbranch_execz .LBB223_2020
	s_branch .LBB223_2021
.LBB223_2269:
	s_and_not1_saveexec_b32 s7, s7
	s_cbranch_execz .LBB223_1985
.LBB223_2270:
	v_add_f32_e64 v1, 0x42800000, |v10|
	s_and_not1_b32 s6, s6, exec_lo
	s_delay_alu instid0(VALU_DEP_1) | instskip(NEXT) | instid1(VALU_DEP_1)
	v_and_b32_e32 v1, 0xff, v1
	v_cmp_ne_u32_e32 vcc_lo, 0, v1
	s_and_b32 s11, vcc_lo, exec_lo
	s_delay_alu instid0(SALU_CYCLE_1)
	s_or_b32 s6, s6, s11
	s_or_b32 exec_lo, exec_lo, s7
	v_mov_b32_e32 v3, 0
	s_and_saveexec_b32 s7, s6
	s_cbranch_execnz .LBB223_1986
	s_branch .LBB223_1987
.LBB223_2271:
	s_and_not1_saveexec_b32 s11, s11
	s_cbranch_execz .LBB223_2091
.LBB223_2272:
	v_add_f32_e64 v1, 0x46000000, |v14|
	s_and_not1_b32 s7, s7, exec_lo
	s_delay_alu instid0(VALU_DEP_1) | instskip(NEXT) | instid1(VALU_DEP_1)
	v_and_b32_e32 v1, 0xff, v1
	v_cmp_ne_u32_e32 vcc_lo, 0, v1
	s_and_b32 s12, vcc_lo, exec_lo
	s_delay_alu instid0(SALU_CYCLE_1)
	s_or_b32 s7, s7, s12
	s_or_b32 exec_lo, exec_lo, s11
	v_mov_b32_e32 v4, 0
	s_and_saveexec_b32 s11, s7
	s_cbranch_execnz .LBB223_2092
	s_branch .LBB223_2093
.LBB223_2273:
	s_or_b32 s10, s10, exec_lo
	s_trap 2
	s_cbranch_execz .LBB223_2139
	s_branch .LBB223_2140
.LBB223_2274:
	s_and_not1_saveexec_b32 s7, s7
	s_cbranch_execz .LBB223_2104
.LBB223_2275:
	v_add_f32_e64 v1, 0x42800000, |v14|
	s_and_not1_b32 s6, s6, exec_lo
	s_delay_alu instid0(VALU_DEP_1) | instskip(NEXT) | instid1(VALU_DEP_1)
	v_and_b32_e32 v1, 0xff, v1
	v_cmp_ne_u32_e32 vcc_lo, 0, v1
	s_and_b32 s11, vcc_lo, exec_lo
	s_delay_alu instid0(SALU_CYCLE_1)
	s_or_b32 s6, s6, s11
	s_or_b32 exec_lo, exec_lo, s7
	v_mov_b32_e32 v4, 0
	s_and_saveexec_b32 s7, s6
	s_cbranch_execnz .LBB223_2105
	s_branch .LBB223_2106
.LBB223_2276:
	s_and_not1_saveexec_b32 s6, s6
	s_cbranch_execz .LBB223_2211
.LBB223_2277:
	v_add_f32_e64 v0, 0x46000000, |v12|
	s_and_not1_b32 s5, s5, exec_lo
	s_delay_alu instid0(VALU_DEP_1) | instskip(NEXT) | instid1(VALU_DEP_1)
	v_and_b32_e32 v0, 0xff, v0
	v_cmp_ne_u32_e32 vcc_lo, 0, v0
	s_and_b32 s7, vcc_lo, exec_lo
	s_delay_alu instid0(SALU_CYCLE_1)
	s_or_b32 s5, s5, s7
	s_or_b32 exec_lo, exec_lo, s6
	v_mov_b32_e32 v1, 0
	s_and_saveexec_b32 s6, s5
	s_cbranch_execnz .LBB223_2212
	s_branch .LBB223_2213
.LBB223_2278:
	s_mov_b32 s3, 0
	s_or_b32 s10, s10, exec_lo
	s_trap 2
	s_branch .LBB223_2257
.LBB223_2279:
	s_and_not1_saveexec_b32 s5, s5
	s_cbranch_execz .LBB223_2223
.LBB223_2280:
	v_add_f32_e64 v0, 0x42800000, |v12|
	s_and_not1_b32 s4, s4, exec_lo
	s_delay_alu instid0(VALU_DEP_1) | instskip(NEXT) | instid1(VALU_DEP_1)
	v_and_b32_e32 v0, 0xff, v0
	v_cmp_ne_u32_e32 vcc_lo, 0, v0
	s_and_b32 s6, vcc_lo, exec_lo
	s_delay_alu instid0(SALU_CYCLE_1)
	s_or_b32 s4, s4, s6
	s_or_b32 exec_lo, exec_lo, s5
	v_mov_b32_e32 v1, 0
	s_and_saveexec_b32 s5, s4
	s_cbranch_execnz .LBB223_2224
	s_branch .LBB223_2225
	.section	.rodata,"a",@progbits
	.p2align	6, 0x0
	.amdhsa_kernel _ZN2at6native32elementwise_kernel_manual_unrollILi128ELi4EZNS0_15gpu_kernel_implIZZZNS0_12_GLOBAL__N_119launch_clamp_scalarERNS_18TensorIteratorBaseEN3c106ScalarES7_NS0_6detail11ClampLimitsEENKUlvE_clEvENKUlvE5_clEvEUlfE_EEvS5_RKT_EUlibE0_EEviT1_
		.amdhsa_group_segment_fixed_size 0
		.amdhsa_private_segment_fixed_size 0
		.amdhsa_kernarg_size 368
		.amdhsa_user_sgpr_count 2
		.amdhsa_user_sgpr_dispatch_ptr 0
		.amdhsa_user_sgpr_queue_ptr 0
		.amdhsa_user_sgpr_kernarg_segment_ptr 1
		.amdhsa_user_sgpr_dispatch_id 0
		.amdhsa_user_sgpr_kernarg_preload_length 0
		.amdhsa_user_sgpr_kernarg_preload_offset 0
		.amdhsa_user_sgpr_private_segment_size 0
		.amdhsa_wavefront_size32 1
		.amdhsa_uses_dynamic_stack 0
		.amdhsa_enable_private_segment 0
		.amdhsa_system_sgpr_workgroup_id_x 1
		.amdhsa_system_sgpr_workgroup_id_y 0
		.amdhsa_system_sgpr_workgroup_id_z 0
		.amdhsa_system_sgpr_workgroup_info 0
		.amdhsa_system_vgpr_workitem_id 0
		.amdhsa_next_free_vgpr 20
		.amdhsa_next_free_sgpr 72
		.amdhsa_named_barrier_count 0
		.amdhsa_reserve_vcc 1
		.amdhsa_float_round_mode_32 0
		.amdhsa_float_round_mode_16_64 0
		.amdhsa_float_denorm_mode_32 3
		.amdhsa_float_denorm_mode_16_64 3
		.amdhsa_fp16_overflow 0
		.amdhsa_memory_ordered 1
		.amdhsa_forward_progress 1
		.amdhsa_inst_pref_size 255
		.amdhsa_round_robin_scheduling 0
		.amdhsa_exception_fp_ieee_invalid_op 0
		.amdhsa_exception_fp_denorm_src 0
		.amdhsa_exception_fp_ieee_div_zero 0
		.amdhsa_exception_fp_ieee_overflow 0
		.amdhsa_exception_fp_ieee_underflow 0
		.amdhsa_exception_fp_ieee_inexact 0
		.amdhsa_exception_int_div_zero 0
	.end_amdhsa_kernel
	.section	.text._ZN2at6native32elementwise_kernel_manual_unrollILi128ELi4EZNS0_15gpu_kernel_implIZZZNS0_12_GLOBAL__N_119launch_clamp_scalarERNS_18TensorIteratorBaseEN3c106ScalarES7_NS0_6detail11ClampLimitsEENKUlvE_clEvENKUlvE5_clEvEUlfE_EEvS5_RKT_EUlibE0_EEviT1_,"axG",@progbits,_ZN2at6native32elementwise_kernel_manual_unrollILi128ELi4EZNS0_15gpu_kernel_implIZZZNS0_12_GLOBAL__N_119launch_clamp_scalarERNS_18TensorIteratorBaseEN3c106ScalarES7_NS0_6detail11ClampLimitsEENKUlvE_clEvENKUlvE5_clEvEUlfE_EEvS5_RKT_EUlibE0_EEviT1_,comdat
.Lfunc_end223:
	.size	_ZN2at6native32elementwise_kernel_manual_unrollILi128ELi4EZNS0_15gpu_kernel_implIZZZNS0_12_GLOBAL__N_119launch_clamp_scalarERNS_18TensorIteratorBaseEN3c106ScalarES7_NS0_6detail11ClampLimitsEENKUlvE_clEvENKUlvE5_clEvEUlfE_EEvS5_RKT_EUlibE0_EEviT1_, .Lfunc_end223-_ZN2at6native32elementwise_kernel_manual_unrollILi128ELi4EZNS0_15gpu_kernel_implIZZZNS0_12_GLOBAL__N_119launch_clamp_scalarERNS_18TensorIteratorBaseEN3c106ScalarES7_NS0_6detail11ClampLimitsEENKUlvE_clEvENKUlvE5_clEvEUlfE_EEvS5_RKT_EUlibE0_EEviT1_
                                        ; -- End function
	.set _ZN2at6native32elementwise_kernel_manual_unrollILi128ELi4EZNS0_15gpu_kernel_implIZZZNS0_12_GLOBAL__N_119launch_clamp_scalarERNS_18TensorIteratorBaseEN3c106ScalarES7_NS0_6detail11ClampLimitsEENKUlvE_clEvENKUlvE5_clEvEUlfE_EEvS5_RKT_EUlibE0_EEviT1_.num_vgpr, 20
	.set _ZN2at6native32elementwise_kernel_manual_unrollILi128ELi4EZNS0_15gpu_kernel_implIZZZNS0_12_GLOBAL__N_119launch_clamp_scalarERNS_18TensorIteratorBaseEN3c106ScalarES7_NS0_6detail11ClampLimitsEENKUlvE_clEvENKUlvE5_clEvEUlfE_EEvS5_RKT_EUlibE0_EEviT1_.num_agpr, 0
	.set _ZN2at6native32elementwise_kernel_manual_unrollILi128ELi4EZNS0_15gpu_kernel_implIZZZNS0_12_GLOBAL__N_119launch_clamp_scalarERNS_18TensorIteratorBaseEN3c106ScalarES7_NS0_6detail11ClampLimitsEENKUlvE_clEvENKUlvE5_clEvEUlfE_EEvS5_RKT_EUlibE0_EEviT1_.numbered_sgpr, 72
	.set _ZN2at6native32elementwise_kernel_manual_unrollILi128ELi4EZNS0_15gpu_kernel_implIZZZNS0_12_GLOBAL__N_119launch_clamp_scalarERNS_18TensorIteratorBaseEN3c106ScalarES7_NS0_6detail11ClampLimitsEENKUlvE_clEvENKUlvE5_clEvEUlfE_EEvS5_RKT_EUlibE0_EEviT1_.num_named_barrier, 0
	.set _ZN2at6native32elementwise_kernel_manual_unrollILi128ELi4EZNS0_15gpu_kernel_implIZZZNS0_12_GLOBAL__N_119launch_clamp_scalarERNS_18TensorIteratorBaseEN3c106ScalarES7_NS0_6detail11ClampLimitsEENKUlvE_clEvENKUlvE5_clEvEUlfE_EEvS5_RKT_EUlibE0_EEviT1_.private_seg_size, 0
	.set _ZN2at6native32elementwise_kernel_manual_unrollILi128ELi4EZNS0_15gpu_kernel_implIZZZNS0_12_GLOBAL__N_119launch_clamp_scalarERNS_18TensorIteratorBaseEN3c106ScalarES7_NS0_6detail11ClampLimitsEENKUlvE_clEvENKUlvE5_clEvEUlfE_EEvS5_RKT_EUlibE0_EEviT1_.uses_vcc, 1
	.set _ZN2at6native32elementwise_kernel_manual_unrollILi128ELi4EZNS0_15gpu_kernel_implIZZZNS0_12_GLOBAL__N_119launch_clamp_scalarERNS_18TensorIteratorBaseEN3c106ScalarES7_NS0_6detail11ClampLimitsEENKUlvE_clEvENKUlvE5_clEvEUlfE_EEvS5_RKT_EUlibE0_EEviT1_.uses_flat_scratch, 0
	.set _ZN2at6native32elementwise_kernel_manual_unrollILi128ELi4EZNS0_15gpu_kernel_implIZZZNS0_12_GLOBAL__N_119launch_clamp_scalarERNS_18TensorIteratorBaseEN3c106ScalarES7_NS0_6detail11ClampLimitsEENKUlvE_clEvENKUlvE5_clEvEUlfE_EEvS5_RKT_EUlibE0_EEviT1_.has_dyn_sized_stack, 0
	.set _ZN2at6native32elementwise_kernel_manual_unrollILi128ELi4EZNS0_15gpu_kernel_implIZZZNS0_12_GLOBAL__N_119launch_clamp_scalarERNS_18TensorIteratorBaseEN3c106ScalarES7_NS0_6detail11ClampLimitsEENKUlvE_clEvENKUlvE5_clEvEUlfE_EEvS5_RKT_EUlibE0_EEviT1_.has_recursion, 0
	.set _ZN2at6native32elementwise_kernel_manual_unrollILi128ELi4EZNS0_15gpu_kernel_implIZZZNS0_12_GLOBAL__N_119launch_clamp_scalarERNS_18TensorIteratorBaseEN3c106ScalarES7_NS0_6detail11ClampLimitsEENKUlvE_clEvENKUlvE5_clEvEUlfE_EEvS5_RKT_EUlibE0_EEviT1_.has_indirect_call, 0
	.section	.AMDGPU.csdata,"",@progbits
; Kernel info:
; codeLenInByte = 44580
; TotalNumSgprs: 74
; NumVgprs: 20
; ScratchSize: 0
; MemoryBound: 1
; FloatMode: 240
; IeeeMode: 1
; LDSByteSize: 0 bytes/workgroup (compile time only)
; SGPRBlocks: 0
; VGPRBlocks: 1
; NumSGPRsForWavesPerEU: 74
; NumVGPRsForWavesPerEU: 20
; NamedBarCnt: 0
; Occupancy: 16
; WaveLimiterHint : 1
; COMPUTE_PGM_RSRC2:SCRATCH_EN: 0
; COMPUTE_PGM_RSRC2:USER_SGPR: 2
; COMPUTE_PGM_RSRC2:TRAP_HANDLER: 0
; COMPUTE_PGM_RSRC2:TGID_X_EN: 1
; COMPUTE_PGM_RSRC2:TGID_Y_EN: 0
; COMPUTE_PGM_RSRC2:TGID_Z_EN: 0
; COMPUTE_PGM_RSRC2:TIDIG_COMP_CNT: 0
	.section	.text._ZN2at6native29vectorized_elementwise_kernelILi16EZZZNS0_12_GLOBAL__N_119launch_clamp_scalarERNS_18TensorIteratorBaseEN3c106ScalarES6_NS0_6detail11ClampLimitsEENKUlvE_clEvENKUlvE6_clEvEUlNS5_4HalfEE_St5arrayIPcLm2EEEEviT0_T1_,"axG",@progbits,_ZN2at6native29vectorized_elementwise_kernelILi16EZZZNS0_12_GLOBAL__N_119launch_clamp_scalarERNS_18TensorIteratorBaseEN3c106ScalarES6_NS0_6detail11ClampLimitsEENKUlvE_clEvENKUlvE6_clEvEUlNS5_4HalfEE_St5arrayIPcLm2EEEEviT0_T1_,comdat
	.globl	_ZN2at6native29vectorized_elementwise_kernelILi16EZZZNS0_12_GLOBAL__N_119launch_clamp_scalarERNS_18TensorIteratorBaseEN3c106ScalarES6_NS0_6detail11ClampLimitsEENKUlvE_clEvENKUlvE6_clEvEUlNS5_4HalfEE_St5arrayIPcLm2EEEEviT0_T1_ ; -- Begin function _ZN2at6native29vectorized_elementwise_kernelILi16EZZZNS0_12_GLOBAL__N_119launch_clamp_scalarERNS_18TensorIteratorBaseEN3c106ScalarES6_NS0_6detail11ClampLimitsEENKUlvE_clEvENKUlvE6_clEvEUlNS5_4HalfEE_St5arrayIPcLm2EEEEviT0_T1_
	.p2align	8
	.type	_ZN2at6native29vectorized_elementwise_kernelILi16EZZZNS0_12_GLOBAL__N_119launch_clamp_scalarERNS_18TensorIteratorBaseEN3c106ScalarES6_NS0_6detail11ClampLimitsEENKUlvE_clEvENKUlvE6_clEvEUlNS5_4HalfEE_St5arrayIPcLm2EEEEviT0_T1_,@function
_ZN2at6native29vectorized_elementwise_kernelILi16EZZZNS0_12_GLOBAL__N_119launch_clamp_scalarERNS_18TensorIteratorBaseEN3c106ScalarES6_NS0_6detail11ClampLimitsEENKUlvE_clEvENKUlvE6_clEvEUlNS5_4HalfEE_St5arrayIPcLm2EEEEviT0_T1_: ; @_ZN2at6native29vectorized_elementwise_kernelILi16EZZZNS0_12_GLOBAL__N_119launch_clamp_scalarERNS_18TensorIteratorBaseEN3c106ScalarES6_NS0_6detail11ClampLimitsEENKUlvE_clEvENKUlvE6_clEvEUlNS5_4HalfEE_St5arrayIPcLm2EEEEviT0_T1_
; %bb.0:
	s_load_b256 s[4:11], s[0:1], 0x0
	s_wait_xcnt 0x0
	s_bfe_u32 s0, ttmp6, 0x4000c
	s_and_b32 s1, ttmp6, 15
	s_add_co_i32 s0, s0, 1
	s_getreg_b32 s2, hwreg(HW_REG_IB_STS2, 6, 4)
	s_mul_i32 s0, ttmp9, s0
	s_delay_alu instid0(SALU_CYCLE_1) | instskip(SKIP_2) | instid1(SALU_CYCLE_1)
	s_add_co_i32 s1, s1, s0
	s_cmp_eq_u32 s2, 0
	s_cselect_b32 s0, ttmp9, s1
	s_lshl_b32 s2, s0, 11
	s_mov_b32 s0, -1
	s_wait_kmcnt 0x0
	s_sub_co_i32 s4, s4, s2
	s_delay_alu instid0(SALU_CYCLE_1)
	s_cmp_gt_i32 s4, 0x7ff
	s_cbranch_scc0 .LBB224_97
; %bb.1:
	s_ashr_i32 s3, s2, 31
	s_delay_alu instid0(SALU_CYCLE_1)
	s_lshl_b64 s[0:1], s[2:3], 1
	s_mov_b32 s3, exec_lo
	s_add_nc_u64 s[12:13], s[10:11], s[0:1]
	global_load_b128 v[2:5], v0, s[12:13] scale_offset
	s_wait_loadcnt 0x0
	v_mov_b32_e32 v1, v2
	v_cmpx_o_f16_e32 v2, v2
	s_cbranch_execz .LBB224_12
; %bb.2:
	v_cvt_f32_f16_e32 v6, v2
	s_cmp_lt_i32 s5, 1
	s_mov_b32 s12, 0
	s_cbranch_scc1 .LBB224_5
; %bb.3:
	s_cmp_eq_u32 s5, 1
	s_cbranch_scc0 .LBB224_6
; %bb.4:
	v_max_num_f32_e64 v1, s6, s6
	v_max_num_f32_e32 v7, v6, v6
	s_mov_b32 s13, 0
	s_delay_alu instid0(VALU_DEP_1) | instskip(NEXT) | instid1(VALU_DEP_1)
	v_min_num_f32_e32 v1, v7, v1
	v_cvt_f16_f32_e32 v1, v1
	s_branch .LBB224_7
.LBB224_5:
	s_mov_b32 s13, 0
                                        ; implicit-def: $vgpr1
	s_cbranch_execnz .LBB224_8
	s_branch .LBB224_9
.LBB224_6:
	s_mov_b32 s13, -1
                                        ; implicit-def: $vgpr1
.LBB224_7:
	s_branch .LBB224_9
.LBB224_8:
	s_cmp_lg_u32 s5, 0
	s_mov_b32 s12, -1
	s_cselect_b32 s13, -1, 0
.LBB224_9:
	v_max_num_f32_e32 v6, v6, v6
	s_and_not1_b32 vcc_lo, exec_lo, s13
	s_cbranch_vccz .LBB224_16
; %bb.10:
	s_and_not1_b32 vcc_lo, exec_lo, s12
	s_cbranch_vccnz .LBB224_12
.LBB224_11:
	v_max_num_f32_e64 v1, s6, s6
	s_delay_alu instid0(VALU_DEP_1) | instskip(NEXT) | instid1(VALU_DEP_1)
	v_max_num_f32_e32 v1, v6, v1
	v_cvt_f16_f32_e32 v1, v1
.LBB224_12:
	s_or_b32 exec_lo, exec_lo, s3
	v_lshrrev_b32_e32 v2, 16, v2
	s_mov_b32 s3, exec_lo
	s_delay_alu instid0(VALU_DEP_1)
	v_cmpx_o_f16_e32 v2, v2
	s_cbranch_execz .LBB224_24
; %bb.13:
	v_cvt_f32_f16_e32 v6, v2
	s_cmp_lt_i32 s5, 1
	s_mov_b32 s12, 0
	s_cbranch_scc1 .LBB224_17
; %bb.14:
	s_cmp_eq_u32 s5, 1
	s_cbranch_scc0 .LBB224_18
; %bb.15:
	v_max_num_f32_e64 v2, s6, s6
	v_max_num_f32_e32 v7, v6, v6
	s_mov_b32 s13, 0
	s_delay_alu instid0(VALU_DEP_1) | instskip(NEXT) | instid1(VALU_DEP_1)
	v_min_num_f32_e32 v2, v7, v2
	v_cvt_f16_f32_e32 v2, v2
	s_branch .LBB224_19
.LBB224_16:
	v_max_num_f32_e64 v1, s6, s6
	v_max_num_f32_e64 v7, s7, s7
	s_delay_alu instid0(VALU_DEP_1) | instskip(NEXT) | instid1(VALU_DEP_1)
	v_maxmin_num_f32 v1, v6, v1, v7
	v_cvt_f16_f32_e32 v1, v1
	s_cbranch_execz .LBB224_11
	s_branch .LBB224_12
.LBB224_17:
	s_mov_b32 s13, 0
                                        ; implicit-def: $vgpr2
	s_cbranch_execnz .LBB224_20
	s_branch .LBB224_21
.LBB224_18:
	s_mov_b32 s13, -1
                                        ; implicit-def: $vgpr2
.LBB224_19:
	s_branch .LBB224_21
.LBB224_20:
	s_cmp_lg_u32 s5, 0
	s_mov_b32 s12, -1
	s_cselect_b32 s13, -1, 0
.LBB224_21:
	v_max_num_f32_e32 v6, v6, v6
	s_and_not1_b32 vcc_lo, exec_lo, s13
	s_cbranch_vccz .LBB224_28
; %bb.22:
	s_and_not1_b32 vcc_lo, exec_lo, s12
	s_cbranch_vccnz .LBB224_24
.LBB224_23:
	v_max_num_f32_e64 v2, s6, s6
	s_delay_alu instid0(VALU_DEP_1) | instskip(NEXT) | instid1(VALU_DEP_1)
	v_max_num_f32_e32 v2, v6, v2
	v_cvt_f16_f32_e32 v2, v2
.LBB224_24:
	s_or_b32 exec_lo, exec_lo, s3
	v_mov_b32_e32 v6, v3
	s_mov_b32 s3, exec_lo
	v_cmpx_o_f16_e32 v3, v3
	s_cbranch_execz .LBB224_36
; %bb.25:
	v_cvt_f32_f16_e32 v7, v3
	s_cmp_lt_i32 s5, 1
	s_mov_b32 s12, 0
	s_cbranch_scc1 .LBB224_29
; %bb.26:
	s_cmp_eq_u32 s5, 1
	s_cbranch_scc0 .LBB224_30
; %bb.27:
	v_max_num_f32_e64 v6, s6, s6
	v_max_num_f32_e32 v8, v7, v7
	s_mov_b32 s13, 0
	s_delay_alu instid0(VALU_DEP_1) | instskip(NEXT) | instid1(VALU_DEP_1)
	v_min_num_f32_e32 v6, v8, v6
	v_cvt_f16_f32_e32 v6, v6
	s_branch .LBB224_31
.LBB224_28:
	v_max_num_f32_e64 v2, s6, s6
	v_max_num_f32_e64 v7, s7, s7
	s_delay_alu instid0(VALU_DEP_1) | instskip(NEXT) | instid1(VALU_DEP_1)
	v_maxmin_num_f32 v2, v6, v2, v7
	v_cvt_f16_f32_e32 v2, v2
	s_cbranch_execz .LBB224_23
	s_branch .LBB224_24
.LBB224_29:
	s_mov_b32 s13, 0
                                        ; implicit-def: $vgpr6
	s_cbranch_execnz .LBB224_32
	s_branch .LBB224_33
.LBB224_30:
	s_mov_b32 s13, -1
                                        ; implicit-def: $vgpr6
.LBB224_31:
	s_branch .LBB224_33
.LBB224_32:
	s_cmp_lg_u32 s5, 0
	s_mov_b32 s12, -1
	s_cselect_b32 s13, -1, 0
.LBB224_33:
	v_max_num_f32_e32 v7, v7, v7
	s_and_not1_b32 vcc_lo, exec_lo, s13
	s_cbranch_vccz .LBB224_40
; %bb.34:
	s_and_not1_b32 vcc_lo, exec_lo, s12
	s_cbranch_vccnz .LBB224_36
.LBB224_35:
	v_max_num_f32_e64 v6, s6, s6
	s_delay_alu instid0(VALU_DEP_1) | instskip(NEXT) | instid1(VALU_DEP_1)
	v_max_num_f32_e32 v6, v7, v6
	v_cvt_f16_f32_e32 v6, v6
.LBB224_36:
	s_or_b32 exec_lo, exec_lo, s3
	v_lshrrev_b32_e32 v3, 16, v3
	s_mov_b32 s3, exec_lo
	s_delay_alu instid0(VALU_DEP_1)
	v_cmpx_o_f16_e32 v3, v3
	s_cbranch_execz .LBB224_48
; %bb.37:
	v_cvt_f32_f16_e32 v7, v3
	s_cmp_lt_i32 s5, 1
	s_mov_b32 s12, 0
	s_cbranch_scc1 .LBB224_41
; %bb.38:
	s_cmp_eq_u32 s5, 1
	s_cbranch_scc0 .LBB224_42
; %bb.39:
	v_max_num_f32_e64 v3, s6, s6
	v_max_num_f32_e32 v8, v7, v7
	s_mov_b32 s13, 0
	s_delay_alu instid0(VALU_DEP_1) | instskip(NEXT) | instid1(VALU_DEP_1)
	v_min_num_f32_e32 v3, v8, v3
	v_cvt_f16_f32_e32 v3, v3
	s_branch .LBB224_43
.LBB224_40:
	v_max_num_f32_e64 v6, s6, s6
	v_max_num_f32_e64 v8, s7, s7
	s_delay_alu instid0(VALU_DEP_1) | instskip(NEXT) | instid1(VALU_DEP_1)
	v_maxmin_num_f32 v6, v7, v6, v8
	v_cvt_f16_f32_e32 v6, v6
	s_cbranch_execz .LBB224_35
	s_branch .LBB224_36
.LBB224_41:
	s_mov_b32 s13, 0
                                        ; implicit-def: $vgpr3
	s_cbranch_execnz .LBB224_44
	s_branch .LBB224_45
.LBB224_42:
	s_mov_b32 s13, -1
                                        ; implicit-def: $vgpr3
.LBB224_43:
	s_branch .LBB224_45
.LBB224_44:
	s_cmp_lg_u32 s5, 0
	s_mov_b32 s12, -1
	s_cselect_b32 s13, -1, 0
.LBB224_45:
	v_max_num_f32_e32 v7, v7, v7
	s_and_not1_b32 vcc_lo, exec_lo, s13
	s_cbranch_vccz .LBB224_52
; %bb.46:
	s_and_not1_b32 vcc_lo, exec_lo, s12
	s_cbranch_vccnz .LBB224_48
.LBB224_47:
	v_max_num_f32_e64 v3, s6, s6
	s_delay_alu instid0(VALU_DEP_1) | instskip(NEXT) | instid1(VALU_DEP_1)
	v_max_num_f32_e32 v3, v7, v3
	v_cvt_f16_f32_e32 v3, v3
.LBB224_48:
	s_or_b32 exec_lo, exec_lo, s3
	v_mov_b32_e32 v7, v4
	s_mov_b32 s3, exec_lo
	v_cmpx_o_f16_e32 v4, v4
	s_cbranch_execz .LBB224_60
; %bb.49:
	v_cvt_f32_f16_e32 v8, v4
	s_cmp_lt_i32 s5, 1
	s_mov_b32 s12, 0
	s_cbranch_scc1 .LBB224_53
; %bb.50:
	s_cmp_eq_u32 s5, 1
	s_cbranch_scc0 .LBB224_54
; %bb.51:
	v_max_num_f32_e64 v7, s6, s6
	v_max_num_f32_e32 v9, v8, v8
	s_mov_b32 s13, 0
	s_delay_alu instid0(VALU_DEP_1) | instskip(NEXT) | instid1(VALU_DEP_1)
	v_min_num_f32_e32 v7, v9, v7
	v_cvt_f16_f32_e32 v7, v7
	s_branch .LBB224_55
.LBB224_52:
	v_max_num_f32_e64 v3, s6, s6
	v_max_num_f32_e64 v8, s7, s7
	s_delay_alu instid0(VALU_DEP_1) | instskip(NEXT) | instid1(VALU_DEP_1)
	v_maxmin_num_f32 v3, v7, v3, v8
	v_cvt_f16_f32_e32 v3, v3
	s_cbranch_execz .LBB224_47
	s_branch .LBB224_48
.LBB224_53:
	s_mov_b32 s13, 0
                                        ; implicit-def: $vgpr7
	s_cbranch_execnz .LBB224_56
	s_branch .LBB224_57
.LBB224_54:
	s_mov_b32 s13, -1
                                        ; implicit-def: $vgpr7
.LBB224_55:
	s_branch .LBB224_57
.LBB224_56:
	s_cmp_lg_u32 s5, 0
	s_mov_b32 s12, -1
	s_cselect_b32 s13, -1, 0
.LBB224_57:
	v_max_num_f32_e32 v8, v8, v8
	s_and_not1_b32 vcc_lo, exec_lo, s13
	s_cbranch_vccz .LBB224_64
; %bb.58:
	s_and_not1_b32 vcc_lo, exec_lo, s12
	s_cbranch_vccnz .LBB224_60
.LBB224_59:
	v_max_num_f32_e64 v7, s6, s6
	s_delay_alu instid0(VALU_DEP_1) | instskip(NEXT) | instid1(VALU_DEP_1)
	v_max_num_f32_e32 v7, v8, v7
	v_cvt_f16_f32_e32 v7, v7
.LBB224_60:
	s_or_b32 exec_lo, exec_lo, s3
	v_lshrrev_b32_e32 v4, 16, v4
	s_mov_b32 s3, exec_lo
	s_delay_alu instid0(VALU_DEP_1)
	v_cmpx_o_f16_e32 v4, v4
	s_cbranch_execz .LBB224_72
; %bb.61:
	v_cvt_f32_f16_e32 v8, v4
	s_cmp_lt_i32 s5, 1
	s_mov_b32 s12, 0
	s_cbranch_scc1 .LBB224_65
; %bb.62:
	s_cmp_eq_u32 s5, 1
	s_cbranch_scc0 .LBB224_66
; %bb.63:
	v_max_num_f32_e64 v4, s6, s6
	v_max_num_f32_e32 v9, v8, v8
	s_mov_b32 s13, 0
	s_delay_alu instid0(VALU_DEP_1) | instskip(NEXT) | instid1(VALU_DEP_1)
	v_min_num_f32_e32 v4, v9, v4
	v_cvt_f16_f32_e32 v4, v4
	s_branch .LBB224_67
.LBB224_64:
	v_max_num_f32_e64 v7, s6, s6
	v_max_num_f32_e64 v9, s7, s7
	s_delay_alu instid0(VALU_DEP_1) | instskip(NEXT) | instid1(VALU_DEP_1)
	v_maxmin_num_f32 v7, v8, v7, v9
	v_cvt_f16_f32_e32 v7, v7
	s_cbranch_execz .LBB224_59
	s_branch .LBB224_60
.LBB224_65:
	s_mov_b32 s13, 0
                                        ; implicit-def: $vgpr4
	s_cbranch_execnz .LBB224_68
	s_branch .LBB224_69
.LBB224_66:
	s_mov_b32 s13, -1
                                        ; implicit-def: $vgpr4
.LBB224_67:
	s_branch .LBB224_69
.LBB224_68:
	s_cmp_lg_u32 s5, 0
	s_mov_b32 s12, -1
	s_cselect_b32 s13, -1, 0
.LBB224_69:
	v_max_num_f32_e32 v8, v8, v8
	s_and_not1_b32 vcc_lo, exec_lo, s13
	s_cbranch_vccz .LBB224_76
; %bb.70:
	s_and_not1_b32 vcc_lo, exec_lo, s12
	s_cbranch_vccnz .LBB224_72
.LBB224_71:
	v_max_num_f32_e64 v4, s6, s6
	s_delay_alu instid0(VALU_DEP_1) | instskip(NEXT) | instid1(VALU_DEP_1)
	v_max_num_f32_e32 v4, v8, v4
	v_cvt_f16_f32_e32 v4, v4
.LBB224_72:
	s_or_b32 exec_lo, exec_lo, s3
	v_mov_b32_e32 v8, v5
	s_mov_b32 s3, exec_lo
	v_cmpx_o_f16_e32 v5, v5
	s_cbranch_execz .LBB224_84
; %bb.73:
	v_cvt_f32_f16_e32 v9, v5
	s_cmp_lt_i32 s5, 1
	s_mov_b32 s12, 0
	s_cbranch_scc1 .LBB224_77
; %bb.74:
	s_cmp_eq_u32 s5, 1
	s_cbranch_scc0 .LBB224_78
; %bb.75:
	v_max_num_f32_e64 v8, s6, s6
	v_max_num_f32_e32 v10, v9, v9
	s_mov_b32 s13, 0
	s_delay_alu instid0(VALU_DEP_1) | instskip(NEXT) | instid1(VALU_DEP_1)
	v_min_num_f32_e32 v8, v10, v8
	v_cvt_f16_f32_e32 v8, v8
	s_branch .LBB224_79
.LBB224_76:
	v_max_num_f32_e64 v4, s6, s6
	v_max_num_f32_e64 v9, s7, s7
	s_delay_alu instid0(VALU_DEP_1) | instskip(NEXT) | instid1(VALU_DEP_1)
	v_maxmin_num_f32 v4, v8, v4, v9
	v_cvt_f16_f32_e32 v4, v4
	s_cbranch_execz .LBB224_71
	s_branch .LBB224_72
.LBB224_77:
	s_mov_b32 s13, 0
                                        ; implicit-def: $vgpr8
	s_cbranch_execnz .LBB224_80
	s_branch .LBB224_81
.LBB224_78:
	s_mov_b32 s13, -1
                                        ; implicit-def: $vgpr8
.LBB224_79:
	s_branch .LBB224_81
.LBB224_80:
	s_cmp_lg_u32 s5, 0
	s_mov_b32 s12, -1
	s_cselect_b32 s13, -1, 0
.LBB224_81:
	v_max_num_f32_e32 v9, v9, v9
	s_and_not1_b32 vcc_lo, exec_lo, s13
	s_cbranch_vccz .LBB224_88
; %bb.82:
	s_and_not1_b32 vcc_lo, exec_lo, s12
	s_cbranch_vccnz .LBB224_84
.LBB224_83:
	v_max_num_f32_e64 v8, s6, s6
	s_delay_alu instid0(VALU_DEP_1) | instskip(NEXT) | instid1(VALU_DEP_1)
	v_max_num_f32_e32 v8, v9, v8
	v_cvt_f16_f32_e32 v8, v8
.LBB224_84:
	s_or_b32 exec_lo, exec_lo, s3
	v_lshrrev_b32_e32 v5, 16, v5
	s_mov_b32 s3, exec_lo
	s_delay_alu instid0(VALU_DEP_1)
	v_cmpx_o_f16_e32 v5, v5
	s_cbranch_execz .LBB224_96
; %bb.85:
	v_cvt_f32_f16_e32 v9, v5
	s_cmp_lt_i32 s5, 1
	s_mov_b32 s12, 0
	s_cbranch_scc1 .LBB224_89
; %bb.86:
	s_cmp_eq_u32 s5, 1
	s_cbranch_scc0 .LBB224_90
; %bb.87:
	v_max_num_f32_e64 v5, s6, s6
	v_max_num_f32_e32 v10, v9, v9
	s_mov_b32 s13, 0
	s_delay_alu instid0(VALU_DEP_1) | instskip(NEXT) | instid1(VALU_DEP_1)
	v_min_num_f32_e32 v5, v10, v5
	v_cvt_f16_f32_e32 v5, v5
	s_branch .LBB224_91
.LBB224_88:
	v_max_num_f32_e64 v8, s6, s6
	v_max_num_f32_e64 v10, s7, s7
	s_delay_alu instid0(VALU_DEP_1) | instskip(NEXT) | instid1(VALU_DEP_1)
	v_maxmin_num_f32 v8, v9, v8, v10
	v_cvt_f16_f32_e32 v8, v8
	s_cbranch_execz .LBB224_83
	s_branch .LBB224_84
.LBB224_89:
	s_mov_b32 s13, 0
                                        ; implicit-def: $vgpr5
	s_cbranch_execnz .LBB224_92
	s_branch .LBB224_93
.LBB224_90:
	s_mov_b32 s13, -1
                                        ; implicit-def: $vgpr5
.LBB224_91:
	s_branch .LBB224_93
.LBB224_92:
	s_cmp_lg_u32 s5, 0
	s_mov_b32 s12, -1
	s_cselect_b32 s13, -1, 0
.LBB224_93:
	v_max_num_f32_e32 v9, v9, v9
	s_and_not1_b32 vcc_lo, exec_lo, s13
	s_cbranch_vccz .LBB224_120
; %bb.94:
	s_and_not1_b32 vcc_lo, exec_lo, s12
	s_cbranch_vccnz .LBB224_96
.LBB224_95:
	v_max_num_f32_e64 v5, s6, s6
	s_delay_alu instid0(VALU_DEP_1) | instskip(NEXT) | instid1(VALU_DEP_1)
	v_max_num_f32_e32 v5, v9, v5
	v_cvt_f16_f32_e32 v5, v5
.LBB224_96:
	s_or_b32 exec_lo, exec_lo, s3
	s_delay_alu instid0(VALU_DEP_1)
	v_perm_b32 v5, v5, v8, 0x5040100
	v_perm_b32 v4, v4, v7, 0x5040100
	;; [unrolled: 1-line block ×4, first 2 shown]
	s_add_nc_u64 s[12:13], s[8:9], s[0:1]
	s_mov_b32 s0, 0
	global_store_b128 v0, v[2:5], s[12:13] scale_offset
.LBB224_97:
	s_and_b32 vcc_lo, exec_lo, s0
	s_cbranch_vccz .LBB224_242
; %bb.98:
	v_cmp_gt_i32_e64 s0, s4, v0
	s_wait_xcnt 0x0
	v_dual_mov_b32 v3, 0 :: v_dual_bitop2_b32 v1, s2, v0 bitop3:0x54
	v_or_b32_e32 v2, 0x100, v0
	v_dual_mov_b32 v5, 0 :: v_dual_mov_b32 v11, v0
	s_and_saveexec_b32 s1, s0
	s_cbranch_execz .LBB224_100
; %bb.99:
	global_load_u16 v5, v1, s[10:11] scale_offset
	v_or_b32_e32 v11, 0x100, v0
.LBB224_100:
	s_wait_xcnt 0x0
	s_or_b32 exec_lo, exec_lo, s1
	s_delay_alu instid0(SALU_CYCLE_1) | instskip(NEXT) | instid1(VALU_DEP_1)
	s_mov_b32 s1, exec_lo
	v_cmpx_gt_i32_e64 s4, v11
	s_cbranch_execz .LBB224_102
; %bb.101:
	v_add_nc_u32_e32 v3, s2, v11
	v_add_nc_u32_e32 v11, 0x100, v11
	global_load_u16 v3, v3, s[10:11] scale_offset
.LBB224_102:
	s_wait_xcnt 0x0
	s_or_b32 exec_lo, exec_lo, s1
	v_dual_mov_b32 v4, 0 :: v_dual_mov_b32 v7, 0
	s_mov_b32 s1, exec_lo
	v_cmpx_gt_i32_e64 s4, v11
	s_cbranch_execz .LBB224_104
; %bb.103:
	v_add_nc_u32_e32 v6, s2, v11
	v_add_nc_u32_e32 v11, 0x100, v11
	global_load_u16 v7, v6, s[10:11] scale_offset
.LBB224_104:
	s_wait_xcnt 0x0
	s_or_b32 exec_lo, exec_lo, s1
	s_delay_alu instid0(SALU_CYCLE_1)
	s_mov_b32 s1, exec_lo
	v_cmpx_gt_i32_e64 s4, v11
	s_cbranch_execz .LBB224_106
; %bb.105:
	v_add_nc_u32_e32 v4, s2, v11
	v_add_nc_u32_e32 v11, 0x100, v11
	global_load_u16 v4, v4, s[10:11] scale_offset
.LBB224_106:
	s_wait_xcnt 0x0
	s_or_b32 exec_lo, exec_lo, s1
	v_dual_mov_b32 v6, 0 :: v_dual_mov_b32 v9, 0
	s_mov_b32 s1, exec_lo
	v_cmpx_gt_i32_e64 s4, v11
	s_cbranch_execz .LBB224_108
; %bb.107:
	v_add_nc_u32_e32 v8, s2, v11
	v_add_nc_u32_e32 v11, 0x100, v11
	global_load_u16 v9, v8, s[10:11] scale_offset
.LBB224_108:
	s_wait_xcnt 0x0
	s_or_b32 exec_lo, exec_lo, s1
	s_delay_alu instid0(SALU_CYCLE_1)
	s_mov_b32 s1, exec_lo
	v_cmpx_gt_i32_e64 s4, v11
	s_cbranch_execz .LBB224_110
; %bb.109:
	v_add_nc_u32_e32 v6, s2, v11
	v_add_nc_u32_e32 v11, 0x100, v11
	global_load_u16 v6, v6, s[10:11] scale_offset
.LBB224_110:
	s_wait_xcnt 0x0
	s_or_b32 exec_lo, exec_lo, s1
	v_dual_mov_b32 v8, 0 :: v_dual_mov_b32 v10, 0
	s_mov_b32 s1, exec_lo
	v_cmpx_gt_i32_e64 s4, v11
	s_cbranch_execnz .LBB224_114
; %bb.111:
	s_or_b32 exec_lo, exec_lo, s1
	s_delay_alu instid0(SALU_CYCLE_1)
	s_mov_b32 s1, exec_lo
	v_cmpx_gt_i32_e64 s4, v11
	s_cbranch_execnz .LBB224_115
.LBB224_112:
	s_or_b32 exec_lo, exec_lo, s1
	s_and_saveexec_b32 s1, s0
	s_cbranch_execnz .LBB224_116
.LBB224_113:
	s_or_b32 exec_lo, exec_lo, s1
	s_delay_alu instid0(SALU_CYCLE_1)
	s_mov_b32 s1, exec_lo
	v_cmpx_gt_i32_e64 s4, v2
	s_cbranch_execnz .LBB224_129
	s_branch .LBB224_142
.LBB224_114:
	v_add_nc_u32_e32 v10, s2, v11
	v_add_nc_u32_e32 v11, 0x100, v11
	global_load_u16 v10, v10, s[10:11] scale_offset
	s_wait_xcnt 0x0
	s_or_b32 exec_lo, exec_lo, s1
	s_delay_alu instid0(SALU_CYCLE_1)
	s_mov_b32 s1, exec_lo
	v_cmpx_gt_i32_e64 s4, v11
	s_cbranch_execz .LBB224_112
.LBB224_115:
	v_add_nc_u32_e32 v8, s2, v11
	global_load_u16 v8, v8, s[10:11] scale_offset
	s_wait_xcnt 0x0
	s_or_b32 exec_lo, exec_lo, s1
	s_and_saveexec_b32 s1, s0
	s_cbranch_execz .LBB224_113
.LBB224_116:
	s_mov_b32 s3, exec_lo
	s_wait_loadcnt 0x0
	v_cmpx_o_f16_e32 v5, v5
	s_cbranch_execz .LBB224_128
; %bb.117:
	v_cvt_f32_f16_e32 v11, v5
	s_cmp_lt_i32 s5, 1
	s_mov_b32 s10, 0
	s_cbranch_scc1 .LBB224_121
; %bb.118:
	s_cmp_eq_u32 s5, 1
	s_cbranch_scc0 .LBB224_122
; %bb.119:
	v_max_num_f32_e64 v5, s6, s6
	v_max_num_f32_e32 v12, v11, v11
	s_mov_b32 s11, 0
	s_delay_alu instid0(VALU_DEP_1) | instskip(NEXT) | instid1(VALU_DEP_1)
	v_min_num_f32_e32 v5, v12, v5
	v_cvt_f16_f32_e32 v5, v5
	s_branch .LBB224_123
.LBB224_120:
	v_max_num_f32_e64 v5, s6, s6
	v_max_num_f32_e64 v10, s7, s7
	s_delay_alu instid0(VALU_DEP_1) | instskip(NEXT) | instid1(VALU_DEP_1)
	v_maxmin_num_f32 v5, v9, v5, v10
	v_cvt_f16_f32_e32 v5, v5
	s_cbranch_execz .LBB224_95
	s_branch .LBB224_96
.LBB224_121:
	s_mov_b32 s11, 0
                                        ; implicit-def: $vgpr5
	s_cbranch_execnz .LBB224_124
	s_branch .LBB224_125
.LBB224_122:
	s_mov_b32 s11, -1
                                        ; implicit-def: $vgpr5
.LBB224_123:
	s_branch .LBB224_125
.LBB224_124:
	s_cmp_lg_u32 s5, 0
	s_mov_b32 s10, -1
	s_cselect_b32 s11, -1, 0
.LBB224_125:
	v_max_num_f32_e32 v11, v11, v11
	s_and_not1_b32 vcc_lo, exec_lo, s11
	s_cbranch_vccz .LBB224_133
; %bb.126:
	s_and_not1_b32 vcc_lo, exec_lo, s10
	s_cbranch_vccnz .LBB224_128
.LBB224_127:
	v_max_num_f32_e64 v5, s6, s6
	s_delay_alu instid0(VALU_DEP_1) | instskip(NEXT) | instid1(VALU_DEP_1)
	v_max_num_f32_e32 v5, v11, v5
	v_cvt_f16_f32_e32 v5, v5
.LBB224_128:
	s_or_b32 exec_lo, exec_lo, s3
	s_delay_alu instid0(SALU_CYCLE_1) | instskip(NEXT) | instid1(SALU_CYCLE_1)
	s_or_b32 exec_lo, exec_lo, s1
	s_mov_b32 s1, exec_lo
	v_cmpx_gt_i32_e64 s4, v2
	s_cbranch_execz .LBB224_142
.LBB224_129:
	s_mov_b32 s3, exec_lo
	s_wait_loadcnt 0x0
	v_cmpx_o_f16_e32 v3, v3
	s_cbranch_execz .LBB224_141
; %bb.130:
	v_cvt_f32_f16_e32 v11, v3
	s_cmp_lt_i32 s5, 1
	s_mov_b32 s10, 0
	s_cbranch_scc1 .LBB224_134
; %bb.131:
	s_cmp_eq_u32 s5, 1
	s_cbranch_scc0 .LBB224_135
; %bb.132:
	v_max_num_f32_e64 v3, s6, s6
	v_max_num_f32_e32 v12, v11, v11
	s_mov_b32 s11, 0
	s_delay_alu instid0(VALU_DEP_1) | instskip(NEXT) | instid1(VALU_DEP_1)
	v_min_num_f32_e32 v3, v12, v3
	v_cvt_f16_f32_e32 v3, v3
	s_branch .LBB224_136
.LBB224_133:
	v_max_num_f32_e64 v5, s6, s6
	v_max_num_f32_e64 v12, s7, s7
	s_delay_alu instid0(VALU_DEP_1) | instskip(NEXT) | instid1(VALU_DEP_1)
	v_maxmin_num_f32 v5, v11, v5, v12
	v_cvt_f16_f32_e32 v5, v5
	s_cbranch_execz .LBB224_127
	s_branch .LBB224_128
.LBB224_134:
	s_mov_b32 s11, 0
                                        ; implicit-def: $vgpr3
	s_cbranch_execnz .LBB224_137
	s_branch .LBB224_138
.LBB224_135:
	s_mov_b32 s11, -1
                                        ; implicit-def: $vgpr3
.LBB224_136:
	s_branch .LBB224_138
.LBB224_137:
	s_cmp_lg_u32 s5, 0
	s_mov_b32 s10, -1
	s_cselect_b32 s11, -1, 0
.LBB224_138:
	v_max_num_f32_e32 v11, v11, v11
	s_and_not1_b32 vcc_lo, exec_lo, s11
	s_cbranch_vccz .LBB224_147
; %bb.139:
	s_and_not1_b32 vcc_lo, exec_lo, s10
	s_cbranch_vccnz .LBB224_141
.LBB224_140:
	v_max_num_f32_e64 v3, s6, s6
	s_delay_alu instid0(VALU_DEP_1) | instskip(NEXT) | instid1(VALU_DEP_1)
	v_max_num_f32_e32 v3, v11, v3
	v_cvt_f16_f32_e32 v3, v3
.LBB224_141:
	s_or_b32 exec_lo, exec_lo, s3
.LBB224_142:
	s_delay_alu instid0(SALU_CYCLE_1) | instskip(SKIP_2) | instid1(VALU_DEP_1)
	s_or_b32 exec_lo, exec_lo, s1
	v_or_b32_e32 v11, 0x200, v0
	s_mov_b32 s1, exec_lo
	v_cmpx_gt_i32_e64 s4, v11
	s_cbranch_execz .LBB224_156
; %bb.143:
	s_mov_b32 s3, exec_lo
	s_wait_loadcnt 0x0
	v_cmpx_o_f16_e32 v7, v7
	s_cbranch_execz .LBB224_155
; %bb.144:
	v_cvt_f32_f16_e32 v11, v7
	s_cmp_lt_i32 s5, 1
	s_mov_b32 s10, 0
	s_cbranch_scc1 .LBB224_148
; %bb.145:
	s_cmp_eq_u32 s5, 1
	s_cbranch_scc0 .LBB224_149
; %bb.146:
	v_max_num_f32_e64 v7, s6, s6
	v_max_num_f32_e32 v12, v11, v11
	s_mov_b32 s11, 0
	s_delay_alu instid0(VALU_DEP_1) | instskip(NEXT) | instid1(VALU_DEP_1)
	v_min_num_f32_e32 v7, v12, v7
	v_cvt_f16_f32_e32 v7, v7
	s_branch .LBB224_150
.LBB224_147:
	v_max_num_f32_e64 v3, s6, s6
	v_max_num_f32_e64 v12, s7, s7
	s_delay_alu instid0(VALU_DEP_1) | instskip(NEXT) | instid1(VALU_DEP_1)
	v_maxmin_num_f32 v3, v11, v3, v12
	v_cvt_f16_f32_e32 v3, v3
	s_cbranch_execz .LBB224_140
	s_branch .LBB224_141
.LBB224_148:
	s_mov_b32 s11, 0
                                        ; implicit-def: $vgpr7
	s_cbranch_execnz .LBB224_151
	s_branch .LBB224_152
.LBB224_149:
	s_mov_b32 s11, -1
                                        ; implicit-def: $vgpr7
.LBB224_150:
	s_branch .LBB224_152
.LBB224_151:
	s_cmp_lg_u32 s5, 0
	s_mov_b32 s10, -1
	s_cselect_b32 s11, -1, 0
.LBB224_152:
	v_max_num_f32_e32 v11, v11, v11
	s_and_not1_b32 vcc_lo, exec_lo, s11
	s_cbranch_vccz .LBB224_161
; %bb.153:
	s_and_not1_b32 vcc_lo, exec_lo, s10
	s_cbranch_vccnz .LBB224_155
.LBB224_154:
	v_max_num_f32_e64 v7, s6, s6
	s_delay_alu instid0(VALU_DEP_1) | instskip(NEXT) | instid1(VALU_DEP_1)
	v_max_num_f32_e32 v7, v11, v7
	v_cvt_f16_f32_e32 v7, v7
.LBB224_155:
	s_or_b32 exec_lo, exec_lo, s3
.LBB224_156:
	s_delay_alu instid0(SALU_CYCLE_1) | instskip(SKIP_2) | instid1(VALU_DEP_1)
	s_or_b32 exec_lo, exec_lo, s1
	v_or_b32_e32 v11, 0x300, v0
	s_mov_b32 s1, exec_lo
	v_cmpx_gt_i32_e64 s4, v11
	s_cbranch_execz .LBB224_170
; %bb.157:
	s_mov_b32 s3, exec_lo
	s_wait_loadcnt 0x0
	v_cmpx_o_f16_e32 v4, v4
	s_cbranch_execz .LBB224_169
; %bb.158:
	v_cvt_f32_f16_e32 v11, v4
	s_cmp_lt_i32 s5, 1
	s_mov_b32 s10, 0
	s_cbranch_scc1 .LBB224_162
; %bb.159:
	s_cmp_eq_u32 s5, 1
	s_cbranch_scc0 .LBB224_163
; %bb.160:
	v_max_num_f32_e64 v4, s6, s6
	v_max_num_f32_e32 v12, v11, v11
	s_mov_b32 s11, 0
	s_delay_alu instid0(VALU_DEP_1) | instskip(NEXT) | instid1(VALU_DEP_1)
	v_min_num_f32_e32 v4, v12, v4
	v_cvt_f16_f32_e32 v4, v4
	s_branch .LBB224_164
.LBB224_161:
	v_max_num_f32_e64 v7, s6, s6
	v_max_num_f32_e64 v12, s7, s7
	s_delay_alu instid0(VALU_DEP_1) | instskip(NEXT) | instid1(VALU_DEP_1)
	v_maxmin_num_f32 v7, v11, v7, v12
	v_cvt_f16_f32_e32 v7, v7
	s_cbranch_execz .LBB224_154
	s_branch .LBB224_155
.LBB224_162:
	s_mov_b32 s11, 0
                                        ; implicit-def: $vgpr4
	s_cbranch_execnz .LBB224_165
	s_branch .LBB224_166
.LBB224_163:
	s_mov_b32 s11, -1
                                        ; implicit-def: $vgpr4
.LBB224_164:
	s_branch .LBB224_166
.LBB224_165:
	s_cmp_lg_u32 s5, 0
	s_mov_b32 s10, -1
	s_cselect_b32 s11, -1, 0
.LBB224_166:
	v_max_num_f32_e32 v11, v11, v11
	s_and_not1_b32 vcc_lo, exec_lo, s11
	s_cbranch_vccz .LBB224_175
; %bb.167:
	s_and_not1_b32 vcc_lo, exec_lo, s10
	s_cbranch_vccnz .LBB224_169
.LBB224_168:
	v_max_num_f32_e64 v4, s6, s6
	s_delay_alu instid0(VALU_DEP_1) | instskip(NEXT) | instid1(VALU_DEP_1)
	v_max_num_f32_e32 v4, v11, v4
	v_cvt_f16_f32_e32 v4, v4
.LBB224_169:
	s_or_b32 exec_lo, exec_lo, s3
.LBB224_170:
	s_delay_alu instid0(SALU_CYCLE_1) | instskip(SKIP_2) | instid1(VALU_DEP_1)
	s_or_b32 exec_lo, exec_lo, s1
	v_or_b32_e32 v11, 0x400, v0
	s_mov_b32 s1, exec_lo
	v_cmpx_gt_i32_e64 s4, v11
	s_cbranch_execz .LBB224_184
; %bb.171:
	s_mov_b32 s3, exec_lo
	s_wait_loadcnt 0x0
	v_cmpx_o_f16_e32 v9, v9
	s_cbranch_execz .LBB224_183
; %bb.172:
	v_cvt_f32_f16_e32 v11, v9
	s_cmp_lt_i32 s5, 1
	s_mov_b32 s10, 0
	s_cbranch_scc1 .LBB224_176
; %bb.173:
	s_cmp_eq_u32 s5, 1
	s_cbranch_scc0 .LBB224_177
; %bb.174:
	v_max_num_f32_e64 v9, s6, s6
	v_max_num_f32_e32 v12, v11, v11
	s_mov_b32 s11, 0
	s_delay_alu instid0(VALU_DEP_1) | instskip(NEXT) | instid1(VALU_DEP_1)
	v_min_num_f32_e32 v9, v12, v9
	v_cvt_f16_f32_e32 v9, v9
	s_branch .LBB224_178
.LBB224_175:
	v_max_num_f32_e64 v4, s6, s6
	v_max_num_f32_e64 v12, s7, s7
	s_delay_alu instid0(VALU_DEP_1) | instskip(NEXT) | instid1(VALU_DEP_1)
	v_maxmin_num_f32 v4, v11, v4, v12
	v_cvt_f16_f32_e32 v4, v4
	s_cbranch_execz .LBB224_168
	s_branch .LBB224_169
.LBB224_176:
	s_mov_b32 s11, 0
                                        ; implicit-def: $vgpr9
	s_cbranch_execnz .LBB224_179
	s_branch .LBB224_180
.LBB224_177:
	s_mov_b32 s11, -1
                                        ; implicit-def: $vgpr9
.LBB224_178:
	s_branch .LBB224_180
.LBB224_179:
	s_cmp_lg_u32 s5, 0
	s_mov_b32 s10, -1
	s_cselect_b32 s11, -1, 0
.LBB224_180:
	v_max_num_f32_e32 v11, v11, v11
	s_and_not1_b32 vcc_lo, exec_lo, s11
	s_cbranch_vccz .LBB224_189
; %bb.181:
	s_and_not1_b32 vcc_lo, exec_lo, s10
	s_cbranch_vccnz .LBB224_183
.LBB224_182:
	v_max_num_f32_e64 v9, s6, s6
	s_delay_alu instid0(VALU_DEP_1) | instskip(NEXT) | instid1(VALU_DEP_1)
	v_max_num_f32_e32 v9, v11, v9
	v_cvt_f16_f32_e32 v9, v9
.LBB224_183:
	s_or_b32 exec_lo, exec_lo, s3
.LBB224_184:
	s_delay_alu instid0(SALU_CYCLE_1) | instskip(SKIP_2) | instid1(VALU_DEP_1)
	s_or_b32 exec_lo, exec_lo, s1
	v_or_b32_e32 v11, 0x500, v0
	s_mov_b32 s1, exec_lo
	v_cmpx_gt_i32_e64 s4, v11
	s_cbranch_execz .LBB224_198
; %bb.185:
	s_mov_b32 s3, exec_lo
	s_wait_loadcnt 0x0
	v_cmpx_o_f16_e32 v6, v6
	s_cbranch_execz .LBB224_197
; %bb.186:
	v_cvt_f32_f16_e32 v11, v6
	s_cmp_lt_i32 s5, 1
	s_mov_b32 s10, 0
	s_cbranch_scc1 .LBB224_190
; %bb.187:
	s_cmp_eq_u32 s5, 1
	s_cbranch_scc0 .LBB224_191
; %bb.188:
	v_max_num_f32_e64 v6, s6, s6
	v_max_num_f32_e32 v12, v11, v11
	s_mov_b32 s11, 0
	s_delay_alu instid0(VALU_DEP_1) | instskip(NEXT) | instid1(VALU_DEP_1)
	v_min_num_f32_e32 v6, v12, v6
	v_cvt_f16_f32_e32 v6, v6
	s_branch .LBB224_192
.LBB224_189:
	v_max_num_f32_e64 v9, s6, s6
	v_max_num_f32_e64 v12, s7, s7
	s_delay_alu instid0(VALU_DEP_1) | instskip(NEXT) | instid1(VALU_DEP_1)
	v_maxmin_num_f32 v9, v11, v9, v12
	v_cvt_f16_f32_e32 v9, v9
	s_cbranch_execz .LBB224_182
	s_branch .LBB224_183
.LBB224_190:
	s_mov_b32 s11, 0
                                        ; implicit-def: $vgpr6
	s_cbranch_execnz .LBB224_193
	s_branch .LBB224_194
.LBB224_191:
	s_mov_b32 s11, -1
                                        ; implicit-def: $vgpr6
.LBB224_192:
	s_branch .LBB224_194
.LBB224_193:
	s_cmp_lg_u32 s5, 0
	s_mov_b32 s10, -1
	s_cselect_b32 s11, -1, 0
.LBB224_194:
	v_max_num_f32_e32 v11, v11, v11
	s_and_not1_b32 vcc_lo, exec_lo, s11
	s_cbranch_vccz .LBB224_203
; %bb.195:
	s_and_not1_b32 vcc_lo, exec_lo, s10
	s_cbranch_vccnz .LBB224_197
.LBB224_196:
	v_max_num_f32_e64 v6, s6, s6
	s_delay_alu instid0(VALU_DEP_1) | instskip(NEXT) | instid1(VALU_DEP_1)
	v_max_num_f32_e32 v6, v11, v6
	v_cvt_f16_f32_e32 v6, v6
.LBB224_197:
	s_or_b32 exec_lo, exec_lo, s3
.LBB224_198:
	s_delay_alu instid0(SALU_CYCLE_1) | instskip(SKIP_2) | instid1(VALU_DEP_1)
	s_or_b32 exec_lo, exec_lo, s1
	v_or_b32_e32 v11, 0x600, v0
	s_mov_b32 s1, exec_lo
	v_cmpx_gt_i32_e64 s4, v11
	s_cbranch_execz .LBB224_212
; %bb.199:
	s_mov_b32 s3, exec_lo
	s_wait_loadcnt 0x0
	v_cmpx_o_f16_e32 v10, v10
	s_cbranch_execz .LBB224_211
; %bb.200:
	v_cvt_f32_f16_e32 v11, v10
	s_cmp_lt_i32 s5, 1
	s_mov_b32 s10, 0
	s_cbranch_scc1 .LBB224_204
; %bb.201:
	s_cmp_eq_u32 s5, 1
	s_cbranch_scc0 .LBB224_205
; %bb.202:
	v_max_num_f32_e64 v10, s6, s6
	v_max_num_f32_e32 v12, v11, v11
	s_mov_b32 s11, 0
	s_delay_alu instid0(VALU_DEP_1) | instskip(NEXT) | instid1(VALU_DEP_1)
	v_min_num_f32_e32 v10, v12, v10
	v_cvt_f16_f32_e32 v10, v10
	s_branch .LBB224_206
.LBB224_203:
	v_max_num_f32_e64 v6, s6, s6
	v_max_num_f32_e64 v12, s7, s7
	s_delay_alu instid0(VALU_DEP_1) | instskip(NEXT) | instid1(VALU_DEP_1)
	v_maxmin_num_f32 v6, v11, v6, v12
	v_cvt_f16_f32_e32 v6, v6
	s_cbranch_execz .LBB224_196
	s_branch .LBB224_197
.LBB224_204:
	s_mov_b32 s11, 0
                                        ; implicit-def: $vgpr10
	s_cbranch_execnz .LBB224_207
	s_branch .LBB224_208
.LBB224_205:
	s_mov_b32 s11, -1
                                        ; implicit-def: $vgpr10
.LBB224_206:
	s_branch .LBB224_208
.LBB224_207:
	s_cmp_lg_u32 s5, 0
	s_mov_b32 s10, -1
	s_cselect_b32 s11, -1, 0
.LBB224_208:
	v_max_num_f32_e32 v11, v11, v11
	s_and_not1_b32 vcc_lo, exec_lo, s11
	s_cbranch_vccz .LBB224_226
; %bb.209:
	s_and_not1_b32 vcc_lo, exec_lo, s10
	s_cbranch_vccnz .LBB224_211
.LBB224_210:
	v_max_num_f32_e64 v10, s6, s6
	s_delay_alu instid0(VALU_DEP_1) | instskip(NEXT) | instid1(VALU_DEP_1)
	v_max_num_f32_e32 v10, v11, v10
	v_cvt_f16_f32_e32 v10, v10
.LBB224_211:
	s_or_b32 exec_lo, exec_lo, s3
.LBB224_212:
	s_delay_alu instid0(SALU_CYCLE_1) | instskip(SKIP_2) | instid1(VALU_DEP_1)
	s_or_b32 exec_lo, exec_lo, s1
	v_or_b32_e32 v11, 0x700, v0
	s_mov_b32 s1, exec_lo
	v_cmpx_gt_i32_e64 s4, v11
	s_cbranch_execnz .LBB224_222
; %bb.213:
	s_or_b32 exec_lo, exec_lo, s1
	s_and_saveexec_b32 s1, s0
	s_delay_alu instid0(SALU_CYCLE_1)
	s_xor_b32 s0, exec_lo, s1
	s_cbranch_execnz .LBB224_235
.LBB224_214:
	s_or_b32 exec_lo, exec_lo, s0
	s_delay_alu instid0(SALU_CYCLE_1)
	s_mov_b32 s0, exec_lo
	v_cmpx_gt_i32_e64 s4, v0
	s_cbranch_execnz .LBB224_236
.LBB224_215:
	s_or_b32 exec_lo, exec_lo, s0
	s_delay_alu instid0(SALU_CYCLE_1)
	s_mov_b32 s0, exec_lo
	v_cmpx_gt_i32_e64 s4, v0
	s_cbranch_execnz .LBB224_237
.LBB224_216:
	s_or_b32 exec_lo, exec_lo, s0
	s_delay_alu instid0(SALU_CYCLE_1)
	s_mov_b32 s0, exec_lo
	v_cmpx_gt_i32_e64 s4, v0
	s_cbranch_execnz .LBB224_238
.LBB224_217:
	s_or_b32 exec_lo, exec_lo, s0
	s_delay_alu instid0(SALU_CYCLE_1)
	s_mov_b32 s0, exec_lo
	v_cmpx_gt_i32_e64 s4, v0
	s_cbranch_execnz .LBB224_239
.LBB224_218:
	s_or_b32 exec_lo, exec_lo, s0
	s_delay_alu instid0(SALU_CYCLE_1)
	s_mov_b32 s0, exec_lo
	v_cmpx_gt_i32_e64 s4, v0
	s_cbranch_execnz .LBB224_240
.LBB224_219:
	s_or_b32 exec_lo, exec_lo, s0
	s_delay_alu instid0(SALU_CYCLE_1)
	s_mov_b32 s0, exec_lo
	v_cmpx_gt_i32_e64 s4, v0
	s_cbranch_execnz .LBB224_241
.LBB224_220:
	s_or_b32 exec_lo, exec_lo, s0
	s_delay_alu instid0(SALU_CYCLE_1)
	s_mov_b32 s0, exec_lo
	v_cmpx_gt_i32_e64 s4, v0
	s_cbranch_execz .LBB224_242
.LBB224_221:
	v_add_nc_u32_e32 v0, s2, v0
	s_wait_loadcnt 0x0
	global_store_b16 v0, v8, s[8:9] scale_offset
	s_endpgm
.LBB224_222:
	s_mov_b32 s3, exec_lo
	s_wait_loadcnt 0x0
	v_cmpx_o_f16_e32 v8, v8
	s_cbranch_execz .LBB224_234
; %bb.223:
	v_cvt_f32_f16_e32 v11, v8
	s_cmp_lt_i32 s5, 1
	s_mov_b32 s10, 0
	s_cbranch_scc1 .LBB224_227
; %bb.224:
	s_cmp_eq_u32 s5, 1
	s_cbranch_scc0 .LBB224_228
; %bb.225:
	v_max_num_f32_e64 v8, s6, s6
	v_max_num_f32_e32 v12, v11, v11
	s_mov_b32 s11, 0
	s_delay_alu instid0(VALU_DEP_1) | instskip(NEXT) | instid1(VALU_DEP_1)
	v_min_num_f32_e32 v8, v12, v8
	v_cvt_f16_f32_e32 v8, v8
	s_branch .LBB224_229
.LBB224_226:
	v_max_num_f32_e64 v10, s6, s6
	v_max_num_f32_e64 v12, s7, s7
	s_delay_alu instid0(VALU_DEP_1) | instskip(NEXT) | instid1(VALU_DEP_1)
	v_maxmin_num_f32 v10, v11, v10, v12
	v_cvt_f16_f32_e32 v10, v10
	s_cbranch_execz .LBB224_210
	s_branch .LBB224_211
.LBB224_227:
	s_mov_b32 s11, 0
                                        ; implicit-def: $vgpr8
	s_cbranch_execnz .LBB224_230
	s_branch .LBB224_231
.LBB224_228:
	s_mov_b32 s11, -1
                                        ; implicit-def: $vgpr8
.LBB224_229:
	s_branch .LBB224_231
.LBB224_230:
	s_cmp_lg_u32 s5, 0
	s_mov_b32 s10, -1
	s_cselect_b32 s11, -1, 0
.LBB224_231:
	v_max_num_f32_e64 v12, s6, s6
	v_max_num_f32_e32 v11, v11, v11
	s_and_not1_b32 vcc_lo, exec_lo, s11
	s_cbranch_vccz .LBB224_243
; %bb.232:
	s_and_not1_b32 vcc_lo, exec_lo, s10
	s_cbranch_vccnz .LBB224_234
.LBB224_233:
	v_max_num_f32_e32 v8, v11, v12
	s_delay_alu instid0(VALU_DEP_1)
	v_cvt_f16_f32_e32 v8, v8
.LBB224_234:
	s_or_b32 exec_lo, exec_lo, s3
	s_delay_alu instid0(SALU_CYCLE_1) | instskip(SKIP_1) | instid1(SALU_CYCLE_1)
	s_or_b32 exec_lo, exec_lo, s1
	s_and_saveexec_b32 s1, s0
	s_xor_b32 s0, exec_lo, s1
	s_cbranch_execz .LBB224_214
.LBB224_235:
	v_mov_b32_e32 v0, v2
	s_wait_loadcnt 0x0
	global_store_b16 v1, v5, s[8:9] scale_offset
	s_wait_xcnt 0x0
	s_or_b32 exec_lo, exec_lo, s0
	s_delay_alu instid0(SALU_CYCLE_1)
	s_mov_b32 s0, exec_lo
	v_cmpx_gt_i32_e64 s4, v0
	s_cbranch_execz .LBB224_215
.LBB224_236:
	v_add_nc_u32_e32 v1, s2, v0
	v_add_nc_u32_e32 v0, 0x100, v0
	s_wait_loadcnt 0x0
	global_store_b16 v1, v3, s[8:9] scale_offset
	s_wait_xcnt 0x0
	s_or_b32 exec_lo, exec_lo, s0
	s_delay_alu instid0(SALU_CYCLE_1)
	s_mov_b32 s0, exec_lo
	v_cmpx_gt_i32_e64 s4, v0
	s_cbranch_execz .LBB224_216
.LBB224_237:
	v_add_nc_u32_e32 v1, s2, v0
	v_add_nc_u32_e32 v0, 0x100, v0
	s_wait_loadcnt 0x0
	global_store_b16 v1, v7, s[8:9] scale_offset
	s_wait_xcnt 0x0
	s_or_b32 exec_lo, exec_lo, s0
	s_delay_alu instid0(SALU_CYCLE_1)
	s_mov_b32 s0, exec_lo
	v_cmpx_gt_i32_e64 s4, v0
	s_cbranch_execz .LBB224_217
.LBB224_238:
	v_add_nc_u32_e32 v1, s2, v0
	v_add_nc_u32_e32 v0, 0x100, v0
	s_wait_loadcnt 0x0
	global_store_b16 v1, v4, s[8:9] scale_offset
	s_wait_xcnt 0x0
	s_or_b32 exec_lo, exec_lo, s0
	s_delay_alu instid0(SALU_CYCLE_1)
	s_mov_b32 s0, exec_lo
	v_cmpx_gt_i32_e64 s4, v0
	s_cbranch_execz .LBB224_218
.LBB224_239:
	v_add_nc_u32_e32 v1, s2, v0
	v_add_nc_u32_e32 v0, 0x100, v0
	s_wait_loadcnt 0x0
	global_store_b16 v1, v9, s[8:9] scale_offset
	s_wait_xcnt 0x0
	s_or_b32 exec_lo, exec_lo, s0
	s_delay_alu instid0(SALU_CYCLE_1)
	s_mov_b32 s0, exec_lo
	v_cmpx_gt_i32_e64 s4, v0
	s_cbranch_execz .LBB224_219
.LBB224_240:
	v_add_nc_u32_e32 v1, s2, v0
	v_add_nc_u32_e32 v0, 0x100, v0
	s_wait_loadcnt 0x0
	global_store_b16 v1, v6, s[8:9] scale_offset
	s_wait_xcnt 0x0
	s_or_b32 exec_lo, exec_lo, s0
	s_delay_alu instid0(SALU_CYCLE_1)
	s_mov_b32 s0, exec_lo
	v_cmpx_gt_i32_e64 s4, v0
	s_cbranch_execz .LBB224_220
.LBB224_241:
	v_add_nc_u32_e32 v1, s2, v0
	v_add_nc_u32_e32 v0, 0x100, v0
	s_wait_loadcnt 0x0
	global_store_b16 v1, v10, s[8:9] scale_offset
	s_wait_xcnt 0x0
	s_or_b32 exec_lo, exec_lo, s0
	s_delay_alu instid0(SALU_CYCLE_1)
	s_mov_b32 s0, exec_lo
	v_cmpx_gt_i32_e64 s4, v0
	s_cbranch_execnz .LBB224_221
.LBB224_242:
	s_endpgm
.LBB224_243:
	v_max_num_f32_e64 v8, s7, s7
	s_delay_alu instid0(VALU_DEP_1) | instskip(NEXT) | instid1(VALU_DEP_1)
	v_maxmin_num_f32 v8, v11, v12, v8
	v_cvt_f16_f32_e32 v8, v8
	s_cbranch_execz .LBB224_233
	s_branch .LBB224_234
	.section	.rodata,"a",@progbits
	.p2align	6, 0x0
	.amdhsa_kernel _ZN2at6native29vectorized_elementwise_kernelILi16EZZZNS0_12_GLOBAL__N_119launch_clamp_scalarERNS_18TensorIteratorBaseEN3c106ScalarES6_NS0_6detail11ClampLimitsEENKUlvE_clEvENKUlvE6_clEvEUlNS5_4HalfEE_St5arrayIPcLm2EEEEviT0_T1_
		.amdhsa_group_segment_fixed_size 0
		.amdhsa_private_segment_fixed_size 0
		.amdhsa_kernarg_size 32
		.amdhsa_user_sgpr_count 2
		.amdhsa_user_sgpr_dispatch_ptr 0
		.amdhsa_user_sgpr_queue_ptr 0
		.amdhsa_user_sgpr_kernarg_segment_ptr 1
		.amdhsa_user_sgpr_dispatch_id 0
		.amdhsa_user_sgpr_kernarg_preload_length 0
		.amdhsa_user_sgpr_kernarg_preload_offset 0
		.amdhsa_user_sgpr_private_segment_size 0
		.amdhsa_wavefront_size32 1
		.amdhsa_uses_dynamic_stack 0
		.amdhsa_enable_private_segment 0
		.amdhsa_system_sgpr_workgroup_id_x 1
		.amdhsa_system_sgpr_workgroup_id_y 0
		.amdhsa_system_sgpr_workgroup_id_z 0
		.amdhsa_system_sgpr_workgroup_info 0
		.amdhsa_system_vgpr_workitem_id 0
		.amdhsa_next_free_vgpr 13
		.amdhsa_next_free_sgpr 14
		.amdhsa_named_barrier_count 0
		.amdhsa_reserve_vcc 1
		.amdhsa_float_round_mode_32 0
		.amdhsa_float_round_mode_16_64 0
		.amdhsa_float_denorm_mode_32 3
		.amdhsa_float_denorm_mode_16_64 3
		.amdhsa_fp16_overflow 0
		.amdhsa_memory_ordered 1
		.amdhsa_forward_progress 1
		.amdhsa_inst_pref_size 36
		.amdhsa_round_robin_scheduling 0
		.amdhsa_exception_fp_ieee_invalid_op 0
		.amdhsa_exception_fp_denorm_src 0
		.amdhsa_exception_fp_ieee_div_zero 0
		.amdhsa_exception_fp_ieee_overflow 0
		.amdhsa_exception_fp_ieee_underflow 0
		.amdhsa_exception_fp_ieee_inexact 0
		.amdhsa_exception_int_div_zero 0
	.end_amdhsa_kernel
	.section	.text._ZN2at6native29vectorized_elementwise_kernelILi16EZZZNS0_12_GLOBAL__N_119launch_clamp_scalarERNS_18TensorIteratorBaseEN3c106ScalarES6_NS0_6detail11ClampLimitsEENKUlvE_clEvENKUlvE6_clEvEUlNS5_4HalfEE_St5arrayIPcLm2EEEEviT0_T1_,"axG",@progbits,_ZN2at6native29vectorized_elementwise_kernelILi16EZZZNS0_12_GLOBAL__N_119launch_clamp_scalarERNS_18TensorIteratorBaseEN3c106ScalarES6_NS0_6detail11ClampLimitsEENKUlvE_clEvENKUlvE6_clEvEUlNS5_4HalfEE_St5arrayIPcLm2EEEEviT0_T1_,comdat
.Lfunc_end224:
	.size	_ZN2at6native29vectorized_elementwise_kernelILi16EZZZNS0_12_GLOBAL__N_119launch_clamp_scalarERNS_18TensorIteratorBaseEN3c106ScalarES6_NS0_6detail11ClampLimitsEENKUlvE_clEvENKUlvE6_clEvEUlNS5_4HalfEE_St5arrayIPcLm2EEEEviT0_T1_, .Lfunc_end224-_ZN2at6native29vectorized_elementwise_kernelILi16EZZZNS0_12_GLOBAL__N_119launch_clamp_scalarERNS_18TensorIteratorBaseEN3c106ScalarES6_NS0_6detail11ClampLimitsEENKUlvE_clEvENKUlvE6_clEvEUlNS5_4HalfEE_St5arrayIPcLm2EEEEviT0_T1_
                                        ; -- End function
	.set _ZN2at6native29vectorized_elementwise_kernelILi16EZZZNS0_12_GLOBAL__N_119launch_clamp_scalarERNS_18TensorIteratorBaseEN3c106ScalarES6_NS0_6detail11ClampLimitsEENKUlvE_clEvENKUlvE6_clEvEUlNS5_4HalfEE_St5arrayIPcLm2EEEEviT0_T1_.num_vgpr, 13
	.set _ZN2at6native29vectorized_elementwise_kernelILi16EZZZNS0_12_GLOBAL__N_119launch_clamp_scalarERNS_18TensorIteratorBaseEN3c106ScalarES6_NS0_6detail11ClampLimitsEENKUlvE_clEvENKUlvE6_clEvEUlNS5_4HalfEE_St5arrayIPcLm2EEEEviT0_T1_.num_agpr, 0
	.set _ZN2at6native29vectorized_elementwise_kernelILi16EZZZNS0_12_GLOBAL__N_119launch_clamp_scalarERNS_18TensorIteratorBaseEN3c106ScalarES6_NS0_6detail11ClampLimitsEENKUlvE_clEvENKUlvE6_clEvEUlNS5_4HalfEE_St5arrayIPcLm2EEEEviT0_T1_.numbered_sgpr, 14
	.set _ZN2at6native29vectorized_elementwise_kernelILi16EZZZNS0_12_GLOBAL__N_119launch_clamp_scalarERNS_18TensorIteratorBaseEN3c106ScalarES6_NS0_6detail11ClampLimitsEENKUlvE_clEvENKUlvE6_clEvEUlNS5_4HalfEE_St5arrayIPcLm2EEEEviT0_T1_.num_named_barrier, 0
	.set _ZN2at6native29vectorized_elementwise_kernelILi16EZZZNS0_12_GLOBAL__N_119launch_clamp_scalarERNS_18TensorIteratorBaseEN3c106ScalarES6_NS0_6detail11ClampLimitsEENKUlvE_clEvENKUlvE6_clEvEUlNS5_4HalfEE_St5arrayIPcLm2EEEEviT0_T1_.private_seg_size, 0
	.set _ZN2at6native29vectorized_elementwise_kernelILi16EZZZNS0_12_GLOBAL__N_119launch_clamp_scalarERNS_18TensorIteratorBaseEN3c106ScalarES6_NS0_6detail11ClampLimitsEENKUlvE_clEvENKUlvE6_clEvEUlNS5_4HalfEE_St5arrayIPcLm2EEEEviT0_T1_.uses_vcc, 1
	.set _ZN2at6native29vectorized_elementwise_kernelILi16EZZZNS0_12_GLOBAL__N_119launch_clamp_scalarERNS_18TensorIteratorBaseEN3c106ScalarES6_NS0_6detail11ClampLimitsEENKUlvE_clEvENKUlvE6_clEvEUlNS5_4HalfEE_St5arrayIPcLm2EEEEviT0_T1_.uses_flat_scratch, 0
	.set _ZN2at6native29vectorized_elementwise_kernelILi16EZZZNS0_12_GLOBAL__N_119launch_clamp_scalarERNS_18TensorIteratorBaseEN3c106ScalarES6_NS0_6detail11ClampLimitsEENKUlvE_clEvENKUlvE6_clEvEUlNS5_4HalfEE_St5arrayIPcLm2EEEEviT0_T1_.has_dyn_sized_stack, 0
	.set _ZN2at6native29vectorized_elementwise_kernelILi16EZZZNS0_12_GLOBAL__N_119launch_clamp_scalarERNS_18TensorIteratorBaseEN3c106ScalarES6_NS0_6detail11ClampLimitsEENKUlvE_clEvENKUlvE6_clEvEUlNS5_4HalfEE_St5arrayIPcLm2EEEEviT0_T1_.has_recursion, 0
	.set _ZN2at6native29vectorized_elementwise_kernelILi16EZZZNS0_12_GLOBAL__N_119launch_clamp_scalarERNS_18TensorIteratorBaseEN3c106ScalarES6_NS0_6detail11ClampLimitsEENKUlvE_clEvENKUlvE6_clEvEUlNS5_4HalfEE_St5arrayIPcLm2EEEEviT0_T1_.has_indirect_call, 0
	.section	.AMDGPU.csdata,"",@progbits
; Kernel info:
; codeLenInByte = 4572
; TotalNumSgprs: 16
; NumVgprs: 13
; ScratchSize: 0
; MemoryBound: 0
; FloatMode: 240
; IeeeMode: 1
; LDSByteSize: 0 bytes/workgroup (compile time only)
; SGPRBlocks: 0
; VGPRBlocks: 0
; NumSGPRsForWavesPerEU: 16
; NumVGPRsForWavesPerEU: 13
; NamedBarCnt: 0
; Occupancy: 16
; WaveLimiterHint : 0
; COMPUTE_PGM_RSRC2:SCRATCH_EN: 0
; COMPUTE_PGM_RSRC2:USER_SGPR: 2
; COMPUTE_PGM_RSRC2:TRAP_HANDLER: 0
; COMPUTE_PGM_RSRC2:TGID_X_EN: 1
; COMPUTE_PGM_RSRC2:TGID_Y_EN: 0
; COMPUTE_PGM_RSRC2:TGID_Z_EN: 0
; COMPUTE_PGM_RSRC2:TIDIG_COMP_CNT: 0
	.section	.text._ZN2at6native29vectorized_elementwise_kernelILi8EZZZNS0_12_GLOBAL__N_119launch_clamp_scalarERNS_18TensorIteratorBaseEN3c106ScalarES6_NS0_6detail11ClampLimitsEENKUlvE_clEvENKUlvE6_clEvEUlNS5_4HalfEE_St5arrayIPcLm2EEEEviT0_T1_,"axG",@progbits,_ZN2at6native29vectorized_elementwise_kernelILi8EZZZNS0_12_GLOBAL__N_119launch_clamp_scalarERNS_18TensorIteratorBaseEN3c106ScalarES6_NS0_6detail11ClampLimitsEENKUlvE_clEvENKUlvE6_clEvEUlNS5_4HalfEE_St5arrayIPcLm2EEEEviT0_T1_,comdat
	.globl	_ZN2at6native29vectorized_elementwise_kernelILi8EZZZNS0_12_GLOBAL__N_119launch_clamp_scalarERNS_18TensorIteratorBaseEN3c106ScalarES6_NS0_6detail11ClampLimitsEENKUlvE_clEvENKUlvE6_clEvEUlNS5_4HalfEE_St5arrayIPcLm2EEEEviT0_T1_ ; -- Begin function _ZN2at6native29vectorized_elementwise_kernelILi8EZZZNS0_12_GLOBAL__N_119launch_clamp_scalarERNS_18TensorIteratorBaseEN3c106ScalarES6_NS0_6detail11ClampLimitsEENKUlvE_clEvENKUlvE6_clEvEUlNS5_4HalfEE_St5arrayIPcLm2EEEEviT0_T1_
	.p2align	8
	.type	_ZN2at6native29vectorized_elementwise_kernelILi8EZZZNS0_12_GLOBAL__N_119launch_clamp_scalarERNS_18TensorIteratorBaseEN3c106ScalarES6_NS0_6detail11ClampLimitsEENKUlvE_clEvENKUlvE6_clEvEUlNS5_4HalfEE_St5arrayIPcLm2EEEEviT0_T1_,@function
_ZN2at6native29vectorized_elementwise_kernelILi8EZZZNS0_12_GLOBAL__N_119launch_clamp_scalarERNS_18TensorIteratorBaseEN3c106ScalarES6_NS0_6detail11ClampLimitsEENKUlvE_clEvENKUlvE6_clEvEUlNS5_4HalfEE_St5arrayIPcLm2EEEEviT0_T1_: ; @_ZN2at6native29vectorized_elementwise_kernelILi8EZZZNS0_12_GLOBAL__N_119launch_clamp_scalarERNS_18TensorIteratorBaseEN3c106ScalarES6_NS0_6detail11ClampLimitsEENKUlvE_clEvENKUlvE6_clEvEUlNS5_4HalfEE_St5arrayIPcLm2EEEEviT0_T1_
; %bb.0:
	s_load_b256 s[4:11], s[0:1], 0x0
	s_wait_xcnt 0x0
	s_bfe_u32 s0, ttmp6, 0x4000c
	s_and_b32 s1, ttmp6, 15
	s_add_co_i32 s0, s0, 1
	s_getreg_b32 s2, hwreg(HW_REG_IB_STS2, 6, 4)
	s_mul_i32 s0, ttmp9, s0
	s_delay_alu instid0(SALU_CYCLE_1) | instskip(SKIP_2) | instid1(SALU_CYCLE_1)
	s_add_co_i32 s1, s1, s0
	s_cmp_eq_u32 s2, 0
	s_cselect_b32 s0, ttmp9, s1
	s_lshl_b32 s2, s0, 11
	s_mov_b32 s0, -1
	s_wait_kmcnt 0x0
	s_sub_co_i32 s4, s4, s2
	s_delay_alu instid0(SALU_CYCLE_1)
	s_cmp_gt_i32 s4, 0x7ff
	s_cbranch_scc0 .LBB225_97
; %bb.1:
	s_ashr_i32 s3, s2, 31
	s_delay_alu instid0(SALU_CYCLE_1)
	s_lshl_b64 s[0:1], s[2:3], 1
	s_mov_b32 s3, exec_lo
	s_add_nc_u64 s[12:13], s[10:11], s[0:1]
	global_load_b128 v[2:5], v0, s[12:13] scale_offset
	s_wait_loadcnt 0x0
	v_mov_b32_e32 v1, v2
	v_cmpx_o_f16_e32 v2, v2
	s_cbranch_execz .LBB225_12
; %bb.2:
	v_cvt_f32_f16_e32 v6, v2
	s_cmp_lt_i32 s5, 1
	s_mov_b32 s12, 0
	s_cbranch_scc1 .LBB225_5
; %bb.3:
	s_cmp_eq_u32 s5, 1
	s_cbranch_scc0 .LBB225_6
; %bb.4:
	v_max_num_f32_e64 v1, s6, s6
	v_max_num_f32_e32 v7, v6, v6
	s_mov_b32 s13, 0
	s_delay_alu instid0(VALU_DEP_1) | instskip(NEXT) | instid1(VALU_DEP_1)
	v_min_num_f32_e32 v1, v7, v1
	v_cvt_f16_f32_e32 v1, v1
	s_branch .LBB225_7
.LBB225_5:
	s_mov_b32 s13, 0
                                        ; implicit-def: $vgpr1
	s_cbranch_execnz .LBB225_8
	s_branch .LBB225_9
.LBB225_6:
	s_mov_b32 s13, -1
                                        ; implicit-def: $vgpr1
.LBB225_7:
	s_branch .LBB225_9
.LBB225_8:
	s_cmp_lg_u32 s5, 0
	s_mov_b32 s12, -1
	s_cselect_b32 s13, -1, 0
.LBB225_9:
	v_max_num_f32_e32 v6, v6, v6
	s_and_not1_b32 vcc_lo, exec_lo, s13
	s_cbranch_vccz .LBB225_16
; %bb.10:
	s_and_not1_b32 vcc_lo, exec_lo, s12
	s_cbranch_vccnz .LBB225_12
.LBB225_11:
	v_max_num_f32_e64 v1, s6, s6
	s_delay_alu instid0(VALU_DEP_1) | instskip(NEXT) | instid1(VALU_DEP_1)
	v_max_num_f32_e32 v1, v6, v1
	v_cvt_f16_f32_e32 v1, v1
.LBB225_12:
	s_or_b32 exec_lo, exec_lo, s3
	v_lshrrev_b32_e32 v2, 16, v2
	s_mov_b32 s3, exec_lo
	s_delay_alu instid0(VALU_DEP_1)
	v_cmpx_o_f16_e32 v2, v2
	s_cbranch_execz .LBB225_24
; %bb.13:
	v_cvt_f32_f16_e32 v6, v2
	s_cmp_lt_i32 s5, 1
	s_mov_b32 s12, 0
	s_cbranch_scc1 .LBB225_17
; %bb.14:
	s_cmp_eq_u32 s5, 1
	s_cbranch_scc0 .LBB225_18
; %bb.15:
	v_max_num_f32_e64 v2, s6, s6
	v_max_num_f32_e32 v7, v6, v6
	s_mov_b32 s13, 0
	s_delay_alu instid0(VALU_DEP_1) | instskip(NEXT) | instid1(VALU_DEP_1)
	v_min_num_f32_e32 v2, v7, v2
	v_cvt_f16_f32_e32 v2, v2
	s_branch .LBB225_19
.LBB225_16:
	v_max_num_f32_e64 v1, s6, s6
	v_max_num_f32_e64 v7, s7, s7
	s_delay_alu instid0(VALU_DEP_1) | instskip(NEXT) | instid1(VALU_DEP_1)
	v_maxmin_num_f32 v1, v6, v1, v7
	v_cvt_f16_f32_e32 v1, v1
	s_cbranch_execz .LBB225_11
	s_branch .LBB225_12
.LBB225_17:
	s_mov_b32 s13, 0
                                        ; implicit-def: $vgpr2
	s_cbranch_execnz .LBB225_20
	s_branch .LBB225_21
.LBB225_18:
	s_mov_b32 s13, -1
                                        ; implicit-def: $vgpr2
.LBB225_19:
	s_branch .LBB225_21
.LBB225_20:
	s_cmp_lg_u32 s5, 0
	s_mov_b32 s12, -1
	s_cselect_b32 s13, -1, 0
.LBB225_21:
	v_max_num_f32_e32 v6, v6, v6
	s_and_not1_b32 vcc_lo, exec_lo, s13
	s_cbranch_vccz .LBB225_28
; %bb.22:
	s_and_not1_b32 vcc_lo, exec_lo, s12
	s_cbranch_vccnz .LBB225_24
.LBB225_23:
	v_max_num_f32_e64 v2, s6, s6
	s_delay_alu instid0(VALU_DEP_1) | instskip(NEXT) | instid1(VALU_DEP_1)
	v_max_num_f32_e32 v2, v6, v2
	v_cvt_f16_f32_e32 v2, v2
.LBB225_24:
	s_or_b32 exec_lo, exec_lo, s3
	v_mov_b32_e32 v6, v3
	s_mov_b32 s3, exec_lo
	v_cmpx_o_f16_e32 v3, v3
	s_cbranch_execz .LBB225_36
; %bb.25:
	v_cvt_f32_f16_e32 v7, v3
	s_cmp_lt_i32 s5, 1
	s_mov_b32 s12, 0
	s_cbranch_scc1 .LBB225_29
; %bb.26:
	s_cmp_eq_u32 s5, 1
	s_cbranch_scc0 .LBB225_30
; %bb.27:
	v_max_num_f32_e64 v6, s6, s6
	v_max_num_f32_e32 v8, v7, v7
	s_mov_b32 s13, 0
	s_delay_alu instid0(VALU_DEP_1) | instskip(NEXT) | instid1(VALU_DEP_1)
	v_min_num_f32_e32 v6, v8, v6
	v_cvt_f16_f32_e32 v6, v6
	s_branch .LBB225_31
.LBB225_28:
	v_max_num_f32_e64 v2, s6, s6
	v_max_num_f32_e64 v7, s7, s7
	s_delay_alu instid0(VALU_DEP_1) | instskip(NEXT) | instid1(VALU_DEP_1)
	v_maxmin_num_f32 v2, v6, v2, v7
	v_cvt_f16_f32_e32 v2, v2
	s_cbranch_execz .LBB225_23
	s_branch .LBB225_24
.LBB225_29:
	s_mov_b32 s13, 0
                                        ; implicit-def: $vgpr6
	s_cbranch_execnz .LBB225_32
	s_branch .LBB225_33
.LBB225_30:
	s_mov_b32 s13, -1
                                        ; implicit-def: $vgpr6
.LBB225_31:
	s_branch .LBB225_33
.LBB225_32:
	s_cmp_lg_u32 s5, 0
	s_mov_b32 s12, -1
	s_cselect_b32 s13, -1, 0
.LBB225_33:
	v_max_num_f32_e32 v7, v7, v7
	s_and_not1_b32 vcc_lo, exec_lo, s13
	s_cbranch_vccz .LBB225_40
; %bb.34:
	s_and_not1_b32 vcc_lo, exec_lo, s12
	s_cbranch_vccnz .LBB225_36
.LBB225_35:
	v_max_num_f32_e64 v6, s6, s6
	s_delay_alu instid0(VALU_DEP_1) | instskip(NEXT) | instid1(VALU_DEP_1)
	v_max_num_f32_e32 v6, v7, v6
	v_cvt_f16_f32_e32 v6, v6
.LBB225_36:
	s_or_b32 exec_lo, exec_lo, s3
	v_lshrrev_b32_e32 v3, 16, v3
	s_mov_b32 s3, exec_lo
	s_delay_alu instid0(VALU_DEP_1)
	v_cmpx_o_f16_e32 v3, v3
	s_cbranch_execz .LBB225_48
; %bb.37:
	v_cvt_f32_f16_e32 v7, v3
	s_cmp_lt_i32 s5, 1
	s_mov_b32 s12, 0
	s_cbranch_scc1 .LBB225_41
; %bb.38:
	s_cmp_eq_u32 s5, 1
	s_cbranch_scc0 .LBB225_42
; %bb.39:
	v_max_num_f32_e64 v3, s6, s6
	v_max_num_f32_e32 v8, v7, v7
	s_mov_b32 s13, 0
	s_delay_alu instid0(VALU_DEP_1) | instskip(NEXT) | instid1(VALU_DEP_1)
	v_min_num_f32_e32 v3, v8, v3
	v_cvt_f16_f32_e32 v3, v3
	s_branch .LBB225_43
.LBB225_40:
	v_max_num_f32_e64 v6, s6, s6
	v_max_num_f32_e64 v8, s7, s7
	s_delay_alu instid0(VALU_DEP_1) | instskip(NEXT) | instid1(VALU_DEP_1)
	v_maxmin_num_f32 v6, v7, v6, v8
	v_cvt_f16_f32_e32 v6, v6
	s_cbranch_execz .LBB225_35
	s_branch .LBB225_36
.LBB225_41:
	s_mov_b32 s13, 0
                                        ; implicit-def: $vgpr3
	s_cbranch_execnz .LBB225_44
	s_branch .LBB225_45
.LBB225_42:
	s_mov_b32 s13, -1
                                        ; implicit-def: $vgpr3
.LBB225_43:
	s_branch .LBB225_45
.LBB225_44:
	s_cmp_lg_u32 s5, 0
	s_mov_b32 s12, -1
	s_cselect_b32 s13, -1, 0
.LBB225_45:
	v_max_num_f32_e32 v7, v7, v7
	s_and_not1_b32 vcc_lo, exec_lo, s13
	s_cbranch_vccz .LBB225_52
; %bb.46:
	s_and_not1_b32 vcc_lo, exec_lo, s12
	s_cbranch_vccnz .LBB225_48
.LBB225_47:
	v_max_num_f32_e64 v3, s6, s6
	s_delay_alu instid0(VALU_DEP_1) | instskip(NEXT) | instid1(VALU_DEP_1)
	v_max_num_f32_e32 v3, v7, v3
	v_cvt_f16_f32_e32 v3, v3
.LBB225_48:
	s_or_b32 exec_lo, exec_lo, s3
	v_mov_b32_e32 v7, v4
	s_mov_b32 s3, exec_lo
	v_cmpx_o_f16_e32 v4, v4
	s_cbranch_execz .LBB225_60
; %bb.49:
	v_cvt_f32_f16_e32 v8, v4
	s_cmp_lt_i32 s5, 1
	s_mov_b32 s12, 0
	s_cbranch_scc1 .LBB225_53
; %bb.50:
	s_cmp_eq_u32 s5, 1
	s_cbranch_scc0 .LBB225_54
; %bb.51:
	v_max_num_f32_e64 v7, s6, s6
	v_max_num_f32_e32 v9, v8, v8
	s_mov_b32 s13, 0
	s_delay_alu instid0(VALU_DEP_1) | instskip(NEXT) | instid1(VALU_DEP_1)
	v_min_num_f32_e32 v7, v9, v7
	v_cvt_f16_f32_e32 v7, v7
	s_branch .LBB225_55
.LBB225_52:
	v_max_num_f32_e64 v3, s6, s6
	v_max_num_f32_e64 v8, s7, s7
	s_delay_alu instid0(VALU_DEP_1) | instskip(NEXT) | instid1(VALU_DEP_1)
	v_maxmin_num_f32 v3, v7, v3, v8
	v_cvt_f16_f32_e32 v3, v3
	s_cbranch_execz .LBB225_47
	s_branch .LBB225_48
.LBB225_53:
	s_mov_b32 s13, 0
                                        ; implicit-def: $vgpr7
	s_cbranch_execnz .LBB225_56
	s_branch .LBB225_57
.LBB225_54:
	s_mov_b32 s13, -1
                                        ; implicit-def: $vgpr7
.LBB225_55:
	s_branch .LBB225_57
.LBB225_56:
	s_cmp_lg_u32 s5, 0
	s_mov_b32 s12, -1
	s_cselect_b32 s13, -1, 0
.LBB225_57:
	v_max_num_f32_e32 v8, v8, v8
	s_and_not1_b32 vcc_lo, exec_lo, s13
	s_cbranch_vccz .LBB225_64
; %bb.58:
	s_and_not1_b32 vcc_lo, exec_lo, s12
	s_cbranch_vccnz .LBB225_60
.LBB225_59:
	v_max_num_f32_e64 v7, s6, s6
	s_delay_alu instid0(VALU_DEP_1) | instskip(NEXT) | instid1(VALU_DEP_1)
	v_max_num_f32_e32 v7, v8, v7
	v_cvt_f16_f32_e32 v7, v7
.LBB225_60:
	s_or_b32 exec_lo, exec_lo, s3
	v_lshrrev_b32_e32 v4, 16, v4
	s_mov_b32 s3, exec_lo
	s_delay_alu instid0(VALU_DEP_1)
	v_cmpx_o_f16_e32 v4, v4
	s_cbranch_execz .LBB225_72
; %bb.61:
	v_cvt_f32_f16_e32 v8, v4
	s_cmp_lt_i32 s5, 1
	s_mov_b32 s12, 0
	s_cbranch_scc1 .LBB225_65
; %bb.62:
	s_cmp_eq_u32 s5, 1
	s_cbranch_scc0 .LBB225_66
; %bb.63:
	v_max_num_f32_e64 v4, s6, s6
	v_max_num_f32_e32 v9, v8, v8
	s_mov_b32 s13, 0
	s_delay_alu instid0(VALU_DEP_1) | instskip(NEXT) | instid1(VALU_DEP_1)
	v_min_num_f32_e32 v4, v9, v4
	v_cvt_f16_f32_e32 v4, v4
	s_branch .LBB225_67
.LBB225_64:
	v_max_num_f32_e64 v7, s6, s6
	v_max_num_f32_e64 v9, s7, s7
	s_delay_alu instid0(VALU_DEP_1) | instskip(NEXT) | instid1(VALU_DEP_1)
	v_maxmin_num_f32 v7, v8, v7, v9
	v_cvt_f16_f32_e32 v7, v7
	s_cbranch_execz .LBB225_59
	s_branch .LBB225_60
.LBB225_65:
	s_mov_b32 s13, 0
                                        ; implicit-def: $vgpr4
	s_cbranch_execnz .LBB225_68
	s_branch .LBB225_69
.LBB225_66:
	s_mov_b32 s13, -1
                                        ; implicit-def: $vgpr4
.LBB225_67:
	s_branch .LBB225_69
.LBB225_68:
	s_cmp_lg_u32 s5, 0
	s_mov_b32 s12, -1
	s_cselect_b32 s13, -1, 0
.LBB225_69:
	v_max_num_f32_e32 v8, v8, v8
	s_and_not1_b32 vcc_lo, exec_lo, s13
	s_cbranch_vccz .LBB225_76
; %bb.70:
	s_and_not1_b32 vcc_lo, exec_lo, s12
	s_cbranch_vccnz .LBB225_72
.LBB225_71:
	v_max_num_f32_e64 v4, s6, s6
	s_delay_alu instid0(VALU_DEP_1) | instskip(NEXT) | instid1(VALU_DEP_1)
	v_max_num_f32_e32 v4, v8, v4
	v_cvt_f16_f32_e32 v4, v4
.LBB225_72:
	s_or_b32 exec_lo, exec_lo, s3
	v_mov_b32_e32 v8, v5
	s_mov_b32 s3, exec_lo
	v_cmpx_o_f16_e32 v5, v5
	s_cbranch_execz .LBB225_84
; %bb.73:
	v_cvt_f32_f16_e32 v9, v5
	s_cmp_lt_i32 s5, 1
	s_mov_b32 s12, 0
	s_cbranch_scc1 .LBB225_77
; %bb.74:
	s_cmp_eq_u32 s5, 1
	s_cbranch_scc0 .LBB225_78
; %bb.75:
	v_max_num_f32_e64 v8, s6, s6
	v_max_num_f32_e32 v10, v9, v9
	s_mov_b32 s13, 0
	s_delay_alu instid0(VALU_DEP_1) | instskip(NEXT) | instid1(VALU_DEP_1)
	v_min_num_f32_e32 v8, v10, v8
	v_cvt_f16_f32_e32 v8, v8
	s_branch .LBB225_79
.LBB225_76:
	v_max_num_f32_e64 v4, s6, s6
	v_max_num_f32_e64 v9, s7, s7
	s_delay_alu instid0(VALU_DEP_1) | instskip(NEXT) | instid1(VALU_DEP_1)
	v_maxmin_num_f32 v4, v8, v4, v9
	v_cvt_f16_f32_e32 v4, v4
	s_cbranch_execz .LBB225_71
	s_branch .LBB225_72
.LBB225_77:
	s_mov_b32 s13, 0
                                        ; implicit-def: $vgpr8
	s_cbranch_execnz .LBB225_80
	s_branch .LBB225_81
.LBB225_78:
	s_mov_b32 s13, -1
                                        ; implicit-def: $vgpr8
.LBB225_79:
	s_branch .LBB225_81
.LBB225_80:
	s_cmp_lg_u32 s5, 0
	s_mov_b32 s12, -1
	s_cselect_b32 s13, -1, 0
.LBB225_81:
	v_max_num_f32_e32 v9, v9, v9
	s_and_not1_b32 vcc_lo, exec_lo, s13
	s_cbranch_vccz .LBB225_88
; %bb.82:
	s_and_not1_b32 vcc_lo, exec_lo, s12
	s_cbranch_vccnz .LBB225_84
.LBB225_83:
	v_max_num_f32_e64 v8, s6, s6
	s_delay_alu instid0(VALU_DEP_1) | instskip(NEXT) | instid1(VALU_DEP_1)
	v_max_num_f32_e32 v8, v9, v8
	v_cvt_f16_f32_e32 v8, v8
.LBB225_84:
	s_or_b32 exec_lo, exec_lo, s3
	v_lshrrev_b32_e32 v5, 16, v5
	s_mov_b32 s3, exec_lo
	s_delay_alu instid0(VALU_DEP_1)
	v_cmpx_o_f16_e32 v5, v5
	s_cbranch_execz .LBB225_96
; %bb.85:
	v_cvt_f32_f16_e32 v9, v5
	s_cmp_lt_i32 s5, 1
	s_mov_b32 s12, 0
	s_cbranch_scc1 .LBB225_89
; %bb.86:
	s_cmp_eq_u32 s5, 1
	s_cbranch_scc0 .LBB225_90
; %bb.87:
	v_max_num_f32_e64 v5, s6, s6
	v_max_num_f32_e32 v10, v9, v9
	s_mov_b32 s13, 0
	s_delay_alu instid0(VALU_DEP_1) | instskip(NEXT) | instid1(VALU_DEP_1)
	v_min_num_f32_e32 v5, v10, v5
	v_cvt_f16_f32_e32 v5, v5
	s_branch .LBB225_91
.LBB225_88:
	v_max_num_f32_e64 v8, s6, s6
	v_max_num_f32_e64 v10, s7, s7
	s_delay_alu instid0(VALU_DEP_1) | instskip(NEXT) | instid1(VALU_DEP_1)
	v_maxmin_num_f32 v8, v9, v8, v10
	v_cvt_f16_f32_e32 v8, v8
	s_cbranch_execz .LBB225_83
	s_branch .LBB225_84
.LBB225_89:
	s_mov_b32 s13, 0
                                        ; implicit-def: $vgpr5
	s_cbranch_execnz .LBB225_92
	s_branch .LBB225_93
.LBB225_90:
	s_mov_b32 s13, -1
                                        ; implicit-def: $vgpr5
.LBB225_91:
	s_branch .LBB225_93
.LBB225_92:
	s_cmp_lg_u32 s5, 0
	s_mov_b32 s12, -1
	s_cselect_b32 s13, -1, 0
.LBB225_93:
	v_max_num_f32_e32 v9, v9, v9
	s_and_not1_b32 vcc_lo, exec_lo, s13
	s_cbranch_vccz .LBB225_120
; %bb.94:
	s_and_not1_b32 vcc_lo, exec_lo, s12
	s_cbranch_vccnz .LBB225_96
.LBB225_95:
	v_max_num_f32_e64 v5, s6, s6
	s_delay_alu instid0(VALU_DEP_1) | instskip(NEXT) | instid1(VALU_DEP_1)
	v_max_num_f32_e32 v5, v9, v5
	v_cvt_f16_f32_e32 v5, v5
.LBB225_96:
	s_or_b32 exec_lo, exec_lo, s3
	s_delay_alu instid0(VALU_DEP_1)
	v_perm_b32 v5, v5, v8, 0x5040100
	v_perm_b32 v4, v4, v7, 0x5040100
	;; [unrolled: 1-line block ×4, first 2 shown]
	s_add_nc_u64 s[12:13], s[8:9], s[0:1]
	s_mov_b32 s0, 0
	global_store_b128 v0, v[2:5], s[12:13] scale_offset
.LBB225_97:
	s_and_b32 vcc_lo, exec_lo, s0
	s_cbranch_vccz .LBB225_242
; %bb.98:
	v_cmp_gt_i32_e64 s0, s4, v0
	s_wait_xcnt 0x0
	v_dual_mov_b32 v3, 0 :: v_dual_bitop2_b32 v1, s2, v0 bitop3:0x54
	v_or_b32_e32 v2, 0x100, v0
	v_dual_mov_b32 v5, 0 :: v_dual_mov_b32 v11, v0
	s_and_saveexec_b32 s1, s0
	s_cbranch_execz .LBB225_100
; %bb.99:
	global_load_u16 v5, v1, s[10:11] scale_offset
	v_or_b32_e32 v11, 0x100, v0
.LBB225_100:
	s_wait_xcnt 0x0
	s_or_b32 exec_lo, exec_lo, s1
	s_delay_alu instid0(SALU_CYCLE_1) | instskip(NEXT) | instid1(VALU_DEP_1)
	s_mov_b32 s1, exec_lo
	v_cmpx_gt_i32_e64 s4, v11
	s_cbranch_execz .LBB225_102
; %bb.101:
	v_add_nc_u32_e32 v3, s2, v11
	v_add_nc_u32_e32 v11, 0x100, v11
	global_load_u16 v3, v3, s[10:11] scale_offset
.LBB225_102:
	s_wait_xcnt 0x0
	s_or_b32 exec_lo, exec_lo, s1
	v_dual_mov_b32 v4, 0 :: v_dual_mov_b32 v7, 0
	s_mov_b32 s1, exec_lo
	v_cmpx_gt_i32_e64 s4, v11
	s_cbranch_execz .LBB225_104
; %bb.103:
	v_add_nc_u32_e32 v6, s2, v11
	v_add_nc_u32_e32 v11, 0x100, v11
	global_load_u16 v7, v6, s[10:11] scale_offset
.LBB225_104:
	s_wait_xcnt 0x0
	s_or_b32 exec_lo, exec_lo, s1
	s_delay_alu instid0(SALU_CYCLE_1)
	s_mov_b32 s1, exec_lo
	v_cmpx_gt_i32_e64 s4, v11
	s_cbranch_execz .LBB225_106
; %bb.105:
	v_add_nc_u32_e32 v4, s2, v11
	v_add_nc_u32_e32 v11, 0x100, v11
	global_load_u16 v4, v4, s[10:11] scale_offset
.LBB225_106:
	s_wait_xcnt 0x0
	s_or_b32 exec_lo, exec_lo, s1
	v_dual_mov_b32 v6, 0 :: v_dual_mov_b32 v9, 0
	s_mov_b32 s1, exec_lo
	v_cmpx_gt_i32_e64 s4, v11
	s_cbranch_execz .LBB225_108
; %bb.107:
	v_add_nc_u32_e32 v8, s2, v11
	v_add_nc_u32_e32 v11, 0x100, v11
	global_load_u16 v9, v8, s[10:11] scale_offset
.LBB225_108:
	s_wait_xcnt 0x0
	s_or_b32 exec_lo, exec_lo, s1
	s_delay_alu instid0(SALU_CYCLE_1)
	s_mov_b32 s1, exec_lo
	v_cmpx_gt_i32_e64 s4, v11
	s_cbranch_execz .LBB225_110
; %bb.109:
	v_add_nc_u32_e32 v6, s2, v11
	v_add_nc_u32_e32 v11, 0x100, v11
	global_load_u16 v6, v6, s[10:11] scale_offset
.LBB225_110:
	s_wait_xcnt 0x0
	s_or_b32 exec_lo, exec_lo, s1
	v_dual_mov_b32 v8, 0 :: v_dual_mov_b32 v10, 0
	s_mov_b32 s1, exec_lo
	v_cmpx_gt_i32_e64 s4, v11
	s_cbranch_execnz .LBB225_114
; %bb.111:
	s_or_b32 exec_lo, exec_lo, s1
	s_delay_alu instid0(SALU_CYCLE_1)
	s_mov_b32 s1, exec_lo
	v_cmpx_gt_i32_e64 s4, v11
	s_cbranch_execnz .LBB225_115
.LBB225_112:
	s_or_b32 exec_lo, exec_lo, s1
	s_and_saveexec_b32 s1, s0
	s_cbranch_execnz .LBB225_116
.LBB225_113:
	s_or_b32 exec_lo, exec_lo, s1
	s_delay_alu instid0(SALU_CYCLE_1)
	s_mov_b32 s1, exec_lo
	v_cmpx_gt_i32_e64 s4, v2
	s_cbranch_execnz .LBB225_129
	s_branch .LBB225_142
.LBB225_114:
	v_add_nc_u32_e32 v10, s2, v11
	v_add_nc_u32_e32 v11, 0x100, v11
	global_load_u16 v10, v10, s[10:11] scale_offset
	s_wait_xcnt 0x0
	s_or_b32 exec_lo, exec_lo, s1
	s_delay_alu instid0(SALU_CYCLE_1)
	s_mov_b32 s1, exec_lo
	v_cmpx_gt_i32_e64 s4, v11
	s_cbranch_execz .LBB225_112
.LBB225_115:
	v_add_nc_u32_e32 v8, s2, v11
	global_load_u16 v8, v8, s[10:11] scale_offset
	s_wait_xcnt 0x0
	s_or_b32 exec_lo, exec_lo, s1
	s_and_saveexec_b32 s1, s0
	s_cbranch_execz .LBB225_113
.LBB225_116:
	s_mov_b32 s3, exec_lo
	s_wait_loadcnt 0x0
	v_cmpx_o_f16_e32 v5, v5
	s_cbranch_execz .LBB225_128
; %bb.117:
	v_cvt_f32_f16_e32 v11, v5
	s_cmp_lt_i32 s5, 1
	s_mov_b32 s10, 0
	s_cbranch_scc1 .LBB225_121
; %bb.118:
	s_cmp_eq_u32 s5, 1
	s_cbranch_scc0 .LBB225_122
; %bb.119:
	v_max_num_f32_e64 v5, s6, s6
	v_max_num_f32_e32 v12, v11, v11
	s_mov_b32 s11, 0
	s_delay_alu instid0(VALU_DEP_1) | instskip(NEXT) | instid1(VALU_DEP_1)
	v_min_num_f32_e32 v5, v12, v5
	v_cvt_f16_f32_e32 v5, v5
	s_branch .LBB225_123
.LBB225_120:
	v_max_num_f32_e64 v5, s6, s6
	v_max_num_f32_e64 v10, s7, s7
	s_delay_alu instid0(VALU_DEP_1) | instskip(NEXT) | instid1(VALU_DEP_1)
	v_maxmin_num_f32 v5, v9, v5, v10
	v_cvt_f16_f32_e32 v5, v5
	s_cbranch_execz .LBB225_95
	s_branch .LBB225_96
.LBB225_121:
	s_mov_b32 s11, 0
                                        ; implicit-def: $vgpr5
	s_cbranch_execnz .LBB225_124
	s_branch .LBB225_125
.LBB225_122:
	s_mov_b32 s11, -1
                                        ; implicit-def: $vgpr5
.LBB225_123:
	s_branch .LBB225_125
.LBB225_124:
	s_cmp_lg_u32 s5, 0
	s_mov_b32 s10, -1
	s_cselect_b32 s11, -1, 0
.LBB225_125:
	v_max_num_f32_e32 v11, v11, v11
	s_and_not1_b32 vcc_lo, exec_lo, s11
	s_cbranch_vccz .LBB225_133
; %bb.126:
	s_and_not1_b32 vcc_lo, exec_lo, s10
	s_cbranch_vccnz .LBB225_128
.LBB225_127:
	v_max_num_f32_e64 v5, s6, s6
	s_delay_alu instid0(VALU_DEP_1) | instskip(NEXT) | instid1(VALU_DEP_1)
	v_max_num_f32_e32 v5, v11, v5
	v_cvt_f16_f32_e32 v5, v5
.LBB225_128:
	s_or_b32 exec_lo, exec_lo, s3
	s_delay_alu instid0(SALU_CYCLE_1) | instskip(NEXT) | instid1(SALU_CYCLE_1)
	s_or_b32 exec_lo, exec_lo, s1
	s_mov_b32 s1, exec_lo
	v_cmpx_gt_i32_e64 s4, v2
	s_cbranch_execz .LBB225_142
.LBB225_129:
	s_mov_b32 s3, exec_lo
	s_wait_loadcnt 0x0
	v_cmpx_o_f16_e32 v3, v3
	s_cbranch_execz .LBB225_141
; %bb.130:
	v_cvt_f32_f16_e32 v11, v3
	s_cmp_lt_i32 s5, 1
	s_mov_b32 s10, 0
	s_cbranch_scc1 .LBB225_134
; %bb.131:
	s_cmp_eq_u32 s5, 1
	s_cbranch_scc0 .LBB225_135
; %bb.132:
	v_max_num_f32_e64 v3, s6, s6
	v_max_num_f32_e32 v12, v11, v11
	s_mov_b32 s11, 0
	s_delay_alu instid0(VALU_DEP_1) | instskip(NEXT) | instid1(VALU_DEP_1)
	v_min_num_f32_e32 v3, v12, v3
	v_cvt_f16_f32_e32 v3, v3
	s_branch .LBB225_136
.LBB225_133:
	v_max_num_f32_e64 v5, s6, s6
	v_max_num_f32_e64 v12, s7, s7
	s_delay_alu instid0(VALU_DEP_1) | instskip(NEXT) | instid1(VALU_DEP_1)
	v_maxmin_num_f32 v5, v11, v5, v12
	v_cvt_f16_f32_e32 v5, v5
	s_cbranch_execz .LBB225_127
	s_branch .LBB225_128
.LBB225_134:
	s_mov_b32 s11, 0
                                        ; implicit-def: $vgpr3
	s_cbranch_execnz .LBB225_137
	s_branch .LBB225_138
.LBB225_135:
	s_mov_b32 s11, -1
                                        ; implicit-def: $vgpr3
.LBB225_136:
	s_branch .LBB225_138
.LBB225_137:
	s_cmp_lg_u32 s5, 0
	s_mov_b32 s10, -1
	s_cselect_b32 s11, -1, 0
.LBB225_138:
	v_max_num_f32_e32 v11, v11, v11
	s_and_not1_b32 vcc_lo, exec_lo, s11
	s_cbranch_vccz .LBB225_147
; %bb.139:
	s_and_not1_b32 vcc_lo, exec_lo, s10
	s_cbranch_vccnz .LBB225_141
.LBB225_140:
	v_max_num_f32_e64 v3, s6, s6
	s_delay_alu instid0(VALU_DEP_1) | instskip(NEXT) | instid1(VALU_DEP_1)
	v_max_num_f32_e32 v3, v11, v3
	v_cvt_f16_f32_e32 v3, v3
.LBB225_141:
	s_or_b32 exec_lo, exec_lo, s3
.LBB225_142:
	s_delay_alu instid0(SALU_CYCLE_1) | instskip(SKIP_2) | instid1(VALU_DEP_1)
	s_or_b32 exec_lo, exec_lo, s1
	v_or_b32_e32 v11, 0x200, v0
	s_mov_b32 s1, exec_lo
	v_cmpx_gt_i32_e64 s4, v11
	s_cbranch_execz .LBB225_156
; %bb.143:
	s_mov_b32 s3, exec_lo
	s_wait_loadcnt 0x0
	v_cmpx_o_f16_e32 v7, v7
	s_cbranch_execz .LBB225_155
; %bb.144:
	v_cvt_f32_f16_e32 v11, v7
	s_cmp_lt_i32 s5, 1
	s_mov_b32 s10, 0
	s_cbranch_scc1 .LBB225_148
; %bb.145:
	s_cmp_eq_u32 s5, 1
	s_cbranch_scc0 .LBB225_149
; %bb.146:
	v_max_num_f32_e64 v7, s6, s6
	v_max_num_f32_e32 v12, v11, v11
	s_mov_b32 s11, 0
	s_delay_alu instid0(VALU_DEP_1) | instskip(NEXT) | instid1(VALU_DEP_1)
	v_min_num_f32_e32 v7, v12, v7
	v_cvt_f16_f32_e32 v7, v7
	s_branch .LBB225_150
.LBB225_147:
	v_max_num_f32_e64 v3, s6, s6
	v_max_num_f32_e64 v12, s7, s7
	s_delay_alu instid0(VALU_DEP_1) | instskip(NEXT) | instid1(VALU_DEP_1)
	v_maxmin_num_f32 v3, v11, v3, v12
	v_cvt_f16_f32_e32 v3, v3
	s_cbranch_execz .LBB225_140
	s_branch .LBB225_141
.LBB225_148:
	s_mov_b32 s11, 0
                                        ; implicit-def: $vgpr7
	s_cbranch_execnz .LBB225_151
	s_branch .LBB225_152
.LBB225_149:
	s_mov_b32 s11, -1
                                        ; implicit-def: $vgpr7
.LBB225_150:
	s_branch .LBB225_152
.LBB225_151:
	s_cmp_lg_u32 s5, 0
	s_mov_b32 s10, -1
	s_cselect_b32 s11, -1, 0
.LBB225_152:
	v_max_num_f32_e32 v11, v11, v11
	s_and_not1_b32 vcc_lo, exec_lo, s11
	s_cbranch_vccz .LBB225_161
; %bb.153:
	s_and_not1_b32 vcc_lo, exec_lo, s10
	s_cbranch_vccnz .LBB225_155
.LBB225_154:
	v_max_num_f32_e64 v7, s6, s6
	s_delay_alu instid0(VALU_DEP_1) | instskip(NEXT) | instid1(VALU_DEP_1)
	v_max_num_f32_e32 v7, v11, v7
	v_cvt_f16_f32_e32 v7, v7
.LBB225_155:
	s_or_b32 exec_lo, exec_lo, s3
.LBB225_156:
	s_delay_alu instid0(SALU_CYCLE_1) | instskip(SKIP_2) | instid1(VALU_DEP_1)
	s_or_b32 exec_lo, exec_lo, s1
	v_or_b32_e32 v11, 0x300, v0
	s_mov_b32 s1, exec_lo
	v_cmpx_gt_i32_e64 s4, v11
	s_cbranch_execz .LBB225_170
; %bb.157:
	s_mov_b32 s3, exec_lo
	s_wait_loadcnt 0x0
	v_cmpx_o_f16_e32 v4, v4
	s_cbranch_execz .LBB225_169
; %bb.158:
	v_cvt_f32_f16_e32 v11, v4
	s_cmp_lt_i32 s5, 1
	s_mov_b32 s10, 0
	s_cbranch_scc1 .LBB225_162
; %bb.159:
	s_cmp_eq_u32 s5, 1
	s_cbranch_scc0 .LBB225_163
; %bb.160:
	v_max_num_f32_e64 v4, s6, s6
	v_max_num_f32_e32 v12, v11, v11
	s_mov_b32 s11, 0
	s_delay_alu instid0(VALU_DEP_1) | instskip(NEXT) | instid1(VALU_DEP_1)
	v_min_num_f32_e32 v4, v12, v4
	v_cvt_f16_f32_e32 v4, v4
	s_branch .LBB225_164
.LBB225_161:
	v_max_num_f32_e64 v7, s6, s6
	v_max_num_f32_e64 v12, s7, s7
	s_delay_alu instid0(VALU_DEP_1) | instskip(NEXT) | instid1(VALU_DEP_1)
	v_maxmin_num_f32 v7, v11, v7, v12
	v_cvt_f16_f32_e32 v7, v7
	s_cbranch_execz .LBB225_154
	s_branch .LBB225_155
.LBB225_162:
	s_mov_b32 s11, 0
                                        ; implicit-def: $vgpr4
	s_cbranch_execnz .LBB225_165
	s_branch .LBB225_166
.LBB225_163:
	s_mov_b32 s11, -1
                                        ; implicit-def: $vgpr4
.LBB225_164:
	s_branch .LBB225_166
.LBB225_165:
	s_cmp_lg_u32 s5, 0
	s_mov_b32 s10, -1
	s_cselect_b32 s11, -1, 0
.LBB225_166:
	v_max_num_f32_e32 v11, v11, v11
	s_and_not1_b32 vcc_lo, exec_lo, s11
	s_cbranch_vccz .LBB225_175
; %bb.167:
	s_and_not1_b32 vcc_lo, exec_lo, s10
	s_cbranch_vccnz .LBB225_169
.LBB225_168:
	v_max_num_f32_e64 v4, s6, s6
	s_delay_alu instid0(VALU_DEP_1) | instskip(NEXT) | instid1(VALU_DEP_1)
	v_max_num_f32_e32 v4, v11, v4
	v_cvt_f16_f32_e32 v4, v4
.LBB225_169:
	s_or_b32 exec_lo, exec_lo, s3
.LBB225_170:
	s_delay_alu instid0(SALU_CYCLE_1) | instskip(SKIP_2) | instid1(VALU_DEP_1)
	s_or_b32 exec_lo, exec_lo, s1
	v_or_b32_e32 v11, 0x400, v0
	s_mov_b32 s1, exec_lo
	v_cmpx_gt_i32_e64 s4, v11
	s_cbranch_execz .LBB225_184
; %bb.171:
	s_mov_b32 s3, exec_lo
	s_wait_loadcnt 0x0
	v_cmpx_o_f16_e32 v9, v9
	s_cbranch_execz .LBB225_183
; %bb.172:
	v_cvt_f32_f16_e32 v11, v9
	s_cmp_lt_i32 s5, 1
	s_mov_b32 s10, 0
	s_cbranch_scc1 .LBB225_176
; %bb.173:
	s_cmp_eq_u32 s5, 1
	s_cbranch_scc0 .LBB225_177
; %bb.174:
	v_max_num_f32_e64 v9, s6, s6
	v_max_num_f32_e32 v12, v11, v11
	s_mov_b32 s11, 0
	s_delay_alu instid0(VALU_DEP_1) | instskip(NEXT) | instid1(VALU_DEP_1)
	v_min_num_f32_e32 v9, v12, v9
	v_cvt_f16_f32_e32 v9, v9
	s_branch .LBB225_178
.LBB225_175:
	v_max_num_f32_e64 v4, s6, s6
	v_max_num_f32_e64 v12, s7, s7
	s_delay_alu instid0(VALU_DEP_1) | instskip(NEXT) | instid1(VALU_DEP_1)
	v_maxmin_num_f32 v4, v11, v4, v12
	v_cvt_f16_f32_e32 v4, v4
	s_cbranch_execz .LBB225_168
	s_branch .LBB225_169
.LBB225_176:
	s_mov_b32 s11, 0
                                        ; implicit-def: $vgpr9
	s_cbranch_execnz .LBB225_179
	s_branch .LBB225_180
.LBB225_177:
	s_mov_b32 s11, -1
                                        ; implicit-def: $vgpr9
.LBB225_178:
	s_branch .LBB225_180
.LBB225_179:
	s_cmp_lg_u32 s5, 0
	s_mov_b32 s10, -1
	s_cselect_b32 s11, -1, 0
.LBB225_180:
	v_max_num_f32_e32 v11, v11, v11
	s_and_not1_b32 vcc_lo, exec_lo, s11
	s_cbranch_vccz .LBB225_189
; %bb.181:
	s_and_not1_b32 vcc_lo, exec_lo, s10
	s_cbranch_vccnz .LBB225_183
.LBB225_182:
	v_max_num_f32_e64 v9, s6, s6
	s_delay_alu instid0(VALU_DEP_1) | instskip(NEXT) | instid1(VALU_DEP_1)
	v_max_num_f32_e32 v9, v11, v9
	v_cvt_f16_f32_e32 v9, v9
.LBB225_183:
	s_or_b32 exec_lo, exec_lo, s3
.LBB225_184:
	s_delay_alu instid0(SALU_CYCLE_1) | instskip(SKIP_2) | instid1(VALU_DEP_1)
	s_or_b32 exec_lo, exec_lo, s1
	v_or_b32_e32 v11, 0x500, v0
	s_mov_b32 s1, exec_lo
	v_cmpx_gt_i32_e64 s4, v11
	s_cbranch_execz .LBB225_198
; %bb.185:
	s_mov_b32 s3, exec_lo
	s_wait_loadcnt 0x0
	v_cmpx_o_f16_e32 v6, v6
	s_cbranch_execz .LBB225_197
; %bb.186:
	v_cvt_f32_f16_e32 v11, v6
	s_cmp_lt_i32 s5, 1
	s_mov_b32 s10, 0
	s_cbranch_scc1 .LBB225_190
; %bb.187:
	s_cmp_eq_u32 s5, 1
	s_cbranch_scc0 .LBB225_191
; %bb.188:
	v_max_num_f32_e64 v6, s6, s6
	v_max_num_f32_e32 v12, v11, v11
	s_mov_b32 s11, 0
	s_delay_alu instid0(VALU_DEP_1) | instskip(NEXT) | instid1(VALU_DEP_1)
	v_min_num_f32_e32 v6, v12, v6
	v_cvt_f16_f32_e32 v6, v6
	s_branch .LBB225_192
.LBB225_189:
	v_max_num_f32_e64 v9, s6, s6
	v_max_num_f32_e64 v12, s7, s7
	s_delay_alu instid0(VALU_DEP_1) | instskip(NEXT) | instid1(VALU_DEP_1)
	v_maxmin_num_f32 v9, v11, v9, v12
	v_cvt_f16_f32_e32 v9, v9
	s_cbranch_execz .LBB225_182
	s_branch .LBB225_183
.LBB225_190:
	s_mov_b32 s11, 0
                                        ; implicit-def: $vgpr6
	s_cbranch_execnz .LBB225_193
	s_branch .LBB225_194
.LBB225_191:
	s_mov_b32 s11, -1
                                        ; implicit-def: $vgpr6
.LBB225_192:
	s_branch .LBB225_194
.LBB225_193:
	s_cmp_lg_u32 s5, 0
	s_mov_b32 s10, -1
	s_cselect_b32 s11, -1, 0
.LBB225_194:
	v_max_num_f32_e32 v11, v11, v11
	s_and_not1_b32 vcc_lo, exec_lo, s11
	s_cbranch_vccz .LBB225_203
; %bb.195:
	s_and_not1_b32 vcc_lo, exec_lo, s10
	s_cbranch_vccnz .LBB225_197
.LBB225_196:
	v_max_num_f32_e64 v6, s6, s6
	s_delay_alu instid0(VALU_DEP_1) | instskip(NEXT) | instid1(VALU_DEP_1)
	v_max_num_f32_e32 v6, v11, v6
	v_cvt_f16_f32_e32 v6, v6
.LBB225_197:
	s_or_b32 exec_lo, exec_lo, s3
.LBB225_198:
	s_delay_alu instid0(SALU_CYCLE_1) | instskip(SKIP_2) | instid1(VALU_DEP_1)
	s_or_b32 exec_lo, exec_lo, s1
	v_or_b32_e32 v11, 0x600, v0
	s_mov_b32 s1, exec_lo
	v_cmpx_gt_i32_e64 s4, v11
	s_cbranch_execz .LBB225_212
; %bb.199:
	s_mov_b32 s3, exec_lo
	s_wait_loadcnt 0x0
	v_cmpx_o_f16_e32 v10, v10
	s_cbranch_execz .LBB225_211
; %bb.200:
	v_cvt_f32_f16_e32 v11, v10
	s_cmp_lt_i32 s5, 1
	s_mov_b32 s10, 0
	s_cbranch_scc1 .LBB225_204
; %bb.201:
	s_cmp_eq_u32 s5, 1
	s_cbranch_scc0 .LBB225_205
; %bb.202:
	v_max_num_f32_e64 v10, s6, s6
	v_max_num_f32_e32 v12, v11, v11
	s_mov_b32 s11, 0
	s_delay_alu instid0(VALU_DEP_1) | instskip(NEXT) | instid1(VALU_DEP_1)
	v_min_num_f32_e32 v10, v12, v10
	v_cvt_f16_f32_e32 v10, v10
	s_branch .LBB225_206
.LBB225_203:
	v_max_num_f32_e64 v6, s6, s6
	v_max_num_f32_e64 v12, s7, s7
	s_delay_alu instid0(VALU_DEP_1) | instskip(NEXT) | instid1(VALU_DEP_1)
	v_maxmin_num_f32 v6, v11, v6, v12
	v_cvt_f16_f32_e32 v6, v6
	s_cbranch_execz .LBB225_196
	s_branch .LBB225_197
.LBB225_204:
	s_mov_b32 s11, 0
                                        ; implicit-def: $vgpr10
	s_cbranch_execnz .LBB225_207
	s_branch .LBB225_208
.LBB225_205:
	s_mov_b32 s11, -1
                                        ; implicit-def: $vgpr10
.LBB225_206:
	s_branch .LBB225_208
.LBB225_207:
	s_cmp_lg_u32 s5, 0
	s_mov_b32 s10, -1
	s_cselect_b32 s11, -1, 0
.LBB225_208:
	v_max_num_f32_e32 v11, v11, v11
	s_and_not1_b32 vcc_lo, exec_lo, s11
	s_cbranch_vccz .LBB225_226
; %bb.209:
	s_and_not1_b32 vcc_lo, exec_lo, s10
	s_cbranch_vccnz .LBB225_211
.LBB225_210:
	v_max_num_f32_e64 v10, s6, s6
	s_delay_alu instid0(VALU_DEP_1) | instskip(NEXT) | instid1(VALU_DEP_1)
	v_max_num_f32_e32 v10, v11, v10
	v_cvt_f16_f32_e32 v10, v10
.LBB225_211:
	s_or_b32 exec_lo, exec_lo, s3
.LBB225_212:
	s_delay_alu instid0(SALU_CYCLE_1) | instskip(SKIP_2) | instid1(VALU_DEP_1)
	s_or_b32 exec_lo, exec_lo, s1
	v_or_b32_e32 v11, 0x700, v0
	s_mov_b32 s1, exec_lo
	v_cmpx_gt_i32_e64 s4, v11
	s_cbranch_execnz .LBB225_222
; %bb.213:
	s_or_b32 exec_lo, exec_lo, s1
	s_and_saveexec_b32 s1, s0
	s_delay_alu instid0(SALU_CYCLE_1)
	s_xor_b32 s0, exec_lo, s1
	s_cbranch_execnz .LBB225_235
.LBB225_214:
	s_or_b32 exec_lo, exec_lo, s0
	s_delay_alu instid0(SALU_CYCLE_1)
	s_mov_b32 s0, exec_lo
	v_cmpx_gt_i32_e64 s4, v0
	s_cbranch_execnz .LBB225_236
.LBB225_215:
	s_or_b32 exec_lo, exec_lo, s0
	s_delay_alu instid0(SALU_CYCLE_1)
	s_mov_b32 s0, exec_lo
	v_cmpx_gt_i32_e64 s4, v0
	s_cbranch_execnz .LBB225_237
.LBB225_216:
	s_or_b32 exec_lo, exec_lo, s0
	s_delay_alu instid0(SALU_CYCLE_1)
	s_mov_b32 s0, exec_lo
	v_cmpx_gt_i32_e64 s4, v0
	s_cbranch_execnz .LBB225_238
.LBB225_217:
	s_or_b32 exec_lo, exec_lo, s0
	s_delay_alu instid0(SALU_CYCLE_1)
	s_mov_b32 s0, exec_lo
	v_cmpx_gt_i32_e64 s4, v0
	s_cbranch_execnz .LBB225_239
.LBB225_218:
	s_or_b32 exec_lo, exec_lo, s0
	s_delay_alu instid0(SALU_CYCLE_1)
	s_mov_b32 s0, exec_lo
	v_cmpx_gt_i32_e64 s4, v0
	s_cbranch_execnz .LBB225_240
.LBB225_219:
	s_or_b32 exec_lo, exec_lo, s0
	s_delay_alu instid0(SALU_CYCLE_1)
	s_mov_b32 s0, exec_lo
	v_cmpx_gt_i32_e64 s4, v0
	s_cbranch_execnz .LBB225_241
.LBB225_220:
	s_or_b32 exec_lo, exec_lo, s0
	s_delay_alu instid0(SALU_CYCLE_1)
	s_mov_b32 s0, exec_lo
	v_cmpx_gt_i32_e64 s4, v0
	s_cbranch_execz .LBB225_242
.LBB225_221:
	v_add_nc_u32_e32 v0, s2, v0
	s_wait_loadcnt 0x0
	global_store_b16 v0, v8, s[8:9] scale_offset
	s_endpgm
.LBB225_222:
	s_mov_b32 s3, exec_lo
	s_wait_loadcnt 0x0
	v_cmpx_o_f16_e32 v8, v8
	s_cbranch_execz .LBB225_234
; %bb.223:
	v_cvt_f32_f16_e32 v11, v8
	s_cmp_lt_i32 s5, 1
	s_mov_b32 s10, 0
	s_cbranch_scc1 .LBB225_227
; %bb.224:
	s_cmp_eq_u32 s5, 1
	s_cbranch_scc0 .LBB225_228
; %bb.225:
	v_max_num_f32_e64 v8, s6, s6
	v_max_num_f32_e32 v12, v11, v11
	s_mov_b32 s11, 0
	s_delay_alu instid0(VALU_DEP_1) | instskip(NEXT) | instid1(VALU_DEP_1)
	v_min_num_f32_e32 v8, v12, v8
	v_cvt_f16_f32_e32 v8, v8
	s_branch .LBB225_229
.LBB225_226:
	v_max_num_f32_e64 v10, s6, s6
	v_max_num_f32_e64 v12, s7, s7
	s_delay_alu instid0(VALU_DEP_1) | instskip(NEXT) | instid1(VALU_DEP_1)
	v_maxmin_num_f32 v10, v11, v10, v12
	v_cvt_f16_f32_e32 v10, v10
	s_cbranch_execz .LBB225_210
	s_branch .LBB225_211
.LBB225_227:
	s_mov_b32 s11, 0
                                        ; implicit-def: $vgpr8
	s_cbranch_execnz .LBB225_230
	s_branch .LBB225_231
.LBB225_228:
	s_mov_b32 s11, -1
                                        ; implicit-def: $vgpr8
.LBB225_229:
	s_branch .LBB225_231
.LBB225_230:
	s_cmp_lg_u32 s5, 0
	s_mov_b32 s10, -1
	s_cselect_b32 s11, -1, 0
.LBB225_231:
	v_max_num_f32_e64 v12, s6, s6
	v_max_num_f32_e32 v11, v11, v11
	s_and_not1_b32 vcc_lo, exec_lo, s11
	s_cbranch_vccz .LBB225_243
; %bb.232:
	s_and_not1_b32 vcc_lo, exec_lo, s10
	s_cbranch_vccnz .LBB225_234
.LBB225_233:
	v_max_num_f32_e32 v8, v11, v12
	s_delay_alu instid0(VALU_DEP_1)
	v_cvt_f16_f32_e32 v8, v8
.LBB225_234:
	s_or_b32 exec_lo, exec_lo, s3
	s_delay_alu instid0(SALU_CYCLE_1) | instskip(SKIP_1) | instid1(SALU_CYCLE_1)
	s_or_b32 exec_lo, exec_lo, s1
	s_and_saveexec_b32 s1, s0
	s_xor_b32 s0, exec_lo, s1
	s_cbranch_execz .LBB225_214
.LBB225_235:
	v_mov_b32_e32 v0, v2
	s_wait_loadcnt 0x0
	global_store_b16 v1, v5, s[8:9] scale_offset
	s_wait_xcnt 0x0
	s_or_b32 exec_lo, exec_lo, s0
	s_delay_alu instid0(SALU_CYCLE_1)
	s_mov_b32 s0, exec_lo
	v_cmpx_gt_i32_e64 s4, v0
	s_cbranch_execz .LBB225_215
.LBB225_236:
	v_add_nc_u32_e32 v1, s2, v0
	v_add_nc_u32_e32 v0, 0x100, v0
	s_wait_loadcnt 0x0
	global_store_b16 v1, v3, s[8:9] scale_offset
	s_wait_xcnt 0x0
	s_or_b32 exec_lo, exec_lo, s0
	s_delay_alu instid0(SALU_CYCLE_1)
	s_mov_b32 s0, exec_lo
	v_cmpx_gt_i32_e64 s4, v0
	s_cbranch_execz .LBB225_216
.LBB225_237:
	v_add_nc_u32_e32 v1, s2, v0
	v_add_nc_u32_e32 v0, 0x100, v0
	s_wait_loadcnt 0x0
	global_store_b16 v1, v7, s[8:9] scale_offset
	s_wait_xcnt 0x0
	s_or_b32 exec_lo, exec_lo, s0
	s_delay_alu instid0(SALU_CYCLE_1)
	s_mov_b32 s0, exec_lo
	v_cmpx_gt_i32_e64 s4, v0
	s_cbranch_execz .LBB225_217
.LBB225_238:
	v_add_nc_u32_e32 v1, s2, v0
	v_add_nc_u32_e32 v0, 0x100, v0
	s_wait_loadcnt 0x0
	global_store_b16 v1, v4, s[8:9] scale_offset
	s_wait_xcnt 0x0
	s_or_b32 exec_lo, exec_lo, s0
	s_delay_alu instid0(SALU_CYCLE_1)
	s_mov_b32 s0, exec_lo
	v_cmpx_gt_i32_e64 s4, v0
	s_cbranch_execz .LBB225_218
.LBB225_239:
	v_add_nc_u32_e32 v1, s2, v0
	v_add_nc_u32_e32 v0, 0x100, v0
	s_wait_loadcnt 0x0
	global_store_b16 v1, v9, s[8:9] scale_offset
	s_wait_xcnt 0x0
	s_or_b32 exec_lo, exec_lo, s0
	s_delay_alu instid0(SALU_CYCLE_1)
	s_mov_b32 s0, exec_lo
	v_cmpx_gt_i32_e64 s4, v0
	s_cbranch_execz .LBB225_219
.LBB225_240:
	v_add_nc_u32_e32 v1, s2, v0
	v_add_nc_u32_e32 v0, 0x100, v0
	s_wait_loadcnt 0x0
	global_store_b16 v1, v6, s[8:9] scale_offset
	s_wait_xcnt 0x0
	s_or_b32 exec_lo, exec_lo, s0
	s_delay_alu instid0(SALU_CYCLE_1)
	s_mov_b32 s0, exec_lo
	v_cmpx_gt_i32_e64 s4, v0
	s_cbranch_execz .LBB225_220
.LBB225_241:
	v_add_nc_u32_e32 v1, s2, v0
	v_add_nc_u32_e32 v0, 0x100, v0
	s_wait_loadcnt 0x0
	global_store_b16 v1, v10, s[8:9] scale_offset
	s_wait_xcnt 0x0
	s_or_b32 exec_lo, exec_lo, s0
	s_delay_alu instid0(SALU_CYCLE_1)
	s_mov_b32 s0, exec_lo
	v_cmpx_gt_i32_e64 s4, v0
	s_cbranch_execnz .LBB225_221
.LBB225_242:
	s_endpgm
.LBB225_243:
	v_max_num_f32_e64 v8, s7, s7
	s_delay_alu instid0(VALU_DEP_1) | instskip(NEXT) | instid1(VALU_DEP_1)
	v_maxmin_num_f32 v8, v11, v12, v8
	v_cvt_f16_f32_e32 v8, v8
	s_cbranch_execz .LBB225_233
	s_branch .LBB225_234
	.section	.rodata,"a",@progbits
	.p2align	6, 0x0
	.amdhsa_kernel _ZN2at6native29vectorized_elementwise_kernelILi8EZZZNS0_12_GLOBAL__N_119launch_clamp_scalarERNS_18TensorIteratorBaseEN3c106ScalarES6_NS0_6detail11ClampLimitsEENKUlvE_clEvENKUlvE6_clEvEUlNS5_4HalfEE_St5arrayIPcLm2EEEEviT0_T1_
		.amdhsa_group_segment_fixed_size 0
		.amdhsa_private_segment_fixed_size 0
		.amdhsa_kernarg_size 32
		.amdhsa_user_sgpr_count 2
		.amdhsa_user_sgpr_dispatch_ptr 0
		.amdhsa_user_sgpr_queue_ptr 0
		.amdhsa_user_sgpr_kernarg_segment_ptr 1
		.amdhsa_user_sgpr_dispatch_id 0
		.amdhsa_user_sgpr_kernarg_preload_length 0
		.amdhsa_user_sgpr_kernarg_preload_offset 0
		.amdhsa_user_sgpr_private_segment_size 0
		.amdhsa_wavefront_size32 1
		.amdhsa_uses_dynamic_stack 0
		.amdhsa_enable_private_segment 0
		.amdhsa_system_sgpr_workgroup_id_x 1
		.amdhsa_system_sgpr_workgroup_id_y 0
		.amdhsa_system_sgpr_workgroup_id_z 0
		.amdhsa_system_sgpr_workgroup_info 0
		.amdhsa_system_vgpr_workitem_id 0
		.amdhsa_next_free_vgpr 13
		.amdhsa_next_free_sgpr 14
		.amdhsa_named_barrier_count 0
		.amdhsa_reserve_vcc 1
		.amdhsa_float_round_mode_32 0
		.amdhsa_float_round_mode_16_64 0
		.amdhsa_float_denorm_mode_32 3
		.amdhsa_float_denorm_mode_16_64 3
		.amdhsa_fp16_overflow 0
		.amdhsa_memory_ordered 1
		.amdhsa_forward_progress 1
		.amdhsa_inst_pref_size 36
		.amdhsa_round_robin_scheduling 0
		.amdhsa_exception_fp_ieee_invalid_op 0
		.amdhsa_exception_fp_denorm_src 0
		.amdhsa_exception_fp_ieee_div_zero 0
		.amdhsa_exception_fp_ieee_overflow 0
		.amdhsa_exception_fp_ieee_underflow 0
		.amdhsa_exception_fp_ieee_inexact 0
		.amdhsa_exception_int_div_zero 0
	.end_amdhsa_kernel
	.section	.text._ZN2at6native29vectorized_elementwise_kernelILi8EZZZNS0_12_GLOBAL__N_119launch_clamp_scalarERNS_18TensorIteratorBaseEN3c106ScalarES6_NS0_6detail11ClampLimitsEENKUlvE_clEvENKUlvE6_clEvEUlNS5_4HalfEE_St5arrayIPcLm2EEEEviT0_T1_,"axG",@progbits,_ZN2at6native29vectorized_elementwise_kernelILi8EZZZNS0_12_GLOBAL__N_119launch_clamp_scalarERNS_18TensorIteratorBaseEN3c106ScalarES6_NS0_6detail11ClampLimitsEENKUlvE_clEvENKUlvE6_clEvEUlNS5_4HalfEE_St5arrayIPcLm2EEEEviT0_T1_,comdat
.Lfunc_end225:
	.size	_ZN2at6native29vectorized_elementwise_kernelILi8EZZZNS0_12_GLOBAL__N_119launch_clamp_scalarERNS_18TensorIteratorBaseEN3c106ScalarES6_NS0_6detail11ClampLimitsEENKUlvE_clEvENKUlvE6_clEvEUlNS5_4HalfEE_St5arrayIPcLm2EEEEviT0_T1_, .Lfunc_end225-_ZN2at6native29vectorized_elementwise_kernelILi8EZZZNS0_12_GLOBAL__N_119launch_clamp_scalarERNS_18TensorIteratorBaseEN3c106ScalarES6_NS0_6detail11ClampLimitsEENKUlvE_clEvENKUlvE6_clEvEUlNS5_4HalfEE_St5arrayIPcLm2EEEEviT0_T1_
                                        ; -- End function
	.set _ZN2at6native29vectorized_elementwise_kernelILi8EZZZNS0_12_GLOBAL__N_119launch_clamp_scalarERNS_18TensorIteratorBaseEN3c106ScalarES6_NS0_6detail11ClampLimitsEENKUlvE_clEvENKUlvE6_clEvEUlNS5_4HalfEE_St5arrayIPcLm2EEEEviT0_T1_.num_vgpr, 13
	.set _ZN2at6native29vectorized_elementwise_kernelILi8EZZZNS0_12_GLOBAL__N_119launch_clamp_scalarERNS_18TensorIteratorBaseEN3c106ScalarES6_NS0_6detail11ClampLimitsEENKUlvE_clEvENKUlvE6_clEvEUlNS5_4HalfEE_St5arrayIPcLm2EEEEviT0_T1_.num_agpr, 0
	.set _ZN2at6native29vectorized_elementwise_kernelILi8EZZZNS0_12_GLOBAL__N_119launch_clamp_scalarERNS_18TensorIteratorBaseEN3c106ScalarES6_NS0_6detail11ClampLimitsEENKUlvE_clEvENKUlvE6_clEvEUlNS5_4HalfEE_St5arrayIPcLm2EEEEviT0_T1_.numbered_sgpr, 14
	.set _ZN2at6native29vectorized_elementwise_kernelILi8EZZZNS0_12_GLOBAL__N_119launch_clamp_scalarERNS_18TensorIteratorBaseEN3c106ScalarES6_NS0_6detail11ClampLimitsEENKUlvE_clEvENKUlvE6_clEvEUlNS5_4HalfEE_St5arrayIPcLm2EEEEviT0_T1_.num_named_barrier, 0
	.set _ZN2at6native29vectorized_elementwise_kernelILi8EZZZNS0_12_GLOBAL__N_119launch_clamp_scalarERNS_18TensorIteratorBaseEN3c106ScalarES6_NS0_6detail11ClampLimitsEENKUlvE_clEvENKUlvE6_clEvEUlNS5_4HalfEE_St5arrayIPcLm2EEEEviT0_T1_.private_seg_size, 0
	.set _ZN2at6native29vectorized_elementwise_kernelILi8EZZZNS0_12_GLOBAL__N_119launch_clamp_scalarERNS_18TensorIteratorBaseEN3c106ScalarES6_NS0_6detail11ClampLimitsEENKUlvE_clEvENKUlvE6_clEvEUlNS5_4HalfEE_St5arrayIPcLm2EEEEviT0_T1_.uses_vcc, 1
	.set _ZN2at6native29vectorized_elementwise_kernelILi8EZZZNS0_12_GLOBAL__N_119launch_clamp_scalarERNS_18TensorIteratorBaseEN3c106ScalarES6_NS0_6detail11ClampLimitsEENKUlvE_clEvENKUlvE6_clEvEUlNS5_4HalfEE_St5arrayIPcLm2EEEEviT0_T1_.uses_flat_scratch, 0
	.set _ZN2at6native29vectorized_elementwise_kernelILi8EZZZNS0_12_GLOBAL__N_119launch_clamp_scalarERNS_18TensorIteratorBaseEN3c106ScalarES6_NS0_6detail11ClampLimitsEENKUlvE_clEvENKUlvE6_clEvEUlNS5_4HalfEE_St5arrayIPcLm2EEEEviT0_T1_.has_dyn_sized_stack, 0
	.set _ZN2at6native29vectorized_elementwise_kernelILi8EZZZNS0_12_GLOBAL__N_119launch_clamp_scalarERNS_18TensorIteratorBaseEN3c106ScalarES6_NS0_6detail11ClampLimitsEENKUlvE_clEvENKUlvE6_clEvEUlNS5_4HalfEE_St5arrayIPcLm2EEEEviT0_T1_.has_recursion, 0
	.set _ZN2at6native29vectorized_elementwise_kernelILi8EZZZNS0_12_GLOBAL__N_119launch_clamp_scalarERNS_18TensorIteratorBaseEN3c106ScalarES6_NS0_6detail11ClampLimitsEENKUlvE_clEvENKUlvE6_clEvEUlNS5_4HalfEE_St5arrayIPcLm2EEEEviT0_T1_.has_indirect_call, 0
	.section	.AMDGPU.csdata,"",@progbits
; Kernel info:
; codeLenInByte = 4572
; TotalNumSgprs: 16
; NumVgprs: 13
; ScratchSize: 0
; MemoryBound: 0
; FloatMode: 240
; IeeeMode: 1
; LDSByteSize: 0 bytes/workgroup (compile time only)
; SGPRBlocks: 0
; VGPRBlocks: 0
; NumSGPRsForWavesPerEU: 16
; NumVGPRsForWavesPerEU: 13
; NamedBarCnt: 0
; Occupancy: 16
; WaveLimiterHint : 0
; COMPUTE_PGM_RSRC2:SCRATCH_EN: 0
; COMPUTE_PGM_RSRC2:USER_SGPR: 2
; COMPUTE_PGM_RSRC2:TRAP_HANDLER: 0
; COMPUTE_PGM_RSRC2:TGID_X_EN: 1
; COMPUTE_PGM_RSRC2:TGID_Y_EN: 0
; COMPUTE_PGM_RSRC2:TGID_Z_EN: 0
; COMPUTE_PGM_RSRC2:TIDIG_COMP_CNT: 0
	.section	.text._ZN2at6native29vectorized_elementwise_kernelILi4EZZZNS0_12_GLOBAL__N_119launch_clamp_scalarERNS_18TensorIteratorBaseEN3c106ScalarES6_NS0_6detail11ClampLimitsEENKUlvE_clEvENKUlvE6_clEvEUlNS5_4HalfEE_St5arrayIPcLm2EEEEviT0_T1_,"axG",@progbits,_ZN2at6native29vectorized_elementwise_kernelILi4EZZZNS0_12_GLOBAL__N_119launch_clamp_scalarERNS_18TensorIteratorBaseEN3c106ScalarES6_NS0_6detail11ClampLimitsEENKUlvE_clEvENKUlvE6_clEvEUlNS5_4HalfEE_St5arrayIPcLm2EEEEviT0_T1_,comdat
	.globl	_ZN2at6native29vectorized_elementwise_kernelILi4EZZZNS0_12_GLOBAL__N_119launch_clamp_scalarERNS_18TensorIteratorBaseEN3c106ScalarES6_NS0_6detail11ClampLimitsEENKUlvE_clEvENKUlvE6_clEvEUlNS5_4HalfEE_St5arrayIPcLm2EEEEviT0_T1_ ; -- Begin function _ZN2at6native29vectorized_elementwise_kernelILi4EZZZNS0_12_GLOBAL__N_119launch_clamp_scalarERNS_18TensorIteratorBaseEN3c106ScalarES6_NS0_6detail11ClampLimitsEENKUlvE_clEvENKUlvE6_clEvEUlNS5_4HalfEE_St5arrayIPcLm2EEEEviT0_T1_
	.p2align	8
	.type	_ZN2at6native29vectorized_elementwise_kernelILi4EZZZNS0_12_GLOBAL__N_119launch_clamp_scalarERNS_18TensorIteratorBaseEN3c106ScalarES6_NS0_6detail11ClampLimitsEENKUlvE_clEvENKUlvE6_clEvEUlNS5_4HalfEE_St5arrayIPcLm2EEEEviT0_T1_,@function
_ZN2at6native29vectorized_elementwise_kernelILi4EZZZNS0_12_GLOBAL__N_119launch_clamp_scalarERNS_18TensorIteratorBaseEN3c106ScalarES6_NS0_6detail11ClampLimitsEENKUlvE_clEvENKUlvE6_clEvEUlNS5_4HalfEE_St5arrayIPcLm2EEEEviT0_T1_: ; @_ZN2at6native29vectorized_elementwise_kernelILi4EZZZNS0_12_GLOBAL__N_119launch_clamp_scalarERNS_18TensorIteratorBaseEN3c106ScalarES6_NS0_6detail11ClampLimitsEENKUlvE_clEvENKUlvE6_clEvEUlNS5_4HalfEE_St5arrayIPcLm2EEEEviT0_T1_
; %bb.0:
	s_load_b256 s[4:11], s[0:1], 0x0
	s_wait_xcnt 0x0
	s_bfe_u32 s0, ttmp6, 0x4000c
	s_and_b32 s1, ttmp6, 15
	s_add_co_i32 s0, s0, 1
	s_getreg_b32 s2, hwreg(HW_REG_IB_STS2, 6, 4)
	s_mul_i32 s0, ttmp9, s0
	s_delay_alu instid0(SALU_CYCLE_1) | instskip(SKIP_2) | instid1(SALU_CYCLE_1)
	s_add_co_i32 s1, s1, s0
	s_cmp_eq_u32 s2, 0
	s_cselect_b32 s0, ttmp9, s1
	s_lshl_b32 s2, s0, 11
	s_mov_b32 s0, -1
	s_wait_kmcnt 0x0
	s_sub_co_i32 s4, s4, s2
	s_delay_alu instid0(SALU_CYCLE_1)
	s_cmp_gt_i32 s4, 0x7ff
	s_cbranch_scc0 .LBB226_97
; %bb.1:
	s_ashr_i32 s3, s2, 31
	s_delay_alu instid0(SALU_CYCLE_1)
	s_lshl_b64 s[0:1], s[2:3], 1
	s_mov_b32 s3, exec_lo
	s_add_nc_u64 s[12:13], s[10:11], s[0:1]
	s_clause 0x1
	global_load_b64 v[4:5], v0, s[12:13] scale_offset
	global_load_b64 v[2:3], v0, s[12:13] offset:2048 scale_offset
	s_wait_loadcnt 0x1
	v_mov_b32_e32 v1, v4
	s_wait_xcnt 0x0
	v_cmpx_o_f16_e32 v4, v4
	s_cbranch_execz .LBB226_12
; %bb.2:
	v_cvt_f32_f16_e32 v6, v4
	s_cmp_lt_i32 s5, 1
	s_mov_b32 s12, 0
	s_cbranch_scc1 .LBB226_5
; %bb.3:
	s_cmp_eq_u32 s5, 1
	s_cbranch_scc0 .LBB226_6
; %bb.4:
	v_max_num_f32_e64 v1, s6, s6
	v_max_num_f32_e32 v7, v6, v6
	s_mov_b32 s13, 0
	s_delay_alu instid0(VALU_DEP_1) | instskip(NEXT) | instid1(VALU_DEP_1)
	v_min_num_f32_e32 v1, v7, v1
	v_cvt_f16_f32_e32 v1, v1
	s_branch .LBB226_7
.LBB226_5:
	s_mov_b32 s13, 0
                                        ; implicit-def: $vgpr1
	s_cbranch_execnz .LBB226_8
	s_branch .LBB226_9
.LBB226_6:
	s_mov_b32 s13, -1
                                        ; implicit-def: $vgpr1
.LBB226_7:
	s_branch .LBB226_9
.LBB226_8:
	s_cmp_lg_u32 s5, 0
	s_mov_b32 s12, -1
	s_cselect_b32 s13, -1, 0
.LBB226_9:
	v_max_num_f32_e32 v6, v6, v6
	s_and_not1_b32 vcc_lo, exec_lo, s13
	s_cbranch_vccz .LBB226_16
; %bb.10:
	s_and_not1_b32 vcc_lo, exec_lo, s12
	s_cbranch_vccnz .LBB226_12
.LBB226_11:
	v_max_num_f32_e64 v1, s6, s6
	s_delay_alu instid0(VALU_DEP_1) | instskip(NEXT) | instid1(VALU_DEP_1)
	v_max_num_f32_e32 v1, v6, v1
	v_cvt_f16_f32_e32 v1, v1
.LBB226_12:
	s_or_b32 exec_lo, exec_lo, s3
	v_lshrrev_b32_e32 v4, 16, v4
	s_mov_b32 s3, exec_lo
	s_delay_alu instid0(VALU_DEP_1)
	v_cmpx_o_f16_e32 v4, v4
	s_cbranch_execz .LBB226_24
; %bb.13:
	v_cvt_f32_f16_e32 v6, v4
	s_cmp_lt_i32 s5, 1
	s_mov_b32 s12, 0
	s_cbranch_scc1 .LBB226_17
; %bb.14:
	s_cmp_eq_u32 s5, 1
	s_cbranch_scc0 .LBB226_18
; %bb.15:
	v_max_num_f32_e64 v4, s6, s6
	v_max_num_f32_e32 v7, v6, v6
	s_mov_b32 s13, 0
	s_delay_alu instid0(VALU_DEP_1) | instskip(NEXT) | instid1(VALU_DEP_1)
	v_min_num_f32_e32 v4, v7, v4
	v_cvt_f16_f32_e32 v4, v4
	s_branch .LBB226_19
.LBB226_16:
	v_max_num_f32_e64 v1, s6, s6
	v_max_num_f32_e64 v7, s7, s7
	s_delay_alu instid0(VALU_DEP_1) | instskip(NEXT) | instid1(VALU_DEP_1)
	v_maxmin_num_f32 v1, v6, v1, v7
	v_cvt_f16_f32_e32 v1, v1
	s_cbranch_execz .LBB226_11
	s_branch .LBB226_12
.LBB226_17:
	s_mov_b32 s13, 0
                                        ; implicit-def: $vgpr4
	s_cbranch_execnz .LBB226_20
	s_branch .LBB226_21
.LBB226_18:
	s_mov_b32 s13, -1
                                        ; implicit-def: $vgpr4
.LBB226_19:
	s_branch .LBB226_21
.LBB226_20:
	s_cmp_lg_u32 s5, 0
	s_mov_b32 s12, -1
	s_cselect_b32 s13, -1, 0
.LBB226_21:
	v_max_num_f32_e32 v6, v6, v6
	s_and_not1_b32 vcc_lo, exec_lo, s13
	s_cbranch_vccz .LBB226_28
; %bb.22:
	s_and_not1_b32 vcc_lo, exec_lo, s12
	s_cbranch_vccnz .LBB226_24
.LBB226_23:
	v_max_num_f32_e64 v4, s6, s6
	s_delay_alu instid0(VALU_DEP_1) | instskip(NEXT) | instid1(VALU_DEP_1)
	v_max_num_f32_e32 v4, v6, v4
	v_cvt_f16_f32_e32 v4, v4
.LBB226_24:
	s_or_b32 exec_lo, exec_lo, s3
	v_mov_b32_e32 v6, v5
	s_mov_b32 s3, exec_lo
	v_cmpx_o_f16_e32 v5, v5
	s_cbranch_execz .LBB226_36
; %bb.25:
	v_cvt_f32_f16_e32 v7, v5
	s_cmp_lt_i32 s5, 1
	s_mov_b32 s12, 0
	s_cbranch_scc1 .LBB226_29
; %bb.26:
	s_cmp_eq_u32 s5, 1
	s_cbranch_scc0 .LBB226_30
; %bb.27:
	v_max_num_f32_e64 v6, s6, s6
	v_max_num_f32_e32 v8, v7, v7
	s_mov_b32 s13, 0
	s_delay_alu instid0(VALU_DEP_1) | instskip(NEXT) | instid1(VALU_DEP_1)
	v_min_num_f32_e32 v6, v8, v6
	v_cvt_f16_f32_e32 v6, v6
	s_branch .LBB226_31
.LBB226_28:
	v_max_num_f32_e64 v4, s6, s6
	v_max_num_f32_e64 v7, s7, s7
	s_delay_alu instid0(VALU_DEP_1) | instskip(NEXT) | instid1(VALU_DEP_1)
	v_maxmin_num_f32 v4, v6, v4, v7
	v_cvt_f16_f32_e32 v4, v4
	s_cbranch_execz .LBB226_23
	s_branch .LBB226_24
.LBB226_29:
	s_mov_b32 s13, 0
                                        ; implicit-def: $vgpr6
	s_cbranch_execnz .LBB226_32
	s_branch .LBB226_33
.LBB226_30:
	s_mov_b32 s13, -1
                                        ; implicit-def: $vgpr6
.LBB226_31:
	s_branch .LBB226_33
.LBB226_32:
	s_cmp_lg_u32 s5, 0
	s_mov_b32 s12, -1
	s_cselect_b32 s13, -1, 0
.LBB226_33:
	v_max_num_f32_e32 v7, v7, v7
	s_and_not1_b32 vcc_lo, exec_lo, s13
	s_cbranch_vccz .LBB226_40
; %bb.34:
	s_and_not1_b32 vcc_lo, exec_lo, s12
	s_cbranch_vccnz .LBB226_36
.LBB226_35:
	v_max_num_f32_e64 v6, s6, s6
	s_delay_alu instid0(VALU_DEP_1) | instskip(NEXT) | instid1(VALU_DEP_1)
	v_max_num_f32_e32 v6, v7, v6
	v_cvt_f16_f32_e32 v6, v6
.LBB226_36:
	s_or_b32 exec_lo, exec_lo, s3
	v_lshrrev_b32_e32 v5, 16, v5
	s_mov_b32 s3, exec_lo
	s_delay_alu instid0(VALU_DEP_1)
	v_cmpx_o_f16_e32 v5, v5
	s_cbranch_execz .LBB226_48
; %bb.37:
	v_cvt_f32_f16_e32 v7, v5
	s_cmp_lt_i32 s5, 1
	s_mov_b32 s12, 0
	s_cbranch_scc1 .LBB226_41
; %bb.38:
	s_cmp_eq_u32 s5, 1
	s_cbranch_scc0 .LBB226_42
; %bb.39:
	v_max_num_f32_e64 v5, s6, s6
	v_max_num_f32_e32 v8, v7, v7
	s_mov_b32 s13, 0
	s_delay_alu instid0(VALU_DEP_1) | instskip(NEXT) | instid1(VALU_DEP_1)
	v_min_num_f32_e32 v5, v8, v5
	v_cvt_f16_f32_e32 v5, v5
	s_branch .LBB226_43
.LBB226_40:
	v_max_num_f32_e64 v6, s6, s6
	v_max_num_f32_e64 v8, s7, s7
	s_delay_alu instid0(VALU_DEP_1) | instskip(NEXT) | instid1(VALU_DEP_1)
	v_maxmin_num_f32 v6, v7, v6, v8
	v_cvt_f16_f32_e32 v6, v6
	s_cbranch_execz .LBB226_35
	s_branch .LBB226_36
.LBB226_41:
	s_mov_b32 s13, 0
                                        ; implicit-def: $vgpr5
	s_cbranch_execnz .LBB226_44
	s_branch .LBB226_45
.LBB226_42:
	s_mov_b32 s13, -1
                                        ; implicit-def: $vgpr5
.LBB226_43:
	s_branch .LBB226_45
.LBB226_44:
	s_cmp_lg_u32 s5, 0
	s_mov_b32 s12, -1
	s_cselect_b32 s13, -1, 0
.LBB226_45:
	v_max_num_f32_e32 v7, v7, v7
	s_and_not1_b32 vcc_lo, exec_lo, s13
	s_cbranch_vccz .LBB226_52
; %bb.46:
	s_and_not1_b32 vcc_lo, exec_lo, s12
	s_cbranch_vccnz .LBB226_48
.LBB226_47:
	v_max_num_f32_e64 v5, s6, s6
	s_delay_alu instid0(VALU_DEP_1) | instskip(NEXT) | instid1(VALU_DEP_1)
	v_max_num_f32_e32 v5, v7, v5
	v_cvt_f16_f32_e32 v5, v5
.LBB226_48:
	s_or_b32 exec_lo, exec_lo, s3
	s_wait_loadcnt 0x0
	v_mov_b32_e32 v7, v2
	s_mov_b32 s3, exec_lo
	v_cmpx_o_f16_e32 v2, v2
	s_cbranch_execz .LBB226_60
; %bb.49:
	v_cvt_f32_f16_e32 v8, v2
	s_cmp_lt_i32 s5, 1
	s_mov_b32 s12, 0
	s_cbranch_scc1 .LBB226_53
; %bb.50:
	s_cmp_eq_u32 s5, 1
	s_cbranch_scc0 .LBB226_54
; %bb.51:
	v_max_num_f32_e64 v7, s6, s6
	v_max_num_f32_e32 v9, v8, v8
	s_mov_b32 s13, 0
	s_delay_alu instid0(VALU_DEP_1) | instskip(NEXT) | instid1(VALU_DEP_1)
	v_min_num_f32_e32 v7, v9, v7
	v_cvt_f16_f32_e32 v7, v7
	s_branch .LBB226_55
.LBB226_52:
	v_max_num_f32_e64 v5, s6, s6
	v_max_num_f32_e64 v8, s7, s7
	s_delay_alu instid0(VALU_DEP_1) | instskip(NEXT) | instid1(VALU_DEP_1)
	v_maxmin_num_f32 v5, v7, v5, v8
	v_cvt_f16_f32_e32 v5, v5
	s_cbranch_execz .LBB226_47
	s_branch .LBB226_48
.LBB226_53:
	s_mov_b32 s13, 0
                                        ; implicit-def: $vgpr7
	s_cbranch_execnz .LBB226_56
	s_branch .LBB226_57
.LBB226_54:
	s_mov_b32 s13, -1
                                        ; implicit-def: $vgpr7
.LBB226_55:
	s_branch .LBB226_57
.LBB226_56:
	s_cmp_lg_u32 s5, 0
	s_mov_b32 s12, -1
	s_cselect_b32 s13, -1, 0
.LBB226_57:
	v_max_num_f32_e32 v8, v8, v8
	s_and_not1_b32 vcc_lo, exec_lo, s13
	s_cbranch_vccz .LBB226_64
; %bb.58:
	s_and_not1_b32 vcc_lo, exec_lo, s12
	s_cbranch_vccnz .LBB226_60
.LBB226_59:
	v_max_num_f32_e64 v7, s6, s6
	s_delay_alu instid0(VALU_DEP_1) | instskip(NEXT) | instid1(VALU_DEP_1)
	v_max_num_f32_e32 v7, v8, v7
	v_cvt_f16_f32_e32 v7, v7
.LBB226_60:
	s_or_b32 exec_lo, exec_lo, s3
	v_lshrrev_b32_e32 v2, 16, v2
	s_mov_b32 s3, exec_lo
	s_delay_alu instid0(VALU_DEP_1)
	v_cmpx_o_f16_e32 v2, v2
	s_cbranch_execz .LBB226_72
; %bb.61:
	v_cvt_f32_f16_e32 v8, v2
	s_cmp_lt_i32 s5, 1
	s_mov_b32 s12, 0
	s_cbranch_scc1 .LBB226_65
; %bb.62:
	s_cmp_eq_u32 s5, 1
	s_cbranch_scc0 .LBB226_66
; %bb.63:
	v_max_num_f32_e64 v2, s6, s6
	v_max_num_f32_e32 v9, v8, v8
	s_mov_b32 s13, 0
	s_delay_alu instid0(VALU_DEP_1) | instskip(NEXT) | instid1(VALU_DEP_1)
	v_min_num_f32_e32 v2, v9, v2
	v_cvt_f16_f32_e32 v2, v2
	s_branch .LBB226_67
.LBB226_64:
	v_max_num_f32_e64 v7, s6, s6
	v_max_num_f32_e64 v9, s7, s7
	s_delay_alu instid0(VALU_DEP_1) | instskip(NEXT) | instid1(VALU_DEP_1)
	v_maxmin_num_f32 v7, v8, v7, v9
	v_cvt_f16_f32_e32 v7, v7
	s_cbranch_execz .LBB226_59
	s_branch .LBB226_60
.LBB226_65:
	s_mov_b32 s13, 0
                                        ; implicit-def: $vgpr2
	s_cbranch_execnz .LBB226_68
	s_branch .LBB226_69
.LBB226_66:
	s_mov_b32 s13, -1
                                        ; implicit-def: $vgpr2
.LBB226_67:
	s_branch .LBB226_69
.LBB226_68:
	s_cmp_lg_u32 s5, 0
	s_mov_b32 s12, -1
	s_cselect_b32 s13, -1, 0
.LBB226_69:
	v_max_num_f32_e32 v8, v8, v8
	s_and_not1_b32 vcc_lo, exec_lo, s13
	s_cbranch_vccz .LBB226_76
; %bb.70:
	s_and_not1_b32 vcc_lo, exec_lo, s12
	s_cbranch_vccnz .LBB226_72
.LBB226_71:
	v_max_num_f32_e64 v2, s6, s6
	s_delay_alu instid0(VALU_DEP_1) | instskip(NEXT) | instid1(VALU_DEP_1)
	v_max_num_f32_e32 v2, v8, v2
	v_cvt_f16_f32_e32 v2, v2
.LBB226_72:
	s_or_b32 exec_lo, exec_lo, s3
	v_mov_b32_e32 v8, v3
	s_mov_b32 s3, exec_lo
	v_cmpx_o_f16_e32 v3, v3
	s_cbranch_execz .LBB226_84
; %bb.73:
	v_cvt_f32_f16_e32 v9, v3
	s_cmp_lt_i32 s5, 1
	s_mov_b32 s12, 0
	s_cbranch_scc1 .LBB226_77
; %bb.74:
	s_cmp_eq_u32 s5, 1
	s_cbranch_scc0 .LBB226_78
; %bb.75:
	v_max_num_f32_e64 v8, s6, s6
	v_max_num_f32_e32 v10, v9, v9
	s_mov_b32 s13, 0
	s_delay_alu instid0(VALU_DEP_1) | instskip(NEXT) | instid1(VALU_DEP_1)
	v_min_num_f32_e32 v8, v10, v8
	v_cvt_f16_f32_e32 v8, v8
	s_branch .LBB226_79
.LBB226_76:
	v_max_num_f32_e64 v2, s6, s6
	v_max_num_f32_e64 v9, s7, s7
	s_delay_alu instid0(VALU_DEP_1) | instskip(NEXT) | instid1(VALU_DEP_1)
	v_maxmin_num_f32 v2, v8, v2, v9
	v_cvt_f16_f32_e32 v2, v2
	s_cbranch_execz .LBB226_71
	s_branch .LBB226_72
.LBB226_77:
	s_mov_b32 s13, 0
                                        ; implicit-def: $vgpr8
	s_cbranch_execnz .LBB226_80
	s_branch .LBB226_81
.LBB226_78:
	s_mov_b32 s13, -1
                                        ; implicit-def: $vgpr8
.LBB226_79:
	s_branch .LBB226_81
.LBB226_80:
	s_cmp_lg_u32 s5, 0
	s_mov_b32 s12, -1
	s_cselect_b32 s13, -1, 0
.LBB226_81:
	v_max_num_f32_e32 v9, v9, v9
	s_and_not1_b32 vcc_lo, exec_lo, s13
	s_cbranch_vccz .LBB226_88
; %bb.82:
	s_and_not1_b32 vcc_lo, exec_lo, s12
	s_cbranch_vccnz .LBB226_84
.LBB226_83:
	v_max_num_f32_e64 v8, s6, s6
	s_delay_alu instid0(VALU_DEP_1) | instskip(NEXT) | instid1(VALU_DEP_1)
	v_max_num_f32_e32 v8, v9, v8
	v_cvt_f16_f32_e32 v8, v8
.LBB226_84:
	s_or_b32 exec_lo, exec_lo, s3
	v_lshrrev_b32_e32 v3, 16, v3
	s_mov_b32 s3, exec_lo
	s_delay_alu instid0(VALU_DEP_1)
	v_cmpx_o_f16_e32 v3, v3
	s_cbranch_execz .LBB226_96
; %bb.85:
	v_cvt_f32_f16_e32 v9, v3
	s_cmp_lt_i32 s5, 1
	s_mov_b32 s12, 0
	s_cbranch_scc1 .LBB226_89
; %bb.86:
	s_cmp_eq_u32 s5, 1
	s_cbranch_scc0 .LBB226_90
; %bb.87:
	v_max_num_f32_e64 v3, s6, s6
	v_max_num_f32_e32 v10, v9, v9
	s_mov_b32 s13, 0
	s_delay_alu instid0(VALU_DEP_1) | instskip(NEXT) | instid1(VALU_DEP_1)
	v_min_num_f32_e32 v3, v10, v3
	v_cvt_f16_f32_e32 v3, v3
	s_branch .LBB226_91
.LBB226_88:
	v_max_num_f32_e64 v8, s6, s6
	v_max_num_f32_e64 v10, s7, s7
	s_delay_alu instid0(VALU_DEP_1) | instskip(NEXT) | instid1(VALU_DEP_1)
	v_maxmin_num_f32 v8, v9, v8, v10
	v_cvt_f16_f32_e32 v8, v8
	s_cbranch_execz .LBB226_83
	s_branch .LBB226_84
.LBB226_89:
	s_mov_b32 s13, 0
                                        ; implicit-def: $vgpr3
	s_cbranch_execnz .LBB226_92
	s_branch .LBB226_93
.LBB226_90:
	s_mov_b32 s13, -1
                                        ; implicit-def: $vgpr3
.LBB226_91:
	s_branch .LBB226_93
.LBB226_92:
	s_cmp_lg_u32 s5, 0
	s_mov_b32 s12, -1
	s_cselect_b32 s13, -1, 0
.LBB226_93:
	v_max_num_f32_e32 v9, v9, v9
	s_and_not1_b32 vcc_lo, exec_lo, s13
	s_cbranch_vccz .LBB226_120
; %bb.94:
	s_and_not1_b32 vcc_lo, exec_lo, s12
	s_cbranch_vccnz .LBB226_96
.LBB226_95:
	v_max_num_f32_e64 v3, s6, s6
	s_delay_alu instid0(VALU_DEP_1) | instskip(NEXT) | instid1(VALU_DEP_1)
	v_max_num_f32_e32 v3, v9, v3
	v_cvt_f16_f32_e32 v3, v3
.LBB226_96:
	s_or_b32 exec_lo, exec_lo, s3
	v_dual_lshlrev_b32 v2, 16, v2 :: v_dual_lshlrev_b32 v4, 16, v4
	v_and_b32_e32 v1, 0xffff, v1
	v_and_b32_e32 v7, 0xffff, v7
	v_and_b32_e32 v6, 0xffff, v6
	v_lshlrev_b32_e32 v5, 16, v5
	v_and_b32_e32 v8, 0xffff, v8
	v_dual_lshlrev_b32 v4, 16, v3 :: v_dual_bitop2_b32 v1, v4, v1 bitop3:0x54
	v_or_b32_e32 v7, v2, v7
	s_delay_alu instid0(VALU_DEP_4) | instskip(SKIP_1) | instid1(VALU_DEP_3)
	v_or3_b32 v3, v6, 0, v5
	s_add_nc_u64 s[12:13], s[8:9], s[0:1]
	v_or3_b32 v2, 0, v1, 0
	v_or3_b32 v5, v8, 0, v4
	;; [unrolled: 1-line block ×3, first 2 shown]
	s_mov_b32 s0, 0
	s_clause 0x1
	global_store_b64 v0, v[2:3], s[12:13] scale_offset
	global_store_b64 v0, v[4:5], s[12:13] offset:2048 scale_offset
.LBB226_97:
	s_and_b32 vcc_lo, exec_lo, s0
	s_cbranch_vccz .LBB226_242
; %bb.98:
	v_cmp_gt_i32_e64 s0, s4, v0
	s_wait_xcnt 0x1
	v_dual_mov_b32 v3, 0 :: v_dual_bitop2_b32 v1, s2, v0 bitop3:0x54
	v_or_b32_e32 v2, 0x100, v0
	s_wait_xcnt 0x0
	v_dual_mov_b32 v5, 0 :: v_dual_mov_b32 v11, v0
	s_and_saveexec_b32 s1, s0
	s_cbranch_execz .LBB226_100
; %bb.99:
	global_load_u16 v5, v1, s[10:11] scale_offset
	v_or_b32_e32 v11, 0x100, v0
.LBB226_100:
	s_wait_xcnt 0x0
	s_or_b32 exec_lo, exec_lo, s1
	s_delay_alu instid0(SALU_CYCLE_1) | instskip(NEXT) | instid1(VALU_DEP_1)
	s_mov_b32 s1, exec_lo
	v_cmpx_gt_i32_e64 s4, v11
	s_cbranch_execz .LBB226_102
; %bb.101:
	v_add_nc_u32_e32 v3, s2, v11
	v_add_nc_u32_e32 v11, 0x100, v11
	global_load_u16 v3, v3, s[10:11] scale_offset
.LBB226_102:
	s_wait_xcnt 0x0
	s_or_b32 exec_lo, exec_lo, s1
	v_dual_mov_b32 v4, 0 :: v_dual_mov_b32 v7, 0
	s_mov_b32 s1, exec_lo
	v_cmpx_gt_i32_e64 s4, v11
	s_cbranch_execz .LBB226_104
; %bb.103:
	v_add_nc_u32_e32 v6, s2, v11
	v_add_nc_u32_e32 v11, 0x100, v11
	global_load_u16 v7, v6, s[10:11] scale_offset
.LBB226_104:
	s_wait_xcnt 0x0
	s_or_b32 exec_lo, exec_lo, s1
	s_delay_alu instid0(SALU_CYCLE_1)
	s_mov_b32 s1, exec_lo
	v_cmpx_gt_i32_e64 s4, v11
	s_cbranch_execz .LBB226_106
; %bb.105:
	v_add_nc_u32_e32 v4, s2, v11
	v_add_nc_u32_e32 v11, 0x100, v11
	global_load_u16 v4, v4, s[10:11] scale_offset
.LBB226_106:
	s_wait_xcnt 0x0
	s_or_b32 exec_lo, exec_lo, s1
	v_dual_mov_b32 v6, 0 :: v_dual_mov_b32 v9, 0
	s_mov_b32 s1, exec_lo
	v_cmpx_gt_i32_e64 s4, v11
	s_cbranch_execz .LBB226_108
; %bb.107:
	v_add_nc_u32_e32 v8, s2, v11
	v_add_nc_u32_e32 v11, 0x100, v11
	global_load_u16 v9, v8, s[10:11] scale_offset
.LBB226_108:
	s_wait_xcnt 0x0
	s_or_b32 exec_lo, exec_lo, s1
	s_delay_alu instid0(SALU_CYCLE_1)
	s_mov_b32 s1, exec_lo
	v_cmpx_gt_i32_e64 s4, v11
	s_cbranch_execz .LBB226_110
; %bb.109:
	v_add_nc_u32_e32 v6, s2, v11
	v_add_nc_u32_e32 v11, 0x100, v11
	global_load_u16 v6, v6, s[10:11] scale_offset
.LBB226_110:
	s_wait_xcnt 0x0
	s_or_b32 exec_lo, exec_lo, s1
	v_dual_mov_b32 v8, 0 :: v_dual_mov_b32 v10, 0
	s_mov_b32 s1, exec_lo
	v_cmpx_gt_i32_e64 s4, v11
	s_cbranch_execnz .LBB226_114
; %bb.111:
	s_or_b32 exec_lo, exec_lo, s1
	s_delay_alu instid0(SALU_CYCLE_1)
	s_mov_b32 s1, exec_lo
	v_cmpx_gt_i32_e64 s4, v11
	s_cbranch_execnz .LBB226_115
.LBB226_112:
	s_or_b32 exec_lo, exec_lo, s1
	s_and_saveexec_b32 s1, s0
	s_cbranch_execnz .LBB226_116
.LBB226_113:
	s_or_b32 exec_lo, exec_lo, s1
	s_delay_alu instid0(SALU_CYCLE_1)
	s_mov_b32 s1, exec_lo
	v_cmpx_gt_i32_e64 s4, v2
	s_cbranch_execnz .LBB226_129
	s_branch .LBB226_142
.LBB226_114:
	v_add_nc_u32_e32 v10, s2, v11
	v_add_nc_u32_e32 v11, 0x100, v11
	global_load_u16 v10, v10, s[10:11] scale_offset
	s_wait_xcnt 0x0
	s_or_b32 exec_lo, exec_lo, s1
	s_delay_alu instid0(SALU_CYCLE_1)
	s_mov_b32 s1, exec_lo
	v_cmpx_gt_i32_e64 s4, v11
	s_cbranch_execz .LBB226_112
.LBB226_115:
	v_add_nc_u32_e32 v8, s2, v11
	global_load_u16 v8, v8, s[10:11] scale_offset
	s_wait_xcnt 0x0
	s_or_b32 exec_lo, exec_lo, s1
	s_and_saveexec_b32 s1, s0
	s_cbranch_execz .LBB226_113
.LBB226_116:
	s_mov_b32 s3, exec_lo
	s_wait_loadcnt 0x0
	v_cmpx_o_f16_e32 v5, v5
	s_cbranch_execz .LBB226_128
; %bb.117:
	v_cvt_f32_f16_e32 v11, v5
	s_cmp_lt_i32 s5, 1
	s_mov_b32 s10, 0
	s_cbranch_scc1 .LBB226_121
; %bb.118:
	s_cmp_eq_u32 s5, 1
	s_cbranch_scc0 .LBB226_122
; %bb.119:
	v_max_num_f32_e64 v5, s6, s6
	v_max_num_f32_e32 v12, v11, v11
	s_mov_b32 s11, 0
	s_delay_alu instid0(VALU_DEP_1) | instskip(NEXT) | instid1(VALU_DEP_1)
	v_min_num_f32_e32 v5, v12, v5
	v_cvt_f16_f32_e32 v5, v5
	s_branch .LBB226_123
.LBB226_120:
	v_max_num_f32_e64 v3, s6, s6
	v_max_num_f32_e64 v10, s7, s7
	s_delay_alu instid0(VALU_DEP_1) | instskip(NEXT) | instid1(VALU_DEP_1)
	v_maxmin_num_f32 v3, v9, v3, v10
	v_cvt_f16_f32_e32 v3, v3
	s_cbranch_execz .LBB226_95
	s_branch .LBB226_96
.LBB226_121:
	s_mov_b32 s11, 0
                                        ; implicit-def: $vgpr5
	s_cbranch_execnz .LBB226_124
	s_branch .LBB226_125
.LBB226_122:
	s_mov_b32 s11, -1
                                        ; implicit-def: $vgpr5
.LBB226_123:
	s_branch .LBB226_125
.LBB226_124:
	s_cmp_lg_u32 s5, 0
	s_mov_b32 s10, -1
	s_cselect_b32 s11, -1, 0
.LBB226_125:
	v_max_num_f32_e32 v11, v11, v11
	s_and_not1_b32 vcc_lo, exec_lo, s11
	s_cbranch_vccz .LBB226_133
; %bb.126:
	s_and_not1_b32 vcc_lo, exec_lo, s10
	s_cbranch_vccnz .LBB226_128
.LBB226_127:
	v_max_num_f32_e64 v5, s6, s6
	s_delay_alu instid0(VALU_DEP_1) | instskip(NEXT) | instid1(VALU_DEP_1)
	v_max_num_f32_e32 v5, v11, v5
	v_cvt_f16_f32_e32 v5, v5
.LBB226_128:
	s_or_b32 exec_lo, exec_lo, s3
	s_delay_alu instid0(SALU_CYCLE_1) | instskip(NEXT) | instid1(SALU_CYCLE_1)
	s_or_b32 exec_lo, exec_lo, s1
	s_mov_b32 s1, exec_lo
	v_cmpx_gt_i32_e64 s4, v2
	s_cbranch_execz .LBB226_142
.LBB226_129:
	s_mov_b32 s3, exec_lo
	s_wait_loadcnt 0x0
	v_cmpx_o_f16_e32 v3, v3
	s_cbranch_execz .LBB226_141
; %bb.130:
	v_cvt_f32_f16_e32 v11, v3
	s_cmp_lt_i32 s5, 1
	s_mov_b32 s10, 0
	s_cbranch_scc1 .LBB226_134
; %bb.131:
	s_cmp_eq_u32 s5, 1
	s_cbranch_scc0 .LBB226_135
; %bb.132:
	v_max_num_f32_e64 v3, s6, s6
	v_max_num_f32_e32 v12, v11, v11
	s_mov_b32 s11, 0
	s_delay_alu instid0(VALU_DEP_1) | instskip(NEXT) | instid1(VALU_DEP_1)
	v_min_num_f32_e32 v3, v12, v3
	v_cvt_f16_f32_e32 v3, v3
	s_branch .LBB226_136
.LBB226_133:
	v_max_num_f32_e64 v5, s6, s6
	v_max_num_f32_e64 v12, s7, s7
	s_delay_alu instid0(VALU_DEP_1) | instskip(NEXT) | instid1(VALU_DEP_1)
	v_maxmin_num_f32 v5, v11, v5, v12
	v_cvt_f16_f32_e32 v5, v5
	s_cbranch_execz .LBB226_127
	s_branch .LBB226_128
.LBB226_134:
	s_mov_b32 s11, 0
                                        ; implicit-def: $vgpr3
	s_cbranch_execnz .LBB226_137
	s_branch .LBB226_138
.LBB226_135:
	s_mov_b32 s11, -1
                                        ; implicit-def: $vgpr3
.LBB226_136:
	s_branch .LBB226_138
.LBB226_137:
	s_cmp_lg_u32 s5, 0
	s_mov_b32 s10, -1
	s_cselect_b32 s11, -1, 0
.LBB226_138:
	v_max_num_f32_e32 v11, v11, v11
	s_and_not1_b32 vcc_lo, exec_lo, s11
	s_cbranch_vccz .LBB226_147
; %bb.139:
	s_and_not1_b32 vcc_lo, exec_lo, s10
	s_cbranch_vccnz .LBB226_141
.LBB226_140:
	v_max_num_f32_e64 v3, s6, s6
	s_delay_alu instid0(VALU_DEP_1) | instskip(NEXT) | instid1(VALU_DEP_1)
	v_max_num_f32_e32 v3, v11, v3
	v_cvt_f16_f32_e32 v3, v3
.LBB226_141:
	s_or_b32 exec_lo, exec_lo, s3
.LBB226_142:
	s_delay_alu instid0(SALU_CYCLE_1) | instskip(SKIP_2) | instid1(VALU_DEP_1)
	s_or_b32 exec_lo, exec_lo, s1
	v_or_b32_e32 v11, 0x200, v0
	s_mov_b32 s1, exec_lo
	v_cmpx_gt_i32_e64 s4, v11
	s_cbranch_execz .LBB226_156
; %bb.143:
	s_mov_b32 s3, exec_lo
	s_wait_loadcnt 0x0
	v_cmpx_o_f16_e32 v7, v7
	s_cbranch_execz .LBB226_155
; %bb.144:
	v_cvt_f32_f16_e32 v11, v7
	s_cmp_lt_i32 s5, 1
	s_mov_b32 s10, 0
	s_cbranch_scc1 .LBB226_148
; %bb.145:
	s_cmp_eq_u32 s5, 1
	s_cbranch_scc0 .LBB226_149
; %bb.146:
	v_max_num_f32_e64 v7, s6, s6
	v_max_num_f32_e32 v12, v11, v11
	s_mov_b32 s11, 0
	s_delay_alu instid0(VALU_DEP_1) | instskip(NEXT) | instid1(VALU_DEP_1)
	v_min_num_f32_e32 v7, v12, v7
	v_cvt_f16_f32_e32 v7, v7
	s_branch .LBB226_150
.LBB226_147:
	v_max_num_f32_e64 v3, s6, s6
	v_max_num_f32_e64 v12, s7, s7
	s_delay_alu instid0(VALU_DEP_1) | instskip(NEXT) | instid1(VALU_DEP_1)
	v_maxmin_num_f32 v3, v11, v3, v12
	v_cvt_f16_f32_e32 v3, v3
	s_cbranch_execz .LBB226_140
	s_branch .LBB226_141
.LBB226_148:
	s_mov_b32 s11, 0
                                        ; implicit-def: $vgpr7
	s_cbranch_execnz .LBB226_151
	s_branch .LBB226_152
.LBB226_149:
	s_mov_b32 s11, -1
                                        ; implicit-def: $vgpr7
.LBB226_150:
	s_branch .LBB226_152
.LBB226_151:
	s_cmp_lg_u32 s5, 0
	s_mov_b32 s10, -1
	s_cselect_b32 s11, -1, 0
.LBB226_152:
	v_max_num_f32_e32 v11, v11, v11
	s_and_not1_b32 vcc_lo, exec_lo, s11
	s_cbranch_vccz .LBB226_161
; %bb.153:
	s_and_not1_b32 vcc_lo, exec_lo, s10
	s_cbranch_vccnz .LBB226_155
.LBB226_154:
	v_max_num_f32_e64 v7, s6, s6
	s_delay_alu instid0(VALU_DEP_1) | instskip(NEXT) | instid1(VALU_DEP_1)
	v_max_num_f32_e32 v7, v11, v7
	v_cvt_f16_f32_e32 v7, v7
.LBB226_155:
	s_or_b32 exec_lo, exec_lo, s3
.LBB226_156:
	s_delay_alu instid0(SALU_CYCLE_1) | instskip(SKIP_2) | instid1(VALU_DEP_1)
	s_or_b32 exec_lo, exec_lo, s1
	v_or_b32_e32 v11, 0x300, v0
	s_mov_b32 s1, exec_lo
	v_cmpx_gt_i32_e64 s4, v11
	s_cbranch_execz .LBB226_170
; %bb.157:
	s_mov_b32 s3, exec_lo
	s_wait_loadcnt 0x0
	v_cmpx_o_f16_e32 v4, v4
	s_cbranch_execz .LBB226_169
; %bb.158:
	v_cvt_f32_f16_e32 v11, v4
	s_cmp_lt_i32 s5, 1
	s_mov_b32 s10, 0
	s_cbranch_scc1 .LBB226_162
; %bb.159:
	s_cmp_eq_u32 s5, 1
	s_cbranch_scc0 .LBB226_163
; %bb.160:
	v_max_num_f32_e64 v4, s6, s6
	v_max_num_f32_e32 v12, v11, v11
	s_mov_b32 s11, 0
	s_delay_alu instid0(VALU_DEP_1) | instskip(NEXT) | instid1(VALU_DEP_1)
	v_min_num_f32_e32 v4, v12, v4
	v_cvt_f16_f32_e32 v4, v4
	s_branch .LBB226_164
.LBB226_161:
	v_max_num_f32_e64 v7, s6, s6
	v_max_num_f32_e64 v12, s7, s7
	s_delay_alu instid0(VALU_DEP_1) | instskip(NEXT) | instid1(VALU_DEP_1)
	v_maxmin_num_f32 v7, v11, v7, v12
	v_cvt_f16_f32_e32 v7, v7
	s_cbranch_execz .LBB226_154
	s_branch .LBB226_155
.LBB226_162:
	s_mov_b32 s11, 0
                                        ; implicit-def: $vgpr4
	s_cbranch_execnz .LBB226_165
	s_branch .LBB226_166
.LBB226_163:
	s_mov_b32 s11, -1
                                        ; implicit-def: $vgpr4
.LBB226_164:
	s_branch .LBB226_166
.LBB226_165:
	s_cmp_lg_u32 s5, 0
	s_mov_b32 s10, -1
	s_cselect_b32 s11, -1, 0
.LBB226_166:
	v_max_num_f32_e32 v11, v11, v11
	s_and_not1_b32 vcc_lo, exec_lo, s11
	s_cbranch_vccz .LBB226_175
; %bb.167:
	s_and_not1_b32 vcc_lo, exec_lo, s10
	s_cbranch_vccnz .LBB226_169
.LBB226_168:
	v_max_num_f32_e64 v4, s6, s6
	s_delay_alu instid0(VALU_DEP_1) | instskip(NEXT) | instid1(VALU_DEP_1)
	v_max_num_f32_e32 v4, v11, v4
	v_cvt_f16_f32_e32 v4, v4
.LBB226_169:
	s_or_b32 exec_lo, exec_lo, s3
.LBB226_170:
	s_delay_alu instid0(SALU_CYCLE_1) | instskip(SKIP_2) | instid1(VALU_DEP_1)
	s_or_b32 exec_lo, exec_lo, s1
	v_or_b32_e32 v11, 0x400, v0
	s_mov_b32 s1, exec_lo
	v_cmpx_gt_i32_e64 s4, v11
	s_cbranch_execz .LBB226_184
; %bb.171:
	s_mov_b32 s3, exec_lo
	s_wait_loadcnt 0x0
	v_cmpx_o_f16_e32 v9, v9
	s_cbranch_execz .LBB226_183
; %bb.172:
	v_cvt_f32_f16_e32 v11, v9
	s_cmp_lt_i32 s5, 1
	s_mov_b32 s10, 0
	s_cbranch_scc1 .LBB226_176
; %bb.173:
	s_cmp_eq_u32 s5, 1
	s_cbranch_scc0 .LBB226_177
; %bb.174:
	v_max_num_f32_e64 v9, s6, s6
	v_max_num_f32_e32 v12, v11, v11
	s_mov_b32 s11, 0
	s_delay_alu instid0(VALU_DEP_1) | instskip(NEXT) | instid1(VALU_DEP_1)
	v_min_num_f32_e32 v9, v12, v9
	v_cvt_f16_f32_e32 v9, v9
	s_branch .LBB226_178
.LBB226_175:
	v_max_num_f32_e64 v4, s6, s6
	v_max_num_f32_e64 v12, s7, s7
	s_delay_alu instid0(VALU_DEP_1) | instskip(NEXT) | instid1(VALU_DEP_1)
	v_maxmin_num_f32 v4, v11, v4, v12
	v_cvt_f16_f32_e32 v4, v4
	s_cbranch_execz .LBB226_168
	s_branch .LBB226_169
.LBB226_176:
	s_mov_b32 s11, 0
                                        ; implicit-def: $vgpr9
	s_cbranch_execnz .LBB226_179
	s_branch .LBB226_180
.LBB226_177:
	s_mov_b32 s11, -1
                                        ; implicit-def: $vgpr9
.LBB226_178:
	s_branch .LBB226_180
.LBB226_179:
	s_cmp_lg_u32 s5, 0
	s_mov_b32 s10, -1
	s_cselect_b32 s11, -1, 0
.LBB226_180:
	v_max_num_f32_e32 v11, v11, v11
	s_and_not1_b32 vcc_lo, exec_lo, s11
	s_cbranch_vccz .LBB226_189
; %bb.181:
	s_and_not1_b32 vcc_lo, exec_lo, s10
	s_cbranch_vccnz .LBB226_183
.LBB226_182:
	v_max_num_f32_e64 v9, s6, s6
	s_delay_alu instid0(VALU_DEP_1) | instskip(NEXT) | instid1(VALU_DEP_1)
	v_max_num_f32_e32 v9, v11, v9
	v_cvt_f16_f32_e32 v9, v9
.LBB226_183:
	s_or_b32 exec_lo, exec_lo, s3
.LBB226_184:
	s_delay_alu instid0(SALU_CYCLE_1) | instskip(SKIP_2) | instid1(VALU_DEP_1)
	s_or_b32 exec_lo, exec_lo, s1
	v_or_b32_e32 v11, 0x500, v0
	s_mov_b32 s1, exec_lo
	v_cmpx_gt_i32_e64 s4, v11
	s_cbranch_execz .LBB226_198
; %bb.185:
	s_mov_b32 s3, exec_lo
	s_wait_loadcnt 0x0
	v_cmpx_o_f16_e32 v6, v6
	s_cbranch_execz .LBB226_197
; %bb.186:
	v_cvt_f32_f16_e32 v11, v6
	s_cmp_lt_i32 s5, 1
	s_mov_b32 s10, 0
	s_cbranch_scc1 .LBB226_190
; %bb.187:
	s_cmp_eq_u32 s5, 1
	s_cbranch_scc0 .LBB226_191
; %bb.188:
	v_max_num_f32_e64 v6, s6, s6
	v_max_num_f32_e32 v12, v11, v11
	s_mov_b32 s11, 0
	s_delay_alu instid0(VALU_DEP_1) | instskip(NEXT) | instid1(VALU_DEP_1)
	v_min_num_f32_e32 v6, v12, v6
	v_cvt_f16_f32_e32 v6, v6
	s_branch .LBB226_192
.LBB226_189:
	v_max_num_f32_e64 v9, s6, s6
	v_max_num_f32_e64 v12, s7, s7
	s_delay_alu instid0(VALU_DEP_1) | instskip(NEXT) | instid1(VALU_DEP_1)
	v_maxmin_num_f32 v9, v11, v9, v12
	v_cvt_f16_f32_e32 v9, v9
	s_cbranch_execz .LBB226_182
	s_branch .LBB226_183
.LBB226_190:
	s_mov_b32 s11, 0
                                        ; implicit-def: $vgpr6
	s_cbranch_execnz .LBB226_193
	s_branch .LBB226_194
.LBB226_191:
	s_mov_b32 s11, -1
                                        ; implicit-def: $vgpr6
.LBB226_192:
	s_branch .LBB226_194
.LBB226_193:
	s_cmp_lg_u32 s5, 0
	s_mov_b32 s10, -1
	s_cselect_b32 s11, -1, 0
.LBB226_194:
	v_max_num_f32_e32 v11, v11, v11
	s_and_not1_b32 vcc_lo, exec_lo, s11
	s_cbranch_vccz .LBB226_203
; %bb.195:
	s_and_not1_b32 vcc_lo, exec_lo, s10
	s_cbranch_vccnz .LBB226_197
.LBB226_196:
	v_max_num_f32_e64 v6, s6, s6
	s_delay_alu instid0(VALU_DEP_1) | instskip(NEXT) | instid1(VALU_DEP_1)
	v_max_num_f32_e32 v6, v11, v6
	v_cvt_f16_f32_e32 v6, v6
.LBB226_197:
	s_or_b32 exec_lo, exec_lo, s3
.LBB226_198:
	s_delay_alu instid0(SALU_CYCLE_1) | instskip(SKIP_2) | instid1(VALU_DEP_1)
	s_or_b32 exec_lo, exec_lo, s1
	v_or_b32_e32 v11, 0x600, v0
	s_mov_b32 s1, exec_lo
	v_cmpx_gt_i32_e64 s4, v11
	s_cbranch_execz .LBB226_212
; %bb.199:
	s_mov_b32 s3, exec_lo
	s_wait_loadcnt 0x0
	v_cmpx_o_f16_e32 v10, v10
	s_cbranch_execz .LBB226_211
; %bb.200:
	v_cvt_f32_f16_e32 v11, v10
	s_cmp_lt_i32 s5, 1
	s_mov_b32 s10, 0
	s_cbranch_scc1 .LBB226_204
; %bb.201:
	s_cmp_eq_u32 s5, 1
	s_cbranch_scc0 .LBB226_205
; %bb.202:
	v_max_num_f32_e64 v10, s6, s6
	v_max_num_f32_e32 v12, v11, v11
	s_mov_b32 s11, 0
	s_delay_alu instid0(VALU_DEP_1) | instskip(NEXT) | instid1(VALU_DEP_1)
	v_min_num_f32_e32 v10, v12, v10
	v_cvt_f16_f32_e32 v10, v10
	s_branch .LBB226_206
.LBB226_203:
	v_max_num_f32_e64 v6, s6, s6
	v_max_num_f32_e64 v12, s7, s7
	s_delay_alu instid0(VALU_DEP_1) | instskip(NEXT) | instid1(VALU_DEP_1)
	v_maxmin_num_f32 v6, v11, v6, v12
	v_cvt_f16_f32_e32 v6, v6
	s_cbranch_execz .LBB226_196
	s_branch .LBB226_197
.LBB226_204:
	s_mov_b32 s11, 0
                                        ; implicit-def: $vgpr10
	s_cbranch_execnz .LBB226_207
	s_branch .LBB226_208
.LBB226_205:
	s_mov_b32 s11, -1
                                        ; implicit-def: $vgpr10
.LBB226_206:
	s_branch .LBB226_208
.LBB226_207:
	s_cmp_lg_u32 s5, 0
	s_mov_b32 s10, -1
	s_cselect_b32 s11, -1, 0
.LBB226_208:
	v_max_num_f32_e32 v11, v11, v11
	s_and_not1_b32 vcc_lo, exec_lo, s11
	s_cbranch_vccz .LBB226_226
; %bb.209:
	s_and_not1_b32 vcc_lo, exec_lo, s10
	s_cbranch_vccnz .LBB226_211
.LBB226_210:
	v_max_num_f32_e64 v10, s6, s6
	s_delay_alu instid0(VALU_DEP_1) | instskip(NEXT) | instid1(VALU_DEP_1)
	v_max_num_f32_e32 v10, v11, v10
	v_cvt_f16_f32_e32 v10, v10
.LBB226_211:
	s_or_b32 exec_lo, exec_lo, s3
.LBB226_212:
	s_delay_alu instid0(SALU_CYCLE_1) | instskip(SKIP_2) | instid1(VALU_DEP_1)
	s_or_b32 exec_lo, exec_lo, s1
	v_or_b32_e32 v11, 0x700, v0
	s_mov_b32 s1, exec_lo
	v_cmpx_gt_i32_e64 s4, v11
	s_cbranch_execnz .LBB226_222
; %bb.213:
	s_or_b32 exec_lo, exec_lo, s1
	s_and_saveexec_b32 s1, s0
	s_delay_alu instid0(SALU_CYCLE_1)
	s_xor_b32 s0, exec_lo, s1
	s_cbranch_execnz .LBB226_235
.LBB226_214:
	s_or_b32 exec_lo, exec_lo, s0
	s_delay_alu instid0(SALU_CYCLE_1)
	s_mov_b32 s0, exec_lo
	v_cmpx_gt_i32_e64 s4, v0
	s_cbranch_execnz .LBB226_236
.LBB226_215:
	s_or_b32 exec_lo, exec_lo, s0
	s_delay_alu instid0(SALU_CYCLE_1)
	s_mov_b32 s0, exec_lo
	v_cmpx_gt_i32_e64 s4, v0
	s_cbranch_execnz .LBB226_237
.LBB226_216:
	s_or_b32 exec_lo, exec_lo, s0
	s_delay_alu instid0(SALU_CYCLE_1)
	s_mov_b32 s0, exec_lo
	v_cmpx_gt_i32_e64 s4, v0
	s_cbranch_execnz .LBB226_238
.LBB226_217:
	s_or_b32 exec_lo, exec_lo, s0
	s_delay_alu instid0(SALU_CYCLE_1)
	s_mov_b32 s0, exec_lo
	v_cmpx_gt_i32_e64 s4, v0
	s_cbranch_execnz .LBB226_239
.LBB226_218:
	s_or_b32 exec_lo, exec_lo, s0
	s_delay_alu instid0(SALU_CYCLE_1)
	s_mov_b32 s0, exec_lo
	v_cmpx_gt_i32_e64 s4, v0
	s_cbranch_execnz .LBB226_240
.LBB226_219:
	s_or_b32 exec_lo, exec_lo, s0
	s_delay_alu instid0(SALU_CYCLE_1)
	s_mov_b32 s0, exec_lo
	v_cmpx_gt_i32_e64 s4, v0
	s_cbranch_execnz .LBB226_241
.LBB226_220:
	s_or_b32 exec_lo, exec_lo, s0
	s_delay_alu instid0(SALU_CYCLE_1)
	s_mov_b32 s0, exec_lo
	v_cmpx_gt_i32_e64 s4, v0
	s_cbranch_execz .LBB226_242
.LBB226_221:
	v_add_nc_u32_e32 v0, s2, v0
	s_wait_loadcnt 0x0
	global_store_b16 v0, v8, s[8:9] scale_offset
	s_endpgm
.LBB226_222:
	s_mov_b32 s3, exec_lo
	s_wait_loadcnt 0x0
	v_cmpx_o_f16_e32 v8, v8
	s_cbranch_execz .LBB226_234
; %bb.223:
	v_cvt_f32_f16_e32 v11, v8
	s_cmp_lt_i32 s5, 1
	s_mov_b32 s10, 0
	s_cbranch_scc1 .LBB226_227
; %bb.224:
	s_cmp_eq_u32 s5, 1
	s_cbranch_scc0 .LBB226_228
; %bb.225:
	v_max_num_f32_e64 v8, s6, s6
	v_max_num_f32_e32 v12, v11, v11
	s_mov_b32 s11, 0
	s_delay_alu instid0(VALU_DEP_1) | instskip(NEXT) | instid1(VALU_DEP_1)
	v_min_num_f32_e32 v8, v12, v8
	v_cvt_f16_f32_e32 v8, v8
	s_branch .LBB226_229
.LBB226_226:
	v_max_num_f32_e64 v10, s6, s6
	v_max_num_f32_e64 v12, s7, s7
	s_delay_alu instid0(VALU_DEP_1) | instskip(NEXT) | instid1(VALU_DEP_1)
	v_maxmin_num_f32 v10, v11, v10, v12
	v_cvt_f16_f32_e32 v10, v10
	s_cbranch_execz .LBB226_210
	s_branch .LBB226_211
.LBB226_227:
	s_mov_b32 s11, 0
                                        ; implicit-def: $vgpr8
	s_cbranch_execnz .LBB226_230
	s_branch .LBB226_231
.LBB226_228:
	s_mov_b32 s11, -1
                                        ; implicit-def: $vgpr8
.LBB226_229:
	s_branch .LBB226_231
.LBB226_230:
	s_cmp_lg_u32 s5, 0
	s_mov_b32 s10, -1
	s_cselect_b32 s11, -1, 0
.LBB226_231:
	v_max_num_f32_e64 v12, s6, s6
	v_max_num_f32_e32 v11, v11, v11
	s_and_not1_b32 vcc_lo, exec_lo, s11
	s_cbranch_vccz .LBB226_243
; %bb.232:
	s_and_not1_b32 vcc_lo, exec_lo, s10
	s_cbranch_vccnz .LBB226_234
.LBB226_233:
	v_max_num_f32_e32 v8, v11, v12
	s_delay_alu instid0(VALU_DEP_1)
	v_cvt_f16_f32_e32 v8, v8
.LBB226_234:
	s_or_b32 exec_lo, exec_lo, s3
	s_delay_alu instid0(SALU_CYCLE_1) | instskip(SKIP_1) | instid1(SALU_CYCLE_1)
	s_or_b32 exec_lo, exec_lo, s1
	s_and_saveexec_b32 s1, s0
	s_xor_b32 s0, exec_lo, s1
	s_cbranch_execz .LBB226_214
.LBB226_235:
	v_mov_b32_e32 v0, v2
	s_wait_loadcnt 0x0
	global_store_b16 v1, v5, s[8:9] scale_offset
	s_wait_xcnt 0x0
	s_or_b32 exec_lo, exec_lo, s0
	s_delay_alu instid0(SALU_CYCLE_1)
	s_mov_b32 s0, exec_lo
	v_cmpx_gt_i32_e64 s4, v0
	s_cbranch_execz .LBB226_215
.LBB226_236:
	v_add_nc_u32_e32 v1, s2, v0
	v_add_nc_u32_e32 v0, 0x100, v0
	s_wait_loadcnt 0x0
	global_store_b16 v1, v3, s[8:9] scale_offset
	s_wait_xcnt 0x0
	s_or_b32 exec_lo, exec_lo, s0
	s_delay_alu instid0(SALU_CYCLE_1)
	s_mov_b32 s0, exec_lo
	v_cmpx_gt_i32_e64 s4, v0
	s_cbranch_execz .LBB226_216
.LBB226_237:
	v_add_nc_u32_e32 v1, s2, v0
	v_add_nc_u32_e32 v0, 0x100, v0
	s_wait_loadcnt 0x0
	global_store_b16 v1, v7, s[8:9] scale_offset
	s_wait_xcnt 0x0
	s_or_b32 exec_lo, exec_lo, s0
	s_delay_alu instid0(SALU_CYCLE_1)
	s_mov_b32 s0, exec_lo
	v_cmpx_gt_i32_e64 s4, v0
	s_cbranch_execz .LBB226_217
.LBB226_238:
	v_add_nc_u32_e32 v1, s2, v0
	v_add_nc_u32_e32 v0, 0x100, v0
	s_wait_loadcnt 0x0
	global_store_b16 v1, v4, s[8:9] scale_offset
	s_wait_xcnt 0x0
	s_or_b32 exec_lo, exec_lo, s0
	s_delay_alu instid0(SALU_CYCLE_1)
	s_mov_b32 s0, exec_lo
	v_cmpx_gt_i32_e64 s4, v0
	s_cbranch_execz .LBB226_218
.LBB226_239:
	v_add_nc_u32_e32 v1, s2, v0
	v_add_nc_u32_e32 v0, 0x100, v0
	s_wait_loadcnt 0x0
	global_store_b16 v1, v9, s[8:9] scale_offset
	s_wait_xcnt 0x0
	s_or_b32 exec_lo, exec_lo, s0
	s_delay_alu instid0(SALU_CYCLE_1)
	s_mov_b32 s0, exec_lo
	v_cmpx_gt_i32_e64 s4, v0
	s_cbranch_execz .LBB226_219
.LBB226_240:
	v_add_nc_u32_e32 v1, s2, v0
	v_add_nc_u32_e32 v0, 0x100, v0
	s_wait_loadcnt 0x0
	global_store_b16 v1, v6, s[8:9] scale_offset
	s_wait_xcnt 0x0
	s_or_b32 exec_lo, exec_lo, s0
	s_delay_alu instid0(SALU_CYCLE_1)
	s_mov_b32 s0, exec_lo
	v_cmpx_gt_i32_e64 s4, v0
	s_cbranch_execz .LBB226_220
.LBB226_241:
	v_add_nc_u32_e32 v1, s2, v0
	v_add_nc_u32_e32 v0, 0x100, v0
	s_wait_loadcnt 0x0
	global_store_b16 v1, v10, s[8:9] scale_offset
	s_wait_xcnt 0x0
	s_or_b32 exec_lo, exec_lo, s0
	s_delay_alu instid0(SALU_CYCLE_1)
	s_mov_b32 s0, exec_lo
	v_cmpx_gt_i32_e64 s4, v0
	s_cbranch_execnz .LBB226_221
.LBB226_242:
	s_endpgm
.LBB226_243:
	v_max_num_f32_e64 v8, s7, s7
	s_delay_alu instid0(VALU_DEP_1) | instskip(NEXT) | instid1(VALU_DEP_1)
	v_maxmin_num_f32 v8, v11, v12, v8
	v_cvt_f16_f32_e32 v8, v8
	s_cbranch_execz .LBB226_233
	s_branch .LBB226_234
	.section	.rodata,"a",@progbits
	.p2align	6, 0x0
	.amdhsa_kernel _ZN2at6native29vectorized_elementwise_kernelILi4EZZZNS0_12_GLOBAL__N_119launch_clamp_scalarERNS_18TensorIteratorBaseEN3c106ScalarES6_NS0_6detail11ClampLimitsEENKUlvE_clEvENKUlvE6_clEvEUlNS5_4HalfEE_St5arrayIPcLm2EEEEviT0_T1_
		.amdhsa_group_segment_fixed_size 0
		.amdhsa_private_segment_fixed_size 0
		.amdhsa_kernarg_size 32
		.amdhsa_user_sgpr_count 2
		.amdhsa_user_sgpr_dispatch_ptr 0
		.amdhsa_user_sgpr_queue_ptr 0
		.amdhsa_user_sgpr_kernarg_segment_ptr 1
		.amdhsa_user_sgpr_dispatch_id 0
		.amdhsa_user_sgpr_kernarg_preload_length 0
		.amdhsa_user_sgpr_kernarg_preload_offset 0
		.amdhsa_user_sgpr_private_segment_size 0
		.amdhsa_wavefront_size32 1
		.amdhsa_uses_dynamic_stack 0
		.amdhsa_enable_private_segment 0
		.amdhsa_system_sgpr_workgroup_id_x 1
		.amdhsa_system_sgpr_workgroup_id_y 0
		.amdhsa_system_sgpr_workgroup_id_z 0
		.amdhsa_system_sgpr_workgroup_info 0
		.amdhsa_system_vgpr_workitem_id 0
		.amdhsa_next_free_vgpr 13
		.amdhsa_next_free_sgpr 14
		.amdhsa_named_barrier_count 0
		.amdhsa_reserve_vcc 1
		.amdhsa_float_round_mode_32 0
		.amdhsa_float_round_mode_16_64 0
		.amdhsa_float_denorm_mode_32 3
		.amdhsa_float_denorm_mode_16_64 3
		.amdhsa_fp16_overflow 0
		.amdhsa_memory_ordered 1
		.amdhsa_forward_progress 1
		.amdhsa_inst_pref_size 37
		.amdhsa_round_robin_scheduling 0
		.amdhsa_exception_fp_ieee_invalid_op 0
		.amdhsa_exception_fp_denorm_src 0
		.amdhsa_exception_fp_ieee_div_zero 0
		.amdhsa_exception_fp_ieee_overflow 0
		.amdhsa_exception_fp_ieee_underflow 0
		.amdhsa_exception_fp_ieee_inexact 0
		.amdhsa_exception_int_div_zero 0
	.end_amdhsa_kernel
	.section	.text._ZN2at6native29vectorized_elementwise_kernelILi4EZZZNS0_12_GLOBAL__N_119launch_clamp_scalarERNS_18TensorIteratorBaseEN3c106ScalarES6_NS0_6detail11ClampLimitsEENKUlvE_clEvENKUlvE6_clEvEUlNS5_4HalfEE_St5arrayIPcLm2EEEEviT0_T1_,"axG",@progbits,_ZN2at6native29vectorized_elementwise_kernelILi4EZZZNS0_12_GLOBAL__N_119launch_clamp_scalarERNS_18TensorIteratorBaseEN3c106ScalarES6_NS0_6detail11ClampLimitsEENKUlvE_clEvENKUlvE6_clEvEUlNS5_4HalfEE_St5arrayIPcLm2EEEEviT0_T1_,comdat
.Lfunc_end226:
	.size	_ZN2at6native29vectorized_elementwise_kernelILi4EZZZNS0_12_GLOBAL__N_119launch_clamp_scalarERNS_18TensorIteratorBaseEN3c106ScalarES6_NS0_6detail11ClampLimitsEENKUlvE_clEvENKUlvE6_clEvEUlNS5_4HalfEE_St5arrayIPcLm2EEEEviT0_T1_, .Lfunc_end226-_ZN2at6native29vectorized_elementwise_kernelILi4EZZZNS0_12_GLOBAL__N_119launch_clamp_scalarERNS_18TensorIteratorBaseEN3c106ScalarES6_NS0_6detail11ClampLimitsEENKUlvE_clEvENKUlvE6_clEvEUlNS5_4HalfEE_St5arrayIPcLm2EEEEviT0_T1_
                                        ; -- End function
	.set _ZN2at6native29vectorized_elementwise_kernelILi4EZZZNS0_12_GLOBAL__N_119launch_clamp_scalarERNS_18TensorIteratorBaseEN3c106ScalarES6_NS0_6detail11ClampLimitsEENKUlvE_clEvENKUlvE6_clEvEUlNS5_4HalfEE_St5arrayIPcLm2EEEEviT0_T1_.num_vgpr, 13
	.set _ZN2at6native29vectorized_elementwise_kernelILi4EZZZNS0_12_GLOBAL__N_119launch_clamp_scalarERNS_18TensorIteratorBaseEN3c106ScalarES6_NS0_6detail11ClampLimitsEENKUlvE_clEvENKUlvE6_clEvEUlNS5_4HalfEE_St5arrayIPcLm2EEEEviT0_T1_.num_agpr, 0
	.set _ZN2at6native29vectorized_elementwise_kernelILi4EZZZNS0_12_GLOBAL__N_119launch_clamp_scalarERNS_18TensorIteratorBaseEN3c106ScalarES6_NS0_6detail11ClampLimitsEENKUlvE_clEvENKUlvE6_clEvEUlNS5_4HalfEE_St5arrayIPcLm2EEEEviT0_T1_.numbered_sgpr, 14
	.set _ZN2at6native29vectorized_elementwise_kernelILi4EZZZNS0_12_GLOBAL__N_119launch_clamp_scalarERNS_18TensorIteratorBaseEN3c106ScalarES6_NS0_6detail11ClampLimitsEENKUlvE_clEvENKUlvE6_clEvEUlNS5_4HalfEE_St5arrayIPcLm2EEEEviT0_T1_.num_named_barrier, 0
	.set _ZN2at6native29vectorized_elementwise_kernelILi4EZZZNS0_12_GLOBAL__N_119launch_clamp_scalarERNS_18TensorIteratorBaseEN3c106ScalarES6_NS0_6detail11ClampLimitsEENKUlvE_clEvENKUlvE6_clEvEUlNS5_4HalfEE_St5arrayIPcLm2EEEEviT0_T1_.private_seg_size, 0
	.set _ZN2at6native29vectorized_elementwise_kernelILi4EZZZNS0_12_GLOBAL__N_119launch_clamp_scalarERNS_18TensorIteratorBaseEN3c106ScalarES6_NS0_6detail11ClampLimitsEENKUlvE_clEvENKUlvE6_clEvEUlNS5_4HalfEE_St5arrayIPcLm2EEEEviT0_T1_.uses_vcc, 1
	.set _ZN2at6native29vectorized_elementwise_kernelILi4EZZZNS0_12_GLOBAL__N_119launch_clamp_scalarERNS_18TensorIteratorBaseEN3c106ScalarES6_NS0_6detail11ClampLimitsEENKUlvE_clEvENKUlvE6_clEvEUlNS5_4HalfEE_St5arrayIPcLm2EEEEviT0_T1_.uses_flat_scratch, 0
	.set _ZN2at6native29vectorized_elementwise_kernelILi4EZZZNS0_12_GLOBAL__N_119launch_clamp_scalarERNS_18TensorIteratorBaseEN3c106ScalarES6_NS0_6detail11ClampLimitsEENKUlvE_clEvENKUlvE6_clEvEUlNS5_4HalfEE_St5arrayIPcLm2EEEEviT0_T1_.has_dyn_sized_stack, 0
	.set _ZN2at6native29vectorized_elementwise_kernelILi4EZZZNS0_12_GLOBAL__N_119launch_clamp_scalarERNS_18TensorIteratorBaseEN3c106ScalarES6_NS0_6detail11ClampLimitsEENKUlvE_clEvENKUlvE6_clEvEUlNS5_4HalfEE_St5arrayIPcLm2EEEEviT0_T1_.has_recursion, 0
	.set _ZN2at6native29vectorized_elementwise_kernelILi4EZZZNS0_12_GLOBAL__N_119launch_clamp_scalarERNS_18TensorIteratorBaseEN3c106ScalarES6_NS0_6detail11ClampLimitsEENKUlvE_clEvENKUlvE6_clEvEUlNS5_4HalfEE_St5arrayIPcLm2EEEEviT0_T1_.has_indirect_call, 0
	.section	.AMDGPU.csdata,"",@progbits
; Kernel info:
; codeLenInByte = 4664
; TotalNumSgprs: 16
; NumVgprs: 13
; ScratchSize: 0
; MemoryBound: 0
; FloatMode: 240
; IeeeMode: 1
; LDSByteSize: 0 bytes/workgroup (compile time only)
; SGPRBlocks: 0
; VGPRBlocks: 0
; NumSGPRsForWavesPerEU: 16
; NumVGPRsForWavesPerEU: 13
; NamedBarCnt: 0
; Occupancy: 16
; WaveLimiterHint : 1
; COMPUTE_PGM_RSRC2:SCRATCH_EN: 0
; COMPUTE_PGM_RSRC2:USER_SGPR: 2
; COMPUTE_PGM_RSRC2:TRAP_HANDLER: 0
; COMPUTE_PGM_RSRC2:TGID_X_EN: 1
; COMPUTE_PGM_RSRC2:TGID_Y_EN: 0
; COMPUTE_PGM_RSRC2:TGID_Z_EN: 0
; COMPUTE_PGM_RSRC2:TIDIG_COMP_CNT: 0
	.section	.text._ZN2at6native29vectorized_elementwise_kernelILi2EZZZNS0_12_GLOBAL__N_119launch_clamp_scalarERNS_18TensorIteratorBaseEN3c106ScalarES6_NS0_6detail11ClampLimitsEENKUlvE_clEvENKUlvE6_clEvEUlNS5_4HalfEE_St5arrayIPcLm2EEEEviT0_T1_,"axG",@progbits,_ZN2at6native29vectorized_elementwise_kernelILi2EZZZNS0_12_GLOBAL__N_119launch_clamp_scalarERNS_18TensorIteratorBaseEN3c106ScalarES6_NS0_6detail11ClampLimitsEENKUlvE_clEvENKUlvE6_clEvEUlNS5_4HalfEE_St5arrayIPcLm2EEEEviT0_T1_,comdat
	.globl	_ZN2at6native29vectorized_elementwise_kernelILi2EZZZNS0_12_GLOBAL__N_119launch_clamp_scalarERNS_18TensorIteratorBaseEN3c106ScalarES6_NS0_6detail11ClampLimitsEENKUlvE_clEvENKUlvE6_clEvEUlNS5_4HalfEE_St5arrayIPcLm2EEEEviT0_T1_ ; -- Begin function _ZN2at6native29vectorized_elementwise_kernelILi2EZZZNS0_12_GLOBAL__N_119launch_clamp_scalarERNS_18TensorIteratorBaseEN3c106ScalarES6_NS0_6detail11ClampLimitsEENKUlvE_clEvENKUlvE6_clEvEUlNS5_4HalfEE_St5arrayIPcLm2EEEEviT0_T1_
	.p2align	8
	.type	_ZN2at6native29vectorized_elementwise_kernelILi2EZZZNS0_12_GLOBAL__N_119launch_clamp_scalarERNS_18TensorIteratorBaseEN3c106ScalarES6_NS0_6detail11ClampLimitsEENKUlvE_clEvENKUlvE6_clEvEUlNS5_4HalfEE_St5arrayIPcLm2EEEEviT0_T1_,@function
_ZN2at6native29vectorized_elementwise_kernelILi2EZZZNS0_12_GLOBAL__N_119launch_clamp_scalarERNS_18TensorIteratorBaseEN3c106ScalarES6_NS0_6detail11ClampLimitsEENKUlvE_clEvENKUlvE6_clEvEUlNS5_4HalfEE_St5arrayIPcLm2EEEEviT0_T1_: ; @_ZN2at6native29vectorized_elementwise_kernelILi2EZZZNS0_12_GLOBAL__N_119launch_clamp_scalarERNS_18TensorIteratorBaseEN3c106ScalarES6_NS0_6detail11ClampLimitsEENKUlvE_clEvENKUlvE6_clEvEUlNS5_4HalfEE_St5arrayIPcLm2EEEEviT0_T1_
; %bb.0:
	s_load_b256 s[4:11], s[0:1], 0x0
	s_wait_xcnt 0x0
	s_bfe_u32 s0, ttmp6, 0x4000c
	s_and_b32 s1, ttmp6, 15
	s_add_co_i32 s0, s0, 1
	s_getreg_b32 s2, hwreg(HW_REG_IB_STS2, 6, 4)
	s_mul_i32 s0, ttmp9, s0
	s_delay_alu instid0(SALU_CYCLE_1) | instskip(SKIP_2) | instid1(SALU_CYCLE_1)
	s_add_co_i32 s1, s1, s0
	s_cmp_eq_u32 s2, 0
	s_cselect_b32 s0, ttmp9, s1
	s_lshl_b32 s2, s0, 11
	s_mov_b32 s0, -1
	s_wait_kmcnt 0x0
	s_sub_co_i32 s4, s4, s2
	s_delay_alu instid0(SALU_CYCLE_1)
	s_cmp_gt_i32 s4, 0x7ff
	s_cbranch_scc0 .LBB227_97
; %bb.1:
	s_ashr_i32 s3, s2, 31
	s_delay_alu instid0(SALU_CYCLE_1)
	s_lshl_b64 s[0:1], s[2:3], 1
	s_mov_b32 s3, exec_lo
	s_add_nc_u64 s[12:13], s[10:11], s[0:1]
	s_clause 0x3
	global_load_b32 v3, v0, s[12:13] scale_offset
	global_load_b32 v6, v0, s[12:13] offset:1024 scale_offset
	global_load_b32 v5, v0, s[12:13] offset:2048 scale_offset
	;; [unrolled: 1-line block ×3, first 2 shown]
	s_wait_loadcnt 0x3
	v_mov_b32_e32 v1, v3
	s_wait_xcnt 0x0
	v_cmpx_o_f16_e32 v3, v3
	s_cbranch_execz .LBB227_12
; %bb.2:
	v_cvt_f32_f16_e32 v4, v3
	s_cmp_lt_i32 s5, 1
	s_mov_b32 s12, 0
	s_cbranch_scc1 .LBB227_5
; %bb.3:
	s_cmp_eq_u32 s5, 1
	s_cbranch_scc0 .LBB227_6
; %bb.4:
	v_max_num_f32_e64 v1, s6, s6
	v_max_num_f32_e32 v7, v4, v4
	s_mov_b32 s13, 0
	s_delay_alu instid0(VALU_DEP_1) | instskip(NEXT) | instid1(VALU_DEP_1)
	v_min_num_f32_e32 v1, v7, v1
	v_cvt_f16_f32_e32 v1, v1
	s_branch .LBB227_7
.LBB227_5:
	s_mov_b32 s13, 0
                                        ; implicit-def: $vgpr1
	s_cbranch_execnz .LBB227_8
	s_branch .LBB227_9
.LBB227_6:
	s_mov_b32 s13, -1
                                        ; implicit-def: $vgpr1
.LBB227_7:
	s_branch .LBB227_9
.LBB227_8:
	s_cmp_lg_u32 s5, 0
	s_mov_b32 s12, -1
	s_cselect_b32 s13, -1, 0
.LBB227_9:
	v_max_num_f32_e32 v4, v4, v4
	s_and_not1_b32 vcc_lo, exec_lo, s13
	s_cbranch_vccz .LBB227_16
; %bb.10:
	s_and_not1_b32 vcc_lo, exec_lo, s12
	s_cbranch_vccnz .LBB227_12
.LBB227_11:
	v_max_num_f32_e64 v1, s6, s6
	s_delay_alu instid0(VALU_DEP_1) | instskip(NEXT) | instid1(VALU_DEP_1)
	v_max_num_f32_e32 v1, v4, v1
	v_cvt_f16_f32_e32 v1, v1
.LBB227_12:
	s_or_b32 exec_lo, exec_lo, s3
	v_lshrrev_b32_e32 v3, 16, v3
	s_mov_b32 s3, exec_lo
	s_delay_alu instid0(VALU_DEP_1)
	v_cmpx_o_f16_e32 v3, v3
	s_cbranch_execz .LBB227_24
; %bb.13:
	v_cvt_f32_f16_e32 v4, v3
	s_cmp_lt_i32 s5, 1
	s_mov_b32 s12, 0
	s_cbranch_scc1 .LBB227_17
; %bb.14:
	s_cmp_eq_u32 s5, 1
	s_cbranch_scc0 .LBB227_18
; %bb.15:
	v_max_num_f32_e64 v3, s6, s6
	v_max_num_f32_e32 v7, v4, v4
	s_mov_b32 s13, 0
	s_delay_alu instid0(VALU_DEP_1) | instskip(NEXT) | instid1(VALU_DEP_1)
	v_min_num_f32_e32 v3, v7, v3
	v_cvt_f16_f32_e32 v3, v3
	s_branch .LBB227_19
.LBB227_16:
	v_max_num_f32_e64 v1, s6, s6
	v_max_num_f32_e64 v7, s7, s7
	s_delay_alu instid0(VALU_DEP_1) | instskip(NEXT) | instid1(VALU_DEP_1)
	v_maxmin_num_f32 v1, v4, v1, v7
	v_cvt_f16_f32_e32 v1, v1
	s_cbranch_execz .LBB227_11
	s_branch .LBB227_12
.LBB227_17:
	s_mov_b32 s13, 0
                                        ; implicit-def: $vgpr3
	s_cbranch_execnz .LBB227_20
	s_branch .LBB227_21
.LBB227_18:
	s_mov_b32 s13, -1
                                        ; implicit-def: $vgpr3
.LBB227_19:
	s_branch .LBB227_21
.LBB227_20:
	s_cmp_lg_u32 s5, 0
	s_mov_b32 s12, -1
	s_cselect_b32 s13, -1, 0
.LBB227_21:
	v_max_num_f32_e32 v4, v4, v4
	s_and_not1_b32 vcc_lo, exec_lo, s13
	s_cbranch_vccz .LBB227_28
; %bb.22:
	s_and_not1_b32 vcc_lo, exec_lo, s12
	s_cbranch_vccnz .LBB227_24
.LBB227_23:
	v_max_num_f32_e64 v3, s6, s6
	s_delay_alu instid0(VALU_DEP_1) | instskip(NEXT) | instid1(VALU_DEP_1)
	v_max_num_f32_e32 v3, v4, v3
	v_cvt_f16_f32_e32 v3, v3
.LBB227_24:
	s_or_b32 exec_lo, exec_lo, s3
	s_wait_loadcnt 0x2
	v_mov_b32_e32 v4, v6
	s_mov_b32 s3, exec_lo
	v_cmpx_o_f16_e32 v6, v6
	s_cbranch_execz .LBB227_36
; %bb.25:
	v_cvt_f32_f16_e32 v7, v6
	s_cmp_lt_i32 s5, 1
	s_mov_b32 s12, 0
	s_cbranch_scc1 .LBB227_29
; %bb.26:
	s_cmp_eq_u32 s5, 1
	s_cbranch_scc0 .LBB227_30
; %bb.27:
	v_max_num_f32_e64 v4, s6, s6
	v_max_num_f32_e32 v8, v7, v7
	s_mov_b32 s13, 0
	s_delay_alu instid0(VALU_DEP_1) | instskip(NEXT) | instid1(VALU_DEP_1)
	v_min_num_f32_e32 v4, v8, v4
	v_cvt_f16_f32_e32 v4, v4
	s_branch .LBB227_31
.LBB227_28:
	v_max_num_f32_e64 v3, s6, s6
	v_max_num_f32_e64 v7, s7, s7
	s_delay_alu instid0(VALU_DEP_1) | instskip(NEXT) | instid1(VALU_DEP_1)
	v_maxmin_num_f32 v3, v4, v3, v7
	v_cvt_f16_f32_e32 v3, v3
	s_cbranch_execz .LBB227_23
	s_branch .LBB227_24
.LBB227_29:
	s_mov_b32 s13, 0
                                        ; implicit-def: $vgpr4
	s_cbranch_execnz .LBB227_32
	s_branch .LBB227_33
.LBB227_30:
	s_mov_b32 s13, -1
                                        ; implicit-def: $vgpr4
.LBB227_31:
	s_branch .LBB227_33
.LBB227_32:
	s_cmp_lg_u32 s5, 0
	s_mov_b32 s12, -1
	s_cselect_b32 s13, -1, 0
.LBB227_33:
	v_max_num_f32_e32 v7, v7, v7
	s_and_not1_b32 vcc_lo, exec_lo, s13
	s_cbranch_vccz .LBB227_40
; %bb.34:
	s_and_not1_b32 vcc_lo, exec_lo, s12
	s_cbranch_vccnz .LBB227_36
.LBB227_35:
	v_max_num_f32_e64 v4, s6, s6
	s_delay_alu instid0(VALU_DEP_1) | instskip(NEXT) | instid1(VALU_DEP_1)
	v_max_num_f32_e32 v4, v7, v4
	v_cvt_f16_f32_e32 v4, v4
.LBB227_36:
	s_or_b32 exec_lo, exec_lo, s3
	v_lshrrev_b32_e32 v6, 16, v6
	s_mov_b32 s3, exec_lo
	s_delay_alu instid0(VALU_DEP_1)
	v_cmpx_o_f16_e32 v6, v6
	s_cbranch_execz .LBB227_48
; %bb.37:
	v_cvt_f32_f16_e32 v7, v6
	s_cmp_lt_i32 s5, 1
	s_mov_b32 s12, 0
	s_cbranch_scc1 .LBB227_41
; %bb.38:
	s_cmp_eq_u32 s5, 1
	s_cbranch_scc0 .LBB227_42
; %bb.39:
	v_max_num_f32_e64 v6, s6, s6
	v_max_num_f32_e32 v8, v7, v7
	s_mov_b32 s13, 0
	s_delay_alu instid0(VALU_DEP_1) | instskip(NEXT) | instid1(VALU_DEP_1)
	v_min_num_f32_e32 v6, v8, v6
	v_cvt_f16_f32_e32 v6, v6
	s_branch .LBB227_43
.LBB227_40:
	v_max_num_f32_e64 v4, s6, s6
	v_max_num_f32_e64 v8, s7, s7
	s_delay_alu instid0(VALU_DEP_1) | instskip(NEXT) | instid1(VALU_DEP_1)
	v_maxmin_num_f32 v4, v7, v4, v8
	v_cvt_f16_f32_e32 v4, v4
	s_cbranch_execz .LBB227_35
	s_branch .LBB227_36
.LBB227_41:
	s_mov_b32 s13, 0
                                        ; implicit-def: $vgpr6
	s_cbranch_execnz .LBB227_44
	s_branch .LBB227_45
.LBB227_42:
	s_mov_b32 s13, -1
                                        ; implicit-def: $vgpr6
.LBB227_43:
	s_branch .LBB227_45
.LBB227_44:
	s_cmp_lg_u32 s5, 0
	s_mov_b32 s12, -1
	s_cselect_b32 s13, -1, 0
.LBB227_45:
	v_max_num_f32_e32 v7, v7, v7
	s_and_not1_b32 vcc_lo, exec_lo, s13
	s_cbranch_vccz .LBB227_52
; %bb.46:
	s_and_not1_b32 vcc_lo, exec_lo, s12
	s_cbranch_vccnz .LBB227_48
.LBB227_47:
	v_max_num_f32_e64 v6, s6, s6
	s_delay_alu instid0(VALU_DEP_1) | instskip(NEXT) | instid1(VALU_DEP_1)
	v_max_num_f32_e32 v6, v7, v6
	v_cvt_f16_f32_e32 v6, v6
.LBB227_48:
	s_or_b32 exec_lo, exec_lo, s3
	s_wait_loadcnt 0x1
	v_mov_b32_e32 v7, v5
	s_mov_b32 s3, exec_lo
	v_cmpx_o_f16_e32 v5, v5
	s_cbranch_execz .LBB227_60
; %bb.49:
	v_cvt_f32_f16_e32 v8, v5
	s_cmp_lt_i32 s5, 1
	s_mov_b32 s12, 0
	s_cbranch_scc1 .LBB227_53
; %bb.50:
	s_cmp_eq_u32 s5, 1
	s_cbranch_scc0 .LBB227_54
; %bb.51:
	v_max_num_f32_e64 v7, s6, s6
	v_max_num_f32_e32 v9, v8, v8
	s_mov_b32 s13, 0
	s_delay_alu instid0(VALU_DEP_1) | instskip(NEXT) | instid1(VALU_DEP_1)
	v_min_num_f32_e32 v7, v9, v7
	v_cvt_f16_f32_e32 v7, v7
	s_branch .LBB227_55
.LBB227_52:
	v_max_num_f32_e64 v6, s6, s6
	v_max_num_f32_e64 v8, s7, s7
	s_delay_alu instid0(VALU_DEP_1) | instskip(NEXT) | instid1(VALU_DEP_1)
	v_maxmin_num_f32 v6, v7, v6, v8
	v_cvt_f16_f32_e32 v6, v6
	s_cbranch_execz .LBB227_47
	s_branch .LBB227_48
.LBB227_53:
	s_mov_b32 s13, 0
                                        ; implicit-def: $vgpr7
	s_cbranch_execnz .LBB227_56
	s_branch .LBB227_57
.LBB227_54:
	s_mov_b32 s13, -1
                                        ; implicit-def: $vgpr7
.LBB227_55:
	s_branch .LBB227_57
.LBB227_56:
	s_cmp_lg_u32 s5, 0
	s_mov_b32 s12, -1
	s_cselect_b32 s13, -1, 0
.LBB227_57:
	v_max_num_f32_e32 v8, v8, v8
	s_and_not1_b32 vcc_lo, exec_lo, s13
	s_cbranch_vccz .LBB227_64
; %bb.58:
	s_and_not1_b32 vcc_lo, exec_lo, s12
	s_cbranch_vccnz .LBB227_60
.LBB227_59:
	v_max_num_f32_e64 v7, s6, s6
	s_delay_alu instid0(VALU_DEP_1) | instskip(NEXT) | instid1(VALU_DEP_1)
	v_max_num_f32_e32 v7, v8, v7
	v_cvt_f16_f32_e32 v7, v7
.LBB227_60:
	s_or_b32 exec_lo, exec_lo, s3
	v_lshrrev_b32_e32 v5, 16, v5
	s_mov_b32 s3, exec_lo
	s_delay_alu instid0(VALU_DEP_1)
	v_cmpx_o_f16_e32 v5, v5
	s_cbranch_execz .LBB227_72
; %bb.61:
	v_cvt_f32_f16_e32 v8, v5
	s_cmp_lt_i32 s5, 1
	s_mov_b32 s12, 0
	s_cbranch_scc1 .LBB227_65
; %bb.62:
	s_cmp_eq_u32 s5, 1
	s_cbranch_scc0 .LBB227_66
; %bb.63:
	v_max_num_f32_e64 v5, s6, s6
	v_max_num_f32_e32 v9, v8, v8
	s_mov_b32 s13, 0
	s_delay_alu instid0(VALU_DEP_1) | instskip(NEXT) | instid1(VALU_DEP_1)
	v_min_num_f32_e32 v5, v9, v5
	v_cvt_f16_f32_e32 v5, v5
	s_branch .LBB227_67
.LBB227_64:
	v_max_num_f32_e64 v7, s6, s6
	v_max_num_f32_e64 v9, s7, s7
	s_delay_alu instid0(VALU_DEP_1) | instskip(NEXT) | instid1(VALU_DEP_1)
	v_maxmin_num_f32 v7, v8, v7, v9
	v_cvt_f16_f32_e32 v7, v7
	s_cbranch_execz .LBB227_59
	s_branch .LBB227_60
.LBB227_65:
	s_mov_b32 s13, 0
                                        ; implicit-def: $vgpr5
	s_cbranch_execnz .LBB227_68
	s_branch .LBB227_69
.LBB227_66:
	s_mov_b32 s13, -1
                                        ; implicit-def: $vgpr5
.LBB227_67:
	s_branch .LBB227_69
.LBB227_68:
	s_cmp_lg_u32 s5, 0
	s_mov_b32 s12, -1
	s_cselect_b32 s13, -1, 0
.LBB227_69:
	v_max_num_f32_e32 v8, v8, v8
	s_and_not1_b32 vcc_lo, exec_lo, s13
	s_cbranch_vccz .LBB227_76
; %bb.70:
	s_and_not1_b32 vcc_lo, exec_lo, s12
	s_cbranch_vccnz .LBB227_72
.LBB227_71:
	v_max_num_f32_e64 v5, s6, s6
	s_delay_alu instid0(VALU_DEP_1) | instskip(NEXT) | instid1(VALU_DEP_1)
	v_max_num_f32_e32 v5, v8, v5
	v_cvt_f16_f32_e32 v5, v5
.LBB227_72:
	s_or_b32 exec_lo, exec_lo, s3
	s_wait_loadcnt 0x0
	v_mov_b32_e32 v8, v2
	s_mov_b32 s3, exec_lo
	v_cmpx_o_f16_e32 v2, v2
	s_cbranch_execz .LBB227_84
; %bb.73:
	v_cvt_f32_f16_e32 v9, v2
	s_cmp_lt_i32 s5, 1
	s_mov_b32 s12, 0
	s_cbranch_scc1 .LBB227_77
; %bb.74:
	s_cmp_eq_u32 s5, 1
	s_cbranch_scc0 .LBB227_78
; %bb.75:
	v_max_num_f32_e64 v8, s6, s6
	v_max_num_f32_e32 v10, v9, v9
	s_mov_b32 s13, 0
	s_delay_alu instid0(VALU_DEP_1) | instskip(NEXT) | instid1(VALU_DEP_1)
	v_min_num_f32_e32 v8, v10, v8
	v_cvt_f16_f32_e32 v8, v8
	s_branch .LBB227_79
.LBB227_76:
	v_max_num_f32_e64 v5, s6, s6
	v_max_num_f32_e64 v9, s7, s7
	s_delay_alu instid0(VALU_DEP_1) | instskip(NEXT) | instid1(VALU_DEP_1)
	v_maxmin_num_f32 v5, v8, v5, v9
	v_cvt_f16_f32_e32 v5, v5
	s_cbranch_execz .LBB227_71
	s_branch .LBB227_72
.LBB227_77:
	s_mov_b32 s13, 0
                                        ; implicit-def: $vgpr8
	s_cbranch_execnz .LBB227_80
	s_branch .LBB227_81
.LBB227_78:
	s_mov_b32 s13, -1
                                        ; implicit-def: $vgpr8
.LBB227_79:
	s_branch .LBB227_81
.LBB227_80:
	s_cmp_lg_u32 s5, 0
	s_mov_b32 s12, -1
	s_cselect_b32 s13, -1, 0
.LBB227_81:
	v_max_num_f32_e32 v9, v9, v9
	s_and_not1_b32 vcc_lo, exec_lo, s13
	s_cbranch_vccz .LBB227_88
; %bb.82:
	s_and_not1_b32 vcc_lo, exec_lo, s12
	s_cbranch_vccnz .LBB227_84
.LBB227_83:
	v_max_num_f32_e64 v8, s6, s6
	s_delay_alu instid0(VALU_DEP_1) | instskip(NEXT) | instid1(VALU_DEP_1)
	v_max_num_f32_e32 v8, v9, v8
	v_cvt_f16_f32_e32 v8, v8
.LBB227_84:
	s_or_b32 exec_lo, exec_lo, s3
	v_lshrrev_b32_e32 v2, 16, v2
	s_mov_b32 s3, exec_lo
	s_delay_alu instid0(VALU_DEP_1)
	v_cmpx_o_f16_e32 v2, v2
	s_cbranch_execz .LBB227_96
; %bb.85:
	v_cvt_f32_f16_e32 v9, v2
	s_cmp_lt_i32 s5, 1
	s_mov_b32 s12, 0
	s_cbranch_scc1 .LBB227_89
; %bb.86:
	s_cmp_eq_u32 s5, 1
	s_cbranch_scc0 .LBB227_90
; %bb.87:
	v_max_num_f32_e64 v2, s6, s6
	v_max_num_f32_e32 v10, v9, v9
	s_mov_b32 s13, 0
	s_delay_alu instid0(VALU_DEP_1) | instskip(NEXT) | instid1(VALU_DEP_1)
	v_min_num_f32_e32 v2, v10, v2
	v_cvt_f16_f32_e32 v2, v2
	s_branch .LBB227_91
.LBB227_88:
	v_max_num_f32_e64 v8, s6, s6
	v_max_num_f32_e64 v10, s7, s7
	s_delay_alu instid0(VALU_DEP_1) | instskip(NEXT) | instid1(VALU_DEP_1)
	v_maxmin_num_f32 v8, v9, v8, v10
	v_cvt_f16_f32_e32 v8, v8
	s_cbranch_execz .LBB227_83
	s_branch .LBB227_84
.LBB227_89:
	s_mov_b32 s13, 0
                                        ; implicit-def: $vgpr2
	s_cbranch_execnz .LBB227_92
	s_branch .LBB227_93
.LBB227_90:
	s_mov_b32 s13, -1
                                        ; implicit-def: $vgpr2
.LBB227_91:
	s_branch .LBB227_93
.LBB227_92:
	s_cmp_lg_u32 s5, 0
	s_mov_b32 s12, -1
	s_cselect_b32 s13, -1, 0
.LBB227_93:
	v_max_num_f32_e32 v9, v9, v9
	s_and_not1_b32 vcc_lo, exec_lo, s13
	s_cbranch_vccz .LBB227_120
; %bb.94:
	s_and_not1_b32 vcc_lo, exec_lo, s12
	s_cbranch_vccnz .LBB227_96
.LBB227_95:
	v_max_num_f32_e64 v2, s6, s6
	s_delay_alu instid0(VALU_DEP_1) | instskip(NEXT) | instid1(VALU_DEP_1)
	v_max_num_f32_e32 v2, v9, v2
	v_cvt_f16_f32_e32 v2, v2
.LBB227_96:
	s_or_b32 exec_lo, exec_lo, s3
	v_dual_lshlrev_b32 v5, 16, v5 :: v_dual_lshlrev_b32 v3, 16, v3
	v_and_b32_e32 v1, 0xffff, v1
	v_and_b32_e32 v7, 0xffff, v7
	;; [unrolled: 1-line block ×3, first 2 shown]
	v_lshlrev_b32_e32 v6, 16, v6
	v_and_b32_e32 v8, 0xffff, v8
	v_dual_lshlrev_b32 v2, 16, v2 :: v_dual_bitop2_b32 v1, v3, v1 bitop3:0x54
	v_or_b32_e32 v5, v5, v7
	s_delay_alu instid0(VALU_DEP_4) | instskip(SKIP_1) | instid1(VALU_DEP_3)
	v_or_b32_e32 v3, v6, v4
	s_add_nc_u64 s[12:13], s[8:9], s[0:1]
	v_or_b32_e32 v2, v2, v8
	s_mov_b32 s0, 0
	s_clause 0x3
	global_store_b32 v0, v1, s[12:13] scale_offset
	global_store_b32 v0, v3, s[12:13] offset:1024 scale_offset
	global_store_b32 v0, v5, s[12:13] offset:2048 scale_offset
	;; [unrolled: 1-line block ×3, first 2 shown]
.LBB227_97:
	s_and_b32 vcc_lo, exec_lo, s0
	s_cbranch_vccz .LBB227_242
; %bb.98:
	v_cmp_gt_i32_e64 s0, s4, v0
	s_wait_xcnt 0x2
	v_dual_mov_b32 v3, 0 :: v_dual_bitop2_b32 v1, s2, v0 bitop3:0x54
	s_wait_xcnt 0x0
	v_or_b32_e32 v2, 0x100, v0
	v_dual_mov_b32 v5, 0 :: v_dual_mov_b32 v11, v0
	s_and_saveexec_b32 s1, s0
	s_cbranch_execz .LBB227_100
; %bb.99:
	global_load_u16 v5, v1, s[10:11] scale_offset
	v_or_b32_e32 v11, 0x100, v0
.LBB227_100:
	s_wait_xcnt 0x0
	s_or_b32 exec_lo, exec_lo, s1
	s_delay_alu instid0(SALU_CYCLE_1) | instskip(NEXT) | instid1(VALU_DEP_1)
	s_mov_b32 s1, exec_lo
	v_cmpx_gt_i32_e64 s4, v11
	s_cbranch_execz .LBB227_102
; %bb.101:
	v_add_nc_u32_e32 v3, s2, v11
	v_add_nc_u32_e32 v11, 0x100, v11
	global_load_u16 v3, v3, s[10:11] scale_offset
.LBB227_102:
	s_wait_xcnt 0x0
	s_or_b32 exec_lo, exec_lo, s1
	v_dual_mov_b32 v4, 0 :: v_dual_mov_b32 v7, 0
	s_mov_b32 s1, exec_lo
	v_cmpx_gt_i32_e64 s4, v11
	s_cbranch_execz .LBB227_104
; %bb.103:
	v_add_nc_u32_e32 v6, s2, v11
	v_add_nc_u32_e32 v11, 0x100, v11
	global_load_u16 v7, v6, s[10:11] scale_offset
.LBB227_104:
	s_wait_xcnt 0x0
	s_or_b32 exec_lo, exec_lo, s1
	s_delay_alu instid0(SALU_CYCLE_1)
	s_mov_b32 s1, exec_lo
	v_cmpx_gt_i32_e64 s4, v11
	s_cbranch_execz .LBB227_106
; %bb.105:
	v_add_nc_u32_e32 v4, s2, v11
	v_add_nc_u32_e32 v11, 0x100, v11
	global_load_u16 v4, v4, s[10:11] scale_offset
.LBB227_106:
	s_wait_xcnt 0x0
	s_or_b32 exec_lo, exec_lo, s1
	v_dual_mov_b32 v6, 0 :: v_dual_mov_b32 v9, 0
	s_mov_b32 s1, exec_lo
	v_cmpx_gt_i32_e64 s4, v11
	s_cbranch_execz .LBB227_108
; %bb.107:
	v_add_nc_u32_e32 v8, s2, v11
	v_add_nc_u32_e32 v11, 0x100, v11
	global_load_u16 v9, v8, s[10:11] scale_offset
.LBB227_108:
	s_wait_xcnt 0x0
	s_or_b32 exec_lo, exec_lo, s1
	s_delay_alu instid0(SALU_CYCLE_1)
	s_mov_b32 s1, exec_lo
	v_cmpx_gt_i32_e64 s4, v11
	s_cbranch_execz .LBB227_110
; %bb.109:
	v_add_nc_u32_e32 v6, s2, v11
	v_add_nc_u32_e32 v11, 0x100, v11
	global_load_u16 v6, v6, s[10:11] scale_offset
.LBB227_110:
	s_wait_xcnt 0x0
	s_or_b32 exec_lo, exec_lo, s1
	v_dual_mov_b32 v8, 0 :: v_dual_mov_b32 v10, 0
	s_mov_b32 s1, exec_lo
	v_cmpx_gt_i32_e64 s4, v11
	s_cbranch_execnz .LBB227_114
; %bb.111:
	s_or_b32 exec_lo, exec_lo, s1
	s_delay_alu instid0(SALU_CYCLE_1)
	s_mov_b32 s1, exec_lo
	v_cmpx_gt_i32_e64 s4, v11
	s_cbranch_execnz .LBB227_115
.LBB227_112:
	s_or_b32 exec_lo, exec_lo, s1
	s_and_saveexec_b32 s1, s0
	s_cbranch_execnz .LBB227_116
.LBB227_113:
	s_or_b32 exec_lo, exec_lo, s1
	s_delay_alu instid0(SALU_CYCLE_1)
	s_mov_b32 s1, exec_lo
	v_cmpx_gt_i32_e64 s4, v2
	s_cbranch_execnz .LBB227_129
	s_branch .LBB227_142
.LBB227_114:
	v_add_nc_u32_e32 v10, s2, v11
	v_add_nc_u32_e32 v11, 0x100, v11
	global_load_u16 v10, v10, s[10:11] scale_offset
	s_wait_xcnt 0x0
	s_or_b32 exec_lo, exec_lo, s1
	s_delay_alu instid0(SALU_CYCLE_1)
	s_mov_b32 s1, exec_lo
	v_cmpx_gt_i32_e64 s4, v11
	s_cbranch_execz .LBB227_112
.LBB227_115:
	v_add_nc_u32_e32 v8, s2, v11
	global_load_u16 v8, v8, s[10:11] scale_offset
	s_wait_xcnt 0x0
	s_or_b32 exec_lo, exec_lo, s1
	s_and_saveexec_b32 s1, s0
	s_cbranch_execz .LBB227_113
.LBB227_116:
	s_mov_b32 s3, exec_lo
	s_wait_loadcnt 0x0
	v_cmpx_o_f16_e32 v5, v5
	s_cbranch_execz .LBB227_128
; %bb.117:
	v_cvt_f32_f16_e32 v11, v5
	s_cmp_lt_i32 s5, 1
	s_mov_b32 s10, 0
	s_cbranch_scc1 .LBB227_121
; %bb.118:
	s_cmp_eq_u32 s5, 1
	s_cbranch_scc0 .LBB227_122
; %bb.119:
	v_max_num_f32_e64 v5, s6, s6
	v_max_num_f32_e32 v12, v11, v11
	s_mov_b32 s11, 0
	s_delay_alu instid0(VALU_DEP_1) | instskip(NEXT) | instid1(VALU_DEP_1)
	v_min_num_f32_e32 v5, v12, v5
	v_cvt_f16_f32_e32 v5, v5
	s_branch .LBB227_123
.LBB227_120:
	v_max_num_f32_e64 v2, s6, s6
	v_max_num_f32_e64 v10, s7, s7
	s_delay_alu instid0(VALU_DEP_1) | instskip(NEXT) | instid1(VALU_DEP_1)
	v_maxmin_num_f32 v2, v9, v2, v10
	v_cvt_f16_f32_e32 v2, v2
	s_cbranch_execz .LBB227_95
	s_branch .LBB227_96
.LBB227_121:
	s_mov_b32 s11, 0
                                        ; implicit-def: $vgpr5
	s_cbranch_execnz .LBB227_124
	s_branch .LBB227_125
.LBB227_122:
	s_mov_b32 s11, -1
                                        ; implicit-def: $vgpr5
.LBB227_123:
	s_branch .LBB227_125
.LBB227_124:
	s_cmp_lg_u32 s5, 0
	s_mov_b32 s10, -1
	s_cselect_b32 s11, -1, 0
.LBB227_125:
	v_max_num_f32_e32 v11, v11, v11
	s_and_not1_b32 vcc_lo, exec_lo, s11
	s_cbranch_vccz .LBB227_133
; %bb.126:
	s_and_not1_b32 vcc_lo, exec_lo, s10
	s_cbranch_vccnz .LBB227_128
.LBB227_127:
	v_max_num_f32_e64 v5, s6, s6
	s_delay_alu instid0(VALU_DEP_1) | instskip(NEXT) | instid1(VALU_DEP_1)
	v_max_num_f32_e32 v5, v11, v5
	v_cvt_f16_f32_e32 v5, v5
.LBB227_128:
	s_or_b32 exec_lo, exec_lo, s3
	s_delay_alu instid0(SALU_CYCLE_1) | instskip(NEXT) | instid1(SALU_CYCLE_1)
	s_or_b32 exec_lo, exec_lo, s1
	s_mov_b32 s1, exec_lo
	v_cmpx_gt_i32_e64 s4, v2
	s_cbranch_execz .LBB227_142
.LBB227_129:
	s_mov_b32 s3, exec_lo
	s_wait_loadcnt 0x0
	v_cmpx_o_f16_e32 v3, v3
	s_cbranch_execz .LBB227_141
; %bb.130:
	v_cvt_f32_f16_e32 v11, v3
	s_cmp_lt_i32 s5, 1
	s_mov_b32 s10, 0
	s_cbranch_scc1 .LBB227_134
; %bb.131:
	s_cmp_eq_u32 s5, 1
	s_cbranch_scc0 .LBB227_135
; %bb.132:
	v_max_num_f32_e64 v3, s6, s6
	v_max_num_f32_e32 v12, v11, v11
	s_mov_b32 s11, 0
	s_delay_alu instid0(VALU_DEP_1) | instskip(NEXT) | instid1(VALU_DEP_1)
	v_min_num_f32_e32 v3, v12, v3
	v_cvt_f16_f32_e32 v3, v3
	s_branch .LBB227_136
.LBB227_133:
	v_max_num_f32_e64 v5, s6, s6
	v_max_num_f32_e64 v12, s7, s7
	s_delay_alu instid0(VALU_DEP_1) | instskip(NEXT) | instid1(VALU_DEP_1)
	v_maxmin_num_f32 v5, v11, v5, v12
	v_cvt_f16_f32_e32 v5, v5
	s_cbranch_execz .LBB227_127
	s_branch .LBB227_128
.LBB227_134:
	s_mov_b32 s11, 0
                                        ; implicit-def: $vgpr3
	s_cbranch_execnz .LBB227_137
	s_branch .LBB227_138
.LBB227_135:
	s_mov_b32 s11, -1
                                        ; implicit-def: $vgpr3
.LBB227_136:
	s_branch .LBB227_138
.LBB227_137:
	s_cmp_lg_u32 s5, 0
	s_mov_b32 s10, -1
	s_cselect_b32 s11, -1, 0
.LBB227_138:
	v_max_num_f32_e32 v11, v11, v11
	s_and_not1_b32 vcc_lo, exec_lo, s11
	s_cbranch_vccz .LBB227_147
; %bb.139:
	s_and_not1_b32 vcc_lo, exec_lo, s10
	s_cbranch_vccnz .LBB227_141
.LBB227_140:
	v_max_num_f32_e64 v3, s6, s6
	s_delay_alu instid0(VALU_DEP_1) | instskip(NEXT) | instid1(VALU_DEP_1)
	v_max_num_f32_e32 v3, v11, v3
	v_cvt_f16_f32_e32 v3, v3
.LBB227_141:
	s_or_b32 exec_lo, exec_lo, s3
.LBB227_142:
	s_delay_alu instid0(SALU_CYCLE_1) | instskip(SKIP_2) | instid1(VALU_DEP_1)
	s_or_b32 exec_lo, exec_lo, s1
	v_or_b32_e32 v11, 0x200, v0
	s_mov_b32 s1, exec_lo
	v_cmpx_gt_i32_e64 s4, v11
	s_cbranch_execz .LBB227_156
; %bb.143:
	s_mov_b32 s3, exec_lo
	s_wait_loadcnt 0x0
	v_cmpx_o_f16_e32 v7, v7
	s_cbranch_execz .LBB227_155
; %bb.144:
	v_cvt_f32_f16_e32 v11, v7
	s_cmp_lt_i32 s5, 1
	s_mov_b32 s10, 0
	s_cbranch_scc1 .LBB227_148
; %bb.145:
	s_cmp_eq_u32 s5, 1
	s_cbranch_scc0 .LBB227_149
; %bb.146:
	v_max_num_f32_e64 v7, s6, s6
	v_max_num_f32_e32 v12, v11, v11
	s_mov_b32 s11, 0
	s_delay_alu instid0(VALU_DEP_1) | instskip(NEXT) | instid1(VALU_DEP_1)
	v_min_num_f32_e32 v7, v12, v7
	v_cvt_f16_f32_e32 v7, v7
	s_branch .LBB227_150
.LBB227_147:
	v_max_num_f32_e64 v3, s6, s6
	v_max_num_f32_e64 v12, s7, s7
	s_delay_alu instid0(VALU_DEP_1) | instskip(NEXT) | instid1(VALU_DEP_1)
	v_maxmin_num_f32 v3, v11, v3, v12
	v_cvt_f16_f32_e32 v3, v3
	s_cbranch_execz .LBB227_140
	s_branch .LBB227_141
.LBB227_148:
	s_mov_b32 s11, 0
                                        ; implicit-def: $vgpr7
	s_cbranch_execnz .LBB227_151
	s_branch .LBB227_152
.LBB227_149:
	s_mov_b32 s11, -1
                                        ; implicit-def: $vgpr7
.LBB227_150:
	s_branch .LBB227_152
.LBB227_151:
	s_cmp_lg_u32 s5, 0
	s_mov_b32 s10, -1
	s_cselect_b32 s11, -1, 0
.LBB227_152:
	v_max_num_f32_e32 v11, v11, v11
	s_and_not1_b32 vcc_lo, exec_lo, s11
	s_cbranch_vccz .LBB227_161
; %bb.153:
	s_and_not1_b32 vcc_lo, exec_lo, s10
	s_cbranch_vccnz .LBB227_155
.LBB227_154:
	v_max_num_f32_e64 v7, s6, s6
	s_delay_alu instid0(VALU_DEP_1) | instskip(NEXT) | instid1(VALU_DEP_1)
	v_max_num_f32_e32 v7, v11, v7
	v_cvt_f16_f32_e32 v7, v7
.LBB227_155:
	s_or_b32 exec_lo, exec_lo, s3
.LBB227_156:
	s_delay_alu instid0(SALU_CYCLE_1) | instskip(SKIP_2) | instid1(VALU_DEP_1)
	s_or_b32 exec_lo, exec_lo, s1
	v_or_b32_e32 v11, 0x300, v0
	s_mov_b32 s1, exec_lo
	v_cmpx_gt_i32_e64 s4, v11
	s_cbranch_execz .LBB227_170
; %bb.157:
	s_mov_b32 s3, exec_lo
	s_wait_loadcnt 0x0
	v_cmpx_o_f16_e32 v4, v4
	s_cbranch_execz .LBB227_169
; %bb.158:
	v_cvt_f32_f16_e32 v11, v4
	s_cmp_lt_i32 s5, 1
	s_mov_b32 s10, 0
	s_cbranch_scc1 .LBB227_162
; %bb.159:
	s_cmp_eq_u32 s5, 1
	s_cbranch_scc0 .LBB227_163
; %bb.160:
	v_max_num_f32_e64 v4, s6, s6
	v_max_num_f32_e32 v12, v11, v11
	s_mov_b32 s11, 0
	s_delay_alu instid0(VALU_DEP_1) | instskip(NEXT) | instid1(VALU_DEP_1)
	v_min_num_f32_e32 v4, v12, v4
	v_cvt_f16_f32_e32 v4, v4
	s_branch .LBB227_164
.LBB227_161:
	v_max_num_f32_e64 v7, s6, s6
	v_max_num_f32_e64 v12, s7, s7
	s_delay_alu instid0(VALU_DEP_1) | instskip(NEXT) | instid1(VALU_DEP_1)
	v_maxmin_num_f32 v7, v11, v7, v12
	v_cvt_f16_f32_e32 v7, v7
	s_cbranch_execz .LBB227_154
	s_branch .LBB227_155
.LBB227_162:
	s_mov_b32 s11, 0
                                        ; implicit-def: $vgpr4
	s_cbranch_execnz .LBB227_165
	s_branch .LBB227_166
.LBB227_163:
	s_mov_b32 s11, -1
                                        ; implicit-def: $vgpr4
.LBB227_164:
	s_branch .LBB227_166
.LBB227_165:
	s_cmp_lg_u32 s5, 0
	s_mov_b32 s10, -1
	s_cselect_b32 s11, -1, 0
.LBB227_166:
	v_max_num_f32_e32 v11, v11, v11
	s_and_not1_b32 vcc_lo, exec_lo, s11
	s_cbranch_vccz .LBB227_175
; %bb.167:
	s_and_not1_b32 vcc_lo, exec_lo, s10
	s_cbranch_vccnz .LBB227_169
.LBB227_168:
	v_max_num_f32_e64 v4, s6, s6
	s_delay_alu instid0(VALU_DEP_1) | instskip(NEXT) | instid1(VALU_DEP_1)
	v_max_num_f32_e32 v4, v11, v4
	v_cvt_f16_f32_e32 v4, v4
.LBB227_169:
	s_or_b32 exec_lo, exec_lo, s3
.LBB227_170:
	s_delay_alu instid0(SALU_CYCLE_1) | instskip(SKIP_2) | instid1(VALU_DEP_1)
	s_or_b32 exec_lo, exec_lo, s1
	v_or_b32_e32 v11, 0x400, v0
	s_mov_b32 s1, exec_lo
	v_cmpx_gt_i32_e64 s4, v11
	s_cbranch_execz .LBB227_184
; %bb.171:
	s_mov_b32 s3, exec_lo
	s_wait_loadcnt 0x0
	v_cmpx_o_f16_e32 v9, v9
	s_cbranch_execz .LBB227_183
; %bb.172:
	v_cvt_f32_f16_e32 v11, v9
	s_cmp_lt_i32 s5, 1
	s_mov_b32 s10, 0
	s_cbranch_scc1 .LBB227_176
; %bb.173:
	s_cmp_eq_u32 s5, 1
	s_cbranch_scc0 .LBB227_177
; %bb.174:
	v_max_num_f32_e64 v9, s6, s6
	v_max_num_f32_e32 v12, v11, v11
	s_mov_b32 s11, 0
	s_delay_alu instid0(VALU_DEP_1) | instskip(NEXT) | instid1(VALU_DEP_1)
	v_min_num_f32_e32 v9, v12, v9
	v_cvt_f16_f32_e32 v9, v9
	s_branch .LBB227_178
.LBB227_175:
	v_max_num_f32_e64 v4, s6, s6
	v_max_num_f32_e64 v12, s7, s7
	s_delay_alu instid0(VALU_DEP_1) | instskip(NEXT) | instid1(VALU_DEP_1)
	v_maxmin_num_f32 v4, v11, v4, v12
	v_cvt_f16_f32_e32 v4, v4
	s_cbranch_execz .LBB227_168
	s_branch .LBB227_169
.LBB227_176:
	s_mov_b32 s11, 0
                                        ; implicit-def: $vgpr9
	s_cbranch_execnz .LBB227_179
	s_branch .LBB227_180
.LBB227_177:
	s_mov_b32 s11, -1
                                        ; implicit-def: $vgpr9
.LBB227_178:
	s_branch .LBB227_180
.LBB227_179:
	s_cmp_lg_u32 s5, 0
	s_mov_b32 s10, -1
	s_cselect_b32 s11, -1, 0
.LBB227_180:
	v_max_num_f32_e32 v11, v11, v11
	s_and_not1_b32 vcc_lo, exec_lo, s11
	s_cbranch_vccz .LBB227_189
; %bb.181:
	s_and_not1_b32 vcc_lo, exec_lo, s10
	s_cbranch_vccnz .LBB227_183
.LBB227_182:
	v_max_num_f32_e64 v9, s6, s6
	s_delay_alu instid0(VALU_DEP_1) | instskip(NEXT) | instid1(VALU_DEP_1)
	v_max_num_f32_e32 v9, v11, v9
	v_cvt_f16_f32_e32 v9, v9
.LBB227_183:
	s_or_b32 exec_lo, exec_lo, s3
.LBB227_184:
	s_delay_alu instid0(SALU_CYCLE_1) | instskip(SKIP_2) | instid1(VALU_DEP_1)
	s_or_b32 exec_lo, exec_lo, s1
	v_or_b32_e32 v11, 0x500, v0
	s_mov_b32 s1, exec_lo
	v_cmpx_gt_i32_e64 s4, v11
	s_cbranch_execz .LBB227_198
; %bb.185:
	s_mov_b32 s3, exec_lo
	s_wait_loadcnt 0x0
	v_cmpx_o_f16_e32 v6, v6
	s_cbranch_execz .LBB227_197
; %bb.186:
	v_cvt_f32_f16_e32 v11, v6
	s_cmp_lt_i32 s5, 1
	s_mov_b32 s10, 0
	s_cbranch_scc1 .LBB227_190
; %bb.187:
	s_cmp_eq_u32 s5, 1
	s_cbranch_scc0 .LBB227_191
; %bb.188:
	v_max_num_f32_e64 v6, s6, s6
	v_max_num_f32_e32 v12, v11, v11
	s_mov_b32 s11, 0
	s_delay_alu instid0(VALU_DEP_1) | instskip(NEXT) | instid1(VALU_DEP_1)
	v_min_num_f32_e32 v6, v12, v6
	v_cvt_f16_f32_e32 v6, v6
	s_branch .LBB227_192
.LBB227_189:
	v_max_num_f32_e64 v9, s6, s6
	v_max_num_f32_e64 v12, s7, s7
	s_delay_alu instid0(VALU_DEP_1) | instskip(NEXT) | instid1(VALU_DEP_1)
	v_maxmin_num_f32 v9, v11, v9, v12
	v_cvt_f16_f32_e32 v9, v9
	s_cbranch_execz .LBB227_182
	s_branch .LBB227_183
.LBB227_190:
	s_mov_b32 s11, 0
                                        ; implicit-def: $vgpr6
	s_cbranch_execnz .LBB227_193
	s_branch .LBB227_194
.LBB227_191:
	s_mov_b32 s11, -1
                                        ; implicit-def: $vgpr6
.LBB227_192:
	s_branch .LBB227_194
.LBB227_193:
	s_cmp_lg_u32 s5, 0
	s_mov_b32 s10, -1
	s_cselect_b32 s11, -1, 0
.LBB227_194:
	v_max_num_f32_e32 v11, v11, v11
	s_and_not1_b32 vcc_lo, exec_lo, s11
	s_cbranch_vccz .LBB227_203
; %bb.195:
	s_and_not1_b32 vcc_lo, exec_lo, s10
	s_cbranch_vccnz .LBB227_197
.LBB227_196:
	v_max_num_f32_e64 v6, s6, s6
	s_delay_alu instid0(VALU_DEP_1) | instskip(NEXT) | instid1(VALU_DEP_1)
	v_max_num_f32_e32 v6, v11, v6
	v_cvt_f16_f32_e32 v6, v6
.LBB227_197:
	s_or_b32 exec_lo, exec_lo, s3
.LBB227_198:
	s_delay_alu instid0(SALU_CYCLE_1) | instskip(SKIP_2) | instid1(VALU_DEP_1)
	s_or_b32 exec_lo, exec_lo, s1
	v_or_b32_e32 v11, 0x600, v0
	s_mov_b32 s1, exec_lo
	v_cmpx_gt_i32_e64 s4, v11
	s_cbranch_execz .LBB227_212
; %bb.199:
	s_mov_b32 s3, exec_lo
	s_wait_loadcnt 0x0
	v_cmpx_o_f16_e32 v10, v10
	s_cbranch_execz .LBB227_211
; %bb.200:
	v_cvt_f32_f16_e32 v11, v10
	s_cmp_lt_i32 s5, 1
	s_mov_b32 s10, 0
	s_cbranch_scc1 .LBB227_204
; %bb.201:
	s_cmp_eq_u32 s5, 1
	s_cbranch_scc0 .LBB227_205
; %bb.202:
	v_max_num_f32_e64 v10, s6, s6
	v_max_num_f32_e32 v12, v11, v11
	s_mov_b32 s11, 0
	s_delay_alu instid0(VALU_DEP_1) | instskip(NEXT) | instid1(VALU_DEP_1)
	v_min_num_f32_e32 v10, v12, v10
	v_cvt_f16_f32_e32 v10, v10
	s_branch .LBB227_206
.LBB227_203:
	v_max_num_f32_e64 v6, s6, s6
	v_max_num_f32_e64 v12, s7, s7
	s_delay_alu instid0(VALU_DEP_1) | instskip(NEXT) | instid1(VALU_DEP_1)
	v_maxmin_num_f32 v6, v11, v6, v12
	v_cvt_f16_f32_e32 v6, v6
	s_cbranch_execz .LBB227_196
	s_branch .LBB227_197
.LBB227_204:
	s_mov_b32 s11, 0
                                        ; implicit-def: $vgpr10
	s_cbranch_execnz .LBB227_207
	s_branch .LBB227_208
.LBB227_205:
	s_mov_b32 s11, -1
                                        ; implicit-def: $vgpr10
.LBB227_206:
	s_branch .LBB227_208
.LBB227_207:
	s_cmp_lg_u32 s5, 0
	s_mov_b32 s10, -1
	s_cselect_b32 s11, -1, 0
.LBB227_208:
	v_max_num_f32_e32 v11, v11, v11
	s_and_not1_b32 vcc_lo, exec_lo, s11
	s_cbranch_vccz .LBB227_226
; %bb.209:
	s_and_not1_b32 vcc_lo, exec_lo, s10
	s_cbranch_vccnz .LBB227_211
.LBB227_210:
	v_max_num_f32_e64 v10, s6, s6
	s_delay_alu instid0(VALU_DEP_1) | instskip(NEXT) | instid1(VALU_DEP_1)
	v_max_num_f32_e32 v10, v11, v10
	v_cvt_f16_f32_e32 v10, v10
.LBB227_211:
	s_or_b32 exec_lo, exec_lo, s3
.LBB227_212:
	s_delay_alu instid0(SALU_CYCLE_1) | instskip(SKIP_2) | instid1(VALU_DEP_1)
	s_or_b32 exec_lo, exec_lo, s1
	v_or_b32_e32 v11, 0x700, v0
	s_mov_b32 s1, exec_lo
	v_cmpx_gt_i32_e64 s4, v11
	s_cbranch_execnz .LBB227_222
; %bb.213:
	s_or_b32 exec_lo, exec_lo, s1
	s_and_saveexec_b32 s1, s0
	s_delay_alu instid0(SALU_CYCLE_1)
	s_xor_b32 s0, exec_lo, s1
	s_cbranch_execnz .LBB227_235
.LBB227_214:
	s_or_b32 exec_lo, exec_lo, s0
	s_delay_alu instid0(SALU_CYCLE_1)
	s_mov_b32 s0, exec_lo
	v_cmpx_gt_i32_e64 s4, v0
	s_cbranch_execnz .LBB227_236
.LBB227_215:
	s_or_b32 exec_lo, exec_lo, s0
	s_delay_alu instid0(SALU_CYCLE_1)
	s_mov_b32 s0, exec_lo
	v_cmpx_gt_i32_e64 s4, v0
	s_cbranch_execnz .LBB227_237
.LBB227_216:
	s_or_b32 exec_lo, exec_lo, s0
	s_delay_alu instid0(SALU_CYCLE_1)
	s_mov_b32 s0, exec_lo
	v_cmpx_gt_i32_e64 s4, v0
	s_cbranch_execnz .LBB227_238
.LBB227_217:
	s_or_b32 exec_lo, exec_lo, s0
	s_delay_alu instid0(SALU_CYCLE_1)
	s_mov_b32 s0, exec_lo
	v_cmpx_gt_i32_e64 s4, v0
	s_cbranch_execnz .LBB227_239
.LBB227_218:
	s_or_b32 exec_lo, exec_lo, s0
	s_delay_alu instid0(SALU_CYCLE_1)
	s_mov_b32 s0, exec_lo
	v_cmpx_gt_i32_e64 s4, v0
	s_cbranch_execnz .LBB227_240
.LBB227_219:
	s_or_b32 exec_lo, exec_lo, s0
	s_delay_alu instid0(SALU_CYCLE_1)
	s_mov_b32 s0, exec_lo
	v_cmpx_gt_i32_e64 s4, v0
	s_cbranch_execnz .LBB227_241
.LBB227_220:
	s_or_b32 exec_lo, exec_lo, s0
	s_delay_alu instid0(SALU_CYCLE_1)
	s_mov_b32 s0, exec_lo
	v_cmpx_gt_i32_e64 s4, v0
	s_cbranch_execz .LBB227_242
.LBB227_221:
	v_add_nc_u32_e32 v0, s2, v0
	s_wait_loadcnt 0x0
	global_store_b16 v0, v8, s[8:9] scale_offset
	s_endpgm
.LBB227_222:
	s_mov_b32 s3, exec_lo
	s_wait_loadcnt 0x0
	v_cmpx_o_f16_e32 v8, v8
	s_cbranch_execz .LBB227_234
; %bb.223:
	v_cvt_f32_f16_e32 v11, v8
	s_cmp_lt_i32 s5, 1
	s_mov_b32 s10, 0
	s_cbranch_scc1 .LBB227_227
; %bb.224:
	s_cmp_eq_u32 s5, 1
	s_cbranch_scc0 .LBB227_228
; %bb.225:
	v_max_num_f32_e64 v8, s6, s6
	v_max_num_f32_e32 v12, v11, v11
	s_mov_b32 s11, 0
	s_delay_alu instid0(VALU_DEP_1) | instskip(NEXT) | instid1(VALU_DEP_1)
	v_min_num_f32_e32 v8, v12, v8
	v_cvt_f16_f32_e32 v8, v8
	s_branch .LBB227_229
.LBB227_226:
	v_max_num_f32_e64 v10, s6, s6
	v_max_num_f32_e64 v12, s7, s7
	s_delay_alu instid0(VALU_DEP_1) | instskip(NEXT) | instid1(VALU_DEP_1)
	v_maxmin_num_f32 v10, v11, v10, v12
	v_cvt_f16_f32_e32 v10, v10
	s_cbranch_execz .LBB227_210
	s_branch .LBB227_211
.LBB227_227:
	s_mov_b32 s11, 0
                                        ; implicit-def: $vgpr8
	s_cbranch_execnz .LBB227_230
	s_branch .LBB227_231
.LBB227_228:
	s_mov_b32 s11, -1
                                        ; implicit-def: $vgpr8
.LBB227_229:
	s_branch .LBB227_231
.LBB227_230:
	s_cmp_lg_u32 s5, 0
	s_mov_b32 s10, -1
	s_cselect_b32 s11, -1, 0
.LBB227_231:
	v_max_num_f32_e64 v12, s6, s6
	v_max_num_f32_e32 v11, v11, v11
	s_and_not1_b32 vcc_lo, exec_lo, s11
	s_cbranch_vccz .LBB227_243
; %bb.232:
	s_and_not1_b32 vcc_lo, exec_lo, s10
	s_cbranch_vccnz .LBB227_234
.LBB227_233:
	v_max_num_f32_e32 v8, v11, v12
	s_delay_alu instid0(VALU_DEP_1)
	v_cvt_f16_f32_e32 v8, v8
.LBB227_234:
	s_or_b32 exec_lo, exec_lo, s3
	s_delay_alu instid0(SALU_CYCLE_1) | instskip(SKIP_1) | instid1(SALU_CYCLE_1)
	s_or_b32 exec_lo, exec_lo, s1
	s_and_saveexec_b32 s1, s0
	s_xor_b32 s0, exec_lo, s1
	s_cbranch_execz .LBB227_214
.LBB227_235:
	v_mov_b32_e32 v0, v2
	s_wait_loadcnt 0x0
	global_store_b16 v1, v5, s[8:9] scale_offset
	s_wait_xcnt 0x0
	s_or_b32 exec_lo, exec_lo, s0
	s_delay_alu instid0(SALU_CYCLE_1)
	s_mov_b32 s0, exec_lo
	v_cmpx_gt_i32_e64 s4, v0
	s_cbranch_execz .LBB227_215
.LBB227_236:
	v_add_nc_u32_e32 v1, s2, v0
	v_add_nc_u32_e32 v0, 0x100, v0
	s_wait_loadcnt 0x0
	global_store_b16 v1, v3, s[8:9] scale_offset
	s_wait_xcnt 0x0
	s_or_b32 exec_lo, exec_lo, s0
	s_delay_alu instid0(SALU_CYCLE_1)
	s_mov_b32 s0, exec_lo
	v_cmpx_gt_i32_e64 s4, v0
	s_cbranch_execz .LBB227_216
.LBB227_237:
	v_add_nc_u32_e32 v1, s2, v0
	v_add_nc_u32_e32 v0, 0x100, v0
	s_wait_loadcnt 0x0
	global_store_b16 v1, v7, s[8:9] scale_offset
	s_wait_xcnt 0x0
	s_or_b32 exec_lo, exec_lo, s0
	s_delay_alu instid0(SALU_CYCLE_1)
	s_mov_b32 s0, exec_lo
	v_cmpx_gt_i32_e64 s4, v0
	s_cbranch_execz .LBB227_217
.LBB227_238:
	v_add_nc_u32_e32 v1, s2, v0
	v_add_nc_u32_e32 v0, 0x100, v0
	s_wait_loadcnt 0x0
	global_store_b16 v1, v4, s[8:9] scale_offset
	s_wait_xcnt 0x0
	s_or_b32 exec_lo, exec_lo, s0
	s_delay_alu instid0(SALU_CYCLE_1)
	s_mov_b32 s0, exec_lo
	v_cmpx_gt_i32_e64 s4, v0
	s_cbranch_execz .LBB227_218
.LBB227_239:
	v_add_nc_u32_e32 v1, s2, v0
	v_add_nc_u32_e32 v0, 0x100, v0
	s_wait_loadcnt 0x0
	global_store_b16 v1, v9, s[8:9] scale_offset
	s_wait_xcnt 0x0
	s_or_b32 exec_lo, exec_lo, s0
	s_delay_alu instid0(SALU_CYCLE_1)
	s_mov_b32 s0, exec_lo
	v_cmpx_gt_i32_e64 s4, v0
	s_cbranch_execz .LBB227_219
.LBB227_240:
	v_add_nc_u32_e32 v1, s2, v0
	v_add_nc_u32_e32 v0, 0x100, v0
	s_wait_loadcnt 0x0
	global_store_b16 v1, v6, s[8:9] scale_offset
	s_wait_xcnt 0x0
	s_or_b32 exec_lo, exec_lo, s0
	s_delay_alu instid0(SALU_CYCLE_1)
	s_mov_b32 s0, exec_lo
	v_cmpx_gt_i32_e64 s4, v0
	s_cbranch_execz .LBB227_220
.LBB227_241:
	v_add_nc_u32_e32 v1, s2, v0
	v_add_nc_u32_e32 v0, 0x100, v0
	s_wait_loadcnt 0x0
	global_store_b16 v1, v10, s[8:9] scale_offset
	s_wait_xcnt 0x0
	s_or_b32 exec_lo, exec_lo, s0
	s_delay_alu instid0(SALU_CYCLE_1)
	s_mov_b32 s0, exec_lo
	v_cmpx_gt_i32_e64 s4, v0
	s_cbranch_execnz .LBB227_221
.LBB227_242:
	s_endpgm
.LBB227_243:
	v_max_num_f32_e64 v8, s7, s7
	s_delay_alu instid0(VALU_DEP_1) | instskip(NEXT) | instid1(VALU_DEP_1)
	v_maxmin_num_f32 v8, v11, v12, v8
	v_cvt_f16_f32_e32 v8, v8
	s_cbranch_execz .LBB227_233
	s_branch .LBB227_234
	.section	.rodata,"a",@progbits
	.p2align	6, 0x0
	.amdhsa_kernel _ZN2at6native29vectorized_elementwise_kernelILi2EZZZNS0_12_GLOBAL__N_119launch_clamp_scalarERNS_18TensorIteratorBaseEN3c106ScalarES6_NS0_6detail11ClampLimitsEENKUlvE_clEvENKUlvE6_clEvEUlNS5_4HalfEE_St5arrayIPcLm2EEEEviT0_T1_
		.amdhsa_group_segment_fixed_size 0
		.amdhsa_private_segment_fixed_size 0
		.amdhsa_kernarg_size 32
		.amdhsa_user_sgpr_count 2
		.amdhsa_user_sgpr_dispatch_ptr 0
		.amdhsa_user_sgpr_queue_ptr 0
		.amdhsa_user_sgpr_kernarg_segment_ptr 1
		.amdhsa_user_sgpr_dispatch_id 0
		.amdhsa_user_sgpr_kernarg_preload_length 0
		.amdhsa_user_sgpr_kernarg_preload_offset 0
		.amdhsa_user_sgpr_private_segment_size 0
		.amdhsa_wavefront_size32 1
		.amdhsa_uses_dynamic_stack 0
		.amdhsa_enable_private_segment 0
		.amdhsa_system_sgpr_workgroup_id_x 1
		.amdhsa_system_sgpr_workgroup_id_y 0
		.amdhsa_system_sgpr_workgroup_id_z 0
		.amdhsa_system_sgpr_workgroup_info 0
		.amdhsa_system_vgpr_workitem_id 0
		.amdhsa_next_free_vgpr 13
		.amdhsa_next_free_sgpr 14
		.amdhsa_named_barrier_count 0
		.amdhsa_reserve_vcc 1
		.amdhsa_float_round_mode_32 0
		.amdhsa_float_round_mode_16_64 0
		.amdhsa_float_denorm_mode_32 3
		.amdhsa_float_denorm_mode_16_64 3
		.amdhsa_fp16_overflow 0
		.amdhsa_memory_ordered 1
		.amdhsa_forward_progress 1
		.amdhsa_inst_pref_size 37
		.amdhsa_round_robin_scheduling 0
		.amdhsa_exception_fp_ieee_invalid_op 0
		.amdhsa_exception_fp_denorm_src 0
		.amdhsa_exception_fp_ieee_div_zero 0
		.amdhsa_exception_fp_ieee_overflow 0
		.amdhsa_exception_fp_ieee_underflow 0
		.amdhsa_exception_fp_ieee_inexact 0
		.amdhsa_exception_int_div_zero 0
	.end_amdhsa_kernel
	.section	.text._ZN2at6native29vectorized_elementwise_kernelILi2EZZZNS0_12_GLOBAL__N_119launch_clamp_scalarERNS_18TensorIteratorBaseEN3c106ScalarES6_NS0_6detail11ClampLimitsEENKUlvE_clEvENKUlvE6_clEvEUlNS5_4HalfEE_St5arrayIPcLm2EEEEviT0_T1_,"axG",@progbits,_ZN2at6native29vectorized_elementwise_kernelILi2EZZZNS0_12_GLOBAL__N_119launch_clamp_scalarERNS_18TensorIteratorBaseEN3c106ScalarES6_NS0_6detail11ClampLimitsEENKUlvE_clEvENKUlvE6_clEvEUlNS5_4HalfEE_St5arrayIPcLm2EEEEviT0_T1_,comdat
.Lfunc_end227:
	.size	_ZN2at6native29vectorized_elementwise_kernelILi2EZZZNS0_12_GLOBAL__N_119launch_clamp_scalarERNS_18TensorIteratorBaseEN3c106ScalarES6_NS0_6detail11ClampLimitsEENKUlvE_clEvENKUlvE6_clEvEUlNS5_4HalfEE_St5arrayIPcLm2EEEEviT0_T1_, .Lfunc_end227-_ZN2at6native29vectorized_elementwise_kernelILi2EZZZNS0_12_GLOBAL__N_119launch_clamp_scalarERNS_18TensorIteratorBaseEN3c106ScalarES6_NS0_6detail11ClampLimitsEENKUlvE_clEvENKUlvE6_clEvEUlNS5_4HalfEE_St5arrayIPcLm2EEEEviT0_T1_
                                        ; -- End function
	.set _ZN2at6native29vectorized_elementwise_kernelILi2EZZZNS0_12_GLOBAL__N_119launch_clamp_scalarERNS_18TensorIteratorBaseEN3c106ScalarES6_NS0_6detail11ClampLimitsEENKUlvE_clEvENKUlvE6_clEvEUlNS5_4HalfEE_St5arrayIPcLm2EEEEviT0_T1_.num_vgpr, 13
	.set _ZN2at6native29vectorized_elementwise_kernelILi2EZZZNS0_12_GLOBAL__N_119launch_clamp_scalarERNS_18TensorIteratorBaseEN3c106ScalarES6_NS0_6detail11ClampLimitsEENKUlvE_clEvENKUlvE6_clEvEUlNS5_4HalfEE_St5arrayIPcLm2EEEEviT0_T1_.num_agpr, 0
	.set _ZN2at6native29vectorized_elementwise_kernelILi2EZZZNS0_12_GLOBAL__N_119launch_clamp_scalarERNS_18TensorIteratorBaseEN3c106ScalarES6_NS0_6detail11ClampLimitsEENKUlvE_clEvENKUlvE6_clEvEUlNS5_4HalfEE_St5arrayIPcLm2EEEEviT0_T1_.numbered_sgpr, 14
	.set _ZN2at6native29vectorized_elementwise_kernelILi2EZZZNS0_12_GLOBAL__N_119launch_clamp_scalarERNS_18TensorIteratorBaseEN3c106ScalarES6_NS0_6detail11ClampLimitsEENKUlvE_clEvENKUlvE6_clEvEUlNS5_4HalfEE_St5arrayIPcLm2EEEEviT0_T1_.num_named_barrier, 0
	.set _ZN2at6native29vectorized_elementwise_kernelILi2EZZZNS0_12_GLOBAL__N_119launch_clamp_scalarERNS_18TensorIteratorBaseEN3c106ScalarES6_NS0_6detail11ClampLimitsEENKUlvE_clEvENKUlvE6_clEvEUlNS5_4HalfEE_St5arrayIPcLm2EEEEviT0_T1_.private_seg_size, 0
	.set _ZN2at6native29vectorized_elementwise_kernelILi2EZZZNS0_12_GLOBAL__N_119launch_clamp_scalarERNS_18TensorIteratorBaseEN3c106ScalarES6_NS0_6detail11ClampLimitsEENKUlvE_clEvENKUlvE6_clEvEUlNS5_4HalfEE_St5arrayIPcLm2EEEEviT0_T1_.uses_vcc, 1
	.set _ZN2at6native29vectorized_elementwise_kernelILi2EZZZNS0_12_GLOBAL__N_119launch_clamp_scalarERNS_18TensorIteratorBaseEN3c106ScalarES6_NS0_6detail11ClampLimitsEENKUlvE_clEvENKUlvE6_clEvEUlNS5_4HalfEE_St5arrayIPcLm2EEEEviT0_T1_.uses_flat_scratch, 0
	.set _ZN2at6native29vectorized_elementwise_kernelILi2EZZZNS0_12_GLOBAL__N_119launch_clamp_scalarERNS_18TensorIteratorBaseEN3c106ScalarES6_NS0_6detail11ClampLimitsEENKUlvE_clEvENKUlvE6_clEvEUlNS5_4HalfEE_St5arrayIPcLm2EEEEviT0_T1_.has_dyn_sized_stack, 0
	.set _ZN2at6native29vectorized_elementwise_kernelILi2EZZZNS0_12_GLOBAL__N_119launch_clamp_scalarERNS_18TensorIteratorBaseEN3c106ScalarES6_NS0_6detail11ClampLimitsEENKUlvE_clEvENKUlvE6_clEvEUlNS5_4HalfEE_St5arrayIPcLm2EEEEviT0_T1_.has_recursion, 0
	.set _ZN2at6native29vectorized_elementwise_kernelILi2EZZZNS0_12_GLOBAL__N_119launch_clamp_scalarERNS_18TensorIteratorBaseEN3c106ScalarES6_NS0_6detail11ClampLimitsEENKUlvE_clEvENKUlvE6_clEvEUlNS5_4HalfEE_St5arrayIPcLm2EEEEviT0_T1_.has_indirect_call, 0
	.section	.AMDGPU.csdata,"",@progbits
; Kernel info:
; codeLenInByte = 4696
; TotalNumSgprs: 16
; NumVgprs: 13
; ScratchSize: 0
; MemoryBound: 0
; FloatMode: 240
; IeeeMode: 1
; LDSByteSize: 0 bytes/workgroup (compile time only)
; SGPRBlocks: 0
; VGPRBlocks: 0
; NumSGPRsForWavesPerEU: 16
; NumVGPRsForWavesPerEU: 13
; NamedBarCnt: 0
; Occupancy: 16
; WaveLimiterHint : 1
; COMPUTE_PGM_RSRC2:SCRATCH_EN: 0
; COMPUTE_PGM_RSRC2:USER_SGPR: 2
; COMPUTE_PGM_RSRC2:TRAP_HANDLER: 0
; COMPUTE_PGM_RSRC2:TGID_X_EN: 1
; COMPUTE_PGM_RSRC2:TGID_Y_EN: 0
; COMPUTE_PGM_RSRC2:TGID_Z_EN: 0
; COMPUTE_PGM_RSRC2:TIDIG_COMP_CNT: 0
	.section	.text._ZN2at6native27unrolled_elementwise_kernelIZZZNS0_12_GLOBAL__N_119launch_clamp_scalarERNS_18TensorIteratorBaseEN3c106ScalarES6_NS0_6detail11ClampLimitsEENKUlvE_clEvENKUlvE6_clEvEUlNS5_4HalfEE_St5arrayIPcLm2EELi4E23TrivialOffsetCalculatorILi1EjESH_NS0_6memory15LoadWithoutCastENSI_16StoreWithoutCastEEEviT_T0_T2_T3_T4_T5_,"axG",@progbits,_ZN2at6native27unrolled_elementwise_kernelIZZZNS0_12_GLOBAL__N_119launch_clamp_scalarERNS_18TensorIteratorBaseEN3c106ScalarES6_NS0_6detail11ClampLimitsEENKUlvE_clEvENKUlvE6_clEvEUlNS5_4HalfEE_St5arrayIPcLm2EELi4E23TrivialOffsetCalculatorILi1EjESH_NS0_6memory15LoadWithoutCastENSI_16StoreWithoutCastEEEviT_T0_T2_T3_T4_T5_,comdat
	.globl	_ZN2at6native27unrolled_elementwise_kernelIZZZNS0_12_GLOBAL__N_119launch_clamp_scalarERNS_18TensorIteratorBaseEN3c106ScalarES6_NS0_6detail11ClampLimitsEENKUlvE_clEvENKUlvE6_clEvEUlNS5_4HalfEE_St5arrayIPcLm2EELi4E23TrivialOffsetCalculatorILi1EjESH_NS0_6memory15LoadWithoutCastENSI_16StoreWithoutCastEEEviT_T0_T2_T3_T4_T5_ ; -- Begin function _ZN2at6native27unrolled_elementwise_kernelIZZZNS0_12_GLOBAL__N_119launch_clamp_scalarERNS_18TensorIteratorBaseEN3c106ScalarES6_NS0_6detail11ClampLimitsEENKUlvE_clEvENKUlvE6_clEvEUlNS5_4HalfEE_St5arrayIPcLm2EELi4E23TrivialOffsetCalculatorILi1EjESH_NS0_6memory15LoadWithoutCastENSI_16StoreWithoutCastEEEviT_T0_T2_T3_T4_T5_
	.p2align	8
	.type	_ZN2at6native27unrolled_elementwise_kernelIZZZNS0_12_GLOBAL__N_119launch_clamp_scalarERNS_18TensorIteratorBaseEN3c106ScalarES6_NS0_6detail11ClampLimitsEENKUlvE_clEvENKUlvE6_clEvEUlNS5_4HalfEE_St5arrayIPcLm2EELi4E23TrivialOffsetCalculatorILi1EjESH_NS0_6memory15LoadWithoutCastENSI_16StoreWithoutCastEEEviT_T0_T2_T3_T4_T5_,@function
_ZN2at6native27unrolled_elementwise_kernelIZZZNS0_12_GLOBAL__N_119launch_clamp_scalarERNS_18TensorIteratorBaseEN3c106ScalarES6_NS0_6detail11ClampLimitsEENKUlvE_clEvENKUlvE6_clEvEUlNS5_4HalfEE_St5arrayIPcLm2EELi4E23TrivialOffsetCalculatorILi1EjESH_NS0_6memory15LoadWithoutCastENSI_16StoreWithoutCastEEEviT_T0_T2_T3_T4_T5_: ; @_ZN2at6native27unrolled_elementwise_kernelIZZZNS0_12_GLOBAL__N_119launch_clamp_scalarERNS_18TensorIteratorBaseEN3c106ScalarES6_NS0_6detail11ClampLimitsEENKUlvE_clEvENKUlvE6_clEvEUlNS5_4HalfEE_St5arrayIPcLm2EELi4E23TrivialOffsetCalculatorILi1EjESH_NS0_6memory15LoadWithoutCastENSI_16StoreWithoutCastEEEviT_T0_T2_T3_T4_T5_
; %bb.0:
	s_load_b256 s[4:11], s[0:1], 0x0
	s_wait_xcnt 0x0
	s_bfe_u32 s0, ttmp6, 0x4000c
	s_and_b32 s1, ttmp6, 15
	s_add_co_i32 s0, s0, 1
	s_getreg_b32 s2, hwreg(HW_REG_IB_STS2, 6, 4)
	s_mul_i32 s0, ttmp9, s0
	v_dual_mov_b32 v3, 0 :: v_dual_mov_b32 v5, 0
	s_add_co_i32 s1, s1, s0
	s_cmp_eq_u32 s2, 0
	v_or_b32_e32 v1, 0x100, v0
	s_cselect_b32 s0, ttmp9, s1
	v_mov_b32_e32 v7, v0
	s_lshl_b32 s1, s0, 10
	s_delay_alu instid0(SALU_CYCLE_1) | instskip(SKIP_2) | instid1(SALU_CYCLE_1)
	v_or_b32_e32 v2, s1, v0
	s_wait_kmcnt 0x0
	s_sub_co_i32 s2, s4, s1
	v_cmp_gt_i32_e64 s0, s2, v0
	s_and_saveexec_b32 s3, s0
	s_cbranch_execz .LBB228_2
; %bb.1:
	global_load_u16 v5, v2, s[10:11] scale_offset
	v_or_b32_e32 v7, 0x100, v0
.LBB228_2:
	s_wait_xcnt 0x0
	s_or_b32 exec_lo, exec_lo, s3
	s_delay_alu instid0(SALU_CYCLE_1) | instskip(NEXT) | instid1(VALU_DEP_1)
	s_mov_b32 s3, exec_lo
	v_cmpx_gt_i32_e64 s2, v7
	s_cbranch_execz .LBB228_4
; %bb.3:
	v_add_nc_u32_e32 v3, s1, v7
	v_add_nc_u32_e32 v7, 0x100, v7
	global_load_u16 v3, v3, s[10:11] scale_offset
.LBB228_4:
	s_wait_xcnt 0x0
	s_or_b32 exec_lo, exec_lo, s3
	v_dual_mov_b32 v4, 0 :: v_dual_mov_b32 v6, 0
	s_mov_b32 s3, exec_lo
	v_cmpx_gt_i32_e64 s2, v7
	s_cbranch_execnz .LBB228_8
; %bb.5:
	s_or_b32 exec_lo, exec_lo, s3
	s_delay_alu instid0(SALU_CYCLE_1)
	s_mov_b32 s3, exec_lo
	v_cmpx_gt_i32_e64 s2, v7
	s_cbranch_execnz .LBB228_9
.LBB228_6:
	s_or_b32 exec_lo, exec_lo, s3
	s_and_saveexec_b32 s3, s0
	s_cbranch_execnz .LBB228_10
.LBB228_7:
	s_or_b32 exec_lo, exec_lo, s3
	s_delay_alu instid0(SALU_CYCLE_1)
	s_mov_b32 s3, exec_lo
	v_cmpx_gt_i32_e64 s2, v1
	s_cbranch_execnz .LBB228_22
	s_branch .LBB228_35
.LBB228_8:
	v_add_nc_u32_e32 v6, s1, v7
	v_add_nc_u32_e32 v7, 0x100, v7
	global_load_u16 v6, v6, s[10:11] scale_offset
	s_wait_xcnt 0x0
	s_or_b32 exec_lo, exec_lo, s3
	s_delay_alu instid0(SALU_CYCLE_1)
	s_mov_b32 s3, exec_lo
	v_cmpx_gt_i32_e64 s2, v7
	s_cbranch_execz .LBB228_6
.LBB228_9:
	v_add_nc_u32_e32 v4, s1, v7
	global_load_u16 v4, v4, s[10:11] scale_offset
	s_wait_xcnt 0x0
	s_or_b32 exec_lo, exec_lo, s3
	s_and_saveexec_b32 s3, s0
	s_cbranch_execz .LBB228_7
.LBB228_10:
	s_mov_b32 s4, exec_lo
	s_wait_loadcnt 0x0
	v_cmpx_o_f16_e32 v5, v5
	s_cbranch_execz .LBB228_21
; %bb.11:
	v_cvt_f32_f16_e32 v7, v5
	s_cmp_lt_i32 s5, 1
	s_mov_b32 s10, 0
	s_cbranch_scc1 .LBB228_14
; %bb.12:
	s_cmp_eq_u32 s5, 1
	s_cbranch_scc0 .LBB228_15
; %bb.13:
	v_max_num_f32_e64 v5, s6, s6
	v_max_num_f32_e32 v8, v7, v7
	s_mov_b32 s11, 0
	s_delay_alu instid0(VALU_DEP_1) | instskip(NEXT) | instid1(VALU_DEP_1)
	v_min_num_f32_e32 v5, v8, v5
	v_cvt_f16_f32_e32 v5, v5
	s_branch .LBB228_16
.LBB228_14:
	s_mov_b32 s11, 0
                                        ; implicit-def: $vgpr5
	s_cbranch_execnz .LBB228_17
	s_branch .LBB228_18
.LBB228_15:
	s_mov_b32 s11, -1
                                        ; implicit-def: $vgpr5
.LBB228_16:
	s_branch .LBB228_18
.LBB228_17:
	s_cmp_lg_u32 s5, 0
	s_mov_b32 s10, -1
	s_cselect_b32 s11, -1, 0
.LBB228_18:
	v_max_num_f32_e32 v7, v7, v7
	s_and_not1_b32 vcc_lo, exec_lo, s11
	s_cbranch_vccz .LBB228_26
; %bb.19:
	s_and_not1_b32 vcc_lo, exec_lo, s10
	s_cbranch_vccnz .LBB228_21
.LBB228_20:
	v_max_num_f32_e64 v5, s6, s6
	s_delay_alu instid0(VALU_DEP_1) | instskip(NEXT) | instid1(VALU_DEP_1)
	v_max_num_f32_e32 v5, v7, v5
	v_cvt_f16_f32_e32 v5, v5
.LBB228_21:
	s_or_b32 exec_lo, exec_lo, s4
	s_delay_alu instid0(SALU_CYCLE_1) | instskip(NEXT) | instid1(SALU_CYCLE_1)
	s_or_b32 exec_lo, exec_lo, s3
	s_mov_b32 s3, exec_lo
	v_cmpx_gt_i32_e64 s2, v1
	s_cbranch_execz .LBB228_35
.LBB228_22:
	s_mov_b32 s4, exec_lo
	s_wait_loadcnt 0x0
	v_cmpx_o_f16_e32 v3, v3
	s_cbranch_execz .LBB228_34
; %bb.23:
	v_cvt_f32_f16_e32 v7, v3
	s_cmp_lt_i32 s5, 1
	s_mov_b32 s10, 0
	s_cbranch_scc1 .LBB228_27
; %bb.24:
	s_cmp_eq_u32 s5, 1
	s_cbranch_scc0 .LBB228_28
; %bb.25:
	v_max_num_f32_e64 v3, s6, s6
	v_max_num_f32_e32 v8, v7, v7
	s_mov_b32 s11, 0
	s_delay_alu instid0(VALU_DEP_1) | instskip(NEXT) | instid1(VALU_DEP_1)
	v_min_num_f32_e32 v3, v8, v3
	v_cvt_f16_f32_e32 v3, v3
	s_branch .LBB228_29
.LBB228_26:
	v_max_num_f32_e64 v5, s6, s6
	v_max_num_f32_e64 v8, s7, s7
	s_delay_alu instid0(VALU_DEP_1) | instskip(NEXT) | instid1(VALU_DEP_1)
	v_maxmin_num_f32 v5, v7, v5, v8
	v_cvt_f16_f32_e32 v5, v5
	s_cbranch_execz .LBB228_20
	s_branch .LBB228_21
.LBB228_27:
	s_mov_b32 s11, 0
                                        ; implicit-def: $vgpr3
	s_cbranch_execnz .LBB228_30
	s_branch .LBB228_31
.LBB228_28:
	s_mov_b32 s11, -1
                                        ; implicit-def: $vgpr3
.LBB228_29:
	s_branch .LBB228_31
.LBB228_30:
	s_cmp_lg_u32 s5, 0
	s_mov_b32 s10, -1
	s_cselect_b32 s11, -1, 0
.LBB228_31:
	v_max_num_f32_e32 v7, v7, v7
	s_and_not1_b32 vcc_lo, exec_lo, s11
	s_cbranch_vccz .LBB228_40
; %bb.32:
	s_and_not1_b32 vcc_lo, exec_lo, s10
	s_cbranch_vccnz .LBB228_34
.LBB228_33:
	v_max_num_f32_e64 v3, s6, s6
	s_delay_alu instid0(VALU_DEP_1) | instskip(NEXT) | instid1(VALU_DEP_1)
	v_max_num_f32_e32 v3, v7, v3
	v_cvt_f16_f32_e32 v3, v3
.LBB228_34:
	s_or_b32 exec_lo, exec_lo, s4
.LBB228_35:
	s_delay_alu instid0(SALU_CYCLE_1) | instskip(SKIP_2) | instid1(VALU_DEP_1)
	s_or_b32 exec_lo, exec_lo, s3
	v_or_b32_e32 v7, 0x200, v0
	s_mov_b32 s3, exec_lo
	v_cmpx_gt_i32_e64 s2, v7
	s_cbranch_execz .LBB228_49
; %bb.36:
	s_mov_b32 s4, exec_lo
	s_wait_loadcnt 0x0
	v_cmpx_o_f16_e32 v6, v6
	s_cbranch_execz .LBB228_48
; %bb.37:
	v_cvt_f32_f16_e32 v7, v6
	s_cmp_lt_i32 s5, 1
	s_mov_b32 s10, 0
	s_cbranch_scc1 .LBB228_41
; %bb.38:
	s_cmp_eq_u32 s5, 1
	s_cbranch_scc0 .LBB228_42
; %bb.39:
	v_max_num_f32_e64 v6, s6, s6
	v_max_num_f32_e32 v8, v7, v7
	s_mov_b32 s11, 0
	s_delay_alu instid0(VALU_DEP_1) | instskip(NEXT) | instid1(VALU_DEP_1)
	v_min_num_f32_e32 v6, v8, v6
	v_cvt_f16_f32_e32 v6, v6
	s_branch .LBB228_43
.LBB228_40:
	v_max_num_f32_e64 v3, s6, s6
	v_max_num_f32_e64 v8, s7, s7
	s_delay_alu instid0(VALU_DEP_1) | instskip(NEXT) | instid1(VALU_DEP_1)
	v_maxmin_num_f32 v3, v7, v3, v8
	v_cvt_f16_f32_e32 v3, v3
	s_cbranch_execz .LBB228_33
	s_branch .LBB228_34
.LBB228_41:
	s_mov_b32 s11, 0
                                        ; implicit-def: $vgpr6
	s_cbranch_execnz .LBB228_44
	s_branch .LBB228_45
.LBB228_42:
	s_mov_b32 s11, -1
                                        ; implicit-def: $vgpr6
.LBB228_43:
	s_branch .LBB228_45
.LBB228_44:
	s_cmp_lg_u32 s5, 0
	s_mov_b32 s10, -1
	s_cselect_b32 s11, -1, 0
.LBB228_45:
	v_max_num_f32_e32 v7, v7, v7
	s_and_not1_b32 vcc_lo, exec_lo, s11
	s_cbranch_vccz .LBB228_59
; %bb.46:
	s_and_not1_b32 vcc_lo, exec_lo, s10
	s_cbranch_vccnz .LBB228_48
.LBB228_47:
	v_max_num_f32_e64 v6, s6, s6
	s_delay_alu instid0(VALU_DEP_1) | instskip(NEXT) | instid1(VALU_DEP_1)
	v_max_num_f32_e32 v6, v7, v6
	v_cvt_f16_f32_e32 v6, v6
.LBB228_48:
	s_or_b32 exec_lo, exec_lo, s4
.LBB228_49:
	s_delay_alu instid0(SALU_CYCLE_1) | instskip(SKIP_2) | instid1(VALU_DEP_1)
	s_or_b32 exec_lo, exec_lo, s3
	v_or_b32_e32 v7, 0x300, v0
	s_mov_b32 s3, exec_lo
	v_cmpx_gt_i32_e64 s2, v7
	s_cbranch_execnz .LBB228_55
; %bb.50:
	s_or_b32 exec_lo, exec_lo, s3
	s_and_saveexec_b32 s3, s0
	s_delay_alu instid0(SALU_CYCLE_1)
	s_xor_b32 s0, exec_lo, s3
	s_cbranch_execnz .LBB228_68
.LBB228_51:
	s_or_b32 exec_lo, exec_lo, s0
	s_delay_alu instid0(SALU_CYCLE_1)
	s_mov_b32 s0, exec_lo
	v_cmpx_gt_i32_e64 s2, v0
	s_cbranch_execnz .LBB228_69
.LBB228_52:
	s_or_b32 exec_lo, exec_lo, s0
	s_delay_alu instid0(SALU_CYCLE_1)
	s_mov_b32 s0, exec_lo
	v_cmpx_gt_i32_e64 s2, v0
	s_cbranch_execnz .LBB228_70
.LBB228_53:
	s_or_b32 exec_lo, exec_lo, s0
	s_delay_alu instid0(SALU_CYCLE_1)
	s_mov_b32 s0, exec_lo
	v_cmpx_gt_i32_e64 s2, v0
	s_cbranch_execnz .LBB228_71
.LBB228_54:
	s_endpgm
.LBB228_55:
	s_mov_b32 s4, exec_lo
	s_wait_loadcnt 0x0
	v_cmpx_o_f16_e32 v4, v4
	s_cbranch_execz .LBB228_67
; %bb.56:
	v_cvt_f32_f16_e32 v7, v4
	s_cmp_lt_i32 s5, 1
	s_mov_b32 s10, 0
	s_cbranch_scc1 .LBB228_60
; %bb.57:
	s_cmp_eq_u32 s5, 1
	s_cbranch_scc0 .LBB228_61
; %bb.58:
	v_max_num_f32_e64 v4, s6, s6
	v_max_num_f32_e32 v8, v7, v7
	s_mov_b32 s11, 0
	s_delay_alu instid0(VALU_DEP_1) | instskip(NEXT) | instid1(VALU_DEP_1)
	v_min_num_f32_e32 v4, v8, v4
	v_cvt_f16_f32_e32 v4, v4
	s_branch .LBB228_62
.LBB228_59:
	v_max_num_f32_e64 v6, s6, s6
	v_max_num_f32_e64 v8, s7, s7
	s_delay_alu instid0(VALU_DEP_1) | instskip(NEXT) | instid1(VALU_DEP_1)
	v_maxmin_num_f32 v6, v7, v6, v8
	v_cvt_f16_f32_e32 v6, v6
	s_cbranch_execz .LBB228_47
	s_branch .LBB228_48
.LBB228_60:
	s_mov_b32 s11, 0
                                        ; implicit-def: $vgpr4
	s_cbranch_execnz .LBB228_63
	s_branch .LBB228_64
.LBB228_61:
	s_mov_b32 s11, -1
                                        ; implicit-def: $vgpr4
.LBB228_62:
	s_branch .LBB228_64
.LBB228_63:
	s_cmp_lg_u32 s5, 0
	s_mov_b32 s10, -1
	s_cselect_b32 s11, -1, 0
.LBB228_64:
	v_max_num_f32_e64 v8, s6, s6
	v_max_num_f32_e32 v7, v7, v7
	s_and_not1_b32 vcc_lo, exec_lo, s11
	s_cbranch_vccz .LBB228_72
; %bb.65:
	s_and_not1_b32 vcc_lo, exec_lo, s10
	s_cbranch_vccnz .LBB228_67
.LBB228_66:
	v_max_num_f32_e32 v4, v7, v8
	s_delay_alu instid0(VALU_DEP_1)
	v_cvt_f16_f32_e32 v4, v4
.LBB228_67:
	s_or_b32 exec_lo, exec_lo, s4
	s_delay_alu instid0(SALU_CYCLE_1) | instskip(SKIP_1) | instid1(SALU_CYCLE_1)
	s_or_b32 exec_lo, exec_lo, s3
	s_and_saveexec_b32 s3, s0
	s_xor_b32 s0, exec_lo, s3
	s_cbranch_execz .LBB228_51
.LBB228_68:
	v_mov_b32_e32 v0, v1
	s_wait_loadcnt 0x0
	global_store_b16 v2, v5, s[8:9] scale_offset
	s_wait_xcnt 0x0
	s_or_b32 exec_lo, exec_lo, s0
	s_delay_alu instid0(SALU_CYCLE_1)
	s_mov_b32 s0, exec_lo
	v_cmpx_gt_i32_e64 s2, v0
	s_cbranch_execz .LBB228_52
.LBB228_69:
	v_add_nc_u32_e32 v1, 0x100, v0
	s_delay_alu instid0(VALU_DEP_1) | instskip(SKIP_4) | instid1(SALU_CYCLE_1)
	v_dual_add_nc_u32 v2, s1, v0 :: v_dual_mov_b32 v0, v1
	s_wait_loadcnt 0x0
	global_store_b16 v2, v3, s[8:9] scale_offset
	s_wait_xcnt 0x0
	s_or_b32 exec_lo, exec_lo, s0
	s_mov_b32 s0, exec_lo
	v_cmpx_gt_i32_e64 s2, v0
	s_cbranch_execz .LBB228_53
.LBB228_70:
	v_add_nc_u32_e32 v1, 0x100, v0
	s_delay_alu instid0(VALU_DEP_1) | instskip(SKIP_4) | instid1(SALU_CYCLE_1)
	v_dual_add_nc_u32 v2, s1, v0 :: v_dual_mov_b32 v0, v1
	s_wait_loadcnt 0x0
	global_store_b16 v2, v6, s[8:9] scale_offset
	s_wait_xcnt 0x0
	s_or_b32 exec_lo, exec_lo, s0
	s_mov_b32 s0, exec_lo
	v_cmpx_gt_i32_e64 s2, v0
	s_cbranch_execz .LBB228_54
.LBB228_71:
	v_add_nc_u32_e32 v0, s1, v0
	s_wait_loadcnt 0x0
	global_store_b16 v0, v4, s[8:9] scale_offset
	s_endpgm
.LBB228_72:
	v_max_num_f32_e64 v4, s7, s7
	s_delay_alu instid0(VALU_DEP_1) | instskip(NEXT) | instid1(VALU_DEP_1)
	v_maxmin_num_f32 v4, v7, v8, v4
	v_cvt_f16_f32_e32 v4, v4
	s_cbranch_execz .LBB228_66
	s_branch .LBB228_67
	.section	.rodata,"a",@progbits
	.p2align	6, 0x0
	.amdhsa_kernel _ZN2at6native27unrolled_elementwise_kernelIZZZNS0_12_GLOBAL__N_119launch_clamp_scalarERNS_18TensorIteratorBaseEN3c106ScalarES6_NS0_6detail11ClampLimitsEENKUlvE_clEvENKUlvE6_clEvEUlNS5_4HalfEE_St5arrayIPcLm2EELi4E23TrivialOffsetCalculatorILi1EjESH_NS0_6memory15LoadWithoutCastENSI_16StoreWithoutCastEEEviT_T0_T2_T3_T4_T5_
		.amdhsa_group_segment_fixed_size 0
		.amdhsa_private_segment_fixed_size 0
		.amdhsa_kernarg_size 36
		.amdhsa_user_sgpr_count 2
		.amdhsa_user_sgpr_dispatch_ptr 0
		.amdhsa_user_sgpr_queue_ptr 0
		.amdhsa_user_sgpr_kernarg_segment_ptr 1
		.amdhsa_user_sgpr_dispatch_id 0
		.amdhsa_user_sgpr_kernarg_preload_length 0
		.amdhsa_user_sgpr_kernarg_preload_offset 0
		.amdhsa_user_sgpr_private_segment_size 0
		.amdhsa_wavefront_size32 1
		.amdhsa_uses_dynamic_stack 0
		.amdhsa_enable_private_segment 0
		.amdhsa_system_sgpr_workgroup_id_x 1
		.amdhsa_system_sgpr_workgroup_id_y 0
		.amdhsa_system_sgpr_workgroup_id_z 0
		.amdhsa_system_sgpr_workgroup_info 0
		.amdhsa_system_vgpr_workitem_id 0
		.amdhsa_next_free_vgpr 9
		.amdhsa_next_free_sgpr 12
		.amdhsa_named_barrier_count 0
		.amdhsa_reserve_vcc 1
		.amdhsa_float_round_mode_32 0
		.amdhsa_float_round_mode_16_64 0
		.amdhsa_float_denorm_mode_32 3
		.amdhsa_float_denorm_mode_16_64 3
		.amdhsa_fp16_overflow 0
		.amdhsa_memory_ordered 1
		.amdhsa_forward_progress 1
		.amdhsa_inst_pref_size 12
		.amdhsa_round_robin_scheduling 0
		.amdhsa_exception_fp_ieee_invalid_op 0
		.amdhsa_exception_fp_denorm_src 0
		.amdhsa_exception_fp_ieee_div_zero 0
		.amdhsa_exception_fp_ieee_overflow 0
		.amdhsa_exception_fp_ieee_underflow 0
		.amdhsa_exception_fp_ieee_inexact 0
		.amdhsa_exception_int_div_zero 0
	.end_amdhsa_kernel
	.section	.text._ZN2at6native27unrolled_elementwise_kernelIZZZNS0_12_GLOBAL__N_119launch_clamp_scalarERNS_18TensorIteratorBaseEN3c106ScalarES6_NS0_6detail11ClampLimitsEENKUlvE_clEvENKUlvE6_clEvEUlNS5_4HalfEE_St5arrayIPcLm2EELi4E23TrivialOffsetCalculatorILi1EjESH_NS0_6memory15LoadWithoutCastENSI_16StoreWithoutCastEEEviT_T0_T2_T3_T4_T5_,"axG",@progbits,_ZN2at6native27unrolled_elementwise_kernelIZZZNS0_12_GLOBAL__N_119launch_clamp_scalarERNS_18TensorIteratorBaseEN3c106ScalarES6_NS0_6detail11ClampLimitsEENKUlvE_clEvENKUlvE6_clEvEUlNS5_4HalfEE_St5arrayIPcLm2EELi4E23TrivialOffsetCalculatorILi1EjESH_NS0_6memory15LoadWithoutCastENSI_16StoreWithoutCastEEEviT_T0_T2_T3_T4_T5_,comdat
.Lfunc_end228:
	.size	_ZN2at6native27unrolled_elementwise_kernelIZZZNS0_12_GLOBAL__N_119launch_clamp_scalarERNS_18TensorIteratorBaseEN3c106ScalarES6_NS0_6detail11ClampLimitsEENKUlvE_clEvENKUlvE6_clEvEUlNS5_4HalfEE_St5arrayIPcLm2EELi4E23TrivialOffsetCalculatorILi1EjESH_NS0_6memory15LoadWithoutCastENSI_16StoreWithoutCastEEEviT_T0_T2_T3_T4_T5_, .Lfunc_end228-_ZN2at6native27unrolled_elementwise_kernelIZZZNS0_12_GLOBAL__N_119launch_clamp_scalarERNS_18TensorIteratorBaseEN3c106ScalarES6_NS0_6detail11ClampLimitsEENKUlvE_clEvENKUlvE6_clEvEUlNS5_4HalfEE_St5arrayIPcLm2EELi4E23TrivialOffsetCalculatorILi1EjESH_NS0_6memory15LoadWithoutCastENSI_16StoreWithoutCastEEEviT_T0_T2_T3_T4_T5_
                                        ; -- End function
	.set _ZN2at6native27unrolled_elementwise_kernelIZZZNS0_12_GLOBAL__N_119launch_clamp_scalarERNS_18TensorIteratorBaseEN3c106ScalarES6_NS0_6detail11ClampLimitsEENKUlvE_clEvENKUlvE6_clEvEUlNS5_4HalfEE_St5arrayIPcLm2EELi4E23TrivialOffsetCalculatorILi1EjESH_NS0_6memory15LoadWithoutCastENSI_16StoreWithoutCastEEEviT_T0_T2_T3_T4_T5_.num_vgpr, 9
	.set _ZN2at6native27unrolled_elementwise_kernelIZZZNS0_12_GLOBAL__N_119launch_clamp_scalarERNS_18TensorIteratorBaseEN3c106ScalarES6_NS0_6detail11ClampLimitsEENKUlvE_clEvENKUlvE6_clEvEUlNS5_4HalfEE_St5arrayIPcLm2EELi4E23TrivialOffsetCalculatorILi1EjESH_NS0_6memory15LoadWithoutCastENSI_16StoreWithoutCastEEEviT_T0_T2_T3_T4_T5_.num_agpr, 0
	.set _ZN2at6native27unrolled_elementwise_kernelIZZZNS0_12_GLOBAL__N_119launch_clamp_scalarERNS_18TensorIteratorBaseEN3c106ScalarES6_NS0_6detail11ClampLimitsEENKUlvE_clEvENKUlvE6_clEvEUlNS5_4HalfEE_St5arrayIPcLm2EELi4E23TrivialOffsetCalculatorILi1EjESH_NS0_6memory15LoadWithoutCastENSI_16StoreWithoutCastEEEviT_T0_T2_T3_T4_T5_.numbered_sgpr, 12
	.set _ZN2at6native27unrolled_elementwise_kernelIZZZNS0_12_GLOBAL__N_119launch_clamp_scalarERNS_18TensorIteratorBaseEN3c106ScalarES6_NS0_6detail11ClampLimitsEENKUlvE_clEvENKUlvE6_clEvEUlNS5_4HalfEE_St5arrayIPcLm2EELi4E23TrivialOffsetCalculatorILi1EjESH_NS0_6memory15LoadWithoutCastENSI_16StoreWithoutCastEEEviT_T0_T2_T3_T4_T5_.num_named_barrier, 0
	.set _ZN2at6native27unrolled_elementwise_kernelIZZZNS0_12_GLOBAL__N_119launch_clamp_scalarERNS_18TensorIteratorBaseEN3c106ScalarES6_NS0_6detail11ClampLimitsEENKUlvE_clEvENKUlvE6_clEvEUlNS5_4HalfEE_St5arrayIPcLm2EELi4E23TrivialOffsetCalculatorILi1EjESH_NS0_6memory15LoadWithoutCastENSI_16StoreWithoutCastEEEviT_T0_T2_T3_T4_T5_.private_seg_size, 0
	.set _ZN2at6native27unrolled_elementwise_kernelIZZZNS0_12_GLOBAL__N_119launch_clamp_scalarERNS_18TensorIteratorBaseEN3c106ScalarES6_NS0_6detail11ClampLimitsEENKUlvE_clEvENKUlvE6_clEvEUlNS5_4HalfEE_St5arrayIPcLm2EELi4E23TrivialOffsetCalculatorILi1EjESH_NS0_6memory15LoadWithoutCastENSI_16StoreWithoutCastEEEviT_T0_T2_T3_T4_T5_.uses_vcc, 1
	.set _ZN2at6native27unrolled_elementwise_kernelIZZZNS0_12_GLOBAL__N_119launch_clamp_scalarERNS_18TensorIteratorBaseEN3c106ScalarES6_NS0_6detail11ClampLimitsEENKUlvE_clEvENKUlvE6_clEvEUlNS5_4HalfEE_St5arrayIPcLm2EELi4E23TrivialOffsetCalculatorILi1EjESH_NS0_6memory15LoadWithoutCastENSI_16StoreWithoutCastEEEviT_T0_T2_T3_T4_T5_.uses_flat_scratch, 0
	.set _ZN2at6native27unrolled_elementwise_kernelIZZZNS0_12_GLOBAL__N_119launch_clamp_scalarERNS_18TensorIteratorBaseEN3c106ScalarES6_NS0_6detail11ClampLimitsEENKUlvE_clEvENKUlvE6_clEvEUlNS5_4HalfEE_St5arrayIPcLm2EELi4E23TrivialOffsetCalculatorILi1EjESH_NS0_6memory15LoadWithoutCastENSI_16StoreWithoutCastEEEviT_T0_T2_T3_T4_T5_.has_dyn_sized_stack, 0
	.set _ZN2at6native27unrolled_elementwise_kernelIZZZNS0_12_GLOBAL__N_119launch_clamp_scalarERNS_18TensorIteratorBaseEN3c106ScalarES6_NS0_6detail11ClampLimitsEENKUlvE_clEvENKUlvE6_clEvEUlNS5_4HalfEE_St5arrayIPcLm2EELi4E23TrivialOffsetCalculatorILi1EjESH_NS0_6memory15LoadWithoutCastENSI_16StoreWithoutCastEEEviT_T0_T2_T3_T4_T5_.has_recursion, 0
	.set _ZN2at6native27unrolled_elementwise_kernelIZZZNS0_12_GLOBAL__N_119launch_clamp_scalarERNS_18TensorIteratorBaseEN3c106ScalarES6_NS0_6detail11ClampLimitsEENKUlvE_clEvENKUlvE6_clEvEUlNS5_4HalfEE_St5arrayIPcLm2EELi4E23TrivialOffsetCalculatorILi1EjESH_NS0_6memory15LoadWithoutCastENSI_16StoreWithoutCastEEEviT_T0_T2_T3_T4_T5_.has_indirect_call, 0
	.section	.AMDGPU.csdata,"",@progbits
; Kernel info:
; codeLenInByte = 1512
; TotalNumSgprs: 14
; NumVgprs: 9
; ScratchSize: 0
; MemoryBound: 0
; FloatMode: 240
; IeeeMode: 1
; LDSByteSize: 0 bytes/workgroup (compile time only)
; SGPRBlocks: 0
; VGPRBlocks: 0
; NumSGPRsForWavesPerEU: 14
; NumVGPRsForWavesPerEU: 9
; NamedBarCnt: 0
; Occupancy: 16
; WaveLimiterHint : 0
; COMPUTE_PGM_RSRC2:SCRATCH_EN: 0
; COMPUTE_PGM_RSRC2:USER_SGPR: 2
; COMPUTE_PGM_RSRC2:TRAP_HANDLER: 0
; COMPUTE_PGM_RSRC2:TGID_X_EN: 1
; COMPUTE_PGM_RSRC2:TGID_Y_EN: 0
; COMPUTE_PGM_RSRC2:TGID_Z_EN: 0
; COMPUTE_PGM_RSRC2:TIDIG_COMP_CNT: 0
	.section	.text._ZN2at6native32elementwise_kernel_manual_unrollILi128ELi8EZNS0_22gpu_kernel_impl_nocastIZZZNS0_12_GLOBAL__N_119launch_clamp_scalarERNS_18TensorIteratorBaseEN3c106ScalarES7_NS0_6detail11ClampLimitsEENKUlvE_clEvENKUlvE6_clEvEUlNS6_4HalfEE_EEvS5_RKT_EUlibE_EEviT1_,"axG",@progbits,_ZN2at6native32elementwise_kernel_manual_unrollILi128ELi8EZNS0_22gpu_kernel_impl_nocastIZZZNS0_12_GLOBAL__N_119launch_clamp_scalarERNS_18TensorIteratorBaseEN3c106ScalarES7_NS0_6detail11ClampLimitsEENKUlvE_clEvENKUlvE6_clEvEUlNS6_4HalfEE_EEvS5_RKT_EUlibE_EEviT1_,comdat
	.globl	_ZN2at6native32elementwise_kernel_manual_unrollILi128ELi8EZNS0_22gpu_kernel_impl_nocastIZZZNS0_12_GLOBAL__N_119launch_clamp_scalarERNS_18TensorIteratorBaseEN3c106ScalarES7_NS0_6detail11ClampLimitsEENKUlvE_clEvENKUlvE6_clEvEUlNS6_4HalfEE_EEvS5_RKT_EUlibE_EEviT1_ ; -- Begin function _ZN2at6native32elementwise_kernel_manual_unrollILi128ELi8EZNS0_22gpu_kernel_impl_nocastIZZZNS0_12_GLOBAL__N_119launch_clamp_scalarERNS_18TensorIteratorBaseEN3c106ScalarES7_NS0_6detail11ClampLimitsEENKUlvE_clEvENKUlvE6_clEvEUlNS6_4HalfEE_EEvS5_RKT_EUlibE_EEviT1_
	.p2align	8
	.type	_ZN2at6native32elementwise_kernel_manual_unrollILi128ELi8EZNS0_22gpu_kernel_impl_nocastIZZZNS0_12_GLOBAL__N_119launch_clamp_scalarERNS_18TensorIteratorBaseEN3c106ScalarES7_NS0_6detail11ClampLimitsEENKUlvE_clEvENKUlvE6_clEvEUlNS6_4HalfEE_EEvS5_RKT_EUlibE_EEviT1_,@function
_ZN2at6native32elementwise_kernel_manual_unrollILi128ELi8EZNS0_22gpu_kernel_impl_nocastIZZZNS0_12_GLOBAL__N_119launch_clamp_scalarERNS_18TensorIteratorBaseEN3c106ScalarES7_NS0_6detail11ClampLimitsEENKUlvE_clEvENKUlvE6_clEvEUlNS6_4HalfEE_EEvS5_RKT_EUlibE_EEviT1_: ; @_ZN2at6native32elementwise_kernel_manual_unrollILi128ELi8EZNS0_22gpu_kernel_impl_nocastIZZZNS0_12_GLOBAL__N_119launch_clamp_scalarERNS_18TensorIteratorBaseEN3c106ScalarES7_NS0_6detail11ClampLimitsEENKUlvE_clEvENKUlvE6_clEvEUlNS6_4HalfEE_EEvS5_RKT_EUlibE_EEviT1_
; %bb.0:
	s_clause 0x1
	s_load_b32 s15, s[0:1], 0x8
	s_load_b32 s37, s[0:1], 0x0
	s_bfe_u32 s2, ttmp6, 0x4000c
	s_and_b32 s3, ttmp6, 15
	s_add_co_i32 s2, s2, 1
	s_getreg_b32 s4, hwreg(HW_REG_IB_STS2, 6, 4)
	s_mul_i32 s2, ttmp9, s2
	s_add_nc_u64 s[16:17], s[0:1], 8
	s_add_co_i32 s3, s3, s2
	s_cmp_eq_u32 s4, 0
	s_mov_b32 s21, 0
	s_cselect_b32 s2, ttmp9, s3
	s_wait_xcnt 0x0
	s_mov_b32 s0, exec_lo
	v_lshl_or_b32 v0, s2, 10, v0
	s_delay_alu instid0(VALU_DEP_1) | instskip(SKIP_2) | instid1(SALU_CYCLE_1)
	v_or_b32_e32 v16, 0x380, v0
	s_wait_kmcnt 0x0
	s_add_co_i32 s33, s15, -1
	s_cmp_gt_u32 s33, 1
	s_cselect_b32 s34, -1, 0
	v_cmpx_le_i32_e64 s37, v16
	s_xor_b32 s35, exec_lo, s0
	s_cbranch_execz .LBB229_7
; %bb.1:
	s_clause 0x4
	s_load_b128 s[4:7], s[16:17], 0x4
	s_load_b64 s[18:19], s[16:17], 0x14
	s_load_b128 s[8:11], s[16:17], 0xc4
	s_load_b128 s[0:3], s[16:17], 0x148
	s_load_b96 s[12:14], s[16:17], 0x158
	s_cmp_lg_u32 s15, 0
	s_add_nc_u64 s[24:25], s[16:17], 0xc4
	s_cselect_b32 s39, -1, 0
	s_min_u32 s38, s33, 15
	s_cmp_gt_u32 s15, 1
	s_mov_b32 s23, s21
	s_cselect_b32 s36, -1, 0
	s_wait_kmcnt 0x0
	s_mov_b32 s20, s5
	s_mov_b32 s22, s18
	s_mov_b32 s5, exec_lo
	v_cmpx_gt_i32_e64 s37, v0
	s_cbranch_execz .LBB229_14
; %bb.2:
	s_and_not1_b32 vcc_lo, exec_lo, s34
	s_cbranch_vccnz .LBB229_21
; %bb.3:
	s_and_not1_b32 vcc_lo, exec_lo, s39
	s_cbranch_vccnz .LBB229_217
; %bb.4:
	s_add_co_i32 s18, s38, 1
	s_cmp_eq_u32 s33, 2
	s_cbranch_scc1 .LBB229_219
; %bb.5:
	v_dual_mov_b32 v2, 0 :: v_dual_mov_b32 v3, 0
	v_mov_b32_e32 v1, v0
	s_and_b32 s26, s18, 28
	s_mov_b32 s27, 0
	s_mov_b64 s[28:29], s[16:17]
	s_mov_b64 s[30:31], s[24:25]
.LBB229_6:                              ; =>This Inner Loop Header: Depth=1
	s_clause 0x1
	s_load_b256 s[40:47], s[28:29], 0x4
	s_load_b128 s[56:59], s[28:29], 0x24
	s_load_b256 s[48:55], s[30:31], 0x0
	s_add_co_i32 s27, s27, 4
	s_wait_xcnt 0x0
	s_add_nc_u64 s[28:29], s[28:29], 48
	s_cmp_lg_u32 s26, s27
	s_add_nc_u64 s[30:31], s[30:31], 32
	s_wait_kmcnt 0x0
	v_mul_hi_u32 v4, s41, v1
	s_delay_alu instid0(VALU_DEP_1) | instskip(NEXT) | instid1(VALU_DEP_1)
	v_add_nc_u32_e32 v4, v1, v4
	v_lshrrev_b32_e32 v4, s42, v4
	s_delay_alu instid0(VALU_DEP_1) | instskip(NEXT) | instid1(VALU_DEP_1)
	v_mul_hi_u32 v5, s44, v4
	v_add_nc_u32_e32 v5, v4, v5
	s_delay_alu instid0(VALU_DEP_1) | instskip(NEXT) | instid1(VALU_DEP_1)
	v_lshrrev_b32_e32 v5, s45, v5
	v_mul_hi_u32 v6, s47, v5
	s_delay_alu instid0(VALU_DEP_1) | instskip(SKIP_1) | instid1(VALU_DEP_1)
	v_add_nc_u32_e32 v6, v5, v6
	v_mul_lo_u32 v7, v4, s40
	v_sub_nc_u32_e32 v1, v1, v7
	v_mul_lo_u32 v7, v5, s43
	s_delay_alu instid0(VALU_DEP_4) | instskip(NEXT) | instid1(VALU_DEP_3)
	v_lshrrev_b32_e32 v6, s56, v6
	v_mad_u32 v3, v1, s49, v3
	v_mad_u32 v1, v1, s48, v2
	s_delay_alu instid0(VALU_DEP_4) | instskip(NEXT) | instid1(VALU_DEP_4)
	v_sub_nc_u32_e32 v2, v4, v7
	v_mul_hi_u32 v8, s58, v6
	v_mul_lo_u32 v4, v6, s46
	s_delay_alu instid0(VALU_DEP_3) | instskip(SKIP_1) | instid1(VALU_DEP_4)
	v_mad_u32 v3, v2, s51, v3
	v_mad_u32 v2, v2, s50, v1
	v_add_nc_u32_e32 v7, v6, v8
	s_delay_alu instid0(VALU_DEP_1) | instskip(NEXT) | instid1(VALU_DEP_1)
	v_dual_sub_nc_u32 v4, v5, v4 :: v_dual_lshrrev_b32 v1, s59, v7
	v_mad_u32 v3, v4, s53, v3
	s_delay_alu instid0(VALU_DEP_4) | instskip(NEXT) | instid1(VALU_DEP_3)
	v_mad_u32 v2, v4, s52, v2
	v_mul_lo_u32 v5, v1, s57
	s_delay_alu instid0(VALU_DEP_1) | instskip(NEXT) | instid1(VALU_DEP_1)
	v_sub_nc_u32_e32 v4, v6, v5
	v_mad_u32 v3, v4, s55, v3
	s_delay_alu instid0(VALU_DEP_4)
	v_mad_u32 v2, v4, s54, v2
	s_cbranch_scc1 .LBB229_6
	s_branch .LBB229_220
.LBB229_7:
	s_and_not1_saveexec_b32 s0, s35
	s_cbranch_execz .LBB229_393
.LBB229_8:
	v_cndmask_b32_e64 v14, 0, 1, s34
	s_and_not1_b32 vcc_lo, exec_lo, s34
	s_cbranch_vccnz .LBB229_20
; %bb.9:
	s_cmp_lg_u32 s15, 0
	s_mov_b32 s6, 0
	s_cbranch_scc0 .LBB229_23
; %bb.10:
	s_min_u32 s1, s33, 15
	s_delay_alu instid0(SALU_CYCLE_1)
	s_add_co_i32 s1, s1, 1
	s_cmp_eq_u32 s33, 2
	s_cbranch_scc1 .LBB229_24
; %bb.11:
	v_dual_mov_b32 v2, 0 :: v_dual_mov_b32 v3, 0
	v_mov_b32_e32 v1, v0
	s_and_b32 s0, s1, 28
	s_add_nc_u64 s[2:3], s[16:17], 0xc4
	s_mov_b32 s7, 0
	s_mov_b64 s[4:5], s[16:17]
.LBB229_12:                             ; =>This Inner Loop Header: Depth=1
	s_clause 0x1
	s_load_b256 s[20:27], s[4:5], 0x4
	s_load_b128 s[8:11], s[4:5], 0x24
	s_load_b256 s[36:43], s[2:3], 0x0
	s_add_co_i32 s7, s7, 4
	s_wait_xcnt 0x0
	s_add_nc_u64 s[4:5], s[4:5], 48
	s_cmp_lg_u32 s0, s7
	s_add_nc_u64 s[2:3], s[2:3], 32
	s_wait_kmcnt 0x0
	v_mul_hi_u32 v4, s21, v1
	s_delay_alu instid0(VALU_DEP_1) | instskip(NEXT) | instid1(VALU_DEP_1)
	v_add_nc_u32_e32 v4, v1, v4
	v_lshrrev_b32_e32 v4, s22, v4
	s_delay_alu instid0(VALU_DEP_1) | instskip(NEXT) | instid1(VALU_DEP_1)
	v_mul_hi_u32 v5, s24, v4
	v_add_nc_u32_e32 v5, v4, v5
	s_delay_alu instid0(VALU_DEP_1) | instskip(NEXT) | instid1(VALU_DEP_1)
	v_lshrrev_b32_e32 v5, s25, v5
	v_mul_hi_u32 v6, s27, v5
	s_delay_alu instid0(VALU_DEP_1) | instskip(SKIP_1) | instid1(VALU_DEP_1)
	v_add_nc_u32_e32 v6, v5, v6
	v_mul_lo_u32 v7, v4, s20
	v_sub_nc_u32_e32 v1, v1, v7
	v_mul_lo_u32 v7, v5, s23
	s_delay_alu instid0(VALU_DEP_4) | instskip(NEXT) | instid1(VALU_DEP_3)
	v_lshrrev_b32_e32 v6, s8, v6
	v_mad_u32 v3, v1, s37, v3
	v_mad_u32 v1, v1, s36, v2
	s_delay_alu instid0(VALU_DEP_4) | instskip(NEXT) | instid1(VALU_DEP_4)
	v_sub_nc_u32_e32 v2, v4, v7
	v_mul_hi_u32 v8, s10, v6
	v_mul_lo_u32 v4, v6, s26
	s_delay_alu instid0(VALU_DEP_3) | instskip(SKIP_1) | instid1(VALU_DEP_4)
	v_mad_u32 v3, v2, s39, v3
	v_mad_u32 v2, v2, s38, v1
	v_add_nc_u32_e32 v7, v6, v8
	s_delay_alu instid0(VALU_DEP_1) | instskip(NEXT) | instid1(VALU_DEP_1)
	v_dual_sub_nc_u32 v4, v5, v4 :: v_dual_lshrrev_b32 v1, s11, v7
	v_mad_u32 v3, v4, s41, v3
	s_delay_alu instid0(VALU_DEP_4) | instskip(NEXT) | instid1(VALU_DEP_3)
	v_mad_u32 v2, v4, s40, v2
	v_mul_lo_u32 v5, v1, s9
	s_delay_alu instid0(VALU_DEP_1) | instskip(NEXT) | instid1(VALU_DEP_1)
	v_sub_nc_u32_e32 v4, v6, v5
	v_mad_u32 v3, v4, s43, v3
	s_delay_alu instid0(VALU_DEP_4)
	v_mad_u32 v2, v4, s42, v2
	s_cbranch_scc1 .LBB229_12
; %bb.13:
	s_and_b32 s4, s1, 3
	s_mov_b32 s1, 0
	s_cmp_eq_u32 s4, 0
	s_cbranch_scc0 .LBB229_25
	s_branch .LBB229_27
.LBB229_14:
	s_or_b32 exec_lo, exec_lo, s5
	s_delay_alu instid0(SALU_CYCLE_1)
	s_mov_b32 s5, exec_lo
	v_cmpx_gt_i32_e64 s37, v0
	s_cbranch_execz .LBB229_251
.LBB229_15:
	s_and_not1_b32 vcc_lo, exec_lo, s34
	s_cbranch_vccnz .LBB229_22
; %bb.16:
	s_and_not1_b32 vcc_lo, exec_lo, s39
	s_cbranch_vccnz .LBB229_218
; %bb.17:
	s_add_co_i32 s18, s38, 1
	s_cmp_eq_u32 s33, 2
	s_cbranch_scc1 .LBB229_231
; %bb.18:
	v_dual_mov_b32 v2, 0 :: v_dual_mov_b32 v3, 0
	v_mov_b32_e32 v1, v0
	s_and_b32 s26, s18, 28
	s_mov_b32 s27, 0
	s_mov_b64 s[28:29], s[16:17]
	s_mov_b64 s[30:31], s[24:25]
.LBB229_19:                             ; =>This Inner Loop Header: Depth=1
	s_clause 0x1
	s_load_b256 s[40:47], s[28:29], 0x4
	s_load_b128 s[56:59], s[28:29], 0x24
	s_load_b256 s[48:55], s[30:31], 0x0
	s_add_co_i32 s27, s27, 4
	s_wait_xcnt 0x0
	s_add_nc_u64 s[28:29], s[28:29], 48
	s_cmp_eq_u32 s26, s27
	s_add_nc_u64 s[30:31], s[30:31], 32
	s_wait_kmcnt 0x0
	v_mul_hi_u32 v4, s41, v1
	s_delay_alu instid0(VALU_DEP_1) | instskip(NEXT) | instid1(VALU_DEP_1)
	v_add_nc_u32_e32 v4, v1, v4
	v_lshrrev_b32_e32 v4, s42, v4
	s_delay_alu instid0(VALU_DEP_1) | instskip(NEXT) | instid1(VALU_DEP_1)
	v_mul_hi_u32 v5, s44, v4
	v_add_nc_u32_e32 v5, v4, v5
	s_delay_alu instid0(VALU_DEP_1) | instskip(NEXT) | instid1(VALU_DEP_1)
	v_lshrrev_b32_e32 v5, s45, v5
	v_mul_hi_u32 v6, s47, v5
	s_delay_alu instid0(VALU_DEP_1) | instskip(SKIP_1) | instid1(VALU_DEP_1)
	v_add_nc_u32_e32 v6, v5, v6
	v_mul_lo_u32 v7, v4, s40
	v_sub_nc_u32_e32 v1, v1, v7
	v_mul_lo_u32 v7, v5, s43
	s_delay_alu instid0(VALU_DEP_4) | instskip(NEXT) | instid1(VALU_DEP_3)
	v_lshrrev_b32_e32 v6, s56, v6
	v_mad_u32 v3, v1, s49, v3
	v_mad_u32 v1, v1, s48, v2
	s_delay_alu instid0(VALU_DEP_4) | instskip(NEXT) | instid1(VALU_DEP_4)
	v_sub_nc_u32_e32 v2, v4, v7
	v_mul_hi_u32 v8, s58, v6
	v_mul_lo_u32 v4, v6, s46
	s_delay_alu instid0(VALU_DEP_3) | instskip(SKIP_1) | instid1(VALU_DEP_4)
	v_mad_u32 v3, v2, s51, v3
	v_mad_u32 v2, v2, s50, v1
	v_add_nc_u32_e32 v7, v6, v8
	s_delay_alu instid0(VALU_DEP_1) | instskip(NEXT) | instid1(VALU_DEP_1)
	v_dual_sub_nc_u32 v4, v5, v4 :: v_dual_lshrrev_b32 v1, s59, v7
	v_mad_u32 v3, v4, s53, v3
	s_delay_alu instid0(VALU_DEP_4) | instskip(NEXT) | instid1(VALU_DEP_3)
	v_mad_u32 v2, v4, s52, v2
	v_mul_lo_u32 v5, v1, s57
	s_delay_alu instid0(VALU_DEP_1) | instskip(NEXT) | instid1(VALU_DEP_1)
	v_sub_nc_u32_e32 v4, v6, v5
	v_mad_u32 v3, v4, s55, v3
	s_delay_alu instid0(VALU_DEP_4)
	v_mad_u32 v2, v4, s54, v2
	s_cbranch_scc0 .LBB229_19
	s_branch .LBB229_232
.LBB229_20:
	s_mov_b32 s6, -1
                                        ; implicit-def: $vgpr3
	s_branch .LBB229_27
.LBB229_21:
                                        ; implicit-def: $vgpr3
	s_branch .LBB229_224
.LBB229_22:
                                        ; implicit-def: $vgpr3
	s_branch .LBB229_236
.LBB229_23:
	v_dual_mov_b32 v3, 0 :: v_dual_mov_b32 v2, 0
	s_branch .LBB229_27
.LBB229_24:
	v_mov_b64_e32 v[2:3], 0
	v_mov_b32_e32 v1, v0
	s_mov_b32 s0, 0
	s_and_b32 s4, s1, 3
	s_mov_b32 s1, 0
	s_cmp_eq_u32 s4, 0
	s_cbranch_scc1 .LBB229_27
.LBB229_25:
	s_lshl_b32 s2, s0, 3
	s_mov_b32 s3, s1
	s_mul_u64 s[8:9], s[0:1], 12
	s_add_nc_u64 s[2:3], s[16:17], s[2:3]
	s_delay_alu instid0(SALU_CYCLE_1)
	s_add_nc_u64 s[0:1], s[2:3], 0xc4
	s_add_nc_u64 s[2:3], s[16:17], s[8:9]
.LBB229_26:                             ; =>This Inner Loop Header: Depth=1
	s_load_b96 s[8:10], s[2:3], 0x4
	s_add_co_i32 s4, s4, -1
	s_wait_xcnt 0x0
	s_add_nc_u64 s[2:3], s[2:3], 12
	s_cmp_lg_u32 s4, 0
	s_wait_kmcnt 0x0
	v_mul_hi_u32 v4, s9, v1
	s_delay_alu instid0(VALU_DEP_1) | instskip(NEXT) | instid1(VALU_DEP_1)
	v_add_nc_u32_e32 v4, v1, v4
	v_lshrrev_b32_e32 v4, s10, v4
	s_load_b64 s[10:11], s[0:1], 0x0
	s_wait_xcnt 0x0
	s_add_nc_u64 s[0:1], s[0:1], 8
	s_delay_alu instid0(VALU_DEP_1) | instskip(NEXT) | instid1(VALU_DEP_1)
	v_mul_lo_u32 v5, v4, s8
	v_sub_nc_u32_e32 v1, v1, v5
	s_wait_kmcnt 0x0
	s_delay_alu instid0(VALU_DEP_1)
	v_mad_u32 v3, v1, s11, v3
	v_mad_u32 v2, v1, s10, v2
	v_mov_b32_e32 v1, v4
	s_cbranch_scc1 .LBB229_26
.LBB229_27:
	s_and_not1_b32 vcc_lo, exec_lo, s6
	s_cbranch_vccnz .LBB229_30
; %bb.28:
	s_clause 0x1
	s_load_b96 s[0:2], s[16:17], 0x4
	s_load_b64 s[4:5], s[16:17], 0xc4
	s_cmp_lt_u32 s15, 2
	s_wait_kmcnt 0x0
	v_mul_hi_u32 v1, s1, v0
	s_delay_alu instid0(VALU_DEP_1) | instskip(NEXT) | instid1(VALU_DEP_1)
	v_add_nc_u32_e32 v1, v0, v1
	v_lshrrev_b32_e32 v1, s2, v1
	s_delay_alu instid0(VALU_DEP_1) | instskip(NEXT) | instid1(VALU_DEP_1)
	v_mul_lo_u32 v2, v1, s0
	v_sub_nc_u32_e32 v2, v0, v2
	s_delay_alu instid0(VALU_DEP_1)
	v_mul_lo_u32 v3, v2, s5
	v_mul_lo_u32 v2, v2, s4
	s_cbranch_scc1 .LBB229_30
; %bb.29:
	s_clause 0x1
	s_load_b96 s[0:2], s[16:17], 0x10
	s_load_b64 s[4:5], s[16:17], 0xcc
	s_wait_kmcnt 0x0
	v_mul_hi_u32 v4, s1, v1
	s_delay_alu instid0(VALU_DEP_1) | instskip(NEXT) | instid1(VALU_DEP_1)
	v_add_nc_u32_e32 v4, v1, v4
	v_lshrrev_b32_e32 v4, s2, v4
	s_delay_alu instid0(VALU_DEP_1) | instskip(NEXT) | instid1(VALU_DEP_1)
	v_mul_lo_u32 v4, v4, s0
	v_sub_nc_u32_e32 v1, v1, v4
	s_delay_alu instid0(VALU_DEP_1)
	v_mad_u32 v2, v1, s4, v2
	v_mad_u32 v3, v1, s5, v3
.LBB229_30:
	v_cmp_ne_u32_e32 vcc_lo, 1, v14
	v_add_nc_u32_e32 v1, 0x80, v0
	s_cbranch_vccnz .LBB229_36
; %bb.31:
	s_cmp_lg_u32 s15, 0
	s_mov_b32 s6, 0
	s_cbranch_scc0 .LBB229_37
; %bb.32:
	s_min_u32 s1, s33, 15
	s_delay_alu instid0(SALU_CYCLE_1)
	s_add_co_i32 s1, s1, 1
	s_cmp_eq_u32 s33, 2
	s_cbranch_scc1 .LBB229_38
; %bb.33:
	v_dual_mov_b32 v4, 0 :: v_dual_mov_b32 v5, 0
	v_mov_b32_e32 v6, v1
	s_and_b32 s0, s1, 28
	s_add_nc_u64 s[2:3], s[16:17], 0xc4
	s_mov_b32 s7, 0
	s_mov_b64 s[4:5], s[16:17]
.LBB229_34:                             ; =>This Inner Loop Header: Depth=1
	s_clause 0x1
	s_load_b256 s[20:27], s[4:5], 0x4
	s_load_b128 s[8:11], s[4:5], 0x24
	s_load_b256 s[36:43], s[2:3], 0x0
	s_add_co_i32 s7, s7, 4
	s_wait_xcnt 0x0
	s_add_nc_u64 s[4:5], s[4:5], 48
	s_cmp_lg_u32 s0, s7
	s_add_nc_u64 s[2:3], s[2:3], 32
	s_wait_kmcnt 0x0
	v_mul_hi_u32 v7, s21, v6
	s_delay_alu instid0(VALU_DEP_1) | instskip(NEXT) | instid1(VALU_DEP_1)
	v_add_nc_u32_e32 v7, v6, v7
	v_lshrrev_b32_e32 v7, s22, v7
	s_delay_alu instid0(VALU_DEP_1) | instskip(NEXT) | instid1(VALU_DEP_1)
	v_mul_hi_u32 v8, s24, v7
	v_add_nc_u32_e32 v8, v7, v8
	s_delay_alu instid0(VALU_DEP_1) | instskip(NEXT) | instid1(VALU_DEP_1)
	v_lshrrev_b32_e32 v8, s25, v8
	v_mul_hi_u32 v9, s27, v8
	s_delay_alu instid0(VALU_DEP_1) | instskip(SKIP_1) | instid1(VALU_DEP_1)
	v_add_nc_u32_e32 v9, v8, v9
	v_mul_lo_u32 v10, v7, s20
	v_sub_nc_u32_e32 v6, v6, v10
	v_mul_lo_u32 v10, v8, s23
	s_delay_alu instid0(VALU_DEP_4) | instskip(NEXT) | instid1(VALU_DEP_3)
	v_lshrrev_b32_e32 v9, s8, v9
	v_mad_u32 v5, v6, s37, v5
	v_mad_u32 v4, v6, s36, v4
	s_delay_alu instid0(VALU_DEP_4) | instskip(NEXT) | instid1(VALU_DEP_4)
	v_sub_nc_u32_e32 v6, v7, v10
	v_mul_hi_u32 v11, s10, v9
	v_mul_lo_u32 v7, v9, s26
	s_delay_alu instid0(VALU_DEP_3) | instskip(SKIP_1) | instid1(VALU_DEP_4)
	v_mad_u32 v5, v6, s39, v5
	v_mad_u32 v4, v6, s38, v4
	v_add_nc_u32_e32 v10, v9, v11
	s_delay_alu instid0(VALU_DEP_1) | instskip(NEXT) | instid1(VALU_DEP_1)
	v_dual_sub_nc_u32 v7, v8, v7 :: v_dual_lshrrev_b32 v6, s11, v10
	v_mad_u32 v5, v7, s41, v5
	s_delay_alu instid0(VALU_DEP_4) | instskip(NEXT) | instid1(VALU_DEP_3)
	v_mad_u32 v4, v7, s40, v4
	v_mul_lo_u32 v8, v6, s9
	s_delay_alu instid0(VALU_DEP_1) | instskip(NEXT) | instid1(VALU_DEP_1)
	v_sub_nc_u32_e32 v7, v9, v8
	v_mad_u32 v5, v7, s43, v5
	s_delay_alu instid0(VALU_DEP_4)
	v_mad_u32 v4, v7, s42, v4
	s_cbranch_scc1 .LBB229_34
; %bb.35:
	s_and_b32 s4, s1, 3
	s_mov_b32 s1, 0
	s_cmp_eq_u32 s4, 0
	s_cbranch_scc0 .LBB229_39
	s_branch .LBB229_41
.LBB229_36:
	s_mov_b32 s6, -1
                                        ; implicit-def: $vgpr5
	s_branch .LBB229_41
.LBB229_37:
	v_dual_mov_b32 v5, 0 :: v_dual_mov_b32 v4, 0
	s_branch .LBB229_41
.LBB229_38:
	v_mov_b64_e32 v[4:5], 0
	v_mov_b32_e32 v6, v1
	s_mov_b32 s0, 0
	s_and_b32 s4, s1, 3
	s_mov_b32 s1, 0
	s_cmp_eq_u32 s4, 0
	s_cbranch_scc1 .LBB229_41
.LBB229_39:
	s_lshl_b32 s2, s0, 3
	s_mov_b32 s3, s1
	s_mul_u64 s[8:9], s[0:1], 12
	s_add_nc_u64 s[2:3], s[16:17], s[2:3]
	s_delay_alu instid0(SALU_CYCLE_1)
	s_add_nc_u64 s[0:1], s[2:3], 0xc4
	s_add_nc_u64 s[2:3], s[16:17], s[8:9]
.LBB229_40:                             ; =>This Inner Loop Header: Depth=1
	s_load_b96 s[8:10], s[2:3], 0x4
	s_add_co_i32 s4, s4, -1
	s_wait_xcnt 0x0
	s_add_nc_u64 s[2:3], s[2:3], 12
	s_cmp_lg_u32 s4, 0
	s_wait_kmcnt 0x0
	v_mul_hi_u32 v7, s9, v6
	s_delay_alu instid0(VALU_DEP_1) | instskip(NEXT) | instid1(VALU_DEP_1)
	v_add_nc_u32_e32 v7, v6, v7
	v_lshrrev_b32_e32 v7, s10, v7
	s_load_b64 s[10:11], s[0:1], 0x0
	s_wait_xcnt 0x0
	s_add_nc_u64 s[0:1], s[0:1], 8
	s_delay_alu instid0(VALU_DEP_1) | instskip(NEXT) | instid1(VALU_DEP_1)
	v_mul_lo_u32 v8, v7, s8
	v_sub_nc_u32_e32 v6, v6, v8
	s_wait_kmcnt 0x0
	s_delay_alu instid0(VALU_DEP_1)
	v_mad_u32 v5, v6, s11, v5
	v_mad_u32 v4, v6, s10, v4
	v_mov_b32_e32 v6, v7
	s_cbranch_scc1 .LBB229_40
.LBB229_41:
	s_and_not1_b32 vcc_lo, exec_lo, s6
	s_cbranch_vccnz .LBB229_44
; %bb.42:
	s_clause 0x1
	s_load_b96 s[0:2], s[16:17], 0x4
	s_load_b64 s[4:5], s[16:17], 0xc4
	s_cmp_lt_u32 s15, 2
	s_wait_kmcnt 0x0
	v_mul_hi_u32 v4, s1, v1
	s_delay_alu instid0(VALU_DEP_1) | instskip(NEXT) | instid1(VALU_DEP_1)
	v_add_nc_u32_e32 v4, v1, v4
	v_lshrrev_b32_e32 v6, s2, v4
	s_delay_alu instid0(VALU_DEP_1) | instskip(NEXT) | instid1(VALU_DEP_1)
	v_mul_lo_u32 v4, v6, s0
	v_sub_nc_u32_e32 v1, v1, v4
	s_delay_alu instid0(VALU_DEP_1)
	v_mul_lo_u32 v5, v1, s5
	v_mul_lo_u32 v4, v1, s4
	s_cbranch_scc1 .LBB229_44
; %bb.43:
	s_clause 0x1
	s_load_b96 s[0:2], s[16:17], 0x10
	s_load_b64 s[4:5], s[16:17], 0xcc
	s_wait_kmcnt 0x0
	v_mul_hi_u32 v1, s1, v6
	s_delay_alu instid0(VALU_DEP_1) | instskip(NEXT) | instid1(VALU_DEP_1)
	v_add_nc_u32_e32 v1, v6, v1
	v_lshrrev_b32_e32 v1, s2, v1
	s_delay_alu instid0(VALU_DEP_1) | instskip(NEXT) | instid1(VALU_DEP_1)
	v_mul_lo_u32 v1, v1, s0
	v_sub_nc_u32_e32 v1, v6, v1
	s_delay_alu instid0(VALU_DEP_1)
	v_mad_u32 v4, v1, s4, v4
	v_mad_u32 v5, v1, s5, v5
.LBB229_44:
	v_cmp_ne_u32_e32 vcc_lo, 1, v14
	v_add_nc_u32_e32 v1, 0x100, v0
	s_cbranch_vccnz .LBB229_50
; %bb.45:
	s_cmp_lg_u32 s15, 0
	s_mov_b32 s6, 0
	s_cbranch_scc0 .LBB229_51
; %bb.46:
	s_min_u32 s1, s33, 15
	s_delay_alu instid0(SALU_CYCLE_1)
	s_add_co_i32 s1, s1, 1
	s_cmp_eq_u32 s33, 2
	s_cbranch_scc1 .LBB229_52
; %bb.47:
	v_dual_mov_b32 v6, 0 :: v_dual_mov_b32 v7, 0
	v_mov_b32_e32 v8, v1
	s_and_b32 s0, s1, 28
	s_add_nc_u64 s[2:3], s[16:17], 0xc4
	s_mov_b32 s7, 0
	s_mov_b64 s[4:5], s[16:17]
.LBB229_48:                             ; =>This Inner Loop Header: Depth=1
	s_clause 0x1
	s_load_b256 s[20:27], s[4:5], 0x4
	s_load_b128 s[8:11], s[4:5], 0x24
	s_load_b256 s[36:43], s[2:3], 0x0
	s_add_co_i32 s7, s7, 4
	s_wait_xcnt 0x0
	s_add_nc_u64 s[4:5], s[4:5], 48
	s_cmp_lg_u32 s0, s7
	s_add_nc_u64 s[2:3], s[2:3], 32
	s_wait_kmcnt 0x0
	v_mul_hi_u32 v9, s21, v8
	s_delay_alu instid0(VALU_DEP_1) | instskip(NEXT) | instid1(VALU_DEP_1)
	v_add_nc_u32_e32 v9, v8, v9
	v_lshrrev_b32_e32 v9, s22, v9
	s_delay_alu instid0(VALU_DEP_1) | instskip(NEXT) | instid1(VALU_DEP_1)
	v_mul_hi_u32 v10, s24, v9
	v_add_nc_u32_e32 v10, v9, v10
	s_delay_alu instid0(VALU_DEP_1) | instskip(NEXT) | instid1(VALU_DEP_1)
	v_lshrrev_b32_e32 v10, s25, v10
	v_mul_hi_u32 v11, s27, v10
	s_delay_alu instid0(VALU_DEP_1) | instskip(SKIP_1) | instid1(VALU_DEP_1)
	v_add_nc_u32_e32 v11, v10, v11
	v_mul_lo_u32 v12, v9, s20
	v_sub_nc_u32_e32 v8, v8, v12
	v_mul_lo_u32 v12, v10, s23
	s_delay_alu instid0(VALU_DEP_4) | instskip(NEXT) | instid1(VALU_DEP_3)
	v_lshrrev_b32_e32 v11, s8, v11
	v_mad_u32 v7, v8, s37, v7
	v_mad_u32 v6, v8, s36, v6
	s_delay_alu instid0(VALU_DEP_4) | instskip(NEXT) | instid1(VALU_DEP_4)
	v_sub_nc_u32_e32 v8, v9, v12
	v_mul_hi_u32 v13, s10, v11
	v_mul_lo_u32 v9, v11, s26
	s_delay_alu instid0(VALU_DEP_3) | instskip(SKIP_1) | instid1(VALU_DEP_4)
	v_mad_u32 v7, v8, s39, v7
	v_mad_u32 v6, v8, s38, v6
	v_add_nc_u32_e32 v12, v11, v13
	s_delay_alu instid0(VALU_DEP_1) | instskip(NEXT) | instid1(VALU_DEP_1)
	v_dual_sub_nc_u32 v9, v10, v9 :: v_dual_lshrrev_b32 v8, s11, v12
	v_mad_u32 v7, v9, s41, v7
	s_delay_alu instid0(VALU_DEP_4) | instskip(NEXT) | instid1(VALU_DEP_3)
	v_mad_u32 v6, v9, s40, v6
	v_mul_lo_u32 v10, v8, s9
	s_delay_alu instid0(VALU_DEP_1) | instskip(NEXT) | instid1(VALU_DEP_1)
	v_sub_nc_u32_e32 v9, v11, v10
	v_mad_u32 v7, v9, s43, v7
	s_delay_alu instid0(VALU_DEP_4)
	v_mad_u32 v6, v9, s42, v6
	s_cbranch_scc1 .LBB229_48
; %bb.49:
	s_and_b32 s4, s1, 3
	s_mov_b32 s1, 0
	s_cmp_eq_u32 s4, 0
	s_cbranch_scc0 .LBB229_53
	s_branch .LBB229_55
.LBB229_50:
	s_mov_b32 s6, -1
                                        ; implicit-def: $vgpr7
	s_branch .LBB229_55
.LBB229_51:
	v_dual_mov_b32 v7, 0 :: v_dual_mov_b32 v6, 0
	s_branch .LBB229_55
.LBB229_52:
	v_mov_b64_e32 v[6:7], 0
	v_mov_b32_e32 v8, v1
	s_mov_b32 s0, 0
	s_and_b32 s4, s1, 3
	s_mov_b32 s1, 0
	s_cmp_eq_u32 s4, 0
	s_cbranch_scc1 .LBB229_55
.LBB229_53:
	s_lshl_b32 s2, s0, 3
	s_mov_b32 s3, s1
	s_mul_u64 s[8:9], s[0:1], 12
	s_add_nc_u64 s[2:3], s[16:17], s[2:3]
	s_delay_alu instid0(SALU_CYCLE_1)
	s_add_nc_u64 s[0:1], s[2:3], 0xc4
	s_add_nc_u64 s[2:3], s[16:17], s[8:9]
.LBB229_54:                             ; =>This Inner Loop Header: Depth=1
	s_load_b96 s[8:10], s[2:3], 0x4
	s_add_co_i32 s4, s4, -1
	s_wait_xcnt 0x0
	s_add_nc_u64 s[2:3], s[2:3], 12
	s_cmp_lg_u32 s4, 0
	s_wait_kmcnt 0x0
	v_mul_hi_u32 v9, s9, v8
	s_delay_alu instid0(VALU_DEP_1) | instskip(NEXT) | instid1(VALU_DEP_1)
	v_add_nc_u32_e32 v9, v8, v9
	v_lshrrev_b32_e32 v9, s10, v9
	s_load_b64 s[10:11], s[0:1], 0x0
	s_wait_xcnt 0x0
	s_add_nc_u64 s[0:1], s[0:1], 8
	s_delay_alu instid0(VALU_DEP_1) | instskip(NEXT) | instid1(VALU_DEP_1)
	v_mul_lo_u32 v10, v9, s8
	v_sub_nc_u32_e32 v8, v8, v10
	s_wait_kmcnt 0x0
	s_delay_alu instid0(VALU_DEP_1)
	v_mad_u32 v7, v8, s11, v7
	v_mad_u32 v6, v8, s10, v6
	v_mov_b32_e32 v8, v9
	s_cbranch_scc1 .LBB229_54
.LBB229_55:
	s_and_not1_b32 vcc_lo, exec_lo, s6
	s_cbranch_vccnz .LBB229_58
; %bb.56:
	s_clause 0x1
	s_load_b96 s[0:2], s[16:17], 0x4
	s_load_b64 s[4:5], s[16:17], 0xc4
	s_cmp_lt_u32 s15, 2
	s_wait_kmcnt 0x0
	v_mul_hi_u32 v6, s1, v1
	s_delay_alu instid0(VALU_DEP_1) | instskip(NEXT) | instid1(VALU_DEP_1)
	v_add_nc_u32_e32 v6, v1, v6
	v_lshrrev_b32_e32 v8, s2, v6
	s_delay_alu instid0(VALU_DEP_1) | instskip(NEXT) | instid1(VALU_DEP_1)
	v_mul_lo_u32 v6, v8, s0
	v_sub_nc_u32_e32 v1, v1, v6
	s_delay_alu instid0(VALU_DEP_1)
	v_mul_lo_u32 v7, v1, s5
	v_mul_lo_u32 v6, v1, s4
	s_cbranch_scc1 .LBB229_58
; %bb.57:
	s_clause 0x1
	s_load_b96 s[0:2], s[16:17], 0x10
	s_load_b64 s[4:5], s[16:17], 0xcc
	s_wait_kmcnt 0x0
	v_mul_hi_u32 v1, s1, v8
	s_delay_alu instid0(VALU_DEP_1) | instskip(NEXT) | instid1(VALU_DEP_1)
	v_add_nc_u32_e32 v1, v8, v1
	v_lshrrev_b32_e32 v1, s2, v1
	s_delay_alu instid0(VALU_DEP_1) | instskip(NEXT) | instid1(VALU_DEP_1)
	v_mul_lo_u32 v1, v1, s0
	v_sub_nc_u32_e32 v1, v8, v1
	s_delay_alu instid0(VALU_DEP_1)
	v_mad_u32 v6, v1, s4, v6
	v_mad_u32 v7, v1, s5, v7
.LBB229_58:
	v_cmp_ne_u32_e32 vcc_lo, 1, v14
	v_add_nc_u32_e32 v1, 0x180, v0
	s_cbranch_vccnz .LBB229_64
; %bb.59:
	s_cmp_lg_u32 s15, 0
	s_mov_b32 s6, 0
	s_cbranch_scc0 .LBB229_65
; %bb.60:
	s_min_u32 s1, s33, 15
	s_delay_alu instid0(SALU_CYCLE_1)
	s_add_co_i32 s1, s1, 1
	s_cmp_eq_u32 s33, 2
	s_cbranch_scc1 .LBB229_66
; %bb.61:
	v_dual_mov_b32 v8, 0 :: v_dual_mov_b32 v9, 0
	v_mov_b32_e32 v10, v1
	s_and_b32 s0, s1, 28
	s_add_nc_u64 s[2:3], s[16:17], 0xc4
	s_mov_b32 s7, 0
	s_mov_b64 s[4:5], s[16:17]
.LBB229_62:                             ; =>This Inner Loop Header: Depth=1
	s_clause 0x1
	s_load_b256 s[20:27], s[4:5], 0x4
	s_load_b128 s[8:11], s[4:5], 0x24
	s_load_b256 s[36:43], s[2:3], 0x0
	s_add_co_i32 s7, s7, 4
	s_wait_xcnt 0x0
	s_add_nc_u64 s[4:5], s[4:5], 48
	s_cmp_lg_u32 s0, s7
	s_add_nc_u64 s[2:3], s[2:3], 32
	s_wait_kmcnt 0x0
	v_mul_hi_u32 v11, s21, v10
	s_delay_alu instid0(VALU_DEP_1) | instskip(NEXT) | instid1(VALU_DEP_1)
	v_add_nc_u32_e32 v11, v10, v11
	v_lshrrev_b32_e32 v11, s22, v11
	s_delay_alu instid0(VALU_DEP_1) | instskip(NEXT) | instid1(VALU_DEP_1)
	v_mul_hi_u32 v12, s24, v11
	v_add_nc_u32_e32 v12, v11, v12
	s_delay_alu instid0(VALU_DEP_1) | instskip(NEXT) | instid1(VALU_DEP_1)
	v_lshrrev_b32_e32 v12, s25, v12
	v_mul_hi_u32 v13, s27, v12
	s_delay_alu instid0(VALU_DEP_1) | instskip(SKIP_1) | instid1(VALU_DEP_1)
	v_add_nc_u32_e32 v13, v12, v13
	v_mul_lo_u32 v15, v11, s20
	v_sub_nc_u32_e32 v10, v10, v15
	v_mul_lo_u32 v15, v12, s23
	s_delay_alu instid0(VALU_DEP_4) | instskip(NEXT) | instid1(VALU_DEP_3)
	v_lshrrev_b32_e32 v13, s8, v13
	v_mad_u32 v9, v10, s37, v9
	v_mad_u32 v8, v10, s36, v8
	s_delay_alu instid0(VALU_DEP_4) | instskip(NEXT) | instid1(VALU_DEP_4)
	v_sub_nc_u32_e32 v10, v11, v15
	v_mul_hi_u32 v17, s10, v13
	v_mul_lo_u32 v11, v13, s26
	s_delay_alu instid0(VALU_DEP_3) | instskip(SKIP_1) | instid1(VALU_DEP_3)
	v_mad_u32 v9, v10, s39, v9
	v_mad_u32 v8, v10, s38, v8
	v_dual_add_nc_u32 v15, v13, v17 :: v_dual_sub_nc_u32 v11, v12, v11
	s_delay_alu instid0(VALU_DEP_1) | instskip(NEXT) | instid1(VALU_DEP_2)
	v_lshrrev_b32_e32 v10, s11, v15
	v_mad_u32 v9, v11, s41, v9
	s_delay_alu instid0(VALU_DEP_4) | instskip(NEXT) | instid1(VALU_DEP_3)
	v_mad_u32 v8, v11, s40, v8
	v_mul_lo_u32 v12, v10, s9
	s_delay_alu instid0(VALU_DEP_1) | instskip(NEXT) | instid1(VALU_DEP_1)
	v_sub_nc_u32_e32 v11, v13, v12
	v_mad_u32 v9, v11, s43, v9
	s_delay_alu instid0(VALU_DEP_4)
	v_mad_u32 v8, v11, s42, v8
	s_cbranch_scc1 .LBB229_62
; %bb.63:
	s_and_b32 s4, s1, 3
	s_mov_b32 s1, 0
	s_cmp_eq_u32 s4, 0
	s_cbranch_scc0 .LBB229_67
	s_branch .LBB229_69
.LBB229_64:
	s_mov_b32 s6, -1
                                        ; implicit-def: $vgpr9
	s_branch .LBB229_69
.LBB229_65:
	v_dual_mov_b32 v9, 0 :: v_dual_mov_b32 v8, 0
	s_branch .LBB229_69
.LBB229_66:
	v_mov_b64_e32 v[8:9], 0
	v_mov_b32_e32 v10, v1
	s_mov_b32 s0, 0
	s_and_b32 s4, s1, 3
	s_mov_b32 s1, 0
	s_cmp_eq_u32 s4, 0
	s_cbranch_scc1 .LBB229_69
.LBB229_67:
	s_lshl_b32 s2, s0, 3
	s_mov_b32 s3, s1
	s_mul_u64 s[8:9], s[0:1], 12
	s_add_nc_u64 s[2:3], s[16:17], s[2:3]
	s_delay_alu instid0(SALU_CYCLE_1)
	s_add_nc_u64 s[0:1], s[2:3], 0xc4
	s_add_nc_u64 s[2:3], s[16:17], s[8:9]
.LBB229_68:                             ; =>This Inner Loop Header: Depth=1
	s_load_b96 s[8:10], s[2:3], 0x4
	s_add_co_i32 s4, s4, -1
	s_wait_xcnt 0x0
	s_add_nc_u64 s[2:3], s[2:3], 12
	s_cmp_lg_u32 s4, 0
	s_wait_kmcnt 0x0
	v_mul_hi_u32 v11, s9, v10
	s_delay_alu instid0(VALU_DEP_1) | instskip(NEXT) | instid1(VALU_DEP_1)
	v_add_nc_u32_e32 v11, v10, v11
	v_lshrrev_b32_e32 v11, s10, v11
	s_load_b64 s[10:11], s[0:1], 0x0
	s_wait_xcnt 0x0
	s_add_nc_u64 s[0:1], s[0:1], 8
	s_delay_alu instid0(VALU_DEP_1) | instskip(NEXT) | instid1(VALU_DEP_1)
	v_mul_lo_u32 v12, v11, s8
	v_sub_nc_u32_e32 v10, v10, v12
	s_wait_kmcnt 0x0
	s_delay_alu instid0(VALU_DEP_1)
	v_mad_u32 v9, v10, s11, v9
	v_mad_u32 v8, v10, s10, v8
	v_mov_b32_e32 v10, v11
	s_cbranch_scc1 .LBB229_68
.LBB229_69:
	s_and_not1_b32 vcc_lo, exec_lo, s6
	s_cbranch_vccnz .LBB229_72
; %bb.70:
	s_clause 0x1
	s_load_b96 s[0:2], s[16:17], 0x4
	s_load_b64 s[4:5], s[16:17], 0xc4
	s_cmp_lt_u32 s15, 2
	s_wait_kmcnt 0x0
	v_mul_hi_u32 v8, s1, v1
	s_delay_alu instid0(VALU_DEP_1) | instskip(NEXT) | instid1(VALU_DEP_1)
	v_add_nc_u32_e32 v8, v1, v8
	v_lshrrev_b32_e32 v10, s2, v8
	s_delay_alu instid0(VALU_DEP_1) | instskip(NEXT) | instid1(VALU_DEP_1)
	v_mul_lo_u32 v8, v10, s0
	v_sub_nc_u32_e32 v1, v1, v8
	s_delay_alu instid0(VALU_DEP_1)
	v_mul_lo_u32 v9, v1, s5
	v_mul_lo_u32 v8, v1, s4
	s_cbranch_scc1 .LBB229_72
; %bb.71:
	s_clause 0x1
	s_load_b96 s[0:2], s[16:17], 0x10
	s_load_b64 s[4:5], s[16:17], 0xcc
	s_wait_kmcnt 0x0
	v_mul_hi_u32 v1, s1, v10
	s_delay_alu instid0(VALU_DEP_1) | instskip(NEXT) | instid1(VALU_DEP_1)
	v_add_nc_u32_e32 v1, v10, v1
	v_lshrrev_b32_e32 v1, s2, v1
	s_delay_alu instid0(VALU_DEP_1) | instskip(NEXT) | instid1(VALU_DEP_1)
	v_mul_lo_u32 v1, v1, s0
	v_sub_nc_u32_e32 v1, v10, v1
	s_delay_alu instid0(VALU_DEP_1)
	v_mad_u32 v8, v1, s4, v8
	v_mad_u32 v9, v1, s5, v9
.LBB229_72:
	v_cmp_ne_u32_e32 vcc_lo, 1, v14
	v_add_nc_u32_e32 v1, 0x200, v0
	s_cbranch_vccnz .LBB229_78
; %bb.73:
	s_cmp_lg_u32 s15, 0
	s_mov_b32 s6, 0
	s_cbranch_scc0 .LBB229_79
; %bb.74:
	s_min_u32 s1, s33, 15
	s_delay_alu instid0(SALU_CYCLE_1)
	s_add_co_i32 s1, s1, 1
	s_cmp_eq_u32 s33, 2
	s_cbranch_scc1 .LBB229_80
; %bb.75:
	v_dual_mov_b32 v10, 0 :: v_dual_mov_b32 v11, 0
	v_mov_b32_e32 v12, v1
	s_and_b32 s0, s1, 28
	s_add_nc_u64 s[2:3], s[16:17], 0xc4
	s_mov_b32 s7, 0
	s_mov_b64 s[4:5], s[16:17]
.LBB229_76:                             ; =>This Inner Loop Header: Depth=1
	s_clause 0x1
	s_load_b256 s[20:27], s[4:5], 0x4
	s_load_b128 s[8:11], s[4:5], 0x24
	s_load_b256 s[36:43], s[2:3], 0x0
	s_add_co_i32 s7, s7, 4
	s_wait_xcnt 0x0
	s_add_nc_u64 s[4:5], s[4:5], 48
	s_cmp_lg_u32 s0, s7
	s_add_nc_u64 s[2:3], s[2:3], 32
	s_wait_kmcnt 0x0
	v_mul_hi_u32 v13, s21, v12
	s_delay_alu instid0(VALU_DEP_1) | instskip(NEXT) | instid1(VALU_DEP_1)
	v_add_nc_u32_e32 v13, v12, v13
	v_lshrrev_b32_e32 v13, s22, v13
	s_delay_alu instid0(VALU_DEP_1) | instskip(NEXT) | instid1(VALU_DEP_1)
	v_mul_lo_u32 v18, v13, s20
	v_sub_nc_u32_e32 v12, v12, v18
	v_mul_hi_u32 v15, s24, v13
	s_delay_alu instid0(VALU_DEP_2) | instskip(SKIP_1) | instid1(VALU_DEP_3)
	v_mad_u32 v11, v12, s37, v11
	v_mad_u32 v10, v12, s36, v10
	v_add_nc_u32_e32 v15, v13, v15
	s_delay_alu instid0(VALU_DEP_1) | instskip(NEXT) | instid1(VALU_DEP_1)
	v_lshrrev_b32_e32 v15, s25, v15
	v_mul_hi_u32 v17, s27, v15
	v_mul_lo_u32 v18, v15, s23
	s_delay_alu instid0(VALU_DEP_1) | instskip(NEXT) | instid1(VALU_DEP_1)
	v_dual_add_nc_u32 v17, v15, v17 :: v_dual_sub_nc_u32 v12, v13, v18
	v_lshrrev_b32_e32 v17, s8, v17
	s_delay_alu instid0(VALU_DEP_2) | instskip(SKIP_1) | instid1(VALU_DEP_3)
	v_mad_u32 v11, v12, s39, v11
	v_mad_u32 v10, v12, s38, v10
	v_mul_hi_u32 v19, s10, v17
	v_mul_lo_u32 v13, v17, s26
	s_delay_alu instid0(VALU_DEP_1) | instskip(NEXT) | instid1(VALU_DEP_1)
	v_dual_add_nc_u32 v18, v17, v19 :: v_dual_sub_nc_u32 v13, v15, v13
	v_lshrrev_b32_e32 v12, s11, v18
	s_delay_alu instid0(VALU_DEP_2) | instskip(SKIP_1) | instid1(VALU_DEP_3)
	v_mad_u32 v11, v13, s41, v11
	v_mad_u32 v10, v13, s40, v10
	v_mul_lo_u32 v15, v12, s9
	s_delay_alu instid0(VALU_DEP_1) | instskip(NEXT) | instid1(VALU_DEP_1)
	v_sub_nc_u32_e32 v13, v17, v15
	v_mad_u32 v11, v13, s43, v11
	s_delay_alu instid0(VALU_DEP_4)
	v_mad_u32 v10, v13, s42, v10
	s_cbranch_scc1 .LBB229_76
; %bb.77:
	s_and_b32 s4, s1, 3
	s_mov_b32 s1, 0
	s_cmp_eq_u32 s4, 0
	s_cbranch_scc0 .LBB229_81
	s_branch .LBB229_83
.LBB229_78:
	s_mov_b32 s6, -1
                                        ; implicit-def: $vgpr11
	s_branch .LBB229_83
.LBB229_79:
	v_dual_mov_b32 v11, 0 :: v_dual_mov_b32 v10, 0
	s_branch .LBB229_83
.LBB229_80:
	v_mov_b64_e32 v[10:11], 0
	v_mov_b32_e32 v12, v1
	s_mov_b32 s0, 0
	s_and_b32 s4, s1, 3
	s_mov_b32 s1, 0
	s_cmp_eq_u32 s4, 0
	s_cbranch_scc1 .LBB229_83
.LBB229_81:
	s_lshl_b32 s2, s0, 3
	s_mov_b32 s3, s1
	s_mul_u64 s[8:9], s[0:1], 12
	s_add_nc_u64 s[2:3], s[16:17], s[2:3]
	s_delay_alu instid0(SALU_CYCLE_1)
	s_add_nc_u64 s[0:1], s[2:3], 0xc4
	s_add_nc_u64 s[2:3], s[16:17], s[8:9]
.LBB229_82:                             ; =>This Inner Loop Header: Depth=1
	s_load_b96 s[8:10], s[2:3], 0x4
	s_add_co_i32 s4, s4, -1
	s_wait_xcnt 0x0
	s_add_nc_u64 s[2:3], s[2:3], 12
	s_cmp_lg_u32 s4, 0
	s_wait_kmcnt 0x0
	v_mul_hi_u32 v13, s9, v12
	s_delay_alu instid0(VALU_DEP_1) | instskip(NEXT) | instid1(VALU_DEP_1)
	v_add_nc_u32_e32 v13, v12, v13
	v_lshrrev_b32_e32 v13, s10, v13
	s_load_b64 s[10:11], s[0:1], 0x0
	s_wait_xcnt 0x0
	s_add_nc_u64 s[0:1], s[0:1], 8
	s_delay_alu instid0(VALU_DEP_1) | instskip(NEXT) | instid1(VALU_DEP_1)
	v_mul_lo_u32 v15, v13, s8
	v_sub_nc_u32_e32 v12, v12, v15
	s_wait_kmcnt 0x0
	s_delay_alu instid0(VALU_DEP_1)
	v_mad_u32 v11, v12, s11, v11
	v_mad_u32 v10, v12, s10, v10
	v_mov_b32_e32 v12, v13
	s_cbranch_scc1 .LBB229_82
.LBB229_83:
	s_and_not1_b32 vcc_lo, exec_lo, s6
	s_cbranch_vccnz .LBB229_86
; %bb.84:
	s_clause 0x1
	s_load_b96 s[0:2], s[16:17], 0x4
	s_load_b64 s[4:5], s[16:17], 0xc4
	s_cmp_lt_u32 s15, 2
	s_wait_kmcnt 0x0
	v_mul_hi_u32 v10, s1, v1
	s_delay_alu instid0(VALU_DEP_1) | instskip(NEXT) | instid1(VALU_DEP_1)
	v_add_nc_u32_e32 v10, v1, v10
	v_lshrrev_b32_e32 v12, s2, v10
	s_delay_alu instid0(VALU_DEP_1) | instskip(NEXT) | instid1(VALU_DEP_1)
	v_mul_lo_u32 v10, v12, s0
	v_sub_nc_u32_e32 v1, v1, v10
	s_delay_alu instid0(VALU_DEP_1)
	v_mul_lo_u32 v11, v1, s5
	v_mul_lo_u32 v10, v1, s4
	s_cbranch_scc1 .LBB229_86
; %bb.85:
	s_clause 0x1
	s_load_b96 s[0:2], s[16:17], 0x10
	s_load_b64 s[4:5], s[16:17], 0xcc
	s_wait_kmcnt 0x0
	v_mul_hi_u32 v1, s1, v12
	s_delay_alu instid0(VALU_DEP_1) | instskip(NEXT) | instid1(VALU_DEP_1)
	v_add_nc_u32_e32 v1, v12, v1
	v_lshrrev_b32_e32 v1, s2, v1
	s_delay_alu instid0(VALU_DEP_1) | instskip(NEXT) | instid1(VALU_DEP_1)
	v_mul_lo_u32 v1, v1, s0
	v_sub_nc_u32_e32 v1, v12, v1
	s_delay_alu instid0(VALU_DEP_1)
	v_mad_u32 v10, v1, s4, v10
	v_mad_u32 v11, v1, s5, v11
.LBB229_86:
	v_cmp_ne_u32_e32 vcc_lo, 1, v14
	v_add_nc_u32_e32 v1, 0x280, v0
	s_cbranch_vccnz .LBB229_92
; %bb.87:
	s_cmp_lg_u32 s15, 0
	s_mov_b32 s6, 0
	s_cbranch_scc0 .LBB229_93
; %bb.88:
	s_min_u32 s1, s33, 15
	s_delay_alu instid0(SALU_CYCLE_1)
	s_add_co_i32 s1, s1, 1
	s_cmp_eq_u32 s33, 2
	s_cbranch_scc1 .LBB229_94
; %bb.89:
	v_dual_mov_b32 v12, 0 :: v_dual_mov_b32 v13, 0
	v_mov_b32_e32 v15, v1
	s_and_b32 s0, s1, 28
	s_add_nc_u64 s[2:3], s[16:17], 0xc4
	s_mov_b32 s7, 0
	s_mov_b64 s[4:5], s[16:17]
.LBB229_90:                             ; =>This Inner Loop Header: Depth=1
	s_clause 0x1
	s_load_b256 s[20:27], s[4:5], 0x4
	s_load_b128 s[8:11], s[4:5], 0x24
	s_load_b256 s[36:43], s[2:3], 0x0
	s_add_co_i32 s7, s7, 4
	s_wait_xcnt 0x0
	s_add_nc_u64 s[4:5], s[4:5], 48
	s_cmp_lg_u32 s0, s7
	s_add_nc_u64 s[2:3], s[2:3], 32
	s_wait_kmcnt 0x0
	v_mul_hi_u32 v17, s21, v15
	s_delay_alu instid0(VALU_DEP_1) | instskip(NEXT) | instid1(VALU_DEP_1)
	v_add_nc_u32_e32 v17, v15, v17
	v_lshrrev_b32_e32 v17, s22, v17
	s_delay_alu instid0(VALU_DEP_1) | instskip(NEXT) | instid1(VALU_DEP_1)
	v_mul_hi_u32 v18, s24, v17
	v_add_nc_u32_e32 v18, v17, v18
	s_delay_alu instid0(VALU_DEP_1) | instskip(NEXT) | instid1(VALU_DEP_1)
	v_lshrrev_b32_e32 v18, s25, v18
	v_mul_hi_u32 v19, s27, v18
	s_delay_alu instid0(VALU_DEP_1) | instskip(SKIP_1) | instid1(VALU_DEP_1)
	v_add_nc_u32_e32 v19, v18, v19
	v_mul_lo_u32 v20, v17, s20
	v_sub_nc_u32_e32 v15, v15, v20
	v_mul_lo_u32 v20, v18, s23
	s_delay_alu instid0(VALU_DEP_4) | instskip(NEXT) | instid1(VALU_DEP_3)
	v_lshrrev_b32_e32 v19, s8, v19
	v_mad_u32 v13, v15, s37, v13
	v_mad_u32 v12, v15, s36, v12
	s_delay_alu instid0(VALU_DEP_4) | instskip(NEXT) | instid1(VALU_DEP_4)
	v_sub_nc_u32_e32 v15, v17, v20
	v_mul_hi_u32 v21, s10, v19
	v_mul_lo_u32 v17, v19, s26
	s_delay_alu instid0(VALU_DEP_3) | instskip(SKIP_1) | instid1(VALU_DEP_4)
	v_mad_u32 v13, v15, s39, v13
	v_mad_u32 v12, v15, s38, v12
	v_add_nc_u32_e32 v20, v19, v21
	s_delay_alu instid0(VALU_DEP_1) | instskip(NEXT) | instid1(VALU_DEP_1)
	v_dual_sub_nc_u32 v17, v18, v17 :: v_dual_lshrrev_b32 v15, s11, v20
	v_mad_u32 v13, v17, s41, v13
	s_delay_alu instid0(VALU_DEP_4) | instskip(NEXT) | instid1(VALU_DEP_3)
	v_mad_u32 v12, v17, s40, v12
	v_mul_lo_u32 v18, v15, s9
	s_delay_alu instid0(VALU_DEP_1) | instskip(NEXT) | instid1(VALU_DEP_1)
	v_sub_nc_u32_e32 v17, v19, v18
	v_mad_u32 v13, v17, s43, v13
	s_delay_alu instid0(VALU_DEP_4)
	v_mad_u32 v12, v17, s42, v12
	s_cbranch_scc1 .LBB229_90
; %bb.91:
	s_and_b32 s4, s1, 3
	s_mov_b32 s1, 0
	s_cmp_eq_u32 s4, 0
	s_cbranch_scc0 .LBB229_95
	s_branch .LBB229_97
.LBB229_92:
	s_mov_b32 s6, -1
                                        ; implicit-def: $vgpr13
	s_branch .LBB229_97
.LBB229_93:
	v_dual_mov_b32 v13, 0 :: v_dual_mov_b32 v12, 0
	s_branch .LBB229_97
.LBB229_94:
	v_mov_b64_e32 v[12:13], 0
	v_mov_b32_e32 v15, v1
	s_mov_b32 s0, 0
	s_and_b32 s4, s1, 3
	s_mov_b32 s1, 0
	s_cmp_eq_u32 s4, 0
	s_cbranch_scc1 .LBB229_97
.LBB229_95:
	s_lshl_b32 s2, s0, 3
	s_mov_b32 s3, s1
	s_mul_u64 s[8:9], s[0:1], 12
	s_add_nc_u64 s[2:3], s[16:17], s[2:3]
	s_delay_alu instid0(SALU_CYCLE_1)
	s_add_nc_u64 s[0:1], s[2:3], 0xc4
	s_add_nc_u64 s[2:3], s[16:17], s[8:9]
.LBB229_96:                             ; =>This Inner Loop Header: Depth=1
	s_load_b96 s[8:10], s[2:3], 0x4
	s_add_co_i32 s4, s4, -1
	s_wait_xcnt 0x0
	s_add_nc_u64 s[2:3], s[2:3], 12
	s_cmp_lg_u32 s4, 0
	s_wait_kmcnt 0x0
	v_mul_hi_u32 v17, s9, v15
	s_delay_alu instid0(VALU_DEP_1) | instskip(NEXT) | instid1(VALU_DEP_1)
	v_add_nc_u32_e32 v17, v15, v17
	v_lshrrev_b32_e32 v17, s10, v17
	s_load_b64 s[10:11], s[0:1], 0x0
	s_wait_xcnt 0x0
	s_add_nc_u64 s[0:1], s[0:1], 8
	s_delay_alu instid0(VALU_DEP_1) | instskip(NEXT) | instid1(VALU_DEP_1)
	v_mul_lo_u32 v18, v17, s8
	v_sub_nc_u32_e32 v15, v15, v18
	s_wait_kmcnt 0x0
	s_delay_alu instid0(VALU_DEP_1)
	v_mad_u32 v13, v15, s11, v13
	v_mad_u32 v12, v15, s10, v12
	v_mov_b32_e32 v15, v17
	s_cbranch_scc1 .LBB229_96
.LBB229_97:
	s_and_not1_b32 vcc_lo, exec_lo, s6
	s_cbranch_vccnz .LBB229_100
; %bb.98:
	s_clause 0x1
	s_load_b96 s[0:2], s[16:17], 0x4
	s_load_b64 s[4:5], s[16:17], 0xc4
	s_cmp_lt_u32 s15, 2
	s_wait_kmcnt 0x0
	v_mul_hi_u32 v12, s1, v1
	s_delay_alu instid0(VALU_DEP_1) | instskip(NEXT) | instid1(VALU_DEP_1)
	v_add_nc_u32_e32 v12, v1, v12
	v_lshrrev_b32_e32 v15, s2, v12
	s_delay_alu instid0(VALU_DEP_1) | instskip(NEXT) | instid1(VALU_DEP_1)
	v_mul_lo_u32 v12, v15, s0
	v_sub_nc_u32_e32 v1, v1, v12
	s_delay_alu instid0(VALU_DEP_1)
	v_mul_lo_u32 v13, v1, s5
	v_mul_lo_u32 v12, v1, s4
	s_cbranch_scc1 .LBB229_100
; %bb.99:
	s_clause 0x1
	s_load_b96 s[0:2], s[16:17], 0x10
	s_load_b64 s[4:5], s[16:17], 0xcc
	s_wait_kmcnt 0x0
	v_mul_hi_u32 v1, s1, v15
	s_delay_alu instid0(VALU_DEP_1) | instskip(NEXT) | instid1(VALU_DEP_1)
	v_add_nc_u32_e32 v1, v15, v1
	v_lshrrev_b32_e32 v1, s2, v1
	s_delay_alu instid0(VALU_DEP_1) | instskip(NEXT) | instid1(VALU_DEP_1)
	v_mul_lo_u32 v1, v1, s0
	v_sub_nc_u32_e32 v1, v15, v1
	s_delay_alu instid0(VALU_DEP_1)
	v_mad_u32 v12, v1, s4, v12
	v_mad_u32 v13, v1, s5, v13
.LBB229_100:
	v_cmp_ne_u32_e32 vcc_lo, 1, v14
	v_add_nc_u32_e32 v15, 0x300, v0
	s_cbranch_vccnz .LBB229_106
; %bb.101:
	s_cmp_lg_u32 s15, 0
	s_mov_b32 s6, 0
	s_cbranch_scc0 .LBB229_107
; %bb.102:
	s_min_u32 s1, s33, 15
	s_delay_alu instid0(SALU_CYCLE_1)
	s_add_co_i32 s1, s1, 1
	s_cmp_eq_u32 s33, 2
	s_cbranch_scc1 .LBB229_108
; %bb.103:
	v_dual_mov_b32 v0, 0 :: v_dual_mov_b32 v1, 0
	v_mov_b32_e32 v17, v15
	s_and_b32 s0, s1, 28
	s_add_nc_u64 s[2:3], s[16:17], 0xc4
	s_mov_b32 s7, 0
	s_mov_b64 s[4:5], s[16:17]
.LBB229_104:                            ; =>This Inner Loop Header: Depth=1
	s_clause 0x1
	s_load_b256 s[20:27], s[4:5], 0x4
	s_load_b128 s[8:11], s[4:5], 0x24
	s_load_b256 s[36:43], s[2:3], 0x0
	s_add_co_i32 s7, s7, 4
	s_wait_xcnt 0x0
	s_add_nc_u64 s[4:5], s[4:5], 48
	s_cmp_lg_u32 s0, s7
	s_add_nc_u64 s[2:3], s[2:3], 32
	s_wait_kmcnt 0x0
	v_mul_hi_u32 v18, s21, v17
	s_delay_alu instid0(VALU_DEP_1) | instskip(NEXT) | instid1(VALU_DEP_1)
	v_add_nc_u32_e32 v18, v17, v18
	v_lshrrev_b32_e32 v18, s22, v18
	s_delay_alu instid0(VALU_DEP_1) | instskip(NEXT) | instid1(VALU_DEP_1)
	v_mul_hi_u32 v19, s24, v18
	v_add_nc_u32_e32 v19, v18, v19
	s_delay_alu instid0(VALU_DEP_1) | instskip(NEXT) | instid1(VALU_DEP_1)
	v_lshrrev_b32_e32 v19, s25, v19
	v_mul_hi_u32 v20, s27, v19
	s_delay_alu instid0(VALU_DEP_1) | instskip(SKIP_1) | instid1(VALU_DEP_1)
	v_add_nc_u32_e32 v20, v19, v20
	v_mul_lo_u32 v21, v18, s20
	v_sub_nc_u32_e32 v17, v17, v21
	v_mul_lo_u32 v21, v19, s23
	s_delay_alu instid0(VALU_DEP_4) | instskip(NEXT) | instid1(VALU_DEP_3)
	v_lshrrev_b32_e32 v20, s8, v20
	v_mad_u32 v1, v17, s37, v1
	v_mad_u32 v0, v17, s36, v0
	s_delay_alu instid0(VALU_DEP_4) | instskip(NEXT) | instid1(VALU_DEP_4)
	v_sub_nc_u32_e32 v17, v18, v21
	v_mul_hi_u32 v22, s10, v20
	v_mul_lo_u32 v18, v20, s26
	s_delay_alu instid0(VALU_DEP_3) | instskip(SKIP_1) | instid1(VALU_DEP_4)
	v_mad_u32 v1, v17, s39, v1
	v_mad_u32 v0, v17, s38, v0
	v_add_nc_u32_e32 v21, v20, v22
	s_delay_alu instid0(VALU_DEP_1) | instskip(NEXT) | instid1(VALU_DEP_1)
	v_dual_sub_nc_u32 v18, v19, v18 :: v_dual_lshrrev_b32 v17, s11, v21
	v_mad_u32 v1, v18, s41, v1
	s_delay_alu instid0(VALU_DEP_4) | instskip(NEXT) | instid1(VALU_DEP_3)
	v_mad_u32 v0, v18, s40, v0
	v_mul_lo_u32 v19, v17, s9
	s_delay_alu instid0(VALU_DEP_1) | instskip(NEXT) | instid1(VALU_DEP_1)
	v_sub_nc_u32_e32 v18, v20, v19
	v_mad_u32 v1, v18, s43, v1
	s_delay_alu instid0(VALU_DEP_4)
	v_mad_u32 v0, v18, s42, v0
	s_cbranch_scc1 .LBB229_104
; %bb.105:
	s_and_b32 s4, s1, 3
	s_mov_b32 s1, 0
	s_cmp_eq_u32 s4, 0
	s_cbranch_scc0 .LBB229_109
	s_branch .LBB229_111
.LBB229_106:
	s_mov_b32 s6, -1
                                        ; implicit-def: $vgpr1
	s_branch .LBB229_111
.LBB229_107:
	v_dual_mov_b32 v1, 0 :: v_dual_mov_b32 v0, 0
	s_branch .LBB229_111
.LBB229_108:
	v_mov_b64_e32 v[0:1], 0
	v_mov_b32_e32 v17, v15
	s_mov_b32 s0, 0
	s_and_b32 s4, s1, 3
	s_mov_b32 s1, 0
	s_cmp_eq_u32 s4, 0
	s_cbranch_scc1 .LBB229_111
.LBB229_109:
	s_lshl_b32 s2, s0, 3
	s_mov_b32 s3, s1
	s_mul_u64 s[8:9], s[0:1], 12
	s_add_nc_u64 s[2:3], s[16:17], s[2:3]
	s_delay_alu instid0(SALU_CYCLE_1)
	s_add_nc_u64 s[0:1], s[2:3], 0xc4
	s_add_nc_u64 s[2:3], s[16:17], s[8:9]
.LBB229_110:                            ; =>This Inner Loop Header: Depth=1
	s_load_b96 s[8:10], s[2:3], 0x4
	s_add_co_i32 s4, s4, -1
	s_wait_xcnt 0x0
	s_add_nc_u64 s[2:3], s[2:3], 12
	s_cmp_lg_u32 s4, 0
	s_wait_kmcnt 0x0
	v_mul_hi_u32 v18, s9, v17
	s_delay_alu instid0(VALU_DEP_1) | instskip(NEXT) | instid1(VALU_DEP_1)
	v_add_nc_u32_e32 v18, v17, v18
	v_lshrrev_b32_e32 v18, s10, v18
	s_load_b64 s[10:11], s[0:1], 0x0
	s_wait_xcnt 0x0
	s_add_nc_u64 s[0:1], s[0:1], 8
	s_delay_alu instid0(VALU_DEP_1) | instskip(NEXT) | instid1(VALU_DEP_1)
	v_mul_lo_u32 v19, v18, s8
	v_sub_nc_u32_e32 v17, v17, v19
	s_wait_kmcnt 0x0
	s_delay_alu instid0(VALU_DEP_1)
	v_mad_u32 v1, v17, s11, v1
	v_mad_u32 v0, v17, s10, v0
	v_mov_b32_e32 v17, v18
	s_cbranch_scc1 .LBB229_110
.LBB229_111:
	s_and_not1_b32 vcc_lo, exec_lo, s6
	s_cbranch_vccnz .LBB229_114
; %bb.112:
	s_clause 0x1
	s_load_b96 s[0:2], s[16:17], 0x4
	s_load_b64 s[4:5], s[16:17], 0xc4
	s_cmp_lt_u32 s15, 2
	s_wait_kmcnt 0x0
	v_mul_hi_u32 v0, s1, v15
	s_delay_alu instid0(VALU_DEP_1) | instskip(NEXT) | instid1(VALU_DEP_1)
	v_add_nc_u32_e32 v0, v15, v0
	v_lshrrev_b32_e32 v17, s2, v0
	s_delay_alu instid0(VALU_DEP_1) | instskip(NEXT) | instid1(VALU_DEP_1)
	v_mul_lo_u32 v0, v17, s0
	v_sub_nc_u32_e32 v0, v15, v0
	s_delay_alu instid0(VALU_DEP_1)
	v_mul_lo_u32 v1, v0, s5
	v_mul_lo_u32 v0, v0, s4
	s_cbranch_scc1 .LBB229_114
; %bb.113:
	s_clause 0x1
	s_load_b96 s[0:2], s[16:17], 0x10
	s_load_b64 s[4:5], s[16:17], 0xcc
	s_wait_kmcnt 0x0
	v_mul_hi_u32 v15, s1, v17
	s_delay_alu instid0(VALU_DEP_1) | instskip(NEXT) | instid1(VALU_DEP_1)
	v_add_nc_u32_e32 v15, v17, v15
	v_lshrrev_b32_e32 v15, s2, v15
	s_delay_alu instid0(VALU_DEP_1) | instskip(NEXT) | instid1(VALU_DEP_1)
	v_mul_lo_u32 v15, v15, s0
	v_sub_nc_u32_e32 v15, v17, v15
	s_delay_alu instid0(VALU_DEP_1)
	v_mad_u32 v0, v15, s4, v0
	v_mad_u32 v1, v15, s5, v1
.LBB229_114:
	v_cmp_ne_u32_e32 vcc_lo, 1, v14
	s_cbranch_vccnz .LBB229_120
; %bb.115:
	s_cmp_lg_u32 s15, 0
	s_mov_b32 s6, 0
	s_cbranch_scc0 .LBB229_121
; %bb.116:
	s_min_u32 s1, s33, 15
	s_delay_alu instid0(SALU_CYCLE_1)
	s_add_co_i32 s1, s1, 1
	s_cmp_eq_u32 s33, 2
	s_cbranch_scc1 .LBB229_122
; %bb.117:
	v_dual_mov_b32 v14, 0 :: v_dual_mov_b32 v15, 0
	v_mov_b32_e32 v17, v16
	s_and_b32 s0, s1, 28
	s_add_nc_u64 s[2:3], s[16:17], 0xc4
	s_mov_b32 s7, 0
	s_mov_b64 s[4:5], s[16:17]
.LBB229_118:                            ; =>This Inner Loop Header: Depth=1
	s_clause 0x1
	s_load_b256 s[20:27], s[4:5], 0x4
	s_load_b128 s[8:11], s[4:5], 0x24
	s_load_b256 s[36:43], s[2:3], 0x0
	s_add_co_i32 s7, s7, 4
	s_wait_xcnt 0x0
	s_add_nc_u64 s[4:5], s[4:5], 48
	s_cmp_lg_u32 s0, s7
	s_add_nc_u64 s[2:3], s[2:3], 32
	s_wait_kmcnt 0x0
	v_mul_hi_u32 v18, s21, v17
	s_delay_alu instid0(VALU_DEP_1) | instskip(NEXT) | instid1(VALU_DEP_1)
	v_add_nc_u32_e32 v18, v17, v18
	v_lshrrev_b32_e32 v18, s22, v18
	s_delay_alu instid0(VALU_DEP_1) | instskip(NEXT) | instid1(VALU_DEP_1)
	v_mul_hi_u32 v19, s24, v18
	v_add_nc_u32_e32 v19, v18, v19
	s_delay_alu instid0(VALU_DEP_1) | instskip(NEXT) | instid1(VALU_DEP_1)
	v_lshrrev_b32_e32 v19, s25, v19
	v_mul_hi_u32 v20, s27, v19
	s_delay_alu instid0(VALU_DEP_1) | instskip(SKIP_1) | instid1(VALU_DEP_1)
	v_add_nc_u32_e32 v20, v19, v20
	v_mul_lo_u32 v21, v18, s20
	v_sub_nc_u32_e32 v17, v17, v21
	v_mul_lo_u32 v21, v19, s23
	s_delay_alu instid0(VALU_DEP_4) | instskip(NEXT) | instid1(VALU_DEP_3)
	v_lshrrev_b32_e32 v20, s8, v20
	v_mad_u32 v15, v17, s37, v15
	v_mad_u32 v14, v17, s36, v14
	s_delay_alu instid0(VALU_DEP_4) | instskip(NEXT) | instid1(VALU_DEP_4)
	v_sub_nc_u32_e32 v17, v18, v21
	v_mul_hi_u32 v22, s10, v20
	v_mul_lo_u32 v18, v20, s26
	s_delay_alu instid0(VALU_DEP_3) | instskip(SKIP_1) | instid1(VALU_DEP_4)
	v_mad_u32 v15, v17, s39, v15
	v_mad_u32 v14, v17, s38, v14
	v_add_nc_u32_e32 v21, v20, v22
	s_delay_alu instid0(VALU_DEP_1) | instskip(NEXT) | instid1(VALU_DEP_1)
	v_dual_sub_nc_u32 v18, v19, v18 :: v_dual_lshrrev_b32 v17, s11, v21
	v_mad_u32 v15, v18, s41, v15
	s_delay_alu instid0(VALU_DEP_4) | instskip(NEXT) | instid1(VALU_DEP_3)
	v_mad_u32 v14, v18, s40, v14
	v_mul_lo_u32 v19, v17, s9
	s_delay_alu instid0(VALU_DEP_1) | instskip(NEXT) | instid1(VALU_DEP_1)
	v_sub_nc_u32_e32 v18, v20, v19
	v_mad_u32 v15, v18, s43, v15
	s_delay_alu instid0(VALU_DEP_4)
	v_mad_u32 v14, v18, s42, v14
	s_cbranch_scc1 .LBB229_118
; %bb.119:
	s_and_b32 s4, s1, 3
	s_mov_b32 s1, 0
	s_cmp_eq_u32 s4, 0
	s_cbranch_scc0 .LBB229_123
	s_branch .LBB229_125
.LBB229_120:
	s_mov_b32 s6, -1
                                        ; implicit-def: $vgpr15
	s_branch .LBB229_125
.LBB229_121:
	v_dual_mov_b32 v15, 0 :: v_dual_mov_b32 v14, 0
	s_branch .LBB229_125
.LBB229_122:
	v_mov_b64_e32 v[14:15], 0
	v_mov_b32_e32 v17, v16
	s_mov_b32 s0, 0
	s_and_b32 s4, s1, 3
	s_mov_b32 s1, 0
	s_cmp_eq_u32 s4, 0
	s_cbranch_scc1 .LBB229_125
.LBB229_123:
	s_lshl_b32 s2, s0, 3
	s_mov_b32 s3, s1
	s_mul_u64 s[8:9], s[0:1], 12
	s_add_nc_u64 s[2:3], s[16:17], s[2:3]
	s_delay_alu instid0(SALU_CYCLE_1)
	s_add_nc_u64 s[0:1], s[2:3], 0xc4
	s_add_nc_u64 s[2:3], s[16:17], s[8:9]
.LBB229_124:                            ; =>This Inner Loop Header: Depth=1
	s_load_b96 s[8:10], s[2:3], 0x4
	s_add_co_i32 s4, s4, -1
	s_wait_xcnt 0x0
	s_add_nc_u64 s[2:3], s[2:3], 12
	s_cmp_lg_u32 s4, 0
	s_wait_kmcnt 0x0
	v_mul_hi_u32 v18, s9, v17
	s_delay_alu instid0(VALU_DEP_1) | instskip(NEXT) | instid1(VALU_DEP_1)
	v_add_nc_u32_e32 v18, v17, v18
	v_lshrrev_b32_e32 v18, s10, v18
	s_load_b64 s[10:11], s[0:1], 0x0
	s_wait_xcnt 0x0
	s_add_nc_u64 s[0:1], s[0:1], 8
	s_delay_alu instid0(VALU_DEP_1) | instskip(NEXT) | instid1(VALU_DEP_1)
	v_mul_lo_u32 v19, v18, s8
	v_sub_nc_u32_e32 v17, v17, v19
	s_wait_kmcnt 0x0
	s_delay_alu instid0(VALU_DEP_1)
	v_mad_u32 v15, v17, s11, v15
	v_mad_u32 v14, v17, s10, v14
	v_mov_b32_e32 v17, v18
	s_cbranch_scc1 .LBB229_124
.LBB229_125:
	s_and_not1_b32 vcc_lo, exec_lo, s6
	s_cbranch_vccnz .LBB229_128
; %bb.126:
	s_clause 0x1
	s_load_b96 s[0:2], s[16:17], 0x4
	s_load_b64 s[4:5], s[16:17], 0xc4
	s_cmp_lt_u32 s15, 2
	s_wait_kmcnt 0x0
	v_mul_hi_u32 v14, s1, v16
	s_delay_alu instid0(VALU_DEP_1) | instskip(NEXT) | instid1(VALU_DEP_1)
	v_add_nc_u32_e32 v14, v16, v14
	v_lshrrev_b32_e32 v17, s2, v14
	s_delay_alu instid0(VALU_DEP_1) | instskip(NEXT) | instid1(VALU_DEP_1)
	v_mul_lo_u32 v14, v17, s0
	v_sub_nc_u32_e32 v14, v16, v14
	s_delay_alu instid0(VALU_DEP_1)
	v_mul_lo_u32 v15, v14, s5
	v_mul_lo_u32 v14, v14, s4
	s_cbranch_scc1 .LBB229_128
; %bb.127:
	s_clause 0x1
	s_load_b96 s[0:2], s[16:17], 0x10
	s_load_b64 s[4:5], s[16:17], 0xcc
	s_wait_kmcnt 0x0
	v_mul_hi_u32 v16, s1, v17
	s_delay_alu instid0(VALU_DEP_1) | instskip(NEXT) | instid1(VALU_DEP_1)
	v_add_nc_u32_e32 v16, v17, v16
	v_lshrrev_b32_e32 v16, s2, v16
	s_delay_alu instid0(VALU_DEP_1) | instskip(NEXT) | instid1(VALU_DEP_1)
	v_mul_lo_u32 v16, v16, s0
	v_sub_nc_u32_e32 v16, v17, v16
	s_delay_alu instid0(VALU_DEP_1)
	v_mad_u32 v14, v16, s4, v14
	v_mad_u32 v15, v16, s5, v15
.LBB229_128:
	s_load_b128 s[0:3], s[16:17], 0x148
	s_mov_b32 s6, exec_lo
	s_wait_kmcnt 0x0
	global_load_u16 v3, v3, s[2:3]
	s_wait_loadcnt 0x0
	v_cmpx_o_f16_e32 v3, v3
	s_cbranch_execz .LBB229_138
; %bb.129:
	s_load_b64 s[4:5], s[16:17], 0x158
	v_cvt_f32_f16_e32 v16, v3
	s_mov_b32 s7, 0
	s_wait_kmcnt 0x0
	s_cmp_lt_i32 s4, 1
	s_cbranch_scc1 .LBB229_132
; %bb.130:
	s_cmp_eq_u32 s4, 1
	s_cbranch_scc0 .LBB229_209
; %bb.131:
	v_max_num_f32_e64 v3, s5, s5
	v_max_num_f32_e32 v17, v16, v16
	s_mov_b32 s8, 0
	s_delay_alu instid0(VALU_DEP_1) | instskip(NEXT) | instid1(VALU_DEP_1)
	v_min_num_f32_e32 v3, v17, v3
	v_cvt_f16_f32_e32 v3, v3
	s_branch .LBB229_134
.LBB229_132:
	s_mov_b32 s8, 0
                                        ; implicit-def: $vgpr3
	s_cbranch_execz .LBB229_134
; %bb.133:
	s_cmp_lg_u32 s4, 0
	s_mov_b32 s7, -1
	s_cselect_b32 s8, -1, 0
.LBB229_134:
	v_max_num_f32_e64 v17, s5, s5
	v_max_num_f32_e32 v16, v16, v16
	s_and_not1_b32 vcc_lo, exec_lo, s8
	s_cbranch_vccnz .LBB229_136
; %bb.135:
	s_load_b32 s4, s[16:17], 0x160
	s_wait_kmcnt 0x0
	v_max_num_f32_e64 v3, s4, s4
	s_delay_alu instid0(VALU_DEP_1) | instskip(NEXT) | instid1(VALU_DEP_1)
	v_maxmin_num_f32 v3, v16, v17, v3
	v_cvt_f16_f32_e32 v3, v3
	s_cbranch_execz .LBB229_137
	s_branch .LBB229_138
.LBB229_136:
	s_and_not1_b32 vcc_lo, exec_lo, s7
	s_cbranch_vccnz .LBB229_138
.LBB229_137:
	v_max_num_f32_e32 v3, v16, v17
	s_delay_alu instid0(VALU_DEP_1)
	v_cvt_f16_f32_e32 v3, v3
.LBB229_138:
	s_or_b32 exec_lo, exec_lo, s6
	global_load_u16 v5, v5, s[2:3]
	s_mov_b32 s6, exec_lo
	s_wait_loadcnt 0x0
	v_cmpx_o_f16_e32 v5, v5
	s_cbranch_execz .LBB229_148
; %bb.139:
	s_load_b64 s[4:5], s[16:17], 0x158
	v_cvt_f32_f16_e32 v16, v5
	s_mov_b32 s7, 0
	s_wait_kmcnt 0x0
	s_cmp_lt_i32 s4, 1
	s_cbranch_scc1 .LBB229_142
; %bb.140:
	s_cmp_eq_u32 s4, 1
	s_cbranch_scc0 .LBB229_210
; %bb.141:
	v_max_num_f32_e64 v5, s5, s5
	v_max_num_f32_e32 v17, v16, v16
	s_mov_b32 s8, 0
	s_delay_alu instid0(VALU_DEP_1) | instskip(NEXT) | instid1(VALU_DEP_1)
	v_min_num_f32_e32 v5, v17, v5
	v_cvt_f16_f32_e32 v5, v5
	s_branch .LBB229_144
.LBB229_142:
	s_mov_b32 s8, 0
                                        ; implicit-def: $vgpr5
	s_cbranch_execz .LBB229_144
; %bb.143:
	s_cmp_lg_u32 s4, 0
	s_mov_b32 s7, -1
	s_cselect_b32 s8, -1, 0
.LBB229_144:
	v_max_num_f32_e64 v17, s5, s5
	v_max_num_f32_e32 v16, v16, v16
	s_and_not1_b32 vcc_lo, exec_lo, s8
	s_cbranch_vccnz .LBB229_146
; %bb.145:
	s_load_b32 s4, s[16:17], 0x160
	s_wait_kmcnt 0x0
	v_max_num_f32_e64 v5, s4, s4
	s_delay_alu instid0(VALU_DEP_1) | instskip(NEXT) | instid1(VALU_DEP_1)
	v_maxmin_num_f32 v5, v16, v17, v5
	v_cvt_f16_f32_e32 v5, v5
	s_cbranch_execz .LBB229_147
	s_branch .LBB229_148
.LBB229_146:
	s_and_not1_b32 vcc_lo, exec_lo, s7
	s_cbranch_vccnz .LBB229_148
.LBB229_147:
	v_max_num_f32_e32 v5, v16, v17
	s_delay_alu instid0(VALU_DEP_1)
	v_cvt_f16_f32_e32 v5, v5
.LBB229_148:
	s_or_b32 exec_lo, exec_lo, s6
	global_load_u16 v7, v7, s[2:3]
	s_mov_b32 s6, exec_lo
	s_wait_loadcnt 0x0
	v_cmpx_o_f16_e32 v7, v7
	s_cbranch_execz .LBB229_158
; %bb.149:
	s_load_b64 s[4:5], s[16:17], 0x158
	v_cvt_f32_f16_e32 v16, v7
	s_mov_b32 s7, 0
	s_wait_kmcnt 0x0
	s_cmp_lt_i32 s4, 1
	s_cbranch_scc1 .LBB229_152
; %bb.150:
	s_cmp_eq_u32 s4, 1
	s_cbranch_scc0 .LBB229_211
; %bb.151:
	v_max_num_f32_e64 v7, s5, s5
	v_max_num_f32_e32 v17, v16, v16
	s_mov_b32 s8, 0
	s_delay_alu instid0(VALU_DEP_1) | instskip(NEXT) | instid1(VALU_DEP_1)
	v_min_num_f32_e32 v7, v17, v7
	v_cvt_f16_f32_e32 v7, v7
	s_branch .LBB229_154
.LBB229_152:
	s_mov_b32 s8, 0
                                        ; implicit-def: $vgpr7
	s_cbranch_execz .LBB229_154
; %bb.153:
	s_cmp_lg_u32 s4, 0
	s_mov_b32 s7, -1
	s_cselect_b32 s8, -1, 0
.LBB229_154:
	v_max_num_f32_e64 v17, s5, s5
	v_max_num_f32_e32 v16, v16, v16
	s_and_not1_b32 vcc_lo, exec_lo, s8
	s_cbranch_vccnz .LBB229_156
; %bb.155:
	s_load_b32 s4, s[16:17], 0x160
	s_wait_kmcnt 0x0
	v_max_num_f32_e64 v7, s4, s4
	s_delay_alu instid0(VALU_DEP_1) | instskip(NEXT) | instid1(VALU_DEP_1)
	v_maxmin_num_f32 v7, v16, v17, v7
	v_cvt_f16_f32_e32 v7, v7
	s_cbranch_execz .LBB229_157
	s_branch .LBB229_158
.LBB229_156:
	s_and_not1_b32 vcc_lo, exec_lo, s7
	s_cbranch_vccnz .LBB229_158
.LBB229_157:
	v_max_num_f32_e32 v7, v16, v17
	s_delay_alu instid0(VALU_DEP_1)
	v_cvt_f16_f32_e32 v7, v7
.LBB229_158:
	s_or_b32 exec_lo, exec_lo, s6
	global_load_u16 v9, v9, s[2:3]
	s_mov_b32 s6, exec_lo
	s_wait_loadcnt 0x0
	v_cmpx_o_f16_e32 v9, v9
	s_cbranch_execz .LBB229_168
; %bb.159:
	s_load_b64 s[4:5], s[16:17], 0x158
	v_cvt_f32_f16_e32 v16, v9
	s_mov_b32 s7, 0
	s_wait_kmcnt 0x0
	s_cmp_lt_i32 s4, 1
	s_cbranch_scc1 .LBB229_162
; %bb.160:
	s_cmp_eq_u32 s4, 1
	s_cbranch_scc0 .LBB229_212
; %bb.161:
	v_max_num_f32_e64 v9, s5, s5
	v_max_num_f32_e32 v17, v16, v16
	s_mov_b32 s8, 0
	s_delay_alu instid0(VALU_DEP_1) | instskip(NEXT) | instid1(VALU_DEP_1)
	v_min_num_f32_e32 v9, v17, v9
	v_cvt_f16_f32_e32 v9, v9
	s_branch .LBB229_164
.LBB229_162:
	s_mov_b32 s8, 0
                                        ; implicit-def: $vgpr9
	s_cbranch_execz .LBB229_164
; %bb.163:
	s_cmp_lg_u32 s4, 0
	s_mov_b32 s7, -1
	s_cselect_b32 s8, -1, 0
.LBB229_164:
	v_max_num_f32_e64 v17, s5, s5
	v_max_num_f32_e32 v16, v16, v16
	s_and_not1_b32 vcc_lo, exec_lo, s8
	s_cbranch_vccnz .LBB229_166
; %bb.165:
	s_load_b32 s4, s[16:17], 0x160
	s_wait_kmcnt 0x0
	v_max_num_f32_e64 v9, s4, s4
	s_delay_alu instid0(VALU_DEP_1) | instskip(NEXT) | instid1(VALU_DEP_1)
	v_maxmin_num_f32 v9, v16, v17, v9
	v_cvt_f16_f32_e32 v9, v9
	s_cbranch_execz .LBB229_167
	s_branch .LBB229_168
.LBB229_166:
	s_and_not1_b32 vcc_lo, exec_lo, s7
	s_cbranch_vccnz .LBB229_168
.LBB229_167:
	v_max_num_f32_e32 v9, v16, v17
	s_delay_alu instid0(VALU_DEP_1)
	v_cvt_f16_f32_e32 v9, v9
.LBB229_168:
	s_or_b32 exec_lo, exec_lo, s6
	global_load_u16 v11, v11, s[2:3]
	s_mov_b32 s6, exec_lo
	s_wait_loadcnt 0x0
	v_cmpx_o_f16_e32 v11, v11
	s_cbranch_execz .LBB229_178
; %bb.169:
	s_load_b64 s[4:5], s[16:17], 0x158
	v_cvt_f32_f16_e32 v16, v11
	s_mov_b32 s7, 0
	s_wait_kmcnt 0x0
	s_cmp_lt_i32 s4, 1
	s_cbranch_scc1 .LBB229_172
; %bb.170:
	s_cmp_eq_u32 s4, 1
	s_cbranch_scc0 .LBB229_213
; %bb.171:
	v_max_num_f32_e64 v11, s5, s5
	v_max_num_f32_e32 v17, v16, v16
	s_mov_b32 s8, 0
	s_delay_alu instid0(VALU_DEP_1) | instskip(NEXT) | instid1(VALU_DEP_1)
	v_min_num_f32_e32 v11, v17, v11
	v_cvt_f16_f32_e32 v11, v11
	s_branch .LBB229_174
.LBB229_172:
	s_mov_b32 s8, 0
                                        ; implicit-def: $vgpr11
	s_cbranch_execz .LBB229_174
; %bb.173:
	s_cmp_lg_u32 s4, 0
	s_mov_b32 s7, -1
	s_cselect_b32 s8, -1, 0
.LBB229_174:
	v_max_num_f32_e64 v17, s5, s5
	v_max_num_f32_e32 v16, v16, v16
	s_and_not1_b32 vcc_lo, exec_lo, s8
	s_cbranch_vccnz .LBB229_176
; %bb.175:
	s_load_b32 s4, s[16:17], 0x160
	s_wait_kmcnt 0x0
	v_max_num_f32_e64 v11, s4, s4
	s_delay_alu instid0(VALU_DEP_1) | instskip(NEXT) | instid1(VALU_DEP_1)
	v_maxmin_num_f32 v11, v16, v17, v11
	v_cvt_f16_f32_e32 v11, v11
	s_cbranch_execz .LBB229_177
	s_branch .LBB229_178
.LBB229_176:
	s_and_not1_b32 vcc_lo, exec_lo, s7
	s_cbranch_vccnz .LBB229_178
.LBB229_177:
	v_max_num_f32_e32 v11, v16, v17
	s_delay_alu instid0(VALU_DEP_1)
	v_cvt_f16_f32_e32 v11, v11
.LBB229_178:
	s_or_b32 exec_lo, exec_lo, s6
	global_load_u16 v13, v13, s[2:3]
	s_mov_b32 s6, exec_lo
	s_wait_loadcnt 0x0
	v_cmpx_o_f16_e32 v13, v13
	s_cbranch_execz .LBB229_188
; %bb.179:
	s_load_b64 s[4:5], s[16:17], 0x158
	v_cvt_f32_f16_e32 v16, v13
	s_mov_b32 s7, 0
	s_wait_kmcnt 0x0
	s_cmp_lt_i32 s4, 1
	s_cbranch_scc1 .LBB229_182
; %bb.180:
	s_cmp_eq_u32 s4, 1
	s_cbranch_scc0 .LBB229_214
; %bb.181:
	v_max_num_f32_e64 v13, s5, s5
	v_max_num_f32_e32 v17, v16, v16
	s_mov_b32 s8, 0
	s_delay_alu instid0(VALU_DEP_1) | instskip(NEXT) | instid1(VALU_DEP_1)
	v_min_num_f32_e32 v13, v17, v13
	v_cvt_f16_f32_e32 v13, v13
	s_branch .LBB229_184
.LBB229_182:
	s_mov_b32 s8, 0
                                        ; implicit-def: $vgpr13
	s_cbranch_execz .LBB229_184
; %bb.183:
	s_cmp_lg_u32 s4, 0
	s_mov_b32 s7, -1
	s_cselect_b32 s8, -1, 0
.LBB229_184:
	v_max_num_f32_e64 v17, s5, s5
	v_max_num_f32_e32 v16, v16, v16
	s_and_not1_b32 vcc_lo, exec_lo, s8
	s_cbranch_vccnz .LBB229_186
; %bb.185:
	s_load_b32 s4, s[16:17], 0x160
	s_wait_kmcnt 0x0
	v_max_num_f32_e64 v13, s4, s4
	s_delay_alu instid0(VALU_DEP_1) | instskip(NEXT) | instid1(VALU_DEP_1)
	v_maxmin_num_f32 v13, v16, v17, v13
	v_cvt_f16_f32_e32 v13, v13
	s_cbranch_execz .LBB229_187
	s_branch .LBB229_188
.LBB229_186:
	s_and_not1_b32 vcc_lo, exec_lo, s7
	s_cbranch_vccnz .LBB229_188
.LBB229_187:
	v_max_num_f32_e32 v13, v16, v17
	s_delay_alu instid0(VALU_DEP_1)
	v_cvt_f16_f32_e32 v13, v13
.LBB229_188:
	s_or_b32 exec_lo, exec_lo, s6
	global_load_u16 v1, v1, s[2:3]
	s_mov_b32 s6, exec_lo
	s_wait_loadcnt 0x0
	v_cmpx_o_f16_e32 v1, v1
	s_cbranch_execz .LBB229_198
; %bb.189:
	s_load_b64 s[4:5], s[16:17], 0x158
	v_cvt_f32_f16_e32 v16, v1
	s_mov_b32 s7, 0
	s_wait_kmcnt 0x0
	s_cmp_lt_i32 s4, 1
	s_cbranch_scc1 .LBB229_192
; %bb.190:
	s_cmp_eq_u32 s4, 1
	s_cbranch_scc0 .LBB229_215
; %bb.191:
	v_max_num_f32_e64 v1, s5, s5
	v_max_num_f32_e32 v17, v16, v16
	s_mov_b32 s8, 0
	s_delay_alu instid0(VALU_DEP_1) | instskip(NEXT) | instid1(VALU_DEP_1)
	v_min_num_f32_e32 v1, v17, v1
	v_cvt_f16_f32_e32 v1, v1
	s_branch .LBB229_194
.LBB229_192:
	s_mov_b32 s8, 0
                                        ; implicit-def: $vgpr1
	s_cbranch_execz .LBB229_194
; %bb.193:
	s_cmp_lg_u32 s4, 0
	s_mov_b32 s7, -1
	s_cselect_b32 s8, -1, 0
.LBB229_194:
	v_max_num_f32_e64 v17, s5, s5
	v_max_num_f32_e32 v16, v16, v16
	s_and_not1_b32 vcc_lo, exec_lo, s8
	s_cbranch_vccnz .LBB229_196
; %bb.195:
	s_load_b32 s4, s[16:17], 0x160
	s_wait_kmcnt 0x0
	v_max_num_f32_e64 v1, s4, s4
	s_delay_alu instid0(VALU_DEP_1) | instskip(NEXT) | instid1(VALU_DEP_1)
	v_maxmin_num_f32 v1, v16, v17, v1
	v_cvt_f16_f32_e32 v1, v1
	s_cbranch_execz .LBB229_197
	s_branch .LBB229_198
.LBB229_196:
	s_and_not1_b32 vcc_lo, exec_lo, s7
	s_cbranch_vccnz .LBB229_198
.LBB229_197:
	v_max_num_f32_e32 v1, v16, v17
	s_delay_alu instid0(VALU_DEP_1)
	v_cvt_f16_f32_e32 v1, v1
.LBB229_198:
	s_or_b32 exec_lo, exec_lo, s6
	global_load_u16 v15, v15, s[2:3]
	s_mov_b32 s4, exec_lo
	s_wait_loadcnt 0x0
	v_cmpx_o_f16_e32 v15, v15
	s_cbranch_execz .LBB229_208
; %bb.199:
	s_load_b64 s[2:3], s[16:17], 0x158
	v_cvt_f32_f16_e32 v16, v15
	s_mov_b32 s5, 0
	s_wait_kmcnt 0x0
	s_cmp_lt_i32 s2, 1
	s_cbranch_scc1 .LBB229_202
; %bb.200:
	s_cmp_eq_u32 s2, 1
	s_cbranch_scc0 .LBB229_216
; %bb.201:
	v_max_num_f32_e64 v15, s3, s3
	v_max_num_f32_e32 v17, v16, v16
	s_mov_b32 s6, 0
	s_delay_alu instid0(VALU_DEP_1) | instskip(NEXT) | instid1(VALU_DEP_1)
	v_min_num_f32_e32 v15, v17, v15
	v_cvt_f16_f32_e32 v15, v15
	s_branch .LBB229_204
.LBB229_202:
	s_mov_b32 s6, 0
                                        ; implicit-def: $vgpr15
	s_cbranch_execz .LBB229_204
; %bb.203:
	s_cmp_lg_u32 s2, 0
	s_mov_b32 s5, -1
	s_cselect_b32 s6, -1, 0
.LBB229_204:
	v_max_num_f32_e64 v17, s3, s3
	v_max_num_f32_e32 v16, v16, v16
	s_and_not1_b32 vcc_lo, exec_lo, s6
	s_cbranch_vccnz .LBB229_206
; %bb.205:
	s_load_b32 s2, s[16:17], 0x160
	s_wait_kmcnt 0x0
	v_max_num_f32_e64 v15, s2, s2
	s_delay_alu instid0(VALU_DEP_1) | instskip(NEXT) | instid1(VALU_DEP_1)
	v_maxmin_num_f32 v15, v16, v17, v15
	v_cvt_f16_f32_e32 v15, v15
	s_cbranch_execz .LBB229_207
	s_branch .LBB229_208
.LBB229_206:
	s_and_not1_b32 vcc_lo, exec_lo, s5
	s_cbranch_vccnz .LBB229_208
.LBB229_207:
	v_max_num_f32_e32 v15, v16, v17
	s_delay_alu instid0(VALU_DEP_1)
	v_cvt_f16_f32_e32 v15, v15
.LBB229_208:
	s_or_b32 exec_lo, exec_lo, s4
	s_clause 0x7
	global_store_b16 v2, v3, s[0:1]
	global_store_b16 v4, v5, s[0:1]
	;; [unrolled: 1-line block ×8, first 2 shown]
	s_endpgm
.LBB229_209:
	s_mov_b32 s8, -1
                                        ; implicit-def: $vgpr3
	s_branch .LBB229_134
.LBB229_210:
	s_mov_b32 s8, -1
                                        ; implicit-def: $vgpr5
	s_branch .LBB229_144
.LBB229_211:
	s_mov_b32 s8, -1
                                        ; implicit-def: $vgpr7
	s_branch .LBB229_154
.LBB229_212:
	s_mov_b32 s8, -1
                                        ; implicit-def: $vgpr9
	s_branch .LBB229_164
.LBB229_213:
	s_mov_b32 s8, -1
                                        ; implicit-def: $vgpr11
	s_branch .LBB229_174
.LBB229_214:
	s_mov_b32 s8, -1
                                        ; implicit-def: $vgpr13
	s_branch .LBB229_184
.LBB229_215:
	s_mov_b32 s8, -1
                                        ; implicit-def: $vgpr1
	s_branch .LBB229_194
.LBB229_216:
	s_mov_b32 s6, -1
                                        ; implicit-def: $vgpr15
	s_branch .LBB229_204
.LBB229_217:
	v_dual_mov_b32 v3, 0 :: v_dual_mov_b32 v2, 0
	s_branch .LBB229_223
.LBB229_218:
	v_dual_mov_b32 v3, 0 :: v_dual_mov_b32 v2, 0
	s_branch .LBB229_235
.LBB229_219:
	v_mov_b64_e32 v[2:3], 0
	v_mov_b32_e32 v1, v0
	s_mov_b32 s26, 0
.LBB229_220:
	s_and_b32 s18, s18, 3
	s_mov_b32 s27, 0
	s_cmp_eq_u32 s18, 0
	s_cbranch_scc1 .LBB229_223
; %bb.221:
	s_lshl_b32 s28, s26, 3
	s_mov_b32 s29, s27
	s_mul_u64 s[30:31], s[26:27], 12
	s_add_nc_u64 s[28:29], s[16:17], s[28:29]
	s_delay_alu instid0(SALU_CYCLE_1)
	s_add_nc_u64 s[26:27], s[28:29], 0xc4
	s_add_nc_u64 s[28:29], s[16:17], s[30:31]
.LBB229_222:                            ; =>This Inner Loop Header: Depth=1
	s_load_b96 s[40:42], s[28:29], 0x4
	s_load_b64 s[30:31], s[26:27], 0x0
	s_add_co_i32 s18, s18, -1
	s_wait_xcnt 0x0
	s_add_nc_u64 s[28:29], s[28:29], 12
	s_cmp_lg_u32 s18, 0
	s_add_nc_u64 s[26:27], s[26:27], 8
	s_wait_kmcnt 0x0
	v_mul_hi_u32 v4, s41, v1
	s_delay_alu instid0(VALU_DEP_1) | instskip(NEXT) | instid1(VALU_DEP_1)
	v_add_nc_u32_e32 v4, v1, v4
	v_lshrrev_b32_e32 v4, s42, v4
	s_delay_alu instid0(VALU_DEP_1) | instskip(NEXT) | instid1(VALU_DEP_1)
	v_mul_lo_u32 v5, v4, s40
	v_sub_nc_u32_e32 v1, v1, v5
	s_delay_alu instid0(VALU_DEP_1)
	v_mad_u32 v3, v1, s31, v3
	v_mad_u32 v2, v1, s30, v2
	v_mov_b32_e32 v1, v4
	s_cbranch_scc1 .LBB229_222
.LBB229_223:
	s_cbranch_execnz .LBB229_226
.LBB229_224:
	v_mov_b32_e32 v1, 0
	s_and_not1_b32 vcc_lo, exec_lo, s36
	s_delay_alu instid0(VALU_DEP_1) | instskip(NEXT) | instid1(VALU_DEP_1)
	v_mul_u64_e32 v[2:3], s[20:21], v[0:1]
	v_add_nc_u32_e32 v2, v0, v3
	s_delay_alu instid0(VALU_DEP_1) | instskip(NEXT) | instid1(VALU_DEP_1)
	v_lshrrev_b32_e32 v4, s6, v2
	v_mul_lo_u32 v2, v4, s4
	s_delay_alu instid0(VALU_DEP_1) | instskip(NEXT) | instid1(VALU_DEP_1)
	v_sub_nc_u32_e32 v2, v0, v2
	v_mul_lo_u32 v3, v2, s9
	v_mul_lo_u32 v2, v2, s8
	s_cbranch_vccnz .LBB229_226
; %bb.225:
	v_mov_b32_e32 v5, v1
	s_delay_alu instid0(VALU_DEP_1) | instskip(NEXT) | instid1(VALU_DEP_1)
	v_mul_u64_e32 v[6:7], s[22:23], v[4:5]
	v_add_nc_u32_e32 v1, v4, v7
	s_delay_alu instid0(VALU_DEP_1) | instskip(NEXT) | instid1(VALU_DEP_1)
	v_lshrrev_b32_e32 v1, s19, v1
	v_mul_lo_u32 v1, v1, s7
	s_delay_alu instid0(VALU_DEP_1) | instskip(NEXT) | instid1(VALU_DEP_1)
	v_sub_nc_u32_e32 v1, v4, v1
	v_mad_u32 v2, v1, s10, v2
	v_mad_u32 v3, v1, s11, v3
.LBB229_226:
	global_load_u16 v3, v3, s[2:3]
	s_mov_b32 s18, exec_lo
	s_wait_loadcnt 0x0
	v_cmpx_o_f16_e32 v3, v3
	s_cbranch_execz .LBB229_250
; %bb.227:
	v_cvt_f32_f16_e32 v1, v3
	s_cmp_lt_i32 s12, 1
	s_mov_b32 s26, 0
	s_cbranch_scc1 .LBB229_230
; %bb.228:
	s_cmp_eq_u32 s12, 1
	s_cbranch_scc0 .LBB229_243
; %bb.229:
	v_max_num_f32_e64 v3, s13, s13
	v_max_num_f32_e32 v4, v1, v1
	s_mov_b32 s27, 0
	s_delay_alu instid0(VALU_DEP_1) | instskip(NEXT) | instid1(VALU_DEP_1)
	v_min_num_f32_e32 v3, v4, v3
	v_cvt_f16_f32_e32 v3, v3
	s_branch .LBB229_244
.LBB229_230:
	s_mov_b32 s27, 0
                                        ; implicit-def: $vgpr3
	s_cbranch_execnz .LBB229_245
	s_branch .LBB229_246
.LBB229_231:
	v_mov_b64_e32 v[2:3], 0
	v_mov_b32_e32 v1, v0
	s_mov_b32 s26, 0
.LBB229_232:
	s_and_b32 s18, s18, 3
	s_mov_b32 s27, 0
	s_cmp_eq_u32 s18, 0
	s_cbranch_scc1 .LBB229_235
; %bb.233:
	s_lshl_b32 s28, s26, 3
	s_mov_b32 s29, s27
	s_mul_u64 s[30:31], s[26:27], 12
	s_add_nc_u64 s[28:29], s[16:17], s[28:29]
	s_delay_alu instid0(SALU_CYCLE_1)
	s_add_nc_u64 s[26:27], s[28:29], 0xc4
	s_add_nc_u64 s[28:29], s[16:17], s[30:31]
.LBB229_234:                            ; =>This Inner Loop Header: Depth=1
	s_load_b96 s[40:42], s[28:29], 0x4
	s_load_b64 s[30:31], s[26:27], 0x0
	s_add_co_i32 s18, s18, -1
	s_wait_xcnt 0x0
	s_add_nc_u64 s[28:29], s[28:29], 12
	s_cmp_lg_u32 s18, 0
	s_add_nc_u64 s[26:27], s[26:27], 8
	s_wait_kmcnt 0x0
	v_mul_hi_u32 v4, s41, v1
	s_delay_alu instid0(VALU_DEP_1) | instskip(NEXT) | instid1(VALU_DEP_1)
	v_add_nc_u32_e32 v4, v1, v4
	v_lshrrev_b32_e32 v4, s42, v4
	s_delay_alu instid0(VALU_DEP_1) | instskip(NEXT) | instid1(VALU_DEP_1)
	v_mul_lo_u32 v5, v4, s40
	v_sub_nc_u32_e32 v1, v1, v5
	s_delay_alu instid0(VALU_DEP_1)
	v_mad_u32 v3, v1, s31, v3
	v_mad_u32 v2, v1, s30, v2
	v_mov_b32_e32 v1, v4
	s_cbranch_scc1 .LBB229_234
.LBB229_235:
	s_cbranch_execnz .LBB229_238
.LBB229_236:
	v_mov_b32_e32 v1, 0
	s_and_not1_b32 vcc_lo, exec_lo, s36
	s_delay_alu instid0(VALU_DEP_1) | instskip(NEXT) | instid1(VALU_DEP_1)
	v_mul_u64_e32 v[2:3], s[20:21], v[0:1]
	v_add_nc_u32_e32 v2, v0, v3
	s_delay_alu instid0(VALU_DEP_1) | instskip(NEXT) | instid1(VALU_DEP_1)
	v_lshrrev_b32_e32 v4, s6, v2
	v_mul_lo_u32 v2, v4, s4
	s_delay_alu instid0(VALU_DEP_1) | instskip(NEXT) | instid1(VALU_DEP_1)
	v_sub_nc_u32_e32 v2, v0, v2
	v_mul_lo_u32 v3, v2, s9
	v_mul_lo_u32 v2, v2, s8
	s_cbranch_vccnz .LBB229_238
; %bb.237:
	v_mov_b32_e32 v5, v1
	s_delay_alu instid0(VALU_DEP_1) | instskip(NEXT) | instid1(VALU_DEP_1)
	v_mul_u64_e32 v[6:7], s[22:23], v[4:5]
	v_add_nc_u32_e32 v1, v4, v7
	s_delay_alu instid0(VALU_DEP_1) | instskip(NEXT) | instid1(VALU_DEP_1)
	v_lshrrev_b32_e32 v1, s19, v1
	v_mul_lo_u32 v1, v1, s7
	s_delay_alu instid0(VALU_DEP_1) | instskip(NEXT) | instid1(VALU_DEP_1)
	v_sub_nc_u32_e32 v1, v4, v1
	v_mad_u32 v2, v1, s10, v2
	v_mad_u32 v3, v1, s11, v3
.LBB229_238:
	global_load_u16 v3, v3, s[2:3]
	s_mov_b32 s18, exec_lo
	s_wait_loadcnt 0x0
	v_cmpx_o_f16_e32 v3, v3
	s_cbranch_execz .LBB229_278
; %bb.239:
	v_cvt_f32_f16_e32 v1, v3
	s_cmp_lt_i32 s12, 1
	s_mov_b32 s26, 0
	s_cbranch_scc1 .LBB229_242
; %bb.240:
	s_cmp_eq_u32 s12, 1
	s_cbranch_scc0 .LBB229_271
; %bb.241:
	v_max_num_f32_e64 v3, s13, s13
	v_max_num_f32_e32 v4, v1, v1
	s_mov_b32 s27, 0
	s_delay_alu instid0(VALU_DEP_1) | instskip(NEXT) | instid1(VALU_DEP_1)
	v_min_num_f32_e32 v3, v4, v3
	v_cvt_f16_f32_e32 v3, v3
	s_branch .LBB229_272
.LBB229_242:
	s_mov_b32 s27, 0
                                        ; implicit-def: $vgpr3
	s_cbranch_execnz .LBB229_273
	s_branch .LBB229_274
.LBB229_243:
	s_mov_b32 s27, -1
                                        ; implicit-def: $vgpr3
.LBB229_244:
	s_branch .LBB229_246
.LBB229_245:
	s_cmp_lg_u32 s12, 0
	s_mov_b32 s26, -1
	s_cselect_b32 s27, -1, 0
.LBB229_246:
	s_delay_alu instid0(SALU_CYCLE_1)
	s_and_not1_b32 vcc_lo, exec_lo, s27
	s_cbranch_vccnz .LBB229_248
; %bb.247:
	v_max_num_f32_e64 v3, s13, s13
	v_max_num_f32_e32 v4, v1, v1
	v_max_num_f32_e64 v5, s14, s14
	s_delay_alu instid0(VALU_DEP_1) | instskip(NEXT) | instid1(VALU_DEP_1)
	v_maxmin_num_f32 v3, v4, v3, v5
	v_cvt_f16_f32_e32 v3, v3
	s_cbranch_execz .LBB229_249
	s_branch .LBB229_250
.LBB229_248:
	s_and_not1_b32 vcc_lo, exec_lo, s26
	s_cbranch_vccnz .LBB229_250
.LBB229_249:
	v_max_num_f32_e64 v3, s13, s13
	v_max_num_f32_e32 v1, v1, v1
	s_delay_alu instid0(VALU_DEP_1) | instskip(NEXT) | instid1(VALU_DEP_1)
	v_max_num_f32_e32 v1, v1, v3
	v_cvt_f16_f32_e32 v3, v1
.LBB229_250:
	s_or_b32 exec_lo, exec_lo, s18
	v_add_nc_u32_e32 v0, 0x80, v0
	global_store_b16 v2, v3, s[0:1]
	s_wait_xcnt 0x0
	s_or_b32 exec_lo, exec_lo, s5
	s_delay_alu instid0(SALU_CYCLE_1)
	s_mov_b32 s5, exec_lo
	v_cmpx_gt_i32_e64 s37, v0
	s_cbranch_execnz .LBB229_15
.LBB229_251:
	s_or_b32 exec_lo, exec_lo, s5
	s_delay_alu instid0(SALU_CYCLE_1)
	s_mov_b32 s5, exec_lo
	v_cmpx_gt_i32_e64 s37, v0
	s_cbranch_execz .LBB229_279
.LBB229_252:
	s_and_not1_b32 vcc_lo, exec_lo, s34
	s_cbranch_vccnz .LBB229_257
; %bb.253:
	s_and_not1_b32 vcc_lo, exec_lo, s39
	s_cbranch_vccnz .LBB229_258
; %bb.254:
	s_add_co_i32 s18, s38, 1
	s_cmp_eq_u32 s33, 2
	s_cbranch_scc1 .LBB229_259
; %bb.255:
	v_dual_mov_b32 v2, 0 :: v_dual_mov_b32 v3, 0
	v_mov_b32_e32 v1, v0
	s_and_b32 s26, s18, 28
	s_mov_b32 s27, 0
	s_mov_b64 s[28:29], s[16:17]
	s_mov_b64 s[30:31], s[24:25]
.LBB229_256:                            ; =>This Inner Loop Header: Depth=1
	s_clause 0x1
	s_load_b256 s[40:47], s[28:29], 0x4
	s_load_b128 s[56:59], s[28:29], 0x24
	s_load_b256 s[48:55], s[30:31], 0x0
	s_add_co_i32 s27, s27, 4
	s_wait_xcnt 0x0
	s_add_nc_u64 s[28:29], s[28:29], 48
	s_cmp_eq_u32 s26, s27
	s_add_nc_u64 s[30:31], s[30:31], 32
	s_wait_kmcnt 0x0
	v_mul_hi_u32 v4, s41, v1
	s_delay_alu instid0(VALU_DEP_1) | instskip(NEXT) | instid1(VALU_DEP_1)
	v_add_nc_u32_e32 v4, v1, v4
	v_lshrrev_b32_e32 v4, s42, v4
	s_delay_alu instid0(VALU_DEP_1) | instskip(NEXT) | instid1(VALU_DEP_1)
	v_mul_hi_u32 v5, s44, v4
	v_add_nc_u32_e32 v5, v4, v5
	s_delay_alu instid0(VALU_DEP_1) | instskip(NEXT) | instid1(VALU_DEP_1)
	v_lshrrev_b32_e32 v5, s45, v5
	v_mul_hi_u32 v6, s47, v5
	s_delay_alu instid0(VALU_DEP_1) | instskip(SKIP_1) | instid1(VALU_DEP_1)
	v_add_nc_u32_e32 v6, v5, v6
	v_mul_lo_u32 v7, v4, s40
	v_sub_nc_u32_e32 v1, v1, v7
	v_mul_lo_u32 v7, v5, s43
	s_delay_alu instid0(VALU_DEP_4) | instskip(NEXT) | instid1(VALU_DEP_3)
	v_lshrrev_b32_e32 v6, s56, v6
	v_mad_u32 v3, v1, s49, v3
	v_mad_u32 v1, v1, s48, v2
	s_delay_alu instid0(VALU_DEP_4) | instskip(NEXT) | instid1(VALU_DEP_4)
	v_sub_nc_u32_e32 v2, v4, v7
	v_mul_hi_u32 v8, s58, v6
	v_mul_lo_u32 v4, v6, s46
	s_delay_alu instid0(VALU_DEP_3) | instskip(SKIP_1) | instid1(VALU_DEP_4)
	v_mad_u32 v3, v2, s51, v3
	v_mad_u32 v2, v2, s50, v1
	v_add_nc_u32_e32 v7, v6, v8
	s_delay_alu instid0(VALU_DEP_1) | instskip(NEXT) | instid1(VALU_DEP_1)
	v_dual_sub_nc_u32 v4, v5, v4 :: v_dual_lshrrev_b32 v1, s59, v7
	v_mad_u32 v3, v4, s53, v3
	s_delay_alu instid0(VALU_DEP_4) | instskip(NEXT) | instid1(VALU_DEP_3)
	v_mad_u32 v2, v4, s52, v2
	v_mul_lo_u32 v5, v1, s57
	s_delay_alu instid0(VALU_DEP_1) | instskip(NEXT) | instid1(VALU_DEP_1)
	v_sub_nc_u32_e32 v4, v6, v5
	v_mad_u32 v3, v4, s55, v3
	s_delay_alu instid0(VALU_DEP_4)
	v_mad_u32 v2, v4, s54, v2
	s_cbranch_scc0 .LBB229_256
	s_branch .LBB229_260
.LBB229_257:
                                        ; implicit-def: $vgpr3
	s_branch .LBB229_264
.LBB229_258:
	v_dual_mov_b32 v3, 0 :: v_dual_mov_b32 v2, 0
	s_branch .LBB229_263
.LBB229_259:
	v_mov_b64_e32 v[2:3], 0
	v_mov_b32_e32 v1, v0
	s_mov_b32 s26, 0
.LBB229_260:
	s_and_b32 s18, s18, 3
	s_mov_b32 s27, 0
	s_cmp_eq_u32 s18, 0
	s_cbranch_scc1 .LBB229_263
; %bb.261:
	s_lshl_b32 s28, s26, 3
	s_mov_b32 s29, s27
	s_mul_u64 s[30:31], s[26:27], 12
	s_add_nc_u64 s[28:29], s[16:17], s[28:29]
	s_delay_alu instid0(SALU_CYCLE_1)
	s_add_nc_u64 s[26:27], s[28:29], 0xc4
	s_add_nc_u64 s[28:29], s[16:17], s[30:31]
.LBB229_262:                            ; =>This Inner Loop Header: Depth=1
	s_load_b96 s[40:42], s[28:29], 0x4
	s_load_b64 s[30:31], s[26:27], 0x0
	s_add_co_i32 s18, s18, -1
	s_wait_xcnt 0x0
	s_add_nc_u64 s[28:29], s[28:29], 12
	s_cmp_lg_u32 s18, 0
	s_add_nc_u64 s[26:27], s[26:27], 8
	s_wait_kmcnt 0x0
	v_mul_hi_u32 v4, s41, v1
	s_delay_alu instid0(VALU_DEP_1) | instskip(NEXT) | instid1(VALU_DEP_1)
	v_add_nc_u32_e32 v4, v1, v4
	v_lshrrev_b32_e32 v4, s42, v4
	s_delay_alu instid0(VALU_DEP_1) | instskip(NEXT) | instid1(VALU_DEP_1)
	v_mul_lo_u32 v5, v4, s40
	v_sub_nc_u32_e32 v1, v1, v5
	s_delay_alu instid0(VALU_DEP_1)
	v_mad_u32 v3, v1, s31, v3
	v_mad_u32 v2, v1, s30, v2
	v_mov_b32_e32 v1, v4
	s_cbranch_scc1 .LBB229_262
.LBB229_263:
	s_cbranch_execnz .LBB229_266
.LBB229_264:
	v_mov_b32_e32 v1, 0
	s_and_not1_b32 vcc_lo, exec_lo, s36
	s_delay_alu instid0(VALU_DEP_1) | instskip(NEXT) | instid1(VALU_DEP_1)
	v_mul_u64_e32 v[2:3], s[20:21], v[0:1]
	v_add_nc_u32_e32 v2, v0, v3
	s_delay_alu instid0(VALU_DEP_1) | instskip(NEXT) | instid1(VALU_DEP_1)
	v_lshrrev_b32_e32 v4, s6, v2
	v_mul_lo_u32 v2, v4, s4
	s_delay_alu instid0(VALU_DEP_1) | instskip(NEXT) | instid1(VALU_DEP_1)
	v_sub_nc_u32_e32 v2, v0, v2
	v_mul_lo_u32 v3, v2, s9
	v_mul_lo_u32 v2, v2, s8
	s_cbranch_vccnz .LBB229_266
; %bb.265:
	v_mov_b32_e32 v5, v1
	s_delay_alu instid0(VALU_DEP_1) | instskip(NEXT) | instid1(VALU_DEP_1)
	v_mul_u64_e32 v[6:7], s[22:23], v[4:5]
	v_add_nc_u32_e32 v1, v4, v7
	s_delay_alu instid0(VALU_DEP_1) | instskip(NEXT) | instid1(VALU_DEP_1)
	v_lshrrev_b32_e32 v1, s19, v1
	v_mul_lo_u32 v1, v1, s7
	s_delay_alu instid0(VALU_DEP_1) | instskip(NEXT) | instid1(VALU_DEP_1)
	v_sub_nc_u32_e32 v1, v4, v1
	v_mad_u32 v2, v1, s10, v2
	v_mad_u32 v3, v1, s11, v3
.LBB229_266:
	global_load_u16 v3, v3, s[2:3]
	s_mov_b32 s18, exec_lo
	s_wait_loadcnt 0x0
	v_cmpx_o_f16_e32 v3, v3
	s_cbranch_execz .LBB229_306
; %bb.267:
	v_cvt_f32_f16_e32 v1, v3
	s_cmp_lt_i32 s12, 1
	s_mov_b32 s26, 0
	s_cbranch_scc1 .LBB229_270
; %bb.268:
	s_cmp_eq_u32 s12, 1
	s_cbranch_scc0 .LBB229_299
; %bb.269:
	v_max_num_f32_e64 v3, s13, s13
	v_max_num_f32_e32 v4, v1, v1
	s_mov_b32 s27, 0
	s_delay_alu instid0(VALU_DEP_1) | instskip(NEXT) | instid1(VALU_DEP_1)
	v_min_num_f32_e32 v3, v4, v3
	v_cvt_f16_f32_e32 v3, v3
	s_branch .LBB229_300
.LBB229_270:
	s_mov_b32 s27, 0
                                        ; implicit-def: $vgpr3
	s_cbranch_execnz .LBB229_301
	s_branch .LBB229_302
.LBB229_271:
	s_mov_b32 s27, -1
                                        ; implicit-def: $vgpr3
.LBB229_272:
	s_branch .LBB229_274
.LBB229_273:
	s_cmp_lg_u32 s12, 0
	s_mov_b32 s26, -1
	s_cselect_b32 s27, -1, 0
.LBB229_274:
	s_delay_alu instid0(SALU_CYCLE_1)
	s_and_not1_b32 vcc_lo, exec_lo, s27
	s_cbranch_vccnz .LBB229_276
; %bb.275:
	v_max_num_f32_e64 v3, s13, s13
	v_max_num_f32_e32 v4, v1, v1
	v_max_num_f32_e64 v5, s14, s14
	s_delay_alu instid0(VALU_DEP_1) | instskip(NEXT) | instid1(VALU_DEP_1)
	v_maxmin_num_f32 v3, v4, v3, v5
	v_cvt_f16_f32_e32 v3, v3
	s_cbranch_execz .LBB229_277
	s_branch .LBB229_278
.LBB229_276:
	s_and_not1_b32 vcc_lo, exec_lo, s26
	s_cbranch_vccnz .LBB229_278
.LBB229_277:
	v_max_num_f32_e64 v3, s13, s13
	v_max_num_f32_e32 v1, v1, v1
	s_delay_alu instid0(VALU_DEP_1) | instskip(NEXT) | instid1(VALU_DEP_1)
	v_max_num_f32_e32 v1, v1, v3
	v_cvt_f16_f32_e32 v3, v1
.LBB229_278:
	s_or_b32 exec_lo, exec_lo, s18
	v_add_nc_u32_e32 v0, 0x80, v0
	global_store_b16 v2, v3, s[0:1]
	s_wait_xcnt 0x0
	s_or_b32 exec_lo, exec_lo, s5
	s_delay_alu instid0(SALU_CYCLE_1)
	s_mov_b32 s5, exec_lo
	v_cmpx_gt_i32_e64 s37, v0
	s_cbranch_execnz .LBB229_252
.LBB229_279:
	s_or_b32 exec_lo, exec_lo, s5
	s_delay_alu instid0(SALU_CYCLE_1)
	s_mov_b32 s5, exec_lo
	v_cmpx_gt_i32_e64 s37, v0
	s_cbranch_execz .LBB229_307
.LBB229_280:
	s_and_not1_b32 vcc_lo, exec_lo, s34
	s_cbranch_vccnz .LBB229_285
; %bb.281:
	s_and_not1_b32 vcc_lo, exec_lo, s39
	s_cbranch_vccnz .LBB229_286
; %bb.282:
	s_add_co_i32 s18, s38, 1
	s_cmp_eq_u32 s33, 2
	s_cbranch_scc1 .LBB229_287
; %bb.283:
	v_dual_mov_b32 v2, 0 :: v_dual_mov_b32 v3, 0
	v_mov_b32_e32 v1, v0
	s_and_b32 s26, s18, 28
	s_mov_b32 s27, 0
	s_mov_b64 s[28:29], s[16:17]
	s_mov_b64 s[30:31], s[24:25]
.LBB229_284:                            ; =>This Inner Loop Header: Depth=1
	s_clause 0x1
	s_load_b256 s[40:47], s[28:29], 0x4
	s_load_b128 s[56:59], s[28:29], 0x24
	s_load_b256 s[48:55], s[30:31], 0x0
	s_add_co_i32 s27, s27, 4
	s_wait_xcnt 0x0
	s_add_nc_u64 s[28:29], s[28:29], 48
	s_cmp_eq_u32 s26, s27
	s_add_nc_u64 s[30:31], s[30:31], 32
	s_wait_kmcnt 0x0
	v_mul_hi_u32 v4, s41, v1
	s_delay_alu instid0(VALU_DEP_1) | instskip(NEXT) | instid1(VALU_DEP_1)
	v_add_nc_u32_e32 v4, v1, v4
	v_lshrrev_b32_e32 v4, s42, v4
	s_delay_alu instid0(VALU_DEP_1) | instskip(NEXT) | instid1(VALU_DEP_1)
	v_mul_hi_u32 v5, s44, v4
	v_add_nc_u32_e32 v5, v4, v5
	s_delay_alu instid0(VALU_DEP_1) | instskip(NEXT) | instid1(VALU_DEP_1)
	v_lshrrev_b32_e32 v5, s45, v5
	v_mul_hi_u32 v6, s47, v5
	s_delay_alu instid0(VALU_DEP_1) | instskip(SKIP_1) | instid1(VALU_DEP_1)
	v_add_nc_u32_e32 v6, v5, v6
	v_mul_lo_u32 v7, v4, s40
	v_sub_nc_u32_e32 v1, v1, v7
	v_mul_lo_u32 v7, v5, s43
	s_delay_alu instid0(VALU_DEP_4) | instskip(NEXT) | instid1(VALU_DEP_3)
	v_lshrrev_b32_e32 v6, s56, v6
	v_mad_u32 v3, v1, s49, v3
	v_mad_u32 v1, v1, s48, v2
	s_delay_alu instid0(VALU_DEP_4) | instskip(NEXT) | instid1(VALU_DEP_4)
	v_sub_nc_u32_e32 v2, v4, v7
	v_mul_hi_u32 v8, s58, v6
	v_mul_lo_u32 v4, v6, s46
	s_delay_alu instid0(VALU_DEP_3) | instskip(SKIP_1) | instid1(VALU_DEP_4)
	v_mad_u32 v3, v2, s51, v3
	v_mad_u32 v2, v2, s50, v1
	v_add_nc_u32_e32 v7, v6, v8
	s_delay_alu instid0(VALU_DEP_1) | instskip(NEXT) | instid1(VALU_DEP_1)
	v_dual_sub_nc_u32 v4, v5, v4 :: v_dual_lshrrev_b32 v1, s59, v7
	v_mad_u32 v3, v4, s53, v3
	s_delay_alu instid0(VALU_DEP_4) | instskip(NEXT) | instid1(VALU_DEP_3)
	v_mad_u32 v2, v4, s52, v2
	v_mul_lo_u32 v5, v1, s57
	s_delay_alu instid0(VALU_DEP_1) | instskip(NEXT) | instid1(VALU_DEP_1)
	v_sub_nc_u32_e32 v4, v6, v5
	v_mad_u32 v3, v4, s55, v3
	s_delay_alu instid0(VALU_DEP_4)
	v_mad_u32 v2, v4, s54, v2
	s_cbranch_scc0 .LBB229_284
	s_branch .LBB229_288
.LBB229_285:
                                        ; implicit-def: $vgpr3
	s_branch .LBB229_292
.LBB229_286:
	v_dual_mov_b32 v3, 0 :: v_dual_mov_b32 v2, 0
	s_branch .LBB229_291
.LBB229_287:
	v_mov_b64_e32 v[2:3], 0
	v_mov_b32_e32 v1, v0
	s_mov_b32 s26, 0
.LBB229_288:
	s_and_b32 s18, s18, 3
	s_mov_b32 s27, 0
	s_cmp_eq_u32 s18, 0
	s_cbranch_scc1 .LBB229_291
; %bb.289:
	s_lshl_b32 s28, s26, 3
	s_mov_b32 s29, s27
	s_mul_u64 s[30:31], s[26:27], 12
	s_add_nc_u64 s[28:29], s[16:17], s[28:29]
	s_delay_alu instid0(SALU_CYCLE_1)
	s_add_nc_u64 s[26:27], s[28:29], 0xc4
	s_add_nc_u64 s[28:29], s[16:17], s[30:31]
.LBB229_290:                            ; =>This Inner Loop Header: Depth=1
	s_load_b96 s[40:42], s[28:29], 0x4
	s_load_b64 s[30:31], s[26:27], 0x0
	s_add_co_i32 s18, s18, -1
	s_wait_xcnt 0x0
	s_add_nc_u64 s[28:29], s[28:29], 12
	s_cmp_lg_u32 s18, 0
	s_add_nc_u64 s[26:27], s[26:27], 8
	s_wait_kmcnt 0x0
	v_mul_hi_u32 v4, s41, v1
	s_delay_alu instid0(VALU_DEP_1) | instskip(NEXT) | instid1(VALU_DEP_1)
	v_add_nc_u32_e32 v4, v1, v4
	v_lshrrev_b32_e32 v4, s42, v4
	s_delay_alu instid0(VALU_DEP_1) | instskip(NEXT) | instid1(VALU_DEP_1)
	v_mul_lo_u32 v5, v4, s40
	v_sub_nc_u32_e32 v1, v1, v5
	s_delay_alu instid0(VALU_DEP_1)
	v_mad_u32 v3, v1, s31, v3
	v_mad_u32 v2, v1, s30, v2
	v_mov_b32_e32 v1, v4
	s_cbranch_scc1 .LBB229_290
.LBB229_291:
	s_cbranch_execnz .LBB229_294
.LBB229_292:
	v_mov_b32_e32 v1, 0
	s_and_not1_b32 vcc_lo, exec_lo, s36
	s_delay_alu instid0(VALU_DEP_1) | instskip(NEXT) | instid1(VALU_DEP_1)
	v_mul_u64_e32 v[2:3], s[20:21], v[0:1]
	v_add_nc_u32_e32 v2, v0, v3
	s_delay_alu instid0(VALU_DEP_1) | instskip(NEXT) | instid1(VALU_DEP_1)
	v_lshrrev_b32_e32 v4, s6, v2
	v_mul_lo_u32 v2, v4, s4
	s_delay_alu instid0(VALU_DEP_1) | instskip(NEXT) | instid1(VALU_DEP_1)
	v_sub_nc_u32_e32 v2, v0, v2
	v_mul_lo_u32 v3, v2, s9
	v_mul_lo_u32 v2, v2, s8
	s_cbranch_vccnz .LBB229_294
; %bb.293:
	v_mov_b32_e32 v5, v1
	s_delay_alu instid0(VALU_DEP_1) | instskip(NEXT) | instid1(VALU_DEP_1)
	v_mul_u64_e32 v[6:7], s[22:23], v[4:5]
	v_add_nc_u32_e32 v1, v4, v7
	s_delay_alu instid0(VALU_DEP_1) | instskip(NEXT) | instid1(VALU_DEP_1)
	v_lshrrev_b32_e32 v1, s19, v1
	v_mul_lo_u32 v1, v1, s7
	s_delay_alu instid0(VALU_DEP_1) | instskip(NEXT) | instid1(VALU_DEP_1)
	v_sub_nc_u32_e32 v1, v4, v1
	v_mad_u32 v2, v1, s10, v2
	v_mad_u32 v3, v1, s11, v3
.LBB229_294:
	global_load_u16 v3, v3, s[2:3]
	s_mov_b32 s18, exec_lo
	s_wait_loadcnt 0x0
	v_cmpx_o_f16_e32 v3, v3
	s_cbranch_execz .LBB229_334
; %bb.295:
	v_cvt_f32_f16_e32 v1, v3
	s_cmp_lt_i32 s12, 1
	s_mov_b32 s26, 0
	s_cbranch_scc1 .LBB229_298
; %bb.296:
	s_cmp_eq_u32 s12, 1
	s_cbranch_scc0 .LBB229_327
; %bb.297:
	v_max_num_f32_e64 v3, s13, s13
	v_max_num_f32_e32 v4, v1, v1
	s_mov_b32 s27, 0
	s_delay_alu instid0(VALU_DEP_1) | instskip(NEXT) | instid1(VALU_DEP_1)
	v_min_num_f32_e32 v3, v4, v3
	v_cvt_f16_f32_e32 v3, v3
	s_branch .LBB229_328
.LBB229_298:
	s_mov_b32 s27, 0
                                        ; implicit-def: $vgpr3
	s_cbranch_execnz .LBB229_329
	s_branch .LBB229_330
.LBB229_299:
	s_mov_b32 s27, -1
                                        ; implicit-def: $vgpr3
.LBB229_300:
	s_branch .LBB229_302
.LBB229_301:
	s_cmp_lg_u32 s12, 0
	s_mov_b32 s26, -1
	s_cselect_b32 s27, -1, 0
.LBB229_302:
	s_delay_alu instid0(SALU_CYCLE_1)
	s_and_not1_b32 vcc_lo, exec_lo, s27
	s_cbranch_vccnz .LBB229_304
; %bb.303:
	v_max_num_f32_e64 v3, s13, s13
	v_max_num_f32_e32 v4, v1, v1
	v_max_num_f32_e64 v5, s14, s14
	s_delay_alu instid0(VALU_DEP_1) | instskip(NEXT) | instid1(VALU_DEP_1)
	v_maxmin_num_f32 v3, v4, v3, v5
	v_cvt_f16_f32_e32 v3, v3
	s_cbranch_execz .LBB229_305
	s_branch .LBB229_306
.LBB229_304:
	s_and_not1_b32 vcc_lo, exec_lo, s26
	s_cbranch_vccnz .LBB229_306
.LBB229_305:
	v_max_num_f32_e64 v3, s13, s13
	v_max_num_f32_e32 v1, v1, v1
	s_delay_alu instid0(VALU_DEP_1) | instskip(NEXT) | instid1(VALU_DEP_1)
	v_max_num_f32_e32 v1, v1, v3
	v_cvt_f16_f32_e32 v3, v1
.LBB229_306:
	s_or_b32 exec_lo, exec_lo, s18
	v_add_nc_u32_e32 v0, 0x80, v0
	global_store_b16 v2, v3, s[0:1]
	s_wait_xcnt 0x0
	s_or_b32 exec_lo, exec_lo, s5
	s_delay_alu instid0(SALU_CYCLE_1)
	s_mov_b32 s5, exec_lo
	v_cmpx_gt_i32_e64 s37, v0
	s_cbranch_execnz .LBB229_280
.LBB229_307:
	s_or_b32 exec_lo, exec_lo, s5
	s_delay_alu instid0(SALU_CYCLE_1)
	s_mov_b32 s5, exec_lo
	v_cmpx_gt_i32_e64 s37, v0
	s_cbranch_execz .LBB229_335
.LBB229_308:
	s_and_not1_b32 vcc_lo, exec_lo, s34
	s_cbranch_vccnz .LBB229_313
; %bb.309:
	s_and_not1_b32 vcc_lo, exec_lo, s39
	s_cbranch_vccnz .LBB229_314
; %bb.310:
	s_add_co_i32 s18, s38, 1
	s_cmp_eq_u32 s33, 2
	s_cbranch_scc1 .LBB229_315
; %bb.311:
	v_dual_mov_b32 v2, 0 :: v_dual_mov_b32 v3, 0
	v_mov_b32_e32 v1, v0
	s_and_b32 s26, s18, 28
	s_mov_b32 s27, 0
	s_mov_b64 s[28:29], s[16:17]
	s_mov_b64 s[30:31], s[24:25]
.LBB229_312:                            ; =>This Inner Loop Header: Depth=1
	s_clause 0x1
	s_load_b256 s[40:47], s[28:29], 0x4
	s_load_b128 s[56:59], s[28:29], 0x24
	s_load_b256 s[48:55], s[30:31], 0x0
	s_add_co_i32 s27, s27, 4
	s_wait_xcnt 0x0
	s_add_nc_u64 s[28:29], s[28:29], 48
	s_cmp_eq_u32 s26, s27
	s_add_nc_u64 s[30:31], s[30:31], 32
	s_wait_kmcnt 0x0
	v_mul_hi_u32 v4, s41, v1
	s_delay_alu instid0(VALU_DEP_1) | instskip(NEXT) | instid1(VALU_DEP_1)
	v_add_nc_u32_e32 v4, v1, v4
	v_lshrrev_b32_e32 v4, s42, v4
	s_delay_alu instid0(VALU_DEP_1) | instskip(NEXT) | instid1(VALU_DEP_1)
	v_mul_hi_u32 v5, s44, v4
	v_add_nc_u32_e32 v5, v4, v5
	s_delay_alu instid0(VALU_DEP_1) | instskip(NEXT) | instid1(VALU_DEP_1)
	v_lshrrev_b32_e32 v5, s45, v5
	v_mul_hi_u32 v6, s47, v5
	s_delay_alu instid0(VALU_DEP_1) | instskip(SKIP_1) | instid1(VALU_DEP_1)
	v_add_nc_u32_e32 v6, v5, v6
	v_mul_lo_u32 v7, v4, s40
	v_sub_nc_u32_e32 v1, v1, v7
	v_mul_lo_u32 v7, v5, s43
	s_delay_alu instid0(VALU_DEP_4) | instskip(NEXT) | instid1(VALU_DEP_3)
	v_lshrrev_b32_e32 v6, s56, v6
	v_mad_u32 v3, v1, s49, v3
	v_mad_u32 v1, v1, s48, v2
	s_delay_alu instid0(VALU_DEP_4) | instskip(NEXT) | instid1(VALU_DEP_4)
	v_sub_nc_u32_e32 v2, v4, v7
	v_mul_hi_u32 v8, s58, v6
	v_mul_lo_u32 v4, v6, s46
	s_delay_alu instid0(VALU_DEP_3) | instskip(SKIP_1) | instid1(VALU_DEP_4)
	v_mad_u32 v3, v2, s51, v3
	v_mad_u32 v2, v2, s50, v1
	v_add_nc_u32_e32 v7, v6, v8
	s_delay_alu instid0(VALU_DEP_1) | instskip(NEXT) | instid1(VALU_DEP_1)
	v_dual_sub_nc_u32 v4, v5, v4 :: v_dual_lshrrev_b32 v1, s59, v7
	v_mad_u32 v3, v4, s53, v3
	s_delay_alu instid0(VALU_DEP_4) | instskip(NEXT) | instid1(VALU_DEP_3)
	v_mad_u32 v2, v4, s52, v2
	v_mul_lo_u32 v5, v1, s57
	s_delay_alu instid0(VALU_DEP_1) | instskip(NEXT) | instid1(VALU_DEP_1)
	v_sub_nc_u32_e32 v4, v6, v5
	v_mad_u32 v3, v4, s55, v3
	s_delay_alu instid0(VALU_DEP_4)
	v_mad_u32 v2, v4, s54, v2
	s_cbranch_scc0 .LBB229_312
	s_branch .LBB229_316
.LBB229_313:
                                        ; implicit-def: $vgpr3
	s_branch .LBB229_320
.LBB229_314:
	v_dual_mov_b32 v3, 0 :: v_dual_mov_b32 v2, 0
	s_branch .LBB229_319
.LBB229_315:
	v_mov_b64_e32 v[2:3], 0
	v_mov_b32_e32 v1, v0
	s_mov_b32 s26, 0
.LBB229_316:
	s_and_b32 s18, s18, 3
	s_mov_b32 s27, 0
	s_cmp_eq_u32 s18, 0
	s_cbranch_scc1 .LBB229_319
; %bb.317:
	s_lshl_b32 s28, s26, 3
	s_mov_b32 s29, s27
	s_mul_u64 s[30:31], s[26:27], 12
	s_add_nc_u64 s[28:29], s[16:17], s[28:29]
	s_delay_alu instid0(SALU_CYCLE_1)
	s_add_nc_u64 s[26:27], s[28:29], 0xc4
	s_add_nc_u64 s[28:29], s[16:17], s[30:31]
.LBB229_318:                            ; =>This Inner Loop Header: Depth=1
	s_load_b96 s[40:42], s[28:29], 0x4
	s_load_b64 s[30:31], s[26:27], 0x0
	s_add_co_i32 s18, s18, -1
	s_wait_xcnt 0x0
	s_add_nc_u64 s[28:29], s[28:29], 12
	s_cmp_lg_u32 s18, 0
	s_add_nc_u64 s[26:27], s[26:27], 8
	s_wait_kmcnt 0x0
	v_mul_hi_u32 v4, s41, v1
	s_delay_alu instid0(VALU_DEP_1) | instskip(NEXT) | instid1(VALU_DEP_1)
	v_add_nc_u32_e32 v4, v1, v4
	v_lshrrev_b32_e32 v4, s42, v4
	s_delay_alu instid0(VALU_DEP_1) | instskip(NEXT) | instid1(VALU_DEP_1)
	v_mul_lo_u32 v5, v4, s40
	v_sub_nc_u32_e32 v1, v1, v5
	s_delay_alu instid0(VALU_DEP_1)
	v_mad_u32 v3, v1, s31, v3
	v_mad_u32 v2, v1, s30, v2
	v_mov_b32_e32 v1, v4
	s_cbranch_scc1 .LBB229_318
.LBB229_319:
	s_cbranch_execnz .LBB229_322
.LBB229_320:
	v_mov_b32_e32 v1, 0
	s_and_not1_b32 vcc_lo, exec_lo, s36
	s_delay_alu instid0(VALU_DEP_1) | instskip(NEXT) | instid1(VALU_DEP_1)
	v_mul_u64_e32 v[2:3], s[20:21], v[0:1]
	v_add_nc_u32_e32 v2, v0, v3
	s_delay_alu instid0(VALU_DEP_1) | instskip(NEXT) | instid1(VALU_DEP_1)
	v_lshrrev_b32_e32 v4, s6, v2
	v_mul_lo_u32 v2, v4, s4
	s_delay_alu instid0(VALU_DEP_1) | instskip(NEXT) | instid1(VALU_DEP_1)
	v_sub_nc_u32_e32 v2, v0, v2
	v_mul_lo_u32 v3, v2, s9
	v_mul_lo_u32 v2, v2, s8
	s_cbranch_vccnz .LBB229_322
; %bb.321:
	v_mov_b32_e32 v5, v1
	s_delay_alu instid0(VALU_DEP_1) | instskip(NEXT) | instid1(VALU_DEP_1)
	v_mul_u64_e32 v[6:7], s[22:23], v[4:5]
	v_add_nc_u32_e32 v1, v4, v7
	s_delay_alu instid0(VALU_DEP_1) | instskip(NEXT) | instid1(VALU_DEP_1)
	v_lshrrev_b32_e32 v1, s19, v1
	v_mul_lo_u32 v1, v1, s7
	s_delay_alu instid0(VALU_DEP_1) | instskip(NEXT) | instid1(VALU_DEP_1)
	v_sub_nc_u32_e32 v1, v4, v1
	v_mad_u32 v2, v1, s10, v2
	v_mad_u32 v3, v1, s11, v3
.LBB229_322:
	global_load_u16 v3, v3, s[2:3]
	s_mov_b32 s18, exec_lo
	s_wait_loadcnt 0x0
	v_cmpx_o_f16_e32 v3, v3
	s_cbranch_execz .LBB229_362
; %bb.323:
	v_cvt_f32_f16_e32 v1, v3
	s_cmp_lt_i32 s12, 1
	s_mov_b32 s26, 0
	s_cbranch_scc1 .LBB229_326
; %bb.324:
	s_cmp_eq_u32 s12, 1
	s_cbranch_scc0 .LBB229_355
; %bb.325:
	v_max_num_f32_e64 v3, s13, s13
	v_max_num_f32_e32 v4, v1, v1
	s_mov_b32 s27, 0
	s_delay_alu instid0(VALU_DEP_1) | instskip(NEXT) | instid1(VALU_DEP_1)
	v_min_num_f32_e32 v3, v4, v3
	v_cvt_f16_f32_e32 v3, v3
	s_branch .LBB229_356
.LBB229_326:
	s_mov_b32 s27, 0
                                        ; implicit-def: $vgpr3
	s_cbranch_execnz .LBB229_357
	s_branch .LBB229_358
.LBB229_327:
	s_mov_b32 s27, -1
                                        ; implicit-def: $vgpr3
.LBB229_328:
	s_branch .LBB229_330
.LBB229_329:
	s_cmp_lg_u32 s12, 0
	s_mov_b32 s26, -1
	s_cselect_b32 s27, -1, 0
.LBB229_330:
	s_delay_alu instid0(SALU_CYCLE_1)
	s_and_not1_b32 vcc_lo, exec_lo, s27
	s_cbranch_vccnz .LBB229_332
; %bb.331:
	v_max_num_f32_e64 v3, s13, s13
	v_max_num_f32_e32 v4, v1, v1
	v_max_num_f32_e64 v5, s14, s14
	s_delay_alu instid0(VALU_DEP_1) | instskip(NEXT) | instid1(VALU_DEP_1)
	v_maxmin_num_f32 v3, v4, v3, v5
	v_cvt_f16_f32_e32 v3, v3
	s_cbranch_execz .LBB229_333
	s_branch .LBB229_334
.LBB229_332:
	s_and_not1_b32 vcc_lo, exec_lo, s26
	s_cbranch_vccnz .LBB229_334
.LBB229_333:
	v_max_num_f32_e64 v3, s13, s13
	v_max_num_f32_e32 v1, v1, v1
	s_delay_alu instid0(VALU_DEP_1) | instskip(NEXT) | instid1(VALU_DEP_1)
	v_max_num_f32_e32 v1, v1, v3
	v_cvt_f16_f32_e32 v3, v1
.LBB229_334:
	s_or_b32 exec_lo, exec_lo, s18
	v_add_nc_u32_e32 v0, 0x80, v0
	global_store_b16 v2, v3, s[0:1]
	s_wait_xcnt 0x0
	s_or_b32 exec_lo, exec_lo, s5
	s_delay_alu instid0(SALU_CYCLE_1)
	s_mov_b32 s5, exec_lo
	v_cmpx_gt_i32_e64 s37, v0
	s_cbranch_execnz .LBB229_308
.LBB229_335:
	s_or_b32 exec_lo, exec_lo, s5
	s_delay_alu instid0(SALU_CYCLE_1)
	s_mov_b32 s5, exec_lo
	v_cmpx_gt_i32_e64 s37, v0
	s_cbranch_execz .LBB229_363
.LBB229_336:
	s_and_not1_b32 vcc_lo, exec_lo, s34
	s_cbranch_vccnz .LBB229_341
; %bb.337:
	s_and_not1_b32 vcc_lo, exec_lo, s39
	s_cbranch_vccnz .LBB229_342
; %bb.338:
	s_add_co_i32 s18, s38, 1
	s_cmp_eq_u32 s33, 2
	s_cbranch_scc1 .LBB229_343
; %bb.339:
	v_dual_mov_b32 v2, 0 :: v_dual_mov_b32 v3, 0
	v_mov_b32_e32 v1, v0
	s_and_b32 s26, s18, 28
	s_mov_b32 s27, 0
	s_mov_b64 s[28:29], s[16:17]
	s_mov_b64 s[30:31], s[24:25]
.LBB229_340:                            ; =>This Inner Loop Header: Depth=1
	s_clause 0x1
	s_load_b256 s[40:47], s[28:29], 0x4
	s_load_b128 s[56:59], s[28:29], 0x24
	s_load_b256 s[48:55], s[30:31], 0x0
	s_add_co_i32 s27, s27, 4
	s_wait_xcnt 0x0
	s_add_nc_u64 s[28:29], s[28:29], 48
	s_cmp_eq_u32 s26, s27
	s_add_nc_u64 s[30:31], s[30:31], 32
	s_wait_kmcnt 0x0
	v_mul_hi_u32 v4, s41, v1
	s_delay_alu instid0(VALU_DEP_1) | instskip(NEXT) | instid1(VALU_DEP_1)
	v_add_nc_u32_e32 v4, v1, v4
	v_lshrrev_b32_e32 v4, s42, v4
	s_delay_alu instid0(VALU_DEP_1) | instskip(NEXT) | instid1(VALU_DEP_1)
	v_mul_hi_u32 v5, s44, v4
	v_add_nc_u32_e32 v5, v4, v5
	s_delay_alu instid0(VALU_DEP_1) | instskip(NEXT) | instid1(VALU_DEP_1)
	v_lshrrev_b32_e32 v5, s45, v5
	v_mul_hi_u32 v6, s47, v5
	s_delay_alu instid0(VALU_DEP_1) | instskip(SKIP_1) | instid1(VALU_DEP_1)
	v_add_nc_u32_e32 v6, v5, v6
	v_mul_lo_u32 v7, v4, s40
	v_sub_nc_u32_e32 v1, v1, v7
	v_mul_lo_u32 v7, v5, s43
	s_delay_alu instid0(VALU_DEP_4) | instskip(NEXT) | instid1(VALU_DEP_3)
	v_lshrrev_b32_e32 v6, s56, v6
	v_mad_u32 v3, v1, s49, v3
	v_mad_u32 v1, v1, s48, v2
	s_delay_alu instid0(VALU_DEP_4) | instskip(NEXT) | instid1(VALU_DEP_4)
	v_sub_nc_u32_e32 v2, v4, v7
	v_mul_hi_u32 v8, s58, v6
	v_mul_lo_u32 v4, v6, s46
	s_delay_alu instid0(VALU_DEP_3) | instskip(SKIP_1) | instid1(VALU_DEP_4)
	v_mad_u32 v3, v2, s51, v3
	v_mad_u32 v2, v2, s50, v1
	v_add_nc_u32_e32 v7, v6, v8
	s_delay_alu instid0(VALU_DEP_1) | instskip(NEXT) | instid1(VALU_DEP_1)
	v_dual_sub_nc_u32 v4, v5, v4 :: v_dual_lshrrev_b32 v1, s59, v7
	v_mad_u32 v3, v4, s53, v3
	s_delay_alu instid0(VALU_DEP_4) | instskip(NEXT) | instid1(VALU_DEP_3)
	v_mad_u32 v2, v4, s52, v2
	v_mul_lo_u32 v5, v1, s57
	s_delay_alu instid0(VALU_DEP_1) | instskip(NEXT) | instid1(VALU_DEP_1)
	v_sub_nc_u32_e32 v4, v6, v5
	v_mad_u32 v3, v4, s55, v3
	s_delay_alu instid0(VALU_DEP_4)
	v_mad_u32 v2, v4, s54, v2
	s_cbranch_scc0 .LBB229_340
	s_branch .LBB229_344
.LBB229_341:
                                        ; implicit-def: $vgpr3
	s_branch .LBB229_348
.LBB229_342:
	v_dual_mov_b32 v3, 0 :: v_dual_mov_b32 v2, 0
	s_branch .LBB229_347
.LBB229_343:
	v_mov_b64_e32 v[2:3], 0
	v_mov_b32_e32 v1, v0
	s_mov_b32 s26, 0
.LBB229_344:
	s_and_b32 s18, s18, 3
	s_mov_b32 s27, 0
	s_cmp_eq_u32 s18, 0
	s_cbranch_scc1 .LBB229_347
; %bb.345:
	s_lshl_b32 s28, s26, 3
	s_mov_b32 s29, s27
	s_mul_u64 s[30:31], s[26:27], 12
	s_add_nc_u64 s[28:29], s[16:17], s[28:29]
	s_delay_alu instid0(SALU_CYCLE_1)
	s_add_nc_u64 s[26:27], s[28:29], 0xc4
	s_add_nc_u64 s[28:29], s[16:17], s[30:31]
.LBB229_346:                            ; =>This Inner Loop Header: Depth=1
	s_load_b96 s[40:42], s[28:29], 0x4
	s_load_b64 s[30:31], s[26:27], 0x0
	s_add_co_i32 s18, s18, -1
	s_wait_xcnt 0x0
	s_add_nc_u64 s[28:29], s[28:29], 12
	s_cmp_lg_u32 s18, 0
	s_add_nc_u64 s[26:27], s[26:27], 8
	s_wait_kmcnt 0x0
	v_mul_hi_u32 v4, s41, v1
	s_delay_alu instid0(VALU_DEP_1) | instskip(NEXT) | instid1(VALU_DEP_1)
	v_add_nc_u32_e32 v4, v1, v4
	v_lshrrev_b32_e32 v4, s42, v4
	s_delay_alu instid0(VALU_DEP_1) | instskip(NEXT) | instid1(VALU_DEP_1)
	v_mul_lo_u32 v5, v4, s40
	v_sub_nc_u32_e32 v1, v1, v5
	s_delay_alu instid0(VALU_DEP_1)
	v_mad_u32 v3, v1, s31, v3
	v_mad_u32 v2, v1, s30, v2
	v_mov_b32_e32 v1, v4
	s_cbranch_scc1 .LBB229_346
.LBB229_347:
	s_cbranch_execnz .LBB229_350
.LBB229_348:
	v_mov_b32_e32 v1, 0
	s_and_not1_b32 vcc_lo, exec_lo, s36
	s_delay_alu instid0(VALU_DEP_1) | instskip(NEXT) | instid1(VALU_DEP_1)
	v_mul_u64_e32 v[2:3], s[20:21], v[0:1]
	v_add_nc_u32_e32 v2, v0, v3
	s_delay_alu instid0(VALU_DEP_1) | instskip(NEXT) | instid1(VALU_DEP_1)
	v_lshrrev_b32_e32 v4, s6, v2
	v_mul_lo_u32 v2, v4, s4
	s_delay_alu instid0(VALU_DEP_1) | instskip(NEXT) | instid1(VALU_DEP_1)
	v_sub_nc_u32_e32 v2, v0, v2
	v_mul_lo_u32 v3, v2, s9
	v_mul_lo_u32 v2, v2, s8
	s_cbranch_vccnz .LBB229_350
; %bb.349:
	v_mov_b32_e32 v5, v1
	s_delay_alu instid0(VALU_DEP_1) | instskip(NEXT) | instid1(VALU_DEP_1)
	v_mul_u64_e32 v[6:7], s[22:23], v[4:5]
	v_add_nc_u32_e32 v1, v4, v7
	s_delay_alu instid0(VALU_DEP_1) | instskip(NEXT) | instid1(VALU_DEP_1)
	v_lshrrev_b32_e32 v1, s19, v1
	v_mul_lo_u32 v1, v1, s7
	s_delay_alu instid0(VALU_DEP_1) | instskip(NEXT) | instid1(VALU_DEP_1)
	v_sub_nc_u32_e32 v1, v4, v1
	v_mad_u32 v2, v1, s10, v2
	v_mad_u32 v3, v1, s11, v3
.LBB229_350:
	global_load_u16 v3, v3, s[2:3]
	s_mov_b32 s18, exec_lo
	s_wait_loadcnt 0x0
	v_cmpx_o_f16_e32 v3, v3
	s_cbranch_execz .LBB229_390
; %bb.351:
	v_cvt_f32_f16_e32 v1, v3
	s_cmp_lt_i32 s12, 1
	s_mov_b32 s26, 0
	s_cbranch_scc1 .LBB229_354
; %bb.352:
	s_cmp_eq_u32 s12, 1
	s_cbranch_scc0 .LBB229_383
; %bb.353:
	v_max_num_f32_e64 v3, s13, s13
	v_max_num_f32_e32 v4, v1, v1
	s_mov_b32 s27, 0
	s_delay_alu instid0(VALU_DEP_1) | instskip(NEXT) | instid1(VALU_DEP_1)
	v_min_num_f32_e32 v3, v4, v3
	v_cvt_f16_f32_e32 v3, v3
	s_branch .LBB229_384
.LBB229_354:
	s_mov_b32 s27, 0
                                        ; implicit-def: $vgpr3
	s_cbranch_execnz .LBB229_385
	s_branch .LBB229_386
.LBB229_355:
	s_mov_b32 s27, -1
                                        ; implicit-def: $vgpr3
.LBB229_356:
	s_branch .LBB229_358
.LBB229_357:
	s_cmp_lg_u32 s12, 0
	s_mov_b32 s26, -1
	s_cselect_b32 s27, -1, 0
.LBB229_358:
	s_delay_alu instid0(SALU_CYCLE_1)
	s_and_not1_b32 vcc_lo, exec_lo, s27
	s_cbranch_vccnz .LBB229_360
; %bb.359:
	v_max_num_f32_e64 v3, s13, s13
	v_max_num_f32_e32 v4, v1, v1
	v_max_num_f32_e64 v5, s14, s14
	s_delay_alu instid0(VALU_DEP_1) | instskip(NEXT) | instid1(VALU_DEP_1)
	v_maxmin_num_f32 v3, v4, v3, v5
	v_cvt_f16_f32_e32 v3, v3
	s_cbranch_execz .LBB229_361
	s_branch .LBB229_362
.LBB229_360:
	s_and_not1_b32 vcc_lo, exec_lo, s26
	s_cbranch_vccnz .LBB229_362
.LBB229_361:
	v_max_num_f32_e64 v3, s13, s13
	v_max_num_f32_e32 v1, v1, v1
	s_delay_alu instid0(VALU_DEP_1) | instskip(NEXT) | instid1(VALU_DEP_1)
	v_max_num_f32_e32 v1, v1, v3
	v_cvt_f16_f32_e32 v3, v1
.LBB229_362:
	s_or_b32 exec_lo, exec_lo, s18
	v_add_nc_u32_e32 v0, 0x80, v0
	global_store_b16 v2, v3, s[0:1]
	s_wait_xcnt 0x0
	s_or_b32 exec_lo, exec_lo, s5
	s_delay_alu instid0(SALU_CYCLE_1)
	s_mov_b32 s5, exec_lo
	v_cmpx_gt_i32_e64 s37, v0
	s_cbranch_execnz .LBB229_336
.LBB229_363:
	s_or_b32 exec_lo, exec_lo, s5
	s_delay_alu instid0(SALU_CYCLE_1)
	s_mov_b32 s5, exec_lo
	v_cmpx_gt_i32_e64 s37, v0
	s_cbranch_execz .LBB229_391
.LBB229_364:
	s_and_not1_b32 vcc_lo, exec_lo, s34
	s_cbranch_vccnz .LBB229_369
; %bb.365:
	s_and_not1_b32 vcc_lo, exec_lo, s39
	s_cbranch_vccnz .LBB229_370
; %bb.366:
	s_add_co_i32 s18, s38, 1
	s_cmp_eq_u32 s33, 2
	s_cbranch_scc1 .LBB229_371
; %bb.367:
	v_dual_mov_b32 v2, 0 :: v_dual_mov_b32 v3, 0
	v_mov_b32_e32 v1, v0
	s_and_b32 s26, s18, 28
	s_mov_b32 s27, 0
	s_mov_b64 s[28:29], s[16:17]
	s_mov_b64 s[30:31], s[24:25]
.LBB229_368:                            ; =>This Inner Loop Header: Depth=1
	s_clause 0x1
	s_load_b256 s[40:47], s[28:29], 0x4
	s_load_b128 s[56:59], s[28:29], 0x24
	s_load_b256 s[48:55], s[30:31], 0x0
	s_add_co_i32 s27, s27, 4
	s_wait_xcnt 0x0
	s_add_nc_u64 s[28:29], s[28:29], 48
	s_cmp_eq_u32 s26, s27
	s_add_nc_u64 s[30:31], s[30:31], 32
	s_wait_kmcnt 0x0
	v_mul_hi_u32 v4, s41, v1
	s_delay_alu instid0(VALU_DEP_1) | instskip(NEXT) | instid1(VALU_DEP_1)
	v_add_nc_u32_e32 v4, v1, v4
	v_lshrrev_b32_e32 v4, s42, v4
	s_delay_alu instid0(VALU_DEP_1) | instskip(NEXT) | instid1(VALU_DEP_1)
	v_mul_hi_u32 v5, s44, v4
	v_add_nc_u32_e32 v5, v4, v5
	s_delay_alu instid0(VALU_DEP_1) | instskip(NEXT) | instid1(VALU_DEP_1)
	v_lshrrev_b32_e32 v5, s45, v5
	v_mul_hi_u32 v6, s47, v5
	s_delay_alu instid0(VALU_DEP_1) | instskip(SKIP_1) | instid1(VALU_DEP_1)
	v_add_nc_u32_e32 v6, v5, v6
	v_mul_lo_u32 v7, v4, s40
	v_sub_nc_u32_e32 v1, v1, v7
	v_mul_lo_u32 v7, v5, s43
	s_delay_alu instid0(VALU_DEP_4) | instskip(NEXT) | instid1(VALU_DEP_3)
	v_lshrrev_b32_e32 v6, s56, v6
	v_mad_u32 v3, v1, s49, v3
	v_mad_u32 v1, v1, s48, v2
	s_delay_alu instid0(VALU_DEP_4) | instskip(NEXT) | instid1(VALU_DEP_4)
	v_sub_nc_u32_e32 v2, v4, v7
	v_mul_hi_u32 v8, s58, v6
	v_mul_lo_u32 v4, v6, s46
	s_delay_alu instid0(VALU_DEP_3) | instskip(SKIP_1) | instid1(VALU_DEP_4)
	v_mad_u32 v3, v2, s51, v3
	v_mad_u32 v2, v2, s50, v1
	v_add_nc_u32_e32 v7, v6, v8
	s_delay_alu instid0(VALU_DEP_1) | instskip(NEXT) | instid1(VALU_DEP_1)
	v_dual_sub_nc_u32 v4, v5, v4 :: v_dual_lshrrev_b32 v1, s59, v7
	v_mad_u32 v3, v4, s53, v3
	s_delay_alu instid0(VALU_DEP_4) | instskip(NEXT) | instid1(VALU_DEP_3)
	v_mad_u32 v2, v4, s52, v2
	v_mul_lo_u32 v5, v1, s57
	s_delay_alu instid0(VALU_DEP_1) | instskip(NEXT) | instid1(VALU_DEP_1)
	v_sub_nc_u32_e32 v4, v6, v5
	v_mad_u32 v3, v4, s55, v3
	s_delay_alu instid0(VALU_DEP_4)
	v_mad_u32 v2, v4, s54, v2
	s_cbranch_scc0 .LBB229_368
	s_branch .LBB229_372
.LBB229_369:
                                        ; implicit-def: $vgpr3
	s_branch .LBB229_376
.LBB229_370:
	v_dual_mov_b32 v3, 0 :: v_dual_mov_b32 v2, 0
	s_branch .LBB229_375
.LBB229_371:
	v_mov_b64_e32 v[2:3], 0
	v_mov_b32_e32 v1, v0
	s_mov_b32 s26, 0
.LBB229_372:
	s_and_b32 s18, s18, 3
	s_mov_b32 s27, 0
	s_cmp_eq_u32 s18, 0
	s_cbranch_scc1 .LBB229_375
; %bb.373:
	s_lshl_b32 s28, s26, 3
	s_mov_b32 s29, s27
	s_mul_u64 s[30:31], s[26:27], 12
	s_add_nc_u64 s[28:29], s[16:17], s[28:29]
	s_delay_alu instid0(SALU_CYCLE_1)
	s_add_nc_u64 s[26:27], s[28:29], 0xc4
	s_add_nc_u64 s[28:29], s[16:17], s[30:31]
.LBB229_374:                            ; =>This Inner Loop Header: Depth=1
	s_load_b96 s[40:42], s[28:29], 0x4
	s_load_b64 s[30:31], s[26:27], 0x0
	s_add_co_i32 s18, s18, -1
	s_wait_xcnt 0x0
	s_add_nc_u64 s[28:29], s[28:29], 12
	s_cmp_lg_u32 s18, 0
	s_add_nc_u64 s[26:27], s[26:27], 8
	s_wait_kmcnt 0x0
	v_mul_hi_u32 v4, s41, v1
	s_delay_alu instid0(VALU_DEP_1) | instskip(NEXT) | instid1(VALU_DEP_1)
	v_add_nc_u32_e32 v4, v1, v4
	v_lshrrev_b32_e32 v4, s42, v4
	s_delay_alu instid0(VALU_DEP_1) | instskip(NEXT) | instid1(VALU_DEP_1)
	v_mul_lo_u32 v5, v4, s40
	v_sub_nc_u32_e32 v1, v1, v5
	s_delay_alu instid0(VALU_DEP_1)
	v_mad_u32 v3, v1, s31, v3
	v_mad_u32 v2, v1, s30, v2
	v_mov_b32_e32 v1, v4
	s_cbranch_scc1 .LBB229_374
.LBB229_375:
	s_cbranch_execnz .LBB229_378
.LBB229_376:
	v_mov_b32_e32 v1, 0
	s_and_not1_b32 vcc_lo, exec_lo, s36
	s_delay_alu instid0(VALU_DEP_1) | instskip(NEXT) | instid1(VALU_DEP_1)
	v_mul_u64_e32 v[2:3], s[20:21], v[0:1]
	v_add_nc_u32_e32 v2, v0, v3
	s_delay_alu instid0(VALU_DEP_1) | instskip(NEXT) | instid1(VALU_DEP_1)
	v_lshrrev_b32_e32 v4, s6, v2
	v_mul_lo_u32 v2, v4, s4
	s_delay_alu instid0(VALU_DEP_1) | instskip(NEXT) | instid1(VALU_DEP_1)
	v_sub_nc_u32_e32 v2, v0, v2
	v_mul_lo_u32 v3, v2, s9
	v_mul_lo_u32 v2, v2, s8
	s_cbranch_vccnz .LBB229_378
; %bb.377:
	v_mov_b32_e32 v5, v1
	s_delay_alu instid0(VALU_DEP_1) | instskip(NEXT) | instid1(VALU_DEP_1)
	v_mul_u64_e32 v[6:7], s[22:23], v[4:5]
	v_add_nc_u32_e32 v1, v4, v7
	s_delay_alu instid0(VALU_DEP_1) | instskip(NEXT) | instid1(VALU_DEP_1)
	v_lshrrev_b32_e32 v1, s19, v1
	v_mul_lo_u32 v1, v1, s7
	s_delay_alu instid0(VALU_DEP_1) | instskip(NEXT) | instid1(VALU_DEP_1)
	v_sub_nc_u32_e32 v1, v4, v1
	v_mad_u32 v2, v1, s10, v2
	v_mad_u32 v3, v1, s11, v3
.LBB229_378:
	global_load_u16 v3, v3, s[2:3]
	s_mov_b32 s18, exec_lo
	s_wait_loadcnt 0x0
	v_cmpx_o_f16_e32 v3, v3
	s_cbranch_execz .LBB229_401
; %bb.379:
	v_cvt_f32_f16_e32 v1, v3
	s_cmp_lt_i32 s12, 1
	s_mov_b32 s26, 0
	s_cbranch_scc1 .LBB229_382
; %bb.380:
	s_cmp_eq_u32 s12, 1
	s_cbranch_scc0 .LBB229_394
; %bb.381:
	v_max_num_f32_e64 v3, s13, s13
	v_max_num_f32_e32 v4, v1, v1
	s_mov_b32 s27, 0
	s_delay_alu instid0(VALU_DEP_1) | instskip(NEXT) | instid1(VALU_DEP_1)
	v_min_num_f32_e32 v3, v4, v3
	v_cvt_f16_f32_e32 v3, v3
	s_branch .LBB229_395
.LBB229_382:
	s_mov_b32 s27, 0
                                        ; implicit-def: $vgpr3
	s_cbranch_execnz .LBB229_396
	s_branch .LBB229_397
.LBB229_383:
	s_mov_b32 s27, -1
                                        ; implicit-def: $vgpr3
.LBB229_384:
	s_branch .LBB229_386
.LBB229_385:
	s_cmp_lg_u32 s12, 0
	s_mov_b32 s26, -1
	s_cselect_b32 s27, -1, 0
.LBB229_386:
	s_delay_alu instid0(SALU_CYCLE_1)
	s_and_not1_b32 vcc_lo, exec_lo, s27
	s_cbranch_vccnz .LBB229_388
; %bb.387:
	v_max_num_f32_e64 v3, s13, s13
	v_max_num_f32_e32 v4, v1, v1
	v_max_num_f32_e64 v5, s14, s14
	s_delay_alu instid0(VALU_DEP_1) | instskip(NEXT) | instid1(VALU_DEP_1)
	v_maxmin_num_f32 v3, v4, v3, v5
	v_cvt_f16_f32_e32 v3, v3
	s_cbranch_execz .LBB229_389
	s_branch .LBB229_390
.LBB229_388:
	s_and_not1_b32 vcc_lo, exec_lo, s26
	s_cbranch_vccnz .LBB229_390
.LBB229_389:
	v_max_num_f32_e64 v3, s13, s13
	v_max_num_f32_e32 v1, v1, v1
	s_delay_alu instid0(VALU_DEP_1) | instskip(NEXT) | instid1(VALU_DEP_1)
	v_max_num_f32_e32 v1, v1, v3
	v_cvt_f16_f32_e32 v3, v1
.LBB229_390:
	s_or_b32 exec_lo, exec_lo, s18
	v_add_nc_u32_e32 v0, 0x80, v0
	global_store_b16 v2, v3, s[0:1]
	s_wait_xcnt 0x0
	s_or_b32 exec_lo, exec_lo, s5
	s_delay_alu instid0(SALU_CYCLE_1)
	s_mov_b32 s5, exec_lo
	v_cmpx_gt_i32_e64 s37, v0
	s_cbranch_execnz .LBB229_364
.LBB229_391:
	s_or_b32 exec_lo, exec_lo, s5
	s_delay_alu instid0(SALU_CYCLE_1)
	s_mov_b32 s5, exec_lo
	v_cmpx_gt_i32_e64 s37, v0
	s_cbranch_execnz .LBB229_402
.LBB229_392:
	s_or_b32 exec_lo, exec_lo, s5
                                        ; implicit-def: $vgpr16
                                        ; implicit-def: $vgpr0
	s_and_not1_saveexec_b32 s0, s35
	s_cbranch_execnz .LBB229_8
.LBB229_393:
	s_endpgm
.LBB229_394:
	s_mov_b32 s27, -1
                                        ; implicit-def: $vgpr3
.LBB229_395:
	s_branch .LBB229_397
.LBB229_396:
	s_cmp_lg_u32 s12, 0
	s_mov_b32 s26, -1
	s_cselect_b32 s27, -1, 0
.LBB229_397:
	s_delay_alu instid0(SALU_CYCLE_1)
	s_and_not1_b32 vcc_lo, exec_lo, s27
	s_cbranch_vccnz .LBB229_399
; %bb.398:
	v_max_num_f32_e64 v3, s13, s13
	v_max_num_f32_e32 v4, v1, v1
	v_max_num_f32_e64 v5, s14, s14
	s_delay_alu instid0(VALU_DEP_1) | instskip(NEXT) | instid1(VALU_DEP_1)
	v_maxmin_num_f32 v3, v4, v3, v5
	v_cvt_f16_f32_e32 v3, v3
	s_cbranch_execz .LBB229_400
	s_branch .LBB229_401
.LBB229_399:
	s_and_not1_b32 vcc_lo, exec_lo, s26
	s_cbranch_vccnz .LBB229_401
.LBB229_400:
	v_max_num_f32_e64 v3, s13, s13
	v_max_num_f32_e32 v1, v1, v1
	s_delay_alu instid0(VALU_DEP_1) | instskip(NEXT) | instid1(VALU_DEP_1)
	v_max_num_f32_e32 v1, v1, v3
	v_cvt_f16_f32_e32 v3, v1
.LBB229_401:
	s_or_b32 exec_lo, exec_lo, s18
	v_add_nc_u32_e32 v0, 0x80, v0
	global_store_b16 v2, v3, s[0:1]
	s_wait_xcnt 0x0
	s_or_b32 exec_lo, exec_lo, s5
	s_delay_alu instid0(SALU_CYCLE_1)
	s_mov_b32 s5, exec_lo
	v_cmpx_gt_i32_e64 s37, v0
	s_cbranch_execz .LBB229_392
.LBB229_402:
	s_and_not1_b32 vcc_lo, exec_lo, s34
	s_cbranch_vccnz .LBB229_407
; %bb.403:
	s_and_not1_b32 vcc_lo, exec_lo, s39
	s_cbranch_vccnz .LBB229_408
; %bb.404:
	s_add_co_i32 s38, s38, 1
	s_cmp_eq_u32 s33, 2
	s_cbranch_scc1 .LBB229_409
; %bb.405:
	v_dual_mov_b32 v2, 0 :: v_dual_mov_b32 v3, 0
	v_mov_b32_e32 v1, v0
	s_and_b32 s26, s38, 28
	s_mov_b32 s18, 0
	s_mov_b64 s[28:29], s[16:17]
.LBB229_406:                            ; =>This Inner Loop Header: Depth=1
	s_clause 0x1
	s_load_b256 s[40:47], s[28:29], 0x4
	s_load_b128 s[56:59], s[28:29], 0x24
	s_load_b256 s[48:55], s[24:25], 0x0
	s_add_co_i32 s18, s18, 4
	s_wait_xcnt 0x0
	s_add_nc_u64 s[28:29], s[28:29], 48
	s_cmp_eq_u32 s26, s18
	s_add_nc_u64 s[24:25], s[24:25], 32
	s_wait_kmcnt 0x0
	v_mul_hi_u32 v4, s41, v1
	s_delay_alu instid0(VALU_DEP_1) | instskip(NEXT) | instid1(VALU_DEP_1)
	v_add_nc_u32_e32 v4, v1, v4
	v_lshrrev_b32_e32 v4, s42, v4
	s_delay_alu instid0(VALU_DEP_1) | instskip(NEXT) | instid1(VALU_DEP_1)
	v_mul_hi_u32 v5, s44, v4
	v_add_nc_u32_e32 v5, v4, v5
	s_delay_alu instid0(VALU_DEP_1) | instskip(NEXT) | instid1(VALU_DEP_1)
	v_lshrrev_b32_e32 v5, s45, v5
	v_mul_hi_u32 v6, s47, v5
	s_delay_alu instid0(VALU_DEP_1) | instskip(SKIP_1) | instid1(VALU_DEP_1)
	v_add_nc_u32_e32 v6, v5, v6
	v_mul_lo_u32 v7, v4, s40
	v_sub_nc_u32_e32 v1, v1, v7
	v_mul_lo_u32 v7, v5, s43
	s_delay_alu instid0(VALU_DEP_4) | instskip(NEXT) | instid1(VALU_DEP_3)
	v_lshrrev_b32_e32 v6, s56, v6
	v_mad_u32 v3, v1, s49, v3
	v_mad_u32 v1, v1, s48, v2
	s_delay_alu instid0(VALU_DEP_4) | instskip(NEXT) | instid1(VALU_DEP_4)
	v_sub_nc_u32_e32 v2, v4, v7
	v_mul_hi_u32 v8, s58, v6
	v_mul_lo_u32 v4, v6, s46
	s_delay_alu instid0(VALU_DEP_3) | instskip(SKIP_1) | instid1(VALU_DEP_4)
	v_mad_u32 v3, v2, s51, v3
	v_mad_u32 v2, v2, s50, v1
	v_add_nc_u32_e32 v7, v6, v8
	s_delay_alu instid0(VALU_DEP_1) | instskip(NEXT) | instid1(VALU_DEP_1)
	v_dual_sub_nc_u32 v4, v5, v4 :: v_dual_lshrrev_b32 v1, s59, v7
	v_mad_u32 v3, v4, s53, v3
	s_delay_alu instid0(VALU_DEP_4) | instskip(NEXT) | instid1(VALU_DEP_3)
	v_mad_u32 v2, v4, s52, v2
	v_mul_lo_u32 v5, v1, s57
	s_delay_alu instid0(VALU_DEP_1) | instskip(NEXT) | instid1(VALU_DEP_1)
	v_sub_nc_u32_e32 v4, v6, v5
	v_mad_u32 v3, v4, s55, v3
	s_delay_alu instid0(VALU_DEP_4)
	v_mad_u32 v2, v4, s54, v2
	s_cbranch_scc0 .LBB229_406
	s_branch .LBB229_410
.LBB229_407:
                                        ; implicit-def: $vgpr3
	s_branch .LBB229_414
.LBB229_408:
	v_dual_mov_b32 v3, 0 :: v_dual_mov_b32 v2, 0
	s_branch .LBB229_413
.LBB229_409:
	v_mov_b64_e32 v[2:3], 0
	v_mov_b32_e32 v1, v0
	s_mov_b32 s26, 0
.LBB229_410:
	s_and_b32 s18, s38, 3
	s_mov_b32 s27, 0
	s_cmp_eq_u32 s18, 0
	s_cbranch_scc1 .LBB229_413
; %bb.411:
	s_lshl_b32 s24, s26, 3
	s_mov_b32 s25, s27
	s_mul_u64 s[26:27], s[26:27], 12
	s_add_nc_u64 s[24:25], s[16:17], s[24:25]
	s_add_nc_u64 s[26:27], s[16:17], s[26:27]
	;; [unrolled: 1-line block ×3, first 2 shown]
.LBB229_412:                            ; =>This Inner Loop Header: Depth=1
	s_load_b96 s[28:30], s[26:27], 0x4
	s_add_co_i32 s18, s18, -1
	s_wait_xcnt 0x0
	s_add_nc_u64 s[26:27], s[26:27], 12
	s_cmp_lg_u32 s18, 0
	s_wait_kmcnt 0x0
	v_mul_hi_u32 v4, s29, v1
	s_delay_alu instid0(VALU_DEP_1) | instskip(NEXT) | instid1(VALU_DEP_1)
	v_add_nc_u32_e32 v4, v1, v4
	v_lshrrev_b32_e32 v4, s30, v4
	s_load_b64 s[30:31], s[24:25], 0x0
	s_wait_xcnt 0x0
	s_add_nc_u64 s[24:25], s[24:25], 8
	s_delay_alu instid0(VALU_DEP_1) | instskip(NEXT) | instid1(VALU_DEP_1)
	v_mul_lo_u32 v5, v4, s28
	v_sub_nc_u32_e32 v1, v1, v5
	s_wait_kmcnt 0x0
	s_delay_alu instid0(VALU_DEP_1)
	v_mad_u32 v3, v1, s31, v3
	v_mad_u32 v2, v1, s30, v2
	v_mov_b32_e32 v1, v4
	s_cbranch_scc1 .LBB229_412
.LBB229_413:
	s_cbranch_execnz .LBB229_416
.LBB229_414:
	v_mov_b32_e32 v1, 0
	s_and_not1_b32 vcc_lo, exec_lo, s36
	s_delay_alu instid0(VALU_DEP_1) | instskip(NEXT) | instid1(VALU_DEP_1)
	v_mul_u64_e32 v[2:3], s[20:21], v[0:1]
	v_add_nc_u32_e32 v2, v0, v3
	s_delay_alu instid0(VALU_DEP_1) | instskip(NEXT) | instid1(VALU_DEP_1)
	v_lshrrev_b32_e32 v4, s6, v2
	v_mul_lo_u32 v2, v4, s4
	s_delay_alu instid0(VALU_DEP_1) | instskip(NEXT) | instid1(VALU_DEP_1)
	v_sub_nc_u32_e32 v0, v0, v2
	v_mul_lo_u32 v3, v0, s9
	v_mul_lo_u32 v2, v0, s8
	s_cbranch_vccnz .LBB229_416
; %bb.415:
	v_mov_b32_e32 v5, v1
	s_delay_alu instid0(VALU_DEP_1) | instskip(NEXT) | instid1(VALU_DEP_1)
	v_mul_u64_e32 v[0:1], s[22:23], v[4:5]
	v_add_nc_u32_e32 v0, v4, v1
	s_delay_alu instid0(VALU_DEP_1) | instskip(NEXT) | instid1(VALU_DEP_1)
	v_lshrrev_b32_e32 v0, s19, v0
	v_mul_lo_u32 v0, v0, s7
	s_delay_alu instid0(VALU_DEP_1) | instskip(NEXT) | instid1(VALU_DEP_1)
	v_sub_nc_u32_e32 v0, v4, v0
	v_mad_u32 v2, v0, s10, v2
	v_mad_u32 v3, v0, s11, v3
.LBB229_416:
	global_load_u16 v1, v3, s[2:3]
	s_wait_xcnt 0x0
	s_mov_b32 s2, exec_lo
	s_wait_loadcnt 0x0
	v_cmpx_o_f16_e32 v1, v1
	s_cbranch_execz .LBB229_428
; %bb.417:
	v_cvt_f32_f16_e32 v0, v1
	s_cmp_lt_i32 s12, 1
	s_mov_b32 s3, 0
	s_cbranch_scc1 .LBB229_420
; %bb.418:
	s_cmp_eq_u32 s12, 1
	s_cbranch_scc0 .LBB229_421
; %bb.419:
	v_max_num_f32_e64 v1, s13, s13
	v_max_num_f32_e32 v3, v0, v0
	s_mov_b32 s4, 0
	s_delay_alu instid0(VALU_DEP_1) | instskip(NEXT) | instid1(VALU_DEP_1)
	v_min_num_f32_e32 v1, v3, v1
	v_cvt_f16_f32_e32 v1, v1
	s_branch .LBB229_422
.LBB229_420:
	s_mov_b32 s4, 0
                                        ; implicit-def: $vgpr1
	s_cbranch_execnz .LBB229_423
	s_branch .LBB229_424
.LBB229_421:
	s_mov_b32 s4, -1
                                        ; implicit-def: $vgpr1
.LBB229_422:
	s_branch .LBB229_424
.LBB229_423:
	s_cmp_lg_u32 s12, 0
	s_mov_b32 s3, -1
	s_cselect_b32 s4, -1, 0
.LBB229_424:
	s_delay_alu instid0(SALU_CYCLE_1)
	s_and_not1_b32 vcc_lo, exec_lo, s4
	s_cbranch_vccnz .LBB229_426
; %bb.425:
	v_max_num_f32_e64 v1, s13, s13
	v_max_num_f32_e32 v3, v0, v0
	v_max_num_f32_e64 v4, s14, s14
	s_delay_alu instid0(VALU_DEP_1) | instskip(NEXT) | instid1(VALU_DEP_1)
	v_maxmin_num_f32 v1, v3, v1, v4
	v_cvt_f16_f32_e32 v1, v1
	s_cbranch_execz .LBB229_427
	s_branch .LBB229_428
.LBB229_426:
	s_and_not1_b32 vcc_lo, exec_lo, s3
	s_cbranch_vccnz .LBB229_428
.LBB229_427:
	v_max_num_f32_e64 v1, s13, s13
	v_max_num_f32_e32 v0, v0, v0
	s_delay_alu instid0(VALU_DEP_1) | instskip(NEXT) | instid1(VALU_DEP_1)
	v_max_num_f32_e32 v0, v0, v1
	v_cvt_f16_f32_e32 v1, v0
.LBB229_428:
	s_or_b32 exec_lo, exec_lo, s2
	global_store_b16 v2, v1, s[0:1]
	s_wait_xcnt 0x0
	s_or_b32 exec_lo, exec_lo, s5
                                        ; implicit-def: $vgpr16
                                        ; implicit-def: $vgpr0
	s_and_not1_saveexec_b32 s0, s35
	s_cbranch_execz .LBB229_393
	s_branch .LBB229_8
	.section	.rodata,"a",@progbits
	.p2align	6, 0x0
	.amdhsa_kernel _ZN2at6native32elementwise_kernel_manual_unrollILi128ELi8EZNS0_22gpu_kernel_impl_nocastIZZZNS0_12_GLOBAL__N_119launch_clamp_scalarERNS_18TensorIteratorBaseEN3c106ScalarES7_NS0_6detail11ClampLimitsEENKUlvE_clEvENKUlvE6_clEvEUlNS6_4HalfEE_EEvS5_RKT_EUlibE_EEviT1_
		.amdhsa_group_segment_fixed_size 0
		.amdhsa_private_segment_fixed_size 0
		.amdhsa_kernarg_size 368
		.amdhsa_user_sgpr_count 2
		.amdhsa_user_sgpr_dispatch_ptr 0
		.amdhsa_user_sgpr_queue_ptr 0
		.amdhsa_user_sgpr_kernarg_segment_ptr 1
		.amdhsa_user_sgpr_dispatch_id 0
		.amdhsa_user_sgpr_kernarg_preload_length 0
		.amdhsa_user_sgpr_kernarg_preload_offset 0
		.amdhsa_user_sgpr_private_segment_size 0
		.amdhsa_wavefront_size32 1
		.amdhsa_uses_dynamic_stack 0
		.amdhsa_enable_private_segment 0
		.amdhsa_system_sgpr_workgroup_id_x 1
		.amdhsa_system_sgpr_workgroup_id_y 0
		.amdhsa_system_sgpr_workgroup_id_z 0
		.amdhsa_system_sgpr_workgroup_info 0
		.amdhsa_system_vgpr_workitem_id 0
		.amdhsa_next_free_vgpr 23
		.amdhsa_next_free_sgpr 60
		.amdhsa_named_barrier_count 0
		.amdhsa_reserve_vcc 1
		.amdhsa_float_round_mode_32 0
		.amdhsa_float_round_mode_16_64 0
		.amdhsa_float_denorm_mode_32 3
		.amdhsa_float_denorm_mode_16_64 3
		.amdhsa_fp16_overflow 0
		.amdhsa_memory_ordered 1
		.amdhsa_forward_progress 1
		.amdhsa_inst_pref_size 121
		.amdhsa_round_robin_scheduling 0
		.amdhsa_exception_fp_ieee_invalid_op 0
		.amdhsa_exception_fp_denorm_src 0
		.amdhsa_exception_fp_ieee_div_zero 0
		.amdhsa_exception_fp_ieee_overflow 0
		.amdhsa_exception_fp_ieee_underflow 0
		.amdhsa_exception_fp_ieee_inexact 0
		.amdhsa_exception_int_div_zero 0
	.end_amdhsa_kernel
	.section	.text._ZN2at6native32elementwise_kernel_manual_unrollILi128ELi8EZNS0_22gpu_kernel_impl_nocastIZZZNS0_12_GLOBAL__N_119launch_clamp_scalarERNS_18TensorIteratorBaseEN3c106ScalarES7_NS0_6detail11ClampLimitsEENKUlvE_clEvENKUlvE6_clEvEUlNS6_4HalfEE_EEvS5_RKT_EUlibE_EEviT1_,"axG",@progbits,_ZN2at6native32elementwise_kernel_manual_unrollILi128ELi8EZNS0_22gpu_kernel_impl_nocastIZZZNS0_12_GLOBAL__N_119launch_clamp_scalarERNS_18TensorIteratorBaseEN3c106ScalarES7_NS0_6detail11ClampLimitsEENKUlvE_clEvENKUlvE6_clEvEUlNS6_4HalfEE_EEvS5_RKT_EUlibE_EEviT1_,comdat
.Lfunc_end229:
	.size	_ZN2at6native32elementwise_kernel_manual_unrollILi128ELi8EZNS0_22gpu_kernel_impl_nocastIZZZNS0_12_GLOBAL__N_119launch_clamp_scalarERNS_18TensorIteratorBaseEN3c106ScalarES7_NS0_6detail11ClampLimitsEENKUlvE_clEvENKUlvE6_clEvEUlNS6_4HalfEE_EEvS5_RKT_EUlibE_EEviT1_, .Lfunc_end229-_ZN2at6native32elementwise_kernel_manual_unrollILi128ELi8EZNS0_22gpu_kernel_impl_nocastIZZZNS0_12_GLOBAL__N_119launch_clamp_scalarERNS_18TensorIteratorBaseEN3c106ScalarES7_NS0_6detail11ClampLimitsEENKUlvE_clEvENKUlvE6_clEvEUlNS6_4HalfEE_EEvS5_RKT_EUlibE_EEviT1_
                                        ; -- End function
	.set _ZN2at6native32elementwise_kernel_manual_unrollILi128ELi8EZNS0_22gpu_kernel_impl_nocastIZZZNS0_12_GLOBAL__N_119launch_clamp_scalarERNS_18TensorIteratorBaseEN3c106ScalarES7_NS0_6detail11ClampLimitsEENKUlvE_clEvENKUlvE6_clEvEUlNS6_4HalfEE_EEvS5_RKT_EUlibE_EEviT1_.num_vgpr, 23
	.set _ZN2at6native32elementwise_kernel_manual_unrollILi128ELi8EZNS0_22gpu_kernel_impl_nocastIZZZNS0_12_GLOBAL__N_119launch_clamp_scalarERNS_18TensorIteratorBaseEN3c106ScalarES7_NS0_6detail11ClampLimitsEENKUlvE_clEvENKUlvE6_clEvEUlNS6_4HalfEE_EEvS5_RKT_EUlibE_EEviT1_.num_agpr, 0
	.set _ZN2at6native32elementwise_kernel_manual_unrollILi128ELi8EZNS0_22gpu_kernel_impl_nocastIZZZNS0_12_GLOBAL__N_119launch_clamp_scalarERNS_18TensorIteratorBaseEN3c106ScalarES7_NS0_6detail11ClampLimitsEENKUlvE_clEvENKUlvE6_clEvEUlNS6_4HalfEE_EEvS5_RKT_EUlibE_EEviT1_.numbered_sgpr, 60
	.set _ZN2at6native32elementwise_kernel_manual_unrollILi128ELi8EZNS0_22gpu_kernel_impl_nocastIZZZNS0_12_GLOBAL__N_119launch_clamp_scalarERNS_18TensorIteratorBaseEN3c106ScalarES7_NS0_6detail11ClampLimitsEENKUlvE_clEvENKUlvE6_clEvEUlNS6_4HalfEE_EEvS5_RKT_EUlibE_EEviT1_.num_named_barrier, 0
	.set _ZN2at6native32elementwise_kernel_manual_unrollILi128ELi8EZNS0_22gpu_kernel_impl_nocastIZZZNS0_12_GLOBAL__N_119launch_clamp_scalarERNS_18TensorIteratorBaseEN3c106ScalarES7_NS0_6detail11ClampLimitsEENKUlvE_clEvENKUlvE6_clEvEUlNS6_4HalfEE_EEvS5_RKT_EUlibE_EEviT1_.private_seg_size, 0
	.set _ZN2at6native32elementwise_kernel_manual_unrollILi128ELi8EZNS0_22gpu_kernel_impl_nocastIZZZNS0_12_GLOBAL__N_119launch_clamp_scalarERNS_18TensorIteratorBaseEN3c106ScalarES7_NS0_6detail11ClampLimitsEENKUlvE_clEvENKUlvE6_clEvEUlNS6_4HalfEE_EEvS5_RKT_EUlibE_EEviT1_.uses_vcc, 1
	.set _ZN2at6native32elementwise_kernel_manual_unrollILi128ELi8EZNS0_22gpu_kernel_impl_nocastIZZZNS0_12_GLOBAL__N_119launch_clamp_scalarERNS_18TensorIteratorBaseEN3c106ScalarES7_NS0_6detail11ClampLimitsEENKUlvE_clEvENKUlvE6_clEvEUlNS6_4HalfEE_EEvS5_RKT_EUlibE_EEviT1_.uses_flat_scratch, 0
	.set _ZN2at6native32elementwise_kernel_manual_unrollILi128ELi8EZNS0_22gpu_kernel_impl_nocastIZZZNS0_12_GLOBAL__N_119launch_clamp_scalarERNS_18TensorIteratorBaseEN3c106ScalarES7_NS0_6detail11ClampLimitsEENKUlvE_clEvENKUlvE6_clEvEUlNS6_4HalfEE_EEvS5_RKT_EUlibE_EEviT1_.has_dyn_sized_stack, 0
	.set _ZN2at6native32elementwise_kernel_manual_unrollILi128ELi8EZNS0_22gpu_kernel_impl_nocastIZZZNS0_12_GLOBAL__N_119launch_clamp_scalarERNS_18TensorIteratorBaseEN3c106ScalarES7_NS0_6detail11ClampLimitsEENKUlvE_clEvENKUlvE6_clEvEUlNS6_4HalfEE_EEvS5_RKT_EUlibE_EEviT1_.has_recursion, 0
	.set _ZN2at6native32elementwise_kernel_manual_unrollILi128ELi8EZNS0_22gpu_kernel_impl_nocastIZZZNS0_12_GLOBAL__N_119launch_clamp_scalarERNS_18TensorIteratorBaseEN3c106ScalarES7_NS0_6detail11ClampLimitsEENKUlvE_clEvENKUlvE6_clEvEUlNS6_4HalfEE_EEvS5_RKT_EUlibE_EEviT1_.has_indirect_call, 0
	.section	.AMDGPU.csdata,"",@progbits
; Kernel info:
; codeLenInByte = 15396
; TotalNumSgprs: 62
; NumVgprs: 23
; ScratchSize: 0
; MemoryBound: 0
; FloatMode: 240
; IeeeMode: 1
; LDSByteSize: 0 bytes/workgroup (compile time only)
; SGPRBlocks: 0
; VGPRBlocks: 1
; NumSGPRsForWavesPerEU: 62
; NumVGPRsForWavesPerEU: 23
; NamedBarCnt: 0
; Occupancy: 16
; WaveLimiterHint : 1
; COMPUTE_PGM_RSRC2:SCRATCH_EN: 0
; COMPUTE_PGM_RSRC2:USER_SGPR: 2
; COMPUTE_PGM_RSRC2:TRAP_HANDLER: 0
; COMPUTE_PGM_RSRC2:TGID_X_EN: 1
; COMPUTE_PGM_RSRC2:TGID_Y_EN: 0
; COMPUTE_PGM_RSRC2:TGID_Z_EN: 0
; COMPUTE_PGM_RSRC2:TIDIG_COMP_CNT: 0
	.section	.text._ZN2at6native32elementwise_kernel_manual_unrollILi128ELi4EZNS0_15gpu_kernel_implIZZZNS0_12_GLOBAL__N_119launch_clamp_scalarERNS_18TensorIteratorBaseEN3c106ScalarES7_NS0_6detail11ClampLimitsEENKUlvE_clEvENKUlvE6_clEvEUlNS6_4HalfEE_EEvS5_RKT_EUlibE_EEviT1_,"axG",@progbits,_ZN2at6native32elementwise_kernel_manual_unrollILi128ELi4EZNS0_15gpu_kernel_implIZZZNS0_12_GLOBAL__N_119launch_clamp_scalarERNS_18TensorIteratorBaseEN3c106ScalarES7_NS0_6detail11ClampLimitsEENKUlvE_clEvENKUlvE6_clEvEUlNS6_4HalfEE_EEvS5_RKT_EUlibE_EEviT1_,comdat
	.globl	_ZN2at6native32elementwise_kernel_manual_unrollILi128ELi4EZNS0_15gpu_kernel_implIZZZNS0_12_GLOBAL__N_119launch_clamp_scalarERNS_18TensorIteratorBaseEN3c106ScalarES7_NS0_6detail11ClampLimitsEENKUlvE_clEvENKUlvE6_clEvEUlNS6_4HalfEE_EEvS5_RKT_EUlibE_EEviT1_ ; -- Begin function _ZN2at6native32elementwise_kernel_manual_unrollILi128ELi4EZNS0_15gpu_kernel_implIZZZNS0_12_GLOBAL__N_119launch_clamp_scalarERNS_18TensorIteratorBaseEN3c106ScalarES7_NS0_6detail11ClampLimitsEENKUlvE_clEvENKUlvE6_clEvEUlNS6_4HalfEE_EEvS5_RKT_EUlibE_EEviT1_
	.p2align	8
	.type	_ZN2at6native32elementwise_kernel_manual_unrollILi128ELi4EZNS0_15gpu_kernel_implIZZZNS0_12_GLOBAL__N_119launch_clamp_scalarERNS_18TensorIteratorBaseEN3c106ScalarES7_NS0_6detail11ClampLimitsEENKUlvE_clEvENKUlvE6_clEvEUlNS6_4HalfEE_EEvS5_RKT_EUlibE_EEviT1_,@function
_ZN2at6native32elementwise_kernel_manual_unrollILi128ELi4EZNS0_15gpu_kernel_implIZZZNS0_12_GLOBAL__N_119launch_clamp_scalarERNS_18TensorIteratorBaseEN3c106ScalarES7_NS0_6detail11ClampLimitsEENKUlvE_clEvENKUlvE6_clEvEUlNS6_4HalfEE_EEvS5_RKT_EUlibE_EEviT1_: ; @_ZN2at6native32elementwise_kernel_manual_unrollILi128ELi4EZNS0_15gpu_kernel_implIZZZNS0_12_GLOBAL__N_119launch_clamp_scalarERNS_18TensorIteratorBaseEN3c106ScalarES7_NS0_6detail11ClampLimitsEENKUlvE_clEvENKUlvE6_clEvEUlNS6_4HalfEE_EEvS5_RKT_EUlibE_EEviT1_
; %bb.0:
	s_load_b64 s[2:3], s[0:1], 0x28
	s_bfe_u32 s4, ttmp6, 0x4000c
	s_load_b32 s15, s[0:1], 0x0
	s_add_co_i32 s12, s4, 1
	s_load_b256 s[4:11], s[0:1], 0x8
	s_and_b32 s13, ttmp6, 15
	s_wait_xcnt 0x0
	s_mul_i32 s0, ttmp9, s12
	s_getreg_b32 s14, hwreg(HW_REG_IB_STS2, 6, 4)
	s_add_co_i32 s13, s13, s0
	s_mov_b32 s1, 0
	s_wait_kmcnt 0x0
	s_bfe_u32 s12, s3, 0x80008
	s_cmp_eq_u32 s14, 0
	s_mov_b32 s14, 0
	s_cselect_b32 s0, ttmp9, s13
	s_delay_alu instid0(SALU_CYCLE_1) | instskip(SKIP_1) | instid1(VALU_DEP_1)
	v_lshl_or_b32 v4, s0, 9, v0
	s_mov_b32 s0, exec_lo
	v_or_b32_e32 v0, 0x180, v4
	s_delay_alu instid0(VALU_DEP_1)
	v_cmpx_le_i32_e64 s15, v0
	s_xor_b32 s13, exec_lo, s0
	s_cbranch_execz .LBB230_1080
; %bb.1:
	s_mov_b32 s20, -1
	s_mov_b32 s18, 0
	s_mov_b32 s16, 0
	s_mov_b32 s17, exec_lo
	v_cmpx_gt_i32_e64 s15, v4
	s_cbranch_execz .LBB230_264
; %bb.2:
	v_mul_lo_u32 v0, v4, s9
	s_and_b32 s0, 0xffff, s12
	s_delay_alu instid0(SALU_CYCLE_1) | instskip(NEXT) | instid1(VALU_DEP_1)
	s_cmp_lt_i32 s0, 11
	v_ashrrev_i32_e32 v1, 31, v0
	s_delay_alu instid0(VALU_DEP_1)
	v_add_nc_u64_e32 v[0:1], s[6:7], v[0:1]
	s_cbranch_scc1 .LBB230_9
; %bb.3:
	s_cmp_gt_i32 s0, 25
	s_cbranch_scc0 .LBB230_15
; %bb.4:
	s_cmp_gt_i32 s0, 28
	s_cbranch_scc0 .LBB230_16
	;; [unrolled: 3-line block ×4, first 2 shown]
; %bb.7:
	s_cmp_eq_u32 s0, 46
	s_mov_b32 s19, 0
	s_cbranch_scc0 .LBB230_39
; %bb.8:
	global_load_b32 v2, v[0:1], off
	s_mov_b32 s14, -1
	s_wait_loadcnt 0x0
	v_lshlrev_b32_e32 v2, 16, v2
	s_delay_alu instid0(VALU_DEP_1)
	v_cvt_f16_f32_e32 v2, v2
	s_branch .LBB230_41
.LBB230_9:
                                        ; implicit-def: $vgpr2
	s_cbranch_execnz .LBB230_214
.LBB230_10:
	s_and_not1_b32 vcc_lo, exec_lo, s14
	s_cbranch_vccnz .LBB230_261
.LBB230_11:
	s_mov_b32 s0, exec_lo
	s_wait_loadcnt 0x0
	s_delay_alu instid0(VALU_DEP_1)
	v_cmpx_o_f16_e32 v2, v2
	s_cbranch_execz .LBB230_26
; %bb.12:
	v_cvt_f32_f16_e32 v0, v2
	s_cmp_lt_i32 s10, 1
	s_mov_b32 s14, 0
	s_cbranch_scc1 .LBB230_17
; %bb.13:
	s_cmp_eq_u32 s10, 1
	s_cbranch_scc0 .LBB230_21
; %bb.14:
	v_max_num_f32_e64 v1, s11, s11
	v_max_num_f32_e32 v2, v0, v0
	s_mov_b32 s19, 0
	s_delay_alu instid0(VALU_DEP_1) | instskip(NEXT) | instid1(VALU_DEP_1)
	v_min_num_f32_e32 v1, v2, v1
	v_cvt_f16_f32_e32 v2, v1
	s_branch .LBB230_22
.LBB230_15:
                                        ; implicit-def: $vgpr2
	s_cbranch_execnz .LBB230_179
	s_branch .LBB230_213
.LBB230_16:
	s_mov_b32 s19, -1
                                        ; implicit-def: $vgpr2
	s_branch .LBB230_160
.LBB230_17:
	s_mov_b32 s19, 0
                                        ; implicit-def: $vgpr2
	s_cbranch_execnz .LBB230_23
.LBB230_18:
	v_max_num_f32_e32 v0, v0, v0
	s_and_not1_b32 vcc_lo, exec_lo, s19
	s_cbranch_vccnz .LBB230_24
.LBB230_19:
	v_max_num_f32_e64 v1, s11, s11
	v_max_num_f32_e64 v2, s2, s2
	s_delay_alu instid0(VALU_DEP_1) | instskip(NEXT) | instid1(VALU_DEP_1)
	v_maxmin_num_f32 v1, v0, v1, v2
	v_cvt_f16_f32_e32 v2, v1
	s_cbranch_execz .LBB230_25
	s_branch .LBB230_26
.LBB230_20:
	s_mov_b32 s19, -1
                                        ; implicit-def: $vgpr2
	s_branch .LBB230_155
.LBB230_21:
	s_mov_b32 s19, -1
                                        ; implicit-def: $vgpr2
.LBB230_22:
	s_branch .LBB230_18
.LBB230_23:
	s_cmp_lg_u32 s10, 0
	s_mov_b32 s14, -1
	s_cselect_b32 s19, -1, 0
	v_max_num_f32_e32 v0, v0, v0
	s_and_not1_b32 vcc_lo, exec_lo, s19
	s_cbranch_vccz .LBB230_19
.LBB230_24:
	s_and_not1_b32 vcc_lo, exec_lo, s14
	s_cbranch_vccnz .LBB230_26
.LBB230_25:
	v_max_num_f32_e64 v1, s11, s11
	s_delay_alu instid0(VALU_DEP_1) | instskip(NEXT) | instid1(VALU_DEP_1)
	v_max_num_f32_e32 v0, v0, v1
	v_cvt_f16_f32_e32 v2, v0
.LBB230_26:
	s_or_b32 exec_lo, exec_lo, s0
	v_mul_lo_u32 v0, v4, s8
	s_and_b32 s14, s3, 0xff
	s_delay_alu instid0(SALU_CYCLE_1) | instskip(NEXT) | instid1(VALU_DEP_1)
	s_cmp_lt_i32 s14, 11
	v_ashrrev_i32_e32 v1, 31, v0
	s_delay_alu instid0(VALU_DEP_1)
	v_add_nc_u64_e32 v[0:1], s[4:5], v[0:1]
	s_cbranch_scc1 .LBB230_33
; %bb.27:
	s_and_b32 s19, 0xffff, s14
	s_delay_alu instid0(SALU_CYCLE_1)
	s_cmp_gt_i32 s19, 25
	s_cbranch_scc0 .LBB230_35
; %bb.28:
	s_cmp_gt_i32 s19, 28
	s_cbranch_scc0 .LBB230_36
; %bb.29:
	;; [unrolled: 3-line block ×4, first 2 shown]
	s_mov_b32 s21, 0
	s_mov_b32 s0, -1
	s_cmp_eq_u32 s19, 46
	s_mov_b32 s20, 0
	s_cbranch_scc0 .LBB230_45
; %bb.32:
	v_cvt_f32_f16_e32 v3, v2
	v_cmp_o_f16_e32 vcc_lo, v2, v2
	s_mov_b32 s20, -1
	s_mov_b32 s0, 0
	s_delay_alu instid0(VALU_DEP_2) | instskip(NEXT) | instid1(VALU_DEP_1)
	v_bfe_u32 v5, v3, 16, 1
	v_add3_u32 v3, v3, v5, 0x7fff
	s_delay_alu instid0(VALU_DEP_1) | instskip(NEXT) | instid1(VALU_DEP_1)
	v_lshrrev_b32_e32 v3, 16, v3
	v_cndmask_b32_e32 v3, 0x7fc0, v3, vcc_lo
	global_store_b32 v[0:1], v3, off
	s_branch .LBB230_45
.LBB230_33:
	s_mov_b32 s0, 0
	s_mov_b32 s20, 0
	s_cbranch_execnz .LBB230_114
.LBB230_34:
	s_and_not1_b32 vcc_lo, exec_lo, s20
	s_cbranch_vccnz .LBB230_262
	s_branch .LBB230_152
.LBB230_35:
	s_mov_b32 s21, -1
	s_mov_b32 s0, 0
	s_mov_b32 s20, 0
	s_branch .LBB230_72
.LBB230_36:
	s_mov_b32 s21, -1
	s_mov_b32 s0, 0
	s_mov_b32 s20, 0
	s_branch .LBB230_55
.LBB230_37:
	s_mov_b32 s19, -1
	s_branch .LBB230_40
.LBB230_38:
	s_mov_b32 s21, -1
	s_mov_b32 s0, 0
	s_mov_b32 s20, 0
	s_branch .LBB230_51
.LBB230_39:
	s_mov_b32 s16, -1
.LBB230_40:
                                        ; implicit-def: $vgpr2
.LBB230_41:
	s_and_b32 vcc_lo, exec_lo, s19
	s_cbranch_vccz .LBB230_154
; %bb.42:
	s_cmp_eq_u32 s0, 44
	s_cbranch_scc0 .LBB230_153
; %bb.43:
	global_load_u8 v2, v[0:1], off
	s_mov_b32 s16, 0
	s_mov_b32 s14, -1
	s_wait_loadcnt 0x0
	v_lshlrev_b32_e32 v3, 23, v2
	v_cmp_ne_u32_e32 vcc_lo, 0xff, v2
	s_delay_alu instid0(VALU_DEP_2) | instskip(NEXT) | instid1(VALU_DEP_1)
	v_cvt_f16_f32_e32 v3, v3
	v_cndmask_b32_e32 v3, 0x7e00, v3, vcc_lo
	v_cmp_ne_u32_e32 vcc_lo, 0, v2
	s_delay_alu instid0(VALU_DEP_2)
	v_cndmask_b32_e32 v2, 0, v3, vcc_lo
	s_branch .LBB230_154
.LBB230_44:
	s_mov_b32 s21, -1
	s_mov_b32 s0, 0
	s_mov_b32 s20, 0
.LBB230_45:
	s_and_b32 vcc_lo, exec_lo, s21
	s_cbranch_vccz .LBB230_50
; %bb.46:
	s_cmp_eq_u32 s19, 44
	s_mov_b32 s0, -1
	s_cbranch_scc0 .LBB230_50
; %bb.47:
	s_wait_xcnt 0x0
	v_cvt_f32_f16_e32 v3, v2
	v_mov_b32_e32 v5, 0xff
	s_mov_b32 s20, exec_lo
	s_delay_alu instid0(VALU_DEP_2) | instskip(NEXT) | instid1(VALU_DEP_1)
	v_bfe_u32 v6, v3, 23, 8
	v_cmpx_ne_u32_e32 0xff, v6
	s_cbranch_execz .LBB230_49
; %bb.48:
	v_and_b32_e32 v5, 0x400000, v3
	v_and_or_b32 v6, 0x3fffff, v3, v6
	v_lshrrev_b32_e32 v3, 23, v3
	s_delay_alu instid0(VALU_DEP_3) | instskip(NEXT) | instid1(VALU_DEP_3)
	v_cmp_ne_u32_e32 vcc_lo, 0, v5
	v_cmp_ne_u32_e64 s0, 0, v6
	s_and_b32 s0, vcc_lo, s0
	s_delay_alu instid0(SALU_CYCLE_1) | instskip(NEXT) | instid1(VALU_DEP_1)
	v_cndmask_b32_e64 v5, 0, 1, s0
	v_add_nc_u32_e32 v5, v3, v5
.LBB230_49:
	s_or_b32 exec_lo, exec_lo, s20
	s_mov_b32 s20, -1
	s_mov_b32 s0, 0
	global_store_b8 v[0:1], v5, off
.LBB230_50:
	s_mov_b32 s21, 0
.LBB230_51:
	s_delay_alu instid0(SALU_CYCLE_1)
	s_and_b32 vcc_lo, exec_lo, s21
	s_cbranch_vccz .LBB230_54
; %bb.52:
	s_cmp_eq_u32 s19, 29
	s_mov_b32 s0, -1
	s_cbranch_scc0 .LBB230_54
; %bb.53:
	s_wait_xcnt 0x0
	v_cvt_f32_f16_e32 v3, v2
	v_mov_b32_e32 v7, 0
	s_mov_b32 s20, -1
	s_mov_b32 s0, 0
	s_mov_b32 s21, 0
	v_cvt_u32_f32_e32 v6, v3
	global_store_b64 v[0:1], v[6:7], off
	s_branch .LBB230_55
.LBB230_54:
	s_mov_b32 s21, 0
.LBB230_55:
	s_delay_alu instid0(SALU_CYCLE_1)
	s_and_b32 vcc_lo, exec_lo, s21
	s_cbranch_vccz .LBB230_71
; %bb.56:
	s_cmp_lt_i32 s19, 27
	s_mov_b32 s20, -1
	s_cbranch_scc1 .LBB230_62
; %bb.57:
	s_cmp_gt_i32 s19, 27
	s_cbranch_scc0 .LBB230_59
; %bb.58:
	s_wait_xcnt 0x0
	v_cvt_f32_f16_e32 v3, v2
	s_mov_b32 s20, 0
	s_delay_alu instid0(VALU_DEP_1)
	v_cvt_u32_f32_e32 v3, v3
	global_store_b32 v[0:1], v3, off
.LBB230_59:
	s_and_not1_b32 vcc_lo, exec_lo, s20
	s_cbranch_vccnz .LBB230_61
; %bb.60:
	s_wait_xcnt 0x0
	v_cvt_u16_f16_e32 v3, v2
	global_store_b16 v[0:1], v3, off
.LBB230_61:
	s_mov_b32 s20, 0
.LBB230_62:
	s_delay_alu instid0(SALU_CYCLE_1)
	s_and_not1_b32 vcc_lo, exec_lo, s20
	s_cbranch_vccnz .LBB230_70
; %bb.63:
	s_wait_xcnt 0x0
	v_cvt_f32_f16_e32 v3, v2
	v_mov_b32_e32 v6, 0x80
	s_mov_b32 s20, exec_lo
	s_delay_alu instid0(VALU_DEP_2) | instskip(NEXT) | instid1(VALU_DEP_1)
	v_and_b32_e32 v5, 0x7fffffff, v3
	v_cmpx_gt_u32_e32 0x43800000, v5
	s_cbranch_execz .LBB230_69
; %bb.64:
	v_cmp_lt_u32_e32 vcc_lo, 0x3bffffff, v5
	s_mov_b32 s21, 0
                                        ; implicit-def: $vgpr5
	s_and_saveexec_b32 s22, vcc_lo
	s_delay_alu instid0(SALU_CYCLE_1)
	s_xor_b32 s22, exec_lo, s22
	s_cbranch_execz .LBB230_304
; %bb.65:
	v_bfe_u32 v5, v3, 20, 1
	s_mov_b32 s21, exec_lo
	s_delay_alu instid0(VALU_DEP_1) | instskip(NEXT) | instid1(VALU_DEP_1)
	v_add3_u32 v5, v3, v5, 0x487ffff
	v_lshrrev_b32_e32 v5, 20, v5
	s_and_not1_saveexec_b32 s22, s22
	s_cbranch_execnz .LBB230_305
.LBB230_66:
	s_or_b32 exec_lo, exec_lo, s22
	v_mov_b32_e32 v6, 0
	s_and_saveexec_b32 s22, s21
.LBB230_67:
	v_lshrrev_b32_e32 v3, 24, v3
	s_delay_alu instid0(VALU_DEP_1)
	v_and_or_b32 v6, 0x80, v3, v5
.LBB230_68:
	s_or_b32 exec_lo, exec_lo, s22
.LBB230_69:
	s_delay_alu instid0(SALU_CYCLE_1)
	s_or_b32 exec_lo, exec_lo, s20
	global_store_b8 v[0:1], v6, off
.LBB230_70:
	s_mov_b32 s20, -1
.LBB230_71:
	s_mov_b32 s21, 0
.LBB230_72:
	s_delay_alu instid0(SALU_CYCLE_1)
	s_and_b32 vcc_lo, exec_lo, s21
	s_cbranch_vccz .LBB230_113
; %bb.73:
	s_cmp_gt_i32 s19, 22
	s_mov_b32 s21, -1
	s_cbranch_scc0 .LBB230_105
; %bb.74:
	s_cmp_lt_i32 s19, 24
	s_mov_b32 s20, -1
	s_cbranch_scc1 .LBB230_94
; %bb.75:
	s_cmp_gt_i32 s19, 24
	s_cbranch_scc0 .LBB230_83
; %bb.76:
	s_wait_xcnt 0x0
	v_cvt_f32_f16_e32 v3, v2
	v_mov_b32_e32 v6, 0x80
	s_mov_b32 s20, exec_lo
	s_delay_alu instid0(VALU_DEP_2) | instskip(NEXT) | instid1(VALU_DEP_1)
	v_and_b32_e32 v5, 0x7fffffff, v3
	v_cmpx_gt_u32_e32 0x47800000, v5
	s_cbranch_execz .LBB230_82
; %bb.77:
	v_cmp_lt_u32_e32 vcc_lo, 0x37ffffff, v5
	s_mov_b32 s21, 0
                                        ; implicit-def: $vgpr5
	s_and_saveexec_b32 s22, vcc_lo
	s_delay_alu instid0(SALU_CYCLE_1)
	s_xor_b32 s22, exec_lo, s22
	s_cbranch_execz .LBB230_308
; %bb.78:
	v_bfe_u32 v5, v3, 21, 1
	s_mov_b32 s21, exec_lo
	s_delay_alu instid0(VALU_DEP_1) | instskip(NEXT) | instid1(VALU_DEP_1)
	v_add3_u32 v5, v3, v5, 0x88fffff
	v_lshrrev_b32_e32 v5, 21, v5
	s_and_not1_saveexec_b32 s22, s22
	s_cbranch_execnz .LBB230_309
.LBB230_79:
	s_or_b32 exec_lo, exec_lo, s22
	v_mov_b32_e32 v6, 0
	s_and_saveexec_b32 s22, s21
.LBB230_80:
	v_lshrrev_b32_e32 v3, 24, v3
	s_delay_alu instid0(VALU_DEP_1)
	v_and_or_b32 v6, 0x80, v3, v5
.LBB230_81:
	s_or_b32 exec_lo, exec_lo, s22
.LBB230_82:
	s_delay_alu instid0(SALU_CYCLE_1)
	s_or_b32 exec_lo, exec_lo, s20
	s_mov_b32 s20, 0
	global_store_b8 v[0:1], v6, off
.LBB230_83:
	s_and_b32 vcc_lo, exec_lo, s20
	s_cbranch_vccz .LBB230_93
; %bb.84:
	s_wait_xcnt 0x0
	v_cvt_f32_f16_e32 v3, v2
	s_mov_b32 s20, exec_lo
                                        ; implicit-def: $vgpr5
	s_delay_alu instid0(VALU_DEP_1) | instskip(NEXT) | instid1(VALU_DEP_1)
	v_and_b32_e32 v6, 0x7fffffff, v3
	v_cmpx_gt_u32_e32 0x43f00000, v6
	s_xor_b32 s20, exec_lo, s20
	s_cbranch_execz .LBB230_90
; %bb.85:
	s_mov_b32 s21, exec_lo
                                        ; implicit-def: $vgpr5
	v_cmpx_lt_u32_e32 0x3c7fffff, v6
	s_xor_b32 s21, exec_lo, s21
; %bb.86:
	v_bfe_u32 v5, v3, 20, 1
	s_delay_alu instid0(VALU_DEP_1) | instskip(NEXT) | instid1(VALU_DEP_1)
	v_add3_u32 v5, v3, v5, 0x407ffff
	v_and_b32_e32 v6, 0xff00000, v5
	v_lshrrev_b32_e32 v5, 20, v5
	s_delay_alu instid0(VALU_DEP_2) | instskip(NEXT) | instid1(VALU_DEP_2)
	v_cmp_ne_u32_e32 vcc_lo, 0x7f00000, v6
	v_cndmask_b32_e32 v5, 0x7e, v5, vcc_lo
; %bb.87:
	s_and_not1_saveexec_b32 s21, s21
; %bb.88:
	v_add_f32_e64 v5, 0x46800000, |v3|
; %bb.89:
	s_or_b32 exec_lo, exec_lo, s21
                                        ; implicit-def: $vgpr6
.LBB230_90:
	s_and_not1_saveexec_b32 s20, s20
; %bb.91:
	v_mov_b32_e32 v5, 0x7f
	v_cmp_lt_u32_e32 vcc_lo, 0x7f800000, v6
	s_delay_alu instid0(VALU_DEP_2)
	v_cndmask_b32_e32 v5, 0x7e, v5, vcc_lo
; %bb.92:
	s_or_b32 exec_lo, exec_lo, s20
	v_lshrrev_b32_e32 v3, 24, v3
	s_delay_alu instid0(VALU_DEP_1)
	v_and_or_b32 v3, 0x80, v3, v5
	global_store_b8 v[0:1], v3, off
.LBB230_93:
	s_mov_b32 s20, 0
.LBB230_94:
	s_delay_alu instid0(SALU_CYCLE_1)
	s_and_not1_b32 vcc_lo, exec_lo, s20
	s_cbranch_vccnz .LBB230_104
; %bb.95:
	s_wait_xcnt 0x0
	v_cvt_f32_f16_e32 v3, v2
	s_mov_b32 s20, exec_lo
                                        ; implicit-def: $vgpr5
	s_delay_alu instid0(VALU_DEP_1) | instskip(NEXT) | instid1(VALU_DEP_1)
	v_and_b32_e32 v6, 0x7fffffff, v3
	v_cmpx_gt_u32_e32 0x47800000, v6
	s_xor_b32 s20, exec_lo, s20
	s_cbranch_execz .LBB230_101
; %bb.96:
	s_mov_b32 s21, exec_lo
                                        ; implicit-def: $vgpr5
	v_cmpx_lt_u32_e32 0x387fffff, v6
	s_xor_b32 s21, exec_lo, s21
; %bb.97:
	v_bfe_u32 v5, v3, 21, 1
	s_delay_alu instid0(VALU_DEP_1) | instskip(NEXT) | instid1(VALU_DEP_1)
	v_add3_u32 v5, v3, v5, 0x80fffff
	v_lshrrev_b32_e32 v5, 21, v5
; %bb.98:
	s_and_not1_saveexec_b32 s21, s21
; %bb.99:
	v_add_f32_e64 v5, 0x43000000, |v3|
; %bb.100:
	s_or_b32 exec_lo, exec_lo, s21
                                        ; implicit-def: $vgpr6
.LBB230_101:
	s_and_not1_saveexec_b32 s20, s20
; %bb.102:
	v_mov_b32_e32 v5, 0x7f
	v_cmp_lt_u32_e32 vcc_lo, 0x7f800000, v6
	s_delay_alu instid0(VALU_DEP_2)
	v_cndmask_b32_e32 v5, 0x7c, v5, vcc_lo
; %bb.103:
	s_or_b32 exec_lo, exec_lo, s20
	v_lshrrev_b32_e32 v3, 24, v3
	s_delay_alu instid0(VALU_DEP_1)
	v_and_or_b32 v3, 0x80, v3, v5
	global_store_b8 v[0:1], v3, off
.LBB230_104:
	s_mov_b32 s21, 0
	s_mov_b32 s20, -1
.LBB230_105:
	s_and_not1_b32 vcc_lo, exec_lo, s21
	s_cbranch_vccnz .LBB230_113
; %bb.106:
	s_cmp_gt_i32 s19, 14
	s_mov_b32 s21, -1
	s_cbranch_scc0 .LBB230_110
; %bb.107:
	s_cmp_eq_u32 s19, 15
	s_mov_b32 s0, -1
	s_cbranch_scc0 .LBB230_109
; %bb.108:
	s_wait_xcnt 0x0
	v_cvt_f32_f16_e32 v3, v2
	v_cmp_o_f16_e32 vcc_lo, v2, v2
	s_mov_b32 s20, -1
	s_mov_b32 s0, 0
	s_delay_alu instid0(VALU_DEP_2) | instskip(NEXT) | instid1(VALU_DEP_1)
	v_bfe_u32 v5, v3, 16, 1
	v_add3_u32 v3, v3, v5, 0x7fff
	s_delay_alu instid0(VALU_DEP_1) | instskip(NEXT) | instid1(VALU_DEP_1)
	v_lshrrev_b32_e32 v3, 16, v3
	v_cndmask_b32_e32 v3, 0x7fc0, v3, vcc_lo
	global_store_b16 v[0:1], v3, off
.LBB230_109:
	s_mov_b32 s21, 0
.LBB230_110:
	s_delay_alu instid0(SALU_CYCLE_1)
	s_and_b32 vcc_lo, exec_lo, s21
	s_cbranch_vccz .LBB230_113
; %bb.111:
	s_cmp_eq_u32 s19, 11
	s_mov_b32 s0, -1
	s_cbranch_scc0 .LBB230_113
; %bb.112:
	s_wait_xcnt 0x0
	v_and_b32_e32 v3, 0x7fff, v2
	s_mov_b32 s0, 0
	s_mov_b32 s20, -1
	s_delay_alu instid0(VALU_DEP_1)
	v_cmp_ne_u16_e32 vcc_lo, 0, v3
	v_cndmask_b32_e64 v3, 0, 1, vcc_lo
	global_store_b8 v[0:1], v3, off
.LBB230_113:
	s_branch .LBB230_34
.LBB230_114:
	s_and_b32 s14, 0xffff, s14
	s_mov_b32 s19, -1
	s_cmp_lt_i32 s14, 5
	s_cbranch_scc1 .LBB230_135
; %bb.115:
	s_cmp_lt_i32 s14, 8
	s_cbranch_scc1 .LBB230_125
; %bb.116:
	;; [unrolled: 3-line block ×3, first 2 shown]
	s_cmp_gt_i32 s14, 9
	s_cbranch_scc0 .LBB230_119
; %bb.118:
	s_wait_xcnt 0x0
	v_cvt_f32_f16_e32 v3, v2
	v_mov_b32_e32 v8, 0
	s_mov_b32 s19, 0
	s_delay_alu instid0(VALU_DEP_2) | instskip(NEXT) | instid1(VALU_DEP_2)
	v_cvt_f64_f32_e32 v[6:7], v3
	v_mov_b32_e32 v9, v8
	global_store_b128 v[0:1], v[6:9], off
.LBB230_119:
	s_and_not1_b32 vcc_lo, exec_lo, s19
	s_cbranch_vccnz .LBB230_121
; %bb.120:
	s_wait_xcnt 0x0
	v_cvt_f32_f16_e32 v6, v2
	v_mov_b32_e32 v7, 0
	global_store_b64 v[0:1], v[6:7], off
.LBB230_121:
	s_mov_b32 s19, 0
.LBB230_122:
	s_delay_alu instid0(SALU_CYCLE_1)
	s_and_not1_b32 vcc_lo, exec_lo, s19
	s_cbranch_vccnz .LBB230_124
; %bb.123:
	s_wait_xcnt 0x0
	v_and_b32_e32 v3, 0xffff, v2
	global_store_b32 v[0:1], v3, off
.LBB230_124:
	s_mov_b32 s19, 0
.LBB230_125:
	s_delay_alu instid0(SALU_CYCLE_1)
	s_and_not1_b32 vcc_lo, exec_lo, s19
	s_cbranch_vccnz .LBB230_134
; %bb.126:
	s_cmp_lt_i32 s14, 6
	s_mov_b32 s19, -1
	s_cbranch_scc1 .LBB230_132
; %bb.127:
	s_cmp_gt_i32 s14, 6
	s_cbranch_scc0 .LBB230_129
; %bb.128:
	s_wait_xcnt 0x0
	v_cvt_f32_f16_e32 v3, v2
	s_mov_b32 s19, 0
	s_delay_alu instid0(VALU_DEP_1)
	v_cvt_f64_f32_e32 v[6:7], v3
	global_store_b64 v[0:1], v[6:7], off
.LBB230_129:
	s_and_not1_b32 vcc_lo, exec_lo, s19
	s_cbranch_vccnz .LBB230_131
; %bb.130:
	s_wait_xcnt 0x0
	v_cvt_f32_f16_e32 v3, v2
	global_store_b32 v[0:1], v3, off
.LBB230_131:
	s_mov_b32 s19, 0
.LBB230_132:
	s_delay_alu instid0(SALU_CYCLE_1)
	s_and_not1_b32 vcc_lo, exec_lo, s19
	s_cbranch_vccnz .LBB230_134
; %bb.133:
	global_store_b16 v[0:1], v2, off
.LBB230_134:
	s_mov_b32 s19, 0
.LBB230_135:
	s_delay_alu instid0(SALU_CYCLE_1)
	s_and_not1_b32 vcc_lo, exec_lo, s19
	s_cbranch_vccnz .LBB230_151
; %bb.136:
	s_cmp_lt_i32 s14, 2
	s_mov_b32 s19, -1
	s_cbranch_scc1 .LBB230_146
; %bb.137:
	s_cmp_lt_i32 s14, 3
	s_cbranch_scc1 .LBB230_143
; %bb.138:
	s_cmp_gt_i32 s14, 3
	s_cbranch_scc0 .LBB230_140
; %bb.139:
	s_wait_xcnt 0x0
	v_cvt_f32_f16_e32 v3, v2
	s_mov_b32 s19, 0
	s_delay_alu instid0(VALU_DEP_1) | instskip(NEXT) | instid1(VALU_DEP_1)
	v_cvt_i32_f32_e32 v6, v3
	v_ashrrev_i32_e32 v7, 31, v6
	global_store_b64 v[0:1], v[6:7], off
.LBB230_140:
	s_and_not1_b32 vcc_lo, exec_lo, s19
	s_cbranch_vccnz .LBB230_142
; %bb.141:
	s_wait_xcnt 0x0
	v_cvt_f32_f16_e32 v3, v2
	s_delay_alu instid0(VALU_DEP_1)
	v_cvt_i32_f32_e32 v3, v3
	global_store_b32 v[0:1], v3, off
.LBB230_142:
	s_mov_b32 s19, 0
.LBB230_143:
	s_delay_alu instid0(SALU_CYCLE_1)
	s_and_not1_b32 vcc_lo, exec_lo, s19
	s_cbranch_vccnz .LBB230_145
; %bb.144:
	s_wait_xcnt 0x0
	v_cvt_i16_f16_e32 v3, v2
	global_store_b16 v[0:1], v3, off
.LBB230_145:
	s_mov_b32 s19, 0
.LBB230_146:
	s_delay_alu instid0(SALU_CYCLE_1)
	s_and_not1_b32 vcc_lo, exec_lo, s19
	s_cbranch_vccnz .LBB230_151
; %bb.147:
	s_cmp_gt_i32 s14, 0
	s_mov_b32 s14, -1
	s_cbranch_scc0 .LBB230_149
; %bb.148:
	s_wait_xcnt 0x0
	v_cvt_i16_f16_e32 v3, v2
	s_mov_b32 s14, 0
	global_store_b8 v[0:1], v3, off
.LBB230_149:
	s_and_not1_b32 vcc_lo, exec_lo, s14
	s_cbranch_vccnz .LBB230_151
; %bb.150:
	s_wait_xcnt 0x0
	v_cvt_f32_f16_e32 v2, v2
	s_delay_alu instid0(VALU_DEP_1)
	v_cvt_i32_f32_e32 v2, v2
	global_store_b8 v[0:1], v2, off
.LBB230_151:
.LBB230_152:
	v_add_nc_u32_e32 v4, 0x80, v4
	s_mov_b32 s19, -1
	s_branch .LBB230_263
.LBB230_153:
	s_mov_b32 s16, -1
                                        ; implicit-def: $vgpr2
.LBB230_154:
	s_mov_b32 s19, 0
.LBB230_155:
	s_delay_alu instid0(SALU_CYCLE_1)
	s_and_b32 vcc_lo, exec_lo, s19
	s_cbranch_vccz .LBB230_159
; %bb.156:
	s_cmp_eq_u32 s0, 29
	s_cbranch_scc0 .LBB230_158
; %bb.157:
	global_load_b64 v[2:3], v[0:1], off
	s_mov_b32 s14, -1
	s_mov_b32 s16, 0
	s_mov_b32 s19, 0
	s_wait_loadcnt 0x0
	v_clz_i32_u32_e32 v5, v3
	s_delay_alu instid0(VALU_DEP_1) | instskip(NEXT) | instid1(VALU_DEP_1)
	v_min_u32_e32 v5, 32, v5
	v_lshlrev_b64_e32 v[2:3], v5, v[2:3]
	s_delay_alu instid0(VALU_DEP_1) | instskip(NEXT) | instid1(VALU_DEP_1)
	v_min_u32_e32 v2, 1, v2
	v_dual_sub_nc_u32 v3, 32, v5 :: v_dual_bitop2_b32 v2, v3, v2 bitop3:0x54
	s_delay_alu instid0(VALU_DEP_1) | instskip(NEXT) | instid1(VALU_DEP_1)
	v_cvt_f32_u32_e32 v2, v2
	v_ldexp_f32 v2, v2, v3
	s_delay_alu instid0(VALU_DEP_1)
	v_cvt_f16_f32_e32 v2, v2
	s_branch .LBB230_160
.LBB230_158:
	s_mov_b32 s16, -1
                                        ; implicit-def: $vgpr2
.LBB230_159:
	s_mov_b32 s19, 0
.LBB230_160:
	s_delay_alu instid0(SALU_CYCLE_1)
	s_and_b32 vcc_lo, exec_lo, s19
	s_cbranch_vccz .LBB230_178
; %bb.161:
	s_cmp_lt_i32 s0, 27
	s_cbranch_scc1 .LBB230_164
; %bb.162:
	s_cmp_gt_i32 s0, 27
	s_cbranch_scc0 .LBB230_165
; %bb.163:
	global_load_b32 v2, v[0:1], off
	s_mov_b32 s14, 0
	s_wait_loadcnt 0x0
	v_cvt_f32_u32_e32 v2, v2
	s_delay_alu instid0(VALU_DEP_1)
	v_cvt_f16_f32_e32 v2, v2
	s_branch .LBB230_166
.LBB230_164:
	s_mov_b32 s14, -1
                                        ; implicit-def: $vgpr2
	s_branch .LBB230_169
.LBB230_165:
	s_mov_b32 s14, -1
                                        ; implicit-def: $vgpr2
.LBB230_166:
	s_delay_alu instid0(SALU_CYCLE_1)
	s_and_not1_b32 vcc_lo, exec_lo, s14
	s_cbranch_vccnz .LBB230_168
; %bb.167:
	global_load_u16 v2, v[0:1], off
	s_wait_loadcnt 0x0
	v_cvt_f16_u16_e32 v2, v2
.LBB230_168:
	s_mov_b32 s14, 0
.LBB230_169:
	s_delay_alu instid0(SALU_CYCLE_1)
	s_and_not1_b32 vcc_lo, exec_lo, s14
	s_cbranch_vccnz .LBB230_177
; %bb.170:
	global_load_u8 v3, v[0:1], off
	s_mov_b32 s14, 0
	s_mov_b32 s19, exec_lo
	s_wait_loadcnt 0x0
	v_cmpx_lt_i16_e32 0x7f, v3
	s_xor_b32 s19, exec_lo, s19
	s_cbranch_execz .LBB230_190
; %bb.171:
	s_mov_b32 s14, -1
	s_mov_b32 s20, exec_lo
	v_cmpx_eq_u16_e32 0x80, v3
; %bb.172:
	s_xor_b32 s14, exec_lo, -1
; %bb.173:
	s_or_b32 exec_lo, exec_lo, s20
	s_delay_alu instid0(SALU_CYCLE_1)
	s_and_b32 s14, s14, exec_lo
	s_or_saveexec_b32 s19, s19
	v_mov_b32_e32 v2, 0x7e00
	s_xor_b32 exec_lo, exec_lo, s19
	s_cbranch_execnz .LBB230_191
.LBB230_174:
	s_or_b32 exec_lo, exec_lo, s19
	s_and_saveexec_b32 s19, s14
	s_cbranch_execz .LBB230_176
.LBB230_175:
	v_and_b32_e32 v2, 0xffff, v3
	s_delay_alu instid0(VALU_DEP_1) | instskip(SKIP_1) | instid1(VALU_DEP_2)
	v_dual_lshlrev_b32 v3, 24, v3 :: v_dual_bitop2_b32 v5, 7, v2 bitop3:0x40
	v_bfe_u32 v8, v2, 3, 4
	v_and_b32_e32 v3, 0x80000000, v3
	s_delay_alu instid0(VALU_DEP_3) | instskip(NEXT) | instid1(VALU_DEP_3)
	v_clz_i32_u32_e32 v6, v5
	v_cmp_eq_u32_e32 vcc_lo, 0, v8
	s_delay_alu instid0(VALU_DEP_2) | instskip(NEXT) | instid1(VALU_DEP_1)
	v_min_u32_e32 v6, 32, v6
	v_subrev_nc_u32_e32 v7, 28, v6
	v_sub_nc_u32_e32 v6, 29, v6
	s_delay_alu instid0(VALU_DEP_2) | instskip(NEXT) | instid1(VALU_DEP_2)
	v_lshlrev_b32_e32 v2, v7, v2
	v_cndmask_b32_e32 v6, v8, v6, vcc_lo
	s_delay_alu instid0(VALU_DEP_2) | instskip(NEXT) | instid1(VALU_DEP_1)
	v_and_b32_e32 v2, 7, v2
	v_cndmask_b32_e32 v2, v5, v2, vcc_lo
	s_delay_alu instid0(VALU_DEP_3) | instskip(NEXT) | instid1(VALU_DEP_2)
	v_lshl_add_u32 v5, v6, 23, 0x3b800000
	v_lshlrev_b32_e32 v2, 20, v2
	s_delay_alu instid0(VALU_DEP_1) | instskip(NEXT) | instid1(VALU_DEP_1)
	v_or3_b32 v2, v3, v5, v2
	v_cvt_f16_f32_e32 v2, v2
.LBB230_176:
	s_or_b32 exec_lo, exec_lo, s19
.LBB230_177:
	s_mov_b32 s14, -1
.LBB230_178:
	s_branch .LBB230_213
.LBB230_179:
	s_cmp_gt_i32 s0, 22
	s_cbranch_scc0 .LBB230_189
; %bb.180:
	s_cmp_lt_i32 s0, 24
	s_cbranch_scc1 .LBB230_192
; %bb.181:
	s_cmp_gt_i32 s0, 24
	s_cbranch_scc0 .LBB230_193
; %bb.182:
	global_load_u8 v3, v[0:1], off
	s_mov_b32 s14, 0
	s_mov_b32 s19, exec_lo
	s_wait_loadcnt 0x0
	v_cmpx_lt_i16_e32 0x7f, v3
	s_xor_b32 s19, exec_lo, s19
	s_cbranch_execz .LBB230_205
; %bb.183:
	s_mov_b32 s14, -1
	s_mov_b32 s20, exec_lo
	v_cmpx_eq_u16_e32 0x80, v3
; %bb.184:
	s_xor_b32 s14, exec_lo, -1
; %bb.185:
	s_or_b32 exec_lo, exec_lo, s20
	s_delay_alu instid0(SALU_CYCLE_1)
	s_and_b32 s14, s14, exec_lo
	s_or_saveexec_b32 s19, s19
	v_mov_b32_e32 v2, 0x7e00
	s_xor_b32 exec_lo, exec_lo, s19
	s_cbranch_execnz .LBB230_206
.LBB230_186:
	s_or_b32 exec_lo, exec_lo, s19
	s_and_saveexec_b32 s19, s14
	s_cbranch_execz .LBB230_188
.LBB230_187:
	v_and_b32_e32 v2, 0xffff, v3
	s_delay_alu instid0(VALU_DEP_1) | instskip(SKIP_1) | instid1(VALU_DEP_2)
	v_dual_lshlrev_b32 v3, 24, v3 :: v_dual_bitop2_b32 v5, 3, v2 bitop3:0x40
	v_bfe_u32 v8, v2, 2, 5
	v_and_b32_e32 v3, 0x80000000, v3
	s_delay_alu instid0(VALU_DEP_3) | instskip(NEXT) | instid1(VALU_DEP_3)
	v_clz_i32_u32_e32 v6, v5
	v_cmp_eq_u32_e32 vcc_lo, 0, v8
	s_delay_alu instid0(VALU_DEP_2) | instskip(NEXT) | instid1(VALU_DEP_1)
	v_min_u32_e32 v6, 32, v6
	v_subrev_nc_u32_e32 v7, 29, v6
	v_sub_nc_u32_e32 v6, 30, v6
	s_delay_alu instid0(VALU_DEP_2) | instskip(NEXT) | instid1(VALU_DEP_2)
	v_lshlrev_b32_e32 v2, v7, v2
	v_cndmask_b32_e32 v6, v8, v6, vcc_lo
	s_delay_alu instid0(VALU_DEP_2) | instskip(NEXT) | instid1(VALU_DEP_1)
	v_and_b32_e32 v2, 3, v2
	v_cndmask_b32_e32 v2, v5, v2, vcc_lo
	s_delay_alu instid0(VALU_DEP_3) | instskip(NEXT) | instid1(VALU_DEP_2)
	v_lshl_add_u32 v5, v6, 23, 0x37800000
	v_lshlrev_b32_e32 v2, 21, v2
	s_delay_alu instid0(VALU_DEP_1) | instskip(NEXT) | instid1(VALU_DEP_1)
	v_or3_b32 v2, v3, v5, v2
	v_cvt_f16_f32_e32 v2, v2
.LBB230_188:
	s_or_b32 exec_lo, exec_lo, s19
	s_mov_b32 s14, 0
	s_branch .LBB230_194
.LBB230_189:
	s_mov_b32 s19, -1
                                        ; implicit-def: $vgpr2
	s_branch .LBB230_200
.LBB230_190:
	s_or_saveexec_b32 s19, s19
	v_mov_b32_e32 v2, 0x7e00
	s_xor_b32 exec_lo, exec_lo, s19
	s_cbranch_execz .LBB230_174
.LBB230_191:
	v_cmp_ne_u16_e32 vcc_lo, 0, v3
	v_mov_b32_e32 v2, v3
	s_and_not1_b32 s14, s14, exec_lo
	s_and_b32 s20, vcc_lo, exec_lo
	s_delay_alu instid0(SALU_CYCLE_1)
	s_or_b32 s14, s14, s20
	s_or_b32 exec_lo, exec_lo, s19
	s_and_saveexec_b32 s19, s14
	s_cbranch_execnz .LBB230_175
	s_branch .LBB230_176
.LBB230_192:
	s_mov_b32 s14, -1
                                        ; implicit-def: $vgpr2
	s_branch .LBB230_197
.LBB230_193:
	s_mov_b32 s14, -1
                                        ; implicit-def: $vgpr2
.LBB230_194:
	s_delay_alu instid0(SALU_CYCLE_1)
	s_and_b32 vcc_lo, exec_lo, s14
	s_cbranch_vccz .LBB230_196
; %bb.195:
	global_load_u8 v2, v[0:1], off
	s_wait_loadcnt 0x0
	v_lshlrev_b32_e32 v2, 24, v2
	s_delay_alu instid0(VALU_DEP_1) | instskip(NEXT) | instid1(VALU_DEP_1)
	v_and_b32_e32 v3, 0x7f000000, v2
	v_clz_i32_u32_e32 v5, v3
	v_add_nc_u32_e32 v7, 0x1000000, v3
	v_cmp_ne_u32_e32 vcc_lo, 0, v3
	s_delay_alu instid0(VALU_DEP_3) | instskip(NEXT) | instid1(VALU_DEP_1)
	v_min_u32_e32 v5, 32, v5
	v_sub_nc_u32_e64 v5, v5, 4 clamp
	s_delay_alu instid0(VALU_DEP_1) | instskip(NEXT) | instid1(VALU_DEP_1)
	v_dual_lshlrev_b32 v6, v5, v3 :: v_dual_lshlrev_b32 v5, 23, v5
	v_lshrrev_b32_e32 v6, 4, v6
	s_delay_alu instid0(VALU_DEP_1) | instskip(NEXT) | instid1(VALU_DEP_1)
	v_dual_sub_nc_u32 v5, v6, v5 :: v_dual_ashrrev_i32 v6, 8, v7
	v_add_nc_u32_e32 v5, 0x3c000000, v5
	s_delay_alu instid0(VALU_DEP_1) | instskip(NEXT) | instid1(VALU_DEP_1)
	v_and_or_b32 v5, 0x7f800000, v6, v5
	v_cndmask_b32_e32 v3, 0, v5, vcc_lo
	s_delay_alu instid0(VALU_DEP_1) | instskip(NEXT) | instid1(VALU_DEP_1)
	v_and_or_b32 v2, 0x80000000, v2, v3
	v_cvt_f16_f32_e32 v2, v2
.LBB230_196:
	s_mov_b32 s14, 0
.LBB230_197:
	s_delay_alu instid0(SALU_CYCLE_1)
	s_and_not1_b32 vcc_lo, exec_lo, s14
	s_cbranch_vccnz .LBB230_199
; %bb.198:
	global_load_u8 v2, v[0:1], off
	s_wait_loadcnt 0x0
	v_lshlrev_b32_e32 v3, 25, v2
	v_lshlrev_b16 v2, 8, v2
	s_delay_alu instid0(VALU_DEP_2) | instskip(NEXT) | instid1(VALU_DEP_2)
	v_cmp_gt_u32_e32 vcc_lo, 0x8000000, v3
	v_and_or_b32 v6, 0x7f00, v2, 0.5
	v_lshrrev_b32_e32 v5, 4, v3
	v_bfe_i32 v2, v2, 0, 16
	s_delay_alu instid0(VALU_DEP_3) | instskip(NEXT) | instid1(VALU_DEP_3)
	v_add_f32_e32 v6, -0.5, v6
	v_or_b32_e32 v5, 0x70000000, v5
	s_delay_alu instid0(VALU_DEP_1) | instskip(NEXT) | instid1(VALU_DEP_1)
	v_mul_f32_e32 v5, 0x7800000, v5
	v_cndmask_b32_e32 v3, v5, v6, vcc_lo
	s_delay_alu instid0(VALU_DEP_1) | instskip(NEXT) | instid1(VALU_DEP_1)
	v_and_or_b32 v2, 0x80000000, v2, v3
	v_cvt_f16_f32_e32 v2, v2
.LBB230_199:
	s_mov_b32 s19, 0
	s_mov_b32 s14, -1
.LBB230_200:
	s_and_not1_b32 vcc_lo, exec_lo, s19
	s_cbranch_vccnz .LBB230_213
; %bb.201:
	s_cmp_gt_i32 s0, 14
	s_cbranch_scc0 .LBB230_204
; %bb.202:
	s_cmp_eq_u32 s0, 15
	s_cbranch_scc0 .LBB230_207
; %bb.203:
	global_load_u16 v2, v[0:1], off
	s_mov_b32 s14, -1
	s_mov_b32 s16, 0
	s_wait_loadcnt 0x0
	v_lshlrev_b32_e32 v2, 16, v2
	s_delay_alu instid0(VALU_DEP_1)
	v_cvt_f16_f32_e32 v2, v2
	s_branch .LBB230_208
.LBB230_204:
	s_mov_b32 s19, -1
                                        ; implicit-def: $vgpr2
	s_branch .LBB230_209
.LBB230_205:
	s_or_saveexec_b32 s19, s19
	v_mov_b32_e32 v2, 0x7e00
	s_xor_b32 exec_lo, exec_lo, s19
	s_cbranch_execz .LBB230_186
.LBB230_206:
	v_cmp_ne_u16_e32 vcc_lo, 0, v3
	v_mov_b32_e32 v2, v3
	s_and_not1_b32 s14, s14, exec_lo
	s_and_b32 s20, vcc_lo, exec_lo
	s_delay_alu instid0(SALU_CYCLE_1)
	s_or_b32 s14, s14, s20
	s_or_b32 exec_lo, exec_lo, s19
	s_and_saveexec_b32 s19, s14
	s_cbranch_execnz .LBB230_187
	s_branch .LBB230_188
.LBB230_207:
	s_mov_b32 s16, -1
                                        ; implicit-def: $vgpr2
.LBB230_208:
	s_mov_b32 s19, 0
.LBB230_209:
	s_delay_alu instid0(SALU_CYCLE_1)
	s_and_b32 vcc_lo, exec_lo, s19
	s_cbranch_vccz .LBB230_213
; %bb.210:
	s_cmp_eq_u32 s0, 11
	s_cbranch_scc0 .LBB230_212
; %bb.211:
	global_load_u8 v2, v[0:1], off
	s_mov_b32 s16, 0
	s_mov_b32 s14, -1
	s_wait_loadcnt 0x0
	v_cmp_ne_u16_e32 vcc_lo, 0, v2
	v_cndmask_b32_e64 v2, 0, 0x3c00, vcc_lo
	s_branch .LBB230_213
.LBB230_212:
	s_mov_b32 s16, -1
                                        ; implicit-def: $vgpr2
.LBB230_213:
	s_branch .LBB230_10
.LBB230_214:
	s_cmp_lt_i32 s0, 5
	s_cbranch_scc1 .LBB230_219
; %bb.215:
	s_cmp_lt_i32 s0, 8
	s_cbranch_scc1 .LBB230_220
; %bb.216:
	;; [unrolled: 3-line block ×3, first 2 shown]
	s_cmp_gt_i32 s0, 9
	s_cbranch_scc0 .LBB230_222
; %bb.218:
	global_load_b64 v[2:3], v[0:1], off
	s_mov_b32 s14, 0
	s_wait_loadcnt 0x0
	v_and_or_b32 v2, 0x1ff, v3, v2
	v_lshrrev_b32_e32 v5, 8, v3
	v_bfe_u32 v6, v3, 20, 11
	v_lshrrev_b32_e32 v3, 16, v3
	s_delay_alu instid0(VALU_DEP_4) | instskip(NEXT) | instid1(VALU_DEP_3)
	v_cmp_ne_u32_e32 vcc_lo, 0, v2
	v_sub_nc_u32_e32 v7, 0x3f1, v6
	v_add_nc_u32_e32 v6, 0xfffffc10, v6
	v_cndmask_b32_e64 v2, 0, 1, vcc_lo
	s_delay_alu instid0(VALU_DEP_1) | instskip(NEXT) | instid1(VALU_DEP_4)
	v_and_or_b32 v2, 0xffe, v5, v2
	v_med3_i32 v5, v7, 0, 13
	s_delay_alu instid0(VALU_DEP_2) | instskip(NEXT) | instid1(VALU_DEP_1)
	v_or_b32_e32 v7, 0x1000, v2
	v_lshrrev_b32_e32 v8, v5, v7
	s_delay_alu instid0(VALU_DEP_1) | instskip(NEXT) | instid1(VALU_DEP_1)
	v_lshlrev_b32_e32 v5, v5, v8
	v_cmp_ne_u32_e32 vcc_lo, v5, v7
	v_lshl_or_b32 v7, v6, 12, v2
	v_cndmask_b32_e64 v5, 0, 1, vcc_lo
	v_cmp_gt_i32_e32 vcc_lo, 1, v6
	s_delay_alu instid0(VALU_DEP_2) | instskip(NEXT) | instid1(VALU_DEP_1)
	v_or_b32_e32 v5, v8, v5
	v_cndmask_b32_e32 v5, v7, v5, vcc_lo
	s_delay_alu instid0(VALU_DEP_1) | instskip(NEXT) | instid1(VALU_DEP_1)
	v_dual_lshrrev_b32 v5, 2, v5 :: v_dual_bitop2_b32 v7, 7, v5 bitop3:0x40
	v_cmp_lt_i32_e32 vcc_lo, 5, v7
	v_cndmask_b32_e64 v8, 0, 1, vcc_lo
	v_cmp_eq_u32_e32 vcc_lo, 3, v7
	v_cndmask_b32_e64 v7, 0, 1, vcc_lo
	v_cmp_ne_u32_e32 vcc_lo, 0, v2
	s_delay_alu instid0(VALU_DEP_2) | instskip(NEXT) | instid1(VALU_DEP_1)
	v_or_b32_e32 v7, v7, v8
	v_dual_mov_b32 v8, 0x7e00 :: v_dual_add_nc_u32 v5, v5, v7
	s_delay_alu instid0(VALU_DEP_1) | instskip(SKIP_1) | instid1(VALU_DEP_3)
	v_cndmask_b32_e32 v2, 0x7c00, v8, vcc_lo
	v_cmp_gt_i32_e32 vcc_lo, 31, v6
	v_cndmask_b32_e32 v5, 0x7c00, v5, vcc_lo
	v_cmp_eq_u32_e32 vcc_lo, 0x40f, v6
	s_delay_alu instid0(VALU_DEP_2) | instskip(NEXT) | instid1(VALU_DEP_1)
	v_cndmask_b32_e32 v2, v5, v2, vcc_lo
	v_and_or_b32 v2, 0x8000, v3, v2
	s_branch .LBB230_223
.LBB230_219:
                                        ; implicit-def: $vgpr2
	s_branch .LBB230_241
.LBB230_220:
	s_mov_b32 s14, -1
                                        ; implicit-def: $vgpr2
	s_branch .LBB230_229
.LBB230_221:
	s_mov_b32 s14, -1
                                        ; implicit-def: $vgpr2
	s_branch .LBB230_226
.LBB230_222:
	s_mov_b32 s14, -1
                                        ; implicit-def: $vgpr2
.LBB230_223:
	s_delay_alu instid0(SALU_CYCLE_1)
	s_and_not1_b32 vcc_lo, exec_lo, s14
	s_cbranch_vccnz .LBB230_225
; %bb.224:
	global_load_b32 v2, v[0:1], off
	s_wait_loadcnt 0x0
	v_cvt_f16_f32_e32 v2, v2
.LBB230_225:
	s_mov_b32 s14, 0
.LBB230_226:
	s_delay_alu instid0(SALU_CYCLE_1)
	s_and_not1_b32 vcc_lo, exec_lo, s14
	s_cbranch_vccnz .LBB230_228
; %bb.227:
	global_load_b32 v2, v[0:1], off
.LBB230_228:
	s_mov_b32 s14, 0
.LBB230_229:
	s_delay_alu instid0(SALU_CYCLE_1)
	s_and_not1_b32 vcc_lo, exec_lo, s14
	s_cbranch_vccnz .LBB230_240
; %bb.230:
	s_cmp_lt_i32 s0, 6
	s_cbranch_scc1 .LBB230_233
; %bb.231:
	s_cmp_gt_i32 s0, 6
	s_cbranch_scc0 .LBB230_234
; %bb.232:
	s_wait_loadcnt 0x0
	global_load_b64 v[2:3], v[0:1], off
	s_mov_b32 s14, 0
	s_wait_loadcnt 0x0
	v_and_or_b32 v2, 0x1ff, v3, v2
	v_lshrrev_b32_e32 v5, 8, v3
	v_bfe_u32 v6, v3, 20, 11
	v_lshrrev_b32_e32 v3, 16, v3
	s_delay_alu instid0(VALU_DEP_4) | instskip(NEXT) | instid1(VALU_DEP_3)
	v_cmp_ne_u32_e32 vcc_lo, 0, v2
	v_sub_nc_u32_e32 v7, 0x3f1, v6
	v_add_nc_u32_e32 v6, 0xfffffc10, v6
	v_cndmask_b32_e64 v2, 0, 1, vcc_lo
	s_delay_alu instid0(VALU_DEP_1) | instskip(NEXT) | instid1(VALU_DEP_4)
	v_and_or_b32 v2, 0xffe, v5, v2
	v_med3_i32 v5, v7, 0, 13
	s_delay_alu instid0(VALU_DEP_2) | instskip(NEXT) | instid1(VALU_DEP_1)
	v_or_b32_e32 v7, 0x1000, v2
	v_lshrrev_b32_e32 v8, v5, v7
	s_delay_alu instid0(VALU_DEP_1) | instskip(NEXT) | instid1(VALU_DEP_1)
	v_lshlrev_b32_e32 v5, v5, v8
	v_cmp_ne_u32_e32 vcc_lo, v5, v7
	v_lshl_or_b32 v7, v6, 12, v2
	v_cndmask_b32_e64 v5, 0, 1, vcc_lo
	v_cmp_gt_i32_e32 vcc_lo, 1, v6
	s_delay_alu instid0(VALU_DEP_2) | instskip(NEXT) | instid1(VALU_DEP_1)
	v_or_b32_e32 v5, v8, v5
	v_cndmask_b32_e32 v5, v7, v5, vcc_lo
	s_delay_alu instid0(VALU_DEP_1) | instskip(NEXT) | instid1(VALU_DEP_1)
	v_dual_lshrrev_b32 v5, 2, v5 :: v_dual_bitop2_b32 v7, 7, v5 bitop3:0x40
	v_cmp_lt_i32_e32 vcc_lo, 5, v7
	v_cndmask_b32_e64 v8, 0, 1, vcc_lo
	v_cmp_eq_u32_e32 vcc_lo, 3, v7
	v_cndmask_b32_e64 v7, 0, 1, vcc_lo
	v_cmp_ne_u32_e32 vcc_lo, 0, v2
	s_delay_alu instid0(VALU_DEP_2) | instskip(NEXT) | instid1(VALU_DEP_1)
	v_or_b32_e32 v7, v7, v8
	v_dual_mov_b32 v8, 0x7e00 :: v_dual_add_nc_u32 v5, v5, v7
	s_delay_alu instid0(VALU_DEP_1) | instskip(SKIP_1) | instid1(VALU_DEP_3)
	v_cndmask_b32_e32 v2, 0x7c00, v8, vcc_lo
	v_cmp_gt_i32_e32 vcc_lo, 31, v6
	v_cndmask_b32_e32 v5, 0x7c00, v5, vcc_lo
	v_cmp_eq_u32_e32 vcc_lo, 0x40f, v6
	s_delay_alu instid0(VALU_DEP_2) | instskip(NEXT) | instid1(VALU_DEP_1)
	v_cndmask_b32_e32 v2, v5, v2, vcc_lo
	v_and_or_b32 v2, 0x8000, v3, v2
	s_branch .LBB230_235
.LBB230_233:
	s_mov_b32 s14, -1
                                        ; implicit-def: $vgpr2
	s_branch .LBB230_238
.LBB230_234:
	s_mov_b32 s14, -1
                                        ; implicit-def: $vgpr2
.LBB230_235:
	s_delay_alu instid0(SALU_CYCLE_1)
	s_and_not1_b32 vcc_lo, exec_lo, s14
	s_cbranch_vccnz .LBB230_237
; %bb.236:
	s_wait_loadcnt 0x0
	global_load_b32 v2, v[0:1], off
	s_wait_loadcnt 0x0
	v_cvt_f16_f32_e32 v2, v2
.LBB230_237:
	s_mov_b32 s14, 0
.LBB230_238:
	s_delay_alu instid0(SALU_CYCLE_1)
	s_and_not1_b32 vcc_lo, exec_lo, s14
	s_cbranch_vccnz .LBB230_240
; %bb.239:
	s_wait_loadcnt 0x0
	global_load_u16 v2, v[0:1], off
.LBB230_240:
	s_cbranch_execnz .LBB230_260
.LBB230_241:
	s_cmp_lt_i32 s0, 2
	s_cbranch_scc1 .LBB230_245
; %bb.242:
	s_cmp_lt_i32 s0, 3
	s_cbranch_scc1 .LBB230_246
; %bb.243:
	s_cmp_gt_i32 s0, 3
	s_cbranch_scc0 .LBB230_247
; %bb.244:
	s_wait_loadcnt 0x0
	global_load_b64 v[2:3], v[0:1], off
	s_mov_b32 s14, 0
	s_wait_loadcnt 0x0
	v_xor_b32_e32 v5, v2, v3
	v_cls_i32_e32 v6, v3
	s_delay_alu instid0(VALU_DEP_2) | instskip(NEXT) | instid1(VALU_DEP_1)
	v_ashrrev_i32_e32 v5, 31, v5
	v_add_nc_u32_e32 v5, 32, v5
	s_delay_alu instid0(VALU_DEP_1) | instskip(NEXT) | instid1(VALU_DEP_1)
	v_add_min_u32_e64 v5, v6, -1, v5
	v_lshlrev_b64_e32 v[2:3], v5, v[2:3]
	s_delay_alu instid0(VALU_DEP_1) | instskip(NEXT) | instid1(VALU_DEP_1)
	v_min_u32_e32 v2, 1, v2
	v_dual_sub_nc_u32 v3, 32, v5 :: v_dual_bitop2_b32 v2, v3, v2 bitop3:0x54
	s_delay_alu instid0(VALU_DEP_1) | instskip(NEXT) | instid1(VALU_DEP_1)
	v_cvt_f32_i32_e32 v2, v2
	v_ldexp_f32 v2, v2, v3
	s_delay_alu instid0(VALU_DEP_1)
	v_cvt_f16_f32_e32 v2, v2
	s_branch .LBB230_248
.LBB230_245:
	s_mov_b32 s14, -1
                                        ; implicit-def: $vgpr2
	s_branch .LBB230_254
.LBB230_246:
	s_mov_b32 s14, -1
                                        ; implicit-def: $vgpr2
	s_branch .LBB230_251
.LBB230_247:
	s_mov_b32 s14, -1
                                        ; implicit-def: $vgpr2
.LBB230_248:
	s_delay_alu instid0(SALU_CYCLE_1)
	s_and_not1_b32 vcc_lo, exec_lo, s14
	s_cbranch_vccnz .LBB230_250
; %bb.249:
	s_wait_loadcnt 0x0
	global_load_b32 v2, v[0:1], off
	s_wait_loadcnt 0x0
	v_cvt_f32_i32_e32 v2, v2
	s_delay_alu instid0(VALU_DEP_1)
	v_cvt_f16_f32_e32 v2, v2
.LBB230_250:
	s_mov_b32 s14, 0
.LBB230_251:
	s_delay_alu instid0(SALU_CYCLE_1)
	s_and_not1_b32 vcc_lo, exec_lo, s14
	s_cbranch_vccnz .LBB230_253
; %bb.252:
	s_wait_loadcnt 0x0
	global_load_u16 v2, v[0:1], off
	s_wait_loadcnt 0x0
	v_cvt_f16_i16_e32 v2, v2
.LBB230_253:
	s_mov_b32 s14, 0
.LBB230_254:
	s_delay_alu instid0(SALU_CYCLE_1)
	s_and_not1_b32 vcc_lo, exec_lo, s14
	s_cbranch_vccnz .LBB230_260
; %bb.255:
	s_cmp_gt_i32 s0, 0
	s_mov_b32 s0, 0
	s_cbranch_scc0 .LBB230_257
; %bb.256:
	s_wait_loadcnt 0x0
	global_load_i8 v2, v[0:1], off
	s_wait_loadcnt 0x0
	v_cvt_f16_i16_e32 v2, v2
	s_branch .LBB230_258
.LBB230_257:
	s_mov_b32 s0, -1
                                        ; implicit-def: $vgpr2
.LBB230_258:
	s_delay_alu instid0(SALU_CYCLE_1)
	s_and_not1_b32 vcc_lo, exec_lo, s0
	s_cbranch_vccnz .LBB230_260
; %bb.259:
	global_load_u8 v0, v[0:1], off
	s_wait_loadcnt 0x0
	v_cvt_f16_u16_e32 v2, v0
.LBB230_260:
	s_branch .LBB230_11
.LBB230_261:
	s_mov_b32 s0, 0
.LBB230_262:
	s_mov_b32 s19, 0
                                        ; implicit-def: $vgpr4
.LBB230_263:
	s_and_b32 s14, s0, exec_lo
	s_and_b32 s16, s16, exec_lo
	s_or_not1_b32 s20, s19, exec_lo
.LBB230_264:
	s_wait_xcnt 0x0
	s_or_b32 exec_lo, exec_lo, s17
	s_mov_b32 s19, 0
	s_mov_b32 s0, 0
                                        ; implicit-def: $vgpr0_vgpr1
                                        ; implicit-def: $vgpr5
	s_and_saveexec_b32 s17, s20
	s_cbranch_execz .LBB230_273
; %bb.265:
	s_mov_b32 s0, -1
	s_mov_b32 s18, s16
	s_mov_b32 s19, s14
	s_mov_b32 s20, exec_lo
	v_cmpx_gt_i32_e64 s15, v4
	s_cbranch_execz .LBB230_540
; %bb.266:
	v_mul_lo_u32 v0, v4, s9
	s_and_b32 s0, 0xffff, s12
	s_delay_alu instid0(SALU_CYCLE_1) | instskip(NEXT) | instid1(VALU_DEP_1)
	s_cmp_lt_i32 s0, 11
	v_ashrrev_i32_e32 v1, 31, v0
	s_delay_alu instid0(VALU_DEP_1)
	v_add_nc_u64_e32 v[0:1], s[6:7], v[0:1]
	s_cbranch_scc1 .LBB230_276
; %bb.267:
	s_cmp_gt_i32 s0, 25
	s_cbranch_scc0 .LBB230_282
; %bb.268:
	s_cmp_gt_i32 s0, 28
	s_cbranch_scc0 .LBB230_283
; %bb.269:
	s_cmp_gt_i32 s0, 43
	s_cbranch_scc0 .LBB230_285
; %bb.270:
	s_cmp_gt_i32 s0, 45
	s_cbranch_scc0 .LBB230_306
; %bb.271:
	s_cmp_eq_u32 s0, 46
	s_mov_b32 s21, 0
	s_cbranch_scc0 .LBB230_310
; %bb.272:
	s_wait_loadcnt 0x0
	global_load_b32 v2, v[0:1], off
	s_mov_b32 s19, -1
	s_mov_b32 s18, 0
	s_wait_loadcnt 0x0
	v_lshlrev_b32_e32 v2, 16, v2
	s_delay_alu instid0(VALU_DEP_1)
	v_cvt_f16_f32_e32 v2, v2
	s_branch .LBB230_312
.LBB230_273:
	s_or_b32 exec_lo, exec_lo, s17
	s_mov_b32 s15, 0
	s_and_saveexec_b32 s17, s16
	s_cbranch_execnz .LBB230_901
.LBB230_274:
	s_or_b32 exec_lo, exec_lo, s17
	s_and_saveexec_b32 s16, s18
	s_delay_alu instid0(SALU_CYCLE_1)
	s_xor_b32 s16, exec_lo, s16
	s_cbranch_execz .LBB230_902
.LBB230_275:
	s_wait_loadcnt 0x0
	global_load_u8 v2, v[0:1], off
	s_or_b32 s0, s0, exec_lo
	s_wait_loadcnt 0x0
	v_cmp_ne_u16_e32 vcc_lo, 0, v2
	v_cndmask_b32_e64 v5, 0, 0x3c00, vcc_lo
	s_wait_xcnt 0x0
	s_or_b32 exec_lo, exec_lo, s16
	s_and_saveexec_b32 s16, s19
	s_cbranch_execz .LBB230_948
	s_branch .LBB230_903
.LBB230_276:
	s_mov_b32 s19, 0
	s_mov_b32 s18, s16
                                        ; implicit-def: $vgpr2
	s_cbranch_execnz .LBB230_489
.LBB230_277:
	s_and_not1_b32 vcc_lo, exec_lo, s19
	s_cbranch_vccnz .LBB230_537
.LBB230_278:
	s_mov_b32 s0, exec_lo
	s_wait_loadcnt 0x0
	s_delay_alu instid0(VALU_DEP_1)
	v_cmpx_o_f16_e32 v2, v2
	s_cbranch_execz .LBB230_292
; %bb.279:
	v_cvt_f32_f16_e32 v0, v2
	s_cmp_lt_i32 s10, 1
	s_mov_b32 s19, 0
	s_cbranch_scc1 .LBB230_284
; %bb.280:
	s_cmp_eq_u32 s10, 1
	s_cbranch_scc0 .LBB230_286
; %bb.281:
	v_max_num_f32_e64 v1, s11, s11
	v_max_num_f32_e32 v2, v0, v0
	s_mov_b32 s21, 0
	s_delay_alu instid0(VALU_DEP_1) | instskip(NEXT) | instid1(VALU_DEP_1)
	v_min_num_f32_e32 v1, v2, v1
	v_cvt_f16_f32_e32 v2, v1
	s_branch .LBB230_287
.LBB230_282:
	s_mov_b32 s21, -1
	s_mov_b32 s19, 0
	s_mov_b32 s18, s16
                                        ; implicit-def: $vgpr2
	s_branch .LBB230_453
.LBB230_283:
	s_mov_b32 s21, -1
	s_mov_b32 s19, 0
	s_mov_b32 s18, s16
                                        ; implicit-def: $vgpr2
	s_branch .LBB230_434
.LBB230_284:
	s_mov_b32 s22, -1
	s_mov_b32 s21, 0
                                        ; implicit-def: $vgpr2
	s_branch .LBB230_288
.LBB230_285:
	s_mov_b32 s21, -1
	s_mov_b32 s19, 0
	s_mov_b32 s18, s16
                                        ; implicit-def: $vgpr2
	s_branch .LBB230_429
.LBB230_286:
	s_mov_b32 s21, -1
                                        ; implicit-def: $vgpr2
.LBB230_287:
	s_mov_b32 s22, 0
.LBB230_288:
	s_delay_alu instid0(SALU_CYCLE_1)
	s_and_b32 vcc_lo, exec_lo, s22
	s_cbranch_vccz .LBB230_299
; %bb.289:
	s_cmp_lg_u32 s10, 0
	s_mov_b32 s19, -1
	s_cselect_b32 s21, -1, 0
	v_max_num_f32_e32 v0, v0, v0
	s_and_not1_b32 vcc_lo, exec_lo, s21
	s_cbranch_vccz .LBB230_300
.LBB230_290:
	s_and_not1_b32 vcc_lo, exec_lo, s19
	s_cbranch_vccnz .LBB230_292
.LBB230_291:
	v_max_num_f32_e64 v1, s11, s11
	s_delay_alu instid0(VALU_DEP_1) | instskip(NEXT) | instid1(VALU_DEP_1)
	v_max_num_f32_e32 v0, v0, v1
	v_cvt_f16_f32_e32 v2, v0
.LBB230_292:
	s_or_b32 exec_lo, exec_lo, s0
	v_mul_lo_u32 v0, v4, s8
	s_and_b32 s19, s3, 0xff
	s_delay_alu instid0(SALU_CYCLE_1) | instskip(NEXT) | instid1(VALU_DEP_1)
	s_cmp_lt_i32 s19, 11
	v_ashrrev_i32_e32 v1, 31, v0
	s_delay_alu instid0(VALU_DEP_1)
	v_add_nc_u64_e32 v[0:1], s[4:5], v[0:1]
	s_cbranch_scc1 .LBB230_301
; %bb.293:
	s_and_b32 s21, 0xffff, s19
	s_delay_alu instid0(SALU_CYCLE_1)
	s_cmp_gt_i32 s21, 25
	s_cbranch_scc0 .LBB230_302
; %bb.294:
	s_cmp_gt_i32 s21, 28
	s_cbranch_scc0 .LBB230_303
; %bb.295:
	;; [unrolled: 3-line block ×4, first 2 shown]
	s_mov_b32 s23, 0
	s_mov_b32 s0, -1
	s_cmp_eq_u32 s21, 46
	s_mov_b32 s22, 0
	s_cbranch_scc0 .LBB230_316
; %bb.298:
	v_cvt_f32_f16_e32 v3, v2
	v_cmp_o_f16_e32 vcc_lo, v2, v2
	s_mov_b32 s22, -1
	s_mov_b32 s0, 0
	s_delay_alu instid0(VALU_DEP_2) | instskip(NEXT) | instid1(VALU_DEP_1)
	v_bfe_u32 v5, v3, 16, 1
	v_add3_u32 v3, v3, v5, 0x7fff
	s_delay_alu instid0(VALU_DEP_1) | instskip(NEXT) | instid1(VALU_DEP_1)
	v_lshrrev_b32_e32 v3, 16, v3
	v_cndmask_b32_e32 v3, 0x7fc0, v3, vcc_lo
	global_store_b32 v[0:1], v3, off
	s_branch .LBB230_316
.LBB230_299:
	v_max_num_f32_e32 v0, v0, v0
	s_and_not1_b32 vcc_lo, exec_lo, s21
	s_cbranch_vccnz .LBB230_290
.LBB230_300:
	v_max_num_f32_e64 v1, s11, s11
	v_max_num_f32_e64 v2, s2, s2
	s_delay_alu instid0(VALU_DEP_1) | instskip(NEXT) | instid1(VALU_DEP_1)
	v_maxmin_num_f32 v1, v0, v1, v2
	v_cvt_f16_f32_e32 v2, v1
	s_cbranch_execz .LBB230_291
	s_branch .LBB230_292
.LBB230_301:
	s_mov_b32 s21, -1
	s_mov_b32 s22, 0
	s_mov_b32 s0, s14
	s_branch .LBB230_385
.LBB230_302:
	s_mov_b32 s23, -1
	s_mov_b32 s22, 0
	s_mov_b32 s0, s14
	s_branch .LBB230_343
.LBB230_303:
	s_mov_b32 s23, -1
	s_mov_b32 s22, 0
	s_mov_b32 s0, s14
	s_branch .LBB230_326
.LBB230_304:
	s_and_not1_saveexec_b32 s22, s22
	s_cbranch_execz .LBB230_66
.LBB230_305:
	v_add_f32_e64 v5, 0x46000000, |v3|
	s_and_not1_b32 s21, s21, exec_lo
	s_delay_alu instid0(VALU_DEP_1) | instskip(NEXT) | instid1(VALU_DEP_1)
	v_and_b32_e32 v5, 0xff, v5
	v_cmp_ne_u32_e32 vcc_lo, 0, v5
	s_and_b32 s23, vcc_lo, exec_lo
	s_delay_alu instid0(SALU_CYCLE_1)
	s_or_b32 s21, s21, s23
	s_or_b32 exec_lo, exec_lo, s22
	v_mov_b32_e32 v6, 0
	s_and_saveexec_b32 s22, s21
	s_cbranch_execnz .LBB230_67
	s_branch .LBB230_68
.LBB230_306:
	s_mov_b32 s21, -1
	s_mov_b32 s19, 0
	s_mov_b32 s18, s16
	s_branch .LBB230_311
.LBB230_307:
	s_mov_b32 s23, -1
	s_mov_b32 s22, 0
	s_mov_b32 s0, s14
	s_branch .LBB230_322
.LBB230_308:
	s_and_not1_saveexec_b32 s22, s22
	s_cbranch_execz .LBB230_79
.LBB230_309:
	v_add_f32_e64 v5, 0x42800000, |v3|
	s_and_not1_b32 s21, s21, exec_lo
	s_delay_alu instid0(VALU_DEP_1) | instskip(NEXT) | instid1(VALU_DEP_1)
	v_and_b32_e32 v5, 0xff, v5
	v_cmp_ne_u32_e32 vcc_lo, 0, v5
	s_and_b32 s23, vcc_lo, exec_lo
	s_delay_alu instid0(SALU_CYCLE_1)
	s_or_b32 s21, s21, s23
	s_or_b32 exec_lo, exec_lo, s22
	v_mov_b32_e32 v6, 0
	s_and_saveexec_b32 s22, s21
	s_cbranch_execnz .LBB230_80
	s_branch .LBB230_81
.LBB230_310:
	s_mov_b32 s18, -1
	s_mov_b32 s19, 0
.LBB230_311:
                                        ; implicit-def: $vgpr2
.LBB230_312:
	s_and_b32 vcc_lo, exec_lo, s21
	s_cbranch_vccz .LBB230_428
; %bb.313:
	s_cmp_eq_u32 s0, 44
	s_cbranch_scc0 .LBB230_427
; %bb.314:
	s_wait_loadcnt 0x0
	global_load_u8 v2, v[0:1], off
	s_mov_b32 s18, 0
	s_mov_b32 s19, -1
	s_wait_loadcnt 0x0
	v_lshlrev_b32_e32 v3, 23, v2
	v_cmp_ne_u32_e32 vcc_lo, 0xff, v2
	s_delay_alu instid0(VALU_DEP_2) | instskip(NEXT) | instid1(VALU_DEP_1)
	v_cvt_f16_f32_e32 v3, v3
	v_cndmask_b32_e32 v3, 0x7e00, v3, vcc_lo
	v_cmp_ne_u32_e32 vcc_lo, 0, v2
	s_delay_alu instid0(VALU_DEP_2)
	v_cndmask_b32_e32 v2, 0, v3, vcc_lo
	s_branch .LBB230_428
.LBB230_315:
	s_mov_b32 s23, -1
	s_mov_b32 s22, 0
	s_mov_b32 s0, s14
.LBB230_316:
	s_and_b32 vcc_lo, exec_lo, s23
	s_cbranch_vccz .LBB230_321
; %bb.317:
	s_cmp_eq_u32 s21, 44
	s_mov_b32 s0, -1
	s_cbranch_scc0 .LBB230_321
; %bb.318:
	s_wait_xcnt 0x0
	v_cvt_f32_f16_e32 v3, v2
	v_mov_b32_e32 v5, 0xff
	s_mov_b32 s22, exec_lo
	s_delay_alu instid0(VALU_DEP_2) | instskip(NEXT) | instid1(VALU_DEP_1)
	v_bfe_u32 v6, v3, 23, 8
	v_cmpx_ne_u32_e32 0xff, v6
	s_cbranch_execz .LBB230_320
; %bb.319:
	v_and_b32_e32 v5, 0x400000, v3
	v_and_or_b32 v6, 0x3fffff, v3, v6
	v_lshrrev_b32_e32 v3, 23, v3
	s_delay_alu instid0(VALU_DEP_3) | instskip(NEXT) | instid1(VALU_DEP_3)
	v_cmp_ne_u32_e32 vcc_lo, 0, v5
	v_cmp_ne_u32_e64 s0, 0, v6
	s_and_b32 s0, vcc_lo, s0
	s_delay_alu instid0(SALU_CYCLE_1) | instskip(NEXT) | instid1(VALU_DEP_1)
	v_cndmask_b32_e64 v5, 0, 1, s0
	v_add_nc_u32_e32 v5, v3, v5
.LBB230_320:
	s_or_b32 exec_lo, exec_lo, s22
	s_mov_b32 s22, -1
	s_mov_b32 s0, 0
	global_store_b8 v[0:1], v5, off
.LBB230_321:
	s_mov_b32 s23, 0
.LBB230_322:
	s_delay_alu instid0(SALU_CYCLE_1)
	s_and_b32 vcc_lo, exec_lo, s23
	s_cbranch_vccz .LBB230_325
; %bb.323:
	s_cmp_eq_u32 s21, 29
	s_mov_b32 s0, -1
	s_cbranch_scc0 .LBB230_325
; %bb.324:
	s_wait_xcnt 0x0
	v_cvt_f32_f16_e32 v3, v2
	v_mov_b32_e32 v7, 0
	s_mov_b32 s22, -1
	s_mov_b32 s0, 0
	s_mov_b32 s23, 0
	v_cvt_u32_f32_e32 v6, v3
	global_store_b64 v[0:1], v[6:7], off
	s_branch .LBB230_326
.LBB230_325:
	s_mov_b32 s23, 0
.LBB230_326:
	s_delay_alu instid0(SALU_CYCLE_1)
	s_and_b32 vcc_lo, exec_lo, s23
	s_cbranch_vccz .LBB230_342
; %bb.327:
	s_cmp_lt_i32 s21, 27
	s_mov_b32 s22, -1
	s_cbranch_scc1 .LBB230_333
; %bb.328:
	s_cmp_gt_i32 s21, 27
	s_cbranch_scc0 .LBB230_330
; %bb.329:
	s_wait_xcnt 0x0
	v_cvt_f32_f16_e32 v3, v2
	s_mov_b32 s22, 0
	s_delay_alu instid0(VALU_DEP_1)
	v_cvt_u32_f32_e32 v3, v3
	global_store_b32 v[0:1], v3, off
.LBB230_330:
	s_and_not1_b32 vcc_lo, exec_lo, s22
	s_cbranch_vccnz .LBB230_332
; %bb.331:
	s_wait_xcnt 0x0
	v_cvt_u16_f16_e32 v3, v2
	global_store_b16 v[0:1], v3, off
.LBB230_332:
	s_mov_b32 s22, 0
.LBB230_333:
	s_delay_alu instid0(SALU_CYCLE_1)
	s_and_not1_b32 vcc_lo, exec_lo, s22
	s_cbranch_vccnz .LBB230_341
; %bb.334:
	s_wait_xcnt 0x0
	v_cvt_f32_f16_e32 v3, v2
	v_mov_b32_e32 v6, 0x80
	s_mov_b32 s22, exec_lo
	s_delay_alu instid0(VALU_DEP_2) | instskip(NEXT) | instid1(VALU_DEP_1)
	v_and_b32_e32 v5, 0x7fffffff, v3
	v_cmpx_gt_u32_e32 0x43800000, v5
	s_cbranch_execz .LBB230_340
; %bb.335:
	v_cmp_lt_u32_e32 vcc_lo, 0x3bffffff, v5
	s_mov_b32 s23, 0
                                        ; implicit-def: $vgpr5
	s_and_saveexec_b32 s24, vcc_lo
	s_delay_alu instid0(SALU_CYCLE_1)
	s_xor_b32 s24, exec_lo, s24
	s_cbranch_execz .LBB230_553
; %bb.336:
	v_bfe_u32 v5, v3, 20, 1
	s_mov_b32 s23, exec_lo
	s_delay_alu instid0(VALU_DEP_1) | instskip(NEXT) | instid1(VALU_DEP_1)
	v_add3_u32 v5, v3, v5, 0x487ffff
	v_lshrrev_b32_e32 v5, 20, v5
	s_and_not1_saveexec_b32 s24, s24
	s_cbranch_execnz .LBB230_554
.LBB230_337:
	s_or_b32 exec_lo, exec_lo, s24
	v_mov_b32_e32 v6, 0
	s_and_saveexec_b32 s24, s23
.LBB230_338:
	v_lshrrev_b32_e32 v3, 24, v3
	s_delay_alu instid0(VALU_DEP_1)
	v_and_or_b32 v6, 0x80, v3, v5
.LBB230_339:
	s_or_b32 exec_lo, exec_lo, s24
.LBB230_340:
	s_delay_alu instid0(SALU_CYCLE_1)
	s_or_b32 exec_lo, exec_lo, s22
	global_store_b8 v[0:1], v6, off
.LBB230_341:
	s_mov_b32 s22, -1
.LBB230_342:
	s_mov_b32 s23, 0
.LBB230_343:
	s_delay_alu instid0(SALU_CYCLE_1)
	s_and_b32 vcc_lo, exec_lo, s23
	s_cbranch_vccz .LBB230_384
; %bb.344:
	s_cmp_gt_i32 s21, 22
	s_mov_b32 s23, -1
	s_cbranch_scc0 .LBB230_376
; %bb.345:
	s_cmp_lt_i32 s21, 24
	s_mov_b32 s22, -1
	s_cbranch_scc1 .LBB230_365
; %bb.346:
	s_cmp_gt_i32 s21, 24
	s_cbranch_scc0 .LBB230_354
; %bb.347:
	s_wait_xcnt 0x0
	v_cvt_f32_f16_e32 v3, v2
	v_mov_b32_e32 v6, 0x80
	s_mov_b32 s22, exec_lo
	s_delay_alu instid0(VALU_DEP_2) | instskip(NEXT) | instid1(VALU_DEP_1)
	v_and_b32_e32 v5, 0x7fffffff, v3
	v_cmpx_gt_u32_e32 0x47800000, v5
	s_cbranch_execz .LBB230_353
; %bb.348:
	v_cmp_lt_u32_e32 vcc_lo, 0x37ffffff, v5
	s_mov_b32 s23, 0
                                        ; implicit-def: $vgpr5
	s_and_saveexec_b32 s24, vcc_lo
	s_delay_alu instid0(SALU_CYCLE_1)
	s_xor_b32 s24, exec_lo, s24
	s_cbranch_execz .LBB230_556
; %bb.349:
	v_bfe_u32 v5, v3, 21, 1
	s_mov_b32 s23, exec_lo
	s_delay_alu instid0(VALU_DEP_1) | instskip(NEXT) | instid1(VALU_DEP_1)
	v_add3_u32 v5, v3, v5, 0x88fffff
	v_lshrrev_b32_e32 v5, 21, v5
	s_and_not1_saveexec_b32 s24, s24
	s_cbranch_execnz .LBB230_557
.LBB230_350:
	s_or_b32 exec_lo, exec_lo, s24
	v_mov_b32_e32 v6, 0
	s_and_saveexec_b32 s24, s23
.LBB230_351:
	v_lshrrev_b32_e32 v3, 24, v3
	s_delay_alu instid0(VALU_DEP_1)
	v_and_or_b32 v6, 0x80, v3, v5
.LBB230_352:
	s_or_b32 exec_lo, exec_lo, s24
.LBB230_353:
	s_delay_alu instid0(SALU_CYCLE_1)
	s_or_b32 exec_lo, exec_lo, s22
	s_mov_b32 s22, 0
	global_store_b8 v[0:1], v6, off
.LBB230_354:
	s_and_b32 vcc_lo, exec_lo, s22
	s_cbranch_vccz .LBB230_364
; %bb.355:
	s_wait_xcnt 0x0
	v_cvt_f32_f16_e32 v3, v2
	s_mov_b32 s22, exec_lo
                                        ; implicit-def: $vgpr5
	s_delay_alu instid0(VALU_DEP_1) | instskip(NEXT) | instid1(VALU_DEP_1)
	v_and_b32_e32 v6, 0x7fffffff, v3
	v_cmpx_gt_u32_e32 0x43f00000, v6
	s_xor_b32 s22, exec_lo, s22
	s_cbranch_execz .LBB230_361
; %bb.356:
	s_mov_b32 s23, exec_lo
                                        ; implicit-def: $vgpr5
	v_cmpx_lt_u32_e32 0x3c7fffff, v6
	s_xor_b32 s23, exec_lo, s23
; %bb.357:
	v_bfe_u32 v5, v3, 20, 1
	s_delay_alu instid0(VALU_DEP_1) | instskip(NEXT) | instid1(VALU_DEP_1)
	v_add3_u32 v5, v3, v5, 0x407ffff
	v_and_b32_e32 v6, 0xff00000, v5
	v_lshrrev_b32_e32 v5, 20, v5
	s_delay_alu instid0(VALU_DEP_2) | instskip(NEXT) | instid1(VALU_DEP_2)
	v_cmp_ne_u32_e32 vcc_lo, 0x7f00000, v6
	v_cndmask_b32_e32 v5, 0x7e, v5, vcc_lo
; %bb.358:
	s_and_not1_saveexec_b32 s23, s23
; %bb.359:
	v_add_f32_e64 v5, 0x46800000, |v3|
; %bb.360:
	s_or_b32 exec_lo, exec_lo, s23
                                        ; implicit-def: $vgpr6
.LBB230_361:
	s_and_not1_saveexec_b32 s22, s22
; %bb.362:
	v_mov_b32_e32 v5, 0x7f
	v_cmp_lt_u32_e32 vcc_lo, 0x7f800000, v6
	s_delay_alu instid0(VALU_DEP_2)
	v_cndmask_b32_e32 v5, 0x7e, v5, vcc_lo
; %bb.363:
	s_or_b32 exec_lo, exec_lo, s22
	v_lshrrev_b32_e32 v3, 24, v3
	s_delay_alu instid0(VALU_DEP_1)
	v_and_or_b32 v3, 0x80, v3, v5
	global_store_b8 v[0:1], v3, off
.LBB230_364:
	s_mov_b32 s22, 0
.LBB230_365:
	s_delay_alu instid0(SALU_CYCLE_1)
	s_and_not1_b32 vcc_lo, exec_lo, s22
	s_cbranch_vccnz .LBB230_375
; %bb.366:
	s_wait_xcnt 0x0
	v_cvt_f32_f16_e32 v3, v2
	s_mov_b32 s22, exec_lo
                                        ; implicit-def: $vgpr5
	s_delay_alu instid0(VALU_DEP_1) | instskip(NEXT) | instid1(VALU_DEP_1)
	v_and_b32_e32 v6, 0x7fffffff, v3
	v_cmpx_gt_u32_e32 0x47800000, v6
	s_xor_b32 s22, exec_lo, s22
	s_cbranch_execz .LBB230_372
; %bb.367:
	s_mov_b32 s23, exec_lo
                                        ; implicit-def: $vgpr5
	v_cmpx_lt_u32_e32 0x387fffff, v6
	s_xor_b32 s23, exec_lo, s23
; %bb.368:
	v_bfe_u32 v5, v3, 21, 1
	s_delay_alu instid0(VALU_DEP_1) | instskip(NEXT) | instid1(VALU_DEP_1)
	v_add3_u32 v5, v3, v5, 0x80fffff
	v_lshrrev_b32_e32 v5, 21, v5
; %bb.369:
	s_and_not1_saveexec_b32 s23, s23
; %bb.370:
	v_add_f32_e64 v5, 0x43000000, |v3|
; %bb.371:
	s_or_b32 exec_lo, exec_lo, s23
                                        ; implicit-def: $vgpr6
.LBB230_372:
	s_and_not1_saveexec_b32 s22, s22
; %bb.373:
	v_mov_b32_e32 v5, 0x7f
	v_cmp_lt_u32_e32 vcc_lo, 0x7f800000, v6
	s_delay_alu instid0(VALU_DEP_2)
	v_cndmask_b32_e32 v5, 0x7c, v5, vcc_lo
; %bb.374:
	s_or_b32 exec_lo, exec_lo, s22
	v_lshrrev_b32_e32 v3, 24, v3
	s_delay_alu instid0(VALU_DEP_1)
	v_and_or_b32 v3, 0x80, v3, v5
	global_store_b8 v[0:1], v3, off
.LBB230_375:
	s_mov_b32 s23, 0
	s_mov_b32 s22, -1
.LBB230_376:
	s_and_not1_b32 vcc_lo, exec_lo, s23
	s_cbranch_vccnz .LBB230_384
; %bb.377:
	s_cmp_gt_i32 s21, 14
	s_mov_b32 s23, -1
	s_cbranch_scc0 .LBB230_381
; %bb.378:
	s_cmp_eq_u32 s21, 15
	s_mov_b32 s0, -1
	s_cbranch_scc0 .LBB230_380
; %bb.379:
	s_wait_xcnt 0x0
	v_cvt_f32_f16_e32 v3, v2
	v_cmp_o_f16_e32 vcc_lo, v2, v2
	s_mov_b32 s22, -1
	s_mov_b32 s0, 0
	s_delay_alu instid0(VALU_DEP_2) | instskip(NEXT) | instid1(VALU_DEP_1)
	v_bfe_u32 v5, v3, 16, 1
	v_add3_u32 v3, v3, v5, 0x7fff
	s_delay_alu instid0(VALU_DEP_1) | instskip(NEXT) | instid1(VALU_DEP_1)
	v_lshrrev_b32_e32 v3, 16, v3
	v_cndmask_b32_e32 v3, 0x7fc0, v3, vcc_lo
	global_store_b16 v[0:1], v3, off
.LBB230_380:
	s_mov_b32 s23, 0
.LBB230_381:
	s_delay_alu instid0(SALU_CYCLE_1)
	s_and_b32 vcc_lo, exec_lo, s23
	s_cbranch_vccz .LBB230_384
; %bb.382:
	s_cmp_eq_u32 s21, 11
	s_mov_b32 s0, -1
	s_cbranch_scc0 .LBB230_384
; %bb.383:
	s_wait_xcnt 0x0
	v_and_b32_e32 v3, 0x7fff, v2
	s_mov_b32 s0, 0
	s_mov_b32 s22, -1
	s_delay_alu instid0(VALU_DEP_1)
	v_cmp_ne_u16_e32 vcc_lo, 0, v3
	v_cndmask_b32_e64 v3, 0, 1, vcc_lo
	global_store_b8 v[0:1], v3, off
.LBB230_384:
	s_mov_b32 s21, 0
.LBB230_385:
	s_delay_alu instid0(SALU_CYCLE_1)
	s_and_b32 vcc_lo, exec_lo, s21
	s_cbranch_vccz .LBB230_424
; %bb.386:
	s_and_b32 s19, 0xffff, s19
	s_mov_b32 s21, -1
	s_cmp_lt_i32 s19, 5
	s_cbranch_scc1 .LBB230_407
; %bb.387:
	s_cmp_lt_i32 s19, 8
	s_cbranch_scc1 .LBB230_397
; %bb.388:
	;; [unrolled: 3-line block ×3, first 2 shown]
	s_cmp_gt_i32 s19, 9
	s_cbranch_scc0 .LBB230_391
; %bb.390:
	s_wait_xcnt 0x0
	v_cvt_f32_f16_e32 v3, v2
	v_mov_b32_e32 v8, 0
	s_mov_b32 s21, 0
	s_delay_alu instid0(VALU_DEP_2) | instskip(NEXT) | instid1(VALU_DEP_2)
	v_cvt_f64_f32_e32 v[6:7], v3
	v_mov_b32_e32 v9, v8
	global_store_b128 v[0:1], v[6:9], off
.LBB230_391:
	s_and_not1_b32 vcc_lo, exec_lo, s21
	s_cbranch_vccnz .LBB230_393
; %bb.392:
	s_wait_xcnt 0x0
	v_cvt_f32_f16_e32 v6, v2
	v_mov_b32_e32 v7, 0
	global_store_b64 v[0:1], v[6:7], off
.LBB230_393:
	s_mov_b32 s21, 0
.LBB230_394:
	s_delay_alu instid0(SALU_CYCLE_1)
	s_and_not1_b32 vcc_lo, exec_lo, s21
	s_cbranch_vccnz .LBB230_396
; %bb.395:
	s_wait_xcnt 0x0
	v_and_b32_e32 v3, 0xffff, v2
	global_store_b32 v[0:1], v3, off
.LBB230_396:
	s_mov_b32 s21, 0
.LBB230_397:
	s_delay_alu instid0(SALU_CYCLE_1)
	s_and_not1_b32 vcc_lo, exec_lo, s21
	s_cbranch_vccnz .LBB230_406
; %bb.398:
	s_cmp_lt_i32 s19, 6
	s_mov_b32 s21, -1
	s_cbranch_scc1 .LBB230_404
; %bb.399:
	s_cmp_gt_i32 s19, 6
	s_cbranch_scc0 .LBB230_401
; %bb.400:
	s_wait_xcnt 0x0
	v_cvt_f32_f16_e32 v3, v2
	s_mov_b32 s21, 0
	s_delay_alu instid0(VALU_DEP_1)
	v_cvt_f64_f32_e32 v[6:7], v3
	global_store_b64 v[0:1], v[6:7], off
.LBB230_401:
	s_and_not1_b32 vcc_lo, exec_lo, s21
	s_cbranch_vccnz .LBB230_403
; %bb.402:
	s_wait_xcnt 0x0
	v_cvt_f32_f16_e32 v3, v2
	global_store_b32 v[0:1], v3, off
.LBB230_403:
	s_mov_b32 s21, 0
.LBB230_404:
	s_delay_alu instid0(SALU_CYCLE_1)
	s_and_not1_b32 vcc_lo, exec_lo, s21
	s_cbranch_vccnz .LBB230_406
; %bb.405:
	global_store_b16 v[0:1], v2, off
.LBB230_406:
	s_mov_b32 s21, 0
.LBB230_407:
	s_delay_alu instid0(SALU_CYCLE_1)
	s_and_not1_b32 vcc_lo, exec_lo, s21
	s_cbranch_vccnz .LBB230_423
; %bb.408:
	s_cmp_lt_i32 s19, 2
	s_mov_b32 s21, -1
	s_cbranch_scc1 .LBB230_418
; %bb.409:
	s_cmp_lt_i32 s19, 3
	s_cbranch_scc1 .LBB230_415
; %bb.410:
	s_cmp_gt_i32 s19, 3
	s_cbranch_scc0 .LBB230_412
; %bb.411:
	s_wait_xcnt 0x0
	v_cvt_f32_f16_e32 v3, v2
	s_mov_b32 s21, 0
	s_delay_alu instid0(VALU_DEP_1) | instskip(NEXT) | instid1(VALU_DEP_1)
	v_cvt_i32_f32_e32 v6, v3
	v_ashrrev_i32_e32 v7, 31, v6
	global_store_b64 v[0:1], v[6:7], off
.LBB230_412:
	s_and_not1_b32 vcc_lo, exec_lo, s21
	s_cbranch_vccnz .LBB230_414
; %bb.413:
	s_wait_xcnt 0x0
	v_cvt_f32_f16_e32 v3, v2
	s_delay_alu instid0(VALU_DEP_1)
	v_cvt_i32_f32_e32 v3, v3
	global_store_b32 v[0:1], v3, off
.LBB230_414:
	s_mov_b32 s21, 0
.LBB230_415:
	s_delay_alu instid0(SALU_CYCLE_1)
	s_and_not1_b32 vcc_lo, exec_lo, s21
	s_cbranch_vccnz .LBB230_417
; %bb.416:
	s_wait_xcnt 0x0
	v_cvt_i16_f16_e32 v3, v2
	global_store_b16 v[0:1], v3, off
.LBB230_417:
	s_mov_b32 s21, 0
.LBB230_418:
	s_delay_alu instid0(SALU_CYCLE_1)
	s_and_not1_b32 vcc_lo, exec_lo, s21
	s_cbranch_vccnz .LBB230_423
; %bb.419:
	s_cmp_gt_i32 s19, 0
	s_mov_b32 s19, -1
	s_cbranch_scc0 .LBB230_421
; %bb.420:
	s_wait_xcnt 0x0
	v_cvt_i16_f16_e32 v3, v2
	s_mov_b32 s19, 0
	global_store_b8 v[0:1], v3, off
.LBB230_421:
	s_and_not1_b32 vcc_lo, exec_lo, s19
	s_cbranch_vccnz .LBB230_423
; %bb.422:
	s_wait_xcnt 0x0
	v_cvt_f32_f16_e32 v2, v2
	s_delay_alu instid0(VALU_DEP_1)
	v_cvt_i32_f32_e32 v2, v2
	global_store_b8 v[0:1], v2, off
.LBB230_423:
	s_mov_b32 s22, -1
.LBB230_424:
	s_delay_alu instid0(SALU_CYCLE_1)
	s_and_not1_b32 vcc_lo, exec_lo, s22
	s_cbranch_vccnz .LBB230_426
; %bb.425:
	v_add_nc_u32_e32 v4, 0x80, v4
	s_mov_b32 s21, -1
	s_branch .LBB230_539
.LBB230_426:
	s_mov_b32 s21, 0
	s_branch .LBB230_538
.LBB230_427:
	s_mov_b32 s18, -1
                                        ; implicit-def: $vgpr2
.LBB230_428:
	s_mov_b32 s21, 0
.LBB230_429:
	s_delay_alu instid0(SALU_CYCLE_1)
	s_and_b32 vcc_lo, exec_lo, s21
	s_cbranch_vccz .LBB230_433
; %bb.430:
	s_cmp_eq_u32 s0, 29
	s_cbranch_scc0 .LBB230_432
; %bb.431:
	s_wait_loadcnt 0x0
	global_load_b64 v[2:3], v[0:1], off
	s_mov_b32 s19, -1
	s_mov_b32 s18, 0
	s_mov_b32 s21, 0
	s_wait_loadcnt 0x0
	v_clz_i32_u32_e32 v5, v3
	s_delay_alu instid0(VALU_DEP_1) | instskip(NEXT) | instid1(VALU_DEP_1)
	v_min_u32_e32 v5, 32, v5
	v_lshlrev_b64_e32 v[2:3], v5, v[2:3]
	s_delay_alu instid0(VALU_DEP_1) | instskip(NEXT) | instid1(VALU_DEP_1)
	v_min_u32_e32 v2, 1, v2
	v_dual_sub_nc_u32 v3, 32, v5 :: v_dual_bitop2_b32 v2, v3, v2 bitop3:0x54
	s_delay_alu instid0(VALU_DEP_1) | instskip(NEXT) | instid1(VALU_DEP_1)
	v_cvt_f32_u32_e32 v2, v2
	v_ldexp_f32 v2, v2, v3
	s_delay_alu instid0(VALU_DEP_1)
	v_cvt_f16_f32_e32 v2, v2
	s_branch .LBB230_434
.LBB230_432:
	s_mov_b32 s18, -1
                                        ; implicit-def: $vgpr2
.LBB230_433:
	s_mov_b32 s21, 0
.LBB230_434:
	s_delay_alu instid0(SALU_CYCLE_1)
	s_and_b32 vcc_lo, exec_lo, s21
	s_cbranch_vccz .LBB230_452
; %bb.435:
	s_cmp_lt_i32 s0, 27
	s_cbranch_scc1 .LBB230_438
; %bb.436:
	s_cmp_gt_i32 s0, 27
	s_cbranch_scc0 .LBB230_439
; %bb.437:
	s_wait_loadcnt 0x0
	global_load_b32 v2, v[0:1], off
	s_mov_b32 s19, 0
	s_wait_loadcnt 0x0
	v_cvt_f32_u32_e32 v2, v2
	s_delay_alu instid0(VALU_DEP_1)
	v_cvt_f16_f32_e32 v2, v2
	s_branch .LBB230_440
.LBB230_438:
	s_mov_b32 s19, -1
                                        ; implicit-def: $vgpr2
	s_branch .LBB230_443
.LBB230_439:
	s_mov_b32 s19, -1
                                        ; implicit-def: $vgpr2
.LBB230_440:
	s_delay_alu instid0(SALU_CYCLE_1)
	s_and_not1_b32 vcc_lo, exec_lo, s19
	s_cbranch_vccnz .LBB230_442
; %bb.441:
	s_wait_loadcnt 0x0
	global_load_u16 v2, v[0:1], off
	s_wait_loadcnt 0x0
	v_cvt_f16_u16_e32 v2, v2
.LBB230_442:
	s_mov_b32 s19, 0
.LBB230_443:
	s_delay_alu instid0(SALU_CYCLE_1)
	s_and_not1_b32 vcc_lo, exec_lo, s19
	s_cbranch_vccnz .LBB230_451
; %bb.444:
	global_load_u8 v3, v[0:1], off
	s_mov_b32 s19, 0
	s_mov_b32 s21, exec_lo
	s_wait_loadcnt 0x0
	v_cmpx_lt_i16_e32 0x7f, v3
	s_xor_b32 s21, exec_lo, s21
	s_cbranch_execz .LBB230_465
; %bb.445:
	s_mov_b32 s19, -1
	s_mov_b32 s22, exec_lo
	v_cmpx_eq_u16_e32 0x80, v3
; %bb.446:
	s_xor_b32 s19, exec_lo, -1
; %bb.447:
	s_or_b32 exec_lo, exec_lo, s22
	s_delay_alu instid0(SALU_CYCLE_1)
	s_and_b32 s19, s19, exec_lo
	s_or_saveexec_b32 s21, s21
	v_mov_b32_e32 v2, 0x7e00
	s_xor_b32 exec_lo, exec_lo, s21
	s_cbranch_execnz .LBB230_466
.LBB230_448:
	s_or_b32 exec_lo, exec_lo, s21
	s_and_saveexec_b32 s21, s19
	s_cbranch_execz .LBB230_450
.LBB230_449:
	v_and_b32_e32 v2, 0xffff, v3
	s_delay_alu instid0(VALU_DEP_1) | instskip(SKIP_1) | instid1(VALU_DEP_2)
	v_dual_lshlrev_b32 v3, 24, v3 :: v_dual_bitop2_b32 v5, 7, v2 bitop3:0x40
	v_bfe_u32 v8, v2, 3, 4
	v_and_b32_e32 v3, 0x80000000, v3
	s_delay_alu instid0(VALU_DEP_3) | instskip(NEXT) | instid1(VALU_DEP_3)
	v_clz_i32_u32_e32 v6, v5
	v_cmp_eq_u32_e32 vcc_lo, 0, v8
	s_delay_alu instid0(VALU_DEP_2) | instskip(NEXT) | instid1(VALU_DEP_1)
	v_min_u32_e32 v6, 32, v6
	v_subrev_nc_u32_e32 v7, 28, v6
	v_sub_nc_u32_e32 v6, 29, v6
	s_delay_alu instid0(VALU_DEP_2) | instskip(NEXT) | instid1(VALU_DEP_2)
	v_lshlrev_b32_e32 v2, v7, v2
	v_cndmask_b32_e32 v6, v8, v6, vcc_lo
	s_delay_alu instid0(VALU_DEP_2) | instskip(NEXT) | instid1(VALU_DEP_1)
	v_and_b32_e32 v2, 7, v2
	v_cndmask_b32_e32 v2, v5, v2, vcc_lo
	s_delay_alu instid0(VALU_DEP_3) | instskip(NEXT) | instid1(VALU_DEP_2)
	v_lshl_add_u32 v5, v6, 23, 0x3b800000
	v_lshlrev_b32_e32 v2, 20, v2
	s_delay_alu instid0(VALU_DEP_1) | instskip(NEXT) | instid1(VALU_DEP_1)
	v_or3_b32 v2, v3, v5, v2
	v_cvt_f16_f32_e32 v2, v2
.LBB230_450:
	s_or_b32 exec_lo, exec_lo, s21
.LBB230_451:
	s_mov_b32 s19, -1
.LBB230_452:
	s_mov_b32 s21, 0
.LBB230_453:
	s_delay_alu instid0(SALU_CYCLE_1)
	s_and_b32 vcc_lo, exec_lo, s21
	s_cbranch_vccz .LBB230_488
; %bb.454:
	s_cmp_gt_i32 s0, 22
	s_cbranch_scc0 .LBB230_464
; %bb.455:
	s_cmp_lt_i32 s0, 24
	s_cbranch_scc1 .LBB230_467
; %bb.456:
	s_cmp_gt_i32 s0, 24
	s_cbranch_scc0 .LBB230_468
; %bb.457:
	global_load_u8 v3, v[0:1], off
	s_mov_b32 s19, 0
	s_mov_b32 s21, exec_lo
	s_wait_loadcnt 0x0
	v_cmpx_lt_i16_e32 0x7f, v3
	s_xor_b32 s21, exec_lo, s21
	s_cbranch_execz .LBB230_480
; %bb.458:
	s_mov_b32 s19, -1
	s_mov_b32 s22, exec_lo
	v_cmpx_eq_u16_e32 0x80, v3
; %bb.459:
	s_xor_b32 s19, exec_lo, -1
; %bb.460:
	s_or_b32 exec_lo, exec_lo, s22
	s_delay_alu instid0(SALU_CYCLE_1)
	s_and_b32 s19, s19, exec_lo
	s_or_saveexec_b32 s21, s21
	v_mov_b32_e32 v2, 0x7e00
	s_xor_b32 exec_lo, exec_lo, s21
	s_cbranch_execnz .LBB230_481
.LBB230_461:
	s_or_b32 exec_lo, exec_lo, s21
	s_and_saveexec_b32 s21, s19
	s_cbranch_execz .LBB230_463
.LBB230_462:
	v_and_b32_e32 v2, 0xffff, v3
	s_delay_alu instid0(VALU_DEP_1) | instskip(SKIP_1) | instid1(VALU_DEP_2)
	v_dual_lshlrev_b32 v3, 24, v3 :: v_dual_bitop2_b32 v5, 3, v2 bitop3:0x40
	v_bfe_u32 v8, v2, 2, 5
	v_and_b32_e32 v3, 0x80000000, v3
	s_delay_alu instid0(VALU_DEP_3) | instskip(NEXT) | instid1(VALU_DEP_3)
	v_clz_i32_u32_e32 v6, v5
	v_cmp_eq_u32_e32 vcc_lo, 0, v8
	s_delay_alu instid0(VALU_DEP_2) | instskip(NEXT) | instid1(VALU_DEP_1)
	v_min_u32_e32 v6, 32, v6
	v_subrev_nc_u32_e32 v7, 29, v6
	v_sub_nc_u32_e32 v6, 30, v6
	s_delay_alu instid0(VALU_DEP_2) | instskip(NEXT) | instid1(VALU_DEP_2)
	v_lshlrev_b32_e32 v2, v7, v2
	v_cndmask_b32_e32 v6, v8, v6, vcc_lo
	s_delay_alu instid0(VALU_DEP_2) | instskip(NEXT) | instid1(VALU_DEP_1)
	v_and_b32_e32 v2, 3, v2
	v_cndmask_b32_e32 v2, v5, v2, vcc_lo
	s_delay_alu instid0(VALU_DEP_3) | instskip(NEXT) | instid1(VALU_DEP_2)
	v_lshl_add_u32 v5, v6, 23, 0x37800000
	v_lshlrev_b32_e32 v2, 21, v2
	s_delay_alu instid0(VALU_DEP_1) | instskip(NEXT) | instid1(VALU_DEP_1)
	v_or3_b32 v2, v3, v5, v2
	v_cvt_f16_f32_e32 v2, v2
.LBB230_463:
	s_or_b32 exec_lo, exec_lo, s21
	s_mov_b32 s19, 0
	s_branch .LBB230_469
.LBB230_464:
	s_mov_b32 s21, -1
                                        ; implicit-def: $vgpr2
	s_branch .LBB230_475
.LBB230_465:
	s_or_saveexec_b32 s21, s21
	v_mov_b32_e32 v2, 0x7e00
	s_xor_b32 exec_lo, exec_lo, s21
	s_cbranch_execz .LBB230_448
.LBB230_466:
	v_cmp_ne_u16_e32 vcc_lo, 0, v3
	v_mov_b32_e32 v2, v3
	s_and_not1_b32 s19, s19, exec_lo
	s_and_b32 s22, vcc_lo, exec_lo
	s_delay_alu instid0(SALU_CYCLE_1)
	s_or_b32 s19, s19, s22
	s_or_b32 exec_lo, exec_lo, s21
	s_and_saveexec_b32 s21, s19
	s_cbranch_execnz .LBB230_449
	s_branch .LBB230_450
.LBB230_467:
	s_mov_b32 s19, -1
                                        ; implicit-def: $vgpr2
	s_branch .LBB230_472
.LBB230_468:
	s_mov_b32 s19, -1
                                        ; implicit-def: $vgpr2
.LBB230_469:
	s_delay_alu instid0(SALU_CYCLE_1)
	s_and_b32 vcc_lo, exec_lo, s19
	s_cbranch_vccz .LBB230_471
; %bb.470:
	s_wait_loadcnt 0x0
	global_load_u8 v2, v[0:1], off
	s_wait_loadcnt 0x0
	v_lshlrev_b32_e32 v2, 24, v2
	s_delay_alu instid0(VALU_DEP_1) | instskip(NEXT) | instid1(VALU_DEP_1)
	v_and_b32_e32 v3, 0x7f000000, v2
	v_clz_i32_u32_e32 v5, v3
	v_add_nc_u32_e32 v7, 0x1000000, v3
	v_cmp_ne_u32_e32 vcc_lo, 0, v3
	s_delay_alu instid0(VALU_DEP_3) | instskip(NEXT) | instid1(VALU_DEP_1)
	v_min_u32_e32 v5, 32, v5
	v_sub_nc_u32_e64 v5, v5, 4 clamp
	s_delay_alu instid0(VALU_DEP_1) | instskip(NEXT) | instid1(VALU_DEP_1)
	v_dual_lshlrev_b32 v6, v5, v3 :: v_dual_lshlrev_b32 v5, 23, v5
	v_lshrrev_b32_e32 v6, 4, v6
	s_delay_alu instid0(VALU_DEP_1) | instskip(NEXT) | instid1(VALU_DEP_1)
	v_dual_sub_nc_u32 v5, v6, v5 :: v_dual_ashrrev_i32 v6, 8, v7
	v_add_nc_u32_e32 v5, 0x3c000000, v5
	s_delay_alu instid0(VALU_DEP_1) | instskip(NEXT) | instid1(VALU_DEP_1)
	v_and_or_b32 v5, 0x7f800000, v6, v5
	v_cndmask_b32_e32 v3, 0, v5, vcc_lo
	s_delay_alu instid0(VALU_DEP_1) | instskip(NEXT) | instid1(VALU_DEP_1)
	v_and_or_b32 v2, 0x80000000, v2, v3
	v_cvt_f16_f32_e32 v2, v2
.LBB230_471:
	s_mov_b32 s19, 0
.LBB230_472:
	s_delay_alu instid0(SALU_CYCLE_1)
	s_and_not1_b32 vcc_lo, exec_lo, s19
	s_cbranch_vccnz .LBB230_474
; %bb.473:
	s_wait_loadcnt 0x0
	global_load_u8 v2, v[0:1], off
	s_wait_loadcnt 0x0
	v_lshlrev_b32_e32 v3, 25, v2
	v_lshlrev_b16 v2, 8, v2
	s_delay_alu instid0(VALU_DEP_2) | instskip(NEXT) | instid1(VALU_DEP_2)
	v_cmp_gt_u32_e32 vcc_lo, 0x8000000, v3
	v_and_or_b32 v6, 0x7f00, v2, 0.5
	v_lshrrev_b32_e32 v5, 4, v3
	v_bfe_i32 v2, v2, 0, 16
	s_delay_alu instid0(VALU_DEP_3) | instskip(NEXT) | instid1(VALU_DEP_3)
	v_add_f32_e32 v6, -0.5, v6
	v_or_b32_e32 v5, 0x70000000, v5
	s_delay_alu instid0(VALU_DEP_1) | instskip(NEXT) | instid1(VALU_DEP_1)
	v_mul_f32_e32 v5, 0x7800000, v5
	v_cndmask_b32_e32 v3, v5, v6, vcc_lo
	s_delay_alu instid0(VALU_DEP_1) | instskip(NEXT) | instid1(VALU_DEP_1)
	v_and_or_b32 v2, 0x80000000, v2, v3
	v_cvt_f16_f32_e32 v2, v2
.LBB230_474:
	s_mov_b32 s21, 0
	s_mov_b32 s19, -1
.LBB230_475:
	s_and_not1_b32 vcc_lo, exec_lo, s21
	s_cbranch_vccnz .LBB230_488
; %bb.476:
	s_cmp_gt_i32 s0, 14
	s_cbranch_scc0 .LBB230_479
; %bb.477:
	s_cmp_eq_u32 s0, 15
	s_cbranch_scc0 .LBB230_482
; %bb.478:
	s_wait_loadcnt 0x0
	global_load_u16 v2, v[0:1], off
	s_mov_b32 s19, -1
	s_mov_b32 s18, 0
	s_wait_loadcnt 0x0
	v_lshlrev_b32_e32 v2, 16, v2
	s_delay_alu instid0(VALU_DEP_1)
	v_cvt_f16_f32_e32 v2, v2
	s_branch .LBB230_483
.LBB230_479:
	s_mov_b32 s21, -1
                                        ; implicit-def: $vgpr2
	s_branch .LBB230_484
.LBB230_480:
	s_or_saveexec_b32 s21, s21
	v_mov_b32_e32 v2, 0x7e00
	s_xor_b32 exec_lo, exec_lo, s21
	s_cbranch_execz .LBB230_461
.LBB230_481:
	v_cmp_ne_u16_e32 vcc_lo, 0, v3
	v_mov_b32_e32 v2, v3
	s_and_not1_b32 s19, s19, exec_lo
	s_and_b32 s22, vcc_lo, exec_lo
	s_delay_alu instid0(SALU_CYCLE_1)
	s_or_b32 s19, s19, s22
	s_or_b32 exec_lo, exec_lo, s21
	s_and_saveexec_b32 s21, s19
	s_cbranch_execnz .LBB230_462
	s_branch .LBB230_463
.LBB230_482:
	s_mov_b32 s18, -1
                                        ; implicit-def: $vgpr2
.LBB230_483:
	s_mov_b32 s21, 0
.LBB230_484:
	s_delay_alu instid0(SALU_CYCLE_1)
	s_and_b32 vcc_lo, exec_lo, s21
	s_cbranch_vccz .LBB230_488
; %bb.485:
	s_cmp_eq_u32 s0, 11
	s_cbranch_scc0 .LBB230_487
; %bb.486:
	s_wait_loadcnt 0x0
	global_load_u8 v2, v[0:1], off
	s_mov_b32 s18, 0
	s_mov_b32 s19, -1
	s_wait_loadcnt 0x0
	v_cmp_ne_u16_e32 vcc_lo, 0, v2
	v_cndmask_b32_e64 v2, 0, 0x3c00, vcc_lo
	s_branch .LBB230_488
.LBB230_487:
	s_mov_b32 s18, -1
                                        ; implicit-def: $vgpr2
.LBB230_488:
	s_branch .LBB230_277
.LBB230_489:
	s_cmp_lt_i32 s0, 5
	s_cbranch_scc1 .LBB230_494
; %bb.490:
	s_cmp_lt_i32 s0, 8
	s_cbranch_scc1 .LBB230_495
; %bb.491:
	;; [unrolled: 3-line block ×3, first 2 shown]
	s_cmp_gt_i32 s0, 9
	s_cbranch_scc0 .LBB230_497
; %bb.493:
	s_wait_loadcnt 0x0
	global_load_b64 v[2:3], v[0:1], off
	s_mov_b32 s19, 0
	s_wait_loadcnt 0x0
	v_and_or_b32 v2, 0x1ff, v3, v2
	v_lshrrev_b32_e32 v5, 8, v3
	v_bfe_u32 v6, v3, 20, 11
	v_lshrrev_b32_e32 v3, 16, v3
	s_delay_alu instid0(VALU_DEP_4) | instskip(NEXT) | instid1(VALU_DEP_3)
	v_cmp_ne_u32_e32 vcc_lo, 0, v2
	v_sub_nc_u32_e32 v7, 0x3f1, v6
	v_add_nc_u32_e32 v6, 0xfffffc10, v6
	v_cndmask_b32_e64 v2, 0, 1, vcc_lo
	s_delay_alu instid0(VALU_DEP_1) | instskip(NEXT) | instid1(VALU_DEP_4)
	v_and_or_b32 v2, 0xffe, v5, v2
	v_med3_i32 v5, v7, 0, 13
	s_delay_alu instid0(VALU_DEP_2) | instskip(NEXT) | instid1(VALU_DEP_1)
	v_or_b32_e32 v7, 0x1000, v2
	v_lshrrev_b32_e32 v8, v5, v7
	s_delay_alu instid0(VALU_DEP_1) | instskip(NEXT) | instid1(VALU_DEP_1)
	v_lshlrev_b32_e32 v5, v5, v8
	v_cmp_ne_u32_e32 vcc_lo, v5, v7
	v_lshl_or_b32 v7, v6, 12, v2
	v_cndmask_b32_e64 v5, 0, 1, vcc_lo
	v_cmp_gt_i32_e32 vcc_lo, 1, v6
	s_delay_alu instid0(VALU_DEP_2) | instskip(NEXT) | instid1(VALU_DEP_1)
	v_or_b32_e32 v5, v8, v5
	v_cndmask_b32_e32 v5, v7, v5, vcc_lo
	s_delay_alu instid0(VALU_DEP_1) | instskip(NEXT) | instid1(VALU_DEP_1)
	v_dual_lshrrev_b32 v5, 2, v5 :: v_dual_bitop2_b32 v7, 7, v5 bitop3:0x40
	v_cmp_lt_i32_e32 vcc_lo, 5, v7
	v_cndmask_b32_e64 v8, 0, 1, vcc_lo
	v_cmp_eq_u32_e32 vcc_lo, 3, v7
	v_cndmask_b32_e64 v7, 0, 1, vcc_lo
	v_cmp_ne_u32_e32 vcc_lo, 0, v2
	s_delay_alu instid0(VALU_DEP_2) | instskip(NEXT) | instid1(VALU_DEP_1)
	v_or_b32_e32 v7, v7, v8
	v_dual_mov_b32 v8, 0x7e00 :: v_dual_add_nc_u32 v5, v5, v7
	s_delay_alu instid0(VALU_DEP_1) | instskip(SKIP_1) | instid1(VALU_DEP_3)
	v_cndmask_b32_e32 v2, 0x7c00, v8, vcc_lo
	v_cmp_gt_i32_e32 vcc_lo, 31, v6
	v_cndmask_b32_e32 v5, 0x7c00, v5, vcc_lo
	v_cmp_eq_u32_e32 vcc_lo, 0x40f, v6
	s_delay_alu instid0(VALU_DEP_2) | instskip(NEXT) | instid1(VALU_DEP_1)
	v_cndmask_b32_e32 v2, v5, v2, vcc_lo
	v_and_or_b32 v2, 0x8000, v3, v2
	s_branch .LBB230_498
.LBB230_494:
	s_mov_b32 s19, -1
                                        ; implicit-def: $vgpr2
	s_branch .LBB230_516
.LBB230_495:
	s_mov_b32 s19, -1
                                        ; implicit-def: $vgpr2
	s_branch .LBB230_504
.LBB230_496:
	s_mov_b32 s19, -1
                                        ; implicit-def: $vgpr2
	s_branch .LBB230_501
.LBB230_497:
	s_mov_b32 s19, -1
                                        ; implicit-def: $vgpr2
.LBB230_498:
	s_delay_alu instid0(SALU_CYCLE_1)
	s_and_not1_b32 vcc_lo, exec_lo, s19
	s_cbranch_vccnz .LBB230_500
; %bb.499:
	s_wait_loadcnt 0x0
	global_load_b32 v2, v[0:1], off
	s_wait_loadcnt 0x0
	v_cvt_f16_f32_e32 v2, v2
.LBB230_500:
	s_mov_b32 s19, 0
.LBB230_501:
	s_delay_alu instid0(SALU_CYCLE_1)
	s_and_not1_b32 vcc_lo, exec_lo, s19
	s_cbranch_vccnz .LBB230_503
; %bb.502:
	s_wait_loadcnt 0x0
	global_load_b32 v2, v[0:1], off
.LBB230_503:
	s_mov_b32 s19, 0
.LBB230_504:
	s_delay_alu instid0(SALU_CYCLE_1)
	s_and_not1_b32 vcc_lo, exec_lo, s19
	s_cbranch_vccnz .LBB230_515
; %bb.505:
	s_cmp_lt_i32 s0, 6
	s_cbranch_scc1 .LBB230_508
; %bb.506:
	s_cmp_gt_i32 s0, 6
	s_cbranch_scc0 .LBB230_509
; %bb.507:
	s_wait_loadcnt 0x0
	global_load_b64 v[2:3], v[0:1], off
	s_mov_b32 s19, 0
	s_wait_loadcnt 0x0
	v_and_or_b32 v2, 0x1ff, v3, v2
	v_lshrrev_b32_e32 v5, 8, v3
	v_bfe_u32 v6, v3, 20, 11
	v_lshrrev_b32_e32 v3, 16, v3
	s_delay_alu instid0(VALU_DEP_4) | instskip(NEXT) | instid1(VALU_DEP_3)
	v_cmp_ne_u32_e32 vcc_lo, 0, v2
	v_sub_nc_u32_e32 v7, 0x3f1, v6
	v_add_nc_u32_e32 v6, 0xfffffc10, v6
	v_cndmask_b32_e64 v2, 0, 1, vcc_lo
	s_delay_alu instid0(VALU_DEP_1) | instskip(NEXT) | instid1(VALU_DEP_4)
	v_and_or_b32 v2, 0xffe, v5, v2
	v_med3_i32 v5, v7, 0, 13
	s_delay_alu instid0(VALU_DEP_2) | instskip(NEXT) | instid1(VALU_DEP_1)
	v_or_b32_e32 v7, 0x1000, v2
	v_lshrrev_b32_e32 v8, v5, v7
	s_delay_alu instid0(VALU_DEP_1) | instskip(NEXT) | instid1(VALU_DEP_1)
	v_lshlrev_b32_e32 v5, v5, v8
	v_cmp_ne_u32_e32 vcc_lo, v5, v7
	v_lshl_or_b32 v7, v6, 12, v2
	v_cndmask_b32_e64 v5, 0, 1, vcc_lo
	v_cmp_gt_i32_e32 vcc_lo, 1, v6
	s_delay_alu instid0(VALU_DEP_2) | instskip(NEXT) | instid1(VALU_DEP_1)
	v_or_b32_e32 v5, v8, v5
	v_cndmask_b32_e32 v5, v7, v5, vcc_lo
	s_delay_alu instid0(VALU_DEP_1) | instskip(NEXT) | instid1(VALU_DEP_1)
	v_dual_lshrrev_b32 v5, 2, v5 :: v_dual_bitop2_b32 v7, 7, v5 bitop3:0x40
	v_cmp_lt_i32_e32 vcc_lo, 5, v7
	v_cndmask_b32_e64 v8, 0, 1, vcc_lo
	v_cmp_eq_u32_e32 vcc_lo, 3, v7
	v_cndmask_b32_e64 v7, 0, 1, vcc_lo
	v_cmp_ne_u32_e32 vcc_lo, 0, v2
	s_delay_alu instid0(VALU_DEP_2) | instskip(NEXT) | instid1(VALU_DEP_1)
	v_or_b32_e32 v7, v7, v8
	v_dual_mov_b32 v8, 0x7e00 :: v_dual_add_nc_u32 v5, v5, v7
	s_delay_alu instid0(VALU_DEP_1) | instskip(SKIP_1) | instid1(VALU_DEP_3)
	v_cndmask_b32_e32 v2, 0x7c00, v8, vcc_lo
	v_cmp_gt_i32_e32 vcc_lo, 31, v6
	v_cndmask_b32_e32 v5, 0x7c00, v5, vcc_lo
	v_cmp_eq_u32_e32 vcc_lo, 0x40f, v6
	s_delay_alu instid0(VALU_DEP_2) | instskip(NEXT) | instid1(VALU_DEP_1)
	v_cndmask_b32_e32 v2, v5, v2, vcc_lo
	v_and_or_b32 v2, 0x8000, v3, v2
	s_branch .LBB230_510
.LBB230_508:
	s_mov_b32 s19, -1
                                        ; implicit-def: $vgpr2
	s_branch .LBB230_513
.LBB230_509:
	s_mov_b32 s19, -1
                                        ; implicit-def: $vgpr2
.LBB230_510:
	s_delay_alu instid0(SALU_CYCLE_1)
	s_and_not1_b32 vcc_lo, exec_lo, s19
	s_cbranch_vccnz .LBB230_512
; %bb.511:
	s_wait_loadcnt 0x0
	global_load_b32 v2, v[0:1], off
	s_wait_loadcnt 0x0
	v_cvt_f16_f32_e32 v2, v2
.LBB230_512:
	s_mov_b32 s19, 0
.LBB230_513:
	s_delay_alu instid0(SALU_CYCLE_1)
	s_and_not1_b32 vcc_lo, exec_lo, s19
	s_cbranch_vccnz .LBB230_515
; %bb.514:
	s_wait_loadcnt 0x0
	global_load_u16 v2, v[0:1], off
.LBB230_515:
	s_mov_b32 s19, 0
.LBB230_516:
	s_delay_alu instid0(SALU_CYCLE_1)
	s_and_not1_b32 vcc_lo, exec_lo, s19
	s_cbranch_vccnz .LBB230_536
; %bb.517:
	s_cmp_lt_i32 s0, 2
	s_cbranch_scc1 .LBB230_521
; %bb.518:
	s_cmp_lt_i32 s0, 3
	s_cbranch_scc1 .LBB230_522
; %bb.519:
	s_cmp_gt_i32 s0, 3
	s_cbranch_scc0 .LBB230_523
; %bb.520:
	s_wait_loadcnt 0x0
	global_load_b64 v[2:3], v[0:1], off
	s_mov_b32 s19, 0
	s_wait_loadcnt 0x0
	v_xor_b32_e32 v5, v2, v3
	v_cls_i32_e32 v6, v3
	s_delay_alu instid0(VALU_DEP_2) | instskip(NEXT) | instid1(VALU_DEP_1)
	v_ashrrev_i32_e32 v5, 31, v5
	v_add_nc_u32_e32 v5, 32, v5
	s_delay_alu instid0(VALU_DEP_1) | instskip(NEXT) | instid1(VALU_DEP_1)
	v_add_min_u32_e64 v5, v6, -1, v5
	v_lshlrev_b64_e32 v[2:3], v5, v[2:3]
	s_delay_alu instid0(VALU_DEP_1) | instskip(NEXT) | instid1(VALU_DEP_1)
	v_min_u32_e32 v2, 1, v2
	v_dual_sub_nc_u32 v3, 32, v5 :: v_dual_bitop2_b32 v2, v3, v2 bitop3:0x54
	s_delay_alu instid0(VALU_DEP_1) | instskip(NEXT) | instid1(VALU_DEP_1)
	v_cvt_f32_i32_e32 v2, v2
	v_ldexp_f32 v2, v2, v3
	s_delay_alu instid0(VALU_DEP_1)
	v_cvt_f16_f32_e32 v2, v2
	s_branch .LBB230_524
.LBB230_521:
	s_mov_b32 s19, -1
                                        ; implicit-def: $vgpr2
	s_branch .LBB230_530
.LBB230_522:
	s_mov_b32 s19, -1
                                        ; implicit-def: $vgpr2
	s_branch .LBB230_527
.LBB230_523:
	s_mov_b32 s19, -1
                                        ; implicit-def: $vgpr2
.LBB230_524:
	s_delay_alu instid0(SALU_CYCLE_1)
	s_and_not1_b32 vcc_lo, exec_lo, s19
	s_cbranch_vccnz .LBB230_526
; %bb.525:
	s_wait_loadcnt 0x0
	global_load_b32 v2, v[0:1], off
	s_wait_loadcnt 0x0
	v_cvt_f32_i32_e32 v2, v2
	s_delay_alu instid0(VALU_DEP_1)
	v_cvt_f16_f32_e32 v2, v2
.LBB230_526:
	s_mov_b32 s19, 0
.LBB230_527:
	s_delay_alu instid0(SALU_CYCLE_1)
	s_and_not1_b32 vcc_lo, exec_lo, s19
	s_cbranch_vccnz .LBB230_529
; %bb.528:
	s_wait_loadcnt 0x0
	global_load_u16 v2, v[0:1], off
	s_wait_loadcnt 0x0
	v_cvt_f16_i16_e32 v2, v2
.LBB230_529:
	s_mov_b32 s19, 0
.LBB230_530:
	s_delay_alu instid0(SALU_CYCLE_1)
	s_and_not1_b32 vcc_lo, exec_lo, s19
	s_cbranch_vccnz .LBB230_536
; %bb.531:
	s_cmp_gt_i32 s0, 0
	s_mov_b32 s0, 0
	s_cbranch_scc0 .LBB230_533
; %bb.532:
	s_wait_loadcnt 0x0
	global_load_i8 v2, v[0:1], off
	s_wait_loadcnt 0x0
	v_cvt_f16_i16_e32 v2, v2
	s_branch .LBB230_534
.LBB230_533:
	s_mov_b32 s0, -1
                                        ; implicit-def: $vgpr2
.LBB230_534:
	s_delay_alu instid0(SALU_CYCLE_1)
	s_and_not1_b32 vcc_lo, exec_lo, s0
	s_cbranch_vccnz .LBB230_536
; %bb.535:
	global_load_u8 v0, v[0:1], off
	s_wait_loadcnt 0x0
	v_cvt_f16_u16_e32 v2, v0
.LBB230_536:
	s_branch .LBB230_278
.LBB230_537:
	s_mov_b32 s21, 0
	s_mov_b32 s0, s14
.LBB230_538:
                                        ; implicit-def: $vgpr4
.LBB230_539:
	s_and_not1_b32 s19, s14, exec_lo
	s_and_b32 s0, s0, exec_lo
	s_and_not1_b32 s22, s16, exec_lo
	s_and_b32 s18, s18, exec_lo
	s_or_b32 s19, s19, s0
	s_or_b32 s18, s22, s18
	s_or_not1_b32 s0, s21, exec_lo
.LBB230_540:
	s_wait_xcnt 0x0
	s_or_b32 exec_lo, exec_lo, s20
	s_mov_b32 s21, 0
	s_mov_b32 s22, 0
	;; [unrolled: 1-line block ×3, first 2 shown]
                                        ; implicit-def: $vgpr0_vgpr1
                                        ; implicit-def: $vgpr5
	s_and_saveexec_b32 s20, s0
	s_cbranch_execz .LBB230_900
; %bb.541:
	s_mov_b32 s23, -1
	s_mov_b32 s0, s18
	s_mov_b32 s22, s19
	s_mov_b32 s21, exec_lo
	v_cmpx_gt_i32_e64 s15, v4
	s_cbranch_execz .LBB230_814
; %bb.542:
	v_mul_lo_u32 v0, v4, s9
	s_and_b32 s0, 0xffff, s12
	s_delay_alu instid0(SALU_CYCLE_1) | instskip(NEXT) | instid1(VALU_DEP_1)
	s_cmp_lt_i32 s0, 11
	v_ashrrev_i32_e32 v1, 31, v0
	s_delay_alu instid0(VALU_DEP_1)
	v_add_nc_u64_e32 v[0:1], s[6:7], v[0:1]
	s_cbranch_scc1 .LBB230_549
; %bb.543:
	s_cmp_gt_i32 s0, 25
	s_cbranch_scc0 .LBB230_550
; %bb.544:
	s_cmp_gt_i32 s0, 28
	s_cbranch_scc0 .LBB230_551
	;; [unrolled: 3-line block ×4, first 2 shown]
; %bb.547:
	s_cmp_eq_u32 s0, 46
	s_mov_b32 s24, 0
	s_cbranch_scc0 .LBB230_558
; %bb.548:
	s_wait_loadcnt 0x0
	global_load_b32 v2, v[0:1], off
	s_mov_b32 s22, 0
	s_wait_loadcnt 0x0
	v_lshlrev_b32_e32 v2, 16, v2
	s_delay_alu instid0(VALU_DEP_1)
	v_cvt_f16_f32_e32 v2, v2
	s_branch .LBB230_560
.LBB230_549:
	s_mov_b32 s24, -1
	s_mov_b32 s23, 0
	s_mov_b32 s22, s18
                                        ; implicit-def: $vgpr2
	s_branch .LBB230_625
.LBB230_550:
	s_mov_b32 s24, -1
	s_mov_b32 s23, 0
	s_mov_b32 s22, s18
                                        ; implicit-def: $vgpr2
	s_branch .LBB230_589
.LBB230_551:
	s_mov_b32 s24, -1
	s_mov_b32 s23, 0
	s_mov_b32 s22, s18
                                        ; implicit-def: $vgpr2
	s_branch .LBB230_570
.LBB230_552:
	s_mov_b32 s24, -1
	s_mov_b32 s23, 0
	s_mov_b32 s22, s18
                                        ; implicit-def: $vgpr2
	s_branch .LBB230_565
.LBB230_553:
	s_and_not1_saveexec_b32 s24, s24
	s_cbranch_execz .LBB230_337
.LBB230_554:
	v_add_f32_e64 v5, 0x46000000, |v3|
	s_and_not1_b32 s23, s23, exec_lo
	s_delay_alu instid0(VALU_DEP_1) | instskip(NEXT) | instid1(VALU_DEP_1)
	v_and_b32_e32 v5, 0xff, v5
	v_cmp_ne_u32_e32 vcc_lo, 0, v5
	s_and_b32 s25, vcc_lo, exec_lo
	s_delay_alu instid0(SALU_CYCLE_1)
	s_or_b32 s23, s23, s25
	s_or_b32 exec_lo, exec_lo, s24
	v_mov_b32_e32 v6, 0
	s_and_saveexec_b32 s24, s23
	s_cbranch_execnz .LBB230_338
	s_branch .LBB230_339
.LBB230_555:
	s_mov_b32 s24, -1
	s_mov_b32 s23, 0
	s_mov_b32 s22, s18
	s_branch .LBB230_559
.LBB230_556:
	s_and_not1_saveexec_b32 s24, s24
	s_cbranch_execz .LBB230_350
.LBB230_557:
	v_add_f32_e64 v5, 0x42800000, |v3|
	s_and_not1_b32 s23, s23, exec_lo
	s_delay_alu instid0(VALU_DEP_1) | instskip(NEXT) | instid1(VALU_DEP_1)
	v_and_b32_e32 v5, 0xff, v5
	v_cmp_ne_u32_e32 vcc_lo, 0, v5
	s_and_b32 s25, vcc_lo, exec_lo
	s_delay_alu instid0(SALU_CYCLE_1)
	s_or_b32 s23, s23, s25
	s_or_b32 exec_lo, exec_lo, s24
	v_mov_b32_e32 v6, 0
	s_and_saveexec_b32 s24, s23
	s_cbranch_execnz .LBB230_351
	s_branch .LBB230_352
.LBB230_558:
	s_mov_b32 s22, -1
	s_mov_b32 s23, 0
.LBB230_559:
                                        ; implicit-def: $vgpr2
.LBB230_560:
	s_and_b32 vcc_lo, exec_lo, s24
	s_cbranch_vccz .LBB230_564
; %bb.561:
	s_cmp_eq_u32 s0, 44
	s_cbranch_scc0 .LBB230_563
; %bb.562:
	s_wait_loadcnt 0x0
	global_load_u8 v2, v[0:1], off
	s_mov_b32 s22, 0
	s_mov_b32 s23, -1
	s_wait_loadcnt 0x0
	v_lshlrev_b32_e32 v3, 23, v2
	v_cmp_ne_u32_e32 vcc_lo, 0xff, v2
	s_delay_alu instid0(VALU_DEP_2) | instskip(NEXT) | instid1(VALU_DEP_1)
	v_cvt_f16_f32_e32 v3, v3
	v_cndmask_b32_e32 v3, 0x7e00, v3, vcc_lo
	v_cmp_ne_u32_e32 vcc_lo, 0, v2
	s_delay_alu instid0(VALU_DEP_2)
	v_cndmask_b32_e32 v2, 0, v3, vcc_lo
	s_branch .LBB230_564
.LBB230_563:
	s_mov_b32 s22, -1
                                        ; implicit-def: $vgpr2
.LBB230_564:
	s_mov_b32 s24, 0
.LBB230_565:
	s_delay_alu instid0(SALU_CYCLE_1)
	s_and_b32 vcc_lo, exec_lo, s24
	s_cbranch_vccz .LBB230_569
; %bb.566:
	s_cmp_eq_u32 s0, 29
	s_cbranch_scc0 .LBB230_568
; %bb.567:
	s_wait_loadcnt 0x0
	global_load_b64 v[2:3], v[0:1], off
	s_mov_b32 s23, -1
	s_mov_b32 s22, 0
	s_mov_b32 s24, 0
	s_wait_loadcnt 0x0
	v_clz_i32_u32_e32 v5, v3
	s_delay_alu instid0(VALU_DEP_1) | instskip(NEXT) | instid1(VALU_DEP_1)
	v_min_u32_e32 v5, 32, v5
	v_lshlrev_b64_e32 v[2:3], v5, v[2:3]
	s_delay_alu instid0(VALU_DEP_1) | instskip(NEXT) | instid1(VALU_DEP_1)
	v_min_u32_e32 v2, 1, v2
	v_dual_sub_nc_u32 v3, 32, v5 :: v_dual_bitop2_b32 v2, v3, v2 bitop3:0x54
	s_delay_alu instid0(VALU_DEP_1) | instskip(NEXT) | instid1(VALU_DEP_1)
	v_cvt_f32_u32_e32 v2, v2
	v_ldexp_f32 v2, v2, v3
	s_delay_alu instid0(VALU_DEP_1)
	v_cvt_f16_f32_e32 v2, v2
	s_branch .LBB230_570
.LBB230_568:
	s_mov_b32 s22, -1
                                        ; implicit-def: $vgpr2
.LBB230_569:
	s_mov_b32 s24, 0
.LBB230_570:
	s_delay_alu instid0(SALU_CYCLE_1)
	s_and_b32 vcc_lo, exec_lo, s24
	s_cbranch_vccz .LBB230_588
; %bb.571:
	s_cmp_lt_i32 s0, 27
	s_cbranch_scc1 .LBB230_574
; %bb.572:
	s_cmp_gt_i32 s0, 27
	s_cbranch_scc0 .LBB230_575
; %bb.573:
	s_wait_loadcnt 0x0
	global_load_b32 v2, v[0:1], off
	s_mov_b32 s23, 0
	s_wait_loadcnt 0x0
	v_cvt_f32_u32_e32 v2, v2
	s_delay_alu instid0(VALU_DEP_1)
	v_cvt_f16_f32_e32 v2, v2
	s_branch .LBB230_576
.LBB230_574:
	s_mov_b32 s23, -1
                                        ; implicit-def: $vgpr2
	s_branch .LBB230_579
.LBB230_575:
	s_mov_b32 s23, -1
                                        ; implicit-def: $vgpr2
.LBB230_576:
	s_delay_alu instid0(SALU_CYCLE_1)
	s_and_not1_b32 vcc_lo, exec_lo, s23
	s_cbranch_vccnz .LBB230_578
; %bb.577:
	s_wait_loadcnt 0x0
	global_load_u16 v2, v[0:1], off
	s_wait_loadcnt 0x0
	v_cvt_f16_u16_e32 v2, v2
.LBB230_578:
	s_mov_b32 s23, 0
.LBB230_579:
	s_delay_alu instid0(SALU_CYCLE_1)
	s_and_not1_b32 vcc_lo, exec_lo, s23
	s_cbranch_vccnz .LBB230_587
; %bb.580:
	global_load_u8 v3, v[0:1], off
	s_mov_b32 s23, 0
	s_mov_b32 s24, exec_lo
	s_wait_loadcnt 0x0
	v_cmpx_lt_i16_e32 0x7f, v3
	s_xor_b32 s24, exec_lo, s24
	s_cbranch_execz .LBB230_601
; %bb.581:
	s_mov_b32 s23, -1
	s_mov_b32 s25, exec_lo
	v_cmpx_eq_u16_e32 0x80, v3
; %bb.582:
	s_xor_b32 s23, exec_lo, -1
; %bb.583:
	s_or_b32 exec_lo, exec_lo, s25
	s_delay_alu instid0(SALU_CYCLE_1)
	s_and_b32 s23, s23, exec_lo
	s_or_saveexec_b32 s24, s24
	v_mov_b32_e32 v2, 0x7e00
	s_xor_b32 exec_lo, exec_lo, s24
	s_cbranch_execnz .LBB230_602
.LBB230_584:
	s_or_b32 exec_lo, exec_lo, s24
	s_and_saveexec_b32 s24, s23
	s_cbranch_execz .LBB230_586
.LBB230_585:
	v_and_b32_e32 v2, 0xffff, v3
	s_delay_alu instid0(VALU_DEP_1) | instskip(SKIP_1) | instid1(VALU_DEP_2)
	v_dual_lshlrev_b32 v3, 24, v3 :: v_dual_bitop2_b32 v5, 7, v2 bitop3:0x40
	v_bfe_u32 v8, v2, 3, 4
	v_and_b32_e32 v3, 0x80000000, v3
	s_delay_alu instid0(VALU_DEP_3) | instskip(NEXT) | instid1(VALU_DEP_3)
	v_clz_i32_u32_e32 v6, v5
	v_cmp_eq_u32_e32 vcc_lo, 0, v8
	s_delay_alu instid0(VALU_DEP_2) | instskip(NEXT) | instid1(VALU_DEP_1)
	v_min_u32_e32 v6, 32, v6
	v_subrev_nc_u32_e32 v7, 28, v6
	v_sub_nc_u32_e32 v6, 29, v6
	s_delay_alu instid0(VALU_DEP_2) | instskip(NEXT) | instid1(VALU_DEP_2)
	v_lshlrev_b32_e32 v2, v7, v2
	v_cndmask_b32_e32 v6, v8, v6, vcc_lo
	s_delay_alu instid0(VALU_DEP_2) | instskip(NEXT) | instid1(VALU_DEP_1)
	v_and_b32_e32 v2, 7, v2
	v_cndmask_b32_e32 v2, v5, v2, vcc_lo
	s_delay_alu instid0(VALU_DEP_3) | instskip(NEXT) | instid1(VALU_DEP_2)
	v_lshl_add_u32 v5, v6, 23, 0x3b800000
	v_lshlrev_b32_e32 v2, 20, v2
	s_delay_alu instid0(VALU_DEP_1) | instskip(NEXT) | instid1(VALU_DEP_1)
	v_or3_b32 v2, v3, v5, v2
	v_cvt_f16_f32_e32 v2, v2
.LBB230_586:
	s_or_b32 exec_lo, exec_lo, s24
.LBB230_587:
	s_mov_b32 s23, -1
.LBB230_588:
	s_mov_b32 s24, 0
.LBB230_589:
	s_delay_alu instid0(SALU_CYCLE_1)
	s_and_b32 vcc_lo, exec_lo, s24
	s_cbranch_vccz .LBB230_624
; %bb.590:
	s_cmp_gt_i32 s0, 22
	s_cbranch_scc0 .LBB230_600
; %bb.591:
	s_cmp_lt_i32 s0, 24
	s_cbranch_scc1 .LBB230_603
; %bb.592:
	s_cmp_gt_i32 s0, 24
	s_cbranch_scc0 .LBB230_604
; %bb.593:
	global_load_u8 v3, v[0:1], off
	s_mov_b32 s23, 0
	s_mov_b32 s24, exec_lo
	s_wait_loadcnt 0x0
	v_cmpx_lt_i16_e32 0x7f, v3
	s_xor_b32 s24, exec_lo, s24
	s_cbranch_execz .LBB230_616
; %bb.594:
	s_mov_b32 s23, -1
	s_mov_b32 s25, exec_lo
	v_cmpx_eq_u16_e32 0x80, v3
; %bb.595:
	s_xor_b32 s23, exec_lo, -1
; %bb.596:
	s_or_b32 exec_lo, exec_lo, s25
	s_delay_alu instid0(SALU_CYCLE_1)
	s_and_b32 s23, s23, exec_lo
	s_or_saveexec_b32 s24, s24
	v_mov_b32_e32 v2, 0x7e00
	s_xor_b32 exec_lo, exec_lo, s24
	s_cbranch_execnz .LBB230_617
.LBB230_597:
	s_or_b32 exec_lo, exec_lo, s24
	s_and_saveexec_b32 s24, s23
	s_cbranch_execz .LBB230_599
.LBB230_598:
	v_and_b32_e32 v2, 0xffff, v3
	s_delay_alu instid0(VALU_DEP_1) | instskip(SKIP_1) | instid1(VALU_DEP_2)
	v_dual_lshlrev_b32 v3, 24, v3 :: v_dual_bitop2_b32 v5, 3, v2 bitop3:0x40
	v_bfe_u32 v8, v2, 2, 5
	v_and_b32_e32 v3, 0x80000000, v3
	s_delay_alu instid0(VALU_DEP_3) | instskip(NEXT) | instid1(VALU_DEP_3)
	v_clz_i32_u32_e32 v6, v5
	v_cmp_eq_u32_e32 vcc_lo, 0, v8
	s_delay_alu instid0(VALU_DEP_2) | instskip(NEXT) | instid1(VALU_DEP_1)
	v_min_u32_e32 v6, 32, v6
	v_subrev_nc_u32_e32 v7, 29, v6
	v_sub_nc_u32_e32 v6, 30, v6
	s_delay_alu instid0(VALU_DEP_2) | instskip(NEXT) | instid1(VALU_DEP_2)
	v_lshlrev_b32_e32 v2, v7, v2
	v_cndmask_b32_e32 v6, v8, v6, vcc_lo
	s_delay_alu instid0(VALU_DEP_2) | instskip(NEXT) | instid1(VALU_DEP_1)
	v_and_b32_e32 v2, 3, v2
	v_cndmask_b32_e32 v2, v5, v2, vcc_lo
	s_delay_alu instid0(VALU_DEP_3) | instskip(NEXT) | instid1(VALU_DEP_2)
	v_lshl_add_u32 v5, v6, 23, 0x37800000
	v_lshlrev_b32_e32 v2, 21, v2
	s_delay_alu instid0(VALU_DEP_1) | instskip(NEXT) | instid1(VALU_DEP_1)
	v_or3_b32 v2, v3, v5, v2
	v_cvt_f16_f32_e32 v2, v2
.LBB230_599:
	s_or_b32 exec_lo, exec_lo, s24
	s_mov_b32 s23, 0
	s_branch .LBB230_605
.LBB230_600:
	s_mov_b32 s24, -1
                                        ; implicit-def: $vgpr2
	s_branch .LBB230_611
.LBB230_601:
	s_or_saveexec_b32 s24, s24
	v_mov_b32_e32 v2, 0x7e00
	s_xor_b32 exec_lo, exec_lo, s24
	s_cbranch_execz .LBB230_584
.LBB230_602:
	v_cmp_ne_u16_e32 vcc_lo, 0, v3
	v_mov_b32_e32 v2, v3
	s_and_not1_b32 s23, s23, exec_lo
	s_and_b32 s25, vcc_lo, exec_lo
	s_delay_alu instid0(SALU_CYCLE_1)
	s_or_b32 s23, s23, s25
	s_or_b32 exec_lo, exec_lo, s24
	s_and_saveexec_b32 s24, s23
	s_cbranch_execnz .LBB230_585
	s_branch .LBB230_586
.LBB230_603:
	s_mov_b32 s23, -1
                                        ; implicit-def: $vgpr2
	s_branch .LBB230_608
.LBB230_604:
	s_mov_b32 s23, -1
                                        ; implicit-def: $vgpr2
.LBB230_605:
	s_delay_alu instid0(SALU_CYCLE_1)
	s_and_b32 vcc_lo, exec_lo, s23
	s_cbranch_vccz .LBB230_607
; %bb.606:
	s_wait_loadcnt 0x0
	global_load_u8 v2, v[0:1], off
	s_wait_loadcnt 0x0
	v_lshlrev_b32_e32 v2, 24, v2
	s_delay_alu instid0(VALU_DEP_1) | instskip(NEXT) | instid1(VALU_DEP_1)
	v_and_b32_e32 v3, 0x7f000000, v2
	v_clz_i32_u32_e32 v5, v3
	v_add_nc_u32_e32 v7, 0x1000000, v3
	v_cmp_ne_u32_e32 vcc_lo, 0, v3
	s_delay_alu instid0(VALU_DEP_3) | instskip(NEXT) | instid1(VALU_DEP_1)
	v_min_u32_e32 v5, 32, v5
	v_sub_nc_u32_e64 v5, v5, 4 clamp
	s_delay_alu instid0(VALU_DEP_1) | instskip(NEXT) | instid1(VALU_DEP_1)
	v_dual_lshlrev_b32 v6, v5, v3 :: v_dual_lshlrev_b32 v5, 23, v5
	v_lshrrev_b32_e32 v6, 4, v6
	s_delay_alu instid0(VALU_DEP_1) | instskip(NEXT) | instid1(VALU_DEP_1)
	v_dual_sub_nc_u32 v5, v6, v5 :: v_dual_ashrrev_i32 v6, 8, v7
	v_add_nc_u32_e32 v5, 0x3c000000, v5
	s_delay_alu instid0(VALU_DEP_1) | instskip(NEXT) | instid1(VALU_DEP_1)
	v_and_or_b32 v5, 0x7f800000, v6, v5
	v_cndmask_b32_e32 v3, 0, v5, vcc_lo
	s_delay_alu instid0(VALU_DEP_1) | instskip(NEXT) | instid1(VALU_DEP_1)
	v_and_or_b32 v2, 0x80000000, v2, v3
	v_cvt_f16_f32_e32 v2, v2
.LBB230_607:
	s_mov_b32 s23, 0
.LBB230_608:
	s_delay_alu instid0(SALU_CYCLE_1)
	s_and_not1_b32 vcc_lo, exec_lo, s23
	s_cbranch_vccnz .LBB230_610
; %bb.609:
	s_wait_loadcnt 0x0
	global_load_u8 v2, v[0:1], off
	s_wait_loadcnt 0x0
	v_lshlrev_b32_e32 v3, 25, v2
	v_lshlrev_b16 v2, 8, v2
	s_delay_alu instid0(VALU_DEP_2) | instskip(NEXT) | instid1(VALU_DEP_2)
	v_cmp_gt_u32_e32 vcc_lo, 0x8000000, v3
	v_and_or_b32 v6, 0x7f00, v2, 0.5
	v_lshrrev_b32_e32 v5, 4, v3
	v_bfe_i32 v2, v2, 0, 16
	s_delay_alu instid0(VALU_DEP_3) | instskip(NEXT) | instid1(VALU_DEP_3)
	v_add_f32_e32 v6, -0.5, v6
	v_or_b32_e32 v5, 0x70000000, v5
	s_delay_alu instid0(VALU_DEP_1) | instskip(NEXT) | instid1(VALU_DEP_1)
	v_mul_f32_e32 v5, 0x7800000, v5
	v_cndmask_b32_e32 v3, v5, v6, vcc_lo
	s_delay_alu instid0(VALU_DEP_1) | instskip(NEXT) | instid1(VALU_DEP_1)
	v_and_or_b32 v2, 0x80000000, v2, v3
	v_cvt_f16_f32_e32 v2, v2
.LBB230_610:
	s_mov_b32 s24, 0
	s_mov_b32 s23, -1
.LBB230_611:
	s_and_not1_b32 vcc_lo, exec_lo, s24
	s_cbranch_vccnz .LBB230_624
; %bb.612:
	s_cmp_gt_i32 s0, 14
	s_cbranch_scc0 .LBB230_615
; %bb.613:
	s_cmp_eq_u32 s0, 15
	s_cbranch_scc0 .LBB230_618
; %bb.614:
	s_wait_loadcnt 0x0
	global_load_u16 v2, v[0:1], off
	s_mov_b32 s23, -1
	s_mov_b32 s22, 0
	s_wait_loadcnt 0x0
	v_lshlrev_b32_e32 v2, 16, v2
	s_delay_alu instid0(VALU_DEP_1)
	v_cvt_f16_f32_e32 v2, v2
	s_branch .LBB230_619
.LBB230_615:
	s_mov_b32 s24, -1
                                        ; implicit-def: $vgpr2
	s_branch .LBB230_620
.LBB230_616:
	s_or_saveexec_b32 s24, s24
	v_mov_b32_e32 v2, 0x7e00
	s_xor_b32 exec_lo, exec_lo, s24
	s_cbranch_execz .LBB230_597
.LBB230_617:
	v_cmp_ne_u16_e32 vcc_lo, 0, v3
	v_mov_b32_e32 v2, v3
	s_and_not1_b32 s23, s23, exec_lo
	s_and_b32 s25, vcc_lo, exec_lo
	s_delay_alu instid0(SALU_CYCLE_1)
	s_or_b32 s23, s23, s25
	s_or_b32 exec_lo, exec_lo, s24
	s_and_saveexec_b32 s24, s23
	s_cbranch_execnz .LBB230_598
	s_branch .LBB230_599
.LBB230_618:
	s_mov_b32 s22, -1
                                        ; implicit-def: $vgpr2
.LBB230_619:
	s_mov_b32 s24, 0
.LBB230_620:
	s_delay_alu instid0(SALU_CYCLE_1)
	s_and_b32 vcc_lo, exec_lo, s24
	s_cbranch_vccz .LBB230_624
; %bb.621:
	s_cmp_eq_u32 s0, 11
	s_cbranch_scc0 .LBB230_623
; %bb.622:
	s_wait_loadcnt 0x0
	global_load_u8 v2, v[0:1], off
	s_mov_b32 s22, 0
	s_mov_b32 s23, -1
	s_wait_loadcnt 0x0
	v_cmp_ne_u16_e32 vcc_lo, 0, v2
	v_cndmask_b32_e64 v2, 0, 0x3c00, vcc_lo
	s_branch .LBB230_624
.LBB230_623:
	s_mov_b32 s22, -1
                                        ; implicit-def: $vgpr2
.LBB230_624:
	s_mov_b32 s24, 0
.LBB230_625:
	s_delay_alu instid0(SALU_CYCLE_1)
	s_and_b32 vcc_lo, exec_lo, s24
	s_cbranch_vccz .LBB230_674
; %bb.626:
	s_cmp_lt_i32 s0, 5
	s_cbranch_scc1 .LBB230_631
; %bb.627:
	s_cmp_lt_i32 s0, 8
	s_cbranch_scc1 .LBB230_632
	;; [unrolled: 3-line block ×3, first 2 shown]
; %bb.629:
	s_cmp_gt_i32 s0, 9
	s_cbranch_scc0 .LBB230_634
; %bb.630:
	s_wait_loadcnt 0x0
	global_load_b64 v[2:3], v[0:1], off
	s_mov_b32 s23, 0
	s_wait_loadcnt 0x0
	v_and_or_b32 v2, 0x1ff, v3, v2
	v_lshrrev_b32_e32 v5, 8, v3
	v_bfe_u32 v6, v3, 20, 11
	v_lshrrev_b32_e32 v3, 16, v3
	s_delay_alu instid0(VALU_DEP_4) | instskip(NEXT) | instid1(VALU_DEP_3)
	v_cmp_ne_u32_e32 vcc_lo, 0, v2
	v_sub_nc_u32_e32 v7, 0x3f1, v6
	v_add_nc_u32_e32 v6, 0xfffffc10, v6
	v_cndmask_b32_e64 v2, 0, 1, vcc_lo
	s_delay_alu instid0(VALU_DEP_1) | instskip(NEXT) | instid1(VALU_DEP_4)
	v_and_or_b32 v2, 0xffe, v5, v2
	v_med3_i32 v5, v7, 0, 13
	s_delay_alu instid0(VALU_DEP_2) | instskip(NEXT) | instid1(VALU_DEP_1)
	v_or_b32_e32 v7, 0x1000, v2
	v_lshrrev_b32_e32 v8, v5, v7
	s_delay_alu instid0(VALU_DEP_1) | instskip(NEXT) | instid1(VALU_DEP_1)
	v_lshlrev_b32_e32 v5, v5, v8
	v_cmp_ne_u32_e32 vcc_lo, v5, v7
	v_lshl_or_b32 v7, v6, 12, v2
	v_cndmask_b32_e64 v5, 0, 1, vcc_lo
	v_cmp_gt_i32_e32 vcc_lo, 1, v6
	s_delay_alu instid0(VALU_DEP_2) | instskip(NEXT) | instid1(VALU_DEP_1)
	v_or_b32_e32 v5, v8, v5
	v_cndmask_b32_e32 v5, v7, v5, vcc_lo
	s_delay_alu instid0(VALU_DEP_1) | instskip(NEXT) | instid1(VALU_DEP_1)
	v_dual_lshrrev_b32 v5, 2, v5 :: v_dual_bitop2_b32 v7, 7, v5 bitop3:0x40
	v_cmp_lt_i32_e32 vcc_lo, 5, v7
	v_cndmask_b32_e64 v8, 0, 1, vcc_lo
	v_cmp_eq_u32_e32 vcc_lo, 3, v7
	v_cndmask_b32_e64 v7, 0, 1, vcc_lo
	v_cmp_ne_u32_e32 vcc_lo, 0, v2
	s_delay_alu instid0(VALU_DEP_2) | instskip(NEXT) | instid1(VALU_DEP_1)
	v_or_b32_e32 v7, v7, v8
	v_dual_mov_b32 v8, 0x7e00 :: v_dual_add_nc_u32 v5, v5, v7
	s_delay_alu instid0(VALU_DEP_1) | instskip(SKIP_1) | instid1(VALU_DEP_3)
	v_cndmask_b32_e32 v2, 0x7c00, v8, vcc_lo
	v_cmp_gt_i32_e32 vcc_lo, 31, v6
	v_cndmask_b32_e32 v5, 0x7c00, v5, vcc_lo
	v_cmp_eq_u32_e32 vcc_lo, 0x40f, v6
	s_delay_alu instid0(VALU_DEP_2) | instskip(NEXT) | instid1(VALU_DEP_1)
	v_cndmask_b32_e32 v2, v5, v2, vcc_lo
	v_and_or_b32 v2, 0x8000, v3, v2
	s_branch .LBB230_635
.LBB230_631:
	s_mov_b32 s23, -1
                                        ; implicit-def: $vgpr2
	s_branch .LBB230_653
.LBB230_632:
	s_mov_b32 s23, -1
                                        ; implicit-def: $vgpr2
	s_branch .LBB230_641
.LBB230_633:
	s_mov_b32 s23, -1
                                        ; implicit-def: $vgpr2
	s_branch .LBB230_638
.LBB230_634:
	s_mov_b32 s23, -1
                                        ; implicit-def: $vgpr2
.LBB230_635:
	s_delay_alu instid0(SALU_CYCLE_1)
	s_and_not1_b32 vcc_lo, exec_lo, s23
	s_cbranch_vccnz .LBB230_637
; %bb.636:
	s_wait_loadcnt 0x0
	global_load_b32 v2, v[0:1], off
	s_wait_loadcnt 0x0
	v_cvt_f16_f32_e32 v2, v2
.LBB230_637:
	s_mov_b32 s23, 0
.LBB230_638:
	s_delay_alu instid0(SALU_CYCLE_1)
	s_and_not1_b32 vcc_lo, exec_lo, s23
	s_cbranch_vccnz .LBB230_640
; %bb.639:
	s_wait_loadcnt 0x0
	global_load_b32 v2, v[0:1], off
.LBB230_640:
	s_mov_b32 s23, 0
.LBB230_641:
	s_delay_alu instid0(SALU_CYCLE_1)
	s_and_not1_b32 vcc_lo, exec_lo, s23
	s_cbranch_vccnz .LBB230_652
; %bb.642:
	s_cmp_lt_i32 s0, 6
	s_cbranch_scc1 .LBB230_645
; %bb.643:
	s_cmp_gt_i32 s0, 6
	s_cbranch_scc0 .LBB230_646
; %bb.644:
	s_wait_loadcnt 0x0
	global_load_b64 v[2:3], v[0:1], off
	s_mov_b32 s23, 0
	s_wait_loadcnt 0x0
	v_and_or_b32 v2, 0x1ff, v3, v2
	v_lshrrev_b32_e32 v5, 8, v3
	v_bfe_u32 v6, v3, 20, 11
	v_lshrrev_b32_e32 v3, 16, v3
	s_delay_alu instid0(VALU_DEP_4) | instskip(NEXT) | instid1(VALU_DEP_3)
	v_cmp_ne_u32_e32 vcc_lo, 0, v2
	v_sub_nc_u32_e32 v7, 0x3f1, v6
	v_add_nc_u32_e32 v6, 0xfffffc10, v6
	v_cndmask_b32_e64 v2, 0, 1, vcc_lo
	s_delay_alu instid0(VALU_DEP_1) | instskip(NEXT) | instid1(VALU_DEP_4)
	v_and_or_b32 v2, 0xffe, v5, v2
	v_med3_i32 v5, v7, 0, 13
	s_delay_alu instid0(VALU_DEP_2) | instskip(NEXT) | instid1(VALU_DEP_1)
	v_or_b32_e32 v7, 0x1000, v2
	v_lshrrev_b32_e32 v8, v5, v7
	s_delay_alu instid0(VALU_DEP_1) | instskip(NEXT) | instid1(VALU_DEP_1)
	v_lshlrev_b32_e32 v5, v5, v8
	v_cmp_ne_u32_e32 vcc_lo, v5, v7
	v_lshl_or_b32 v7, v6, 12, v2
	v_cndmask_b32_e64 v5, 0, 1, vcc_lo
	v_cmp_gt_i32_e32 vcc_lo, 1, v6
	s_delay_alu instid0(VALU_DEP_2) | instskip(NEXT) | instid1(VALU_DEP_1)
	v_or_b32_e32 v5, v8, v5
	v_cndmask_b32_e32 v5, v7, v5, vcc_lo
	s_delay_alu instid0(VALU_DEP_1) | instskip(NEXT) | instid1(VALU_DEP_1)
	v_dual_lshrrev_b32 v5, 2, v5 :: v_dual_bitop2_b32 v7, 7, v5 bitop3:0x40
	v_cmp_lt_i32_e32 vcc_lo, 5, v7
	v_cndmask_b32_e64 v8, 0, 1, vcc_lo
	v_cmp_eq_u32_e32 vcc_lo, 3, v7
	v_cndmask_b32_e64 v7, 0, 1, vcc_lo
	v_cmp_ne_u32_e32 vcc_lo, 0, v2
	s_delay_alu instid0(VALU_DEP_2) | instskip(NEXT) | instid1(VALU_DEP_1)
	v_or_b32_e32 v7, v7, v8
	v_dual_mov_b32 v8, 0x7e00 :: v_dual_add_nc_u32 v5, v5, v7
	s_delay_alu instid0(VALU_DEP_1) | instskip(SKIP_1) | instid1(VALU_DEP_3)
	v_cndmask_b32_e32 v2, 0x7c00, v8, vcc_lo
	v_cmp_gt_i32_e32 vcc_lo, 31, v6
	v_cndmask_b32_e32 v5, 0x7c00, v5, vcc_lo
	v_cmp_eq_u32_e32 vcc_lo, 0x40f, v6
	s_delay_alu instid0(VALU_DEP_2) | instskip(NEXT) | instid1(VALU_DEP_1)
	v_cndmask_b32_e32 v2, v5, v2, vcc_lo
	v_and_or_b32 v2, 0x8000, v3, v2
	s_branch .LBB230_647
.LBB230_645:
	s_mov_b32 s23, -1
                                        ; implicit-def: $vgpr2
	s_branch .LBB230_650
.LBB230_646:
	s_mov_b32 s23, -1
                                        ; implicit-def: $vgpr2
.LBB230_647:
	s_delay_alu instid0(SALU_CYCLE_1)
	s_and_not1_b32 vcc_lo, exec_lo, s23
	s_cbranch_vccnz .LBB230_649
; %bb.648:
	s_wait_loadcnt 0x0
	global_load_b32 v2, v[0:1], off
	s_wait_loadcnt 0x0
	v_cvt_f16_f32_e32 v2, v2
.LBB230_649:
	s_mov_b32 s23, 0
.LBB230_650:
	s_delay_alu instid0(SALU_CYCLE_1)
	s_and_not1_b32 vcc_lo, exec_lo, s23
	s_cbranch_vccnz .LBB230_652
; %bb.651:
	s_wait_loadcnt 0x0
	global_load_u16 v2, v[0:1], off
.LBB230_652:
	s_mov_b32 s23, 0
.LBB230_653:
	s_delay_alu instid0(SALU_CYCLE_1)
	s_and_not1_b32 vcc_lo, exec_lo, s23
	s_cbranch_vccnz .LBB230_673
; %bb.654:
	s_cmp_lt_i32 s0, 2
	s_cbranch_scc1 .LBB230_658
; %bb.655:
	s_cmp_lt_i32 s0, 3
	s_cbranch_scc1 .LBB230_659
; %bb.656:
	s_cmp_gt_i32 s0, 3
	s_cbranch_scc0 .LBB230_660
; %bb.657:
	s_wait_loadcnt 0x0
	global_load_b64 v[2:3], v[0:1], off
	s_mov_b32 s23, 0
	s_wait_loadcnt 0x0
	v_xor_b32_e32 v5, v2, v3
	v_cls_i32_e32 v6, v3
	s_delay_alu instid0(VALU_DEP_2) | instskip(NEXT) | instid1(VALU_DEP_1)
	v_ashrrev_i32_e32 v5, 31, v5
	v_add_nc_u32_e32 v5, 32, v5
	s_delay_alu instid0(VALU_DEP_1) | instskip(NEXT) | instid1(VALU_DEP_1)
	v_add_min_u32_e64 v5, v6, -1, v5
	v_lshlrev_b64_e32 v[2:3], v5, v[2:3]
	s_delay_alu instid0(VALU_DEP_1) | instskip(NEXT) | instid1(VALU_DEP_1)
	v_min_u32_e32 v2, 1, v2
	v_dual_sub_nc_u32 v3, 32, v5 :: v_dual_bitop2_b32 v2, v3, v2 bitop3:0x54
	s_delay_alu instid0(VALU_DEP_1) | instskip(NEXT) | instid1(VALU_DEP_1)
	v_cvt_f32_i32_e32 v2, v2
	v_ldexp_f32 v2, v2, v3
	s_delay_alu instid0(VALU_DEP_1)
	v_cvt_f16_f32_e32 v2, v2
	s_branch .LBB230_661
.LBB230_658:
	s_mov_b32 s23, -1
                                        ; implicit-def: $vgpr2
	s_branch .LBB230_667
.LBB230_659:
	s_mov_b32 s23, -1
                                        ; implicit-def: $vgpr2
	s_branch .LBB230_664
.LBB230_660:
	s_mov_b32 s23, -1
                                        ; implicit-def: $vgpr2
.LBB230_661:
	s_delay_alu instid0(SALU_CYCLE_1)
	s_and_not1_b32 vcc_lo, exec_lo, s23
	s_cbranch_vccnz .LBB230_663
; %bb.662:
	s_wait_loadcnt 0x0
	global_load_b32 v2, v[0:1], off
	s_wait_loadcnt 0x0
	v_cvt_f32_i32_e32 v2, v2
	s_delay_alu instid0(VALU_DEP_1)
	v_cvt_f16_f32_e32 v2, v2
.LBB230_663:
	s_mov_b32 s23, 0
.LBB230_664:
	s_delay_alu instid0(SALU_CYCLE_1)
	s_and_not1_b32 vcc_lo, exec_lo, s23
	s_cbranch_vccnz .LBB230_666
; %bb.665:
	s_wait_loadcnt 0x0
	global_load_u16 v2, v[0:1], off
	s_wait_loadcnt 0x0
	v_cvt_f16_i16_e32 v2, v2
.LBB230_666:
	s_mov_b32 s23, 0
.LBB230_667:
	s_delay_alu instid0(SALU_CYCLE_1)
	s_and_not1_b32 vcc_lo, exec_lo, s23
	s_cbranch_vccnz .LBB230_673
; %bb.668:
	s_cmp_gt_i32 s0, 0
	s_mov_b32 s0, 0
	s_cbranch_scc0 .LBB230_670
; %bb.669:
	s_wait_loadcnt 0x0
	global_load_i8 v2, v[0:1], off
	s_wait_loadcnt 0x0
	v_cvt_f16_i16_e32 v2, v2
	s_branch .LBB230_671
.LBB230_670:
	s_mov_b32 s0, -1
                                        ; implicit-def: $vgpr2
.LBB230_671:
	s_delay_alu instid0(SALU_CYCLE_1)
	s_and_not1_b32 vcc_lo, exec_lo, s0
	s_cbranch_vccnz .LBB230_673
; %bb.672:
	global_load_u8 v0, v[0:1], off
	s_wait_loadcnt 0x0
	v_cvt_f16_u16_e32 v2, v0
.LBB230_673:
	s_mov_b32 s23, -1
.LBB230_674:
	s_delay_alu instid0(SALU_CYCLE_1)
	s_and_not1_b32 vcc_lo, exec_lo, s23
	s_cbranch_vccnz .LBB230_679
; %bb.675:
	s_mov_b32 s0, exec_lo
	s_wait_loadcnt 0x0
	v_cmpx_o_f16_e32 v2, v2
	s_cbranch_execz .LBB230_687
; %bb.676:
	v_cvt_f32_f16_e32 v0, v2
	s_cmp_lt_i32 s10, 1
	s_mov_b32 s23, 0
	s_cbranch_scc1 .LBB230_680
; %bb.677:
	s_cmp_eq_u32 s10, 1
	s_cbranch_scc0 .LBB230_681
; %bb.678:
	v_max_num_f32_e64 v1, s11, s11
	v_max_num_f32_e32 v2, v0, v0
	s_mov_b32 s24, 0
	s_delay_alu instid0(VALU_DEP_1) | instskip(NEXT) | instid1(VALU_DEP_1)
	v_min_num_f32_e32 v1, v2, v1
	v_cvt_f16_f32_e32 v2, v1
	s_branch .LBB230_682
.LBB230_679:
	s_mov_b32 s23, 0
	s_mov_b32 s0, s19
	s_branch .LBB230_812
.LBB230_680:
	s_mov_b32 s25, -1
	s_mov_b32 s24, 0
                                        ; implicit-def: $vgpr2
	s_branch .LBB230_683
.LBB230_681:
	s_mov_b32 s24, -1
                                        ; implicit-def: $vgpr2
.LBB230_682:
	s_mov_b32 s25, 0
.LBB230_683:
	s_delay_alu instid0(SALU_CYCLE_1)
	s_and_b32 vcc_lo, exec_lo, s25
	s_cbranch_vccz .LBB230_694
; %bb.684:
	s_cmp_lg_u32 s10, 0
	s_mov_b32 s23, -1
	s_cselect_b32 s24, -1, 0
	v_max_num_f32_e32 v0, v0, v0
	s_and_not1_b32 vcc_lo, exec_lo, s24
	s_cbranch_vccz .LBB230_695
.LBB230_685:
	s_and_not1_b32 vcc_lo, exec_lo, s23
	s_cbranch_vccnz .LBB230_687
.LBB230_686:
	v_max_num_f32_e64 v1, s11, s11
	s_delay_alu instid0(VALU_DEP_1) | instskip(NEXT) | instid1(VALU_DEP_1)
	v_max_num_f32_e32 v0, v0, v1
	v_cvt_f16_f32_e32 v2, v0
.LBB230_687:
	s_or_b32 exec_lo, exec_lo, s0
	v_mul_lo_u32 v0, v4, s8
	s_and_b32 s23, s3, 0xff
	s_delay_alu instid0(SALU_CYCLE_1) | instskip(NEXT) | instid1(VALU_DEP_1)
	s_cmp_lt_i32 s23, 11
	v_ashrrev_i32_e32 v1, 31, v0
	s_delay_alu instid0(VALU_DEP_1)
	v_add_nc_u64_e32 v[0:1], s[4:5], v[0:1]
	s_cbranch_scc1 .LBB230_696
; %bb.688:
	s_and_b32 s24, 0xffff, s23
	s_delay_alu instid0(SALU_CYCLE_1)
	s_cmp_gt_i32 s24, 25
	s_cbranch_scc0 .LBB230_697
; %bb.689:
	s_cmp_gt_i32 s24, 28
	s_cbranch_scc0 .LBB230_698
; %bb.690:
	;; [unrolled: 3-line block ×4, first 2 shown]
	s_mov_b32 s26, 0
	s_mov_b32 s0, -1
	s_cmp_eq_u32 s24, 46
	s_mov_b32 s25, 0
	s_cbranch_scc0 .LBB230_701
; %bb.693:
	v_cvt_f32_f16_e32 v3, v2
	v_cmp_o_f16_e32 vcc_lo, v2, v2
	s_mov_b32 s25, -1
	s_mov_b32 s0, 0
	s_delay_alu instid0(VALU_DEP_2) | instskip(NEXT) | instid1(VALU_DEP_1)
	v_bfe_u32 v5, v3, 16, 1
	v_add3_u32 v3, v3, v5, 0x7fff
	s_delay_alu instid0(VALU_DEP_1) | instskip(NEXT) | instid1(VALU_DEP_1)
	v_lshrrev_b32_e32 v3, 16, v3
	v_cndmask_b32_e32 v3, 0x7fc0, v3, vcc_lo
	global_store_b32 v[0:1], v3, off
	s_branch .LBB230_701
.LBB230_694:
	v_max_num_f32_e32 v0, v0, v0
	s_and_not1_b32 vcc_lo, exec_lo, s24
	s_cbranch_vccnz .LBB230_685
.LBB230_695:
	v_max_num_f32_e64 v1, s11, s11
	v_max_num_f32_e64 v2, s2, s2
	s_delay_alu instid0(VALU_DEP_1) | instskip(NEXT) | instid1(VALU_DEP_1)
	v_maxmin_num_f32 v1, v0, v1, v2
	v_cvt_f16_f32_e32 v2, v1
	s_cbranch_execz .LBB230_686
	s_branch .LBB230_687
.LBB230_696:
	s_mov_b32 s24, -1
	s_mov_b32 s25, 0
	s_mov_b32 s0, s19
	s_branch .LBB230_770
.LBB230_697:
	s_mov_b32 s26, -1
	s_mov_b32 s25, 0
	s_mov_b32 s0, s19
	s_branch .LBB230_728
.LBB230_698:
	s_mov_b32 s26, -1
	s_mov_b32 s25, 0
	s_mov_b32 s0, s19
	s_branch .LBB230_711
.LBB230_699:
	s_mov_b32 s26, -1
	s_mov_b32 s25, 0
	s_mov_b32 s0, s19
	s_branch .LBB230_707
.LBB230_700:
	s_mov_b32 s26, -1
	s_mov_b32 s25, 0
	s_mov_b32 s0, s19
.LBB230_701:
	s_and_b32 vcc_lo, exec_lo, s26
	s_cbranch_vccz .LBB230_706
; %bb.702:
	s_cmp_eq_u32 s24, 44
	s_mov_b32 s0, -1
	s_cbranch_scc0 .LBB230_706
; %bb.703:
	s_wait_xcnt 0x0
	v_cvt_f32_f16_e32 v3, v2
	v_mov_b32_e32 v5, 0xff
	s_mov_b32 s25, exec_lo
	s_delay_alu instid0(VALU_DEP_2) | instskip(NEXT) | instid1(VALU_DEP_1)
	v_bfe_u32 v6, v3, 23, 8
	v_cmpx_ne_u32_e32 0xff, v6
	s_cbranch_execz .LBB230_705
; %bb.704:
	v_and_b32_e32 v5, 0x400000, v3
	v_and_or_b32 v6, 0x3fffff, v3, v6
	v_lshrrev_b32_e32 v3, 23, v3
	s_delay_alu instid0(VALU_DEP_3) | instskip(NEXT) | instid1(VALU_DEP_3)
	v_cmp_ne_u32_e32 vcc_lo, 0, v5
	v_cmp_ne_u32_e64 s0, 0, v6
	s_and_b32 s0, vcc_lo, s0
	s_delay_alu instid0(SALU_CYCLE_1) | instskip(NEXT) | instid1(VALU_DEP_1)
	v_cndmask_b32_e64 v5, 0, 1, s0
	v_add_nc_u32_e32 v5, v3, v5
.LBB230_705:
	s_or_b32 exec_lo, exec_lo, s25
	s_mov_b32 s25, -1
	s_mov_b32 s0, 0
	global_store_b8 v[0:1], v5, off
.LBB230_706:
	s_mov_b32 s26, 0
.LBB230_707:
	s_delay_alu instid0(SALU_CYCLE_1)
	s_and_b32 vcc_lo, exec_lo, s26
	s_cbranch_vccz .LBB230_710
; %bb.708:
	s_cmp_eq_u32 s24, 29
	s_mov_b32 s0, -1
	s_cbranch_scc0 .LBB230_710
; %bb.709:
	s_wait_xcnt 0x0
	v_cvt_f32_f16_e32 v3, v2
	v_mov_b32_e32 v7, 0
	s_mov_b32 s25, -1
	s_mov_b32 s0, 0
	s_mov_b32 s26, 0
	v_cvt_u32_f32_e32 v6, v3
	global_store_b64 v[0:1], v[6:7], off
	s_branch .LBB230_711
.LBB230_710:
	s_mov_b32 s26, 0
.LBB230_711:
	s_delay_alu instid0(SALU_CYCLE_1)
	s_and_b32 vcc_lo, exec_lo, s26
	s_cbranch_vccz .LBB230_727
; %bb.712:
	s_cmp_lt_i32 s24, 27
	s_mov_b32 s25, -1
	s_cbranch_scc1 .LBB230_718
; %bb.713:
	s_cmp_gt_i32 s24, 27
	s_cbranch_scc0 .LBB230_715
; %bb.714:
	s_wait_xcnt 0x0
	v_cvt_f32_f16_e32 v3, v2
	s_mov_b32 s25, 0
	s_delay_alu instid0(VALU_DEP_1)
	v_cvt_u32_f32_e32 v3, v3
	global_store_b32 v[0:1], v3, off
.LBB230_715:
	s_and_not1_b32 vcc_lo, exec_lo, s25
	s_cbranch_vccnz .LBB230_717
; %bb.716:
	s_wait_xcnt 0x0
	v_cvt_u16_f16_e32 v3, v2
	global_store_b16 v[0:1], v3, off
.LBB230_717:
	s_mov_b32 s25, 0
.LBB230_718:
	s_delay_alu instid0(SALU_CYCLE_1)
	s_and_not1_b32 vcc_lo, exec_lo, s25
	s_cbranch_vccnz .LBB230_726
; %bb.719:
	s_wait_xcnt 0x0
	v_cvt_f32_f16_e32 v3, v2
	v_mov_b32_e32 v6, 0x80
	s_mov_b32 s25, exec_lo
	s_delay_alu instid0(VALU_DEP_2) | instskip(NEXT) | instid1(VALU_DEP_1)
	v_and_b32_e32 v5, 0x7fffffff, v3
	v_cmpx_gt_u32_e32 0x43800000, v5
	s_cbranch_execz .LBB230_725
; %bb.720:
	v_cmp_lt_u32_e32 vcc_lo, 0x3bffffff, v5
	s_mov_b32 s26, 0
                                        ; implicit-def: $vgpr5
	s_and_saveexec_b32 s27, vcc_lo
	s_delay_alu instid0(SALU_CYCLE_1)
	s_xor_b32 s27, exec_lo, s27
	s_cbranch_execz .LBB230_827
; %bb.721:
	v_bfe_u32 v5, v3, 20, 1
	s_mov_b32 s26, exec_lo
	s_delay_alu instid0(VALU_DEP_1) | instskip(NEXT) | instid1(VALU_DEP_1)
	v_add3_u32 v5, v3, v5, 0x487ffff
	v_lshrrev_b32_e32 v5, 20, v5
	s_and_not1_saveexec_b32 s27, s27
	s_cbranch_execnz .LBB230_828
.LBB230_722:
	s_or_b32 exec_lo, exec_lo, s27
	v_mov_b32_e32 v6, 0
	s_and_saveexec_b32 s27, s26
.LBB230_723:
	v_lshrrev_b32_e32 v3, 24, v3
	s_delay_alu instid0(VALU_DEP_1)
	v_and_or_b32 v6, 0x80, v3, v5
.LBB230_724:
	s_or_b32 exec_lo, exec_lo, s27
.LBB230_725:
	s_delay_alu instid0(SALU_CYCLE_1)
	s_or_b32 exec_lo, exec_lo, s25
	global_store_b8 v[0:1], v6, off
.LBB230_726:
	s_mov_b32 s25, -1
.LBB230_727:
	s_mov_b32 s26, 0
.LBB230_728:
	s_delay_alu instid0(SALU_CYCLE_1)
	s_and_b32 vcc_lo, exec_lo, s26
	s_cbranch_vccz .LBB230_769
; %bb.729:
	s_cmp_gt_i32 s24, 22
	s_mov_b32 s26, -1
	s_cbranch_scc0 .LBB230_761
; %bb.730:
	s_cmp_lt_i32 s24, 24
	s_mov_b32 s25, -1
	s_cbranch_scc1 .LBB230_750
; %bb.731:
	s_cmp_gt_i32 s24, 24
	s_cbranch_scc0 .LBB230_739
; %bb.732:
	s_wait_xcnt 0x0
	v_cvt_f32_f16_e32 v3, v2
	v_mov_b32_e32 v6, 0x80
	s_mov_b32 s25, exec_lo
	s_delay_alu instid0(VALU_DEP_2) | instskip(NEXT) | instid1(VALU_DEP_1)
	v_and_b32_e32 v5, 0x7fffffff, v3
	v_cmpx_gt_u32_e32 0x47800000, v5
	s_cbranch_execz .LBB230_738
; %bb.733:
	v_cmp_lt_u32_e32 vcc_lo, 0x37ffffff, v5
	s_mov_b32 s26, 0
                                        ; implicit-def: $vgpr5
	s_and_saveexec_b32 s27, vcc_lo
	s_delay_alu instid0(SALU_CYCLE_1)
	s_xor_b32 s27, exec_lo, s27
	s_cbranch_execz .LBB230_830
; %bb.734:
	v_bfe_u32 v5, v3, 21, 1
	s_mov_b32 s26, exec_lo
	s_delay_alu instid0(VALU_DEP_1) | instskip(NEXT) | instid1(VALU_DEP_1)
	v_add3_u32 v5, v3, v5, 0x88fffff
	v_lshrrev_b32_e32 v5, 21, v5
	s_and_not1_saveexec_b32 s27, s27
	s_cbranch_execnz .LBB230_831
.LBB230_735:
	s_or_b32 exec_lo, exec_lo, s27
	v_mov_b32_e32 v6, 0
	s_and_saveexec_b32 s27, s26
.LBB230_736:
	v_lshrrev_b32_e32 v3, 24, v3
	s_delay_alu instid0(VALU_DEP_1)
	v_and_or_b32 v6, 0x80, v3, v5
.LBB230_737:
	s_or_b32 exec_lo, exec_lo, s27
.LBB230_738:
	s_delay_alu instid0(SALU_CYCLE_1)
	s_or_b32 exec_lo, exec_lo, s25
	s_mov_b32 s25, 0
	global_store_b8 v[0:1], v6, off
.LBB230_739:
	s_and_b32 vcc_lo, exec_lo, s25
	s_cbranch_vccz .LBB230_749
; %bb.740:
	s_wait_xcnt 0x0
	v_cvt_f32_f16_e32 v3, v2
	s_mov_b32 s25, exec_lo
                                        ; implicit-def: $vgpr5
	s_delay_alu instid0(VALU_DEP_1) | instskip(NEXT) | instid1(VALU_DEP_1)
	v_and_b32_e32 v6, 0x7fffffff, v3
	v_cmpx_gt_u32_e32 0x43f00000, v6
	s_xor_b32 s25, exec_lo, s25
	s_cbranch_execz .LBB230_746
; %bb.741:
	s_mov_b32 s26, exec_lo
                                        ; implicit-def: $vgpr5
	v_cmpx_lt_u32_e32 0x3c7fffff, v6
	s_xor_b32 s26, exec_lo, s26
; %bb.742:
	v_bfe_u32 v5, v3, 20, 1
	s_delay_alu instid0(VALU_DEP_1) | instskip(NEXT) | instid1(VALU_DEP_1)
	v_add3_u32 v5, v3, v5, 0x407ffff
	v_and_b32_e32 v6, 0xff00000, v5
	v_lshrrev_b32_e32 v5, 20, v5
	s_delay_alu instid0(VALU_DEP_2) | instskip(NEXT) | instid1(VALU_DEP_2)
	v_cmp_ne_u32_e32 vcc_lo, 0x7f00000, v6
	v_cndmask_b32_e32 v5, 0x7e, v5, vcc_lo
; %bb.743:
	s_and_not1_saveexec_b32 s26, s26
; %bb.744:
	v_add_f32_e64 v5, 0x46800000, |v3|
; %bb.745:
	s_or_b32 exec_lo, exec_lo, s26
                                        ; implicit-def: $vgpr6
.LBB230_746:
	s_and_not1_saveexec_b32 s25, s25
; %bb.747:
	v_mov_b32_e32 v5, 0x7f
	v_cmp_lt_u32_e32 vcc_lo, 0x7f800000, v6
	s_delay_alu instid0(VALU_DEP_2)
	v_cndmask_b32_e32 v5, 0x7e, v5, vcc_lo
; %bb.748:
	s_or_b32 exec_lo, exec_lo, s25
	v_lshrrev_b32_e32 v3, 24, v3
	s_delay_alu instid0(VALU_DEP_1)
	v_and_or_b32 v3, 0x80, v3, v5
	global_store_b8 v[0:1], v3, off
.LBB230_749:
	s_mov_b32 s25, 0
.LBB230_750:
	s_delay_alu instid0(SALU_CYCLE_1)
	s_and_not1_b32 vcc_lo, exec_lo, s25
	s_cbranch_vccnz .LBB230_760
; %bb.751:
	s_wait_xcnt 0x0
	v_cvt_f32_f16_e32 v3, v2
	s_mov_b32 s25, exec_lo
                                        ; implicit-def: $vgpr5
	s_delay_alu instid0(VALU_DEP_1) | instskip(NEXT) | instid1(VALU_DEP_1)
	v_and_b32_e32 v6, 0x7fffffff, v3
	v_cmpx_gt_u32_e32 0x47800000, v6
	s_xor_b32 s25, exec_lo, s25
	s_cbranch_execz .LBB230_757
; %bb.752:
	s_mov_b32 s26, exec_lo
                                        ; implicit-def: $vgpr5
	v_cmpx_lt_u32_e32 0x387fffff, v6
	s_xor_b32 s26, exec_lo, s26
; %bb.753:
	v_bfe_u32 v5, v3, 21, 1
	s_delay_alu instid0(VALU_DEP_1) | instskip(NEXT) | instid1(VALU_DEP_1)
	v_add3_u32 v5, v3, v5, 0x80fffff
	v_lshrrev_b32_e32 v5, 21, v5
; %bb.754:
	s_and_not1_saveexec_b32 s26, s26
; %bb.755:
	v_add_f32_e64 v5, 0x43000000, |v3|
; %bb.756:
	s_or_b32 exec_lo, exec_lo, s26
                                        ; implicit-def: $vgpr6
.LBB230_757:
	s_and_not1_saveexec_b32 s25, s25
; %bb.758:
	v_mov_b32_e32 v5, 0x7f
	v_cmp_lt_u32_e32 vcc_lo, 0x7f800000, v6
	s_delay_alu instid0(VALU_DEP_2)
	v_cndmask_b32_e32 v5, 0x7c, v5, vcc_lo
; %bb.759:
	s_or_b32 exec_lo, exec_lo, s25
	v_lshrrev_b32_e32 v3, 24, v3
	s_delay_alu instid0(VALU_DEP_1)
	v_and_or_b32 v3, 0x80, v3, v5
	global_store_b8 v[0:1], v3, off
.LBB230_760:
	s_mov_b32 s26, 0
	s_mov_b32 s25, -1
.LBB230_761:
	s_and_not1_b32 vcc_lo, exec_lo, s26
	s_cbranch_vccnz .LBB230_769
; %bb.762:
	s_cmp_gt_i32 s24, 14
	s_mov_b32 s26, -1
	s_cbranch_scc0 .LBB230_766
; %bb.763:
	s_cmp_eq_u32 s24, 15
	s_mov_b32 s0, -1
	s_cbranch_scc0 .LBB230_765
; %bb.764:
	s_wait_xcnt 0x0
	v_cvt_f32_f16_e32 v3, v2
	v_cmp_o_f16_e32 vcc_lo, v2, v2
	s_mov_b32 s25, -1
	s_mov_b32 s0, 0
	s_delay_alu instid0(VALU_DEP_2) | instskip(NEXT) | instid1(VALU_DEP_1)
	v_bfe_u32 v5, v3, 16, 1
	v_add3_u32 v3, v3, v5, 0x7fff
	s_delay_alu instid0(VALU_DEP_1) | instskip(NEXT) | instid1(VALU_DEP_1)
	v_lshrrev_b32_e32 v3, 16, v3
	v_cndmask_b32_e32 v3, 0x7fc0, v3, vcc_lo
	global_store_b16 v[0:1], v3, off
.LBB230_765:
	s_mov_b32 s26, 0
.LBB230_766:
	s_delay_alu instid0(SALU_CYCLE_1)
	s_and_b32 vcc_lo, exec_lo, s26
	s_cbranch_vccz .LBB230_769
; %bb.767:
	s_cmp_eq_u32 s24, 11
	s_mov_b32 s0, -1
	s_cbranch_scc0 .LBB230_769
; %bb.768:
	s_wait_xcnt 0x0
	v_and_b32_e32 v3, 0x7fff, v2
	s_mov_b32 s0, 0
	s_mov_b32 s25, -1
	s_delay_alu instid0(VALU_DEP_1)
	v_cmp_ne_u16_e32 vcc_lo, 0, v3
	v_cndmask_b32_e64 v3, 0, 1, vcc_lo
	global_store_b8 v[0:1], v3, off
.LBB230_769:
	s_mov_b32 s24, 0
.LBB230_770:
	s_delay_alu instid0(SALU_CYCLE_1)
	s_and_b32 vcc_lo, exec_lo, s24
	s_cbranch_vccz .LBB230_809
; %bb.771:
	s_and_b32 s23, 0xffff, s23
	s_mov_b32 s24, -1
	s_cmp_lt_i32 s23, 5
	s_cbranch_scc1 .LBB230_792
; %bb.772:
	s_cmp_lt_i32 s23, 8
	s_cbranch_scc1 .LBB230_782
; %bb.773:
	;; [unrolled: 3-line block ×3, first 2 shown]
	s_cmp_gt_i32 s23, 9
	s_cbranch_scc0 .LBB230_776
; %bb.775:
	s_wait_xcnt 0x0
	v_cvt_f32_f16_e32 v3, v2
	v_mov_b32_e32 v8, 0
	s_mov_b32 s24, 0
	s_delay_alu instid0(VALU_DEP_2) | instskip(NEXT) | instid1(VALU_DEP_2)
	v_cvt_f64_f32_e32 v[6:7], v3
	v_mov_b32_e32 v9, v8
	global_store_b128 v[0:1], v[6:9], off
.LBB230_776:
	s_and_not1_b32 vcc_lo, exec_lo, s24
	s_cbranch_vccnz .LBB230_778
; %bb.777:
	s_wait_xcnt 0x0
	v_cvt_f32_f16_e32 v6, v2
	v_mov_b32_e32 v7, 0
	global_store_b64 v[0:1], v[6:7], off
.LBB230_778:
	s_mov_b32 s24, 0
.LBB230_779:
	s_delay_alu instid0(SALU_CYCLE_1)
	s_and_not1_b32 vcc_lo, exec_lo, s24
	s_cbranch_vccnz .LBB230_781
; %bb.780:
	s_wait_xcnt 0x0
	v_and_b32_e32 v3, 0xffff, v2
	global_store_b32 v[0:1], v3, off
.LBB230_781:
	s_mov_b32 s24, 0
.LBB230_782:
	s_delay_alu instid0(SALU_CYCLE_1)
	s_and_not1_b32 vcc_lo, exec_lo, s24
	s_cbranch_vccnz .LBB230_791
; %bb.783:
	s_cmp_lt_i32 s23, 6
	s_mov_b32 s24, -1
	s_cbranch_scc1 .LBB230_789
; %bb.784:
	s_cmp_gt_i32 s23, 6
	s_cbranch_scc0 .LBB230_786
; %bb.785:
	s_wait_xcnt 0x0
	v_cvt_f32_f16_e32 v3, v2
	s_mov_b32 s24, 0
	s_delay_alu instid0(VALU_DEP_1)
	v_cvt_f64_f32_e32 v[6:7], v3
	global_store_b64 v[0:1], v[6:7], off
.LBB230_786:
	s_and_not1_b32 vcc_lo, exec_lo, s24
	s_cbranch_vccnz .LBB230_788
; %bb.787:
	s_wait_xcnt 0x0
	v_cvt_f32_f16_e32 v3, v2
	global_store_b32 v[0:1], v3, off
.LBB230_788:
	s_mov_b32 s24, 0
.LBB230_789:
	s_delay_alu instid0(SALU_CYCLE_1)
	s_and_not1_b32 vcc_lo, exec_lo, s24
	s_cbranch_vccnz .LBB230_791
; %bb.790:
	global_store_b16 v[0:1], v2, off
.LBB230_791:
	s_mov_b32 s24, 0
.LBB230_792:
	s_delay_alu instid0(SALU_CYCLE_1)
	s_and_not1_b32 vcc_lo, exec_lo, s24
	s_cbranch_vccnz .LBB230_808
; %bb.793:
	s_cmp_lt_i32 s23, 2
	s_mov_b32 s24, -1
	s_cbranch_scc1 .LBB230_803
; %bb.794:
	s_cmp_lt_i32 s23, 3
	s_cbranch_scc1 .LBB230_800
; %bb.795:
	s_cmp_gt_i32 s23, 3
	s_cbranch_scc0 .LBB230_797
; %bb.796:
	s_wait_xcnt 0x0
	v_cvt_f32_f16_e32 v3, v2
	s_mov_b32 s24, 0
	s_delay_alu instid0(VALU_DEP_1) | instskip(NEXT) | instid1(VALU_DEP_1)
	v_cvt_i32_f32_e32 v6, v3
	v_ashrrev_i32_e32 v7, 31, v6
	global_store_b64 v[0:1], v[6:7], off
.LBB230_797:
	s_and_not1_b32 vcc_lo, exec_lo, s24
	s_cbranch_vccnz .LBB230_799
; %bb.798:
	s_wait_xcnt 0x0
	v_cvt_f32_f16_e32 v3, v2
	s_delay_alu instid0(VALU_DEP_1)
	v_cvt_i32_f32_e32 v3, v3
	global_store_b32 v[0:1], v3, off
.LBB230_799:
	s_mov_b32 s24, 0
.LBB230_800:
	s_delay_alu instid0(SALU_CYCLE_1)
	s_and_not1_b32 vcc_lo, exec_lo, s24
	s_cbranch_vccnz .LBB230_802
; %bb.801:
	s_wait_xcnt 0x0
	v_cvt_i16_f16_e32 v3, v2
	global_store_b16 v[0:1], v3, off
.LBB230_802:
	s_mov_b32 s24, 0
.LBB230_803:
	s_delay_alu instid0(SALU_CYCLE_1)
	s_and_not1_b32 vcc_lo, exec_lo, s24
	s_cbranch_vccnz .LBB230_808
; %bb.804:
	s_cmp_gt_i32 s23, 0
	s_mov_b32 s23, -1
	s_cbranch_scc0 .LBB230_806
; %bb.805:
	s_wait_xcnt 0x0
	v_cvt_i16_f16_e32 v3, v2
	s_mov_b32 s23, 0
	global_store_b8 v[0:1], v3, off
.LBB230_806:
	s_and_not1_b32 vcc_lo, exec_lo, s23
	s_cbranch_vccnz .LBB230_808
; %bb.807:
	s_wait_xcnt 0x0
	v_cvt_f32_f16_e32 v2, v2
	s_delay_alu instid0(VALU_DEP_1)
	v_cvt_i32_f32_e32 v2, v2
	global_store_b8 v[0:1], v2, off
.LBB230_808:
	s_mov_b32 s25, -1
.LBB230_809:
	s_delay_alu instid0(SALU_CYCLE_1)
	s_and_not1_b32 vcc_lo, exec_lo, s25
	s_cbranch_vccnz .LBB230_811
; %bb.810:
	v_add_nc_u32_e32 v4, 0x80, v4
	s_mov_b32 s23, -1
	s_branch .LBB230_813
.LBB230_811:
	s_mov_b32 s23, 0
.LBB230_812:
                                        ; implicit-def: $vgpr4
.LBB230_813:
	s_and_not1_b32 s24, s19, exec_lo
	s_and_b32 s0, s0, exec_lo
	s_and_not1_b32 s25, s18, exec_lo
	s_and_b32 s26, s22, exec_lo
	s_or_b32 s22, s24, s0
	s_or_b32 s0, s25, s26
	s_or_not1_b32 s23, s23, exec_lo
.LBB230_814:
	s_wait_xcnt 0x0
	s_or_b32 exec_lo, exec_lo, s21
	s_mov_b32 s24, 0
	s_mov_b32 s25, 0
	;; [unrolled: 1-line block ×3, first 2 shown]
                                        ; implicit-def: $vgpr0_vgpr1
                                        ; implicit-def: $vgpr5
	s_and_saveexec_b32 s21, s23
	s_cbranch_execz .LBB230_899
; %bb.815:
	v_cmp_gt_i32_e32 vcc_lo, s15, v4
	s_mov_b32 s23, 0
	s_mov_b32 s24, s0
	;; [unrolled: 1-line block ×3, first 2 shown]
                                        ; implicit-def: $vgpr0_vgpr1
                                        ; implicit-def: $vgpr5
	s_and_saveexec_b32 s15, vcc_lo
	s_cbranch_execz .LBB230_898
; %bb.816:
	v_mul_lo_u32 v0, v4, s9
	s_and_b32 s23, 0xffff, s12
	s_delay_alu instid0(SALU_CYCLE_1) | instskip(NEXT) | instid1(VALU_DEP_1)
	s_cmp_lt_i32 s23, 11
	v_ashrrev_i32_e32 v1, 31, v0
	s_delay_alu instid0(VALU_DEP_1)
	v_add_nc_u64_e32 v[0:1], s[6:7], v[0:1]
	s_cbranch_scc1 .LBB230_823
; %bb.817:
	s_cmp_gt_i32 s23, 25
	s_cbranch_scc0 .LBB230_824
; %bb.818:
	s_cmp_gt_i32 s23, 28
	s_cbranch_scc0 .LBB230_825
	;; [unrolled: 3-line block ×4, first 2 shown]
; %bb.821:
	s_cmp_eq_u32 s23, 46
	s_cbranch_scc0 .LBB230_832
; %bb.822:
	s_wait_loadcnt 0x0
	global_load_b32 v2, v[0:1], off
	s_mov_b32 s24, 0
	s_mov_b32 s26, -1
	s_wait_loadcnt 0x0
	v_lshlrev_b32_e32 v2, 16, v2
	s_delay_alu instid0(VALU_DEP_1)
	v_cvt_f16_f32_e32 v5, v2
	s_branch .LBB230_834
.LBB230_823:
	s_mov_b32 s23, -1
	s_mov_b32 s24, s0
                                        ; implicit-def: $vgpr5
	s_branch .LBB230_897
.LBB230_824:
	s_mov_b32 s27, -1
	s_mov_b32 s24, s0
                                        ; implicit-def: $vgpr5
	s_branch .LBB230_863
.LBB230_825:
	s_mov_b32 s27, -1
	s_mov_b32 s24, s0
                                        ; implicit-def: $vgpr5
	s_branch .LBB230_844
.LBB230_826:
	s_mov_b32 s27, -1
	s_mov_b32 s24, s0
                                        ; implicit-def: $vgpr5
	s_branch .LBB230_839
.LBB230_827:
	s_and_not1_saveexec_b32 s27, s27
	s_cbranch_execz .LBB230_722
.LBB230_828:
	v_add_f32_e64 v5, 0x46000000, |v3|
	s_and_not1_b32 s26, s26, exec_lo
	s_delay_alu instid0(VALU_DEP_1) | instskip(NEXT) | instid1(VALU_DEP_1)
	v_and_b32_e32 v5, 0xff, v5
	v_cmp_ne_u32_e32 vcc_lo, 0, v5
	s_and_b32 s28, vcc_lo, exec_lo
	s_delay_alu instid0(SALU_CYCLE_1)
	s_or_b32 s26, s26, s28
	s_or_b32 exec_lo, exec_lo, s27
	v_mov_b32_e32 v6, 0
	s_and_saveexec_b32 s27, s26
	s_cbranch_execnz .LBB230_723
	s_branch .LBB230_724
.LBB230_829:
	s_mov_b32 s27, -1
	s_mov_b32 s24, s0
	s_branch .LBB230_833
.LBB230_830:
	s_and_not1_saveexec_b32 s27, s27
	s_cbranch_execz .LBB230_735
.LBB230_831:
	v_add_f32_e64 v5, 0x42800000, |v3|
	s_and_not1_b32 s26, s26, exec_lo
	s_delay_alu instid0(VALU_DEP_1) | instskip(NEXT) | instid1(VALU_DEP_1)
	v_and_b32_e32 v5, 0xff, v5
	v_cmp_ne_u32_e32 vcc_lo, 0, v5
	s_and_b32 s28, vcc_lo, exec_lo
	s_delay_alu instid0(SALU_CYCLE_1)
	s_or_b32 s26, s26, s28
	s_or_b32 exec_lo, exec_lo, s27
	v_mov_b32_e32 v6, 0
	s_and_saveexec_b32 s27, s26
	s_cbranch_execnz .LBB230_736
	s_branch .LBB230_737
.LBB230_832:
	s_mov_b32 s24, -1
.LBB230_833:
                                        ; implicit-def: $vgpr5
.LBB230_834:
	s_and_b32 vcc_lo, exec_lo, s27
	s_cbranch_vccz .LBB230_838
; %bb.835:
	s_cmp_eq_u32 s23, 44
	s_cbranch_scc0 .LBB230_837
; %bb.836:
	s_wait_loadcnt 0x0
	global_load_u8 v2, v[0:1], off
	s_mov_b32 s24, 0
	s_mov_b32 s26, -1
	s_wait_loadcnt 0x0
	v_lshlrev_b32_e32 v3, 23, v2
	v_cmp_ne_u32_e32 vcc_lo, 0xff, v2
	s_delay_alu instid0(VALU_DEP_2) | instskip(NEXT) | instid1(VALU_DEP_1)
	v_cvt_f16_f32_e32 v3, v3
	v_cndmask_b32_e32 v3, 0x7e00, v3, vcc_lo
	v_cmp_ne_u32_e32 vcc_lo, 0, v2
	s_delay_alu instid0(VALU_DEP_2)
	v_cndmask_b32_e32 v5, 0, v3, vcc_lo
	s_branch .LBB230_838
.LBB230_837:
	s_mov_b32 s24, -1
                                        ; implicit-def: $vgpr5
.LBB230_838:
	s_mov_b32 s27, 0
.LBB230_839:
	s_delay_alu instid0(SALU_CYCLE_1)
	s_and_b32 vcc_lo, exec_lo, s27
	s_cbranch_vccz .LBB230_843
; %bb.840:
	s_cmp_eq_u32 s23, 29
	s_cbranch_scc0 .LBB230_842
; %bb.841:
	s_wait_loadcnt 0x0
	global_load_b64 v[2:3], v[0:1], off
	s_mov_b32 s24, 0
	s_mov_b32 s26, -1
	s_mov_b32 s27, 0
	s_wait_loadcnt 0x0
	v_clz_i32_u32_e32 v5, v3
	s_delay_alu instid0(VALU_DEP_1) | instskip(NEXT) | instid1(VALU_DEP_1)
	v_min_u32_e32 v5, 32, v5
	v_lshlrev_b64_e32 v[2:3], v5, v[2:3]
	s_delay_alu instid0(VALU_DEP_1) | instskip(NEXT) | instid1(VALU_DEP_1)
	v_min_u32_e32 v2, 1, v2
	v_dual_sub_nc_u32 v3, 32, v5 :: v_dual_bitop2_b32 v2, v3, v2 bitop3:0x54
	s_delay_alu instid0(VALU_DEP_1) | instskip(NEXT) | instid1(VALU_DEP_1)
	v_cvt_f32_u32_e32 v2, v2
	v_ldexp_f32 v2, v2, v3
	s_delay_alu instid0(VALU_DEP_1)
	v_cvt_f16_f32_e32 v5, v2
	s_branch .LBB230_844
.LBB230_842:
	s_mov_b32 s24, -1
                                        ; implicit-def: $vgpr5
.LBB230_843:
	s_mov_b32 s27, 0
.LBB230_844:
	s_delay_alu instid0(SALU_CYCLE_1)
	s_and_b32 vcc_lo, exec_lo, s27
	s_cbranch_vccz .LBB230_862
; %bb.845:
	s_cmp_lt_i32 s23, 27
	s_cbranch_scc1 .LBB230_848
; %bb.846:
	s_cmp_gt_i32 s23, 27
	s_cbranch_scc0 .LBB230_849
; %bb.847:
	s_wait_loadcnt 0x0
	global_load_b32 v2, v[0:1], off
	s_mov_b32 s26, 0
	s_wait_loadcnt 0x0
	v_cvt_f32_u32_e32 v2, v2
	s_delay_alu instid0(VALU_DEP_1)
	v_cvt_f16_f32_e32 v5, v2
	s_branch .LBB230_850
.LBB230_848:
	s_mov_b32 s26, -1
                                        ; implicit-def: $vgpr5
	s_branch .LBB230_853
.LBB230_849:
	s_mov_b32 s26, -1
                                        ; implicit-def: $vgpr5
.LBB230_850:
	s_delay_alu instid0(SALU_CYCLE_1)
	s_and_not1_b32 vcc_lo, exec_lo, s26
	s_cbranch_vccnz .LBB230_852
; %bb.851:
	s_wait_loadcnt 0x0
	global_load_u16 v2, v[0:1], off
	s_wait_loadcnt 0x0
	v_cvt_f16_u16_e32 v5, v2
.LBB230_852:
	s_mov_b32 s26, 0
.LBB230_853:
	s_delay_alu instid0(SALU_CYCLE_1)
	s_and_not1_b32 vcc_lo, exec_lo, s26
	s_cbranch_vccnz .LBB230_861
; %bb.854:
	s_wait_loadcnt 0x0
	global_load_u8 v2, v[0:1], off
	s_mov_b32 s26, 0
	s_mov_b32 s27, exec_lo
	s_wait_loadcnt 0x0
	v_cmpx_lt_i16_e32 0x7f, v2
	s_xor_b32 s27, exec_lo, s27
	s_cbranch_execz .LBB230_875
; %bb.855:
	s_mov_b32 s26, -1
	s_mov_b32 s28, exec_lo
	v_cmpx_eq_u16_e32 0x80, v2
; %bb.856:
	s_xor_b32 s26, exec_lo, -1
; %bb.857:
	s_or_b32 exec_lo, exec_lo, s28
	s_delay_alu instid0(SALU_CYCLE_1)
	s_and_b32 s26, s26, exec_lo
	s_or_saveexec_b32 s27, s27
	v_mov_b32_e32 v5, 0x7e00
	s_xor_b32 exec_lo, exec_lo, s27
	s_cbranch_execnz .LBB230_876
.LBB230_858:
	s_or_b32 exec_lo, exec_lo, s27
	s_and_saveexec_b32 s27, s26
	s_cbranch_execz .LBB230_860
.LBB230_859:
	v_and_b32_e32 v3, 0xffff, v2
	s_delay_alu instid0(VALU_DEP_1) | instskip(SKIP_1) | instid1(VALU_DEP_2)
	v_and_b32_e32 v5, 7, v3
	v_bfe_u32 v8, v3, 3, 4
	v_clz_i32_u32_e32 v6, v5
	s_delay_alu instid0(VALU_DEP_2) | instskip(NEXT) | instid1(VALU_DEP_2)
	v_cmp_eq_u32_e32 vcc_lo, 0, v8
	v_min_u32_e32 v6, 32, v6
	s_delay_alu instid0(VALU_DEP_1) | instskip(NEXT) | instid1(VALU_DEP_1)
	v_subrev_nc_u32_e32 v7, 28, v6
	v_dual_lshlrev_b32 v3, v7, v3 :: v_dual_sub_nc_u32 v6, 29, v6
	s_delay_alu instid0(VALU_DEP_1) | instskip(NEXT) | instid1(VALU_DEP_1)
	v_dual_lshlrev_b32 v2, 24, v2 :: v_dual_bitop2_b32 v3, 7, v3 bitop3:0x40
	v_dual_cndmask_b32 v3, v5, v3 :: v_dual_cndmask_b32 v6, v8, v6
	s_delay_alu instid0(VALU_DEP_2) | instskip(NEXT) | instid1(VALU_DEP_2)
	v_and_b32_e32 v2, 0x80000000, v2
	v_lshlrev_b32_e32 v3, 20, v3
	s_delay_alu instid0(VALU_DEP_3) | instskip(NEXT) | instid1(VALU_DEP_1)
	v_lshl_add_u32 v5, v6, 23, 0x3b800000
	v_or3_b32 v2, v2, v5, v3
	s_delay_alu instid0(VALU_DEP_1)
	v_cvt_f16_f32_e32 v5, v2
.LBB230_860:
	s_or_b32 exec_lo, exec_lo, s27
.LBB230_861:
	s_mov_b32 s26, -1
.LBB230_862:
	s_mov_b32 s27, 0
.LBB230_863:
	s_delay_alu instid0(SALU_CYCLE_1)
	s_and_b32 vcc_lo, exec_lo, s27
	s_cbranch_vccz .LBB230_896
; %bb.864:
	s_cmp_gt_i32 s23, 22
	s_cbranch_scc0 .LBB230_874
; %bb.865:
	s_cmp_lt_i32 s23, 24
	s_cbranch_scc1 .LBB230_877
; %bb.866:
	s_cmp_gt_i32 s23, 24
	s_cbranch_scc0 .LBB230_878
; %bb.867:
	s_wait_loadcnt 0x0
	global_load_u8 v2, v[0:1], off
	s_mov_b32 s26, exec_lo
	s_wait_loadcnt 0x0
	v_cmpx_lt_i16_e32 0x7f, v2
	s_xor_b32 s26, exec_lo, s26
	s_cbranch_execz .LBB230_890
; %bb.868:
	s_mov_b32 s25, -1
	s_mov_b32 s27, exec_lo
	v_cmpx_eq_u16_e32 0x80, v2
; %bb.869:
	s_xor_b32 s25, exec_lo, -1
; %bb.870:
	s_or_b32 exec_lo, exec_lo, s27
	s_delay_alu instid0(SALU_CYCLE_1)
	s_and_b32 s25, s25, exec_lo
	s_or_saveexec_b32 s26, s26
	v_mov_b32_e32 v5, 0x7e00
	s_xor_b32 exec_lo, exec_lo, s26
	s_cbranch_execnz .LBB230_891
.LBB230_871:
	s_or_b32 exec_lo, exec_lo, s26
	s_and_saveexec_b32 s26, s25
	s_cbranch_execz .LBB230_873
.LBB230_872:
	v_and_b32_e32 v3, 0xffff, v2
	s_delay_alu instid0(VALU_DEP_1) | instskip(SKIP_1) | instid1(VALU_DEP_2)
	v_and_b32_e32 v5, 3, v3
	v_bfe_u32 v8, v3, 2, 5
	v_clz_i32_u32_e32 v6, v5
	s_delay_alu instid0(VALU_DEP_2) | instskip(NEXT) | instid1(VALU_DEP_2)
	v_cmp_eq_u32_e32 vcc_lo, 0, v8
	v_min_u32_e32 v6, 32, v6
	s_delay_alu instid0(VALU_DEP_1) | instskip(NEXT) | instid1(VALU_DEP_1)
	v_subrev_nc_u32_e32 v7, 29, v6
	v_dual_lshlrev_b32 v3, v7, v3 :: v_dual_sub_nc_u32 v6, 30, v6
	s_delay_alu instid0(VALU_DEP_1) | instskip(NEXT) | instid1(VALU_DEP_1)
	v_dual_lshlrev_b32 v2, 24, v2 :: v_dual_bitop2_b32 v3, 3, v3 bitop3:0x40
	v_dual_cndmask_b32 v3, v5, v3 :: v_dual_cndmask_b32 v6, v8, v6
	s_delay_alu instid0(VALU_DEP_2) | instskip(NEXT) | instid1(VALU_DEP_2)
	v_and_b32_e32 v2, 0x80000000, v2
	v_lshlrev_b32_e32 v3, 21, v3
	s_delay_alu instid0(VALU_DEP_3) | instskip(NEXT) | instid1(VALU_DEP_1)
	v_lshl_add_u32 v5, v6, 23, 0x37800000
	v_or3_b32 v2, v2, v5, v3
	s_delay_alu instid0(VALU_DEP_1)
	v_cvt_f16_f32_e32 v5, v2
.LBB230_873:
	s_or_b32 exec_lo, exec_lo, s26
	s_mov_b32 s25, 0
	s_branch .LBB230_879
.LBB230_874:
	s_mov_b32 s25, -1
                                        ; implicit-def: $vgpr5
	s_branch .LBB230_885
.LBB230_875:
	s_or_saveexec_b32 s27, s27
	v_mov_b32_e32 v5, 0x7e00
	s_xor_b32 exec_lo, exec_lo, s27
	s_cbranch_execz .LBB230_858
.LBB230_876:
	v_cmp_ne_u16_e32 vcc_lo, 0, v2
	v_mov_b32_e32 v5, v2
	s_and_not1_b32 s26, s26, exec_lo
	s_and_b32 s28, vcc_lo, exec_lo
	s_delay_alu instid0(SALU_CYCLE_1)
	s_or_b32 s26, s26, s28
	s_or_b32 exec_lo, exec_lo, s27
	s_and_saveexec_b32 s27, s26
	s_cbranch_execnz .LBB230_859
	s_branch .LBB230_860
.LBB230_877:
	s_mov_b32 s25, -1
                                        ; implicit-def: $vgpr5
	s_branch .LBB230_882
.LBB230_878:
	s_mov_b32 s25, -1
                                        ; implicit-def: $vgpr5
.LBB230_879:
	s_delay_alu instid0(SALU_CYCLE_1)
	s_and_b32 vcc_lo, exec_lo, s25
	s_cbranch_vccz .LBB230_881
; %bb.880:
	s_wait_loadcnt 0x0
	global_load_u8 v2, v[0:1], off
	s_wait_loadcnt 0x0
	v_lshlrev_b32_e32 v2, 24, v2
	s_delay_alu instid0(VALU_DEP_1) | instskip(NEXT) | instid1(VALU_DEP_1)
	v_and_b32_e32 v3, 0x7f000000, v2
	v_clz_i32_u32_e32 v5, v3
	v_add_nc_u32_e32 v7, 0x1000000, v3
	v_cmp_ne_u32_e32 vcc_lo, 0, v3
	s_delay_alu instid0(VALU_DEP_3) | instskip(NEXT) | instid1(VALU_DEP_1)
	v_min_u32_e32 v5, 32, v5
	v_sub_nc_u32_e64 v5, v5, 4 clamp
	s_delay_alu instid0(VALU_DEP_1) | instskip(NEXT) | instid1(VALU_DEP_1)
	v_dual_lshlrev_b32 v6, v5, v3 :: v_dual_lshlrev_b32 v5, 23, v5
	v_lshrrev_b32_e32 v6, 4, v6
	s_delay_alu instid0(VALU_DEP_1) | instskip(NEXT) | instid1(VALU_DEP_1)
	v_dual_sub_nc_u32 v5, v6, v5 :: v_dual_ashrrev_i32 v6, 8, v7
	v_add_nc_u32_e32 v5, 0x3c000000, v5
	s_delay_alu instid0(VALU_DEP_1) | instskip(NEXT) | instid1(VALU_DEP_1)
	v_and_or_b32 v5, 0x7f800000, v6, v5
	v_cndmask_b32_e32 v3, 0, v5, vcc_lo
	s_delay_alu instid0(VALU_DEP_1) | instskip(NEXT) | instid1(VALU_DEP_1)
	v_and_or_b32 v2, 0x80000000, v2, v3
	v_cvt_f16_f32_e32 v5, v2
.LBB230_881:
	s_mov_b32 s25, 0
.LBB230_882:
	s_delay_alu instid0(SALU_CYCLE_1)
	s_and_not1_b32 vcc_lo, exec_lo, s25
	s_cbranch_vccnz .LBB230_884
; %bb.883:
	s_wait_loadcnt 0x0
	global_load_u8 v2, v[0:1], off
	s_wait_loadcnt 0x0
	v_lshlrev_b32_e32 v3, 25, v2
	v_lshlrev_b16 v2, 8, v2
	s_delay_alu instid0(VALU_DEP_2) | instskip(NEXT) | instid1(VALU_DEP_2)
	v_cmp_gt_u32_e32 vcc_lo, 0x8000000, v3
	v_and_or_b32 v6, 0x7f00, v2, 0.5
	v_lshrrev_b32_e32 v5, 4, v3
	v_bfe_i32 v2, v2, 0, 16
	s_delay_alu instid0(VALU_DEP_3) | instskip(NEXT) | instid1(VALU_DEP_3)
	v_add_f32_e32 v6, -0.5, v6
	v_or_b32_e32 v5, 0x70000000, v5
	s_delay_alu instid0(VALU_DEP_1) | instskip(NEXT) | instid1(VALU_DEP_1)
	v_mul_f32_e32 v5, 0x7800000, v5
	v_cndmask_b32_e32 v3, v5, v6, vcc_lo
	s_delay_alu instid0(VALU_DEP_1) | instskip(NEXT) | instid1(VALU_DEP_1)
	v_and_or_b32 v2, 0x80000000, v2, v3
	v_cvt_f16_f32_e32 v5, v2
.LBB230_884:
	s_mov_b32 s25, 0
	s_mov_b32 s26, -1
.LBB230_885:
	s_and_not1_b32 vcc_lo, exec_lo, s25
	s_mov_b32 s25, 0
	s_cbranch_vccnz .LBB230_896
; %bb.886:
	s_cmp_gt_i32 s23, 14
	s_cbranch_scc0 .LBB230_889
; %bb.887:
	s_cmp_eq_u32 s23, 15
	s_cbranch_scc0 .LBB230_892
; %bb.888:
	s_wait_loadcnt 0x0
	global_load_u16 v2, v[0:1], off
	s_mov_b32 s24, 0
	s_mov_b32 s26, -1
	s_wait_loadcnt 0x0
	v_lshlrev_b32_e32 v2, 16, v2
	s_delay_alu instid0(VALU_DEP_1)
	v_cvt_f16_f32_e32 v5, v2
	s_branch .LBB230_894
.LBB230_889:
	s_mov_b32 s25, -1
	s_branch .LBB230_893
.LBB230_890:
	s_or_saveexec_b32 s26, s26
	v_mov_b32_e32 v5, 0x7e00
	s_xor_b32 exec_lo, exec_lo, s26
	s_cbranch_execz .LBB230_871
.LBB230_891:
	v_cmp_ne_u16_e32 vcc_lo, 0, v2
	v_mov_b32_e32 v5, v2
	s_and_not1_b32 s25, s25, exec_lo
	s_and_b32 s27, vcc_lo, exec_lo
	s_delay_alu instid0(SALU_CYCLE_1)
	s_or_b32 s25, s25, s27
	s_or_b32 exec_lo, exec_lo, s26
	s_and_saveexec_b32 s26, s25
	s_cbranch_execnz .LBB230_872
	s_branch .LBB230_873
.LBB230_892:
	s_mov_b32 s24, -1
.LBB230_893:
                                        ; implicit-def: $vgpr5
.LBB230_894:
	s_and_b32 vcc_lo, exec_lo, s25
	s_mov_b32 s25, 0
	s_cbranch_vccz .LBB230_896
; %bb.895:
	s_cmp_lg_u32 s23, 11
	s_mov_b32 s25, -1
	s_cselect_b32 s23, -1, 0
	s_and_not1_b32 s24, s24, exec_lo
	s_and_b32 s23, s23, exec_lo
	s_delay_alu instid0(SALU_CYCLE_1)
	s_or_b32 s24, s24, s23
.LBB230_896:
	s_mov_b32 s23, 0
.LBB230_897:
	s_and_not1_b32 s28, s0, exec_lo
	s_and_b32 s24, s24, exec_lo
	s_and_b32 s26, s26, exec_lo
	;; [unrolled: 1-line block ×4, first 2 shown]
	s_or_b32 s24, s28, s24
.LBB230_898:
	s_wait_xcnt 0x0
	s_or_b32 exec_lo, exec_lo, s15
	s_delay_alu instid0(SALU_CYCLE_1)
	s_and_not1_b32 s0, s0, exec_lo
	s_and_b32 s15, s24, exec_lo
	s_and_b32 s26, s26, exec_lo
	;; [unrolled: 1-line block ×4, first 2 shown]
	s_or_b32 s0, s0, s15
.LBB230_899:
	s_or_b32 exec_lo, exec_lo, s21
	s_delay_alu instid0(SALU_CYCLE_1)
	s_and_not1_b32 s15, s19, exec_lo
	s_and_b32 s19, s22, exec_lo
	s_and_b32 s0, s0, exec_lo
	s_or_b32 s19, s15, s19
	s_and_not1_b32 s15, s18, exec_lo
	s_and_b32 s23, s26, exec_lo
	s_and_b32 s22, s25, exec_lo
	;; [unrolled: 1-line block ×3, first 2 shown]
	s_or_b32 s18, s15, s0
.LBB230_900:
	s_or_b32 exec_lo, exec_lo, s20
	s_delay_alu instid0(SALU_CYCLE_1)
	s_and_not1_b32 s0, s14, exec_lo
	s_and_b32 s14, s19, exec_lo
	s_and_not1_b32 s15, s16, exec_lo
	s_and_b32 s16, s18, exec_lo
	s_or_b32 s14, s0, s14
	s_and_b32 s0, s23, exec_lo
	s_and_b32 s19, s22, exec_lo
	;; [unrolled: 1-line block ×3, first 2 shown]
	s_or_b32 s16, s15, s16
	s_or_b32 exec_lo, exec_lo, s17
	s_mov_b32 s15, 0
	s_and_saveexec_b32 s17, s16
	s_cbranch_execz .LBB230_274
.LBB230_901:
	s_mov_b32 s15, exec_lo
	s_and_not1_b32 s18, s18, exec_lo
	s_trap 2
	s_or_b32 exec_lo, exec_lo, s17
	s_and_saveexec_b32 s16, s18
	s_delay_alu instid0(SALU_CYCLE_1)
	s_xor_b32 s16, exec_lo, s16
	s_cbranch_execnz .LBB230_275
.LBB230_902:
	s_or_b32 exec_lo, exec_lo, s16
	s_and_saveexec_b32 s16, s19
	s_cbranch_execz .LBB230_948
.LBB230_903:
	s_sext_i32_i16 s17, s12
	s_delay_alu instid0(SALU_CYCLE_1)
	s_cmp_lt_i32 s17, 5
	s_cbranch_scc1 .LBB230_908
; %bb.904:
	s_cmp_lt_i32 s17, 8
	s_cbranch_scc1 .LBB230_909
; %bb.905:
	;; [unrolled: 3-line block ×3, first 2 shown]
	s_cmp_gt_i32 s17, 9
	s_cbranch_scc0 .LBB230_911
; %bb.907:
	s_wait_loadcnt 0x0
	global_load_b64 v[2:3], v[0:1], off
	s_mov_b32 s17, 0
	s_wait_loadcnt 0x0
	v_and_or_b32 v2, 0x1ff, v3, v2
	v_lshrrev_b32_e32 v5, 8, v3
	v_bfe_u32 v6, v3, 20, 11
	v_lshrrev_b32_e32 v3, 16, v3
	s_delay_alu instid0(VALU_DEP_4) | instskip(NEXT) | instid1(VALU_DEP_3)
	v_cmp_ne_u32_e32 vcc_lo, 0, v2
	v_sub_nc_u32_e32 v7, 0x3f1, v6
	v_add_nc_u32_e32 v6, 0xfffffc10, v6
	v_cndmask_b32_e64 v2, 0, 1, vcc_lo
	s_delay_alu instid0(VALU_DEP_1) | instskip(NEXT) | instid1(VALU_DEP_4)
	v_and_or_b32 v2, 0xffe, v5, v2
	v_med3_i32 v5, v7, 0, 13
	s_delay_alu instid0(VALU_DEP_2) | instskip(NEXT) | instid1(VALU_DEP_1)
	v_or_b32_e32 v7, 0x1000, v2
	v_lshrrev_b32_e32 v8, v5, v7
	s_delay_alu instid0(VALU_DEP_1) | instskip(NEXT) | instid1(VALU_DEP_1)
	v_lshlrev_b32_e32 v5, v5, v8
	v_cmp_ne_u32_e32 vcc_lo, v5, v7
	v_lshl_or_b32 v7, v6, 12, v2
	v_cndmask_b32_e64 v5, 0, 1, vcc_lo
	v_cmp_gt_i32_e32 vcc_lo, 1, v6
	s_delay_alu instid0(VALU_DEP_2) | instskip(NEXT) | instid1(VALU_DEP_1)
	v_or_b32_e32 v5, v8, v5
	v_cndmask_b32_e32 v5, v7, v5, vcc_lo
	s_delay_alu instid0(VALU_DEP_1) | instskip(NEXT) | instid1(VALU_DEP_1)
	v_dual_lshrrev_b32 v5, 2, v5 :: v_dual_bitop2_b32 v7, 7, v5 bitop3:0x40
	v_cmp_lt_i32_e32 vcc_lo, 5, v7
	v_cndmask_b32_e64 v8, 0, 1, vcc_lo
	v_cmp_eq_u32_e32 vcc_lo, 3, v7
	v_cndmask_b32_e64 v7, 0, 1, vcc_lo
	v_cmp_ne_u32_e32 vcc_lo, 0, v2
	s_delay_alu instid0(VALU_DEP_2) | instskip(NEXT) | instid1(VALU_DEP_1)
	v_or_b32_e32 v7, v7, v8
	v_dual_mov_b32 v8, 0x7e00 :: v_dual_add_nc_u32 v5, v5, v7
	s_delay_alu instid0(VALU_DEP_1) | instskip(SKIP_1) | instid1(VALU_DEP_3)
	v_cndmask_b32_e32 v2, 0x7c00, v8, vcc_lo
	v_cmp_gt_i32_e32 vcc_lo, 31, v6
	v_cndmask_b32_e32 v5, 0x7c00, v5, vcc_lo
	v_cmp_eq_u32_e32 vcc_lo, 0x40f, v6
	s_delay_alu instid0(VALU_DEP_2) | instskip(NEXT) | instid1(VALU_DEP_1)
	v_cndmask_b32_e32 v2, v5, v2, vcc_lo
	v_and_or_b32 v5, 0x8000, v3, v2
	s_branch .LBB230_912
.LBB230_908:
                                        ; implicit-def: $vgpr5
	s_branch .LBB230_929
.LBB230_909:
                                        ; implicit-def: $vgpr5
	s_branch .LBB230_918
.LBB230_910:
	s_mov_b32 s17, -1
                                        ; implicit-def: $vgpr5
	s_branch .LBB230_915
.LBB230_911:
	s_mov_b32 s17, -1
                                        ; implicit-def: $vgpr5
.LBB230_912:
	s_delay_alu instid0(SALU_CYCLE_1)
	s_and_not1_b32 vcc_lo, exec_lo, s17
	s_cbranch_vccnz .LBB230_914
; %bb.913:
	s_wait_loadcnt 0x0
	global_load_b32 v2, v[0:1], off
	s_wait_loadcnt 0x0
	v_cvt_f16_f32_e32 v5, v2
.LBB230_914:
	s_mov_b32 s17, 0
.LBB230_915:
	s_delay_alu instid0(SALU_CYCLE_1)
	s_and_not1_b32 vcc_lo, exec_lo, s17
	s_cbranch_vccnz .LBB230_917
; %bb.916:
	global_load_b32 v5, v[0:1], off
.LBB230_917:
	s_cbranch_execnz .LBB230_928
.LBB230_918:
	s_sext_i32_i16 s17, s12
	s_delay_alu instid0(SALU_CYCLE_1)
	s_cmp_lt_i32 s17, 6
	s_cbranch_scc1 .LBB230_921
; %bb.919:
	s_cmp_gt_i32 s17, 6
	s_cbranch_scc0 .LBB230_922
; %bb.920:
	s_wait_loadcnt 0x0
	global_load_b64 v[2:3], v[0:1], off
	s_mov_b32 s17, 0
	s_wait_loadcnt 0x0
	v_and_or_b32 v2, 0x1ff, v3, v2
	v_lshrrev_b32_e32 v5, 8, v3
	v_bfe_u32 v6, v3, 20, 11
	v_lshrrev_b32_e32 v3, 16, v3
	s_delay_alu instid0(VALU_DEP_4) | instskip(NEXT) | instid1(VALU_DEP_3)
	v_cmp_ne_u32_e32 vcc_lo, 0, v2
	v_sub_nc_u32_e32 v7, 0x3f1, v6
	v_add_nc_u32_e32 v6, 0xfffffc10, v6
	v_cndmask_b32_e64 v2, 0, 1, vcc_lo
	s_delay_alu instid0(VALU_DEP_1) | instskip(NEXT) | instid1(VALU_DEP_4)
	v_and_or_b32 v2, 0xffe, v5, v2
	v_med3_i32 v5, v7, 0, 13
	s_delay_alu instid0(VALU_DEP_2) | instskip(NEXT) | instid1(VALU_DEP_1)
	v_or_b32_e32 v7, 0x1000, v2
	v_lshrrev_b32_e32 v8, v5, v7
	s_delay_alu instid0(VALU_DEP_1) | instskip(NEXT) | instid1(VALU_DEP_1)
	v_lshlrev_b32_e32 v5, v5, v8
	v_cmp_ne_u32_e32 vcc_lo, v5, v7
	v_lshl_or_b32 v7, v6, 12, v2
	v_cndmask_b32_e64 v5, 0, 1, vcc_lo
	v_cmp_gt_i32_e32 vcc_lo, 1, v6
	s_delay_alu instid0(VALU_DEP_2) | instskip(NEXT) | instid1(VALU_DEP_1)
	v_or_b32_e32 v5, v8, v5
	v_cndmask_b32_e32 v5, v7, v5, vcc_lo
	s_delay_alu instid0(VALU_DEP_1) | instskip(NEXT) | instid1(VALU_DEP_1)
	v_dual_lshrrev_b32 v5, 2, v5 :: v_dual_bitop2_b32 v7, 7, v5 bitop3:0x40
	v_cmp_lt_i32_e32 vcc_lo, 5, v7
	v_cndmask_b32_e64 v8, 0, 1, vcc_lo
	v_cmp_eq_u32_e32 vcc_lo, 3, v7
	v_cndmask_b32_e64 v7, 0, 1, vcc_lo
	v_cmp_ne_u32_e32 vcc_lo, 0, v2
	s_delay_alu instid0(VALU_DEP_2) | instskip(NEXT) | instid1(VALU_DEP_1)
	v_or_b32_e32 v7, v7, v8
	v_dual_mov_b32 v8, 0x7e00 :: v_dual_add_nc_u32 v5, v5, v7
	s_delay_alu instid0(VALU_DEP_1) | instskip(SKIP_1) | instid1(VALU_DEP_3)
	v_cndmask_b32_e32 v2, 0x7c00, v8, vcc_lo
	v_cmp_gt_i32_e32 vcc_lo, 31, v6
	v_cndmask_b32_e32 v5, 0x7c00, v5, vcc_lo
	v_cmp_eq_u32_e32 vcc_lo, 0x40f, v6
	s_delay_alu instid0(VALU_DEP_2) | instskip(NEXT) | instid1(VALU_DEP_1)
	v_cndmask_b32_e32 v2, v5, v2, vcc_lo
	v_and_or_b32 v5, 0x8000, v3, v2
	s_branch .LBB230_923
.LBB230_921:
	s_mov_b32 s17, -1
                                        ; implicit-def: $vgpr5
	s_branch .LBB230_926
.LBB230_922:
	s_mov_b32 s17, -1
                                        ; implicit-def: $vgpr5
.LBB230_923:
	s_delay_alu instid0(SALU_CYCLE_1)
	s_and_not1_b32 vcc_lo, exec_lo, s17
	s_cbranch_vccnz .LBB230_925
; %bb.924:
	s_wait_loadcnt 0x0
	global_load_b32 v2, v[0:1], off
	s_wait_loadcnt 0x0
	v_cvt_f16_f32_e32 v5, v2
.LBB230_925:
	s_mov_b32 s17, 0
.LBB230_926:
	s_delay_alu instid0(SALU_CYCLE_1)
	s_and_not1_b32 vcc_lo, exec_lo, s17
	s_cbranch_vccnz .LBB230_928
; %bb.927:
	s_wait_loadcnt 0x0
	global_load_u16 v5, v[0:1], off
.LBB230_928:
	s_cbranch_execnz .LBB230_947
.LBB230_929:
	s_sext_i32_i16 s17, s12
	s_delay_alu instid0(SALU_CYCLE_1)
	s_cmp_lt_i32 s17, 2
	s_cbranch_scc1 .LBB230_933
; %bb.930:
	s_cmp_lt_i32 s17, 3
	s_cbranch_scc1 .LBB230_934
; %bb.931:
	s_cmp_gt_i32 s17, 3
	s_cbranch_scc0 .LBB230_935
; %bb.932:
	s_wait_loadcnt 0x0
	global_load_b64 v[2:3], v[0:1], off
	s_mov_b32 s17, 0
	s_wait_loadcnt 0x0
	v_xor_b32_e32 v5, v2, v3
	v_cls_i32_e32 v6, v3
	s_delay_alu instid0(VALU_DEP_2) | instskip(NEXT) | instid1(VALU_DEP_1)
	v_ashrrev_i32_e32 v5, 31, v5
	v_add_nc_u32_e32 v5, 32, v5
	s_delay_alu instid0(VALU_DEP_1) | instskip(NEXT) | instid1(VALU_DEP_1)
	v_add_min_u32_e64 v5, v6, -1, v5
	v_lshlrev_b64_e32 v[2:3], v5, v[2:3]
	s_delay_alu instid0(VALU_DEP_1) | instskip(NEXT) | instid1(VALU_DEP_1)
	v_min_u32_e32 v2, 1, v2
	v_dual_sub_nc_u32 v3, 32, v5 :: v_dual_bitop2_b32 v2, v3, v2 bitop3:0x54
	s_delay_alu instid0(VALU_DEP_1) | instskip(NEXT) | instid1(VALU_DEP_1)
	v_cvt_f32_i32_e32 v2, v2
	v_ldexp_f32 v2, v2, v3
	s_delay_alu instid0(VALU_DEP_1)
	v_cvt_f16_f32_e32 v5, v2
	s_branch .LBB230_936
.LBB230_933:
                                        ; implicit-def: $vgpr5
	s_branch .LBB230_942
.LBB230_934:
	s_mov_b32 s17, -1
                                        ; implicit-def: $vgpr5
	s_branch .LBB230_939
.LBB230_935:
	s_mov_b32 s17, -1
                                        ; implicit-def: $vgpr5
.LBB230_936:
	s_delay_alu instid0(SALU_CYCLE_1)
	s_and_not1_b32 vcc_lo, exec_lo, s17
	s_cbranch_vccnz .LBB230_938
; %bb.937:
	s_wait_loadcnt 0x0
	global_load_b32 v2, v[0:1], off
	s_wait_loadcnt 0x0
	v_cvt_f32_i32_e32 v2, v2
	s_delay_alu instid0(VALU_DEP_1)
	v_cvt_f16_f32_e32 v5, v2
.LBB230_938:
	s_mov_b32 s17, 0
.LBB230_939:
	s_delay_alu instid0(SALU_CYCLE_1)
	s_and_not1_b32 vcc_lo, exec_lo, s17
	s_cbranch_vccnz .LBB230_941
; %bb.940:
	s_wait_loadcnt 0x0
	global_load_u16 v2, v[0:1], off
	s_wait_loadcnt 0x0
	v_cvt_f16_i16_e32 v5, v2
.LBB230_941:
	s_cbranch_execnz .LBB230_947
.LBB230_942:
	s_sext_i32_i16 s17, s12
	s_delay_alu instid0(SALU_CYCLE_1)
	s_cmp_gt_i32 s17, 0
	s_mov_b32 s17, 0
	s_cbranch_scc0 .LBB230_944
; %bb.943:
	s_wait_loadcnt 0x0
	global_load_i8 v2, v[0:1], off
	s_wait_loadcnt 0x0
	v_cvt_f16_i16_e32 v5, v2
	s_branch .LBB230_945
.LBB230_944:
	s_mov_b32 s17, -1
                                        ; implicit-def: $vgpr5
.LBB230_945:
	s_delay_alu instid0(SALU_CYCLE_1)
	s_and_not1_b32 vcc_lo, exec_lo, s17
	s_cbranch_vccnz .LBB230_947
; %bb.946:
	global_load_u8 v0, v[0:1], off
	s_wait_loadcnt 0x0
	v_cvt_f16_u16_e32 v5, v0
.LBB230_947:
	s_or_b32 s0, s0, exec_lo
.LBB230_948:
	s_wait_xcnt 0x0
	s_or_b32 exec_lo, exec_lo, s16
	s_mov_b32 s19, 0
	s_mov_b32 s18, 0
                                        ; implicit-def: $sgpr16
                                        ; implicit-def: $vgpr0_vgpr1
	s_and_saveexec_b32 s17, s0
	s_cbranch_execz .LBB230_955
; %bb.949:
	s_mov_b32 s0, exec_lo
	s_wait_loadcnt 0x0
	v_cmpx_o_f16_e32 v5, v5
	s_cbranch_execz .LBB230_963
; %bb.950:
	v_cvt_f32_f16_e32 v0, v5
	s_cmp_lt_i32 s10, 1
	s_mov_b32 s16, 0
	s_cbranch_scc1 .LBB230_958
; %bb.951:
	s_cmp_eq_u32 s10, 1
	s_cbranch_scc0 .LBB230_959
; %bb.952:
	v_max_num_f32_e64 v1, s11, s11
	v_max_num_f32_e32 v2, v0, v0
	s_delay_alu instid0(VALU_DEP_1) | instskip(NEXT) | instid1(VALU_DEP_1)
	v_min_num_f32_e32 v1, v2, v1
	v_cvt_f16_f32_e32 v5, v1
	s_and_b32 vcc_lo, exec_lo, s19
	s_cbranch_vccnz .LBB230_960
.LBB230_953:
	v_max_num_f32_e32 v0, v0, v0
	s_and_not1_b32 vcc_lo, exec_lo, s18
	s_cbranch_vccnz .LBB230_961
.LBB230_954:
	v_max_num_f32_e64 v1, s11, s11
	v_max_num_f32_e64 v2, s2, s2
	s_delay_alu instid0(VALU_DEP_1) | instskip(NEXT) | instid1(VALU_DEP_1)
	v_maxmin_num_f32 v1, v0, v1, v2
	v_cvt_f16_f32_e32 v5, v1
	s_cbranch_execz .LBB230_962
	s_branch .LBB230_963
.LBB230_955:
	s_or_b32 exec_lo, exec_lo, s17
	s_and_saveexec_b32 s0, s14
	s_cbranch_execnz .LBB230_1040
.LBB230_956:
	s_or_b32 exec_lo, exec_lo, s0
	s_and_saveexec_b32 s0, s19
	s_delay_alu instid0(SALU_CYCLE_1)
	s_xor_b32 s0, exec_lo, s0
	s_cbranch_execz .LBB230_1041
.LBB230_957:
	s_wait_loadcnt 0x0
	v_and_b32_e32 v2, 0x7fff, v5
	s_delay_alu instid0(VALU_DEP_1)
	v_cmp_ne_u16_e32 vcc_lo, 0, v2
	v_cndmask_b32_e64 v2, 0, 1, vcc_lo
	global_store_b8 v[0:1], v2, off
	s_wait_xcnt 0x0
	s_or_b32 exec_lo, exec_lo, s0
	s_and_saveexec_b32 s0, s18
	s_delay_alu instid0(SALU_CYCLE_1)
	s_xor_b32 s0, exec_lo, s0
	s_cbranch_execz .LBB230_1079
	s_branch .LBB230_1042
.LBB230_958:
                                        ; implicit-def: $vgpr5
	s_cbranch_execnz .LBB230_960
	s_branch .LBB230_953
.LBB230_959:
	s_mov_b32 s18, -1
                                        ; implicit-def: $vgpr5
	s_and_b32 vcc_lo, exec_lo, s19
	s_cbranch_vccz .LBB230_953
.LBB230_960:
	s_cmp_lg_u32 s10, 0
	s_mov_b32 s16, -1
	s_cselect_b32 s18, -1, 0
	v_max_num_f32_e32 v0, v0, v0
	s_and_not1_b32 vcc_lo, exec_lo, s18
	s_cbranch_vccz .LBB230_954
.LBB230_961:
	s_and_not1_b32 vcc_lo, exec_lo, s16
	s_cbranch_vccnz .LBB230_963
.LBB230_962:
	v_max_num_f32_e64 v1, s11, s11
	s_delay_alu instid0(VALU_DEP_1) | instskip(NEXT) | instid1(VALU_DEP_1)
	v_max_num_f32_e32 v0, v0, v1
	v_cvt_f16_f32_e32 v5, v0
.LBB230_963:
	s_or_b32 exec_lo, exec_lo, s0
	v_mul_lo_u32 v0, v4, s8
	s_and_b32 s16, s3, 0xff
	s_delay_alu instid0(SALU_CYCLE_1) | instskip(NEXT) | instid1(VALU_DEP_1)
	s_cmp_lt_i32 s16, 11
	v_ashrrev_i32_e32 v1, 31, v0
	s_delay_alu instid0(VALU_DEP_1)
	v_add_nc_u64_e32 v[0:1], s[4:5], v[0:1]
	s_cbranch_scc1 .LBB230_970
; %bb.964:
	s_and_b32 s18, 0xffff, s16
	s_mov_b32 s19, -1
	s_cmp_gt_i32 s18, 25
	s_mov_b32 s0, s14
	s_cbranch_scc0 .LBB230_998
; %bb.965:
	s_cmp_gt_i32 s18, 28
	s_mov_b32 s0, s14
	s_cbranch_scc0 .LBB230_982
; %bb.966:
	;; [unrolled: 4-line block ×4, first 2 shown]
	s_cmp_eq_u32 s18, 46
	s_mov_b32 s0, -1
	s_cbranch_scc0 .LBB230_971
; %bb.969:
	v_cvt_f32_f16_e32 v2, v5
	v_cmp_o_f16_e32 vcc_lo, v5, v5
	s_mov_b32 s0, 0
	s_mov_b32 s19, 0
	s_delay_alu instid0(VALU_DEP_2) | instskip(NEXT) | instid1(VALU_DEP_1)
	v_bfe_u32 v3, v2, 16, 1
	v_add3_u32 v2, v2, v3, 0x7fff
	s_delay_alu instid0(VALU_DEP_1) | instskip(NEXT) | instid1(VALU_DEP_1)
	v_lshrrev_b32_e32 v2, 16, v2
	v_cndmask_b32_e32 v2, 0x7fc0, v2, vcc_lo
	global_store_b32 v[0:1], v2, off
	s_branch .LBB230_972
.LBB230_970:
	s_mov_b32 s20, 0
	s_mov_b32 s19, -1
	s_mov_b32 s0, s14
	s_branch .LBB230_1039
.LBB230_971:
	s_mov_b32 s19, 0
.LBB230_972:
	s_delay_alu instid0(SALU_CYCLE_1)
	s_and_b32 vcc_lo, exec_lo, s19
	s_cbranch_vccz .LBB230_977
; %bb.973:
	s_cmp_eq_u32 s18, 44
	s_mov_b32 s0, -1
	s_cbranch_scc0 .LBB230_977
; %bb.974:
	s_wait_xcnt 0x0
	v_cvt_f32_f16_e32 v2, v5
	v_mov_b32_e32 v3, 0xff
	s_mov_b32 s19, exec_lo
	s_delay_alu instid0(VALU_DEP_2) | instskip(NEXT) | instid1(VALU_DEP_1)
	v_bfe_u32 v4, v2, 23, 8
	v_cmpx_ne_u32_e32 0xff, v4
	s_cbranch_execz .LBB230_976
; %bb.975:
	v_and_b32_e32 v3, 0x400000, v2
	v_and_or_b32 v4, 0x3fffff, v2, v4
	v_lshrrev_b32_e32 v2, 23, v2
	s_delay_alu instid0(VALU_DEP_3) | instskip(NEXT) | instid1(VALU_DEP_3)
	v_cmp_ne_u32_e32 vcc_lo, 0, v3
	v_cmp_ne_u32_e64 s0, 0, v4
	s_and_b32 s0, vcc_lo, s0
	s_delay_alu instid0(SALU_CYCLE_1) | instskip(NEXT) | instid1(VALU_DEP_1)
	v_cndmask_b32_e64 v3, 0, 1, s0
	v_add_nc_u32_e32 v3, v2, v3
.LBB230_976:
	s_or_b32 exec_lo, exec_lo, s19
	s_mov_b32 s0, 0
	global_store_b8 v[0:1], v3, off
.LBB230_977:
	s_mov_b32 s19, 0
.LBB230_978:
	s_delay_alu instid0(SALU_CYCLE_1)
	s_and_b32 vcc_lo, exec_lo, s19
	s_cbranch_vccz .LBB230_981
; %bb.979:
	s_cmp_eq_u32 s18, 29
	s_mov_b32 s0, -1
	s_cbranch_scc0 .LBB230_981
; %bb.980:
	s_wait_xcnt 0x0
	v_cvt_f32_f16_e32 v2, v5
	v_mov_b32_e32 v3, 0
	s_mov_b32 s0, 0
	s_mov_b32 s19, 0
	s_delay_alu instid0(VALU_DEP_2)
	v_cvt_u32_f32_e32 v2, v2
	global_store_b64 v[0:1], v[2:3], off
	s_branch .LBB230_982
.LBB230_981:
	s_mov_b32 s19, 0
.LBB230_982:
	s_delay_alu instid0(SALU_CYCLE_1)
	s_and_b32 vcc_lo, exec_lo, s19
	s_cbranch_vccz .LBB230_997
; %bb.983:
	s_cmp_lt_i32 s18, 27
	s_mov_b32 s19, -1
	s_cbranch_scc1 .LBB230_989
; %bb.984:
	s_cmp_gt_i32 s18, 27
	s_cbranch_scc0 .LBB230_986
; %bb.985:
	s_wait_xcnt 0x0
	v_cvt_f32_f16_e32 v2, v5
	s_mov_b32 s19, 0
	s_delay_alu instid0(VALU_DEP_1)
	v_cvt_u32_f32_e32 v2, v2
	global_store_b32 v[0:1], v2, off
.LBB230_986:
	s_and_not1_b32 vcc_lo, exec_lo, s19
	s_cbranch_vccnz .LBB230_988
; %bb.987:
	s_wait_xcnt 0x0
	v_cvt_u16_f16_e32 v2, v5
	global_store_b16 v[0:1], v2, off
.LBB230_988:
	s_mov_b32 s19, 0
.LBB230_989:
	s_delay_alu instid0(SALU_CYCLE_1)
	s_and_not1_b32 vcc_lo, exec_lo, s19
	s_cbranch_vccnz .LBB230_997
; %bb.990:
	s_wait_xcnt 0x0
	v_cvt_f32_f16_e32 v2, v5
	v_mov_b32_e32 v4, 0x80
	s_mov_b32 s19, exec_lo
	s_delay_alu instid0(VALU_DEP_2) | instskip(NEXT) | instid1(VALU_DEP_1)
	v_and_b32_e32 v3, 0x7fffffff, v2
	v_cmpx_gt_u32_e32 0x43800000, v3
	s_cbranch_execz .LBB230_996
; %bb.991:
	v_cmp_lt_u32_e32 vcc_lo, 0x3bffffff, v3
	s_mov_b32 s20, 0
                                        ; implicit-def: $vgpr3
	s_and_saveexec_b32 s21, vcc_lo
	s_delay_alu instid0(SALU_CYCLE_1)
	s_xor_b32 s21, exec_lo, s21
	s_cbranch_execz .LBB230_1094
; %bb.992:
	v_bfe_u32 v3, v2, 20, 1
	s_mov_b32 s20, exec_lo
	s_delay_alu instid0(VALU_DEP_1) | instskip(NEXT) | instid1(VALU_DEP_1)
	v_add3_u32 v3, v2, v3, 0x487ffff
	v_lshrrev_b32_e32 v3, 20, v3
	s_and_not1_saveexec_b32 s21, s21
	s_cbranch_execnz .LBB230_1095
.LBB230_993:
	s_or_b32 exec_lo, exec_lo, s21
	v_mov_b32_e32 v4, 0
	s_and_saveexec_b32 s21, s20
.LBB230_994:
	v_lshrrev_b32_e32 v2, 24, v2
	s_delay_alu instid0(VALU_DEP_1)
	v_and_or_b32 v4, 0x80, v2, v3
.LBB230_995:
	s_or_b32 exec_lo, exec_lo, s21
.LBB230_996:
	s_delay_alu instid0(SALU_CYCLE_1)
	s_or_b32 exec_lo, exec_lo, s19
	global_store_b8 v[0:1], v4, off
.LBB230_997:
	s_mov_b32 s19, 0
.LBB230_998:
	s_delay_alu instid0(SALU_CYCLE_1)
	s_and_b32 vcc_lo, exec_lo, s19
	s_mov_b32 s19, 0
	s_cbranch_vccz .LBB230_1038
; %bb.999:
	s_cmp_gt_i32 s18, 22
	s_mov_b32 s20, -1
	s_cbranch_scc0 .LBB230_1031
; %bb.1000:
	s_cmp_lt_i32 s18, 24
	s_cbranch_scc1 .LBB230_1020
; %bb.1001:
	s_cmp_gt_i32 s18, 24
	s_cbranch_scc0 .LBB230_1009
; %bb.1002:
	s_wait_xcnt 0x0
	v_cvt_f32_f16_e32 v2, v5
	v_mov_b32_e32 v4, 0x80
	s_mov_b32 s20, exec_lo
	s_delay_alu instid0(VALU_DEP_2) | instskip(NEXT) | instid1(VALU_DEP_1)
	v_and_b32_e32 v3, 0x7fffffff, v2
	v_cmpx_gt_u32_e32 0x47800000, v3
	s_cbranch_execz .LBB230_1008
; %bb.1003:
	v_cmp_lt_u32_e32 vcc_lo, 0x37ffffff, v3
	s_mov_b32 s21, 0
                                        ; implicit-def: $vgpr3
	s_and_saveexec_b32 s22, vcc_lo
	s_delay_alu instid0(SALU_CYCLE_1)
	s_xor_b32 s22, exec_lo, s22
	s_cbranch_execz .LBB230_1232
; %bb.1004:
	v_bfe_u32 v3, v2, 21, 1
	s_mov_b32 s21, exec_lo
	s_delay_alu instid0(VALU_DEP_1) | instskip(NEXT) | instid1(VALU_DEP_1)
	v_add3_u32 v3, v2, v3, 0x88fffff
	v_lshrrev_b32_e32 v3, 21, v3
	s_and_not1_saveexec_b32 s22, s22
	s_cbranch_execnz .LBB230_1233
.LBB230_1005:
	s_or_b32 exec_lo, exec_lo, s22
	v_mov_b32_e32 v4, 0
	s_and_saveexec_b32 s22, s21
.LBB230_1006:
	v_lshrrev_b32_e32 v2, 24, v2
	s_delay_alu instid0(VALU_DEP_1)
	v_and_or_b32 v4, 0x80, v2, v3
.LBB230_1007:
	s_or_b32 exec_lo, exec_lo, s22
.LBB230_1008:
	s_delay_alu instid0(SALU_CYCLE_1)
	s_or_b32 exec_lo, exec_lo, s20
	s_mov_b32 s20, 0
	global_store_b8 v[0:1], v4, off
.LBB230_1009:
	s_and_b32 vcc_lo, exec_lo, s20
	s_cbranch_vccz .LBB230_1019
; %bb.1010:
	s_wait_xcnt 0x0
	v_cvt_f32_f16_e32 v2, v5
	s_mov_b32 s20, exec_lo
                                        ; implicit-def: $vgpr3
	s_delay_alu instid0(VALU_DEP_1) | instskip(NEXT) | instid1(VALU_DEP_1)
	v_and_b32_e32 v4, 0x7fffffff, v2
	v_cmpx_gt_u32_e32 0x43f00000, v4
	s_xor_b32 s20, exec_lo, s20
	s_cbranch_execz .LBB230_1016
; %bb.1011:
	s_mov_b32 s21, exec_lo
                                        ; implicit-def: $vgpr3
	v_cmpx_lt_u32_e32 0x3c7fffff, v4
	s_xor_b32 s21, exec_lo, s21
; %bb.1012:
	v_bfe_u32 v3, v2, 20, 1
	s_delay_alu instid0(VALU_DEP_1) | instskip(NEXT) | instid1(VALU_DEP_1)
	v_add3_u32 v3, v2, v3, 0x407ffff
	v_and_b32_e32 v4, 0xff00000, v3
	v_lshrrev_b32_e32 v3, 20, v3
	s_delay_alu instid0(VALU_DEP_2) | instskip(NEXT) | instid1(VALU_DEP_2)
	v_cmp_ne_u32_e32 vcc_lo, 0x7f00000, v4
	v_cndmask_b32_e32 v3, 0x7e, v3, vcc_lo
; %bb.1013:
	s_and_not1_saveexec_b32 s21, s21
; %bb.1014:
	v_add_f32_e64 v3, 0x46800000, |v2|
; %bb.1015:
	s_or_b32 exec_lo, exec_lo, s21
                                        ; implicit-def: $vgpr4
.LBB230_1016:
	s_and_not1_saveexec_b32 s20, s20
; %bb.1017:
	v_mov_b32_e32 v3, 0x7f
	v_cmp_lt_u32_e32 vcc_lo, 0x7f800000, v4
	s_delay_alu instid0(VALU_DEP_2)
	v_cndmask_b32_e32 v3, 0x7e, v3, vcc_lo
; %bb.1018:
	s_or_b32 exec_lo, exec_lo, s20
	v_lshrrev_b32_e32 v2, 24, v2
	s_delay_alu instid0(VALU_DEP_1)
	v_and_or_b32 v2, 0x80, v2, v3
	global_store_b8 v[0:1], v2, off
.LBB230_1019:
	s_mov_b32 s20, 0
.LBB230_1020:
	s_delay_alu instid0(SALU_CYCLE_1)
	s_and_not1_b32 vcc_lo, exec_lo, s20
	s_cbranch_vccnz .LBB230_1030
; %bb.1021:
	s_wait_xcnt 0x0
	v_cvt_f32_f16_e32 v2, v5
	s_mov_b32 s20, exec_lo
                                        ; implicit-def: $vgpr3
	s_delay_alu instid0(VALU_DEP_1) | instskip(NEXT) | instid1(VALU_DEP_1)
	v_and_b32_e32 v4, 0x7fffffff, v2
	v_cmpx_gt_u32_e32 0x47800000, v4
	s_xor_b32 s20, exec_lo, s20
	s_cbranch_execz .LBB230_1027
; %bb.1022:
	s_mov_b32 s21, exec_lo
                                        ; implicit-def: $vgpr3
	v_cmpx_lt_u32_e32 0x387fffff, v4
	s_xor_b32 s21, exec_lo, s21
; %bb.1023:
	v_bfe_u32 v3, v2, 21, 1
	s_delay_alu instid0(VALU_DEP_1) | instskip(NEXT) | instid1(VALU_DEP_1)
	v_add3_u32 v3, v2, v3, 0x80fffff
	v_lshrrev_b32_e32 v3, 21, v3
; %bb.1024:
	s_and_not1_saveexec_b32 s21, s21
; %bb.1025:
	v_add_f32_e64 v3, 0x43000000, |v2|
; %bb.1026:
	s_or_b32 exec_lo, exec_lo, s21
                                        ; implicit-def: $vgpr4
.LBB230_1027:
	s_and_not1_saveexec_b32 s20, s20
; %bb.1028:
	v_mov_b32_e32 v3, 0x7f
	v_cmp_lt_u32_e32 vcc_lo, 0x7f800000, v4
	s_delay_alu instid0(VALU_DEP_2)
	v_cndmask_b32_e32 v3, 0x7c, v3, vcc_lo
; %bb.1029:
	s_or_b32 exec_lo, exec_lo, s20
	v_lshrrev_b32_e32 v2, 24, v2
	s_delay_alu instid0(VALU_DEP_1)
	v_and_or_b32 v2, 0x80, v2, v3
	global_store_b8 v[0:1], v2, off
.LBB230_1030:
	s_mov_b32 s20, 0
.LBB230_1031:
	s_delay_alu instid0(SALU_CYCLE_1)
	s_and_not1_b32 vcc_lo, exec_lo, s20
	s_mov_b32 s20, 0
	s_cbranch_vccnz .LBB230_1039
; %bb.1032:
	s_cmp_gt_i32 s18, 14
	s_mov_b32 s20, -1
	s_cbranch_scc0 .LBB230_1036
; %bb.1033:
	s_cmp_eq_u32 s18, 15
	s_mov_b32 s0, -1
	s_cbranch_scc0 .LBB230_1035
; %bb.1034:
	s_wait_xcnt 0x0
	v_cvt_f32_f16_e32 v2, v5
	v_cmp_o_f16_e32 vcc_lo, v5, v5
	s_mov_b32 s0, 0
	s_delay_alu instid0(VALU_DEP_2) | instskip(NEXT) | instid1(VALU_DEP_1)
	v_bfe_u32 v3, v2, 16, 1
	v_add3_u32 v2, v2, v3, 0x7fff
	s_delay_alu instid0(VALU_DEP_1) | instskip(NEXT) | instid1(VALU_DEP_1)
	v_lshrrev_b32_e32 v2, 16, v2
	v_cndmask_b32_e32 v2, 0x7fc0, v2, vcc_lo
	global_store_b16 v[0:1], v2, off
.LBB230_1035:
	s_mov_b32 s20, 0
.LBB230_1036:
	s_delay_alu instid0(SALU_CYCLE_1)
	s_and_b32 vcc_lo, exec_lo, s20
	s_mov_b32 s20, 0
	s_cbranch_vccz .LBB230_1039
; %bb.1037:
	s_cmp_lg_u32 s18, 11
	s_mov_b32 s20, -1
	s_cselect_b32 s18, -1, 0
	s_and_not1_b32 s0, s0, exec_lo
	s_and_b32 s18, s18, exec_lo
	s_delay_alu instid0(SALU_CYCLE_1)
	s_or_b32 s0, s0, s18
	s_branch .LBB230_1039
.LBB230_1038:
	s_mov_b32 s20, 0
.LBB230_1039:
	s_and_not1_b32 s14, s14, exec_lo
	s_and_b32 s0, s0, exec_lo
	s_and_b32 s18, s19, exec_lo
	;; [unrolled: 1-line block ×3, first 2 shown]
	s_or_b32 s14, s14, s0
	s_wait_xcnt 0x0
	s_or_b32 exec_lo, exec_lo, s17
	s_and_saveexec_b32 s0, s14
	s_cbranch_execz .LBB230_956
.LBB230_1040:
	s_or_b32 s15, s15, exec_lo
	s_and_not1_b32 s19, s19, exec_lo
	s_trap 2
	s_or_b32 exec_lo, exec_lo, s0
	s_and_saveexec_b32 s0, s19
	s_delay_alu instid0(SALU_CYCLE_1)
	s_xor_b32 s0, exec_lo, s0
	s_cbranch_execnz .LBB230_957
.LBB230_1041:
	s_or_b32 exec_lo, exec_lo, s0
	s_and_saveexec_b32 s0, s18
	s_delay_alu instid0(SALU_CYCLE_1)
	s_xor_b32 s0, exec_lo, s0
	s_cbranch_execz .LBB230_1079
.LBB230_1042:
	s_sext_i32_i16 s17, s16
	s_mov_b32 s14, -1
	s_cmp_lt_i32 s17, 5
	s_cbranch_scc1 .LBB230_1063
; %bb.1043:
	s_cmp_lt_i32 s17, 8
	s_cbranch_scc1 .LBB230_1053
; %bb.1044:
	;; [unrolled: 3-line block ×3, first 2 shown]
	s_wait_loadcnt 0x0
	v_cvt_f32_f16_e32 v2, v5
	s_cmp_gt_i32 s17, 9
	s_cbranch_scc0 .LBB230_1047
; %bb.1046:
	s_delay_alu instid0(VALU_DEP_1) | instskip(SKIP_2) | instid1(VALU_DEP_1)
	v_cvt_f64_f32_e32 v[6:7], v2
	v_mov_b32_e32 v8, 0
	s_mov_b32 s14, 0
	v_mov_b32_e32 v9, v8
	global_store_b128 v[0:1], v[6:9], off
.LBB230_1047:
	s_and_not1_b32 vcc_lo, exec_lo, s14
	s_cbranch_vccnz .LBB230_1049
; %bb.1048:
	v_mov_b32_e32 v3, 0
	global_store_b64 v[0:1], v[2:3], off
.LBB230_1049:
	s_mov_b32 s14, 0
.LBB230_1050:
	s_delay_alu instid0(SALU_CYCLE_1)
	s_and_not1_b32 vcc_lo, exec_lo, s14
	s_cbranch_vccnz .LBB230_1052
; %bb.1051:
	s_wait_loadcnt 0x0
	v_and_b32_e32 v2, 0xffff, v5
	global_store_b32 v[0:1], v2, off
.LBB230_1052:
	s_mov_b32 s14, 0
.LBB230_1053:
	s_delay_alu instid0(SALU_CYCLE_1)
	s_and_not1_b32 vcc_lo, exec_lo, s14
	s_cbranch_vccnz .LBB230_1062
; %bb.1054:
	s_sext_i32_i16 s17, s16
	s_mov_b32 s14, -1
	s_cmp_lt_i32 s17, 6
	s_cbranch_scc1 .LBB230_1060
; %bb.1055:
	s_wait_loadcnt 0x0
	v_cvt_f32_f16_e32 v2, v5
	s_cmp_gt_i32 s17, 6
	s_cbranch_scc0 .LBB230_1057
; %bb.1056:
	s_delay_alu instid0(VALU_DEP_1)
	v_cvt_f64_f32_e32 v[6:7], v2
	s_mov_b32 s14, 0
	global_store_b64 v[0:1], v[6:7], off
.LBB230_1057:
	s_and_not1_b32 vcc_lo, exec_lo, s14
	s_cbranch_vccnz .LBB230_1059
; %bb.1058:
	global_store_b32 v[0:1], v2, off
.LBB230_1059:
	s_mov_b32 s14, 0
.LBB230_1060:
	s_delay_alu instid0(SALU_CYCLE_1)
	s_and_not1_b32 vcc_lo, exec_lo, s14
	s_cbranch_vccnz .LBB230_1062
; %bb.1061:
	s_wait_loadcnt 0x0
	global_store_b16 v[0:1], v5, off
.LBB230_1062:
	s_mov_b32 s14, 0
.LBB230_1063:
	s_delay_alu instid0(SALU_CYCLE_1)
	s_and_not1_b32 vcc_lo, exec_lo, s14
	s_cbranch_vccnz .LBB230_1079
; %bb.1064:
	s_sext_i32_i16 s17, s16
	s_mov_b32 s14, -1
	s_cmp_lt_i32 s17, 2
	s_cbranch_scc1 .LBB230_1074
; %bb.1065:
	s_cmp_lt_i32 s17, 3
	s_cbranch_scc1 .LBB230_1071
; %bb.1066:
	s_wait_loadcnt 0x0
	v_cvt_f32_f16_e32 v2, v5
	s_cmp_gt_i32 s17, 3
	s_delay_alu instid0(VALU_DEP_1)
	v_cvt_i32_f32_e32 v2, v2
	s_cbranch_scc0 .LBB230_1068
; %bb.1067:
	s_delay_alu instid0(VALU_DEP_1)
	v_ashrrev_i32_e32 v3, 31, v2
	s_mov_b32 s14, 0
	global_store_b64 v[0:1], v[2:3], off
.LBB230_1068:
	s_and_not1_b32 vcc_lo, exec_lo, s14
	s_cbranch_vccnz .LBB230_1070
; %bb.1069:
	global_store_b32 v[0:1], v2, off
.LBB230_1070:
	s_mov_b32 s14, 0
.LBB230_1071:
	s_delay_alu instid0(SALU_CYCLE_1)
	s_and_not1_b32 vcc_lo, exec_lo, s14
	s_cbranch_vccnz .LBB230_1073
; %bb.1072:
	s_wait_loadcnt 0x0
	v_cvt_i16_f16_e32 v2, v5
	global_store_b16 v[0:1], v2, off
.LBB230_1073:
	s_mov_b32 s14, 0
.LBB230_1074:
	s_delay_alu instid0(SALU_CYCLE_1)
	s_and_not1_b32 vcc_lo, exec_lo, s14
	s_cbranch_vccnz .LBB230_1079
; %bb.1075:
	s_sext_i32_i16 s14, s16
	s_delay_alu instid0(SALU_CYCLE_1)
	s_cmp_gt_i32 s14, 0
	s_mov_b32 s14, -1
	s_cbranch_scc0 .LBB230_1077
; %bb.1076:
	s_wait_loadcnt 0x0
	v_cvt_i16_f16_e32 v2, v5
	s_mov_b32 s14, 0
	global_store_b8 v[0:1], v2, off
.LBB230_1077:
	s_and_not1_b32 vcc_lo, exec_lo, s14
	s_cbranch_vccnz .LBB230_1079
; %bb.1078:
	s_wait_loadcnt 0x0
	v_cvt_f32_f16_e32 v2, v5
	s_delay_alu instid0(VALU_DEP_1)
	v_cvt_i32_f32_e32 v2, v2
	global_store_b8 v[0:1], v2, off
.LBB230_1079:
	s_wait_xcnt 0x0
	s_or_b32 exec_lo, exec_lo, s0
	s_delay_alu instid0(SALU_CYCLE_1)
	s_and_b32 s14, s15, exec_lo
                                        ; implicit-def: $vgpr4
.LBB230_1080:
	s_or_saveexec_b32 s13, s13
	s_mov_b32 s0, 0
                                        ; implicit-def: $sgpr15
                                        ; implicit-def: $vgpr0_vgpr1
                                        ; implicit-def: $vgpr8
	s_xor_b32 exec_lo, exec_lo, s13
	s_cbranch_execz .LBB230_1640
; %bb.1081:
	v_mul_lo_u32 v0, s9, v4
	s_and_b32 s0, 0xffff, s12
	s_delay_alu instid0(SALU_CYCLE_1) | instskip(NEXT) | instid1(VALU_DEP_1)
	s_cmp_lt_i32 s0, 11
	v_ashrrev_i32_e32 v1, 31, v0
	s_wait_loadcnt 0x0
	s_delay_alu instid0(VALU_DEP_1)
	v_add_nc_u64_e32 v[2:3], s[6:7], v[0:1]
	s_cbranch_scc1 .LBB230_1088
; %bb.1082:
	s_cmp_gt_i32 s0, 25
	s_mov_b32 s12, 0
	s_cbranch_scc0 .LBB230_1090
; %bb.1083:
	s_cmp_gt_i32 s0, 28
	s_cbranch_scc0 .LBB230_1091
; %bb.1084:
	s_cmp_gt_i32 s0, 43
	s_cbranch_scc0 .LBB230_1092
; %bb.1085:
	s_cmp_gt_i32 s0, 45
	s_cbranch_scc0 .LBB230_1093
; %bb.1086:
	s_cmp_eq_u32 s0, 46
	s_mov_b32 s16, 0
	s_cbranch_scc0 .LBB230_1096
; %bb.1087:
	global_load_b32 v1, v[2:3], off
	s_mov_b32 s15, -1
	s_wait_loadcnt 0x0
	v_lshlrev_b32_e32 v1, 16, v1
	s_delay_alu instid0(VALU_DEP_1)
	v_cvt_f16_f32_e32 v5, v1
	s_branch .LBB230_1098
.LBB230_1088:
	s_mov_b32 s15, 0
	s_mov_b32 s1, s14
                                        ; implicit-def: $vgpr5
	s_cbranch_execnz .LBB230_1161
.LBB230_1089:
	s_and_not1_b32 vcc_lo, exec_lo, s15
	s_cbranch_vccz .LBB230_1206
	s_branch .LBB230_1638
.LBB230_1090:
	s_mov_b32 s15, 0
                                        ; implicit-def: $vgpr5
	s_cbranch_execnz .LBB230_1126
	s_branch .LBB230_1157
.LBB230_1091:
	s_mov_b32 s16, -1
	s_mov_b32 s15, 0
                                        ; implicit-def: $vgpr5
	s_branch .LBB230_1107
.LBB230_1092:
	s_mov_b32 s15, 0
                                        ; implicit-def: $vgpr5
	s_cbranch_execnz .LBB230_1103
	s_branch .LBB230_1106
.LBB230_1093:
	s_mov_b32 s16, -1
	s_branch .LBB230_1097
.LBB230_1094:
	s_and_not1_saveexec_b32 s21, s21
	s_cbranch_execz .LBB230_993
.LBB230_1095:
	v_add_f32_e64 v3, 0x46000000, |v2|
	s_and_not1_b32 s20, s20, exec_lo
	s_delay_alu instid0(VALU_DEP_1) | instskip(NEXT) | instid1(VALU_DEP_1)
	v_and_b32_e32 v3, 0xff, v3
	v_cmp_ne_u32_e32 vcc_lo, 0, v3
	s_and_b32 s22, vcc_lo, exec_lo
	s_delay_alu instid0(SALU_CYCLE_1)
	s_or_b32 s20, s20, s22
	s_or_b32 exec_lo, exec_lo, s21
	v_mov_b32_e32 v4, 0
	s_and_saveexec_b32 s21, s20
	s_cbranch_execnz .LBB230_994
	s_branch .LBB230_995
.LBB230_1096:
	s_mov_b32 s1, -1
.LBB230_1097:
	s_mov_b32 s15, 0
                                        ; implicit-def: $vgpr5
.LBB230_1098:
	s_and_b32 vcc_lo, exec_lo, s16
	s_cbranch_vccz .LBB230_1101
; %bb.1099:
	s_cmp_eq_u32 s0, 44
	s_cbranch_scc0 .LBB230_1102
; %bb.1100:
	global_load_u8 v1, v[2:3], off
	s_mov_b32 s1, 0
	s_mov_b32 s15, -1
	s_wait_loadcnt 0x0
	v_lshlrev_b32_e32 v5, 23, v1
	v_cmp_ne_u32_e32 vcc_lo, 0xff, v1
	s_delay_alu instid0(VALU_DEP_2) | instskip(NEXT) | instid1(VALU_DEP_1)
	v_cvt_f16_f32_e32 v5, v5
	v_cndmask_b32_e32 v5, 0x7e00, v5, vcc_lo
	v_cmp_ne_u32_e32 vcc_lo, 0, v1
	s_delay_alu instid0(VALU_DEP_2)
	v_cndmask_b32_e32 v5, 0, v5, vcc_lo
.LBB230_1101:
	s_branch .LBB230_1106
.LBB230_1102:
	s_mov_b32 s1, -1
                                        ; implicit-def: $vgpr5
	s_branch .LBB230_1106
.LBB230_1103:
	s_cmp_eq_u32 s0, 29
	s_cbranch_scc0 .LBB230_1105
; %bb.1104:
	global_load_b64 v[6:7], v[2:3], off
	s_mov_b32 s1, 0
	s_mov_b32 s15, -1
	s_mov_b32 s16, 0
	s_wait_loadcnt 0x0
	v_clz_i32_u32_e32 v1, v7
	s_delay_alu instid0(VALU_DEP_1) | instskip(NEXT) | instid1(VALU_DEP_1)
	v_min_u32_e32 v1, 32, v1
	v_lshlrev_b64_e32 v[6:7], v1, v[6:7]
	v_sub_nc_u32_e32 v1, 32, v1
	s_delay_alu instid0(VALU_DEP_2) | instskip(NEXT) | instid1(VALU_DEP_1)
	v_min_u32_e32 v5, 1, v6
	v_or_b32_e32 v5, v7, v5
	s_delay_alu instid0(VALU_DEP_1) | instskip(NEXT) | instid1(VALU_DEP_1)
	v_cvt_f32_u32_e32 v5, v5
	v_ldexp_f32 v1, v5, v1
	s_delay_alu instid0(VALU_DEP_1)
	v_cvt_f16_f32_e32 v5, v1
	s_branch .LBB230_1107
.LBB230_1105:
	s_mov_b32 s1, -1
                                        ; implicit-def: $vgpr5
.LBB230_1106:
	s_mov_b32 s16, 0
.LBB230_1107:
	s_delay_alu instid0(SALU_CYCLE_1)
	s_and_b32 vcc_lo, exec_lo, s16
	s_cbranch_vccz .LBB230_1125
; %bb.1108:
	s_cmp_lt_i32 s0, 27
	s_cbranch_scc1 .LBB230_1111
; %bb.1109:
	s_cmp_gt_i32 s0, 27
	s_cbranch_scc0 .LBB230_1112
; %bb.1110:
	global_load_b32 v1, v[2:3], off
	s_mov_b32 s15, 0
	s_wait_loadcnt 0x0
	v_cvt_f32_u32_e32 v1, v1
	s_delay_alu instid0(VALU_DEP_1)
	v_cvt_f16_f32_e32 v5, v1
	s_branch .LBB230_1113
.LBB230_1111:
	s_mov_b32 s15, -1
                                        ; implicit-def: $vgpr5
	s_branch .LBB230_1116
.LBB230_1112:
	s_mov_b32 s15, -1
                                        ; implicit-def: $vgpr5
.LBB230_1113:
	s_delay_alu instid0(SALU_CYCLE_1)
	s_and_not1_b32 vcc_lo, exec_lo, s15
	s_cbranch_vccnz .LBB230_1115
; %bb.1114:
	global_load_u16 v1, v[2:3], off
	s_wait_loadcnt 0x0
	v_cvt_f16_u16_e32 v5, v1
.LBB230_1115:
	s_mov_b32 s15, 0
.LBB230_1116:
	s_delay_alu instid0(SALU_CYCLE_1)
	s_and_not1_b32 vcc_lo, exec_lo, s15
	s_cbranch_vccnz .LBB230_1124
; %bb.1117:
	global_load_u8 v1, v[2:3], off
	s_mov_b32 s15, 0
	s_mov_b32 s16, exec_lo
	s_wait_loadcnt 0x0
	v_cmpx_lt_i16_e32 0x7f, v1
	s_xor_b32 s16, exec_lo, s16
	s_cbranch_execz .LBB230_1137
; %bb.1118:
	s_mov_b32 s15, -1
	s_mov_b32 s17, exec_lo
	v_cmpx_eq_u16_e32 0x80, v1
; %bb.1119:
	s_xor_b32 s15, exec_lo, -1
; %bb.1120:
	s_or_b32 exec_lo, exec_lo, s17
	s_delay_alu instid0(SALU_CYCLE_1)
	s_and_b32 s15, s15, exec_lo
	s_or_saveexec_b32 s16, s16
	v_mov_b32_e32 v5, 0x7e00
	s_xor_b32 exec_lo, exec_lo, s16
	s_cbranch_execnz .LBB230_1138
.LBB230_1121:
	s_or_b32 exec_lo, exec_lo, s16
	s_and_saveexec_b32 s16, s15
	s_cbranch_execz .LBB230_1123
.LBB230_1122:
	v_and_b32_e32 v5, 0xffff, v1
	s_delay_alu instid0(VALU_DEP_1) | instskip(SKIP_1) | instid1(VALU_DEP_2)
	v_and_b32_e32 v6, 7, v5
	v_bfe_u32 v9, v5, 3, 4
	v_clz_i32_u32_e32 v7, v6
	s_delay_alu instid0(VALU_DEP_2) | instskip(NEXT) | instid1(VALU_DEP_2)
	v_cmp_eq_u32_e32 vcc_lo, 0, v9
	v_min_u32_e32 v7, 32, v7
	s_delay_alu instid0(VALU_DEP_1) | instskip(NEXT) | instid1(VALU_DEP_1)
	v_subrev_nc_u32_e32 v8, 28, v7
	v_dual_lshlrev_b32 v5, v8, v5 :: v_dual_sub_nc_u32 v7, 29, v7
	s_delay_alu instid0(VALU_DEP_1) | instskip(NEXT) | instid1(VALU_DEP_2)
	v_and_b32_e32 v5, 7, v5
	v_dual_lshlrev_b32 v1, 24, v1 :: v_dual_cndmask_b32 v7, v9, v7, vcc_lo
	s_delay_alu instid0(VALU_DEP_2) | instskip(NEXT) | instid1(VALU_DEP_2)
	v_cndmask_b32_e32 v5, v6, v5, vcc_lo
	v_and_b32_e32 v1, 0x80000000, v1
	s_delay_alu instid0(VALU_DEP_3) | instskip(NEXT) | instid1(VALU_DEP_3)
	v_lshl_add_u32 v6, v7, 23, 0x3b800000
	v_lshlrev_b32_e32 v5, 20, v5
	s_delay_alu instid0(VALU_DEP_1) | instskip(NEXT) | instid1(VALU_DEP_1)
	v_or3_b32 v1, v1, v6, v5
	v_cvt_f16_f32_e32 v5, v1
.LBB230_1123:
	s_or_b32 exec_lo, exec_lo, s16
.LBB230_1124:
	s_mov_b32 s15, -1
.LBB230_1125:
	s_branch .LBB230_1157
.LBB230_1126:
	s_cmp_gt_i32 s0, 22
	s_cbranch_scc0 .LBB230_1136
; %bb.1127:
	s_cmp_lt_i32 s0, 24
	s_cbranch_scc1 .LBB230_1139
; %bb.1128:
	s_cmp_gt_i32 s0, 24
	s_cbranch_scc0 .LBB230_1140
; %bb.1129:
	global_load_u8 v1, v[2:3], off
	s_mov_b32 s15, exec_lo
	s_wait_loadcnt 0x0
	v_cmpx_lt_i16_e32 0x7f, v1
	s_xor_b32 s15, exec_lo, s15
	s_cbranch_execz .LBB230_1151
; %bb.1130:
	s_mov_b32 s12, -1
	s_mov_b32 s16, exec_lo
	v_cmpx_eq_u16_e32 0x80, v1
; %bb.1131:
	s_xor_b32 s12, exec_lo, -1
; %bb.1132:
	s_or_b32 exec_lo, exec_lo, s16
	s_delay_alu instid0(SALU_CYCLE_1)
	s_and_b32 s12, s12, exec_lo
	s_or_saveexec_b32 s15, s15
	v_mov_b32_e32 v5, 0x7e00
	s_xor_b32 exec_lo, exec_lo, s15
	s_cbranch_execnz .LBB230_1152
.LBB230_1133:
	s_or_b32 exec_lo, exec_lo, s15
	s_and_saveexec_b32 s15, s12
	s_cbranch_execz .LBB230_1135
.LBB230_1134:
	v_and_b32_e32 v5, 0xffff, v1
	s_delay_alu instid0(VALU_DEP_1) | instskip(SKIP_1) | instid1(VALU_DEP_2)
	v_and_b32_e32 v6, 3, v5
	v_bfe_u32 v9, v5, 2, 5
	v_clz_i32_u32_e32 v7, v6
	s_delay_alu instid0(VALU_DEP_2) | instskip(NEXT) | instid1(VALU_DEP_2)
	v_cmp_eq_u32_e32 vcc_lo, 0, v9
	v_min_u32_e32 v7, 32, v7
	s_delay_alu instid0(VALU_DEP_1) | instskip(NEXT) | instid1(VALU_DEP_1)
	v_subrev_nc_u32_e32 v8, 29, v7
	v_dual_lshlrev_b32 v5, v8, v5 :: v_dual_sub_nc_u32 v7, 30, v7
	s_delay_alu instid0(VALU_DEP_1) | instskip(NEXT) | instid1(VALU_DEP_2)
	v_and_b32_e32 v5, 3, v5
	v_dual_lshlrev_b32 v1, 24, v1 :: v_dual_cndmask_b32 v7, v9, v7, vcc_lo
	s_delay_alu instid0(VALU_DEP_2) | instskip(NEXT) | instid1(VALU_DEP_2)
	v_cndmask_b32_e32 v5, v6, v5, vcc_lo
	v_and_b32_e32 v1, 0x80000000, v1
	s_delay_alu instid0(VALU_DEP_3) | instskip(NEXT) | instid1(VALU_DEP_3)
	v_lshl_add_u32 v6, v7, 23, 0x37800000
	v_lshlrev_b32_e32 v5, 21, v5
	s_delay_alu instid0(VALU_DEP_1) | instskip(NEXT) | instid1(VALU_DEP_1)
	v_or3_b32 v1, v1, v6, v5
	v_cvt_f16_f32_e32 v5, v1
.LBB230_1135:
	s_or_b32 exec_lo, exec_lo, s15
	s_mov_b32 s12, 0
	s_branch .LBB230_1141
.LBB230_1136:
                                        ; implicit-def: $vgpr5
	s_mov_b32 s12, 0
	s_branch .LBB230_1147
.LBB230_1137:
	s_or_saveexec_b32 s16, s16
	v_mov_b32_e32 v5, 0x7e00
	s_xor_b32 exec_lo, exec_lo, s16
	s_cbranch_execz .LBB230_1121
.LBB230_1138:
	v_cmp_ne_u16_e32 vcc_lo, 0, v1
	v_mov_b32_e32 v5, v1
	s_and_not1_b32 s15, s15, exec_lo
	s_and_b32 s17, vcc_lo, exec_lo
	s_delay_alu instid0(SALU_CYCLE_1)
	s_or_b32 s15, s15, s17
	s_or_b32 exec_lo, exec_lo, s16
	s_and_saveexec_b32 s16, s15
	s_cbranch_execnz .LBB230_1122
	s_branch .LBB230_1123
.LBB230_1139:
	s_mov_b32 s12, -1
                                        ; implicit-def: $vgpr5
	s_branch .LBB230_1144
.LBB230_1140:
	s_mov_b32 s12, -1
                                        ; implicit-def: $vgpr5
.LBB230_1141:
	s_delay_alu instid0(SALU_CYCLE_1)
	s_and_b32 vcc_lo, exec_lo, s12
	s_cbranch_vccz .LBB230_1143
; %bb.1142:
	global_load_u8 v1, v[2:3], off
	s_wait_loadcnt 0x0
	v_lshlrev_b32_e32 v1, 24, v1
	s_delay_alu instid0(VALU_DEP_1) | instskip(NEXT) | instid1(VALU_DEP_1)
	v_and_b32_e32 v5, 0x7f000000, v1
	v_clz_i32_u32_e32 v6, v5
	v_cmp_ne_u32_e32 vcc_lo, 0, v5
	v_add_nc_u32_e32 v8, 0x1000000, v5
	s_delay_alu instid0(VALU_DEP_3) | instskip(NEXT) | instid1(VALU_DEP_1)
	v_min_u32_e32 v6, 32, v6
	v_sub_nc_u32_e64 v6, v6, 4 clamp
	s_delay_alu instid0(VALU_DEP_1) | instskip(NEXT) | instid1(VALU_DEP_1)
	v_dual_lshlrev_b32 v7, v6, v5 :: v_dual_lshlrev_b32 v6, 23, v6
	v_lshrrev_b32_e32 v7, 4, v7
	s_delay_alu instid0(VALU_DEP_1) | instskip(NEXT) | instid1(VALU_DEP_1)
	v_dual_sub_nc_u32 v6, v7, v6 :: v_dual_ashrrev_i32 v7, 8, v8
	v_add_nc_u32_e32 v6, 0x3c000000, v6
	s_delay_alu instid0(VALU_DEP_1) | instskip(NEXT) | instid1(VALU_DEP_1)
	v_and_or_b32 v6, 0x7f800000, v7, v6
	v_cndmask_b32_e32 v5, 0, v6, vcc_lo
	s_delay_alu instid0(VALU_DEP_1) | instskip(NEXT) | instid1(VALU_DEP_1)
	v_and_or_b32 v1, 0x80000000, v1, v5
	v_cvt_f16_f32_e32 v5, v1
.LBB230_1143:
	s_mov_b32 s12, 0
.LBB230_1144:
	s_delay_alu instid0(SALU_CYCLE_1)
	s_and_not1_b32 vcc_lo, exec_lo, s12
	s_cbranch_vccnz .LBB230_1146
; %bb.1145:
	global_load_u8 v1, v[2:3], off
	s_wait_loadcnt 0x0
	v_lshlrev_b32_e32 v5, 25, v1
	v_lshlrev_b16 v1, 8, v1
	s_delay_alu instid0(VALU_DEP_1) | instskip(SKIP_1) | instid1(VALU_DEP_2)
	v_and_or_b32 v7, 0x7f00, v1, 0.5
	v_bfe_i32 v1, v1, 0, 16
	v_dual_add_f32 v7, -0.5, v7 :: v_dual_lshrrev_b32 v6, 4, v5
	v_cmp_gt_u32_e32 vcc_lo, 0x8000000, v5
	s_delay_alu instid0(VALU_DEP_2) | instskip(NEXT) | instid1(VALU_DEP_1)
	v_or_b32_e32 v6, 0x70000000, v6
	v_mul_f32_e32 v6, 0x7800000, v6
	s_delay_alu instid0(VALU_DEP_1) | instskip(NEXT) | instid1(VALU_DEP_1)
	v_cndmask_b32_e32 v5, v6, v7, vcc_lo
	v_and_or_b32 v1, 0x80000000, v1, v5
	s_delay_alu instid0(VALU_DEP_1)
	v_cvt_f16_f32_e32 v5, v1
.LBB230_1146:
	s_mov_b32 s15, -1
	s_mov_b32 s12, 0
	s_cbranch_execnz .LBB230_1157
.LBB230_1147:
	s_cmp_gt_i32 s0, 14
	s_cbranch_scc0 .LBB230_1150
; %bb.1148:
	s_cmp_eq_u32 s0, 15
	s_cbranch_scc0 .LBB230_1153
; %bb.1149:
	global_load_u16 v1, v[2:3], off
	s_mov_b32 s1, 0
	s_mov_b32 s15, -1
	s_wait_loadcnt 0x0
	v_lshlrev_b32_e32 v1, 16, v1
	s_delay_alu instid0(VALU_DEP_1)
	v_cvt_f16_f32_e32 v5, v1
	s_branch .LBB230_1155
.LBB230_1150:
	s_mov_b32 s12, -1
	s_branch .LBB230_1154
.LBB230_1151:
	s_or_saveexec_b32 s15, s15
	v_mov_b32_e32 v5, 0x7e00
	s_xor_b32 exec_lo, exec_lo, s15
	s_cbranch_execz .LBB230_1133
.LBB230_1152:
	v_cmp_ne_u16_e32 vcc_lo, 0, v1
	v_mov_b32_e32 v5, v1
	s_and_not1_b32 s12, s12, exec_lo
	s_and_b32 s16, vcc_lo, exec_lo
	s_delay_alu instid0(SALU_CYCLE_1)
	s_or_b32 s12, s12, s16
	s_or_b32 exec_lo, exec_lo, s15
	s_and_saveexec_b32 s15, s12
	s_cbranch_execnz .LBB230_1134
	s_branch .LBB230_1135
.LBB230_1153:
	s_mov_b32 s1, -1
.LBB230_1154:
                                        ; implicit-def: $vgpr5
.LBB230_1155:
	s_and_b32 vcc_lo, exec_lo, s12
	s_mov_b32 s12, 0
	s_cbranch_vccz .LBB230_1157
; %bb.1156:
	s_cmp_lg_u32 s0, 11
	s_mov_b32 s12, -1
	s_cselect_b32 s1, -1, 0
.LBB230_1157:
	s_delay_alu instid0(SALU_CYCLE_1)
	s_and_b32 vcc_lo, exec_lo, s1
	s_mov_b32 s1, s14
	s_cbranch_vccnz .LBB230_1230
; %bb.1158:
	s_and_not1_b32 vcc_lo, exec_lo, s12
	s_cbranch_vccnz .LBB230_1160
.LBB230_1159:
	global_load_u8 v1, v[2:3], off
	s_mov_b32 s15, -1
	s_wait_loadcnt 0x0
	v_cmp_ne_u16_e32 vcc_lo, 0, v1
	v_cndmask_b32_e64 v5, 0, 0x3c00, vcc_lo
.LBB230_1160:
	s_branch .LBB230_1089
.LBB230_1161:
	s_cmp_lt_i32 s0, 5
	s_cbranch_scc1 .LBB230_1166
; %bb.1162:
	s_cmp_lt_i32 s0, 8
	s_cbranch_scc1 .LBB230_1167
; %bb.1163:
	;; [unrolled: 3-line block ×3, first 2 shown]
	s_cmp_gt_i32 s0, 9
	s_cbranch_scc0 .LBB230_1169
; %bb.1165:
	global_load_b64 v[6:7], v[2:3], off
	s_mov_b32 s12, 0
	s_wait_loadcnt 0x0
	v_and_or_b32 v1, 0x1ff, v7, v6
	v_lshrrev_b32_e32 v5, 8, v7
	v_bfe_u32 v6, v7, 20, 11
	s_delay_alu instid0(VALU_DEP_3) | instskip(NEXT) | instid1(VALU_DEP_2)
	v_cmp_ne_u32_e32 vcc_lo, 0, v1
	v_sub_nc_u32_e32 v8, 0x3f1, v6
	v_add_nc_u32_e32 v6, 0xfffffc10, v6
	v_cndmask_b32_e64 v1, 0, 1, vcc_lo
	s_delay_alu instid0(VALU_DEP_1) | instskip(NEXT) | instid1(VALU_DEP_4)
	v_and_or_b32 v1, 0xffe, v5, v1
	v_med3_i32 v5, v8, 0, 13
	s_delay_alu instid0(VALU_DEP_2) | instskip(NEXT) | instid1(VALU_DEP_1)
	v_or_b32_e32 v8, 0x1000, v1
	v_lshrrev_b32_e32 v9, v5, v8
	s_delay_alu instid0(VALU_DEP_1) | instskip(NEXT) | instid1(VALU_DEP_1)
	v_lshlrev_b32_e32 v5, v5, v9
	v_cmp_ne_u32_e32 vcc_lo, v5, v8
	v_lshl_or_b32 v8, v6, 12, v1
	v_cndmask_b32_e64 v5, 0, 1, vcc_lo
	v_cmp_gt_i32_e32 vcc_lo, 1, v6
	s_delay_alu instid0(VALU_DEP_2) | instskip(NEXT) | instid1(VALU_DEP_1)
	v_or_b32_e32 v5, v9, v5
	v_cndmask_b32_e32 v5, v8, v5, vcc_lo
	s_delay_alu instid0(VALU_DEP_1) | instskip(NEXT) | instid1(VALU_DEP_1)
	v_dual_lshrrev_b32 v5, 2, v5 :: v_dual_bitop2_b32 v8, 7, v5 bitop3:0x40
	v_cmp_lt_i32_e32 vcc_lo, 5, v8
	v_cndmask_b32_e64 v9, 0, 1, vcc_lo
	v_cmp_eq_u32_e32 vcc_lo, 3, v8
	v_cndmask_b32_e64 v8, 0, 1, vcc_lo
	v_cmp_ne_u32_e32 vcc_lo, 0, v1
	s_delay_alu instid0(VALU_DEP_2) | instskip(SKIP_1) | instid1(VALU_DEP_2)
	v_or_b32_e32 v8, v8, v9
	v_mov_b32_e32 v9, 0x7e00
	v_add_nc_u32_e32 v5, v5, v8
	s_delay_alu instid0(VALU_DEP_2) | instskip(SKIP_1) | instid1(VALU_DEP_3)
	v_cndmask_b32_e32 v1, 0x7c00, v9, vcc_lo
	v_cmp_gt_i32_e32 vcc_lo, 31, v6
	v_cndmask_b32_e32 v5, 0x7c00, v5, vcc_lo
	v_cmp_eq_u32_e32 vcc_lo, 0x40f, v6
	s_delay_alu instid0(VALU_DEP_2) | instskip(NEXT) | instid1(VALU_DEP_1)
	v_dual_cndmask_b32 v1, v5, v1, vcc_lo :: v_dual_lshrrev_b32 v5, 16, v7
	v_and_or_b32 v5, 0x8000, v5, v1
	s_branch .LBB230_1170
.LBB230_1166:
                                        ; implicit-def: $vgpr5
	s_branch .LBB230_1187
.LBB230_1167:
                                        ; implicit-def: $vgpr5
	s_branch .LBB230_1176
.LBB230_1168:
	s_mov_b32 s12, -1
                                        ; implicit-def: $vgpr5
	s_branch .LBB230_1173
.LBB230_1169:
	s_mov_b32 s12, -1
                                        ; implicit-def: $vgpr5
.LBB230_1170:
	s_delay_alu instid0(SALU_CYCLE_1)
	s_and_not1_b32 vcc_lo, exec_lo, s12
	s_cbranch_vccnz .LBB230_1172
; %bb.1171:
	global_load_b32 v1, v[2:3], off
	s_wait_loadcnt 0x0
	v_cvt_f16_f32_e32 v5, v1
.LBB230_1172:
	s_mov_b32 s12, 0
.LBB230_1173:
	s_delay_alu instid0(SALU_CYCLE_1)
	s_and_not1_b32 vcc_lo, exec_lo, s12
	s_cbranch_vccnz .LBB230_1175
; %bb.1174:
	global_load_b32 v5, v[2:3], off
.LBB230_1175:
	s_cbranch_execnz .LBB230_1186
.LBB230_1176:
	s_cmp_lt_i32 s0, 6
	s_cbranch_scc1 .LBB230_1179
; %bb.1177:
	s_cmp_gt_i32 s0, 6
	s_cbranch_scc0 .LBB230_1180
; %bb.1178:
	global_load_b64 v[6:7], v[2:3], off
	s_mov_b32 s12, 0
	s_wait_loadcnt 0x0
	v_and_or_b32 v1, 0x1ff, v7, v6
	v_lshrrev_b32_e32 v5, 8, v7
	v_bfe_u32 v6, v7, 20, 11
	s_delay_alu instid0(VALU_DEP_3) | instskip(NEXT) | instid1(VALU_DEP_2)
	v_cmp_ne_u32_e32 vcc_lo, 0, v1
	v_sub_nc_u32_e32 v8, 0x3f1, v6
	v_add_nc_u32_e32 v6, 0xfffffc10, v6
	v_cndmask_b32_e64 v1, 0, 1, vcc_lo
	s_delay_alu instid0(VALU_DEP_1) | instskip(NEXT) | instid1(VALU_DEP_4)
	v_and_or_b32 v1, 0xffe, v5, v1
	v_med3_i32 v5, v8, 0, 13
	s_delay_alu instid0(VALU_DEP_2) | instskip(NEXT) | instid1(VALU_DEP_1)
	v_or_b32_e32 v8, 0x1000, v1
	v_lshrrev_b32_e32 v9, v5, v8
	s_delay_alu instid0(VALU_DEP_1) | instskip(NEXT) | instid1(VALU_DEP_1)
	v_lshlrev_b32_e32 v5, v5, v9
	v_cmp_ne_u32_e32 vcc_lo, v5, v8
	v_lshl_or_b32 v8, v6, 12, v1
	v_cndmask_b32_e64 v5, 0, 1, vcc_lo
	v_cmp_gt_i32_e32 vcc_lo, 1, v6
	s_delay_alu instid0(VALU_DEP_2) | instskip(NEXT) | instid1(VALU_DEP_1)
	v_or_b32_e32 v5, v9, v5
	v_cndmask_b32_e32 v5, v8, v5, vcc_lo
	s_delay_alu instid0(VALU_DEP_1) | instskip(NEXT) | instid1(VALU_DEP_1)
	v_dual_lshrrev_b32 v5, 2, v5 :: v_dual_bitop2_b32 v8, 7, v5 bitop3:0x40
	v_cmp_lt_i32_e32 vcc_lo, 5, v8
	v_cndmask_b32_e64 v9, 0, 1, vcc_lo
	v_cmp_eq_u32_e32 vcc_lo, 3, v8
	v_cndmask_b32_e64 v8, 0, 1, vcc_lo
	v_cmp_ne_u32_e32 vcc_lo, 0, v1
	s_delay_alu instid0(VALU_DEP_2) | instskip(SKIP_1) | instid1(VALU_DEP_2)
	v_or_b32_e32 v8, v8, v9
	v_mov_b32_e32 v9, 0x7e00
	v_add_nc_u32_e32 v5, v5, v8
	s_delay_alu instid0(VALU_DEP_2) | instskip(SKIP_1) | instid1(VALU_DEP_3)
	v_cndmask_b32_e32 v1, 0x7c00, v9, vcc_lo
	v_cmp_gt_i32_e32 vcc_lo, 31, v6
	v_cndmask_b32_e32 v5, 0x7c00, v5, vcc_lo
	v_cmp_eq_u32_e32 vcc_lo, 0x40f, v6
	s_delay_alu instid0(VALU_DEP_2) | instskip(NEXT) | instid1(VALU_DEP_1)
	v_dual_cndmask_b32 v1, v5, v1, vcc_lo :: v_dual_lshrrev_b32 v5, 16, v7
	v_and_or_b32 v5, 0x8000, v5, v1
	s_branch .LBB230_1181
.LBB230_1179:
	s_mov_b32 s12, -1
                                        ; implicit-def: $vgpr5
	s_branch .LBB230_1184
.LBB230_1180:
	s_mov_b32 s12, -1
                                        ; implicit-def: $vgpr5
.LBB230_1181:
	s_delay_alu instid0(SALU_CYCLE_1)
	s_and_not1_b32 vcc_lo, exec_lo, s12
	s_cbranch_vccnz .LBB230_1183
; %bb.1182:
	global_load_b32 v1, v[2:3], off
	s_wait_loadcnt 0x0
	v_cvt_f16_f32_e32 v5, v1
.LBB230_1183:
	s_mov_b32 s12, 0
.LBB230_1184:
	s_delay_alu instid0(SALU_CYCLE_1)
	s_and_not1_b32 vcc_lo, exec_lo, s12
	s_cbranch_vccnz .LBB230_1186
; %bb.1185:
	s_wait_loadcnt 0x0
	global_load_u16 v5, v[2:3], off
.LBB230_1186:
	s_cbranch_execnz .LBB230_1205
.LBB230_1187:
	s_cmp_lt_i32 s0, 2
	s_cbranch_scc1 .LBB230_1191
; %bb.1188:
	s_cmp_lt_i32 s0, 3
	s_cbranch_scc1 .LBB230_1192
; %bb.1189:
	s_cmp_gt_i32 s0, 3
	s_cbranch_scc0 .LBB230_1193
; %bb.1190:
	global_load_b64 v[6:7], v[2:3], off
	s_mov_b32 s12, 0
	s_wait_loadcnt 0x0
	v_xor_b32_e32 v1, v6, v7
	v_cls_i32_e32 v5, v7
	s_delay_alu instid0(VALU_DEP_2) | instskip(NEXT) | instid1(VALU_DEP_1)
	v_ashrrev_i32_e32 v1, 31, v1
	v_add_nc_u32_e32 v1, 32, v1
	s_delay_alu instid0(VALU_DEP_1) | instskip(NEXT) | instid1(VALU_DEP_1)
	v_add_min_u32_e64 v1, v5, -1, v1
	v_lshlrev_b64_e32 v[6:7], v1, v[6:7]
	v_sub_nc_u32_e32 v1, 32, v1
	s_delay_alu instid0(VALU_DEP_2) | instskip(NEXT) | instid1(VALU_DEP_1)
	v_min_u32_e32 v5, 1, v6
	v_or_b32_e32 v5, v7, v5
	s_delay_alu instid0(VALU_DEP_1) | instskip(NEXT) | instid1(VALU_DEP_1)
	v_cvt_f32_i32_e32 v5, v5
	v_ldexp_f32 v1, v5, v1
	s_delay_alu instid0(VALU_DEP_1)
	v_cvt_f16_f32_e32 v5, v1
	s_branch .LBB230_1194
.LBB230_1191:
                                        ; implicit-def: $vgpr5
	s_branch .LBB230_1200
.LBB230_1192:
	s_mov_b32 s12, -1
                                        ; implicit-def: $vgpr5
	s_branch .LBB230_1197
.LBB230_1193:
	s_mov_b32 s12, -1
                                        ; implicit-def: $vgpr5
.LBB230_1194:
	s_delay_alu instid0(SALU_CYCLE_1)
	s_and_not1_b32 vcc_lo, exec_lo, s12
	s_cbranch_vccnz .LBB230_1196
; %bb.1195:
	global_load_b32 v1, v[2:3], off
	s_wait_loadcnt 0x0
	v_cvt_f32_i32_e32 v1, v1
	s_delay_alu instid0(VALU_DEP_1)
	v_cvt_f16_f32_e32 v5, v1
.LBB230_1196:
	s_mov_b32 s12, 0
.LBB230_1197:
	s_delay_alu instid0(SALU_CYCLE_1)
	s_and_not1_b32 vcc_lo, exec_lo, s12
	s_cbranch_vccnz .LBB230_1199
; %bb.1198:
	global_load_u16 v1, v[2:3], off
	s_wait_loadcnt 0x0
	v_cvt_f16_i16_e32 v5, v1
.LBB230_1199:
	s_cbranch_execnz .LBB230_1205
.LBB230_1200:
	s_cmp_gt_i32 s0, 0
	s_mov_b32 s12, 0
	s_cbranch_scc0 .LBB230_1202
; %bb.1201:
	global_load_i8 v1, v[2:3], off
	s_wait_loadcnt 0x0
	v_cvt_f16_i16_e32 v5, v1
	s_branch .LBB230_1203
.LBB230_1202:
	s_mov_b32 s12, -1
                                        ; implicit-def: $vgpr5
.LBB230_1203:
	s_delay_alu instid0(SALU_CYCLE_1)
	s_and_not1_b32 vcc_lo, exec_lo, s12
	s_cbranch_vccnz .LBB230_1205
; %bb.1204:
	global_load_u8 v1, v[2:3], off
	s_wait_loadcnt 0x0
	v_cvt_f16_u16_e32 v5, v1
.LBB230_1205:
.LBB230_1206:
	s_mov_b32 s12, exec_lo
	s_wait_loadcnt 0x0
	s_delay_alu instid0(VALU_DEP_1)
	v_cmpx_o_f16_e32 v5, v5
	s_cbranch_execz .LBB230_1218
; %bb.1207:
	v_cvt_f32_f16_e32 v1, v5
	s_cmp_lt_i32 s10, 1
	s_mov_b32 s15, 0
	s_cbranch_scc1 .LBB230_1210
; %bb.1208:
	s_cmp_eq_u32 s10, 1
	s_cbranch_scc0 .LBB230_1211
; %bb.1209:
	v_max_num_f32_e64 v2, s11, s11
	v_max_num_f32_e32 v3, v1, v1
	s_mov_b32 s16, 0
	s_delay_alu instid0(VALU_DEP_1) | instskip(NEXT) | instid1(VALU_DEP_1)
	v_min_num_f32_e32 v2, v3, v2
	v_cvt_f16_f32_e32 v5, v2
	s_branch .LBB230_1212
.LBB230_1210:
	s_mov_b32 s16, 0
                                        ; implicit-def: $vgpr5
	s_cbranch_execnz .LBB230_1213
	s_branch .LBB230_1214
.LBB230_1211:
	s_mov_b32 s16, -1
                                        ; implicit-def: $vgpr5
.LBB230_1212:
	s_branch .LBB230_1214
.LBB230_1213:
	s_cmp_lg_u32 s10, 0
	s_mov_b32 s15, -1
	s_cselect_b32 s16, -1, 0
.LBB230_1214:
	v_max_num_f32_e32 v1, v1, v1
	s_and_not1_b32 vcc_lo, exec_lo, s16
	s_cbranch_vccnz .LBB230_1216
; %bb.1215:
	v_max_num_f32_e64 v2, s11, s11
	v_max_num_f32_e64 v3, s2, s2
	s_delay_alu instid0(VALU_DEP_1) | instskip(NEXT) | instid1(VALU_DEP_1)
	v_maxmin_num_f32 v2, v1, v2, v3
	v_cvt_f16_f32_e32 v5, v2
	s_cbranch_execz .LBB230_1217
	s_branch .LBB230_1218
.LBB230_1216:
	s_and_not1_b32 vcc_lo, exec_lo, s15
	s_cbranch_vccnz .LBB230_1218
.LBB230_1217:
	v_max_num_f32_e64 v2, s11, s11
	s_delay_alu instid0(VALU_DEP_1) | instskip(NEXT) | instid1(VALU_DEP_1)
	v_max_num_f32_e32 v1, v1, v2
	v_cvt_f16_f32_e32 v5, v1
.LBB230_1218:
	s_or_b32 exec_lo, exec_lo, s12
	s_lshl_b32 s9, s9, 7
	s_cmp_lt_i32 s0, 11
	v_add_nc_u32_e32 v0, s9, v0
	s_delay_alu instid0(VALU_DEP_1) | instskip(NEXT) | instid1(VALU_DEP_1)
	v_ashrrev_i32_e32 v1, 31, v0
	v_add_nc_u64_e32 v[2:3], s[6:7], v[0:1]
	s_cbranch_scc1 .LBB230_1225
; %bb.1219:
	s_cmp_gt_i32 s0, 25
	s_mov_b32 s15, 0
	s_cbranch_scc0 .LBB230_1227
; %bb.1220:
	s_cmp_gt_i32 s0, 28
	s_cbranch_scc0 .LBB230_1228
; %bb.1221:
	s_cmp_gt_i32 s0, 43
	;; [unrolled: 3-line block ×3, first 2 shown]
	s_cbranch_scc0 .LBB230_1231
; %bb.1223:
	s_cmp_eq_u32 s0, 46
	s_mov_b32 s17, 0
	s_cbranch_scc0 .LBB230_1234
; %bb.1224:
	global_load_b32 v1, v[2:3], off
	s_mov_b32 s12, 0
	s_mov_b32 s16, -1
	s_wait_loadcnt 0x0
	v_lshlrev_b32_e32 v1, 16, v1
	s_delay_alu instid0(VALU_DEP_1)
	v_cvt_f16_f32_e32 v6, v1
	s_branch .LBB230_1236
.LBB230_1225:
	s_mov_b32 s16, 0
                                        ; implicit-def: $vgpr6
	s_cbranch_execnz .LBB230_1301
.LBB230_1226:
	s_and_not1_b32 vcc_lo, exec_lo, s16
	s_cbranch_vccnz .LBB230_1638
	s_branch .LBB230_1348
.LBB230_1227:
	s_mov_b32 s16, 0
	s_mov_b32 s12, 0
                                        ; implicit-def: $vgpr6
	s_cbranch_execnz .LBB230_1265
	s_branch .LBB230_1297
.LBB230_1228:
	s_mov_b32 s17, -1
	s_mov_b32 s16, 0
	s_mov_b32 s12, 0
                                        ; implicit-def: $vgpr6
	s_branch .LBB230_1246
.LBB230_1229:
	s_mov_b32 s17, -1
	s_mov_b32 s16, 0
	s_mov_b32 s12, 0
                                        ; implicit-def: $vgpr6
	s_branch .LBB230_1241
.LBB230_1230:
	s_or_b32 s1, s14, exec_lo
	s_trap 2
	s_cbranch_execz .LBB230_1159
	s_branch .LBB230_1160
.LBB230_1231:
	s_mov_b32 s17, -1
	s_mov_b32 s16, 0
	s_mov_b32 s12, 0
	s_branch .LBB230_1235
.LBB230_1232:
	s_and_not1_saveexec_b32 s22, s22
	s_cbranch_execz .LBB230_1005
.LBB230_1233:
	v_add_f32_e64 v3, 0x42800000, |v2|
	s_and_not1_b32 s21, s21, exec_lo
	s_delay_alu instid0(VALU_DEP_1) | instskip(NEXT) | instid1(VALU_DEP_1)
	v_and_b32_e32 v3, 0xff, v3
	v_cmp_ne_u32_e32 vcc_lo, 0, v3
	s_and_b32 s23, vcc_lo, exec_lo
	s_delay_alu instid0(SALU_CYCLE_1)
	s_or_b32 s21, s21, s23
	s_or_b32 exec_lo, exec_lo, s22
	v_mov_b32_e32 v4, 0
	s_and_saveexec_b32 s22, s21
	s_cbranch_execnz .LBB230_1006
	s_branch .LBB230_1007
.LBB230_1234:
	s_mov_b32 s12, -1
	s_mov_b32 s16, 0
.LBB230_1235:
                                        ; implicit-def: $vgpr6
.LBB230_1236:
	s_and_b32 vcc_lo, exec_lo, s17
	s_cbranch_vccz .LBB230_1240
; %bb.1237:
	s_cmp_eq_u32 s0, 44
	s_cbranch_scc0 .LBB230_1239
; %bb.1238:
	global_load_u8 v1, v[2:3], off
	s_mov_b32 s12, 0
	s_mov_b32 s16, -1
	s_wait_loadcnt 0x0
	v_lshlrev_b32_e32 v6, 23, v1
	v_cmp_ne_u32_e32 vcc_lo, 0xff, v1
	s_delay_alu instid0(VALU_DEP_2) | instskip(NEXT) | instid1(VALU_DEP_1)
	v_cvt_f16_f32_e32 v6, v6
	v_cndmask_b32_e32 v6, 0x7e00, v6, vcc_lo
	v_cmp_ne_u32_e32 vcc_lo, 0, v1
	s_delay_alu instid0(VALU_DEP_2)
	v_cndmask_b32_e32 v6, 0, v6, vcc_lo
	s_branch .LBB230_1240
.LBB230_1239:
	s_mov_b32 s12, -1
                                        ; implicit-def: $vgpr6
.LBB230_1240:
	s_mov_b32 s17, 0
.LBB230_1241:
	s_delay_alu instid0(SALU_CYCLE_1)
	s_and_b32 vcc_lo, exec_lo, s17
	s_cbranch_vccz .LBB230_1245
; %bb.1242:
	s_cmp_eq_u32 s0, 29
	s_cbranch_scc0 .LBB230_1244
; %bb.1243:
	global_load_b64 v[6:7], v[2:3], off
	s_mov_b32 s12, 0
	s_mov_b32 s16, -1
	s_mov_b32 s17, 0
	s_wait_loadcnt 0x0
	v_clz_i32_u32_e32 v1, v7
	s_delay_alu instid0(VALU_DEP_1) | instskip(NEXT) | instid1(VALU_DEP_1)
	v_min_u32_e32 v1, 32, v1
	v_lshlrev_b64_e32 v[6:7], v1, v[6:7]
	v_sub_nc_u32_e32 v1, 32, v1
	s_delay_alu instid0(VALU_DEP_2) | instskip(NEXT) | instid1(VALU_DEP_1)
	v_min_u32_e32 v6, 1, v6
	v_or_b32_e32 v6, v7, v6
	s_delay_alu instid0(VALU_DEP_1) | instskip(NEXT) | instid1(VALU_DEP_1)
	v_cvt_f32_u32_e32 v6, v6
	v_ldexp_f32 v1, v6, v1
	s_delay_alu instid0(VALU_DEP_1)
	v_cvt_f16_f32_e32 v6, v1
	s_branch .LBB230_1246
.LBB230_1244:
	s_mov_b32 s12, -1
                                        ; implicit-def: $vgpr6
.LBB230_1245:
	s_mov_b32 s17, 0
.LBB230_1246:
	s_delay_alu instid0(SALU_CYCLE_1)
	s_and_b32 vcc_lo, exec_lo, s17
	s_cbranch_vccz .LBB230_1264
; %bb.1247:
	s_cmp_lt_i32 s0, 27
	s_cbranch_scc1 .LBB230_1250
; %bb.1248:
	s_cmp_gt_i32 s0, 27
	s_cbranch_scc0 .LBB230_1251
; %bb.1249:
	global_load_b32 v1, v[2:3], off
	s_mov_b32 s16, 0
	s_wait_loadcnt 0x0
	v_cvt_f32_u32_e32 v1, v1
	s_delay_alu instid0(VALU_DEP_1)
	v_cvt_f16_f32_e32 v6, v1
	s_branch .LBB230_1252
.LBB230_1250:
	s_mov_b32 s16, -1
                                        ; implicit-def: $vgpr6
	s_branch .LBB230_1255
.LBB230_1251:
	s_mov_b32 s16, -1
                                        ; implicit-def: $vgpr6
.LBB230_1252:
	s_delay_alu instid0(SALU_CYCLE_1)
	s_and_not1_b32 vcc_lo, exec_lo, s16
	s_cbranch_vccnz .LBB230_1254
; %bb.1253:
	global_load_u16 v1, v[2:3], off
	s_wait_loadcnt 0x0
	v_cvt_f16_u16_e32 v6, v1
.LBB230_1254:
	s_mov_b32 s16, 0
.LBB230_1255:
	s_delay_alu instid0(SALU_CYCLE_1)
	s_and_not1_b32 vcc_lo, exec_lo, s16
	s_cbranch_vccnz .LBB230_1263
; %bb.1256:
	global_load_u8 v1, v[2:3], off
	s_mov_b32 s16, 0
	s_mov_b32 s17, exec_lo
	s_wait_loadcnt 0x0
	v_cmpx_lt_i16_e32 0x7f, v1
	s_xor_b32 s17, exec_lo, s17
	s_cbranch_execz .LBB230_1276
; %bb.1257:
	s_mov_b32 s16, -1
	s_mov_b32 s18, exec_lo
	v_cmpx_eq_u16_e32 0x80, v1
; %bb.1258:
	s_xor_b32 s16, exec_lo, -1
; %bb.1259:
	s_or_b32 exec_lo, exec_lo, s18
	s_delay_alu instid0(SALU_CYCLE_1)
	s_and_b32 s16, s16, exec_lo
	s_or_saveexec_b32 s17, s17
	v_mov_b32_e32 v6, 0x7e00
	s_xor_b32 exec_lo, exec_lo, s17
	s_cbranch_execnz .LBB230_1277
.LBB230_1260:
	s_or_b32 exec_lo, exec_lo, s17
	s_and_saveexec_b32 s17, s16
	s_cbranch_execz .LBB230_1262
.LBB230_1261:
	v_and_b32_e32 v6, 0xffff, v1
	s_delay_alu instid0(VALU_DEP_1) | instskip(SKIP_1) | instid1(VALU_DEP_2)
	v_and_b32_e32 v7, 7, v6
	v_bfe_u32 v10, v6, 3, 4
	v_clz_i32_u32_e32 v8, v7
	s_delay_alu instid0(VALU_DEP_2) | instskip(NEXT) | instid1(VALU_DEP_2)
	v_cmp_eq_u32_e32 vcc_lo, 0, v10
	v_min_u32_e32 v8, 32, v8
	s_delay_alu instid0(VALU_DEP_1) | instskip(NEXT) | instid1(VALU_DEP_1)
	v_subrev_nc_u32_e32 v9, 28, v8
	v_dual_lshlrev_b32 v6, v9, v6 :: v_dual_sub_nc_u32 v8, 29, v8
	s_delay_alu instid0(VALU_DEP_1) | instskip(NEXT) | instid1(VALU_DEP_1)
	v_dual_lshlrev_b32 v1, 24, v1 :: v_dual_bitop2_b32 v6, 7, v6 bitop3:0x40
	v_dual_cndmask_b32 v8, v10, v8, vcc_lo :: v_dual_cndmask_b32 v6, v7, v6, vcc_lo
	s_delay_alu instid0(VALU_DEP_2) | instskip(NEXT) | instid1(VALU_DEP_2)
	v_and_b32_e32 v1, 0x80000000, v1
	v_lshl_add_u32 v7, v8, 23, 0x3b800000
	s_delay_alu instid0(VALU_DEP_3) | instskip(NEXT) | instid1(VALU_DEP_1)
	v_lshlrev_b32_e32 v6, 20, v6
	v_or3_b32 v1, v1, v7, v6
	s_delay_alu instid0(VALU_DEP_1)
	v_cvt_f16_f32_e32 v6, v1
.LBB230_1262:
	s_or_b32 exec_lo, exec_lo, s17
.LBB230_1263:
	s_mov_b32 s16, -1
.LBB230_1264:
	s_branch .LBB230_1297
.LBB230_1265:
	s_cmp_gt_i32 s0, 22
	s_cbranch_scc0 .LBB230_1275
; %bb.1266:
	s_cmp_lt_i32 s0, 24
	s_cbranch_scc1 .LBB230_1278
; %bb.1267:
	s_cmp_gt_i32 s0, 24
	s_cbranch_scc0 .LBB230_1279
; %bb.1268:
	global_load_u8 v1, v[2:3], off
	s_mov_b32 s16, exec_lo
	s_wait_loadcnt 0x0
	v_cmpx_lt_i16_e32 0x7f, v1
	s_xor_b32 s16, exec_lo, s16
	s_cbranch_execz .LBB230_1291
; %bb.1269:
	s_mov_b32 s15, -1
	s_mov_b32 s17, exec_lo
	v_cmpx_eq_u16_e32 0x80, v1
; %bb.1270:
	s_xor_b32 s15, exec_lo, -1
; %bb.1271:
	s_or_b32 exec_lo, exec_lo, s17
	s_delay_alu instid0(SALU_CYCLE_1)
	s_and_b32 s15, s15, exec_lo
	s_or_saveexec_b32 s16, s16
	v_mov_b32_e32 v6, 0x7e00
	s_xor_b32 exec_lo, exec_lo, s16
	s_cbranch_execnz .LBB230_1292
.LBB230_1272:
	s_or_b32 exec_lo, exec_lo, s16
	s_and_saveexec_b32 s16, s15
	s_cbranch_execz .LBB230_1274
.LBB230_1273:
	v_and_b32_e32 v6, 0xffff, v1
	s_delay_alu instid0(VALU_DEP_1) | instskip(SKIP_1) | instid1(VALU_DEP_2)
	v_and_b32_e32 v7, 3, v6
	v_bfe_u32 v10, v6, 2, 5
	v_clz_i32_u32_e32 v8, v7
	s_delay_alu instid0(VALU_DEP_2) | instskip(NEXT) | instid1(VALU_DEP_2)
	v_cmp_eq_u32_e32 vcc_lo, 0, v10
	v_min_u32_e32 v8, 32, v8
	s_delay_alu instid0(VALU_DEP_1) | instskip(NEXT) | instid1(VALU_DEP_1)
	v_subrev_nc_u32_e32 v9, 29, v8
	v_dual_lshlrev_b32 v6, v9, v6 :: v_dual_sub_nc_u32 v8, 30, v8
	s_delay_alu instid0(VALU_DEP_1) | instskip(NEXT) | instid1(VALU_DEP_1)
	v_dual_lshlrev_b32 v1, 24, v1 :: v_dual_bitop2_b32 v6, 3, v6 bitop3:0x40
	v_dual_cndmask_b32 v8, v10, v8, vcc_lo :: v_dual_cndmask_b32 v6, v7, v6, vcc_lo
	s_delay_alu instid0(VALU_DEP_2) | instskip(NEXT) | instid1(VALU_DEP_2)
	v_and_b32_e32 v1, 0x80000000, v1
	v_lshl_add_u32 v7, v8, 23, 0x37800000
	s_delay_alu instid0(VALU_DEP_3) | instskip(NEXT) | instid1(VALU_DEP_1)
	v_lshlrev_b32_e32 v6, 21, v6
	v_or3_b32 v1, v1, v7, v6
	s_delay_alu instid0(VALU_DEP_1)
	v_cvt_f16_f32_e32 v6, v1
.LBB230_1274:
	s_or_b32 exec_lo, exec_lo, s16
	s_mov_b32 s15, 0
	s_branch .LBB230_1280
.LBB230_1275:
	s_mov_b32 s15, -1
                                        ; implicit-def: $vgpr6
	s_branch .LBB230_1286
.LBB230_1276:
	s_or_saveexec_b32 s17, s17
	v_mov_b32_e32 v6, 0x7e00
	s_xor_b32 exec_lo, exec_lo, s17
	s_cbranch_execz .LBB230_1260
.LBB230_1277:
	v_cmp_ne_u16_e32 vcc_lo, 0, v1
	v_mov_b32_e32 v6, v1
	s_and_not1_b32 s16, s16, exec_lo
	s_and_b32 s18, vcc_lo, exec_lo
	s_delay_alu instid0(SALU_CYCLE_1)
	s_or_b32 s16, s16, s18
	s_or_b32 exec_lo, exec_lo, s17
	s_and_saveexec_b32 s17, s16
	s_cbranch_execnz .LBB230_1261
	s_branch .LBB230_1262
.LBB230_1278:
	s_mov_b32 s15, -1
                                        ; implicit-def: $vgpr6
	s_branch .LBB230_1283
.LBB230_1279:
	s_mov_b32 s15, -1
                                        ; implicit-def: $vgpr6
.LBB230_1280:
	s_delay_alu instid0(SALU_CYCLE_1)
	s_and_b32 vcc_lo, exec_lo, s15
	s_cbranch_vccz .LBB230_1282
; %bb.1281:
	global_load_u8 v1, v[2:3], off
	s_wait_loadcnt 0x0
	v_lshlrev_b32_e32 v1, 24, v1
	s_delay_alu instid0(VALU_DEP_1) | instskip(NEXT) | instid1(VALU_DEP_1)
	v_and_b32_e32 v6, 0x7f000000, v1
	v_clz_i32_u32_e32 v7, v6
	v_cmp_ne_u32_e32 vcc_lo, 0, v6
	v_add_nc_u32_e32 v9, 0x1000000, v6
	s_delay_alu instid0(VALU_DEP_3) | instskip(NEXT) | instid1(VALU_DEP_1)
	v_min_u32_e32 v7, 32, v7
	v_sub_nc_u32_e64 v7, v7, 4 clamp
	s_delay_alu instid0(VALU_DEP_1) | instskip(NEXT) | instid1(VALU_DEP_1)
	v_dual_lshlrev_b32 v8, v7, v6 :: v_dual_lshlrev_b32 v7, 23, v7
	v_lshrrev_b32_e32 v8, 4, v8
	s_delay_alu instid0(VALU_DEP_1) | instskip(NEXT) | instid1(VALU_DEP_1)
	v_dual_sub_nc_u32 v7, v8, v7 :: v_dual_ashrrev_i32 v8, 8, v9
	v_add_nc_u32_e32 v7, 0x3c000000, v7
	s_delay_alu instid0(VALU_DEP_1) | instskip(NEXT) | instid1(VALU_DEP_1)
	v_and_or_b32 v7, 0x7f800000, v8, v7
	v_cndmask_b32_e32 v6, 0, v7, vcc_lo
	s_delay_alu instid0(VALU_DEP_1) | instskip(NEXT) | instid1(VALU_DEP_1)
	v_and_or_b32 v1, 0x80000000, v1, v6
	v_cvt_f16_f32_e32 v6, v1
.LBB230_1282:
	s_mov_b32 s15, 0
.LBB230_1283:
	s_delay_alu instid0(SALU_CYCLE_1)
	s_and_not1_b32 vcc_lo, exec_lo, s15
	s_cbranch_vccnz .LBB230_1285
; %bb.1284:
	global_load_u8 v1, v[2:3], off
	s_wait_loadcnt 0x0
	v_lshlrev_b32_e32 v6, 25, v1
	v_lshlrev_b16 v1, 8, v1
	s_delay_alu instid0(VALU_DEP_1) | instskip(SKIP_1) | instid1(VALU_DEP_2)
	v_and_or_b32 v8, 0x7f00, v1, 0.5
	v_bfe_i32 v1, v1, 0, 16
	v_dual_add_f32 v8, -0.5, v8 :: v_dual_lshrrev_b32 v7, 4, v6
	v_cmp_gt_u32_e32 vcc_lo, 0x8000000, v6
	s_delay_alu instid0(VALU_DEP_2) | instskip(NEXT) | instid1(VALU_DEP_1)
	v_or_b32_e32 v7, 0x70000000, v7
	v_mul_f32_e32 v7, 0x7800000, v7
	s_delay_alu instid0(VALU_DEP_1) | instskip(NEXT) | instid1(VALU_DEP_1)
	v_cndmask_b32_e32 v6, v7, v8, vcc_lo
	v_and_or_b32 v1, 0x80000000, v1, v6
	s_delay_alu instid0(VALU_DEP_1)
	v_cvt_f16_f32_e32 v6, v1
.LBB230_1285:
	s_mov_b32 s15, 0
	s_mov_b32 s16, -1
.LBB230_1286:
	s_and_not1_b32 vcc_lo, exec_lo, s15
	s_mov_b32 s15, 0
	s_cbranch_vccnz .LBB230_1297
; %bb.1287:
	s_cmp_gt_i32 s0, 14
	s_cbranch_scc0 .LBB230_1290
; %bb.1288:
	s_cmp_eq_u32 s0, 15
	s_cbranch_scc0 .LBB230_1293
; %bb.1289:
	global_load_u16 v1, v[2:3], off
	s_mov_b32 s12, 0
	s_mov_b32 s16, -1
	s_wait_loadcnt 0x0
	v_lshlrev_b32_e32 v1, 16, v1
	s_delay_alu instid0(VALU_DEP_1)
	v_cvt_f16_f32_e32 v6, v1
	s_branch .LBB230_1295
.LBB230_1290:
	s_mov_b32 s15, -1
	s_branch .LBB230_1294
.LBB230_1291:
	s_or_saveexec_b32 s16, s16
	v_mov_b32_e32 v6, 0x7e00
	s_xor_b32 exec_lo, exec_lo, s16
	s_cbranch_execz .LBB230_1272
.LBB230_1292:
	v_cmp_ne_u16_e32 vcc_lo, 0, v1
	v_mov_b32_e32 v6, v1
	s_and_not1_b32 s15, s15, exec_lo
	s_and_b32 s17, vcc_lo, exec_lo
	s_delay_alu instid0(SALU_CYCLE_1)
	s_or_b32 s15, s15, s17
	s_or_b32 exec_lo, exec_lo, s16
	s_and_saveexec_b32 s16, s15
	s_cbranch_execnz .LBB230_1273
	s_branch .LBB230_1274
.LBB230_1293:
	s_mov_b32 s12, -1
.LBB230_1294:
                                        ; implicit-def: $vgpr6
.LBB230_1295:
	s_and_b32 vcc_lo, exec_lo, s15
	s_mov_b32 s15, 0
	s_cbranch_vccz .LBB230_1297
; %bb.1296:
	s_cmp_lg_u32 s0, 11
	s_mov_b32 s15, -1
	s_cselect_b32 s12, -1, 0
.LBB230_1297:
	s_delay_alu instid0(SALU_CYCLE_1)
	s_and_b32 vcc_lo, exec_lo, s12
	s_cbranch_vccnz .LBB230_1372
; %bb.1298:
	s_and_not1_b32 vcc_lo, exec_lo, s15
	s_cbranch_vccnz .LBB230_1300
.LBB230_1299:
	global_load_u8 v1, v[2:3], off
	s_mov_b32 s16, -1
	s_wait_loadcnt 0x0
	v_cmp_ne_u16_e32 vcc_lo, 0, v1
	v_cndmask_b32_e64 v6, 0, 0x3c00, vcc_lo
.LBB230_1300:
	s_branch .LBB230_1226
.LBB230_1301:
	s_cmp_lt_i32 s0, 5
	s_cbranch_scc1 .LBB230_1306
; %bb.1302:
	s_cmp_lt_i32 s0, 8
	s_cbranch_scc1 .LBB230_1307
; %bb.1303:
	s_cmp_lt_i32 s0, 9
	s_cbranch_scc1 .LBB230_1308
; %bb.1304:
	s_cmp_gt_i32 s0, 9
	s_cbranch_scc0 .LBB230_1309
; %bb.1305:
	global_load_b64 v[6:7], v[2:3], off
	s_mov_b32 s12, 0
	s_wait_loadcnt 0x0
	v_and_or_b32 v1, 0x1ff, v7, v6
	v_lshrrev_b32_e32 v6, 8, v7
	v_bfe_u32 v8, v7, 20, 11
	s_delay_alu instid0(VALU_DEP_3) | instskip(NEXT) | instid1(VALU_DEP_2)
	v_cmp_ne_u32_e32 vcc_lo, 0, v1
	v_sub_nc_u32_e32 v9, 0x3f1, v8
	v_add_nc_u32_e32 v8, 0xfffffc10, v8
	v_cndmask_b32_e64 v1, 0, 1, vcc_lo
	s_delay_alu instid0(VALU_DEP_1) | instskip(NEXT) | instid1(VALU_DEP_4)
	v_and_or_b32 v1, 0xffe, v6, v1
	v_med3_i32 v6, v9, 0, 13
	s_delay_alu instid0(VALU_DEP_2) | instskip(NEXT) | instid1(VALU_DEP_1)
	v_or_b32_e32 v9, 0x1000, v1
	v_lshrrev_b32_e32 v10, v6, v9
	s_delay_alu instid0(VALU_DEP_1) | instskip(NEXT) | instid1(VALU_DEP_1)
	v_lshlrev_b32_e32 v6, v6, v10
	v_cmp_ne_u32_e32 vcc_lo, v6, v9
	v_lshl_or_b32 v9, v8, 12, v1
	v_cndmask_b32_e64 v6, 0, 1, vcc_lo
	v_cmp_gt_i32_e32 vcc_lo, 1, v8
	s_delay_alu instid0(VALU_DEP_2) | instskip(NEXT) | instid1(VALU_DEP_1)
	v_or_b32_e32 v6, v10, v6
	v_cndmask_b32_e32 v6, v9, v6, vcc_lo
	s_delay_alu instid0(VALU_DEP_1) | instskip(NEXT) | instid1(VALU_DEP_1)
	v_dual_lshrrev_b32 v6, 2, v6 :: v_dual_bitop2_b32 v9, 7, v6 bitop3:0x40
	v_cmp_lt_i32_e32 vcc_lo, 5, v9
	v_cndmask_b32_e64 v10, 0, 1, vcc_lo
	v_cmp_eq_u32_e32 vcc_lo, 3, v9
	v_cndmask_b32_e64 v9, 0, 1, vcc_lo
	v_cmp_ne_u32_e32 vcc_lo, 0, v1
	s_delay_alu instid0(VALU_DEP_2) | instskip(SKIP_1) | instid1(VALU_DEP_1)
	v_or_b32_e32 v9, v9, v10
	v_mov_b32_e32 v10, 0x7e00
	v_dual_cndmask_b32 v1, 0x7c00, v10 :: v_dual_add_nc_u32 v6, v6, v9
	v_cmp_gt_i32_e32 vcc_lo, 31, v8
	s_delay_alu instid0(VALU_DEP_2) | instskip(SKIP_1) | instid1(VALU_DEP_2)
	v_cndmask_b32_e32 v6, 0x7c00, v6, vcc_lo
	v_cmp_eq_u32_e32 vcc_lo, 0x40f, v8
	v_dual_cndmask_b32 v1, v6, v1 :: v_dual_lshrrev_b32 v6, 16, v7
	s_delay_alu instid0(VALU_DEP_1)
	v_and_or_b32 v6, 0x8000, v6, v1
	s_branch .LBB230_1310
.LBB230_1306:
                                        ; implicit-def: $vgpr6
	s_branch .LBB230_1328
.LBB230_1307:
	s_mov_b32 s12, -1
                                        ; implicit-def: $vgpr6
	s_branch .LBB230_1316
.LBB230_1308:
	s_mov_b32 s12, -1
                                        ; implicit-def: $vgpr6
	s_branch .LBB230_1313
.LBB230_1309:
	s_mov_b32 s12, -1
                                        ; implicit-def: $vgpr6
.LBB230_1310:
	s_delay_alu instid0(SALU_CYCLE_1)
	s_and_not1_b32 vcc_lo, exec_lo, s12
	s_cbranch_vccnz .LBB230_1312
; %bb.1311:
	global_load_b32 v1, v[2:3], off
	s_wait_loadcnt 0x0
	v_cvt_f16_f32_e32 v6, v1
.LBB230_1312:
	s_mov_b32 s12, 0
.LBB230_1313:
	s_delay_alu instid0(SALU_CYCLE_1)
	s_and_not1_b32 vcc_lo, exec_lo, s12
	s_cbranch_vccnz .LBB230_1315
; %bb.1314:
	global_load_b32 v6, v[2:3], off
.LBB230_1315:
	s_mov_b32 s12, 0
.LBB230_1316:
	s_delay_alu instid0(SALU_CYCLE_1)
	s_and_not1_b32 vcc_lo, exec_lo, s12
	s_cbranch_vccnz .LBB230_1327
; %bb.1317:
	s_cmp_lt_i32 s0, 6
	s_cbranch_scc1 .LBB230_1320
; %bb.1318:
	s_cmp_gt_i32 s0, 6
	s_cbranch_scc0 .LBB230_1321
; %bb.1319:
	s_wait_loadcnt 0x0
	global_load_b64 v[6:7], v[2:3], off
	s_mov_b32 s12, 0
	s_wait_loadcnt 0x0
	v_and_or_b32 v1, 0x1ff, v7, v6
	v_lshrrev_b32_e32 v6, 8, v7
	v_bfe_u32 v8, v7, 20, 11
	s_delay_alu instid0(VALU_DEP_3) | instskip(NEXT) | instid1(VALU_DEP_2)
	v_cmp_ne_u32_e32 vcc_lo, 0, v1
	v_sub_nc_u32_e32 v9, 0x3f1, v8
	v_add_nc_u32_e32 v8, 0xfffffc10, v8
	v_cndmask_b32_e64 v1, 0, 1, vcc_lo
	s_delay_alu instid0(VALU_DEP_1) | instskip(NEXT) | instid1(VALU_DEP_4)
	v_and_or_b32 v1, 0xffe, v6, v1
	v_med3_i32 v6, v9, 0, 13
	s_delay_alu instid0(VALU_DEP_2) | instskip(NEXT) | instid1(VALU_DEP_1)
	v_or_b32_e32 v9, 0x1000, v1
	v_lshrrev_b32_e32 v10, v6, v9
	s_delay_alu instid0(VALU_DEP_1) | instskip(NEXT) | instid1(VALU_DEP_1)
	v_lshlrev_b32_e32 v6, v6, v10
	v_cmp_ne_u32_e32 vcc_lo, v6, v9
	v_lshl_or_b32 v9, v8, 12, v1
	v_cndmask_b32_e64 v6, 0, 1, vcc_lo
	v_cmp_gt_i32_e32 vcc_lo, 1, v8
	s_delay_alu instid0(VALU_DEP_2) | instskip(NEXT) | instid1(VALU_DEP_1)
	v_or_b32_e32 v6, v10, v6
	v_cndmask_b32_e32 v6, v9, v6, vcc_lo
	s_delay_alu instid0(VALU_DEP_1) | instskip(NEXT) | instid1(VALU_DEP_1)
	v_dual_lshrrev_b32 v6, 2, v6 :: v_dual_bitop2_b32 v9, 7, v6 bitop3:0x40
	v_cmp_lt_i32_e32 vcc_lo, 5, v9
	v_cndmask_b32_e64 v10, 0, 1, vcc_lo
	v_cmp_eq_u32_e32 vcc_lo, 3, v9
	v_cndmask_b32_e64 v9, 0, 1, vcc_lo
	v_cmp_ne_u32_e32 vcc_lo, 0, v1
	s_delay_alu instid0(VALU_DEP_2) | instskip(SKIP_1) | instid1(VALU_DEP_1)
	v_or_b32_e32 v9, v9, v10
	v_mov_b32_e32 v10, 0x7e00
	v_dual_cndmask_b32 v1, 0x7c00, v10 :: v_dual_add_nc_u32 v6, v6, v9
	v_cmp_gt_i32_e32 vcc_lo, 31, v8
	s_delay_alu instid0(VALU_DEP_2) | instskip(SKIP_1) | instid1(VALU_DEP_2)
	v_cndmask_b32_e32 v6, 0x7c00, v6, vcc_lo
	v_cmp_eq_u32_e32 vcc_lo, 0x40f, v8
	v_dual_cndmask_b32 v1, v6, v1 :: v_dual_lshrrev_b32 v6, 16, v7
	s_delay_alu instid0(VALU_DEP_1)
	v_and_or_b32 v6, 0x8000, v6, v1
	s_branch .LBB230_1322
.LBB230_1320:
	s_mov_b32 s12, -1
                                        ; implicit-def: $vgpr6
	s_branch .LBB230_1325
.LBB230_1321:
	s_mov_b32 s12, -1
                                        ; implicit-def: $vgpr6
.LBB230_1322:
	s_delay_alu instid0(SALU_CYCLE_1)
	s_and_not1_b32 vcc_lo, exec_lo, s12
	s_cbranch_vccnz .LBB230_1324
; %bb.1323:
	global_load_b32 v1, v[2:3], off
	s_wait_loadcnt 0x0
	v_cvt_f16_f32_e32 v6, v1
.LBB230_1324:
	s_mov_b32 s12, 0
.LBB230_1325:
	s_delay_alu instid0(SALU_CYCLE_1)
	s_and_not1_b32 vcc_lo, exec_lo, s12
	s_cbranch_vccnz .LBB230_1327
; %bb.1326:
	s_wait_loadcnt 0x0
	global_load_u16 v6, v[2:3], off
.LBB230_1327:
	s_cbranch_execnz .LBB230_1347
.LBB230_1328:
	s_cmp_lt_i32 s0, 2
	s_cbranch_scc1 .LBB230_1332
; %bb.1329:
	s_cmp_lt_i32 s0, 3
	s_cbranch_scc1 .LBB230_1333
; %bb.1330:
	s_cmp_gt_i32 s0, 3
	s_cbranch_scc0 .LBB230_1334
; %bb.1331:
	s_wait_loadcnt 0x0
	global_load_b64 v[6:7], v[2:3], off
	s_mov_b32 s12, 0
	s_wait_loadcnt 0x0
	v_xor_b32_e32 v1, v6, v7
	v_cls_i32_e32 v8, v7
	s_delay_alu instid0(VALU_DEP_2) | instskip(NEXT) | instid1(VALU_DEP_1)
	v_ashrrev_i32_e32 v1, 31, v1
	v_add_nc_u32_e32 v1, 32, v1
	s_delay_alu instid0(VALU_DEP_1) | instskip(NEXT) | instid1(VALU_DEP_1)
	v_add_min_u32_e64 v1, v8, -1, v1
	v_lshlrev_b64_e32 v[6:7], v1, v[6:7]
	v_sub_nc_u32_e32 v1, 32, v1
	s_delay_alu instid0(VALU_DEP_2) | instskip(NEXT) | instid1(VALU_DEP_1)
	v_min_u32_e32 v6, 1, v6
	v_or_b32_e32 v6, v7, v6
	s_delay_alu instid0(VALU_DEP_1) | instskip(NEXT) | instid1(VALU_DEP_1)
	v_cvt_f32_i32_e32 v6, v6
	v_ldexp_f32 v1, v6, v1
	s_delay_alu instid0(VALU_DEP_1)
	v_cvt_f16_f32_e32 v6, v1
	s_branch .LBB230_1335
.LBB230_1332:
	s_mov_b32 s12, -1
                                        ; implicit-def: $vgpr6
	s_branch .LBB230_1341
.LBB230_1333:
	s_mov_b32 s12, -1
                                        ; implicit-def: $vgpr6
	s_branch .LBB230_1338
.LBB230_1334:
	s_mov_b32 s12, -1
                                        ; implicit-def: $vgpr6
.LBB230_1335:
	s_delay_alu instid0(SALU_CYCLE_1)
	s_and_not1_b32 vcc_lo, exec_lo, s12
	s_cbranch_vccnz .LBB230_1337
; %bb.1336:
	global_load_b32 v1, v[2:3], off
	s_wait_loadcnt 0x0
	v_cvt_f32_i32_e32 v1, v1
	s_delay_alu instid0(VALU_DEP_1)
	v_cvt_f16_f32_e32 v6, v1
.LBB230_1337:
	s_mov_b32 s12, 0
.LBB230_1338:
	s_delay_alu instid0(SALU_CYCLE_1)
	s_and_not1_b32 vcc_lo, exec_lo, s12
	s_cbranch_vccnz .LBB230_1340
; %bb.1339:
	global_load_u16 v1, v[2:3], off
	s_wait_loadcnt 0x0
	v_cvt_f16_i16_e32 v6, v1
.LBB230_1340:
	s_mov_b32 s12, 0
.LBB230_1341:
	s_delay_alu instid0(SALU_CYCLE_1)
	s_and_not1_b32 vcc_lo, exec_lo, s12
	s_cbranch_vccnz .LBB230_1347
; %bb.1342:
	s_cmp_gt_i32 s0, 0
	s_mov_b32 s12, 0
	s_cbranch_scc0 .LBB230_1344
; %bb.1343:
	global_load_i8 v1, v[2:3], off
	s_wait_loadcnt 0x0
	v_cvt_f16_i16_e32 v6, v1
	s_branch .LBB230_1345
.LBB230_1344:
	s_mov_b32 s12, -1
                                        ; implicit-def: $vgpr6
.LBB230_1345:
	s_delay_alu instid0(SALU_CYCLE_1)
	s_and_not1_b32 vcc_lo, exec_lo, s12
	s_cbranch_vccnz .LBB230_1347
; %bb.1346:
	global_load_u8 v1, v[2:3], off
	s_wait_loadcnt 0x0
	v_cvt_f16_u16_e32 v6, v1
.LBB230_1347:
.LBB230_1348:
	s_mov_b32 s12, exec_lo
	s_wait_loadcnt 0x0
	s_delay_alu instid0(VALU_DEP_1)
	v_cmpx_o_f16_e32 v6, v6
	s_cbranch_execz .LBB230_1360
; %bb.1349:
	v_cvt_f32_f16_e32 v1, v6
	s_cmp_lt_i32 s10, 1
	s_mov_b32 s15, 0
	s_cbranch_scc1 .LBB230_1352
; %bb.1350:
	s_cmp_eq_u32 s10, 1
	s_cbranch_scc0 .LBB230_1355
; %bb.1351:
	v_max_num_f32_e64 v2, s11, s11
	v_max_num_f32_e32 v3, v1, v1
	s_mov_b32 s16, 0
	s_delay_alu instid0(VALU_DEP_1) | instskip(NEXT) | instid1(VALU_DEP_1)
	v_min_num_f32_e32 v2, v3, v2
	v_cvt_f16_f32_e32 v6, v2
	s_branch .LBB230_1356
.LBB230_1352:
	s_mov_b32 s16, 0
                                        ; implicit-def: $vgpr6
	s_cbranch_execnz .LBB230_1357
.LBB230_1353:
	v_max_num_f32_e32 v1, v1, v1
	s_and_not1_b32 vcc_lo, exec_lo, s16
	s_cbranch_vccnz .LBB230_1358
.LBB230_1354:
	v_max_num_f32_e64 v2, s11, s11
	v_max_num_f32_e64 v3, s2, s2
	s_delay_alu instid0(VALU_DEP_1) | instskip(NEXT) | instid1(VALU_DEP_1)
	v_maxmin_num_f32 v2, v1, v2, v3
	v_cvt_f16_f32_e32 v6, v2
	s_cbranch_execz .LBB230_1359
	s_branch .LBB230_1360
.LBB230_1355:
	s_mov_b32 s16, -1
                                        ; implicit-def: $vgpr6
.LBB230_1356:
	s_branch .LBB230_1353
.LBB230_1357:
	s_cmp_lg_u32 s10, 0
	s_mov_b32 s15, -1
	s_cselect_b32 s16, -1, 0
	v_max_num_f32_e32 v1, v1, v1
	s_and_not1_b32 vcc_lo, exec_lo, s16
	s_cbranch_vccz .LBB230_1354
.LBB230_1358:
	s_and_not1_b32 vcc_lo, exec_lo, s15
	s_cbranch_vccnz .LBB230_1360
.LBB230_1359:
	v_max_num_f32_e64 v2, s11, s11
	s_delay_alu instid0(VALU_DEP_1) | instskip(NEXT) | instid1(VALU_DEP_1)
	v_max_num_f32_e32 v1, v1, v2
	v_cvt_f16_f32_e32 v6, v1
.LBB230_1360:
	s_or_b32 exec_lo, exec_lo, s12
	v_add_nc_u32_e32 v0, s9, v0
	s_cmp_lt_i32 s0, 11
	s_delay_alu instid0(VALU_DEP_1) | instskip(NEXT) | instid1(VALU_DEP_1)
	v_ashrrev_i32_e32 v1, 31, v0
	v_add_nc_u64_e32 v[2:3], s[6:7], v[0:1]
	s_cbranch_scc1 .LBB230_1367
; %bb.1361:
	s_cmp_gt_i32 s0, 25
	s_mov_b32 s15, 0
	s_cbranch_scc0 .LBB230_1369
; %bb.1362:
	s_cmp_gt_i32 s0, 28
	s_cbranch_scc0 .LBB230_1370
; %bb.1363:
	s_cmp_gt_i32 s0, 43
	s_cbranch_scc0 .LBB230_1371
; %bb.1364:
	s_cmp_gt_i32 s0, 45
	s_cbranch_scc0 .LBB230_1373
; %bb.1365:
	s_cmp_eq_u32 s0, 46
	s_mov_b32 s17, 0
	s_cbranch_scc0 .LBB230_1374
; %bb.1366:
	global_load_b32 v1, v[2:3], off
	s_mov_b32 s12, 0
	s_mov_b32 s16, -1
	s_wait_loadcnt 0x0
	v_lshlrev_b32_e32 v1, 16, v1
	s_delay_alu instid0(VALU_DEP_1)
	v_cvt_f16_f32_e32 v7, v1
	s_branch .LBB230_1376
.LBB230_1367:
	s_mov_b32 s16, 0
                                        ; implicit-def: $vgpr7
	s_cbranch_execnz .LBB230_1442
.LBB230_1368:
	s_and_not1_b32 vcc_lo, exec_lo, s16
	s_cbranch_vccnz .LBB230_1638
	s_branch .LBB230_1490
.LBB230_1369:
	s_mov_b32 s17, -1
	s_mov_b32 s16, 0
	s_mov_b32 s12, 0
                                        ; implicit-def: $vgpr7
	s_branch .LBB230_1405
.LBB230_1370:
	s_mov_b32 s17, -1
	s_mov_b32 s16, 0
	s_mov_b32 s12, 0
                                        ; implicit-def: $vgpr7
	s_branch .LBB230_1386
.LBB230_1371:
	s_mov_b32 s17, -1
	s_mov_b32 s16, 0
	s_mov_b32 s12, 0
                                        ; implicit-def: $vgpr7
	s_branch .LBB230_1381
.LBB230_1372:
	s_or_b32 s1, s1, exec_lo
	s_trap 2
	s_cbranch_execz .LBB230_1299
	s_branch .LBB230_1300
.LBB230_1373:
	s_mov_b32 s17, -1
	s_mov_b32 s16, 0
	s_mov_b32 s12, 0
	s_branch .LBB230_1375
.LBB230_1374:
	s_mov_b32 s12, -1
	s_mov_b32 s16, 0
.LBB230_1375:
                                        ; implicit-def: $vgpr7
.LBB230_1376:
	s_and_b32 vcc_lo, exec_lo, s17
	s_cbranch_vccz .LBB230_1380
; %bb.1377:
	s_cmp_eq_u32 s0, 44
	s_cbranch_scc0 .LBB230_1379
; %bb.1378:
	global_load_u8 v1, v[2:3], off
	s_mov_b32 s12, 0
	s_mov_b32 s16, -1
	s_wait_loadcnt 0x0
	v_lshlrev_b32_e32 v7, 23, v1
	v_cmp_ne_u32_e32 vcc_lo, 0xff, v1
	s_delay_alu instid0(VALU_DEP_2) | instskip(NEXT) | instid1(VALU_DEP_1)
	v_cvt_f16_f32_e32 v7, v7
	v_cndmask_b32_e32 v7, 0x7e00, v7, vcc_lo
	v_cmp_ne_u32_e32 vcc_lo, 0, v1
	s_delay_alu instid0(VALU_DEP_2)
	v_cndmask_b32_e32 v7, 0, v7, vcc_lo
	s_branch .LBB230_1380
.LBB230_1379:
	s_mov_b32 s12, -1
                                        ; implicit-def: $vgpr7
.LBB230_1380:
	s_mov_b32 s17, 0
.LBB230_1381:
	s_delay_alu instid0(SALU_CYCLE_1)
	s_and_b32 vcc_lo, exec_lo, s17
	s_cbranch_vccz .LBB230_1385
; %bb.1382:
	s_cmp_eq_u32 s0, 29
	s_cbranch_scc0 .LBB230_1384
; %bb.1383:
	global_load_b64 v[8:9], v[2:3], off
	s_mov_b32 s12, 0
	s_mov_b32 s16, -1
	s_mov_b32 s17, 0
	s_wait_loadcnt 0x0
	v_clz_i32_u32_e32 v1, v9
	s_delay_alu instid0(VALU_DEP_1) | instskip(NEXT) | instid1(VALU_DEP_1)
	v_min_u32_e32 v1, 32, v1
	v_lshlrev_b64_e32 v[8:9], v1, v[8:9]
	v_sub_nc_u32_e32 v1, 32, v1
	s_delay_alu instid0(VALU_DEP_2) | instskip(NEXT) | instid1(VALU_DEP_1)
	v_min_u32_e32 v7, 1, v8
	v_or_b32_e32 v7, v9, v7
	s_delay_alu instid0(VALU_DEP_1) | instskip(NEXT) | instid1(VALU_DEP_1)
	v_cvt_f32_u32_e32 v7, v7
	v_ldexp_f32 v1, v7, v1
	s_delay_alu instid0(VALU_DEP_1)
	v_cvt_f16_f32_e32 v7, v1
	s_branch .LBB230_1386
.LBB230_1384:
	s_mov_b32 s12, -1
                                        ; implicit-def: $vgpr7
.LBB230_1385:
	s_mov_b32 s17, 0
.LBB230_1386:
	s_delay_alu instid0(SALU_CYCLE_1)
	s_and_b32 vcc_lo, exec_lo, s17
	s_cbranch_vccz .LBB230_1404
; %bb.1387:
	s_cmp_lt_i32 s0, 27
	s_cbranch_scc1 .LBB230_1390
; %bb.1388:
	s_cmp_gt_i32 s0, 27
	s_cbranch_scc0 .LBB230_1391
; %bb.1389:
	global_load_b32 v1, v[2:3], off
	s_mov_b32 s16, 0
	s_wait_loadcnt 0x0
	v_cvt_f32_u32_e32 v1, v1
	s_delay_alu instid0(VALU_DEP_1)
	v_cvt_f16_f32_e32 v7, v1
	s_branch .LBB230_1392
.LBB230_1390:
	s_mov_b32 s16, -1
                                        ; implicit-def: $vgpr7
	s_branch .LBB230_1395
.LBB230_1391:
	s_mov_b32 s16, -1
                                        ; implicit-def: $vgpr7
.LBB230_1392:
	s_delay_alu instid0(SALU_CYCLE_1)
	s_and_not1_b32 vcc_lo, exec_lo, s16
	s_cbranch_vccnz .LBB230_1394
; %bb.1393:
	global_load_u16 v1, v[2:3], off
	s_wait_loadcnt 0x0
	v_cvt_f16_u16_e32 v7, v1
.LBB230_1394:
	s_mov_b32 s16, 0
.LBB230_1395:
	s_delay_alu instid0(SALU_CYCLE_1)
	s_and_not1_b32 vcc_lo, exec_lo, s16
	s_cbranch_vccnz .LBB230_1403
; %bb.1396:
	global_load_u8 v1, v[2:3], off
	s_mov_b32 s16, 0
	s_mov_b32 s17, exec_lo
	s_wait_loadcnt 0x0
	v_cmpx_lt_i16_e32 0x7f, v1
	s_xor_b32 s17, exec_lo, s17
	s_cbranch_execz .LBB230_1417
; %bb.1397:
	s_mov_b32 s16, -1
	s_mov_b32 s18, exec_lo
	v_cmpx_eq_u16_e32 0x80, v1
; %bb.1398:
	s_xor_b32 s16, exec_lo, -1
; %bb.1399:
	s_or_b32 exec_lo, exec_lo, s18
	s_delay_alu instid0(SALU_CYCLE_1)
	s_and_b32 s16, s16, exec_lo
	s_or_saveexec_b32 s17, s17
	v_mov_b32_e32 v7, 0x7e00
	s_xor_b32 exec_lo, exec_lo, s17
	s_cbranch_execnz .LBB230_1418
.LBB230_1400:
	s_or_b32 exec_lo, exec_lo, s17
	s_and_saveexec_b32 s17, s16
	s_cbranch_execz .LBB230_1402
.LBB230_1401:
	v_and_b32_e32 v7, 0xffff, v1
	s_delay_alu instid0(VALU_DEP_1) | instskip(SKIP_1) | instid1(VALU_DEP_2)
	v_and_b32_e32 v8, 7, v7
	v_bfe_u32 v11, v7, 3, 4
	v_clz_i32_u32_e32 v9, v8
	s_delay_alu instid0(VALU_DEP_2) | instskip(NEXT) | instid1(VALU_DEP_2)
	v_cmp_eq_u32_e32 vcc_lo, 0, v11
	v_min_u32_e32 v9, 32, v9
	s_delay_alu instid0(VALU_DEP_1) | instskip(NEXT) | instid1(VALU_DEP_1)
	v_subrev_nc_u32_e32 v10, 28, v9
	v_dual_lshlrev_b32 v7, v10, v7 :: v_dual_sub_nc_u32 v9, 29, v9
	s_delay_alu instid0(VALU_DEP_1) | instskip(NEXT) | instid1(VALU_DEP_1)
	v_dual_lshlrev_b32 v1, 24, v1 :: v_dual_bitop2_b32 v7, 7, v7 bitop3:0x40
	v_dual_cndmask_b32 v7, v8, v7, vcc_lo :: v_dual_cndmask_b32 v9, v11, v9, vcc_lo
	s_delay_alu instid0(VALU_DEP_2) | instskip(NEXT) | instid1(VALU_DEP_2)
	v_and_b32_e32 v1, 0x80000000, v1
	v_lshlrev_b32_e32 v7, 20, v7
	s_delay_alu instid0(VALU_DEP_3) | instskip(NEXT) | instid1(VALU_DEP_1)
	v_lshl_add_u32 v8, v9, 23, 0x3b800000
	v_or3_b32 v1, v1, v8, v7
	s_delay_alu instid0(VALU_DEP_1)
	v_cvt_f16_f32_e32 v7, v1
.LBB230_1402:
	s_or_b32 exec_lo, exec_lo, s17
.LBB230_1403:
	s_mov_b32 s16, -1
.LBB230_1404:
	s_mov_b32 s17, 0
.LBB230_1405:
	s_delay_alu instid0(SALU_CYCLE_1)
	s_and_b32 vcc_lo, exec_lo, s17
	s_cbranch_vccz .LBB230_1438
; %bb.1406:
	s_cmp_gt_i32 s0, 22
	s_cbranch_scc0 .LBB230_1416
; %bb.1407:
	s_cmp_lt_i32 s0, 24
	s_cbranch_scc1 .LBB230_1419
; %bb.1408:
	s_cmp_gt_i32 s0, 24
	s_cbranch_scc0 .LBB230_1420
; %bb.1409:
	global_load_u8 v1, v[2:3], off
	s_mov_b32 s16, exec_lo
	s_wait_loadcnt 0x0
	v_cmpx_lt_i16_e32 0x7f, v1
	s_xor_b32 s16, exec_lo, s16
	s_cbranch_execz .LBB230_1432
; %bb.1410:
	s_mov_b32 s15, -1
	s_mov_b32 s17, exec_lo
	v_cmpx_eq_u16_e32 0x80, v1
; %bb.1411:
	s_xor_b32 s15, exec_lo, -1
; %bb.1412:
	s_or_b32 exec_lo, exec_lo, s17
	s_delay_alu instid0(SALU_CYCLE_1)
	s_and_b32 s15, s15, exec_lo
	s_or_saveexec_b32 s16, s16
	v_mov_b32_e32 v7, 0x7e00
	s_xor_b32 exec_lo, exec_lo, s16
	s_cbranch_execnz .LBB230_1433
.LBB230_1413:
	s_or_b32 exec_lo, exec_lo, s16
	s_and_saveexec_b32 s16, s15
	s_cbranch_execz .LBB230_1415
.LBB230_1414:
	v_and_b32_e32 v7, 0xffff, v1
	s_delay_alu instid0(VALU_DEP_1) | instskip(SKIP_1) | instid1(VALU_DEP_2)
	v_and_b32_e32 v8, 3, v7
	v_bfe_u32 v11, v7, 2, 5
	v_clz_i32_u32_e32 v9, v8
	s_delay_alu instid0(VALU_DEP_2) | instskip(NEXT) | instid1(VALU_DEP_2)
	v_cmp_eq_u32_e32 vcc_lo, 0, v11
	v_min_u32_e32 v9, 32, v9
	s_delay_alu instid0(VALU_DEP_1) | instskip(NEXT) | instid1(VALU_DEP_1)
	v_subrev_nc_u32_e32 v10, 29, v9
	v_dual_lshlrev_b32 v7, v10, v7 :: v_dual_sub_nc_u32 v9, 30, v9
	s_delay_alu instid0(VALU_DEP_1) | instskip(NEXT) | instid1(VALU_DEP_1)
	v_dual_lshlrev_b32 v1, 24, v1 :: v_dual_bitop2_b32 v7, 3, v7 bitop3:0x40
	v_dual_cndmask_b32 v7, v8, v7, vcc_lo :: v_dual_cndmask_b32 v9, v11, v9, vcc_lo
	s_delay_alu instid0(VALU_DEP_2) | instskip(NEXT) | instid1(VALU_DEP_2)
	v_and_b32_e32 v1, 0x80000000, v1
	v_lshlrev_b32_e32 v7, 21, v7
	s_delay_alu instid0(VALU_DEP_3) | instskip(NEXT) | instid1(VALU_DEP_1)
	v_lshl_add_u32 v8, v9, 23, 0x37800000
	v_or3_b32 v1, v1, v8, v7
	s_delay_alu instid0(VALU_DEP_1)
	v_cvt_f16_f32_e32 v7, v1
.LBB230_1415:
	s_or_b32 exec_lo, exec_lo, s16
	s_mov_b32 s15, 0
	s_branch .LBB230_1421
.LBB230_1416:
	s_mov_b32 s15, -1
                                        ; implicit-def: $vgpr7
	s_branch .LBB230_1427
.LBB230_1417:
	s_or_saveexec_b32 s17, s17
	v_mov_b32_e32 v7, 0x7e00
	s_xor_b32 exec_lo, exec_lo, s17
	s_cbranch_execz .LBB230_1400
.LBB230_1418:
	v_cmp_ne_u16_e32 vcc_lo, 0, v1
	v_mov_b32_e32 v7, v1
	s_and_not1_b32 s16, s16, exec_lo
	s_and_b32 s18, vcc_lo, exec_lo
	s_delay_alu instid0(SALU_CYCLE_1)
	s_or_b32 s16, s16, s18
	s_or_b32 exec_lo, exec_lo, s17
	s_and_saveexec_b32 s17, s16
	s_cbranch_execnz .LBB230_1401
	s_branch .LBB230_1402
.LBB230_1419:
	s_mov_b32 s15, -1
                                        ; implicit-def: $vgpr7
	s_branch .LBB230_1424
.LBB230_1420:
	s_mov_b32 s15, -1
                                        ; implicit-def: $vgpr7
.LBB230_1421:
	s_delay_alu instid0(SALU_CYCLE_1)
	s_and_b32 vcc_lo, exec_lo, s15
	s_cbranch_vccz .LBB230_1423
; %bb.1422:
	global_load_u8 v1, v[2:3], off
	s_wait_loadcnt 0x0
	v_lshlrev_b32_e32 v1, 24, v1
	s_delay_alu instid0(VALU_DEP_1) | instskip(NEXT) | instid1(VALU_DEP_1)
	v_and_b32_e32 v7, 0x7f000000, v1
	v_clz_i32_u32_e32 v8, v7
	v_cmp_ne_u32_e32 vcc_lo, 0, v7
	v_add_nc_u32_e32 v10, 0x1000000, v7
	s_delay_alu instid0(VALU_DEP_3) | instskip(NEXT) | instid1(VALU_DEP_1)
	v_min_u32_e32 v8, 32, v8
	v_sub_nc_u32_e64 v8, v8, 4 clamp
	s_delay_alu instid0(VALU_DEP_1) | instskip(NEXT) | instid1(VALU_DEP_1)
	v_dual_lshlrev_b32 v9, v8, v7 :: v_dual_lshlrev_b32 v8, 23, v8
	v_lshrrev_b32_e32 v9, 4, v9
	s_delay_alu instid0(VALU_DEP_1) | instskip(NEXT) | instid1(VALU_DEP_1)
	v_dual_sub_nc_u32 v8, v9, v8 :: v_dual_ashrrev_i32 v9, 8, v10
	v_add_nc_u32_e32 v8, 0x3c000000, v8
	s_delay_alu instid0(VALU_DEP_1) | instskip(NEXT) | instid1(VALU_DEP_1)
	v_and_or_b32 v8, 0x7f800000, v9, v8
	v_cndmask_b32_e32 v7, 0, v8, vcc_lo
	s_delay_alu instid0(VALU_DEP_1) | instskip(NEXT) | instid1(VALU_DEP_1)
	v_and_or_b32 v1, 0x80000000, v1, v7
	v_cvt_f16_f32_e32 v7, v1
.LBB230_1423:
	s_mov_b32 s15, 0
.LBB230_1424:
	s_delay_alu instid0(SALU_CYCLE_1)
	s_and_not1_b32 vcc_lo, exec_lo, s15
	s_cbranch_vccnz .LBB230_1426
; %bb.1425:
	global_load_u8 v1, v[2:3], off
	s_wait_loadcnt 0x0
	v_lshlrev_b32_e32 v7, 25, v1
	v_lshlrev_b16 v1, 8, v1
	s_delay_alu instid0(VALU_DEP_1) | instskip(NEXT) | instid1(VALU_DEP_3)
	v_and_or_b32 v9, 0x7f00, v1, 0.5
	v_lshrrev_b32_e32 v8, 4, v7
	v_bfe_i32 v1, v1, 0, 16
	s_delay_alu instid0(VALU_DEP_3) | instskip(NEXT) | instid1(VALU_DEP_3)
	v_add_f32_e32 v9, -0.5, v9
	v_or_b32_e32 v8, 0x70000000, v8
	s_delay_alu instid0(VALU_DEP_1) | instskip(SKIP_1) | instid1(VALU_DEP_2)
	v_mul_f32_e32 v8, 0x7800000, v8
	v_cmp_gt_u32_e32 vcc_lo, 0x8000000, v7
	v_cndmask_b32_e32 v7, v8, v9, vcc_lo
	s_delay_alu instid0(VALU_DEP_1) | instskip(NEXT) | instid1(VALU_DEP_1)
	v_and_or_b32 v1, 0x80000000, v1, v7
	v_cvt_f16_f32_e32 v7, v1
.LBB230_1426:
	s_mov_b32 s15, 0
	s_mov_b32 s16, -1
.LBB230_1427:
	s_and_not1_b32 vcc_lo, exec_lo, s15
	s_mov_b32 s15, 0
	s_cbranch_vccnz .LBB230_1438
; %bb.1428:
	s_cmp_gt_i32 s0, 14
	s_cbranch_scc0 .LBB230_1431
; %bb.1429:
	s_cmp_eq_u32 s0, 15
	s_cbranch_scc0 .LBB230_1434
; %bb.1430:
	global_load_u16 v1, v[2:3], off
	s_mov_b32 s12, 0
	s_mov_b32 s16, -1
	s_wait_loadcnt 0x0
	v_lshlrev_b32_e32 v1, 16, v1
	s_delay_alu instid0(VALU_DEP_1)
	v_cvt_f16_f32_e32 v7, v1
	s_branch .LBB230_1436
.LBB230_1431:
	s_mov_b32 s15, -1
	s_branch .LBB230_1435
.LBB230_1432:
	s_or_saveexec_b32 s16, s16
	v_mov_b32_e32 v7, 0x7e00
	s_xor_b32 exec_lo, exec_lo, s16
	s_cbranch_execz .LBB230_1413
.LBB230_1433:
	v_cmp_ne_u16_e32 vcc_lo, 0, v1
	v_mov_b32_e32 v7, v1
	s_and_not1_b32 s15, s15, exec_lo
	s_and_b32 s17, vcc_lo, exec_lo
	s_delay_alu instid0(SALU_CYCLE_1)
	s_or_b32 s15, s15, s17
	s_or_b32 exec_lo, exec_lo, s16
	s_and_saveexec_b32 s16, s15
	s_cbranch_execnz .LBB230_1414
	s_branch .LBB230_1415
.LBB230_1434:
	s_mov_b32 s12, -1
.LBB230_1435:
                                        ; implicit-def: $vgpr7
.LBB230_1436:
	s_and_b32 vcc_lo, exec_lo, s15
	s_mov_b32 s15, 0
	s_cbranch_vccz .LBB230_1438
; %bb.1437:
	s_cmp_lg_u32 s0, 11
	s_mov_b32 s15, -1
	s_cselect_b32 s12, -1, 0
.LBB230_1438:
	s_delay_alu instid0(SALU_CYCLE_1)
	s_and_b32 vcc_lo, exec_lo, s12
	s_cbranch_vccnz .LBB230_1514
; %bb.1439:
	s_and_not1_b32 vcc_lo, exec_lo, s15
	s_cbranch_vccnz .LBB230_1441
.LBB230_1440:
	global_load_u8 v1, v[2:3], off
	s_mov_b32 s16, -1
	s_wait_loadcnt 0x0
	v_cmp_ne_u16_e32 vcc_lo, 0, v1
	v_cndmask_b32_e64 v7, 0, 0x3c00, vcc_lo
.LBB230_1441:
	s_branch .LBB230_1368
.LBB230_1442:
	s_cmp_lt_i32 s0, 5
	s_cbranch_scc1 .LBB230_1447
; %bb.1443:
	s_cmp_lt_i32 s0, 8
	s_cbranch_scc1 .LBB230_1448
; %bb.1444:
	;; [unrolled: 3-line block ×3, first 2 shown]
	s_cmp_gt_i32 s0, 9
	s_cbranch_scc0 .LBB230_1450
; %bb.1446:
	global_load_b64 v[8:9], v[2:3], off
	s_mov_b32 s12, 0
	s_wait_loadcnt 0x0
	v_and_or_b32 v1, 0x1ff, v9, v8
	v_lshrrev_b32_e32 v7, 8, v9
	v_bfe_u32 v8, v9, 20, 11
	s_delay_alu instid0(VALU_DEP_3) | instskip(NEXT) | instid1(VALU_DEP_2)
	v_cmp_ne_u32_e32 vcc_lo, 0, v1
	v_sub_nc_u32_e32 v10, 0x3f1, v8
	v_add_nc_u32_e32 v8, 0xfffffc10, v8
	v_cndmask_b32_e64 v1, 0, 1, vcc_lo
	s_delay_alu instid0(VALU_DEP_1) | instskip(NEXT) | instid1(VALU_DEP_4)
	v_and_or_b32 v1, 0xffe, v7, v1
	v_med3_i32 v7, v10, 0, 13
	s_delay_alu instid0(VALU_DEP_2) | instskip(NEXT) | instid1(VALU_DEP_1)
	v_or_b32_e32 v10, 0x1000, v1
	v_lshrrev_b32_e32 v11, v7, v10
	s_delay_alu instid0(VALU_DEP_1) | instskip(NEXT) | instid1(VALU_DEP_1)
	v_lshlrev_b32_e32 v7, v7, v11
	v_cmp_ne_u32_e32 vcc_lo, v7, v10
	v_lshl_or_b32 v10, v8, 12, v1
	v_cndmask_b32_e64 v7, 0, 1, vcc_lo
	v_cmp_gt_i32_e32 vcc_lo, 1, v8
	s_delay_alu instid0(VALU_DEP_2) | instskip(NEXT) | instid1(VALU_DEP_1)
	v_or_b32_e32 v7, v11, v7
	v_cndmask_b32_e32 v7, v10, v7, vcc_lo
	s_delay_alu instid0(VALU_DEP_1) | instskip(NEXT) | instid1(VALU_DEP_1)
	v_dual_lshrrev_b32 v7, 2, v7 :: v_dual_bitop2_b32 v10, 7, v7 bitop3:0x40
	v_cmp_lt_i32_e32 vcc_lo, 5, v10
	v_cndmask_b32_e64 v11, 0, 1, vcc_lo
	v_cmp_eq_u32_e32 vcc_lo, 3, v10
	v_cndmask_b32_e64 v10, 0, 1, vcc_lo
	v_cmp_ne_u32_e32 vcc_lo, 0, v1
	s_delay_alu instid0(VALU_DEP_2) | instskip(SKIP_1) | instid1(VALU_DEP_2)
	v_or_b32_e32 v10, v10, v11
	v_mov_b32_e32 v11, 0x7e00
	v_add_nc_u32_e32 v7, v7, v10
	s_delay_alu instid0(VALU_DEP_2) | instskip(SKIP_1) | instid1(VALU_DEP_3)
	v_cndmask_b32_e32 v1, 0x7c00, v11, vcc_lo
	v_cmp_gt_i32_e32 vcc_lo, 31, v8
	v_cndmask_b32_e32 v7, 0x7c00, v7, vcc_lo
	v_cmp_eq_u32_e32 vcc_lo, 0x40f, v8
	s_delay_alu instid0(VALU_DEP_2) | instskip(SKIP_1) | instid1(VALU_DEP_1)
	v_cndmask_b32_e32 v1, v7, v1, vcc_lo
	v_lshrrev_b32_e32 v7, 16, v9
	v_and_or_b32 v7, 0x8000, v7, v1
	s_branch .LBB230_1451
.LBB230_1447:
	s_mov_b32 s12, -1
                                        ; implicit-def: $vgpr7
	s_branch .LBB230_1469
.LBB230_1448:
	s_mov_b32 s12, -1
                                        ; implicit-def: $vgpr7
	s_branch .LBB230_1457
.LBB230_1449:
	s_mov_b32 s12, -1
                                        ; implicit-def: $vgpr7
	s_branch .LBB230_1454
.LBB230_1450:
	s_mov_b32 s12, -1
                                        ; implicit-def: $vgpr7
.LBB230_1451:
	s_delay_alu instid0(SALU_CYCLE_1)
	s_and_not1_b32 vcc_lo, exec_lo, s12
	s_cbranch_vccnz .LBB230_1453
; %bb.1452:
	global_load_b32 v1, v[2:3], off
	s_wait_loadcnt 0x0
	v_cvt_f16_f32_e32 v7, v1
.LBB230_1453:
	s_mov_b32 s12, 0
.LBB230_1454:
	s_delay_alu instid0(SALU_CYCLE_1)
	s_and_not1_b32 vcc_lo, exec_lo, s12
	s_cbranch_vccnz .LBB230_1456
; %bb.1455:
	global_load_b32 v7, v[2:3], off
.LBB230_1456:
	s_mov_b32 s12, 0
.LBB230_1457:
	s_delay_alu instid0(SALU_CYCLE_1)
	s_and_not1_b32 vcc_lo, exec_lo, s12
	s_cbranch_vccnz .LBB230_1468
; %bb.1458:
	s_cmp_lt_i32 s0, 6
	s_cbranch_scc1 .LBB230_1461
; %bb.1459:
	s_cmp_gt_i32 s0, 6
	s_cbranch_scc0 .LBB230_1462
; %bb.1460:
	global_load_b64 v[8:9], v[2:3], off
	s_mov_b32 s12, 0
	s_wait_loadcnt 0x0
	v_and_or_b32 v1, 0x1ff, v9, v8
	v_lshrrev_b32_e32 v7, 8, v9
	v_bfe_u32 v8, v9, 20, 11
	s_delay_alu instid0(VALU_DEP_3) | instskip(NEXT) | instid1(VALU_DEP_2)
	v_cmp_ne_u32_e32 vcc_lo, 0, v1
	v_sub_nc_u32_e32 v10, 0x3f1, v8
	v_add_nc_u32_e32 v8, 0xfffffc10, v8
	v_cndmask_b32_e64 v1, 0, 1, vcc_lo
	s_delay_alu instid0(VALU_DEP_1) | instskip(NEXT) | instid1(VALU_DEP_4)
	v_and_or_b32 v1, 0xffe, v7, v1
	v_med3_i32 v7, v10, 0, 13
	s_delay_alu instid0(VALU_DEP_2) | instskip(NEXT) | instid1(VALU_DEP_1)
	v_or_b32_e32 v10, 0x1000, v1
	v_lshrrev_b32_e32 v11, v7, v10
	s_delay_alu instid0(VALU_DEP_1) | instskip(NEXT) | instid1(VALU_DEP_1)
	v_lshlrev_b32_e32 v7, v7, v11
	v_cmp_ne_u32_e32 vcc_lo, v7, v10
	v_lshl_or_b32 v10, v8, 12, v1
	v_cndmask_b32_e64 v7, 0, 1, vcc_lo
	v_cmp_gt_i32_e32 vcc_lo, 1, v8
	s_delay_alu instid0(VALU_DEP_2) | instskip(NEXT) | instid1(VALU_DEP_1)
	v_or_b32_e32 v7, v11, v7
	v_cndmask_b32_e32 v7, v10, v7, vcc_lo
	s_delay_alu instid0(VALU_DEP_1) | instskip(NEXT) | instid1(VALU_DEP_1)
	v_dual_lshrrev_b32 v7, 2, v7 :: v_dual_bitop2_b32 v10, 7, v7 bitop3:0x40
	v_cmp_lt_i32_e32 vcc_lo, 5, v10
	v_cndmask_b32_e64 v11, 0, 1, vcc_lo
	v_cmp_eq_u32_e32 vcc_lo, 3, v10
	v_cndmask_b32_e64 v10, 0, 1, vcc_lo
	v_cmp_ne_u32_e32 vcc_lo, 0, v1
	s_delay_alu instid0(VALU_DEP_2) | instskip(SKIP_1) | instid1(VALU_DEP_2)
	v_or_b32_e32 v10, v10, v11
	v_mov_b32_e32 v11, 0x7e00
	v_add_nc_u32_e32 v7, v7, v10
	s_delay_alu instid0(VALU_DEP_2) | instskip(SKIP_1) | instid1(VALU_DEP_3)
	v_cndmask_b32_e32 v1, 0x7c00, v11, vcc_lo
	v_cmp_gt_i32_e32 vcc_lo, 31, v8
	v_cndmask_b32_e32 v7, 0x7c00, v7, vcc_lo
	v_cmp_eq_u32_e32 vcc_lo, 0x40f, v8
	s_delay_alu instid0(VALU_DEP_2) | instskip(SKIP_1) | instid1(VALU_DEP_1)
	v_cndmask_b32_e32 v1, v7, v1, vcc_lo
	v_lshrrev_b32_e32 v7, 16, v9
	v_and_or_b32 v7, 0x8000, v7, v1
	s_branch .LBB230_1463
.LBB230_1461:
	s_mov_b32 s12, -1
                                        ; implicit-def: $vgpr7
	s_branch .LBB230_1466
.LBB230_1462:
	s_mov_b32 s12, -1
                                        ; implicit-def: $vgpr7
.LBB230_1463:
	s_delay_alu instid0(SALU_CYCLE_1)
	s_and_not1_b32 vcc_lo, exec_lo, s12
	s_cbranch_vccnz .LBB230_1465
; %bb.1464:
	global_load_b32 v1, v[2:3], off
	s_wait_loadcnt 0x0
	v_cvt_f16_f32_e32 v7, v1
.LBB230_1465:
	s_mov_b32 s12, 0
.LBB230_1466:
	s_delay_alu instid0(SALU_CYCLE_1)
	s_and_not1_b32 vcc_lo, exec_lo, s12
	s_cbranch_vccnz .LBB230_1468
; %bb.1467:
	s_wait_loadcnt 0x0
	global_load_u16 v7, v[2:3], off
.LBB230_1468:
	s_mov_b32 s12, 0
.LBB230_1469:
	s_delay_alu instid0(SALU_CYCLE_1)
	s_and_not1_b32 vcc_lo, exec_lo, s12
	s_cbranch_vccnz .LBB230_1489
; %bb.1470:
	s_cmp_lt_i32 s0, 2
	s_cbranch_scc1 .LBB230_1474
; %bb.1471:
	s_cmp_lt_i32 s0, 3
	s_cbranch_scc1 .LBB230_1475
; %bb.1472:
	s_cmp_gt_i32 s0, 3
	s_cbranch_scc0 .LBB230_1476
; %bb.1473:
	global_load_b64 v[8:9], v[2:3], off
	s_mov_b32 s12, 0
	s_wait_loadcnt 0x0
	v_xor_b32_e32 v1, v8, v9
	v_cls_i32_e32 v7, v9
	s_delay_alu instid0(VALU_DEP_2) | instskip(NEXT) | instid1(VALU_DEP_1)
	v_ashrrev_i32_e32 v1, 31, v1
	v_add_nc_u32_e32 v1, 32, v1
	s_delay_alu instid0(VALU_DEP_1) | instskip(NEXT) | instid1(VALU_DEP_1)
	v_add_min_u32_e64 v1, v7, -1, v1
	v_lshlrev_b64_e32 v[8:9], v1, v[8:9]
	v_sub_nc_u32_e32 v1, 32, v1
	s_delay_alu instid0(VALU_DEP_2) | instskip(NEXT) | instid1(VALU_DEP_1)
	v_min_u32_e32 v7, 1, v8
	v_or_b32_e32 v7, v9, v7
	s_delay_alu instid0(VALU_DEP_1) | instskip(NEXT) | instid1(VALU_DEP_1)
	v_cvt_f32_i32_e32 v7, v7
	v_ldexp_f32 v1, v7, v1
	s_delay_alu instid0(VALU_DEP_1)
	v_cvt_f16_f32_e32 v7, v1
	s_branch .LBB230_1477
.LBB230_1474:
	s_mov_b32 s12, -1
                                        ; implicit-def: $vgpr7
	s_branch .LBB230_1483
.LBB230_1475:
	s_mov_b32 s12, -1
                                        ; implicit-def: $vgpr7
	s_branch .LBB230_1480
.LBB230_1476:
	s_mov_b32 s12, -1
                                        ; implicit-def: $vgpr7
.LBB230_1477:
	s_delay_alu instid0(SALU_CYCLE_1)
	s_and_not1_b32 vcc_lo, exec_lo, s12
	s_cbranch_vccnz .LBB230_1479
; %bb.1478:
	global_load_b32 v1, v[2:3], off
	s_wait_loadcnt 0x0
	v_cvt_f32_i32_e32 v1, v1
	s_delay_alu instid0(VALU_DEP_1)
	v_cvt_f16_f32_e32 v7, v1
.LBB230_1479:
	s_mov_b32 s12, 0
.LBB230_1480:
	s_delay_alu instid0(SALU_CYCLE_1)
	s_and_not1_b32 vcc_lo, exec_lo, s12
	s_cbranch_vccnz .LBB230_1482
; %bb.1481:
	global_load_u16 v1, v[2:3], off
	s_wait_loadcnt 0x0
	v_cvt_f16_i16_e32 v7, v1
.LBB230_1482:
	s_mov_b32 s12, 0
.LBB230_1483:
	s_delay_alu instid0(SALU_CYCLE_1)
	s_and_not1_b32 vcc_lo, exec_lo, s12
	s_cbranch_vccnz .LBB230_1489
; %bb.1484:
	s_cmp_gt_i32 s0, 0
	s_mov_b32 s12, 0
	s_cbranch_scc0 .LBB230_1486
; %bb.1485:
	global_load_i8 v1, v[2:3], off
	s_wait_loadcnt 0x0
	v_cvt_f16_i16_e32 v7, v1
	s_branch .LBB230_1487
.LBB230_1486:
	s_mov_b32 s12, -1
                                        ; implicit-def: $vgpr7
.LBB230_1487:
	s_delay_alu instid0(SALU_CYCLE_1)
	s_and_not1_b32 vcc_lo, exec_lo, s12
	s_cbranch_vccnz .LBB230_1489
; %bb.1488:
	global_load_u8 v1, v[2:3], off
	s_wait_loadcnt 0x0
	v_cvt_f16_u16_e32 v7, v1
.LBB230_1489:
.LBB230_1490:
	s_mov_b32 s12, exec_lo
	s_wait_loadcnt 0x0
	s_delay_alu instid0(VALU_DEP_1)
	v_cmpx_o_f16_e32 v7, v7
	s_cbranch_execz .LBB230_1501
; %bb.1491:
	v_cvt_f32_f16_e32 v1, v7
	s_cmp_lt_i32 s10, 1
	s_mov_b32 s15, 0
	s_cbranch_scc1 .LBB230_1494
; %bb.1492:
	s_cmp_eq_u32 s10, 1
	s_cbranch_scc0 .LBB230_1495
; %bb.1493:
	v_max_num_f32_e64 v2, s11, s11
	v_max_num_f32_e32 v3, v1, v1
	s_mov_b32 s16, 0
	s_delay_alu instid0(VALU_DEP_1) | instskip(NEXT) | instid1(VALU_DEP_1)
	v_min_num_f32_e32 v2, v3, v2
	v_cvt_f16_f32_e32 v7, v2
	s_branch .LBB230_1496
.LBB230_1494:
	s_mov_b32 s17, -1
	s_mov_b32 s16, 0
                                        ; implicit-def: $vgpr7
	s_branch .LBB230_1497
.LBB230_1495:
	s_mov_b32 s16, -1
                                        ; implicit-def: $vgpr7
.LBB230_1496:
	s_mov_b32 s17, 0
.LBB230_1497:
	s_delay_alu instid0(SALU_CYCLE_1)
	s_and_b32 vcc_lo, exec_lo, s17
	s_cbranch_vccz .LBB230_1508
; %bb.1498:
	s_cmp_lg_u32 s10, 0
	s_mov_b32 s15, -1
	s_cselect_b32 s16, -1, 0
	v_max_num_f32_e32 v1, v1, v1
	s_and_not1_b32 vcc_lo, exec_lo, s16
	s_cbranch_vccz .LBB230_1509
.LBB230_1499:
	s_and_not1_b32 vcc_lo, exec_lo, s15
	s_cbranch_vccnz .LBB230_1501
.LBB230_1500:
	v_max_num_f32_e64 v2, s11, s11
	s_delay_alu instid0(VALU_DEP_1) | instskip(NEXT) | instid1(VALU_DEP_1)
	v_max_num_f32_e32 v1, v1, v2
	v_cvt_f16_f32_e32 v7, v1
.LBB230_1501:
	s_or_b32 exec_lo, exec_lo, s12
	v_add_nc_u32_e32 v0, s9, v0
	s_cmp_lt_i32 s0, 11
	s_delay_alu instid0(VALU_DEP_1) | instskip(NEXT) | instid1(VALU_DEP_1)
	v_ashrrev_i32_e32 v1, 31, v0
	v_add_nc_u64_e32 v[0:1], s[6:7], v[0:1]
	s_cbranch_scc1 .LBB230_1510
; %bb.1502:
	s_cmp_gt_i32 s0, 25
	s_mov_b32 s7, 0
	s_cbranch_scc0 .LBB230_1511
; %bb.1503:
	s_cmp_gt_i32 s0, 28
	s_cbranch_scc0 .LBB230_1512
; %bb.1504:
	s_cmp_gt_i32 s0, 43
	;; [unrolled: 3-line block ×3, first 2 shown]
	s_cbranch_scc0 .LBB230_1515
; %bb.1506:
	s_cmp_eq_u32 s0, 46
	s_mov_b32 s12, 0
	s_cbranch_scc0 .LBB230_1516
; %bb.1507:
	global_load_b32 v2, v[0:1], off
	s_mov_b32 s6, 0
	s_mov_b32 s9, -1
	s_wait_loadcnt 0x0
	v_lshlrev_b32_e32 v2, 16, v2
	s_delay_alu instid0(VALU_DEP_1)
	v_cvt_f16_f32_e32 v8, v2
	s_branch .LBB230_1518
.LBB230_1508:
	v_max_num_f32_e32 v1, v1, v1
	s_and_not1_b32 vcc_lo, exec_lo, s16
	s_cbranch_vccnz .LBB230_1499
.LBB230_1509:
	v_max_num_f32_e64 v2, s11, s11
	v_max_num_f32_e64 v3, s2, s2
	s_delay_alu instid0(VALU_DEP_1) | instskip(NEXT) | instid1(VALU_DEP_1)
	v_maxmin_num_f32 v2, v1, v2, v3
	v_cvt_f16_f32_e32 v7, v2
	s_cbranch_execz .LBB230_1500
	s_branch .LBB230_1501
.LBB230_1510:
	s_mov_b32 s6, -1
	s_mov_b32 s9, 0
                                        ; implicit-def: $vgpr8
	s_branch .LBB230_1584
.LBB230_1511:
	s_mov_b32 s12, -1
	s_mov_b32 s9, 0
	s_mov_b32 s6, 0
                                        ; implicit-def: $vgpr8
	s_branch .LBB230_1547
.LBB230_1512:
	s_mov_b32 s12, -1
	s_mov_b32 s9, 0
	s_mov_b32 s6, 0
                                        ; implicit-def: $vgpr8
	s_branch .LBB230_1528
.LBB230_1513:
	s_mov_b32 s12, -1
	s_mov_b32 s9, 0
	s_mov_b32 s6, 0
                                        ; implicit-def: $vgpr8
	s_branch .LBB230_1523
.LBB230_1514:
	s_or_b32 s1, s1, exec_lo
	s_trap 2
	s_cbranch_execz .LBB230_1440
	s_branch .LBB230_1441
.LBB230_1515:
	s_mov_b32 s12, -1
	s_mov_b32 s9, 0
	s_mov_b32 s6, 0
	s_branch .LBB230_1517
.LBB230_1516:
	s_mov_b32 s6, -1
	s_mov_b32 s9, 0
.LBB230_1517:
                                        ; implicit-def: $vgpr8
.LBB230_1518:
	s_and_b32 vcc_lo, exec_lo, s12
	s_cbranch_vccz .LBB230_1522
; %bb.1519:
	s_cmp_eq_u32 s0, 44
	s_cbranch_scc0 .LBB230_1521
; %bb.1520:
	global_load_u8 v2, v[0:1], off
	s_mov_b32 s6, 0
	s_mov_b32 s9, -1
	s_wait_loadcnt 0x0
	v_lshlrev_b32_e32 v3, 23, v2
	v_cmp_ne_u32_e32 vcc_lo, 0xff, v2
	s_delay_alu instid0(VALU_DEP_2) | instskip(NEXT) | instid1(VALU_DEP_1)
	v_cvt_f16_f32_e32 v3, v3
	v_cndmask_b32_e32 v3, 0x7e00, v3, vcc_lo
	v_cmp_ne_u32_e32 vcc_lo, 0, v2
	s_delay_alu instid0(VALU_DEP_2)
	v_cndmask_b32_e32 v8, 0, v3, vcc_lo
	s_branch .LBB230_1522
.LBB230_1521:
	s_mov_b32 s6, -1
                                        ; implicit-def: $vgpr8
.LBB230_1522:
	s_mov_b32 s12, 0
.LBB230_1523:
	s_delay_alu instid0(SALU_CYCLE_1)
	s_and_b32 vcc_lo, exec_lo, s12
	s_cbranch_vccz .LBB230_1527
; %bb.1524:
	s_cmp_eq_u32 s0, 29
	s_cbranch_scc0 .LBB230_1526
; %bb.1525:
	global_load_b64 v[2:3], v[0:1], off
	s_mov_b32 s6, 0
	s_mov_b32 s9, -1
	s_mov_b32 s12, 0
	s_wait_loadcnt 0x0
	v_clz_i32_u32_e32 v8, v3
	s_delay_alu instid0(VALU_DEP_1) | instskip(NEXT) | instid1(VALU_DEP_1)
	v_min_u32_e32 v8, 32, v8
	v_lshlrev_b64_e32 v[2:3], v8, v[2:3]
	s_delay_alu instid0(VALU_DEP_1) | instskip(NEXT) | instid1(VALU_DEP_1)
	v_min_u32_e32 v2, 1, v2
	v_dual_sub_nc_u32 v3, 32, v8 :: v_dual_bitop2_b32 v2, v3, v2 bitop3:0x54
	s_delay_alu instid0(VALU_DEP_1) | instskip(NEXT) | instid1(VALU_DEP_1)
	v_cvt_f32_u32_e32 v2, v2
	v_ldexp_f32 v2, v2, v3
	s_delay_alu instid0(VALU_DEP_1)
	v_cvt_f16_f32_e32 v8, v2
	s_branch .LBB230_1528
.LBB230_1526:
	s_mov_b32 s6, -1
                                        ; implicit-def: $vgpr8
.LBB230_1527:
	s_mov_b32 s12, 0
.LBB230_1528:
	s_delay_alu instid0(SALU_CYCLE_1)
	s_and_b32 vcc_lo, exec_lo, s12
	s_cbranch_vccz .LBB230_1546
; %bb.1529:
	s_cmp_lt_i32 s0, 27
	s_cbranch_scc1 .LBB230_1532
; %bb.1530:
	s_cmp_gt_i32 s0, 27
	s_cbranch_scc0 .LBB230_1533
; %bb.1531:
	global_load_b32 v2, v[0:1], off
	s_mov_b32 s9, 0
	s_wait_loadcnt 0x0
	v_cvt_f32_u32_e32 v2, v2
	s_delay_alu instid0(VALU_DEP_1)
	v_cvt_f16_f32_e32 v8, v2
	s_branch .LBB230_1534
.LBB230_1532:
	s_mov_b32 s9, -1
                                        ; implicit-def: $vgpr8
	s_branch .LBB230_1537
.LBB230_1533:
	s_mov_b32 s9, -1
                                        ; implicit-def: $vgpr8
.LBB230_1534:
	s_delay_alu instid0(SALU_CYCLE_1)
	s_and_not1_b32 vcc_lo, exec_lo, s9
	s_cbranch_vccnz .LBB230_1536
; %bb.1535:
	global_load_u16 v2, v[0:1], off
	s_wait_loadcnt 0x0
	v_cvt_f16_u16_e32 v8, v2
.LBB230_1536:
	s_mov_b32 s9, 0
.LBB230_1537:
	s_delay_alu instid0(SALU_CYCLE_1)
	s_and_not1_b32 vcc_lo, exec_lo, s9
	s_cbranch_vccnz .LBB230_1545
; %bb.1538:
	global_load_u8 v2, v[0:1], off
	s_mov_b32 s9, 0
	s_mov_b32 s12, exec_lo
	s_wait_loadcnt 0x0
	v_cmpx_lt_i16_e32 0x7f, v2
	s_xor_b32 s12, exec_lo, s12
	s_cbranch_execz .LBB230_1559
; %bb.1539:
	s_mov_b32 s9, -1
	s_mov_b32 s15, exec_lo
	v_cmpx_eq_u16_e32 0x80, v2
; %bb.1540:
	s_xor_b32 s9, exec_lo, -1
; %bb.1541:
	s_or_b32 exec_lo, exec_lo, s15
	s_delay_alu instid0(SALU_CYCLE_1)
	s_and_b32 s9, s9, exec_lo
	s_or_saveexec_b32 s12, s12
	v_mov_b32_e32 v8, 0x7e00
	s_xor_b32 exec_lo, exec_lo, s12
	s_cbranch_execnz .LBB230_1560
.LBB230_1542:
	s_or_b32 exec_lo, exec_lo, s12
	s_and_saveexec_b32 s12, s9
	s_cbranch_execz .LBB230_1544
.LBB230_1543:
	v_and_b32_e32 v3, 0xffff, v2
	s_delay_alu instid0(VALU_DEP_1) | instskip(SKIP_1) | instid1(VALU_DEP_2)
	v_and_b32_e32 v8, 7, v3
	v_bfe_u32 v11, v3, 3, 4
	v_clz_i32_u32_e32 v9, v8
	s_delay_alu instid0(VALU_DEP_2) | instskip(NEXT) | instid1(VALU_DEP_2)
	v_cmp_eq_u32_e32 vcc_lo, 0, v11
	v_min_u32_e32 v9, 32, v9
	s_delay_alu instid0(VALU_DEP_1) | instskip(NEXT) | instid1(VALU_DEP_1)
	v_subrev_nc_u32_e32 v10, 28, v9
	v_dual_lshlrev_b32 v3, v10, v3 :: v_dual_sub_nc_u32 v9, 29, v9
	s_delay_alu instid0(VALU_DEP_1) | instskip(NEXT) | instid1(VALU_DEP_1)
	v_dual_lshlrev_b32 v2, 24, v2 :: v_dual_bitop2_b32 v3, 7, v3 bitop3:0x40
	v_dual_cndmask_b32 v9, v11, v9, vcc_lo :: v_dual_cndmask_b32 v3, v8, v3, vcc_lo
	s_delay_alu instid0(VALU_DEP_2) | instskip(NEXT) | instid1(VALU_DEP_2)
	v_and_b32_e32 v2, 0x80000000, v2
	v_lshl_add_u32 v8, v9, 23, 0x3b800000
	s_delay_alu instid0(VALU_DEP_3) | instskip(NEXT) | instid1(VALU_DEP_1)
	v_lshlrev_b32_e32 v3, 20, v3
	v_or3_b32 v2, v2, v8, v3
	s_delay_alu instid0(VALU_DEP_1)
	v_cvt_f16_f32_e32 v8, v2
.LBB230_1544:
	s_or_b32 exec_lo, exec_lo, s12
.LBB230_1545:
	s_mov_b32 s9, -1
.LBB230_1546:
	s_mov_b32 s12, 0
.LBB230_1547:
	s_delay_alu instid0(SALU_CYCLE_1)
	s_and_b32 vcc_lo, exec_lo, s12
	s_cbranch_vccz .LBB230_1580
; %bb.1548:
	s_cmp_gt_i32 s0, 22
	s_cbranch_scc0 .LBB230_1558
; %bb.1549:
	s_cmp_lt_i32 s0, 24
	s_cbranch_scc1 .LBB230_1561
; %bb.1550:
	s_cmp_gt_i32 s0, 24
	s_cbranch_scc0 .LBB230_1562
; %bb.1551:
	global_load_u8 v2, v[0:1], off
	s_mov_b32 s9, exec_lo
	s_wait_loadcnt 0x0
	v_cmpx_lt_i16_e32 0x7f, v2
	s_xor_b32 s9, exec_lo, s9
	s_cbranch_execz .LBB230_1574
; %bb.1552:
	s_mov_b32 s7, -1
	s_mov_b32 s12, exec_lo
	v_cmpx_eq_u16_e32 0x80, v2
; %bb.1553:
	s_xor_b32 s7, exec_lo, -1
; %bb.1554:
	s_or_b32 exec_lo, exec_lo, s12
	s_delay_alu instid0(SALU_CYCLE_1)
	s_and_b32 s7, s7, exec_lo
	s_or_saveexec_b32 s9, s9
	v_mov_b32_e32 v8, 0x7e00
	s_xor_b32 exec_lo, exec_lo, s9
	s_cbranch_execnz .LBB230_1575
.LBB230_1555:
	s_or_b32 exec_lo, exec_lo, s9
	s_and_saveexec_b32 s9, s7
	s_cbranch_execz .LBB230_1557
.LBB230_1556:
	v_and_b32_e32 v3, 0xffff, v2
	s_delay_alu instid0(VALU_DEP_1) | instskip(SKIP_1) | instid1(VALU_DEP_2)
	v_and_b32_e32 v8, 3, v3
	v_bfe_u32 v11, v3, 2, 5
	v_clz_i32_u32_e32 v9, v8
	s_delay_alu instid0(VALU_DEP_2) | instskip(NEXT) | instid1(VALU_DEP_2)
	v_cmp_eq_u32_e32 vcc_lo, 0, v11
	v_min_u32_e32 v9, 32, v9
	s_delay_alu instid0(VALU_DEP_1) | instskip(NEXT) | instid1(VALU_DEP_1)
	v_subrev_nc_u32_e32 v10, 29, v9
	v_dual_lshlrev_b32 v3, v10, v3 :: v_dual_sub_nc_u32 v9, 30, v9
	s_delay_alu instid0(VALU_DEP_1) | instskip(NEXT) | instid1(VALU_DEP_1)
	v_dual_lshlrev_b32 v2, 24, v2 :: v_dual_bitop2_b32 v3, 3, v3 bitop3:0x40
	v_dual_cndmask_b32 v9, v11, v9, vcc_lo :: v_dual_cndmask_b32 v3, v8, v3, vcc_lo
	s_delay_alu instid0(VALU_DEP_2) | instskip(NEXT) | instid1(VALU_DEP_2)
	v_and_b32_e32 v2, 0x80000000, v2
	v_lshl_add_u32 v8, v9, 23, 0x37800000
	s_delay_alu instid0(VALU_DEP_3) | instskip(NEXT) | instid1(VALU_DEP_1)
	v_lshlrev_b32_e32 v3, 21, v3
	v_or3_b32 v2, v2, v8, v3
	s_delay_alu instid0(VALU_DEP_1)
	v_cvt_f16_f32_e32 v8, v2
.LBB230_1557:
	s_or_b32 exec_lo, exec_lo, s9
	s_mov_b32 s7, 0
	s_branch .LBB230_1563
.LBB230_1558:
	s_mov_b32 s7, -1
                                        ; implicit-def: $vgpr8
	s_branch .LBB230_1569
.LBB230_1559:
	s_or_saveexec_b32 s12, s12
	v_mov_b32_e32 v8, 0x7e00
	s_xor_b32 exec_lo, exec_lo, s12
	s_cbranch_execz .LBB230_1542
.LBB230_1560:
	v_cmp_ne_u16_e32 vcc_lo, 0, v2
	v_mov_b32_e32 v8, v2
	s_and_not1_b32 s9, s9, exec_lo
	s_and_b32 s15, vcc_lo, exec_lo
	s_delay_alu instid0(SALU_CYCLE_1)
	s_or_b32 s9, s9, s15
	s_or_b32 exec_lo, exec_lo, s12
	s_and_saveexec_b32 s12, s9
	s_cbranch_execnz .LBB230_1543
	s_branch .LBB230_1544
.LBB230_1561:
	s_mov_b32 s7, -1
                                        ; implicit-def: $vgpr8
	s_branch .LBB230_1566
.LBB230_1562:
	s_mov_b32 s7, -1
                                        ; implicit-def: $vgpr8
.LBB230_1563:
	s_delay_alu instid0(SALU_CYCLE_1)
	s_and_b32 vcc_lo, exec_lo, s7
	s_cbranch_vccz .LBB230_1565
; %bb.1564:
	global_load_u8 v2, v[0:1], off
	s_wait_loadcnt 0x0
	v_lshlrev_b32_e32 v2, 24, v2
	s_delay_alu instid0(VALU_DEP_1) | instskip(NEXT) | instid1(VALU_DEP_1)
	v_and_b32_e32 v3, 0x7f000000, v2
	v_clz_i32_u32_e32 v8, v3
	v_cmp_ne_u32_e32 vcc_lo, 0, v3
	v_add_nc_u32_e32 v10, 0x1000000, v3
	s_delay_alu instid0(VALU_DEP_3) | instskip(NEXT) | instid1(VALU_DEP_1)
	v_min_u32_e32 v8, 32, v8
	v_sub_nc_u32_e64 v8, v8, 4 clamp
	s_delay_alu instid0(VALU_DEP_1) | instskip(NEXT) | instid1(VALU_DEP_1)
	v_dual_lshlrev_b32 v9, v8, v3 :: v_dual_lshlrev_b32 v8, 23, v8
	v_lshrrev_b32_e32 v9, 4, v9
	s_delay_alu instid0(VALU_DEP_1) | instskip(NEXT) | instid1(VALU_DEP_1)
	v_dual_sub_nc_u32 v8, v9, v8 :: v_dual_ashrrev_i32 v9, 8, v10
	v_add_nc_u32_e32 v8, 0x3c000000, v8
	s_delay_alu instid0(VALU_DEP_1) | instskip(NEXT) | instid1(VALU_DEP_1)
	v_and_or_b32 v8, 0x7f800000, v9, v8
	v_cndmask_b32_e32 v3, 0, v8, vcc_lo
	s_delay_alu instid0(VALU_DEP_1) | instskip(NEXT) | instid1(VALU_DEP_1)
	v_and_or_b32 v2, 0x80000000, v2, v3
	v_cvt_f16_f32_e32 v8, v2
.LBB230_1565:
	s_mov_b32 s7, 0
.LBB230_1566:
	s_delay_alu instid0(SALU_CYCLE_1)
	s_and_not1_b32 vcc_lo, exec_lo, s7
	s_cbranch_vccnz .LBB230_1568
; %bb.1567:
	global_load_u8 v2, v[0:1], off
	s_wait_loadcnt 0x0
	v_lshlrev_b32_e32 v3, 25, v2
	v_lshlrev_b16 v2, 8, v2
	s_delay_alu instid0(VALU_DEP_1) | instskip(SKIP_1) | instid1(VALU_DEP_2)
	v_and_or_b32 v9, 0x7f00, v2, 0.5
	v_bfe_i32 v2, v2, 0, 16
	v_dual_add_f32 v9, -0.5, v9 :: v_dual_lshrrev_b32 v8, 4, v3
	v_cmp_gt_u32_e32 vcc_lo, 0x8000000, v3
	s_delay_alu instid0(VALU_DEP_2) | instskip(NEXT) | instid1(VALU_DEP_1)
	v_or_b32_e32 v8, 0x70000000, v8
	v_mul_f32_e32 v8, 0x7800000, v8
	s_delay_alu instid0(VALU_DEP_1) | instskip(NEXT) | instid1(VALU_DEP_1)
	v_cndmask_b32_e32 v3, v8, v9, vcc_lo
	v_and_or_b32 v2, 0x80000000, v2, v3
	s_delay_alu instid0(VALU_DEP_1)
	v_cvt_f16_f32_e32 v8, v2
.LBB230_1568:
	s_mov_b32 s7, 0
	s_mov_b32 s9, -1
.LBB230_1569:
	s_and_not1_b32 vcc_lo, exec_lo, s7
	s_mov_b32 s7, 0
	s_cbranch_vccnz .LBB230_1580
; %bb.1570:
	s_cmp_gt_i32 s0, 14
	s_cbranch_scc0 .LBB230_1573
; %bb.1571:
	s_cmp_eq_u32 s0, 15
	s_cbranch_scc0 .LBB230_1576
; %bb.1572:
	global_load_u16 v2, v[0:1], off
	s_mov_b32 s6, 0
	s_mov_b32 s9, -1
	s_wait_loadcnt 0x0
	v_lshlrev_b32_e32 v2, 16, v2
	s_delay_alu instid0(VALU_DEP_1)
	v_cvt_f16_f32_e32 v8, v2
	s_branch .LBB230_1578
.LBB230_1573:
	s_mov_b32 s7, -1
	s_branch .LBB230_1577
.LBB230_1574:
	s_or_saveexec_b32 s9, s9
	v_mov_b32_e32 v8, 0x7e00
	s_xor_b32 exec_lo, exec_lo, s9
	s_cbranch_execz .LBB230_1555
.LBB230_1575:
	v_cmp_ne_u16_e32 vcc_lo, 0, v2
	v_mov_b32_e32 v8, v2
	s_and_not1_b32 s7, s7, exec_lo
	s_and_b32 s12, vcc_lo, exec_lo
	s_delay_alu instid0(SALU_CYCLE_1)
	s_or_b32 s7, s7, s12
	s_or_b32 exec_lo, exec_lo, s9
	s_and_saveexec_b32 s9, s7
	s_cbranch_execnz .LBB230_1556
	s_branch .LBB230_1557
.LBB230_1576:
	s_mov_b32 s6, -1
.LBB230_1577:
                                        ; implicit-def: $vgpr8
.LBB230_1578:
	s_and_b32 vcc_lo, exec_lo, s7
	s_mov_b32 s7, 0
	s_cbranch_vccz .LBB230_1580
; %bb.1579:
	s_cmp_lg_u32 s0, 11
	s_mov_b32 s7, -1
	s_cselect_b32 s6, -1, 0
.LBB230_1580:
	s_delay_alu instid0(SALU_CYCLE_1)
	s_and_b32 vcc_lo, exec_lo, s6
	s_cbranch_vccnz .LBB230_2127
; %bb.1581:
	s_and_not1_b32 vcc_lo, exec_lo, s7
	s_cbranch_vccnz .LBB230_1583
.LBB230_1582:
	global_load_u8 v2, v[0:1], off
	s_mov_b32 s9, -1
	s_wait_loadcnt 0x0
	v_cmp_ne_u16_e32 vcc_lo, 0, v2
	v_cndmask_b32_e64 v8, 0, 0x3c00, vcc_lo
.LBB230_1583:
	s_mov_b32 s6, 0
.LBB230_1584:
	s_delay_alu instid0(SALU_CYCLE_1)
	s_and_b32 vcc_lo, exec_lo, s6
	s_cbranch_vccz .LBB230_1633
; %bb.1585:
	s_cmp_lt_i32 s0, 5
	s_cbranch_scc1 .LBB230_1590
; %bb.1586:
	s_cmp_lt_i32 s0, 8
	s_cbranch_scc1 .LBB230_1591
	;; [unrolled: 3-line block ×3, first 2 shown]
; %bb.1588:
	s_cmp_gt_i32 s0, 9
	s_cbranch_scc0 .LBB230_1593
; %bb.1589:
	global_load_b64 v[2:3], v[0:1], off
	s_mov_b32 s6, 0
	s_wait_loadcnt 0x0
	v_and_or_b32 v2, 0x1ff, v3, v2
	v_lshrrev_b32_e32 v8, 8, v3
	v_bfe_u32 v9, v3, 20, 11
	v_lshrrev_b32_e32 v3, 16, v3
	s_delay_alu instid0(VALU_DEP_4) | instskip(NEXT) | instid1(VALU_DEP_3)
	v_cmp_ne_u32_e32 vcc_lo, 0, v2
	v_sub_nc_u32_e32 v10, 0x3f1, v9
	v_add_nc_u32_e32 v9, 0xfffffc10, v9
	v_cndmask_b32_e64 v2, 0, 1, vcc_lo
	s_delay_alu instid0(VALU_DEP_1) | instskip(NEXT) | instid1(VALU_DEP_4)
	v_and_or_b32 v2, 0xffe, v8, v2
	v_med3_i32 v8, v10, 0, 13
	s_delay_alu instid0(VALU_DEP_2) | instskip(NEXT) | instid1(VALU_DEP_1)
	v_or_b32_e32 v10, 0x1000, v2
	v_lshrrev_b32_e32 v11, v8, v10
	s_delay_alu instid0(VALU_DEP_1) | instskip(NEXT) | instid1(VALU_DEP_1)
	v_lshlrev_b32_e32 v8, v8, v11
	v_cmp_ne_u32_e32 vcc_lo, v8, v10
	v_lshl_or_b32 v10, v9, 12, v2
	v_cndmask_b32_e64 v8, 0, 1, vcc_lo
	v_cmp_gt_i32_e32 vcc_lo, 1, v9
	s_delay_alu instid0(VALU_DEP_2) | instskip(NEXT) | instid1(VALU_DEP_1)
	v_or_b32_e32 v8, v11, v8
	v_cndmask_b32_e32 v8, v10, v8, vcc_lo
	s_delay_alu instid0(VALU_DEP_1) | instskip(NEXT) | instid1(VALU_DEP_1)
	v_dual_lshrrev_b32 v8, 2, v8 :: v_dual_bitop2_b32 v10, 7, v8 bitop3:0x40
	v_cmp_lt_i32_e32 vcc_lo, 5, v10
	v_cndmask_b32_e64 v11, 0, 1, vcc_lo
	v_cmp_eq_u32_e32 vcc_lo, 3, v10
	v_cndmask_b32_e64 v10, 0, 1, vcc_lo
	v_cmp_ne_u32_e32 vcc_lo, 0, v2
	s_delay_alu instid0(VALU_DEP_2) | instskip(NEXT) | instid1(VALU_DEP_1)
	v_or_b32_e32 v10, v10, v11
	v_dual_mov_b32 v11, 0x7e00 :: v_dual_add_nc_u32 v8, v8, v10
	s_delay_alu instid0(VALU_DEP_1) | instskip(SKIP_1) | instid1(VALU_DEP_3)
	v_cndmask_b32_e32 v2, 0x7c00, v11, vcc_lo
	v_cmp_gt_i32_e32 vcc_lo, 31, v9
	v_cndmask_b32_e32 v8, 0x7c00, v8, vcc_lo
	v_cmp_eq_u32_e32 vcc_lo, 0x40f, v9
	s_delay_alu instid0(VALU_DEP_2) | instskip(NEXT) | instid1(VALU_DEP_1)
	v_cndmask_b32_e32 v2, v8, v2, vcc_lo
	v_and_or_b32 v8, 0x8000, v3, v2
	s_branch .LBB230_1594
.LBB230_1590:
	s_mov_b32 s6, -1
                                        ; implicit-def: $vgpr8
	s_branch .LBB230_1612
.LBB230_1591:
	s_mov_b32 s6, -1
                                        ; implicit-def: $vgpr8
	s_branch .LBB230_1600
.LBB230_1592:
	s_mov_b32 s6, -1
                                        ; implicit-def: $vgpr8
	s_branch .LBB230_1597
.LBB230_1593:
	s_mov_b32 s6, -1
                                        ; implicit-def: $vgpr8
.LBB230_1594:
	s_delay_alu instid0(SALU_CYCLE_1)
	s_and_not1_b32 vcc_lo, exec_lo, s6
	s_cbranch_vccnz .LBB230_1596
; %bb.1595:
	global_load_b32 v2, v[0:1], off
	s_wait_loadcnt 0x0
	v_cvt_f16_f32_e32 v8, v2
.LBB230_1596:
	s_mov_b32 s6, 0
.LBB230_1597:
	s_delay_alu instid0(SALU_CYCLE_1)
	s_and_not1_b32 vcc_lo, exec_lo, s6
	s_cbranch_vccnz .LBB230_1599
; %bb.1598:
	global_load_b32 v8, v[0:1], off
.LBB230_1599:
	s_mov_b32 s6, 0
.LBB230_1600:
	s_delay_alu instid0(SALU_CYCLE_1)
	s_and_not1_b32 vcc_lo, exec_lo, s6
	s_cbranch_vccnz .LBB230_1611
; %bb.1601:
	s_cmp_lt_i32 s0, 6
	s_cbranch_scc1 .LBB230_1604
; %bb.1602:
	s_cmp_gt_i32 s0, 6
	s_cbranch_scc0 .LBB230_1605
; %bb.1603:
	global_load_b64 v[2:3], v[0:1], off
	s_mov_b32 s6, 0
	s_wait_loadcnt 0x0
	v_and_or_b32 v2, 0x1ff, v3, v2
	v_lshrrev_b32_e32 v8, 8, v3
	v_bfe_u32 v9, v3, 20, 11
	v_lshrrev_b32_e32 v3, 16, v3
	s_delay_alu instid0(VALU_DEP_4) | instskip(NEXT) | instid1(VALU_DEP_3)
	v_cmp_ne_u32_e32 vcc_lo, 0, v2
	v_sub_nc_u32_e32 v10, 0x3f1, v9
	v_add_nc_u32_e32 v9, 0xfffffc10, v9
	v_cndmask_b32_e64 v2, 0, 1, vcc_lo
	s_delay_alu instid0(VALU_DEP_1) | instskip(NEXT) | instid1(VALU_DEP_4)
	v_and_or_b32 v2, 0xffe, v8, v2
	v_med3_i32 v8, v10, 0, 13
	s_delay_alu instid0(VALU_DEP_2) | instskip(NEXT) | instid1(VALU_DEP_1)
	v_or_b32_e32 v10, 0x1000, v2
	v_lshrrev_b32_e32 v11, v8, v10
	s_delay_alu instid0(VALU_DEP_1) | instskip(NEXT) | instid1(VALU_DEP_1)
	v_lshlrev_b32_e32 v8, v8, v11
	v_cmp_ne_u32_e32 vcc_lo, v8, v10
	v_lshl_or_b32 v10, v9, 12, v2
	v_cndmask_b32_e64 v8, 0, 1, vcc_lo
	v_cmp_gt_i32_e32 vcc_lo, 1, v9
	s_delay_alu instid0(VALU_DEP_2) | instskip(NEXT) | instid1(VALU_DEP_1)
	v_or_b32_e32 v8, v11, v8
	v_cndmask_b32_e32 v8, v10, v8, vcc_lo
	s_delay_alu instid0(VALU_DEP_1) | instskip(NEXT) | instid1(VALU_DEP_1)
	v_dual_lshrrev_b32 v8, 2, v8 :: v_dual_bitop2_b32 v10, 7, v8 bitop3:0x40
	v_cmp_lt_i32_e32 vcc_lo, 5, v10
	v_cndmask_b32_e64 v11, 0, 1, vcc_lo
	v_cmp_eq_u32_e32 vcc_lo, 3, v10
	v_cndmask_b32_e64 v10, 0, 1, vcc_lo
	v_cmp_ne_u32_e32 vcc_lo, 0, v2
	s_delay_alu instid0(VALU_DEP_2) | instskip(NEXT) | instid1(VALU_DEP_1)
	v_or_b32_e32 v10, v10, v11
	v_dual_mov_b32 v11, 0x7e00 :: v_dual_add_nc_u32 v8, v8, v10
	s_delay_alu instid0(VALU_DEP_1) | instskip(SKIP_1) | instid1(VALU_DEP_3)
	v_cndmask_b32_e32 v2, 0x7c00, v11, vcc_lo
	v_cmp_gt_i32_e32 vcc_lo, 31, v9
	v_cndmask_b32_e32 v8, 0x7c00, v8, vcc_lo
	v_cmp_eq_u32_e32 vcc_lo, 0x40f, v9
	s_delay_alu instid0(VALU_DEP_2) | instskip(NEXT) | instid1(VALU_DEP_1)
	v_cndmask_b32_e32 v2, v8, v2, vcc_lo
	v_and_or_b32 v8, 0x8000, v3, v2
	s_branch .LBB230_1606
.LBB230_1604:
	s_mov_b32 s6, -1
                                        ; implicit-def: $vgpr8
	s_branch .LBB230_1609
.LBB230_1605:
	s_mov_b32 s6, -1
                                        ; implicit-def: $vgpr8
.LBB230_1606:
	s_delay_alu instid0(SALU_CYCLE_1)
	s_and_not1_b32 vcc_lo, exec_lo, s6
	s_cbranch_vccnz .LBB230_1608
; %bb.1607:
	global_load_b32 v2, v[0:1], off
	s_wait_loadcnt 0x0
	v_cvt_f16_f32_e32 v8, v2
.LBB230_1608:
	s_mov_b32 s6, 0
.LBB230_1609:
	s_delay_alu instid0(SALU_CYCLE_1)
	s_and_not1_b32 vcc_lo, exec_lo, s6
	s_cbranch_vccnz .LBB230_1611
; %bb.1610:
	s_wait_loadcnt 0x0
	global_load_u16 v8, v[0:1], off
.LBB230_1611:
	s_mov_b32 s6, 0
.LBB230_1612:
	s_delay_alu instid0(SALU_CYCLE_1)
	s_and_not1_b32 vcc_lo, exec_lo, s6
	s_cbranch_vccnz .LBB230_1632
; %bb.1613:
	s_cmp_lt_i32 s0, 2
	s_cbranch_scc1 .LBB230_1617
; %bb.1614:
	s_cmp_lt_i32 s0, 3
	s_cbranch_scc1 .LBB230_1618
; %bb.1615:
	s_cmp_gt_i32 s0, 3
	s_cbranch_scc0 .LBB230_1619
; %bb.1616:
	global_load_b64 v[2:3], v[0:1], off
	s_mov_b32 s6, 0
	s_wait_loadcnt 0x0
	v_xor_b32_e32 v8, v2, v3
	v_cls_i32_e32 v9, v3
	s_delay_alu instid0(VALU_DEP_2) | instskip(NEXT) | instid1(VALU_DEP_1)
	v_ashrrev_i32_e32 v8, 31, v8
	v_add_nc_u32_e32 v8, 32, v8
	s_delay_alu instid0(VALU_DEP_1) | instskip(NEXT) | instid1(VALU_DEP_1)
	v_add_min_u32_e64 v8, v9, -1, v8
	v_lshlrev_b64_e32 v[2:3], v8, v[2:3]
	s_delay_alu instid0(VALU_DEP_1) | instskip(NEXT) | instid1(VALU_DEP_1)
	v_min_u32_e32 v2, 1, v2
	v_dual_sub_nc_u32 v3, 32, v8 :: v_dual_bitop2_b32 v2, v3, v2 bitop3:0x54
	s_delay_alu instid0(VALU_DEP_1) | instskip(NEXT) | instid1(VALU_DEP_1)
	v_cvt_f32_i32_e32 v2, v2
	v_ldexp_f32 v2, v2, v3
	s_delay_alu instid0(VALU_DEP_1)
	v_cvt_f16_f32_e32 v8, v2
	s_branch .LBB230_1620
.LBB230_1617:
	s_mov_b32 s6, -1
                                        ; implicit-def: $vgpr8
	s_branch .LBB230_1626
.LBB230_1618:
	s_mov_b32 s6, -1
                                        ; implicit-def: $vgpr8
	s_branch .LBB230_1623
.LBB230_1619:
	s_mov_b32 s6, -1
                                        ; implicit-def: $vgpr8
.LBB230_1620:
	s_delay_alu instid0(SALU_CYCLE_1)
	s_and_not1_b32 vcc_lo, exec_lo, s6
	s_cbranch_vccnz .LBB230_1622
; %bb.1621:
	global_load_b32 v2, v[0:1], off
	s_wait_loadcnt 0x0
	v_cvt_f32_i32_e32 v2, v2
	s_delay_alu instid0(VALU_DEP_1)
	v_cvt_f16_f32_e32 v8, v2
.LBB230_1622:
	s_mov_b32 s6, 0
.LBB230_1623:
	s_delay_alu instid0(SALU_CYCLE_1)
	s_and_not1_b32 vcc_lo, exec_lo, s6
	s_cbranch_vccnz .LBB230_1625
; %bb.1624:
	global_load_u16 v2, v[0:1], off
	s_wait_loadcnt 0x0
	v_cvt_f16_i16_e32 v8, v2
.LBB230_1625:
	s_mov_b32 s6, 0
.LBB230_1626:
	s_delay_alu instid0(SALU_CYCLE_1)
	s_and_not1_b32 vcc_lo, exec_lo, s6
	s_cbranch_vccnz .LBB230_1632
; %bb.1627:
	s_cmp_gt_i32 s0, 0
	s_mov_b32 s0, 0
	s_cbranch_scc0 .LBB230_1629
; %bb.1628:
	global_load_i8 v2, v[0:1], off
	s_wait_loadcnt 0x0
	v_cvt_f16_i16_e32 v8, v2
	s_branch .LBB230_1630
.LBB230_1629:
	s_mov_b32 s0, -1
                                        ; implicit-def: $vgpr8
.LBB230_1630:
	s_delay_alu instid0(SALU_CYCLE_1)
	s_and_not1_b32 vcc_lo, exec_lo, s0
	s_cbranch_vccnz .LBB230_1632
; %bb.1631:
	global_load_u8 v0, v[0:1], off
	s_wait_loadcnt 0x0
	v_cvt_f16_u16_e32 v8, v0
.LBB230_1632:
	s_mov_b32 s9, -1
.LBB230_1633:
	s_delay_alu instid0(SALU_CYCLE_1)
	s_and_not1_b32 vcc_lo, exec_lo, s9
	s_cbranch_vccnz .LBB230_1638
; %bb.1634:
	s_mov_b32 s0, exec_lo
	s_wait_loadcnt 0x0
	v_cmpx_o_f16_e32 v8, v8
	s_cbranch_execz .LBB230_1690
; %bb.1635:
	v_cvt_f32_f16_e32 v0, v8
	s_cmp_lt_i32 s10, 1
	s_mov_b32 s6, 0
	s_cbranch_scc1 .LBB230_1683
; %bb.1636:
	s_cmp_eq_u32 s10, 1
	s_cbranch_scc0 .LBB230_1684
; %bb.1637:
	v_max_num_f32_e64 v1, s11, s11
	v_max_num_f32_e32 v2, v0, v0
	s_mov_b32 s7, 0
	s_delay_alu instid0(VALU_DEP_1) | instskip(NEXT) | instid1(VALU_DEP_1)
	v_min_num_f32_e32 v1, v2, v1
	v_cvt_f16_f32_e32 v8, v1
	s_branch .LBB230_1685
.LBB230_1638:
	s_mov_b32 s0, 0
	s_mov_b32 s3, 0
                                        ; implicit-def: $sgpr15
                                        ; implicit-def: $vgpr0_vgpr1
                                        ; implicit-def: $vgpr8
.LBB230_1639:
	s_and_not1_b32 s2, s14, exec_lo
	s_and_b32 s4, s1, exec_lo
	s_and_b32 s0, s0, exec_lo
	;; [unrolled: 1-line block ×3, first 2 shown]
	s_or_b32 s14, s2, s4
.LBB230_1640:
	s_wait_xcnt 0x0
	s_or_b32 exec_lo, exec_lo, s13
	s_and_saveexec_b32 s2, s14
	s_cbranch_execz .LBB230_1643
; %bb.1641:
	; divergent unreachable
	s_or_b32 exec_lo, exec_lo, s2
	s_and_saveexec_b32 s2, s1
	s_delay_alu instid0(SALU_CYCLE_1)
	s_xor_b32 s1, exec_lo, s2
	s_cbranch_execnz .LBB230_1644
.LBB230_1642:
	s_or_b32 exec_lo, exec_lo, s1
	s_and_saveexec_b32 s1, s0
	s_cbranch_execnz .LBB230_1645
	s_branch .LBB230_1682
.LBB230_1643:
	s_or_b32 exec_lo, exec_lo, s2
	s_and_saveexec_b32 s2, s1
	s_delay_alu instid0(SALU_CYCLE_1)
	s_xor_b32 s1, exec_lo, s2
	s_cbranch_execz .LBB230_1642
.LBB230_1644:
	s_wait_loadcnt 0x0
	v_and_b32_e32 v2, 0x7fff, v8
	s_delay_alu instid0(VALU_DEP_1)
	v_cmp_ne_u16_e32 vcc_lo, 0, v2
	v_cndmask_b32_e64 v2, 0, 1, vcc_lo
	global_store_b8 v[0:1], v2, off
	s_wait_xcnt 0x0
	s_or_b32 exec_lo, exec_lo, s1
	s_and_saveexec_b32 s1, s0
	s_cbranch_execz .LBB230_1682
.LBB230_1645:
	s_sext_i32_i16 s1, s15
	s_mov_b32 s0, -1
	s_cmp_lt_i32 s1, 5
	s_cbranch_scc1 .LBB230_1666
; %bb.1646:
	s_cmp_lt_i32 s1, 8
	s_cbranch_scc1 .LBB230_1656
; %bb.1647:
	;; [unrolled: 3-line block ×3, first 2 shown]
	s_wait_loadcnt 0x0
	v_cvt_f32_f16_e32 v2, v8
	s_cmp_gt_i32 s1, 9
	s_cbranch_scc0 .LBB230_1650
; %bb.1649:
	s_delay_alu instid0(VALU_DEP_1) | instskip(SKIP_2) | instid1(VALU_DEP_1)
	v_cvt_f64_f32_e32 v[4:5], v2
	v_mov_b32_e32 v6, 0
	s_mov_b32 s0, 0
	v_mov_b32_e32 v7, v6
	global_store_b128 v[0:1], v[4:7], off
.LBB230_1650:
	s_and_not1_b32 vcc_lo, exec_lo, s0
	s_cbranch_vccnz .LBB230_1652
; %bb.1651:
	v_mov_b32_e32 v3, 0
	global_store_b64 v[0:1], v[2:3], off
.LBB230_1652:
	s_mov_b32 s0, 0
.LBB230_1653:
	s_delay_alu instid0(SALU_CYCLE_1)
	s_and_not1_b32 vcc_lo, exec_lo, s0
	s_cbranch_vccnz .LBB230_1655
; %bb.1654:
	s_wait_loadcnt 0x0
	v_and_b32_e32 v2, 0xffff, v8
	global_store_b32 v[0:1], v2, off
.LBB230_1655:
	s_mov_b32 s0, 0
.LBB230_1656:
	s_delay_alu instid0(SALU_CYCLE_1)
	s_and_not1_b32 vcc_lo, exec_lo, s0
	s_cbranch_vccnz .LBB230_1665
; %bb.1657:
	s_sext_i32_i16 s1, s15
	s_mov_b32 s0, -1
	s_cmp_lt_i32 s1, 6
	s_cbranch_scc1 .LBB230_1663
; %bb.1658:
	s_wait_loadcnt 0x0
	v_cvt_f32_f16_e32 v2, v8
	s_cmp_gt_i32 s1, 6
	s_cbranch_scc0 .LBB230_1660
; %bb.1659:
	s_delay_alu instid0(VALU_DEP_1)
	v_cvt_f64_f32_e32 v[4:5], v2
	s_mov_b32 s0, 0
	global_store_b64 v[0:1], v[4:5], off
.LBB230_1660:
	s_and_not1_b32 vcc_lo, exec_lo, s0
	s_cbranch_vccnz .LBB230_1662
; %bb.1661:
	global_store_b32 v[0:1], v2, off
.LBB230_1662:
	s_mov_b32 s0, 0
.LBB230_1663:
	s_delay_alu instid0(SALU_CYCLE_1)
	s_and_not1_b32 vcc_lo, exec_lo, s0
	s_cbranch_vccnz .LBB230_1665
; %bb.1664:
	s_wait_loadcnt 0x0
	global_store_b16 v[0:1], v8, off
.LBB230_1665:
	s_mov_b32 s0, 0
.LBB230_1666:
	s_delay_alu instid0(SALU_CYCLE_1)
	s_and_not1_b32 vcc_lo, exec_lo, s0
	s_cbranch_vccnz .LBB230_1682
; %bb.1667:
	s_sext_i32_i16 s1, s15
	s_mov_b32 s0, -1
	s_cmp_lt_i32 s1, 2
	s_cbranch_scc1 .LBB230_1677
; %bb.1668:
	s_cmp_lt_i32 s1, 3
	s_cbranch_scc1 .LBB230_1674
; %bb.1669:
	s_wait_loadcnt 0x0
	v_cvt_f32_f16_e32 v2, v8
	s_cmp_gt_i32 s1, 3
	s_delay_alu instid0(VALU_DEP_1)
	v_cvt_i32_f32_e32 v2, v2
	s_cbranch_scc0 .LBB230_1671
; %bb.1670:
	s_delay_alu instid0(VALU_DEP_1)
	v_ashrrev_i32_e32 v3, 31, v2
	s_mov_b32 s0, 0
	global_store_b64 v[0:1], v[2:3], off
.LBB230_1671:
	s_and_not1_b32 vcc_lo, exec_lo, s0
	s_cbranch_vccnz .LBB230_1673
; %bb.1672:
	global_store_b32 v[0:1], v2, off
.LBB230_1673:
	s_mov_b32 s0, 0
.LBB230_1674:
	s_delay_alu instid0(SALU_CYCLE_1)
	s_and_not1_b32 vcc_lo, exec_lo, s0
	s_cbranch_vccnz .LBB230_1676
; %bb.1675:
	s_wait_loadcnt 0x0
	v_cvt_i16_f16_e32 v2, v8
	global_store_b16 v[0:1], v2, off
.LBB230_1676:
	s_mov_b32 s0, 0
.LBB230_1677:
	s_delay_alu instid0(SALU_CYCLE_1)
	s_and_not1_b32 vcc_lo, exec_lo, s0
	s_cbranch_vccnz .LBB230_1682
; %bb.1678:
	s_sext_i32_i16 s0, s15
	s_delay_alu instid0(SALU_CYCLE_1)
	s_cmp_gt_i32 s0, 0
	s_mov_b32 s0, -1
	s_cbranch_scc0 .LBB230_1680
; %bb.1679:
	s_wait_loadcnt 0x0
	v_cvt_i16_f16_e32 v2, v8
	s_mov_b32 s0, 0
	global_store_b8 v[0:1], v2, off
.LBB230_1680:
	s_and_not1_b32 vcc_lo, exec_lo, s0
	s_cbranch_vccnz .LBB230_1682
; %bb.1681:
	s_wait_loadcnt 0x0
	v_cvt_f32_f16_e32 v2, v8
	s_delay_alu instid0(VALU_DEP_1)
	v_cvt_i32_f32_e32 v2, v2
	global_store_b8 v[0:1], v2, off
	s_endpgm
.LBB230_1682:
	s_endpgm
.LBB230_1683:
	s_mov_b32 s9, -1
	s_mov_b32 s7, 0
                                        ; implicit-def: $vgpr8
	s_branch .LBB230_1686
.LBB230_1684:
	s_mov_b32 s7, -1
                                        ; implicit-def: $vgpr8
.LBB230_1685:
	s_mov_b32 s9, 0
.LBB230_1686:
	s_delay_alu instid0(SALU_CYCLE_1)
	s_and_b32 vcc_lo, exec_lo, s9
	s_cbranch_vccz .LBB230_1768
; %bb.1687:
	s_cmp_lg_u32 s10, 0
	s_mov_b32 s6, -1
	s_cselect_b32 s7, -1, 0
	v_max_num_f32_e64 v1, s11, s11
	v_max_num_f32_e32 v0, v0, v0
	s_and_not1_b32 vcc_lo, exec_lo, s7
	s_cbranch_vccz .LBB230_1769
.LBB230_1688:
	s_and_not1_b32 vcc_lo, exec_lo, s6
	s_cbranch_vccnz .LBB230_1690
.LBB230_1689:
	v_max_num_f32_e32 v0, v0, v1
	s_delay_alu instid0(VALU_DEP_1)
	v_cvt_f16_f32_e32 v8, v0
.LBB230_1690:
	s_or_b32 exec_lo, exec_lo, s0
	v_mul_lo_u32 v0, s8, v4
	s_and_b32 s15, s3, 0xff
	s_delay_alu instid0(SALU_CYCLE_1) | instskip(NEXT) | instid1(VALU_DEP_1)
	s_cmp_lt_i32 s15, 11
	v_ashrrev_i32_e32 v1, 31, v0
	s_delay_alu instid0(VALU_DEP_1)
	v_add_nc_u64_e32 v[2:3], s[4:5], v[0:1]
	s_cbranch_scc1 .LBB230_1770
; %bb.1691:
	s_and_b32 s2, 0xffff, s15
	s_mov_b32 s7, -1
	s_mov_b32 s3, 0
	s_cmp_gt_i32 s2, 25
	s_mov_b32 s6, 0
	s_mov_b32 s0, 0
	s_cbranch_scc0 .LBB230_1724
; %bb.1692:
	s_cmp_gt_i32 s2, 28
	s_cbranch_scc0 .LBB230_1707
; %bb.1693:
	s_cmp_gt_i32 s2, 43
	s_cbranch_scc0 .LBB230_1703
; %bb.1694:
	s_cmp_gt_i32 s2, 45
	s_cbranch_scc0 .LBB230_1697
; %bb.1695:
	s_mov_b32 s0, -1
	s_mov_b32 s7, 0
	s_cmp_eq_u32 s2, 46
	s_cbranch_scc0 .LBB230_1697
; %bb.1696:
	v_cvt_f32_f16_e32 v1, v5
	v_cmp_o_f16_e32 vcc_lo, v5, v5
	s_mov_b32 s0, 0
	s_mov_b32 s6, -1
	s_delay_alu instid0(VALU_DEP_2) | instskip(NEXT) | instid1(VALU_DEP_1)
	v_bfe_u32 v4, v1, 16, 1
	v_add3_u32 v1, v1, v4, 0x7fff
	s_delay_alu instid0(VALU_DEP_1) | instskip(NEXT) | instid1(VALU_DEP_1)
	v_lshrrev_b32_e32 v1, 16, v1
	v_cndmask_b32_e32 v1, 0x7fc0, v1, vcc_lo
	global_store_b32 v[2:3], v1, off
.LBB230_1697:
	s_and_b32 vcc_lo, exec_lo, s7
	s_cbranch_vccz .LBB230_1702
; %bb.1698:
	s_cmp_eq_u32 s2, 44
	s_mov_b32 s0, -1
	s_cbranch_scc0 .LBB230_1702
; %bb.1699:
	s_wait_xcnt 0x0
	v_cvt_f32_f16_e32 v1, v5
	v_mov_b32_e32 v4, 0xff
	s_mov_b32 s6, exec_lo
	s_delay_alu instid0(VALU_DEP_2) | instskip(NEXT) | instid1(VALU_DEP_1)
	v_bfe_u32 v9, v1, 23, 8
	v_cmpx_ne_u32_e32 0xff, v9
	s_cbranch_execz .LBB230_1701
; %bb.1700:
	v_and_b32_e32 v4, 0x400000, v1
	v_and_or_b32 v9, 0x3fffff, v1, v9
	v_lshrrev_b32_e32 v1, 23, v1
	s_delay_alu instid0(VALU_DEP_3) | instskip(NEXT) | instid1(VALU_DEP_3)
	v_cmp_ne_u32_e32 vcc_lo, 0, v4
	v_cmp_ne_u32_e64 s0, 0, v9
	s_and_b32 s0, vcc_lo, s0
	s_delay_alu instid0(SALU_CYCLE_1) | instskip(NEXT) | instid1(VALU_DEP_1)
	v_cndmask_b32_e64 v4, 0, 1, s0
	v_add_nc_u32_e32 v4, v1, v4
.LBB230_1701:
	s_or_b32 exec_lo, exec_lo, s6
	s_mov_b32 s0, 0
	s_mov_b32 s6, -1
	global_store_b8 v[2:3], v4, off
.LBB230_1702:
	s_mov_b32 s7, 0
.LBB230_1703:
	s_delay_alu instid0(SALU_CYCLE_1)
	s_and_b32 vcc_lo, exec_lo, s7
	s_cbranch_vccz .LBB230_1706
; %bb.1704:
	s_cmp_eq_u32 s2, 29
	s_mov_b32 s0, -1
	s_cbranch_scc0 .LBB230_1706
; %bb.1705:
	s_wait_xcnt 0x0
	v_cvt_f32_f16_e32 v1, v5
	v_mov_b32_e32 v11, 0
	s_mov_b32 s0, 0
	s_mov_b32 s6, -1
	s_delay_alu instid0(VALU_DEP_2)
	v_cvt_u32_f32_e32 v10, v1
	global_store_b64 v[2:3], v[10:11], off
.LBB230_1706:
	s_mov_b32 s7, 0
.LBB230_1707:
	s_delay_alu instid0(SALU_CYCLE_1)
	s_and_b32 vcc_lo, exec_lo, s7
	s_cbranch_vccz .LBB230_1723
; %bb.1708:
	s_cmp_lt_i32 s2, 27
	s_mov_b32 s6, -1
	s_cbranch_scc1 .LBB230_1714
; %bb.1709:
	s_cmp_gt_i32 s2, 27
	s_cbranch_scc0 .LBB230_1711
; %bb.1710:
	s_wait_xcnt 0x0
	v_cvt_f32_f16_e32 v1, v5
	s_mov_b32 s6, 0
	s_delay_alu instid0(VALU_DEP_1)
	v_cvt_u32_f32_e32 v1, v1
	global_store_b32 v[2:3], v1, off
.LBB230_1711:
	s_and_not1_b32 vcc_lo, exec_lo, s6
	s_cbranch_vccnz .LBB230_1713
; %bb.1712:
	s_wait_xcnt 0x0
	v_cvt_u16_f16_e32 v1, v5
	global_store_b16 v[2:3], v1, off
.LBB230_1713:
	s_mov_b32 s6, 0
.LBB230_1714:
	s_delay_alu instid0(SALU_CYCLE_1)
	s_and_not1_b32 vcc_lo, exec_lo, s6
	s_cbranch_vccnz .LBB230_1722
; %bb.1715:
	s_wait_xcnt 0x0
	v_cvt_f32_f16_e32 v1, v5
	v_mov_b32_e32 v9, 0x80
	s_mov_b32 s6, exec_lo
	s_delay_alu instid0(VALU_DEP_2) | instskip(NEXT) | instid1(VALU_DEP_1)
	v_and_b32_e32 v4, 0x7fffffff, v1
	v_cmpx_gt_u32_e32 0x43800000, v4
	s_cbranch_execz .LBB230_1721
; %bb.1716:
	v_cmp_lt_u32_e32 vcc_lo, 0x3bffffff, v4
	s_mov_b32 s7, 0
                                        ; implicit-def: $vgpr4
	s_and_saveexec_b32 s9, vcc_lo
	s_delay_alu instid0(SALU_CYCLE_1)
	s_xor_b32 s9, exec_lo, s9
	s_cbranch_execz .LBB230_2128
; %bb.1717:
	v_bfe_u32 v4, v1, 20, 1
	s_mov_b32 s7, exec_lo
	s_delay_alu instid0(VALU_DEP_1) | instskip(NEXT) | instid1(VALU_DEP_1)
	v_add3_u32 v4, v1, v4, 0x487ffff
	v_lshrrev_b32_e32 v4, 20, v4
	s_and_not1_saveexec_b32 s9, s9
	s_cbranch_execnz .LBB230_2129
.LBB230_1718:
	s_or_b32 exec_lo, exec_lo, s9
	v_mov_b32_e32 v9, 0
	s_and_saveexec_b32 s9, s7
.LBB230_1719:
	v_lshrrev_b32_e32 v1, 24, v1
	s_delay_alu instid0(VALU_DEP_1)
	v_and_or_b32 v9, 0x80, v1, v4
.LBB230_1720:
	s_or_b32 exec_lo, exec_lo, s9
.LBB230_1721:
	s_delay_alu instid0(SALU_CYCLE_1)
	s_or_b32 exec_lo, exec_lo, s6
	global_store_b8 v[2:3], v9, off
.LBB230_1722:
	s_mov_b32 s6, -1
.LBB230_1723:
	s_mov_b32 s7, 0
.LBB230_1724:
	s_delay_alu instid0(SALU_CYCLE_1)
	s_and_b32 vcc_lo, exec_lo, s7
	s_cbranch_vccz .LBB230_1764
; %bb.1725:
	s_cmp_gt_i32 s2, 22
	s_mov_b32 s3, -1
	s_cbranch_scc0 .LBB230_1757
; %bb.1726:
	s_cmp_lt_i32 s2, 24
	s_cbranch_scc1 .LBB230_1746
; %bb.1727:
	s_cmp_gt_i32 s2, 24
	s_cbranch_scc0 .LBB230_1735
; %bb.1728:
	s_wait_xcnt 0x0
	v_cvt_f32_f16_e32 v1, v5
	v_mov_b32_e32 v9, 0x80
	s_mov_b32 s3, exec_lo
	s_delay_alu instid0(VALU_DEP_2) | instskip(NEXT) | instid1(VALU_DEP_1)
	v_and_b32_e32 v4, 0x7fffffff, v1
	v_cmpx_gt_u32_e32 0x47800000, v4
	s_cbranch_execz .LBB230_1734
; %bb.1729:
	v_cmp_lt_u32_e32 vcc_lo, 0x37ffffff, v4
	s_mov_b32 s6, 0
                                        ; implicit-def: $vgpr4
	s_and_saveexec_b32 s7, vcc_lo
	s_delay_alu instid0(SALU_CYCLE_1)
	s_xor_b32 s7, exec_lo, s7
	s_cbranch_execz .LBB230_2131
; %bb.1730:
	v_bfe_u32 v4, v1, 21, 1
	s_mov_b32 s6, exec_lo
	s_delay_alu instid0(VALU_DEP_1) | instskip(NEXT) | instid1(VALU_DEP_1)
	v_add3_u32 v4, v1, v4, 0x88fffff
	v_lshrrev_b32_e32 v4, 21, v4
	s_and_not1_saveexec_b32 s7, s7
	s_cbranch_execnz .LBB230_2132
.LBB230_1731:
	s_or_b32 exec_lo, exec_lo, s7
	v_mov_b32_e32 v9, 0
	s_and_saveexec_b32 s7, s6
.LBB230_1732:
	v_lshrrev_b32_e32 v1, 24, v1
	s_delay_alu instid0(VALU_DEP_1)
	v_and_or_b32 v9, 0x80, v1, v4
.LBB230_1733:
	s_or_b32 exec_lo, exec_lo, s7
.LBB230_1734:
	s_delay_alu instid0(SALU_CYCLE_1)
	s_or_b32 exec_lo, exec_lo, s3
	s_mov_b32 s3, 0
	global_store_b8 v[2:3], v9, off
.LBB230_1735:
	s_and_b32 vcc_lo, exec_lo, s3
	s_cbranch_vccz .LBB230_1745
; %bb.1736:
	s_wait_xcnt 0x0
	v_cvt_f32_f16_e32 v1, v5
	s_mov_b32 s3, exec_lo
                                        ; implicit-def: $vgpr4
	s_delay_alu instid0(VALU_DEP_1) | instskip(NEXT) | instid1(VALU_DEP_1)
	v_and_b32_e32 v9, 0x7fffffff, v1
	v_cmpx_gt_u32_e32 0x43f00000, v9
	s_xor_b32 s3, exec_lo, s3
	s_cbranch_execz .LBB230_1742
; %bb.1737:
	s_mov_b32 s6, exec_lo
                                        ; implicit-def: $vgpr4
	v_cmpx_lt_u32_e32 0x3c7fffff, v9
	s_xor_b32 s6, exec_lo, s6
; %bb.1738:
	v_bfe_u32 v4, v1, 20, 1
	s_delay_alu instid0(VALU_DEP_1) | instskip(NEXT) | instid1(VALU_DEP_1)
	v_add3_u32 v4, v1, v4, 0x407ffff
	v_and_b32_e32 v9, 0xff00000, v4
	v_lshrrev_b32_e32 v4, 20, v4
	s_delay_alu instid0(VALU_DEP_2) | instskip(NEXT) | instid1(VALU_DEP_2)
	v_cmp_ne_u32_e32 vcc_lo, 0x7f00000, v9
	v_cndmask_b32_e32 v4, 0x7e, v4, vcc_lo
; %bb.1739:
	s_and_not1_saveexec_b32 s6, s6
; %bb.1740:
	v_add_f32_e64 v4, 0x46800000, |v1|
; %bb.1741:
	s_or_b32 exec_lo, exec_lo, s6
                                        ; implicit-def: $vgpr9
.LBB230_1742:
	s_and_not1_saveexec_b32 s3, s3
; %bb.1743:
	v_mov_b32_e32 v4, 0x7f
	v_cmp_lt_u32_e32 vcc_lo, 0x7f800000, v9
	s_delay_alu instid0(VALU_DEP_2)
	v_cndmask_b32_e32 v4, 0x7e, v4, vcc_lo
; %bb.1744:
	s_or_b32 exec_lo, exec_lo, s3
	v_lshrrev_b32_e32 v1, 24, v1
	s_delay_alu instid0(VALU_DEP_1)
	v_and_or_b32 v1, 0x80, v1, v4
	global_store_b8 v[2:3], v1, off
.LBB230_1745:
	s_mov_b32 s3, 0
.LBB230_1746:
	s_delay_alu instid0(SALU_CYCLE_1)
	s_and_not1_b32 vcc_lo, exec_lo, s3
	s_cbranch_vccnz .LBB230_1756
; %bb.1747:
	s_wait_xcnt 0x0
	v_cvt_f32_f16_e32 v1, v5
	s_mov_b32 s3, exec_lo
                                        ; implicit-def: $vgpr4
	s_delay_alu instid0(VALU_DEP_1) | instskip(NEXT) | instid1(VALU_DEP_1)
	v_and_b32_e32 v9, 0x7fffffff, v1
	v_cmpx_gt_u32_e32 0x47800000, v9
	s_xor_b32 s3, exec_lo, s3
	s_cbranch_execz .LBB230_1753
; %bb.1748:
	s_mov_b32 s6, exec_lo
                                        ; implicit-def: $vgpr4
	v_cmpx_lt_u32_e32 0x387fffff, v9
	s_xor_b32 s6, exec_lo, s6
; %bb.1749:
	v_bfe_u32 v4, v1, 21, 1
	s_delay_alu instid0(VALU_DEP_1) | instskip(NEXT) | instid1(VALU_DEP_1)
	v_add3_u32 v4, v1, v4, 0x80fffff
	v_lshrrev_b32_e32 v4, 21, v4
; %bb.1750:
	s_and_not1_saveexec_b32 s6, s6
; %bb.1751:
	v_add_f32_e64 v4, 0x43000000, |v1|
; %bb.1752:
	s_or_b32 exec_lo, exec_lo, s6
                                        ; implicit-def: $vgpr9
.LBB230_1753:
	s_and_not1_saveexec_b32 s3, s3
; %bb.1754:
	v_mov_b32_e32 v4, 0x7f
	v_cmp_lt_u32_e32 vcc_lo, 0x7f800000, v9
	s_delay_alu instid0(VALU_DEP_2)
	v_cndmask_b32_e32 v4, 0x7c, v4, vcc_lo
; %bb.1755:
	s_or_b32 exec_lo, exec_lo, s3
	v_lshrrev_b32_e32 v1, 24, v1
	s_delay_alu instid0(VALU_DEP_1)
	v_and_or_b32 v1, 0x80, v1, v4
	global_store_b8 v[2:3], v1, off
.LBB230_1756:
	s_mov_b32 s3, 0
	s_mov_b32 s6, -1
.LBB230_1757:
	s_and_not1_b32 vcc_lo, exec_lo, s3
	s_mov_b32 s3, 0
	s_cbranch_vccnz .LBB230_1764
; %bb.1758:
	s_cmp_gt_i32 s2, 14
	s_mov_b32 s3, -1
	s_cbranch_scc0 .LBB230_1762
; %bb.1759:
	s_cmp_eq_u32 s2, 15
	s_mov_b32 s0, -1
	s_cbranch_scc0 .LBB230_1761
; %bb.1760:
	s_wait_xcnt 0x0
	v_cvt_f32_f16_e32 v1, v5
	v_cmp_o_f16_e32 vcc_lo, v5, v5
	s_mov_b32 s0, 0
	s_mov_b32 s6, -1
	s_delay_alu instid0(VALU_DEP_2) | instskip(NEXT) | instid1(VALU_DEP_1)
	v_bfe_u32 v4, v1, 16, 1
	v_add3_u32 v1, v1, v4, 0x7fff
	s_delay_alu instid0(VALU_DEP_1) | instskip(NEXT) | instid1(VALU_DEP_1)
	v_lshrrev_b32_e32 v1, 16, v1
	v_cndmask_b32_e32 v1, 0x7fc0, v1, vcc_lo
	global_store_b16 v[2:3], v1, off
.LBB230_1761:
	s_mov_b32 s3, 0
.LBB230_1762:
	s_delay_alu instid0(SALU_CYCLE_1)
	s_and_b32 vcc_lo, exec_lo, s3
	s_mov_b32 s3, 0
	s_cbranch_vccz .LBB230_1764
; %bb.1763:
	s_cmp_lg_u32 s2, 11
	s_mov_b32 s3, -1
	s_cselect_b32 s0, -1, 0
.LBB230_1764:
	s_delay_alu instid0(SALU_CYCLE_1)
	s_and_b32 vcc_lo, exec_lo, s0
	s_cbranch_vccnz .LBB230_2130
; %bb.1765:
	s_and_not1_b32 vcc_lo, exec_lo, s3
	s_cbranch_vccnz .LBB230_1767
.LBB230_1766:
	s_wait_xcnt 0x0
	v_and_b32_e32 v1, 0x7fff, v5
	s_mov_b32 s6, -1
	s_delay_alu instid0(VALU_DEP_1)
	v_cmp_ne_u16_e32 vcc_lo, 0, v1
	v_cndmask_b32_e64 v1, 0, 1, vcc_lo
	global_store_b8 v[2:3], v1, off
.LBB230_1767:
	s_mov_b32 s0, 0
	s_branch .LBB230_1771
.LBB230_1768:
	v_max_num_f32_e64 v1, s11, s11
	v_max_num_f32_e32 v0, v0, v0
	s_and_not1_b32 vcc_lo, exec_lo, s7
	s_cbranch_vccnz .LBB230_1688
.LBB230_1769:
	v_max_num_f32_e64 v2, s2, s2
	s_delay_alu instid0(VALU_DEP_1) | instskip(NEXT) | instid1(VALU_DEP_1)
	v_maxmin_num_f32 v2, v0, v1, v2
	v_cvt_f16_f32_e32 v8, v2
	s_cbranch_execz .LBB230_1689
	s_branch .LBB230_1690
.LBB230_1770:
	s_mov_b32 s0, -1
	s_mov_b32 s6, 0
.LBB230_1771:
	s_and_b32 vcc_lo, exec_lo, s0
	s_cbranch_vccz .LBB230_1810
; %bb.1772:
	s_and_b32 s0, 0xffff, s15
	s_mov_b32 s2, -1
	s_cmp_lt_i32 s0, 5
	s_cbranch_scc1 .LBB230_1793
; %bb.1773:
	s_cmp_lt_i32 s0, 8
	s_cbranch_scc1 .LBB230_1783
; %bb.1774:
	;; [unrolled: 3-line block ×3, first 2 shown]
	s_cmp_gt_i32 s0, 9
	s_cbranch_scc0 .LBB230_1777
; %bb.1776:
	s_wait_xcnt 0x0
	v_cvt_f32_f16_e32 v1, v5
	v_mov_b32_e32 v12, 0
	s_mov_b32 s2, 0
	s_delay_alu instid0(VALU_DEP_2) | instskip(NEXT) | instid1(VALU_DEP_2)
	v_cvt_f64_f32_e32 v[10:11], v1
	v_mov_b32_e32 v13, v12
	global_store_b128 v[2:3], v[10:13], off
.LBB230_1777:
	s_and_not1_b32 vcc_lo, exec_lo, s2
	s_cbranch_vccnz .LBB230_1779
; %bb.1778:
	s_wait_xcnt 0x0
	v_cvt_f32_f16_e32 v10, v5
	v_mov_b32_e32 v11, 0
	global_store_b64 v[2:3], v[10:11], off
.LBB230_1779:
	s_mov_b32 s2, 0
.LBB230_1780:
	s_delay_alu instid0(SALU_CYCLE_1)
	s_and_not1_b32 vcc_lo, exec_lo, s2
	s_cbranch_vccnz .LBB230_1782
; %bb.1781:
	s_wait_xcnt 0x0
	v_and_b32_e32 v1, 0xffff, v5
	global_store_b32 v[2:3], v1, off
.LBB230_1782:
	s_mov_b32 s2, 0
.LBB230_1783:
	s_delay_alu instid0(SALU_CYCLE_1)
	s_and_not1_b32 vcc_lo, exec_lo, s2
	s_cbranch_vccnz .LBB230_1792
; %bb.1784:
	s_cmp_lt_i32 s0, 6
	s_mov_b32 s2, -1
	s_cbranch_scc1 .LBB230_1790
; %bb.1785:
	s_cmp_gt_i32 s0, 6
	s_cbranch_scc0 .LBB230_1787
; %bb.1786:
	s_wait_xcnt 0x0
	v_cvt_f32_f16_e32 v1, v5
	s_mov_b32 s2, 0
	s_delay_alu instid0(VALU_DEP_1)
	v_cvt_f64_f32_e32 v[10:11], v1
	global_store_b64 v[2:3], v[10:11], off
.LBB230_1787:
	s_and_not1_b32 vcc_lo, exec_lo, s2
	s_cbranch_vccnz .LBB230_1789
; %bb.1788:
	s_wait_xcnt 0x0
	v_cvt_f32_f16_e32 v1, v5
	global_store_b32 v[2:3], v1, off
.LBB230_1789:
	s_mov_b32 s2, 0
.LBB230_1790:
	s_delay_alu instid0(SALU_CYCLE_1)
	s_and_not1_b32 vcc_lo, exec_lo, s2
	s_cbranch_vccnz .LBB230_1792
; %bb.1791:
	global_store_b16 v[2:3], v5, off
.LBB230_1792:
	s_mov_b32 s2, 0
.LBB230_1793:
	s_delay_alu instid0(SALU_CYCLE_1)
	s_and_not1_b32 vcc_lo, exec_lo, s2
	s_cbranch_vccnz .LBB230_1809
; %bb.1794:
	s_cmp_lt_i32 s0, 2
	s_mov_b32 s2, -1
	s_cbranch_scc1 .LBB230_1804
; %bb.1795:
	s_cmp_lt_i32 s0, 3
	s_cbranch_scc1 .LBB230_1801
; %bb.1796:
	s_cmp_gt_i32 s0, 3
	s_cbranch_scc0 .LBB230_1798
; %bb.1797:
	s_wait_xcnt 0x0
	v_cvt_f32_f16_e32 v1, v5
	s_mov_b32 s2, 0
	s_delay_alu instid0(VALU_DEP_1) | instskip(NEXT) | instid1(VALU_DEP_1)
	v_cvt_i32_f32_e32 v10, v1
	v_ashrrev_i32_e32 v11, 31, v10
	global_store_b64 v[2:3], v[10:11], off
.LBB230_1798:
	s_and_not1_b32 vcc_lo, exec_lo, s2
	s_cbranch_vccnz .LBB230_1800
; %bb.1799:
	s_wait_xcnt 0x0
	v_cvt_f32_f16_e32 v1, v5
	s_delay_alu instid0(VALU_DEP_1)
	v_cvt_i32_f32_e32 v1, v1
	global_store_b32 v[2:3], v1, off
.LBB230_1800:
	s_mov_b32 s2, 0
.LBB230_1801:
	s_delay_alu instid0(SALU_CYCLE_1)
	s_and_not1_b32 vcc_lo, exec_lo, s2
	s_cbranch_vccnz .LBB230_1803
; %bb.1802:
	s_wait_xcnt 0x0
	v_cvt_i16_f16_e32 v1, v5
	global_store_b16 v[2:3], v1, off
.LBB230_1803:
	s_mov_b32 s2, 0
.LBB230_1804:
	s_delay_alu instid0(SALU_CYCLE_1)
	s_and_not1_b32 vcc_lo, exec_lo, s2
	s_cbranch_vccnz .LBB230_1809
; %bb.1805:
	s_cmp_gt_i32 s0, 0
	s_mov_b32 s0, -1
	s_cbranch_scc0 .LBB230_1807
; %bb.1806:
	s_wait_xcnt 0x0
	v_cvt_i16_f16_e32 v1, v5
	s_mov_b32 s0, 0
	global_store_b8 v[2:3], v1, off
.LBB230_1807:
	s_and_not1_b32 vcc_lo, exec_lo, s0
	s_cbranch_vccnz .LBB230_1809
; %bb.1808:
	s_wait_xcnt 0x0
	v_cvt_f32_f16_e32 v1, v5
	s_delay_alu instid0(VALU_DEP_1)
	v_cvt_i32_f32_e32 v1, v1
	global_store_b8 v[2:3], v1, off
.LBB230_1809:
	s_mov_b32 s6, -1
.LBB230_1810:
	s_delay_alu instid0(SALU_CYCLE_1)
	s_and_not1_b32 vcc_lo, exec_lo, s6
	s_cbranch_vccnz .LBB230_2125
; %bb.1811:
	s_lshl_b32 s2, s8, 7
	s_cmp_lt_i32 s15, 11
	v_add_nc_u32_e32 v0, s2, v0
	s_wait_xcnt 0x0
	s_delay_alu instid0(VALU_DEP_1) | instskip(NEXT) | instid1(VALU_DEP_1)
	v_ashrrev_i32_e32 v1, 31, v0
	v_add_nc_u64_e32 v[2:3], s[4:5], v[0:1]
	s_cbranch_scc1 .LBB230_1889
; %bb.1812:
	s_and_b32 s3, 0xffff, s15
	s_mov_b32 s8, -1
	s_mov_b32 s6, 0
	s_cmp_gt_i32 s3, 25
	s_mov_b32 s7, 0
	s_mov_b32 s0, 0
	s_cbranch_scc0 .LBB230_1845
; %bb.1813:
	s_cmp_gt_i32 s3, 28
	s_cbranch_scc0 .LBB230_1828
; %bb.1814:
	s_cmp_gt_i32 s3, 43
	;; [unrolled: 3-line block ×3, first 2 shown]
	s_cbranch_scc0 .LBB230_1818
; %bb.1816:
	s_mov_b32 s0, -1
	s_mov_b32 s8, 0
	s_cmp_eq_u32 s3, 46
	s_cbranch_scc0 .LBB230_1818
; %bb.1817:
	v_cvt_f32_f16_e32 v1, v6
	v_cmp_o_f16_e32 vcc_lo, v6, v6
	s_mov_b32 s0, 0
	s_mov_b32 s7, -1
	s_delay_alu instid0(VALU_DEP_2) | instskip(NEXT) | instid1(VALU_DEP_1)
	v_bfe_u32 v4, v1, 16, 1
	v_add3_u32 v1, v1, v4, 0x7fff
	s_delay_alu instid0(VALU_DEP_1) | instskip(NEXT) | instid1(VALU_DEP_1)
	v_lshrrev_b32_e32 v1, 16, v1
	v_cndmask_b32_e32 v1, 0x7fc0, v1, vcc_lo
	global_store_b32 v[2:3], v1, off
.LBB230_1818:
	s_and_b32 vcc_lo, exec_lo, s8
	s_cbranch_vccz .LBB230_1823
; %bb.1819:
	s_cmp_eq_u32 s3, 44
	s_mov_b32 s0, -1
	s_cbranch_scc0 .LBB230_1823
; %bb.1820:
	s_wait_xcnt 0x0
	v_cvt_f32_f16_e32 v1, v6
	v_mov_b32_e32 v4, 0xff
	s_mov_b32 s7, exec_lo
	s_delay_alu instid0(VALU_DEP_2) | instskip(NEXT) | instid1(VALU_DEP_1)
	v_bfe_u32 v5, v1, 23, 8
	v_cmpx_ne_u32_e32 0xff, v5
	s_cbranch_execz .LBB230_1822
; %bb.1821:
	v_and_b32_e32 v4, 0x400000, v1
	v_and_or_b32 v5, 0x3fffff, v1, v5
	v_lshrrev_b32_e32 v1, 23, v1
	s_delay_alu instid0(VALU_DEP_3) | instskip(NEXT) | instid1(VALU_DEP_3)
	v_cmp_ne_u32_e32 vcc_lo, 0, v4
	v_cmp_ne_u32_e64 s0, 0, v5
	s_and_b32 s0, vcc_lo, s0
	s_delay_alu instid0(SALU_CYCLE_1) | instskip(NEXT) | instid1(VALU_DEP_1)
	v_cndmask_b32_e64 v4, 0, 1, s0
	v_add_nc_u32_e32 v4, v1, v4
.LBB230_1822:
	s_or_b32 exec_lo, exec_lo, s7
	s_mov_b32 s0, 0
	s_mov_b32 s7, -1
	global_store_b8 v[2:3], v4, off
.LBB230_1823:
	s_mov_b32 s8, 0
.LBB230_1824:
	s_delay_alu instid0(SALU_CYCLE_1)
	s_and_b32 vcc_lo, exec_lo, s8
	s_cbranch_vccz .LBB230_1827
; %bb.1825:
	s_cmp_eq_u32 s3, 29
	s_mov_b32 s0, -1
	s_cbranch_scc0 .LBB230_1827
; %bb.1826:
	s_wait_xcnt 0x0
	v_cvt_f32_f16_e32 v1, v6
	v_mov_b32_e32 v5, 0
	s_mov_b32 s0, 0
	s_mov_b32 s7, -1
	s_delay_alu instid0(VALU_DEP_2)
	v_cvt_u32_f32_e32 v4, v1
	global_store_b64 v[2:3], v[4:5], off
.LBB230_1827:
	s_mov_b32 s8, 0
.LBB230_1828:
	s_delay_alu instid0(SALU_CYCLE_1)
	s_and_b32 vcc_lo, exec_lo, s8
	s_cbranch_vccz .LBB230_1844
; %bb.1829:
	s_cmp_lt_i32 s3, 27
	s_mov_b32 s7, -1
	s_cbranch_scc1 .LBB230_1835
; %bb.1830:
	s_cmp_gt_i32 s3, 27
	s_cbranch_scc0 .LBB230_1832
; %bb.1831:
	s_wait_xcnt 0x0
	v_cvt_f32_f16_e32 v1, v6
	s_mov_b32 s7, 0
	s_delay_alu instid0(VALU_DEP_1)
	v_cvt_u32_f32_e32 v1, v1
	global_store_b32 v[2:3], v1, off
.LBB230_1832:
	s_and_not1_b32 vcc_lo, exec_lo, s7
	s_cbranch_vccnz .LBB230_1834
; %bb.1833:
	s_wait_xcnt 0x0
	v_cvt_u16_f16_e32 v1, v6
	global_store_b16 v[2:3], v1, off
.LBB230_1834:
	s_mov_b32 s7, 0
.LBB230_1835:
	s_delay_alu instid0(SALU_CYCLE_1)
	s_and_not1_b32 vcc_lo, exec_lo, s7
	s_cbranch_vccnz .LBB230_1843
; %bb.1836:
	s_wait_xcnt 0x0
	v_cvt_f32_f16_e32 v1, v6
	v_mov_b32_e32 v5, 0x80
	s_mov_b32 s7, exec_lo
	s_delay_alu instid0(VALU_DEP_2) | instskip(NEXT) | instid1(VALU_DEP_1)
	v_and_b32_e32 v4, 0x7fffffff, v1
	v_cmpx_gt_u32_e32 0x43800000, v4
	s_cbranch_execz .LBB230_1842
; %bb.1837:
	v_cmp_lt_u32_e32 vcc_lo, 0x3bffffff, v4
	s_mov_b32 s8, 0
                                        ; implicit-def: $vgpr4
	s_and_saveexec_b32 s9, vcc_lo
	s_delay_alu instid0(SALU_CYCLE_1)
	s_xor_b32 s9, exec_lo, s9
	s_cbranch_execz .LBB230_2133
; %bb.1838:
	v_bfe_u32 v4, v1, 20, 1
	s_mov_b32 s8, exec_lo
	s_delay_alu instid0(VALU_DEP_1) | instskip(NEXT) | instid1(VALU_DEP_1)
	v_add3_u32 v4, v1, v4, 0x487ffff
	v_lshrrev_b32_e32 v4, 20, v4
	s_and_not1_saveexec_b32 s9, s9
	s_cbranch_execnz .LBB230_2134
.LBB230_1839:
	s_or_b32 exec_lo, exec_lo, s9
	v_mov_b32_e32 v5, 0
	s_and_saveexec_b32 s9, s8
.LBB230_1840:
	v_lshrrev_b32_e32 v1, 24, v1
	s_delay_alu instid0(VALU_DEP_1)
	v_and_or_b32 v5, 0x80, v1, v4
.LBB230_1841:
	s_or_b32 exec_lo, exec_lo, s9
.LBB230_1842:
	s_delay_alu instid0(SALU_CYCLE_1)
	s_or_b32 exec_lo, exec_lo, s7
	global_store_b8 v[2:3], v5, off
.LBB230_1843:
	s_mov_b32 s7, -1
.LBB230_1844:
	s_mov_b32 s8, 0
.LBB230_1845:
	s_delay_alu instid0(SALU_CYCLE_1)
	s_and_b32 vcc_lo, exec_lo, s8
	s_cbranch_vccz .LBB230_1885
; %bb.1846:
	s_cmp_gt_i32 s3, 22
	s_mov_b32 s6, -1
	s_cbranch_scc0 .LBB230_1878
; %bb.1847:
	s_cmp_lt_i32 s3, 24
	s_cbranch_scc1 .LBB230_1867
; %bb.1848:
	s_cmp_gt_i32 s3, 24
	s_cbranch_scc0 .LBB230_1856
; %bb.1849:
	s_wait_xcnt 0x0
	v_cvt_f32_f16_e32 v1, v6
	v_mov_b32_e32 v5, 0x80
	s_mov_b32 s6, exec_lo
	s_delay_alu instid0(VALU_DEP_2) | instskip(NEXT) | instid1(VALU_DEP_1)
	v_and_b32_e32 v4, 0x7fffffff, v1
	v_cmpx_gt_u32_e32 0x47800000, v4
	s_cbranch_execz .LBB230_1855
; %bb.1850:
	v_cmp_lt_u32_e32 vcc_lo, 0x37ffffff, v4
	s_mov_b32 s7, 0
                                        ; implicit-def: $vgpr4
	s_and_saveexec_b32 s8, vcc_lo
	s_delay_alu instid0(SALU_CYCLE_1)
	s_xor_b32 s8, exec_lo, s8
	s_cbranch_execz .LBB230_2136
; %bb.1851:
	v_bfe_u32 v4, v1, 21, 1
	s_mov_b32 s7, exec_lo
	s_delay_alu instid0(VALU_DEP_1) | instskip(NEXT) | instid1(VALU_DEP_1)
	v_add3_u32 v4, v1, v4, 0x88fffff
	v_lshrrev_b32_e32 v4, 21, v4
	s_and_not1_saveexec_b32 s8, s8
	s_cbranch_execnz .LBB230_2137
.LBB230_1852:
	s_or_b32 exec_lo, exec_lo, s8
	v_mov_b32_e32 v5, 0
	s_and_saveexec_b32 s8, s7
.LBB230_1853:
	v_lshrrev_b32_e32 v1, 24, v1
	s_delay_alu instid0(VALU_DEP_1)
	v_and_or_b32 v5, 0x80, v1, v4
.LBB230_1854:
	s_or_b32 exec_lo, exec_lo, s8
.LBB230_1855:
	s_delay_alu instid0(SALU_CYCLE_1)
	s_or_b32 exec_lo, exec_lo, s6
	s_mov_b32 s6, 0
	global_store_b8 v[2:3], v5, off
.LBB230_1856:
	s_and_b32 vcc_lo, exec_lo, s6
	s_cbranch_vccz .LBB230_1866
; %bb.1857:
	s_wait_xcnt 0x0
	v_cvt_f32_f16_e32 v1, v6
	s_mov_b32 s6, exec_lo
                                        ; implicit-def: $vgpr4
	s_delay_alu instid0(VALU_DEP_1) | instskip(NEXT) | instid1(VALU_DEP_1)
	v_and_b32_e32 v5, 0x7fffffff, v1
	v_cmpx_gt_u32_e32 0x43f00000, v5
	s_xor_b32 s6, exec_lo, s6
	s_cbranch_execz .LBB230_1863
; %bb.1858:
	s_mov_b32 s7, exec_lo
                                        ; implicit-def: $vgpr4
	v_cmpx_lt_u32_e32 0x3c7fffff, v5
	s_xor_b32 s7, exec_lo, s7
; %bb.1859:
	v_bfe_u32 v4, v1, 20, 1
	s_delay_alu instid0(VALU_DEP_1) | instskip(NEXT) | instid1(VALU_DEP_1)
	v_add3_u32 v4, v1, v4, 0x407ffff
	v_and_b32_e32 v5, 0xff00000, v4
	v_lshrrev_b32_e32 v4, 20, v4
	s_delay_alu instid0(VALU_DEP_2) | instskip(NEXT) | instid1(VALU_DEP_2)
	v_cmp_ne_u32_e32 vcc_lo, 0x7f00000, v5
	v_cndmask_b32_e32 v4, 0x7e, v4, vcc_lo
; %bb.1860:
	s_and_not1_saveexec_b32 s7, s7
; %bb.1861:
	v_add_f32_e64 v4, 0x46800000, |v1|
; %bb.1862:
	s_or_b32 exec_lo, exec_lo, s7
                                        ; implicit-def: $vgpr5
.LBB230_1863:
	s_and_not1_saveexec_b32 s6, s6
; %bb.1864:
	v_mov_b32_e32 v4, 0x7f
	v_cmp_lt_u32_e32 vcc_lo, 0x7f800000, v5
	s_delay_alu instid0(VALU_DEP_2)
	v_cndmask_b32_e32 v4, 0x7e, v4, vcc_lo
; %bb.1865:
	s_or_b32 exec_lo, exec_lo, s6
	v_lshrrev_b32_e32 v1, 24, v1
	s_delay_alu instid0(VALU_DEP_1)
	v_and_or_b32 v1, 0x80, v1, v4
	global_store_b8 v[2:3], v1, off
.LBB230_1866:
	s_mov_b32 s6, 0
.LBB230_1867:
	s_delay_alu instid0(SALU_CYCLE_1)
	s_and_not1_b32 vcc_lo, exec_lo, s6
	s_cbranch_vccnz .LBB230_1877
; %bb.1868:
	s_wait_xcnt 0x0
	v_cvt_f32_f16_e32 v1, v6
	s_mov_b32 s6, exec_lo
                                        ; implicit-def: $vgpr4
	s_delay_alu instid0(VALU_DEP_1) | instskip(NEXT) | instid1(VALU_DEP_1)
	v_and_b32_e32 v5, 0x7fffffff, v1
	v_cmpx_gt_u32_e32 0x47800000, v5
	s_xor_b32 s6, exec_lo, s6
	s_cbranch_execz .LBB230_1874
; %bb.1869:
	s_mov_b32 s7, exec_lo
                                        ; implicit-def: $vgpr4
	v_cmpx_lt_u32_e32 0x387fffff, v5
	s_xor_b32 s7, exec_lo, s7
; %bb.1870:
	v_bfe_u32 v4, v1, 21, 1
	s_delay_alu instid0(VALU_DEP_1) | instskip(NEXT) | instid1(VALU_DEP_1)
	v_add3_u32 v4, v1, v4, 0x80fffff
	v_lshrrev_b32_e32 v4, 21, v4
; %bb.1871:
	s_and_not1_saveexec_b32 s7, s7
; %bb.1872:
	v_add_f32_e64 v4, 0x43000000, |v1|
; %bb.1873:
	s_or_b32 exec_lo, exec_lo, s7
                                        ; implicit-def: $vgpr5
.LBB230_1874:
	s_and_not1_saveexec_b32 s6, s6
; %bb.1875:
	v_mov_b32_e32 v4, 0x7f
	v_cmp_lt_u32_e32 vcc_lo, 0x7f800000, v5
	s_delay_alu instid0(VALU_DEP_2)
	v_cndmask_b32_e32 v4, 0x7c, v4, vcc_lo
; %bb.1876:
	s_or_b32 exec_lo, exec_lo, s6
	v_lshrrev_b32_e32 v1, 24, v1
	s_delay_alu instid0(VALU_DEP_1)
	v_and_or_b32 v1, 0x80, v1, v4
	global_store_b8 v[2:3], v1, off
.LBB230_1877:
	s_mov_b32 s6, 0
	s_mov_b32 s7, -1
.LBB230_1878:
	s_and_not1_b32 vcc_lo, exec_lo, s6
	s_mov_b32 s6, 0
	s_cbranch_vccnz .LBB230_1885
; %bb.1879:
	s_cmp_gt_i32 s3, 14
	s_mov_b32 s6, -1
	s_cbranch_scc0 .LBB230_1883
; %bb.1880:
	s_cmp_eq_u32 s3, 15
	s_mov_b32 s0, -1
	s_cbranch_scc0 .LBB230_1882
; %bb.1881:
	s_wait_xcnt 0x0
	v_cvt_f32_f16_e32 v1, v6
	v_cmp_o_f16_e32 vcc_lo, v6, v6
	s_mov_b32 s0, 0
	s_mov_b32 s7, -1
	s_delay_alu instid0(VALU_DEP_2) | instskip(NEXT) | instid1(VALU_DEP_1)
	v_bfe_u32 v4, v1, 16, 1
	v_add3_u32 v1, v1, v4, 0x7fff
	s_delay_alu instid0(VALU_DEP_1) | instskip(NEXT) | instid1(VALU_DEP_1)
	v_lshrrev_b32_e32 v1, 16, v1
	v_cndmask_b32_e32 v1, 0x7fc0, v1, vcc_lo
	global_store_b16 v[2:3], v1, off
.LBB230_1882:
	s_mov_b32 s6, 0
.LBB230_1883:
	s_delay_alu instid0(SALU_CYCLE_1)
	s_and_b32 vcc_lo, exec_lo, s6
	s_mov_b32 s6, 0
	s_cbranch_vccz .LBB230_1885
; %bb.1884:
	s_cmp_lg_u32 s3, 11
	s_mov_b32 s6, -1
	s_cselect_b32 s0, -1, 0
.LBB230_1885:
	s_delay_alu instid0(SALU_CYCLE_1)
	s_and_b32 vcc_lo, exec_lo, s0
	s_cbranch_vccnz .LBB230_2135
; %bb.1886:
	s_and_not1_b32 vcc_lo, exec_lo, s6
	s_cbranch_vccnz .LBB230_1888
.LBB230_1887:
	s_wait_xcnt 0x0
	v_and_b32_e32 v1, 0x7fff, v6
	s_mov_b32 s7, -1
	s_delay_alu instid0(VALU_DEP_1)
	v_cmp_ne_u16_e32 vcc_lo, 0, v1
	v_cndmask_b32_e64 v1, 0, 1, vcc_lo
	global_store_b8 v[2:3], v1, off
.LBB230_1888:
	s_mov_b32 s0, 0
	s_branch .LBB230_1890
.LBB230_1889:
	s_mov_b32 s0, -1
	s_mov_b32 s7, 0
.LBB230_1890:
	s_and_b32 vcc_lo, exec_lo, s0
	s_cbranch_vccz .LBB230_1929
; %bb.1891:
	s_and_b32 s0, 0xffff, s15
	s_mov_b32 s3, -1
	s_cmp_lt_i32 s0, 5
	s_cbranch_scc1 .LBB230_1912
; %bb.1892:
	s_cmp_lt_i32 s0, 8
	s_cbranch_scc1 .LBB230_1902
; %bb.1893:
	;; [unrolled: 3-line block ×3, first 2 shown]
	s_cmp_gt_i32 s0, 9
	s_cbranch_scc0 .LBB230_1896
; %bb.1895:
	s_wait_xcnt 0x0
	v_cvt_f32_f16_e32 v1, v6
	v_mov_b32_e32 v12, 0
	s_mov_b32 s3, 0
	s_delay_alu instid0(VALU_DEP_2) | instskip(NEXT) | instid1(VALU_DEP_2)
	v_cvt_f64_f32_e32 v[10:11], v1
	v_mov_b32_e32 v13, v12
	global_store_b128 v[2:3], v[10:13], off
.LBB230_1896:
	s_and_not1_b32 vcc_lo, exec_lo, s3
	s_cbranch_vccnz .LBB230_1898
; %bb.1897:
	s_wait_xcnt 0x0
	v_cvt_f32_f16_e32 v4, v6
	v_mov_b32_e32 v5, 0
	global_store_b64 v[2:3], v[4:5], off
.LBB230_1898:
	s_mov_b32 s3, 0
.LBB230_1899:
	s_delay_alu instid0(SALU_CYCLE_1)
	s_and_not1_b32 vcc_lo, exec_lo, s3
	s_cbranch_vccnz .LBB230_1901
; %bb.1900:
	s_wait_xcnt 0x0
	v_and_b32_e32 v1, 0xffff, v6
	global_store_b32 v[2:3], v1, off
.LBB230_1901:
	s_mov_b32 s3, 0
.LBB230_1902:
	s_delay_alu instid0(SALU_CYCLE_1)
	s_and_not1_b32 vcc_lo, exec_lo, s3
	s_cbranch_vccnz .LBB230_1911
; %bb.1903:
	s_cmp_lt_i32 s0, 6
	s_mov_b32 s3, -1
	s_cbranch_scc1 .LBB230_1909
; %bb.1904:
	s_cmp_gt_i32 s0, 6
	s_cbranch_scc0 .LBB230_1906
; %bb.1905:
	s_wait_xcnt 0x0
	v_cvt_f32_f16_e32 v1, v6
	s_mov_b32 s3, 0
	s_delay_alu instid0(VALU_DEP_1)
	v_cvt_f64_f32_e32 v[4:5], v1
	global_store_b64 v[2:3], v[4:5], off
.LBB230_1906:
	s_and_not1_b32 vcc_lo, exec_lo, s3
	s_cbranch_vccnz .LBB230_1908
; %bb.1907:
	s_wait_xcnt 0x0
	v_cvt_f32_f16_e32 v1, v6
	global_store_b32 v[2:3], v1, off
.LBB230_1908:
	s_mov_b32 s3, 0
.LBB230_1909:
	s_delay_alu instid0(SALU_CYCLE_1)
	s_and_not1_b32 vcc_lo, exec_lo, s3
	s_cbranch_vccnz .LBB230_1911
; %bb.1910:
	global_store_b16 v[2:3], v6, off
.LBB230_1911:
	s_mov_b32 s3, 0
.LBB230_1912:
	s_delay_alu instid0(SALU_CYCLE_1)
	s_and_not1_b32 vcc_lo, exec_lo, s3
	s_cbranch_vccnz .LBB230_1928
; %bb.1913:
	s_cmp_lt_i32 s0, 2
	s_mov_b32 s3, -1
	s_cbranch_scc1 .LBB230_1923
; %bb.1914:
	s_cmp_lt_i32 s0, 3
	s_cbranch_scc1 .LBB230_1920
; %bb.1915:
	s_cmp_gt_i32 s0, 3
	s_cbranch_scc0 .LBB230_1917
; %bb.1916:
	s_wait_xcnt 0x0
	v_cvt_f32_f16_e32 v1, v6
	s_mov_b32 s3, 0
	s_delay_alu instid0(VALU_DEP_1) | instskip(NEXT) | instid1(VALU_DEP_1)
	v_cvt_i32_f32_e32 v4, v1
	v_ashrrev_i32_e32 v5, 31, v4
	global_store_b64 v[2:3], v[4:5], off
.LBB230_1917:
	s_and_not1_b32 vcc_lo, exec_lo, s3
	s_cbranch_vccnz .LBB230_1919
; %bb.1918:
	s_wait_xcnt 0x0
	v_cvt_f32_f16_e32 v1, v6
	s_delay_alu instid0(VALU_DEP_1)
	v_cvt_i32_f32_e32 v1, v1
	global_store_b32 v[2:3], v1, off
.LBB230_1919:
	s_mov_b32 s3, 0
.LBB230_1920:
	s_delay_alu instid0(SALU_CYCLE_1)
	s_and_not1_b32 vcc_lo, exec_lo, s3
	s_cbranch_vccnz .LBB230_1922
; %bb.1921:
	s_wait_xcnt 0x0
	v_cvt_i16_f16_e32 v1, v6
	global_store_b16 v[2:3], v1, off
.LBB230_1922:
	s_mov_b32 s3, 0
.LBB230_1923:
	s_delay_alu instid0(SALU_CYCLE_1)
	s_and_not1_b32 vcc_lo, exec_lo, s3
	s_cbranch_vccnz .LBB230_1928
; %bb.1924:
	s_cmp_gt_i32 s0, 0
	s_mov_b32 s0, -1
	s_cbranch_scc0 .LBB230_1926
; %bb.1925:
	s_wait_xcnt 0x0
	v_cvt_i16_f16_e32 v1, v6
	s_mov_b32 s0, 0
	global_store_b8 v[2:3], v1, off
.LBB230_1926:
	s_and_not1_b32 vcc_lo, exec_lo, s0
	s_cbranch_vccnz .LBB230_1928
; %bb.1927:
	s_wait_xcnt 0x0
	v_cvt_f32_f16_e32 v1, v6
	s_delay_alu instid0(VALU_DEP_1)
	v_cvt_i32_f32_e32 v1, v1
	global_store_b8 v[2:3], v1, off
.LBB230_1928:
	s_mov_b32 s7, -1
.LBB230_1929:
	s_delay_alu instid0(SALU_CYCLE_1)
	s_and_not1_b32 vcc_lo, exec_lo, s7
	s_cbranch_vccnz .LBB230_2125
; %bb.1930:
	v_add_nc_u32_e32 v0, s2, v0
	s_cmp_lt_i32 s15, 11
	s_wait_xcnt 0x0
	s_delay_alu instid0(VALU_DEP_1) | instskip(NEXT) | instid1(VALU_DEP_1)
	v_ashrrev_i32_e32 v1, 31, v0
	v_add_nc_u64_e32 v[2:3], s[4:5], v[0:1]
	s_cbranch_scc1 .LBB230_2008
; %bb.1931:
	s_and_b32 s3, 0xffff, s15
	s_mov_b32 s8, -1
	s_mov_b32 s6, 0
	s_cmp_gt_i32 s3, 25
	s_mov_b32 s7, 0
	s_mov_b32 s0, 0
	s_cbranch_scc0 .LBB230_1964
; %bb.1932:
	s_cmp_gt_i32 s3, 28
	s_cbranch_scc0 .LBB230_1947
; %bb.1933:
	s_cmp_gt_i32 s3, 43
	;; [unrolled: 3-line block ×3, first 2 shown]
	s_cbranch_scc0 .LBB230_1937
; %bb.1935:
	s_mov_b32 s0, -1
	s_mov_b32 s8, 0
	s_cmp_eq_u32 s3, 46
	s_cbranch_scc0 .LBB230_1937
; %bb.1936:
	v_cvt_f32_f16_e32 v1, v7
	v_cmp_o_f16_e32 vcc_lo, v7, v7
	s_mov_b32 s0, 0
	s_mov_b32 s7, -1
	s_delay_alu instid0(VALU_DEP_2) | instskip(NEXT) | instid1(VALU_DEP_1)
	v_bfe_u32 v4, v1, 16, 1
	v_add3_u32 v1, v1, v4, 0x7fff
	s_delay_alu instid0(VALU_DEP_1) | instskip(NEXT) | instid1(VALU_DEP_1)
	v_lshrrev_b32_e32 v1, 16, v1
	v_cndmask_b32_e32 v1, 0x7fc0, v1, vcc_lo
	global_store_b32 v[2:3], v1, off
.LBB230_1937:
	s_and_b32 vcc_lo, exec_lo, s8
	s_cbranch_vccz .LBB230_1942
; %bb.1938:
	s_cmp_eq_u32 s3, 44
	s_mov_b32 s0, -1
	s_cbranch_scc0 .LBB230_1942
; %bb.1939:
	s_wait_xcnt 0x0
	v_cvt_f32_f16_e32 v1, v7
	v_mov_b32_e32 v4, 0xff
	s_mov_b32 s7, exec_lo
	s_delay_alu instid0(VALU_DEP_2) | instskip(NEXT) | instid1(VALU_DEP_1)
	v_bfe_u32 v5, v1, 23, 8
	v_cmpx_ne_u32_e32 0xff, v5
	s_cbranch_execz .LBB230_1941
; %bb.1940:
	v_and_b32_e32 v4, 0x400000, v1
	v_and_or_b32 v5, 0x3fffff, v1, v5
	v_lshrrev_b32_e32 v1, 23, v1
	s_delay_alu instid0(VALU_DEP_3) | instskip(NEXT) | instid1(VALU_DEP_3)
	v_cmp_ne_u32_e32 vcc_lo, 0, v4
	v_cmp_ne_u32_e64 s0, 0, v5
	s_and_b32 s0, vcc_lo, s0
	s_delay_alu instid0(SALU_CYCLE_1) | instskip(NEXT) | instid1(VALU_DEP_1)
	v_cndmask_b32_e64 v4, 0, 1, s0
	v_add_nc_u32_e32 v4, v1, v4
.LBB230_1941:
	s_or_b32 exec_lo, exec_lo, s7
	s_mov_b32 s0, 0
	s_mov_b32 s7, -1
	global_store_b8 v[2:3], v4, off
.LBB230_1942:
	s_mov_b32 s8, 0
.LBB230_1943:
	s_delay_alu instid0(SALU_CYCLE_1)
	s_and_b32 vcc_lo, exec_lo, s8
	s_cbranch_vccz .LBB230_1946
; %bb.1944:
	s_cmp_eq_u32 s3, 29
	s_mov_b32 s0, -1
	s_cbranch_scc0 .LBB230_1946
; %bb.1945:
	s_wait_xcnt 0x0
	v_cvt_f32_f16_e32 v1, v7
	v_mov_b32_e32 v5, 0
	s_mov_b32 s0, 0
	s_mov_b32 s7, -1
	s_delay_alu instid0(VALU_DEP_2)
	v_cvt_u32_f32_e32 v4, v1
	global_store_b64 v[2:3], v[4:5], off
.LBB230_1946:
	s_mov_b32 s8, 0
.LBB230_1947:
	s_delay_alu instid0(SALU_CYCLE_1)
	s_and_b32 vcc_lo, exec_lo, s8
	s_cbranch_vccz .LBB230_1963
; %bb.1948:
	s_cmp_lt_i32 s3, 27
	s_mov_b32 s7, -1
	s_cbranch_scc1 .LBB230_1954
; %bb.1949:
	s_cmp_gt_i32 s3, 27
	s_cbranch_scc0 .LBB230_1951
; %bb.1950:
	s_wait_xcnt 0x0
	v_cvt_f32_f16_e32 v1, v7
	s_mov_b32 s7, 0
	s_delay_alu instid0(VALU_DEP_1)
	v_cvt_u32_f32_e32 v1, v1
	global_store_b32 v[2:3], v1, off
.LBB230_1951:
	s_and_not1_b32 vcc_lo, exec_lo, s7
	s_cbranch_vccnz .LBB230_1953
; %bb.1952:
	s_wait_xcnt 0x0
	v_cvt_u16_f16_e32 v1, v7
	global_store_b16 v[2:3], v1, off
.LBB230_1953:
	s_mov_b32 s7, 0
.LBB230_1954:
	s_delay_alu instid0(SALU_CYCLE_1)
	s_and_not1_b32 vcc_lo, exec_lo, s7
	s_cbranch_vccnz .LBB230_1962
; %bb.1955:
	s_wait_xcnt 0x0
	v_cvt_f32_f16_e32 v1, v7
	v_mov_b32_e32 v5, 0x80
	s_mov_b32 s7, exec_lo
	s_delay_alu instid0(VALU_DEP_2) | instskip(NEXT) | instid1(VALU_DEP_1)
	v_and_b32_e32 v4, 0x7fffffff, v1
	v_cmpx_gt_u32_e32 0x43800000, v4
	s_cbranch_execz .LBB230_1961
; %bb.1956:
	v_cmp_lt_u32_e32 vcc_lo, 0x3bffffff, v4
	s_mov_b32 s8, 0
                                        ; implicit-def: $vgpr4
	s_and_saveexec_b32 s9, vcc_lo
	s_delay_alu instid0(SALU_CYCLE_1)
	s_xor_b32 s9, exec_lo, s9
	s_cbranch_execz .LBB230_2138
; %bb.1957:
	v_bfe_u32 v4, v1, 20, 1
	s_mov_b32 s8, exec_lo
	s_delay_alu instid0(VALU_DEP_1) | instskip(NEXT) | instid1(VALU_DEP_1)
	v_add3_u32 v4, v1, v4, 0x487ffff
	v_lshrrev_b32_e32 v4, 20, v4
	s_and_not1_saveexec_b32 s9, s9
	s_cbranch_execnz .LBB230_2139
.LBB230_1958:
	s_or_b32 exec_lo, exec_lo, s9
	v_mov_b32_e32 v5, 0
	s_and_saveexec_b32 s9, s8
.LBB230_1959:
	v_lshrrev_b32_e32 v1, 24, v1
	s_delay_alu instid0(VALU_DEP_1)
	v_and_or_b32 v5, 0x80, v1, v4
.LBB230_1960:
	s_or_b32 exec_lo, exec_lo, s9
.LBB230_1961:
	s_delay_alu instid0(SALU_CYCLE_1)
	s_or_b32 exec_lo, exec_lo, s7
	global_store_b8 v[2:3], v5, off
.LBB230_1962:
	s_mov_b32 s7, -1
.LBB230_1963:
	s_mov_b32 s8, 0
.LBB230_1964:
	s_delay_alu instid0(SALU_CYCLE_1)
	s_and_b32 vcc_lo, exec_lo, s8
	s_cbranch_vccz .LBB230_2004
; %bb.1965:
	s_cmp_gt_i32 s3, 22
	s_mov_b32 s6, -1
	s_cbranch_scc0 .LBB230_1997
; %bb.1966:
	s_cmp_lt_i32 s3, 24
	s_cbranch_scc1 .LBB230_1986
; %bb.1967:
	s_cmp_gt_i32 s3, 24
	s_cbranch_scc0 .LBB230_1975
; %bb.1968:
	s_wait_xcnt 0x0
	v_cvt_f32_f16_e32 v1, v7
	v_mov_b32_e32 v5, 0x80
	s_mov_b32 s6, exec_lo
	s_delay_alu instid0(VALU_DEP_2) | instskip(NEXT) | instid1(VALU_DEP_1)
	v_and_b32_e32 v4, 0x7fffffff, v1
	v_cmpx_gt_u32_e32 0x47800000, v4
	s_cbranch_execz .LBB230_1974
; %bb.1969:
	v_cmp_lt_u32_e32 vcc_lo, 0x37ffffff, v4
	s_mov_b32 s7, 0
                                        ; implicit-def: $vgpr4
	s_and_saveexec_b32 s8, vcc_lo
	s_delay_alu instid0(SALU_CYCLE_1)
	s_xor_b32 s8, exec_lo, s8
	s_cbranch_execz .LBB230_2141
; %bb.1970:
	v_bfe_u32 v4, v1, 21, 1
	s_mov_b32 s7, exec_lo
	s_delay_alu instid0(VALU_DEP_1) | instskip(NEXT) | instid1(VALU_DEP_1)
	v_add3_u32 v4, v1, v4, 0x88fffff
	v_lshrrev_b32_e32 v4, 21, v4
	s_and_not1_saveexec_b32 s8, s8
	s_cbranch_execnz .LBB230_2142
.LBB230_1971:
	s_or_b32 exec_lo, exec_lo, s8
	v_mov_b32_e32 v5, 0
	s_and_saveexec_b32 s8, s7
.LBB230_1972:
	v_lshrrev_b32_e32 v1, 24, v1
	s_delay_alu instid0(VALU_DEP_1)
	v_and_or_b32 v5, 0x80, v1, v4
.LBB230_1973:
	s_or_b32 exec_lo, exec_lo, s8
.LBB230_1974:
	s_delay_alu instid0(SALU_CYCLE_1)
	s_or_b32 exec_lo, exec_lo, s6
	s_mov_b32 s6, 0
	global_store_b8 v[2:3], v5, off
.LBB230_1975:
	s_and_b32 vcc_lo, exec_lo, s6
	s_cbranch_vccz .LBB230_1985
; %bb.1976:
	s_wait_xcnt 0x0
	v_cvt_f32_f16_e32 v1, v7
	s_mov_b32 s6, exec_lo
                                        ; implicit-def: $vgpr4
	s_delay_alu instid0(VALU_DEP_1) | instskip(NEXT) | instid1(VALU_DEP_1)
	v_and_b32_e32 v5, 0x7fffffff, v1
	v_cmpx_gt_u32_e32 0x43f00000, v5
	s_xor_b32 s6, exec_lo, s6
	s_cbranch_execz .LBB230_1982
; %bb.1977:
	s_mov_b32 s7, exec_lo
                                        ; implicit-def: $vgpr4
	v_cmpx_lt_u32_e32 0x3c7fffff, v5
	s_xor_b32 s7, exec_lo, s7
; %bb.1978:
	v_bfe_u32 v4, v1, 20, 1
	s_delay_alu instid0(VALU_DEP_1) | instskip(NEXT) | instid1(VALU_DEP_1)
	v_add3_u32 v4, v1, v4, 0x407ffff
	v_and_b32_e32 v5, 0xff00000, v4
	v_lshrrev_b32_e32 v4, 20, v4
	s_delay_alu instid0(VALU_DEP_2) | instskip(NEXT) | instid1(VALU_DEP_2)
	v_cmp_ne_u32_e32 vcc_lo, 0x7f00000, v5
	v_cndmask_b32_e32 v4, 0x7e, v4, vcc_lo
; %bb.1979:
	s_and_not1_saveexec_b32 s7, s7
; %bb.1980:
	v_add_f32_e64 v4, 0x46800000, |v1|
; %bb.1981:
	s_or_b32 exec_lo, exec_lo, s7
                                        ; implicit-def: $vgpr5
.LBB230_1982:
	s_and_not1_saveexec_b32 s6, s6
; %bb.1983:
	v_mov_b32_e32 v4, 0x7f
	v_cmp_lt_u32_e32 vcc_lo, 0x7f800000, v5
	s_delay_alu instid0(VALU_DEP_2)
	v_cndmask_b32_e32 v4, 0x7e, v4, vcc_lo
; %bb.1984:
	s_or_b32 exec_lo, exec_lo, s6
	v_lshrrev_b32_e32 v1, 24, v1
	s_delay_alu instid0(VALU_DEP_1)
	v_and_or_b32 v1, 0x80, v1, v4
	global_store_b8 v[2:3], v1, off
.LBB230_1985:
	s_mov_b32 s6, 0
.LBB230_1986:
	s_delay_alu instid0(SALU_CYCLE_1)
	s_and_not1_b32 vcc_lo, exec_lo, s6
	s_cbranch_vccnz .LBB230_1996
; %bb.1987:
	s_wait_xcnt 0x0
	v_cvt_f32_f16_e32 v1, v7
	s_mov_b32 s6, exec_lo
                                        ; implicit-def: $vgpr4
	s_delay_alu instid0(VALU_DEP_1) | instskip(NEXT) | instid1(VALU_DEP_1)
	v_and_b32_e32 v5, 0x7fffffff, v1
	v_cmpx_gt_u32_e32 0x47800000, v5
	s_xor_b32 s6, exec_lo, s6
	s_cbranch_execz .LBB230_1993
; %bb.1988:
	s_mov_b32 s7, exec_lo
                                        ; implicit-def: $vgpr4
	v_cmpx_lt_u32_e32 0x387fffff, v5
	s_xor_b32 s7, exec_lo, s7
; %bb.1989:
	v_bfe_u32 v4, v1, 21, 1
	s_delay_alu instid0(VALU_DEP_1) | instskip(NEXT) | instid1(VALU_DEP_1)
	v_add3_u32 v4, v1, v4, 0x80fffff
	v_lshrrev_b32_e32 v4, 21, v4
; %bb.1990:
	s_and_not1_saveexec_b32 s7, s7
; %bb.1991:
	v_add_f32_e64 v4, 0x43000000, |v1|
; %bb.1992:
	s_or_b32 exec_lo, exec_lo, s7
                                        ; implicit-def: $vgpr5
.LBB230_1993:
	s_and_not1_saveexec_b32 s6, s6
; %bb.1994:
	v_mov_b32_e32 v4, 0x7f
	v_cmp_lt_u32_e32 vcc_lo, 0x7f800000, v5
	s_delay_alu instid0(VALU_DEP_2)
	v_cndmask_b32_e32 v4, 0x7c, v4, vcc_lo
; %bb.1995:
	s_or_b32 exec_lo, exec_lo, s6
	v_lshrrev_b32_e32 v1, 24, v1
	s_delay_alu instid0(VALU_DEP_1)
	v_and_or_b32 v1, 0x80, v1, v4
	global_store_b8 v[2:3], v1, off
.LBB230_1996:
	s_mov_b32 s6, 0
	s_mov_b32 s7, -1
.LBB230_1997:
	s_and_not1_b32 vcc_lo, exec_lo, s6
	s_mov_b32 s6, 0
	s_cbranch_vccnz .LBB230_2004
; %bb.1998:
	s_cmp_gt_i32 s3, 14
	s_mov_b32 s6, -1
	s_cbranch_scc0 .LBB230_2002
; %bb.1999:
	s_cmp_eq_u32 s3, 15
	s_mov_b32 s0, -1
	s_cbranch_scc0 .LBB230_2001
; %bb.2000:
	s_wait_xcnt 0x0
	v_cvt_f32_f16_e32 v1, v7
	v_cmp_o_f16_e32 vcc_lo, v7, v7
	s_mov_b32 s0, 0
	s_mov_b32 s7, -1
	s_delay_alu instid0(VALU_DEP_2) | instskip(NEXT) | instid1(VALU_DEP_1)
	v_bfe_u32 v4, v1, 16, 1
	v_add3_u32 v1, v1, v4, 0x7fff
	s_delay_alu instid0(VALU_DEP_1) | instskip(NEXT) | instid1(VALU_DEP_1)
	v_lshrrev_b32_e32 v1, 16, v1
	v_cndmask_b32_e32 v1, 0x7fc0, v1, vcc_lo
	global_store_b16 v[2:3], v1, off
.LBB230_2001:
	s_mov_b32 s6, 0
.LBB230_2002:
	s_delay_alu instid0(SALU_CYCLE_1)
	s_and_b32 vcc_lo, exec_lo, s6
	s_mov_b32 s6, 0
	s_cbranch_vccz .LBB230_2004
; %bb.2003:
	s_cmp_lg_u32 s3, 11
	s_mov_b32 s6, -1
	s_cselect_b32 s0, -1, 0
.LBB230_2004:
	s_delay_alu instid0(SALU_CYCLE_1)
	s_and_b32 vcc_lo, exec_lo, s0
	s_cbranch_vccnz .LBB230_2140
; %bb.2005:
	s_and_not1_b32 vcc_lo, exec_lo, s6
	s_cbranch_vccnz .LBB230_2007
.LBB230_2006:
	s_wait_xcnt 0x0
	v_and_b32_e32 v1, 0x7fff, v7
	s_mov_b32 s7, -1
	s_delay_alu instid0(VALU_DEP_1)
	v_cmp_ne_u16_e32 vcc_lo, 0, v1
	v_cndmask_b32_e64 v1, 0, 1, vcc_lo
	global_store_b8 v[2:3], v1, off
.LBB230_2007:
	s_mov_b32 s0, 0
	s_branch .LBB230_2009
.LBB230_2008:
	s_mov_b32 s0, -1
	s_mov_b32 s7, 0
.LBB230_2009:
	s_and_b32 vcc_lo, exec_lo, s0
	s_cbranch_vccz .LBB230_2048
; %bb.2010:
	s_and_b32 s0, 0xffff, s15
	s_mov_b32 s3, -1
	s_cmp_lt_i32 s0, 5
	s_cbranch_scc1 .LBB230_2031
; %bb.2011:
	s_cmp_lt_i32 s0, 8
	s_cbranch_scc1 .LBB230_2021
; %bb.2012:
	;; [unrolled: 3-line block ×3, first 2 shown]
	s_cmp_gt_i32 s0, 9
	s_cbranch_scc0 .LBB230_2015
; %bb.2014:
	s_wait_xcnt 0x0
	v_cvt_f32_f16_e32 v1, v7
	v_mov_b32_e32 v12, 0
	s_mov_b32 s3, 0
	s_delay_alu instid0(VALU_DEP_2) | instskip(NEXT) | instid1(VALU_DEP_2)
	v_cvt_f64_f32_e32 v[10:11], v1
	v_mov_b32_e32 v13, v12
	global_store_b128 v[2:3], v[10:13], off
.LBB230_2015:
	s_and_not1_b32 vcc_lo, exec_lo, s3
	s_cbranch_vccnz .LBB230_2017
; %bb.2016:
	s_wait_xcnt 0x0
	v_cvt_f32_f16_e32 v4, v7
	v_mov_b32_e32 v5, 0
	global_store_b64 v[2:3], v[4:5], off
.LBB230_2017:
	s_mov_b32 s3, 0
.LBB230_2018:
	s_delay_alu instid0(SALU_CYCLE_1)
	s_and_not1_b32 vcc_lo, exec_lo, s3
	s_cbranch_vccnz .LBB230_2020
; %bb.2019:
	s_wait_xcnt 0x0
	v_and_b32_e32 v1, 0xffff, v7
	global_store_b32 v[2:3], v1, off
.LBB230_2020:
	s_mov_b32 s3, 0
.LBB230_2021:
	s_delay_alu instid0(SALU_CYCLE_1)
	s_and_not1_b32 vcc_lo, exec_lo, s3
	s_cbranch_vccnz .LBB230_2030
; %bb.2022:
	s_cmp_lt_i32 s0, 6
	s_mov_b32 s3, -1
	s_cbranch_scc1 .LBB230_2028
; %bb.2023:
	s_cmp_gt_i32 s0, 6
	s_cbranch_scc0 .LBB230_2025
; %bb.2024:
	s_wait_xcnt 0x0
	v_cvt_f32_f16_e32 v1, v7
	s_mov_b32 s3, 0
	s_delay_alu instid0(VALU_DEP_1)
	v_cvt_f64_f32_e32 v[4:5], v1
	global_store_b64 v[2:3], v[4:5], off
.LBB230_2025:
	s_and_not1_b32 vcc_lo, exec_lo, s3
	s_cbranch_vccnz .LBB230_2027
; %bb.2026:
	s_wait_xcnt 0x0
	v_cvt_f32_f16_e32 v1, v7
	global_store_b32 v[2:3], v1, off
.LBB230_2027:
	s_mov_b32 s3, 0
.LBB230_2028:
	s_delay_alu instid0(SALU_CYCLE_1)
	s_and_not1_b32 vcc_lo, exec_lo, s3
	s_cbranch_vccnz .LBB230_2030
; %bb.2029:
	global_store_b16 v[2:3], v7, off
.LBB230_2030:
	s_mov_b32 s3, 0
.LBB230_2031:
	s_delay_alu instid0(SALU_CYCLE_1)
	s_and_not1_b32 vcc_lo, exec_lo, s3
	s_cbranch_vccnz .LBB230_2047
; %bb.2032:
	s_cmp_lt_i32 s0, 2
	s_mov_b32 s3, -1
	s_cbranch_scc1 .LBB230_2042
; %bb.2033:
	s_cmp_lt_i32 s0, 3
	s_cbranch_scc1 .LBB230_2039
; %bb.2034:
	s_cmp_gt_i32 s0, 3
	s_cbranch_scc0 .LBB230_2036
; %bb.2035:
	s_wait_xcnt 0x0
	v_cvt_f32_f16_e32 v1, v7
	s_mov_b32 s3, 0
	s_delay_alu instid0(VALU_DEP_1) | instskip(NEXT) | instid1(VALU_DEP_1)
	v_cvt_i32_f32_e32 v4, v1
	v_ashrrev_i32_e32 v5, 31, v4
	global_store_b64 v[2:3], v[4:5], off
.LBB230_2036:
	s_and_not1_b32 vcc_lo, exec_lo, s3
	s_cbranch_vccnz .LBB230_2038
; %bb.2037:
	s_wait_xcnt 0x0
	v_cvt_f32_f16_e32 v1, v7
	s_delay_alu instid0(VALU_DEP_1)
	v_cvt_i32_f32_e32 v1, v1
	global_store_b32 v[2:3], v1, off
.LBB230_2038:
	s_mov_b32 s3, 0
.LBB230_2039:
	s_delay_alu instid0(SALU_CYCLE_1)
	s_and_not1_b32 vcc_lo, exec_lo, s3
	s_cbranch_vccnz .LBB230_2041
; %bb.2040:
	s_wait_xcnt 0x0
	v_cvt_i16_f16_e32 v1, v7
	global_store_b16 v[2:3], v1, off
.LBB230_2041:
	s_mov_b32 s3, 0
.LBB230_2042:
	s_delay_alu instid0(SALU_CYCLE_1)
	s_and_not1_b32 vcc_lo, exec_lo, s3
	s_cbranch_vccnz .LBB230_2047
; %bb.2043:
	s_cmp_gt_i32 s0, 0
	s_mov_b32 s0, -1
	s_cbranch_scc0 .LBB230_2045
; %bb.2044:
	s_wait_xcnt 0x0
	v_cvt_i16_f16_e32 v1, v7
	s_mov_b32 s0, 0
	global_store_b8 v[2:3], v1, off
.LBB230_2045:
	s_and_not1_b32 vcc_lo, exec_lo, s0
	s_cbranch_vccnz .LBB230_2047
; %bb.2046:
	s_wait_xcnt 0x0
	v_cvt_f32_f16_e32 v1, v7
	s_delay_alu instid0(VALU_DEP_1)
	v_cvt_i32_f32_e32 v1, v1
	global_store_b8 v[2:3], v1, off
.LBB230_2047:
	s_mov_b32 s7, -1
.LBB230_2048:
	s_delay_alu instid0(SALU_CYCLE_1)
	s_and_not1_b32 vcc_lo, exec_lo, s7
	s_cbranch_vccnz .LBB230_2125
; %bb.2049:
	v_add_nc_u32_e32 v0, s2, v0
	s_cmp_lt_i32 s15, 11
	s_wait_xcnt 0x0
	s_delay_alu instid0(VALU_DEP_1) | instskip(NEXT) | instid1(VALU_DEP_1)
	v_ashrrev_i32_e32 v1, 31, v0
	v_add_nc_u64_e32 v[0:1], s[4:5], v[0:1]
	s_cbranch_scc1 .LBB230_2126
; %bb.2050:
	s_and_b32 s2, 0xffff, s15
	s_mov_b32 s4, -1
	s_mov_b32 s3, 0
	s_cmp_gt_i32 s2, 25
	s_mov_b32 s0, 0
	s_cbranch_scc0 .LBB230_2083
; %bb.2051:
	s_cmp_gt_i32 s2, 28
	s_cbranch_scc0 .LBB230_2067
; %bb.2052:
	s_cmp_gt_i32 s2, 43
	;; [unrolled: 3-line block ×3, first 2 shown]
	s_cbranch_scc0 .LBB230_2057
; %bb.2054:
	s_cmp_eq_u32 s2, 46
	s_mov_b32 s0, -1
	s_cbranch_scc0 .LBB230_2056
; %bb.2055:
	v_cvt_f32_f16_e32 v2, v8
	v_cmp_o_f16_e32 vcc_lo, v8, v8
	s_mov_b32 s0, 0
	s_delay_alu instid0(VALU_DEP_2) | instskip(NEXT) | instid1(VALU_DEP_1)
	v_bfe_u32 v3, v2, 16, 1
	v_add3_u32 v2, v2, v3, 0x7fff
	s_delay_alu instid0(VALU_DEP_1) | instskip(NEXT) | instid1(VALU_DEP_1)
	v_lshrrev_b32_e32 v2, 16, v2
	v_cndmask_b32_e32 v2, 0x7fc0, v2, vcc_lo
	global_store_b32 v[0:1], v2, off
.LBB230_2056:
	s_mov_b32 s4, 0
.LBB230_2057:
	s_delay_alu instid0(SALU_CYCLE_1)
	s_and_b32 vcc_lo, exec_lo, s4
	s_cbranch_vccz .LBB230_2062
; %bb.2058:
	s_cmp_eq_u32 s2, 44
	s_mov_b32 s0, -1
	s_cbranch_scc0 .LBB230_2062
; %bb.2059:
	s_wait_xcnt 0x0
	v_cvt_f32_f16_e32 v2, v8
	v_mov_b32_e32 v3, 0xff
	s_mov_b32 s4, exec_lo
	s_delay_alu instid0(VALU_DEP_2) | instskip(NEXT) | instid1(VALU_DEP_1)
	v_bfe_u32 v4, v2, 23, 8
	v_cmpx_ne_u32_e32 0xff, v4
	s_cbranch_execz .LBB230_2061
; %bb.2060:
	v_and_b32_e32 v3, 0x400000, v2
	v_and_or_b32 v4, 0x3fffff, v2, v4
	v_lshrrev_b32_e32 v2, 23, v2
	s_delay_alu instid0(VALU_DEP_3) | instskip(NEXT) | instid1(VALU_DEP_3)
	v_cmp_ne_u32_e32 vcc_lo, 0, v3
	v_cmp_ne_u32_e64 s0, 0, v4
	s_and_b32 s0, vcc_lo, s0
	s_delay_alu instid0(SALU_CYCLE_1) | instskip(NEXT) | instid1(VALU_DEP_1)
	v_cndmask_b32_e64 v3, 0, 1, s0
	v_add_nc_u32_e32 v3, v2, v3
.LBB230_2061:
	s_or_b32 exec_lo, exec_lo, s4
	s_mov_b32 s0, 0
	global_store_b8 v[0:1], v3, off
.LBB230_2062:
	s_mov_b32 s4, 0
.LBB230_2063:
	s_delay_alu instid0(SALU_CYCLE_1)
	s_and_b32 vcc_lo, exec_lo, s4
	s_cbranch_vccz .LBB230_2066
; %bb.2064:
	s_cmp_eq_u32 s2, 29
	s_mov_b32 s0, -1
	s_cbranch_scc0 .LBB230_2066
; %bb.2065:
	s_wait_xcnt 0x0
	v_cvt_f32_f16_e32 v2, v8
	v_mov_b32_e32 v3, 0
	s_mov_b32 s0, 0
	s_delay_alu instid0(VALU_DEP_2)
	v_cvt_u32_f32_e32 v2, v2
	global_store_b64 v[0:1], v[2:3], off
.LBB230_2066:
	s_mov_b32 s4, 0
.LBB230_2067:
	s_delay_alu instid0(SALU_CYCLE_1)
	s_and_b32 vcc_lo, exec_lo, s4
	s_cbranch_vccz .LBB230_2082
; %bb.2068:
	s_cmp_lt_i32 s2, 27
	s_mov_b32 s4, -1
	s_cbranch_scc1 .LBB230_2074
; %bb.2069:
	s_cmp_gt_i32 s2, 27
	s_cbranch_scc0 .LBB230_2071
; %bb.2070:
	s_wait_xcnt 0x0
	v_cvt_f32_f16_e32 v2, v8
	s_mov_b32 s4, 0
	s_delay_alu instid0(VALU_DEP_1)
	v_cvt_u32_f32_e32 v2, v2
	global_store_b32 v[0:1], v2, off
.LBB230_2071:
	s_and_not1_b32 vcc_lo, exec_lo, s4
	s_cbranch_vccnz .LBB230_2073
; %bb.2072:
	s_wait_xcnt 0x0
	v_cvt_u16_f16_e32 v2, v8
	global_store_b16 v[0:1], v2, off
.LBB230_2073:
	s_mov_b32 s4, 0
.LBB230_2074:
	s_delay_alu instid0(SALU_CYCLE_1)
	s_and_not1_b32 vcc_lo, exec_lo, s4
	s_cbranch_vccnz .LBB230_2082
; %bb.2075:
	s_wait_xcnt 0x0
	v_cvt_f32_f16_e32 v2, v8
	v_mov_b32_e32 v4, 0x80
	s_mov_b32 s4, exec_lo
	s_delay_alu instid0(VALU_DEP_2) | instskip(NEXT) | instid1(VALU_DEP_1)
	v_and_b32_e32 v3, 0x7fffffff, v2
	v_cmpx_gt_u32_e32 0x43800000, v3
	s_cbranch_execz .LBB230_2081
; %bb.2076:
	v_cmp_lt_u32_e32 vcc_lo, 0x3bffffff, v3
	s_mov_b32 s5, 0
                                        ; implicit-def: $vgpr3
	s_and_saveexec_b32 s6, vcc_lo
	s_delay_alu instid0(SALU_CYCLE_1)
	s_xor_b32 s6, exec_lo, s6
	s_cbranch_execz .LBB230_2143
; %bb.2077:
	v_bfe_u32 v3, v2, 20, 1
	s_mov_b32 s5, exec_lo
	s_delay_alu instid0(VALU_DEP_1) | instskip(NEXT) | instid1(VALU_DEP_1)
	v_add3_u32 v3, v2, v3, 0x487ffff
	v_lshrrev_b32_e32 v3, 20, v3
	s_and_not1_saveexec_b32 s6, s6
	s_cbranch_execnz .LBB230_2144
.LBB230_2078:
	s_or_b32 exec_lo, exec_lo, s6
	v_mov_b32_e32 v4, 0
	s_and_saveexec_b32 s6, s5
.LBB230_2079:
	v_lshrrev_b32_e32 v2, 24, v2
	s_delay_alu instid0(VALU_DEP_1)
	v_and_or_b32 v4, 0x80, v2, v3
.LBB230_2080:
	s_or_b32 exec_lo, exec_lo, s6
.LBB230_2081:
	s_delay_alu instid0(SALU_CYCLE_1)
	s_or_b32 exec_lo, exec_lo, s4
	global_store_b8 v[0:1], v4, off
.LBB230_2082:
	s_mov_b32 s4, 0
.LBB230_2083:
	s_delay_alu instid0(SALU_CYCLE_1)
	s_and_b32 vcc_lo, exec_lo, s4
	s_cbranch_vccz .LBB230_2123
; %bb.2084:
	s_cmp_gt_i32 s2, 22
	s_mov_b32 s3, -1
	s_cbranch_scc0 .LBB230_2116
; %bb.2085:
	s_cmp_lt_i32 s2, 24
	s_cbranch_scc1 .LBB230_2105
; %bb.2086:
	s_cmp_gt_i32 s2, 24
	s_cbranch_scc0 .LBB230_2094
; %bb.2087:
	s_wait_xcnt 0x0
	v_cvt_f32_f16_e32 v2, v8
	v_mov_b32_e32 v4, 0x80
	s_mov_b32 s3, exec_lo
	s_delay_alu instid0(VALU_DEP_2) | instskip(NEXT) | instid1(VALU_DEP_1)
	v_and_b32_e32 v3, 0x7fffffff, v2
	v_cmpx_gt_u32_e32 0x47800000, v3
	s_cbranch_execz .LBB230_2093
; %bb.2088:
	v_cmp_lt_u32_e32 vcc_lo, 0x37ffffff, v3
	s_mov_b32 s4, 0
                                        ; implicit-def: $vgpr3
	s_and_saveexec_b32 s5, vcc_lo
	s_delay_alu instid0(SALU_CYCLE_1)
	s_xor_b32 s5, exec_lo, s5
	s_cbranch_execz .LBB230_2146
; %bb.2089:
	v_bfe_u32 v3, v2, 21, 1
	s_mov_b32 s4, exec_lo
	s_delay_alu instid0(VALU_DEP_1) | instskip(NEXT) | instid1(VALU_DEP_1)
	v_add3_u32 v3, v2, v3, 0x88fffff
	v_lshrrev_b32_e32 v3, 21, v3
	s_and_not1_saveexec_b32 s5, s5
	s_cbranch_execnz .LBB230_2147
.LBB230_2090:
	s_or_b32 exec_lo, exec_lo, s5
	v_mov_b32_e32 v4, 0
	s_and_saveexec_b32 s5, s4
.LBB230_2091:
	v_lshrrev_b32_e32 v2, 24, v2
	s_delay_alu instid0(VALU_DEP_1)
	v_and_or_b32 v4, 0x80, v2, v3
.LBB230_2092:
	s_or_b32 exec_lo, exec_lo, s5
.LBB230_2093:
	s_delay_alu instid0(SALU_CYCLE_1)
	s_or_b32 exec_lo, exec_lo, s3
	s_mov_b32 s3, 0
	global_store_b8 v[0:1], v4, off
.LBB230_2094:
	s_and_b32 vcc_lo, exec_lo, s3
	s_cbranch_vccz .LBB230_2104
; %bb.2095:
	s_wait_xcnt 0x0
	v_cvt_f32_f16_e32 v2, v8
	s_mov_b32 s3, exec_lo
                                        ; implicit-def: $vgpr3
	s_delay_alu instid0(VALU_DEP_1) | instskip(NEXT) | instid1(VALU_DEP_1)
	v_and_b32_e32 v4, 0x7fffffff, v2
	v_cmpx_gt_u32_e32 0x43f00000, v4
	s_xor_b32 s3, exec_lo, s3
	s_cbranch_execz .LBB230_2101
; %bb.2096:
	s_mov_b32 s4, exec_lo
                                        ; implicit-def: $vgpr3
	v_cmpx_lt_u32_e32 0x3c7fffff, v4
	s_xor_b32 s4, exec_lo, s4
; %bb.2097:
	v_bfe_u32 v3, v2, 20, 1
	s_delay_alu instid0(VALU_DEP_1) | instskip(NEXT) | instid1(VALU_DEP_1)
	v_add3_u32 v3, v2, v3, 0x407ffff
	v_and_b32_e32 v4, 0xff00000, v3
	v_lshrrev_b32_e32 v3, 20, v3
	s_delay_alu instid0(VALU_DEP_2) | instskip(NEXT) | instid1(VALU_DEP_2)
	v_cmp_ne_u32_e32 vcc_lo, 0x7f00000, v4
	v_cndmask_b32_e32 v3, 0x7e, v3, vcc_lo
; %bb.2098:
	s_and_not1_saveexec_b32 s4, s4
; %bb.2099:
	v_add_f32_e64 v3, 0x46800000, |v2|
; %bb.2100:
	s_or_b32 exec_lo, exec_lo, s4
                                        ; implicit-def: $vgpr4
.LBB230_2101:
	s_and_not1_saveexec_b32 s3, s3
; %bb.2102:
	v_mov_b32_e32 v3, 0x7f
	v_cmp_lt_u32_e32 vcc_lo, 0x7f800000, v4
	s_delay_alu instid0(VALU_DEP_2)
	v_cndmask_b32_e32 v3, 0x7e, v3, vcc_lo
; %bb.2103:
	s_or_b32 exec_lo, exec_lo, s3
	v_lshrrev_b32_e32 v2, 24, v2
	s_delay_alu instid0(VALU_DEP_1)
	v_and_or_b32 v2, 0x80, v2, v3
	global_store_b8 v[0:1], v2, off
.LBB230_2104:
	s_mov_b32 s3, 0
.LBB230_2105:
	s_delay_alu instid0(SALU_CYCLE_1)
	s_and_not1_b32 vcc_lo, exec_lo, s3
	s_cbranch_vccnz .LBB230_2115
; %bb.2106:
	s_wait_xcnt 0x0
	v_cvt_f32_f16_e32 v2, v8
	s_mov_b32 s3, exec_lo
                                        ; implicit-def: $vgpr3
	s_delay_alu instid0(VALU_DEP_1) | instskip(NEXT) | instid1(VALU_DEP_1)
	v_and_b32_e32 v4, 0x7fffffff, v2
	v_cmpx_gt_u32_e32 0x47800000, v4
	s_xor_b32 s3, exec_lo, s3
	s_cbranch_execz .LBB230_2112
; %bb.2107:
	s_mov_b32 s4, exec_lo
                                        ; implicit-def: $vgpr3
	v_cmpx_lt_u32_e32 0x387fffff, v4
	s_xor_b32 s4, exec_lo, s4
; %bb.2108:
	v_bfe_u32 v3, v2, 21, 1
	s_delay_alu instid0(VALU_DEP_1) | instskip(NEXT) | instid1(VALU_DEP_1)
	v_add3_u32 v3, v2, v3, 0x80fffff
	v_lshrrev_b32_e32 v3, 21, v3
; %bb.2109:
	s_and_not1_saveexec_b32 s4, s4
; %bb.2110:
	v_add_f32_e64 v3, 0x43000000, |v2|
; %bb.2111:
	s_or_b32 exec_lo, exec_lo, s4
                                        ; implicit-def: $vgpr4
.LBB230_2112:
	s_and_not1_saveexec_b32 s3, s3
; %bb.2113:
	v_mov_b32_e32 v3, 0x7f
	v_cmp_lt_u32_e32 vcc_lo, 0x7f800000, v4
	s_delay_alu instid0(VALU_DEP_2)
	v_cndmask_b32_e32 v3, 0x7c, v3, vcc_lo
; %bb.2114:
	s_or_b32 exec_lo, exec_lo, s3
	v_lshrrev_b32_e32 v2, 24, v2
	s_delay_alu instid0(VALU_DEP_1)
	v_and_or_b32 v2, 0x80, v2, v3
	global_store_b8 v[0:1], v2, off
.LBB230_2115:
	s_mov_b32 s3, 0
.LBB230_2116:
	s_delay_alu instid0(SALU_CYCLE_1)
	s_and_not1_b32 vcc_lo, exec_lo, s3
	s_mov_b32 s3, 0
	s_cbranch_vccnz .LBB230_2123
; %bb.2117:
	s_cmp_gt_i32 s2, 14
	s_mov_b32 s3, -1
	s_cbranch_scc0 .LBB230_2121
; %bb.2118:
	s_cmp_eq_u32 s2, 15
	s_mov_b32 s0, -1
	s_cbranch_scc0 .LBB230_2120
; %bb.2119:
	s_wait_xcnt 0x0
	v_cvt_f32_f16_e32 v2, v8
	v_cmp_o_f16_e32 vcc_lo, v8, v8
	s_mov_b32 s0, 0
	s_delay_alu instid0(VALU_DEP_2) | instskip(NEXT) | instid1(VALU_DEP_1)
	v_bfe_u32 v3, v2, 16, 1
	v_add3_u32 v2, v2, v3, 0x7fff
	s_delay_alu instid0(VALU_DEP_1) | instskip(NEXT) | instid1(VALU_DEP_1)
	v_lshrrev_b32_e32 v2, 16, v2
	v_cndmask_b32_e32 v2, 0x7fc0, v2, vcc_lo
	global_store_b16 v[0:1], v2, off
.LBB230_2120:
	s_mov_b32 s3, 0
.LBB230_2121:
	s_delay_alu instid0(SALU_CYCLE_1)
	s_and_b32 vcc_lo, exec_lo, s3
	s_mov_b32 s3, 0
	s_cbranch_vccz .LBB230_2123
; %bb.2122:
	s_cmp_lg_u32 s2, 11
	s_mov_b32 s3, -1
	s_cselect_b32 s0, -1, 0
.LBB230_2123:
	s_delay_alu instid0(SALU_CYCLE_1)
	s_and_b32 vcc_lo, exec_lo, s0
	s_cbranch_vccnz .LBB230_2145
.LBB230_2124:
	s_mov_b32 s0, 0
	s_branch .LBB230_1639
.LBB230_2125:
	s_mov_b32 s0, 0
	s_mov_b32 s3, 0
                                        ; implicit-def: $sgpr15
                                        ; implicit-def: $vgpr0_vgpr1
	s_branch .LBB230_1639
.LBB230_2126:
	s_mov_b32 s3, 0
	s_mov_b32 s0, -1
	s_branch .LBB230_1639
.LBB230_2127:
	s_or_b32 s1, s1, exec_lo
	s_trap 2
	s_cbranch_execz .LBB230_1582
	s_branch .LBB230_1583
.LBB230_2128:
	s_and_not1_saveexec_b32 s9, s9
	s_cbranch_execz .LBB230_1718
.LBB230_2129:
	v_add_f32_e64 v4, 0x46000000, |v1|
	s_and_not1_b32 s7, s7, exec_lo
	s_delay_alu instid0(VALU_DEP_1) | instskip(NEXT) | instid1(VALU_DEP_1)
	v_and_b32_e32 v4, 0xff, v4
	v_cmp_ne_u32_e32 vcc_lo, 0, v4
	s_and_b32 s10, vcc_lo, exec_lo
	s_delay_alu instid0(SALU_CYCLE_1)
	s_or_b32 s7, s7, s10
	s_or_b32 exec_lo, exec_lo, s9
	v_mov_b32_e32 v9, 0
	s_and_saveexec_b32 s9, s7
	s_cbranch_execnz .LBB230_1719
	s_branch .LBB230_1720
.LBB230_2130:
	s_or_b32 s1, s1, exec_lo
	s_trap 2
	s_cbranch_execz .LBB230_1766
	s_branch .LBB230_1767
.LBB230_2131:
	s_and_not1_saveexec_b32 s7, s7
	s_cbranch_execz .LBB230_1731
.LBB230_2132:
	v_add_f32_e64 v4, 0x42800000, |v1|
	s_and_not1_b32 s6, s6, exec_lo
	s_delay_alu instid0(VALU_DEP_1) | instskip(NEXT) | instid1(VALU_DEP_1)
	v_and_b32_e32 v4, 0xff, v4
	v_cmp_ne_u32_e32 vcc_lo, 0, v4
	s_and_b32 s9, vcc_lo, exec_lo
	s_delay_alu instid0(SALU_CYCLE_1)
	s_or_b32 s6, s6, s9
	s_or_b32 exec_lo, exec_lo, s7
	v_mov_b32_e32 v9, 0
	s_and_saveexec_b32 s7, s6
	s_cbranch_execnz .LBB230_1732
	s_branch .LBB230_1733
.LBB230_2133:
	s_and_not1_saveexec_b32 s9, s9
	s_cbranch_execz .LBB230_1839
.LBB230_2134:
	v_add_f32_e64 v4, 0x46000000, |v1|
	s_and_not1_b32 s8, s8, exec_lo
	s_delay_alu instid0(VALU_DEP_1) | instskip(NEXT) | instid1(VALU_DEP_1)
	v_and_b32_e32 v4, 0xff, v4
	v_cmp_ne_u32_e32 vcc_lo, 0, v4
	s_and_b32 s10, vcc_lo, exec_lo
	s_delay_alu instid0(SALU_CYCLE_1)
	s_or_b32 s8, s8, s10
	s_or_b32 exec_lo, exec_lo, s9
	v_mov_b32_e32 v5, 0
	s_and_saveexec_b32 s9, s8
	s_cbranch_execnz .LBB230_1840
	s_branch .LBB230_1841
.LBB230_2135:
	s_or_b32 s1, s1, exec_lo
	s_trap 2
	s_cbranch_execz .LBB230_1887
	s_branch .LBB230_1888
.LBB230_2136:
	s_and_not1_saveexec_b32 s8, s8
	s_cbranch_execz .LBB230_1852
.LBB230_2137:
	v_add_f32_e64 v4, 0x42800000, |v1|
	s_and_not1_b32 s7, s7, exec_lo
	s_delay_alu instid0(VALU_DEP_1) | instskip(NEXT) | instid1(VALU_DEP_1)
	v_and_b32_e32 v4, 0xff, v4
	v_cmp_ne_u32_e32 vcc_lo, 0, v4
	s_and_b32 s9, vcc_lo, exec_lo
	s_delay_alu instid0(SALU_CYCLE_1)
	s_or_b32 s7, s7, s9
	s_or_b32 exec_lo, exec_lo, s8
	v_mov_b32_e32 v5, 0
	s_and_saveexec_b32 s8, s7
	s_cbranch_execnz .LBB230_1853
	s_branch .LBB230_1854
.LBB230_2138:
	s_and_not1_saveexec_b32 s9, s9
	s_cbranch_execz .LBB230_1958
.LBB230_2139:
	v_add_f32_e64 v4, 0x46000000, |v1|
	s_and_not1_b32 s8, s8, exec_lo
	s_delay_alu instid0(VALU_DEP_1) | instskip(NEXT) | instid1(VALU_DEP_1)
	v_and_b32_e32 v4, 0xff, v4
	v_cmp_ne_u32_e32 vcc_lo, 0, v4
	s_and_b32 s10, vcc_lo, exec_lo
	s_delay_alu instid0(SALU_CYCLE_1)
	s_or_b32 s8, s8, s10
	s_or_b32 exec_lo, exec_lo, s9
	v_mov_b32_e32 v5, 0
	s_and_saveexec_b32 s9, s8
	s_cbranch_execnz .LBB230_1959
	s_branch .LBB230_1960
.LBB230_2140:
	s_or_b32 s1, s1, exec_lo
	s_trap 2
	s_cbranch_execz .LBB230_2006
	s_branch .LBB230_2007
.LBB230_2141:
	s_and_not1_saveexec_b32 s8, s8
	s_cbranch_execz .LBB230_1971
.LBB230_2142:
	v_add_f32_e64 v4, 0x42800000, |v1|
	s_and_not1_b32 s7, s7, exec_lo
	s_delay_alu instid0(VALU_DEP_1) | instskip(NEXT) | instid1(VALU_DEP_1)
	v_and_b32_e32 v4, 0xff, v4
	v_cmp_ne_u32_e32 vcc_lo, 0, v4
	s_and_b32 s9, vcc_lo, exec_lo
	s_delay_alu instid0(SALU_CYCLE_1)
	s_or_b32 s7, s7, s9
	s_or_b32 exec_lo, exec_lo, s8
	v_mov_b32_e32 v5, 0
	s_and_saveexec_b32 s8, s7
	s_cbranch_execnz .LBB230_1972
	s_branch .LBB230_1973
.LBB230_2143:
	s_and_not1_saveexec_b32 s6, s6
	s_cbranch_execz .LBB230_2078
.LBB230_2144:
	v_add_f32_e64 v3, 0x46000000, |v2|
	s_and_not1_b32 s5, s5, exec_lo
	s_delay_alu instid0(VALU_DEP_1) | instskip(NEXT) | instid1(VALU_DEP_1)
	v_and_b32_e32 v3, 0xff, v3
	v_cmp_ne_u32_e32 vcc_lo, 0, v3
	s_and_b32 s7, vcc_lo, exec_lo
	s_delay_alu instid0(SALU_CYCLE_1)
	s_or_b32 s5, s5, s7
	s_or_b32 exec_lo, exec_lo, s6
	v_mov_b32_e32 v4, 0
	s_and_saveexec_b32 s6, s5
	s_cbranch_execnz .LBB230_2079
	s_branch .LBB230_2080
.LBB230_2145:
	s_mov_b32 s3, 0
	s_or_b32 s1, s1, exec_lo
	s_trap 2
	s_branch .LBB230_2124
.LBB230_2146:
	s_and_not1_saveexec_b32 s5, s5
	s_cbranch_execz .LBB230_2090
.LBB230_2147:
	v_add_f32_e64 v3, 0x42800000, |v2|
	s_and_not1_b32 s4, s4, exec_lo
	s_delay_alu instid0(VALU_DEP_1) | instskip(NEXT) | instid1(VALU_DEP_1)
	v_and_b32_e32 v3, 0xff, v3
	v_cmp_ne_u32_e32 vcc_lo, 0, v3
	s_and_b32 s6, vcc_lo, exec_lo
	s_delay_alu instid0(SALU_CYCLE_1)
	s_or_b32 s4, s4, s6
	s_or_b32 exec_lo, exec_lo, s5
	v_mov_b32_e32 v4, 0
	s_and_saveexec_b32 s5, s4
	s_cbranch_execnz .LBB230_2091
	s_branch .LBB230_2092
	.section	.rodata,"a",@progbits
	.p2align	6, 0x0
	.amdhsa_kernel _ZN2at6native32elementwise_kernel_manual_unrollILi128ELi4EZNS0_15gpu_kernel_implIZZZNS0_12_GLOBAL__N_119launch_clamp_scalarERNS_18TensorIteratorBaseEN3c106ScalarES7_NS0_6detail11ClampLimitsEENKUlvE_clEvENKUlvE6_clEvEUlNS6_4HalfEE_EEvS5_RKT_EUlibE_EEviT1_
		.amdhsa_group_segment_fixed_size 0
		.amdhsa_private_segment_fixed_size 0
		.amdhsa_kernarg_size 48
		.amdhsa_user_sgpr_count 2
		.amdhsa_user_sgpr_dispatch_ptr 0
		.amdhsa_user_sgpr_queue_ptr 0
		.amdhsa_user_sgpr_kernarg_segment_ptr 1
		.amdhsa_user_sgpr_dispatch_id 0
		.amdhsa_user_sgpr_kernarg_preload_length 0
		.amdhsa_user_sgpr_kernarg_preload_offset 0
		.amdhsa_user_sgpr_private_segment_size 0
		.amdhsa_wavefront_size32 1
		.amdhsa_uses_dynamic_stack 0
		.amdhsa_enable_private_segment 0
		.amdhsa_system_sgpr_workgroup_id_x 1
		.amdhsa_system_sgpr_workgroup_id_y 0
		.amdhsa_system_sgpr_workgroup_id_z 0
		.amdhsa_system_sgpr_workgroup_info 0
		.amdhsa_system_vgpr_workitem_id 0
		.amdhsa_next_free_vgpr 14
		.amdhsa_next_free_sgpr 29
		.amdhsa_named_barrier_count 0
		.amdhsa_reserve_vcc 1
		.amdhsa_float_round_mode_32 0
		.amdhsa_float_round_mode_16_64 0
		.amdhsa_float_denorm_mode_32 3
		.amdhsa_float_denorm_mode_16_64 3
		.amdhsa_fp16_overflow 0
		.amdhsa_memory_ordered 1
		.amdhsa_forward_progress 1
		.amdhsa_inst_pref_size 255
		.amdhsa_round_robin_scheduling 0
		.amdhsa_exception_fp_ieee_invalid_op 0
		.amdhsa_exception_fp_denorm_src 0
		.amdhsa_exception_fp_ieee_div_zero 0
		.amdhsa_exception_fp_ieee_overflow 0
		.amdhsa_exception_fp_ieee_underflow 0
		.amdhsa_exception_fp_ieee_inexact 0
		.amdhsa_exception_int_div_zero 0
	.end_amdhsa_kernel
	.section	.text._ZN2at6native32elementwise_kernel_manual_unrollILi128ELi4EZNS0_15gpu_kernel_implIZZZNS0_12_GLOBAL__N_119launch_clamp_scalarERNS_18TensorIteratorBaseEN3c106ScalarES7_NS0_6detail11ClampLimitsEENKUlvE_clEvENKUlvE6_clEvEUlNS6_4HalfEE_EEvS5_RKT_EUlibE_EEviT1_,"axG",@progbits,_ZN2at6native32elementwise_kernel_manual_unrollILi128ELi4EZNS0_15gpu_kernel_implIZZZNS0_12_GLOBAL__N_119launch_clamp_scalarERNS_18TensorIteratorBaseEN3c106ScalarES7_NS0_6detail11ClampLimitsEENKUlvE_clEvENKUlvE6_clEvEUlNS6_4HalfEE_EEvS5_RKT_EUlibE_EEviT1_,comdat
.Lfunc_end230:
	.size	_ZN2at6native32elementwise_kernel_manual_unrollILi128ELi4EZNS0_15gpu_kernel_implIZZZNS0_12_GLOBAL__N_119launch_clamp_scalarERNS_18TensorIteratorBaseEN3c106ScalarES7_NS0_6detail11ClampLimitsEENKUlvE_clEvENKUlvE6_clEvEUlNS6_4HalfEE_EEvS5_RKT_EUlibE_EEviT1_, .Lfunc_end230-_ZN2at6native32elementwise_kernel_manual_unrollILi128ELi4EZNS0_15gpu_kernel_implIZZZNS0_12_GLOBAL__N_119launch_clamp_scalarERNS_18TensorIteratorBaseEN3c106ScalarES7_NS0_6detail11ClampLimitsEENKUlvE_clEvENKUlvE6_clEvEUlNS6_4HalfEE_EEvS5_RKT_EUlibE_EEviT1_
                                        ; -- End function
	.set _ZN2at6native32elementwise_kernel_manual_unrollILi128ELi4EZNS0_15gpu_kernel_implIZZZNS0_12_GLOBAL__N_119launch_clamp_scalarERNS_18TensorIteratorBaseEN3c106ScalarES7_NS0_6detail11ClampLimitsEENKUlvE_clEvENKUlvE6_clEvEUlNS6_4HalfEE_EEvS5_RKT_EUlibE_EEviT1_.num_vgpr, 14
	.set _ZN2at6native32elementwise_kernel_manual_unrollILi128ELi4EZNS0_15gpu_kernel_implIZZZNS0_12_GLOBAL__N_119launch_clamp_scalarERNS_18TensorIteratorBaseEN3c106ScalarES7_NS0_6detail11ClampLimitsEENKUlvE_clEvENKUlvE6_clEvEUlNS6_4HalfEE_EEvS5_RKT_EUlibE_EEviT1_.num_agpr, 0
	.set _ZN2at6native32elementwise_kernel_manual_unrollILi128ELi4EZNS0_15gpu_kernel_implIZZZNS0_12_GLOBAL__N_119launch_clamp_scalarERNS_18TensorIteratorBaseEN3c106ScalarES7_NS0_6detail11ClampLimitsEENKUlvE_clEvENKUlvE6_clEvEUlNS6_4HalfEE_EEvS5_RKT_EUlibE_EEviT1_.numbered_sgpr, 29
	.set _ZN2at6native32elementwise_kernel_manual_unrollILi128ELi4EZNS0_15gpu_kernel_implIZZZNS0_12_GLOBAL__N_119launch_clamp_scalarERNS_18TensorIteratorBaseEN3c106ScalarES7_NS0_6detail11ClampLimitsEENKUlvE_clEvENKUlvE6_clEvEUlNS6_4HalfEE_EEvS5_RKT_EUlibE_EEviT1_.num_named_barrier, 0
	.set _ZN2at6native32elementwise_kernel_manual_unrollILi128ELi4EZNS0_15gpu_kernel_implIZZZNS0_12_GLOBAL__N_119launch_clamp_scalarERNS_18TensorIteratorBaseEN3c106ScalarES7_NS0_6detail11ClampLimitsEENKUlvE_clEvENKUlvE6_clEvEUlNS6_4HalfEE_EEvS5_RKT_EUlibE_EEviT1_.private_seg_size, 0
	.set _ZN2at6native32elementwise_kernel_manual_unrollILi128ELi4EZNS0_15gpu_kernel_implIZZZNS0_12_GLOBAL__N_119launch_clamp_scalarERNS_18TensorIteratorBaseEN3c106ScalarES7_NS0_6detail11ClampLimitsEENKUlvE_clEvENKUlvE6_clEvEUlNS6_4HalfEE_EEvS5_RKT_EUlibE_EEviT1_.uses_vcc, 1
	.set _ZN2at6native32elementwise_kernel_manual_unrollILi128ELi4EZNS0_15gpu_kernel_implIZZZNS0_12_GLOBAL__N_119launch_clamp_scalarERNS_18TensorIteratorBaseEN3c106ScalarES7_NS0_6detail11ClampLimitsEENKUlvE_clEvENKUlvE6_clEvEUlNS6_4HalfEE_EEvS5_RKT_EUlibE_EEviT1_.uses_flat_scratch, 0
	.set _ZN2at6native32elementwise_kernel_manual_unrollILi128ELi4EZNS0_15gpu_kernel_implIZZZNS0_12_GLOBAL__N_119launch_clamp_scalarERNS_18TensorIteratorBaseEN3c106ScalarES7_NS0_6detail11ClampLimitsEENKUlvE_clEvENKUlvE6_clEvEUlNS6_4HalfEE_EEvS5_RKT_EUlibE_EEviT1_.has_dyn_sized_stack, 0
	.set _ZN2at6native32elementwise_kernel_manual_unrollILi128ELi4EZNS0_15gpu_kernel_implIZZZNS0_12_GLOBAL__N_119launch_clamp_scalarERNS_18TensorIteratorBaseEN3c106ScalarES7_NS0_6detail11ClampLimitsEENKUlvE_clEvENKUlvE6_clEvEUlNS6_4HalfEE_EEvS5_RKT_EUlibE_EEviT1_.has_recursion, 0
	.set _ZN2at6native32elementwise_kernel_manual_unrollILi128ELi4EZNS0_15gpu_kernel_implIZZZNS0_12_GLOBAL__N_119launch_clamp_scalarERNS_18TensorIteratorBaseEN3c106ScalarES7_NS0_6detail11ClampLimitsEENKUlvE_clEvENKUlvE6_clEvEUlNS6_4HalfEE_EEvS5_RKT_EUlibE_EEviT1_.has_indirect_call, 0
	.section	.AMDGPU.csdata,"",@progbits
; Kernel info:
; codeLenInByte = 42968
; TotalNumSgprs: 31
; NumVgprs: 14
; ScratchSize: 0
; MemoryBound: 0
; FloatMode: 240
; IeeeMode: 1
; LDSByteSize: 0 bytes/workgroup (compile time only)
; SGPRBlocks: 0
; VGPRBlocks: 0
; NumSGPRsForWavesPerEU: 31
; NumVGPRsForWavesPerEU: 14
; NamedBarCnt: 0
; Occupancy: 16
; WaveLimiterHint : 0
; COMPUTE_PGM_RSRC2:SCRATCH_EN: 0
; COMPUTE_PGM_RSRC2:USER_SGPR: 2
; COMPUTE_PGM_RSRC2:TRAP_HANDLER: 0
; COMPUTE_PGM_RSRC2:TGID_X_EN: 1
; COMPUTE_PGM_RSRC2:TGID_Y_EN: 0
; COMPUTE_PGM_RSRC2:TGID_Z_EN: 0
; COMPUTE_PGM_RSRC2:TIDIG_COMP_CNT: 0
	.section	.text._ZN2at6native32elementwise_kernel_manual_unrollILi128ELi4EZNS0_15gpu_kernel_implIZZZNS0_12_GLOBAL__N_119launch_clamp_scalarERNS_18TensorIteratorBaseEN3c106ScalarES7_NS0_6detail11ClampLimitsEENKUlvE_clEvENKUlvE6_clEvEUlNS6_4HalfEE_EEvS5_RKT_EUlibE0_EEviT1_,"axG",@progbits,_ZN2at6native32elementwise_kernel_manual_unrollILi128ELi4EZNS0_15gpu_kernel_implIZZZNS0_12_GLOBAL__N_119launch_clamp_scalarERNS_18TensorIteratorBaseEN3c106ScalarES7_NS0_6detail11ClampLimitsEENKUlvE_clEvENKUlvE6_clEvEUlNS6_4HalfEE_EEvS5_RKT_EUlibE0_EEviT1_,comdat
	.globl	_ZN2at6native32elementwise_kernel_manual_unrollILi128ELi4EZNS0_15gpu_kernel_implIZZZNS0_12_GLOBAL__N_119launch_clamp_scalarERNS_18TensorIteratorBaseEN3c106ScalarES7_NS0_6detail11ClampLimitsEENKUlvE_clEvENKUlvE6_clEvEUlNS6_4HalfEE_EEvS5_RKT_EUlibE0_EEviT1_ ; -- Begin function _ZN2at6native32elementwise_kernel_manual_unrollILi128ELi4EZNS0_15gpu_kernel_implIZZZNS0_12_GLOBAL__N_119launch_clamp_scalarERNS_18TensorIteratorBaseEN3c106ScalarES7_NS0_6detail11ClampLimitsEENKUlvE_clEvENKUlvE6_clEvEUlNS6_4HalfEE_EEvS5_RKT_EUlibE0_EEviT1_
	.p2align	8
	.type	_ZN2at6native32elementwise_kernel_manual_unrollILi128ELi4EZNS0_15gpu_kernel_implIZZZNS0_12_GLOBAL__N_119launch_clamp_scalarERNS_18TensorIteratorBaseEN3c106ScalarES7_NS0_6detail11ClampLimitsEENKUlvE_clEvENKUlvE6_clEvEUlNS6_4HalfEE_EEvS5_RKT_EUlibE0_EEviT1_,@function
_ZN2at6native32elementwise_kernel_manual_unrollILi128ELi4EZNS0_15gpu_kernel_implIZZZNS0_12_GLOBAL__N_119launch_clamp_scalarERNS_18TensorIteratorBaseEN3c106ScalarES7_NS0_6detail11ClampLimitsEENKUlvE_clEvENKUlvE6_clEvEUlNS6_4HalfEE_EEvS5_RKT_EUlibE0_EEviT1_: ; @_ZN2at6native32elementwise_kernel_manual_unrollILi128ELi4EZNS0_15gpu_kernel_implIZZZNS0_12_GLOBAL__N_119launch_clamp_scalarERNS_18TensorIteratorBaseEN3c106ScalarES7_NS0_6detail11ClampLimitsEENKUlvE_clEvENKUlvE6_clEvEUlNS6_4HalfEE_EEvS5_RKT_EUlibE0_EEviT1_
; %bb.0:
	s_clause 0x1
	s_load_b32 s33, s[0:1], 0x8
	s_load_b32 s39, s[0:1], 0x0
	s_bfe_u32 s2, ttmp6, 0x4000c
	s_and_b32 s3, ttmp6, 15
	s_add_co_i32 s2, s2, 1
	s_getreg_b32 s4, hwreg(HW_REG_IB_STS2, 6, 4)
	s_mul_i32 s2, ttmp9, s2
	s_mov_b32 s35, 0
	s_add_co_i32 s3, s3, s2
	s_cmp_eq_u32 s4, 0
	s_mov_b32 s27, -1
	s_cselect_b32 s2, ttmp9, s3
	s_mov_b32 s8, 0
	v_lshl_or_b32 v0, s2, 9, v0
	s_add_nc_u64 s[2:3], s[0:1], 8
	s_wait_xcnt 0x0
	s_mov_b32 s0, exec_lo
	s_delay_alu instid0(VALU_DEP_1) | instskip(SKIP_2) | instid1(SALU_CYCLE_1)
	v_or_b32_e32 v9, 0x180, v0
	s_wait_kmcnt 0x0
	s_add_co_i32 s34, s33, -1
	s_cmp_gt_u32 s34, 1
	s_cselect_b32 s36, -1, 0
	v_cmpx_le_i32_e64 s39, v9
	s_xor_b32 s37, exec_lo, s0
	s_cbranch_execz .LBB231_1145
; %bb.1:
	s_clause 0x3
	s_load_b128 s[12:15], s[2:3], 0x4
	s_load_b64 s[0:1], s[2:3], 0x14
	s_load_b256 s[4:11], s[2:3], 0x148
	s_load_b128 s[16:19], s[2:3], 0xc4
	s_cmp_lg_u32 s33, 0
	s_mov_b32 s21, 0
	s_cselect_b32 s41, -1, 0
	s_min_u32 s40, s34, 15
	s_cmp_gt_u32 s33, 1
	s_add_nc_u64 s[24:25], s[2:3], 0xc4
	s_mov_b32 s23, s21
	s_mov_b32 s43, s21
	s_cselect_b32 s38, -1, 0
	s_mov_b32 s42, s21
	s_mov_b32 s44, exec_lo
	s_wait_kmcnt 0x0
	s_mov_b32 s20, s13
	s_mov_b32 s22, s0
	s_bfe_u32 s13, s11, 0x80008
	v_cmpx_gt_i32_e64 s39, v0
	s_cbranch_execz .LBB231_279
; %bb.2:
	s_and_not1_b32 vcc_lo, exec_lo, s36
	s_cbranch_vccnz .LBB231_8
; %bb.3:
	s_and_not1_b32 vcc_lo, exec_lo, s41
	s_cbranch_vccnz .LBB231_9
; %bb.4:
	s_add_co_i32 s0, s40, 1
	s_cmp_eq_u32 s34, 2
	s_cbranch_scc1 .LBB231_10
; %bb.5:
	v_dual_mov_b32 v2, 0 :: v_dual_mov_b32 v4, 0
	v_mov_b32_e32 v1, v0
	s_and_b32 s26, s0, 28
	s_mov_b32 s27, 0
	s_mov_b64 s[28:29], s[2:3]
	s_mov_b64 s[30:31], s[24:25]
.LBB231_6:                              ; =>This Inner Loop Header: Depth=1
	s_clause 0x1
	s_load_b256 s[48:55], s[28:29], 0x4
	s_load_b128 s[64:67], s[28:29], 0x24
	s_load_b256 s[56:63], s[30:31], 0x0
	s_add_co_i32 s27, s27, 4
	s_wait_xcnt 0x0
	s_add_nc_u64 s[28:29], s[28:29], 48
	s_cmp_lg_u32 s26, s27
	s_add_nc_u64 s[30:31], s[30:31], 32
	s_wait_kmcnt 0x0
	v_mul_hi_u32 v3, s49, v1
	s_delay_alu instid0(VALU_DEP_1) | instskip(NEXT) | instid1(VALU_DEP_1)
	v_add_nc_u32_e32 v3, v1, v3
	v_lshrrev_b32_e32 v3, s50, v3
	s_delay_alu instid0(VALU_DEP_1) | instskip(NEXT) | instid1(VALU_DEP_1)
	v_mul_hi_u32 v5, s52, v3
	v_add_nc_u32_e32 v5, v3, v5
	s_delay_alu instid0(VALU_DEP_1) | instskip(NEXT) | instid1(VALU_DEP_1)
	v_lshrrev_b32_e32 v5, s53, v5
	v_mul_hi_u32 v6, s55, v5
	s_delay_alu instid0(VALU_DEP_1) | instskip(SKIP_1) | instid1(VALU_DEP_1)
	v_add_nc_u32_e32 v6, v5, v6
	v_mul_lo_u32 v7, v3, s48
	v_sub_nc_u32_e32 v1, v1, v7
	v_mul_lo_u32 v7, v5, s51
	s_delay_alu instid0(VALU_DEP_4) | instskip(NEXT) | instid1(VALU_DEP_3)
	v_lshrrev_b32_e32 v6, s64, v6
	v_mad_u32 v4, v1, s57, v4
	v_mad_u32 v1, v1, s56, v2
	s_delay_alu instid0(VALU_DEP_4) | instskip(NEXT) | instid1(VALU_DEP_4)
	v_sub_nc_u32_e32 v2, v3, v7
	v_mul_hi_u32 v8, s66, v6
	v_mul_lo_u32 v3, v6, s54
	s_delay_alu instid0(VALU_DEP_3) | instskip(SKIP_1) | instid1(VALU_DEP_3)
	v_mad_u32 v4, v2, s59, v4
	v_mad_u32 v2, v2, s58, v1
	v_dual_add_nc_u32 v7, v6, v8 :: v_dual_sub_nc_u32 v3, v5, v3
	s_delay_alu instid0(VALU_DEP_1) | instskip(NEXT) | instid1(VALU_DEP_2)
	v_lshrrev_b32_e32 v1, s67, v7
	v_mad_u32 v4, v3, s61, v4
	s_delay_alu instid0(VALU_DEP_4) | instskip(NEXT) | instid1(VALU_DEP_3)
	v_mad_u32 v2, v3, s60, v2
	v_mul_lo_u32 v5, v1, s65
	s_delay_alu instid0(VALU_DEP_1) | instskip(NEXT) | instid1(VALU_DEP_1)
	v_sub_nc_u32_e32 v3, v6, v5
	v_mad_u32 v4, v3, s63, v4
	s_delay_alu instid0(VALU_DEP_4)
	v_mad_u32 v2, v3, s62, v2
	s_cbranch_scc1 .LBB231_6
; %bb.7:
	s_delay_alu instid0(VALU_DEP_2)
	v_mov_b32_e32 v3, v4
	s_and_b32 s0, s0, 3
	s_mov_b32 s27, 0
	s_cmp_eq_u32 s0, 0
	s_cbranch_scc0 .LBB231_11
	s_branch .LBB231_14
.LBB231_8:
                                        ; implicit-def: $vgpr4
                                        ; implicit-def: $vgpr2
	s_branch .LBB231_15
.LBB231_9:
	v_dual_mov_b32 v4, 0 :: v_dual_mov_b32 v2, 0
	s_branch .LBB231_14
.LBB231_10:
	v_mov_b64_e32 v[2:3], 0
	v_mov_b32_e32 v1, v0
	s_mov_b32 s26, 0
                                        ; implicit-def: $vgpr4
	s_and_b32 s0, s0, 3
	s_mov_b32 s27, 0
	s_cmp_eq_u32 s0, 0
	s_cbranch_scc1 .LBB231_14
.LBB231_11:
	s_lshl_b32 s28, s26, 3
	s_mov_b32 s29, s27
	s_mul_u64 s[30:31], s[26:27], 12
	s_add_nc_u64 s[28:29], s[2:3], s[28:29]
	s_delay_alu instid0(SALU_CYCLE_1)
	s_add_nc_u64 s[26:27], s[28:29], 0xc4
	s_add_nc_u64 s[28:29], s[2:3], s[30:31]
.LBB231_12:                             ; =>This Inner Loop Header: Depth=1
	s_load_b96 s[48:50], s[28:29], 0x4
	s_load_b64 s[30:31], s[26:27], 0x0
	s_add_co_i32 s0, s0, -1
	s_wait_xcnt 0x0
	s_add_nc_u64 s[28:29], s[28:29], 12
	s_cmp_lg_u32 s0, 0
	s_add_nc_u64 s[26:27], s[26:27], 8
	s_wait_kmcnt 0x0
	v_mul_hi_u32 v4, s49, v1
	s_delay_alu instid0(VALU_DEP_1) | instskip(NEXT) | instid1(VALU_DEP_1)
	v_add_nc_u32_e32 v4, v1, v4
	v_lshrrev_b32_e32 v4, s50, v4
	s_delay_alu instid0(VALU_DEP_1) | instskip(NEXT) | instid1(VALU_DEP_1)
	v_mul_lo_u32 v5, v4, s48
	v_sub_nc_u32_e32 v1, v1, v5
	s_delay_alu instid0(VALU_DEP_1)
	v_mad_u32 v3, v1, s31, v3
	v_mad_u32 v2, v1, s30, v2
	v_mov_b32_e32 v1, v4
	s_cbranch_scc1 .LBB231_12
; %bb.13:
	s_delay_alu instid0(VALU_DEP_3)
	v_mov_b32_e32 v4, v3
.LBB231_14:
	s_cbranch_execnz .LBB231_17
.LBB231_15:
	v_mov_b32_e32 v1, 0
	s_and_not1_b32 vcc_lo, exec_lo, s38
	s_delay_alu instid0(VALU_DEP_1) | instskip(NEXT) | instid1(VALU_DEP_1)
	v_mul_u64_e32 v[2:3], s[20:21], v[0:1]
	v_add_nc_u32_e32 v2, v0, v3
	s_delay_alu instid0(VALU_DEP_1) | instskip(NEXT) | instid1(VALU_DEP_1)
	v_lshrrev_b32_e32 v6, s14, v2
	v_mul_lo_u32 v2, v6, s12
	s_delay_alu instid0(VALU_DEP_1) | instskip(NEXT) | instid1(VALU_DEP_1)
	v_sub_nc_u32_e32 v2, v0, v2
	v_mul_lo_u32 v4, v2, s17
	v_mul_lo_u32 v2, v2, s16
	s_cbranch_vccnz .LBB231_17
; %bb.16:
	v_mov_b32_e32 v7, v1
	s_delay_alu instid0(VALU_DEP_1) | instskip(NEXT) | instid1(VALU_DEP_1)
	v_mul_u64_e32 v[8:9], s[22:23], v[6:7]
	v_add_nc_u32_e32 v1, v6, v9
	s_delay_alu instid0(VALU_DEP_1) | instskip(NEXT) | instid1(VALU_DEP_1)
	v_lshrrev_b32_e32 v1, s1, v1
	v_mul_lo_u32 v1, v1, s15
	s_delay_alu instid0(VALU_DEP_1) | instskip(NEXT) | instid1(VALU_DEP_1)
	v_sub_nc_u32_e32 v1, v6, v1
	v_mad_u32 v2, v1, s18, v2
	v_mad_u32 v4, v1, s19, v4
.LBB231_17:
	v_mov_b32_e32 v5, 0
	s_and_b32 s0, 0xffff, s13
	s_delay_alu instid0(SALU_CYCLE_1) | instskip(NEXT) | instid1(VALU_DEP_1)
	s_cmp_lt_i32 s0, 11
	v_add_nc_u64_e32 v[4:5], s[6:7], v[4:5]
	s_cbranch_scc1 .LBB231_24
; %bb.18:
	s_cmp_gt_i32 s0, 25
	s_cbranch_scc0 .LBB231_30
; %bb.19:
	s_cmp_gt_i32 s0, 28
	s_cbranch_scc0 .LBB231_31
	;; [unrolled: 3-line block ×4, first 2 shown]
; %bb.22:
	s_cmp_eq_u32 s0, 46
	s_mov_b32 s28, 0
	s_cbranch_scc0 .LBB231_54
; %bb.23:
	global_load_b32 v1, v[4:5], off
	s_mov_b32 s27, -1
	s_mov_b32 s26, 0
	s_wait_loadcnt 0x0
	v_lshlrev_b32_e32 v1, 16, v1
	s_delay_alu instid0(VALU_DEP_1)
	v_cvt_f16_f32_e32 v1, v1
	s_branch .LBB231_56
.LBB231_24:
	s_mov_b32 s26, 0
	s_mov_b32 s27, 0
                                        ; implicit-def: $vgpr1
	s_cbranch_execnz .LBB231_229
.LBB231_25:
	s_and_not1_b32 vcc_lo, exec_lo, s27
	s_cbranch_vccnz .LBB231_276
.LBB231_26:
	s_mov_b32 s0, exec_lo
	s_wait_loadcnt 0x0
	s_delay_alu instid0(VALU_DEP_1)
	v_cmpx_o_f16_e32 v1, v1
	s_cbranch_execz .LBB231_41
; %bb.27:
	v_cvt_f32_f16_e32 v3, v1
	s_cmp_lt_i32 s8, 1
	s_mov_b32 s27, 0
	s_cbranch_scc1 .LBB231_32
; %bb.28:
	s_cmp_eq_u32 s8, 1
	s_cbranch_scc0 .LBB231_36
; %bb.29:
	v_max_num_f32_e64 v1, s9, s9
	v_max_num_f32_e32 v4, v3, v3
	s_mov_b32 s28, 0
	s_delay_alu instid0(VALU_DEP_1) | instskip(NEXT) | instid1(VALU_DEP_1)
	v_min_num_f32_e32 v1, v4, v1
	v_cvt_f16_f32_e32 v1, v1
	s_branch .LBB231_37
.LBB231_30:
	s_mov_b32 s26, 0
	s_mov_b32 s27, 0
                                        ; implicit-def: $vgpr1
	s_cbranch_execnz .LBB231_194
	s_branch .LBB231_228
.LBB231_31:
	s_mov_b32 s28, -1
	s_mov_b32 s26, 0
	s_mov_b32 s27, 0
                                        ; implicit-def: $vgpr1
	s_branch .LBB231_175
.LBB231_32:
	s_mov_b32 s28, 0
                                        ; implicit-def: $vgpr1
	s_cbranch_execnz .LBB231_38
.LBB231_33:
	s_and_not1_b32 vcc_lo, exec_lo, s28
	s_cbranch_vccnz .LBB231_39
.LBB231_34:
	v_max_num_f32_e64 v1, s9, s9
	v_max_num_f32_e32 v4, v3, v3
	v_max_num_f32_e64 v5, s10, s10
	s_delay_alu instid0(VALU_DEP_1) | instskip(NEXT) | instid1(VALU_DEP_1)
	v_maxmin_num_f32 v1, v4, v1, v5
	v_cvt_f16_f32_e32 v1, v1
	s_cbranch_execz .LBB231_40
	s_branch .LBB231_41
.LBB231_35:
	s_mov_b32 s28, -1
	s_mov_b32 s26, 0
	s_mov_b32 s27, 0
                                        ; implicit-def: $vgpr1
	s_branch .LBB231_170
.LBB231_36:
	s_mov_b32 s28, -1
                                        ; implicit-def: $vgpr1
.LBB231_37:
	s_branch .LBB231_33
.LBB231_38:
	s_cmp_lg_u32 s8, 0
	s_mov_b32 s27, -1
	s_cselect_b32 s28, -1, 0
	s_delay_alu instid0(SALU_CYCLE_1)
	s_and_not1_b32 vcc_lo, exec_lo, s28
	s_cbranch_vccz .LBB231_34
.LBB231_39:
	s_and_not1_b32 vcc_lo, exec_lo, s27
	s_cbranch_vccnz .LBB231_41
.LBB231_40:
	v_max_num_f32_e64 v1, s9, s9
	v_max_num_f32_e32 v3, v3, v3
	s_delay_alu instid0(VALU_DEP_1) | instskip(NEXT) | instid1(VALU_DEP_1)
	v_max_num_f32_e32 v1, v3, v1
	v_cvt_f16_f32_e32 v1, v1
.LBB231_41:
	s_or_b32 exec_lo, exec_lo, s0
	v_mov_b32_e32 v3, 0
	s_and_b32 s27, s11, 0xff
	s_delay_alu instid0(SALU_CYCLE_1) | instskip(NEXT) | instid1(VALU_DEP_1)
	s_cmp_lt_i32 s27, 11
	v_add_nc_u64_e32 v[2:3], s[4:5], v[2:3]
	s_cbranch_scc1 .LBB231_48
; %bb.42:
	s_and_b32 s28, 0xffff, s27
	s_delay_alu instid0(SALU_CYCLE_1)
	s_cmp_gt_i32 s28, 25
	s_cbranch_scc0 .LBB231_50
; %bb.43:
	s_cmp_gt_i32 s28, 28
	s_cbranch_scc0 .LBB231_51
; %bb.44:
	;; [unrolled: 3-line block ×4, first 2 shown]
	s_mov_b32 s30, 0
	s_mov_b32 s0, -1
	s_cmp_eq_u32 s28, 46
	s_mov_b32 s29, 0
	s_cbranch_scc0 .LBB231_60
; %bb.47:
	v_cvt_f32_f16_e32 v4, v1
	v_cmp_o_f16_e32 vcc_lo, v1, v1
	s_mov_b32 s29, -1
	s_mov_b32 s0, 0
	s_delay_alu instid0(VALU_DEP_2) | instskip(NEXT) | instid1(VALU_DEP_1)
	v_bfe_u32 v5, v4, 16, 1
	v_add3_u32 v4, v4, v5, 0x7fff
	s_delay_alu instid0(VALU_DEP_1) | instskip(NEXT) | instid1(VALU_DEP_1)
	v_lshrrev_b32_e32 v4, 16, v4
	v_cndmask_b32_e32 v4, 0x7fc0, v4, vcc_lo
	global_store_b32 v[2:3], v4, off
	s_branch .LBB231_60
.LBB231_48:
	s_mov_b32 s0, 0
	s_mov_b32 s29, 0
	s_cbranch_execnz .LBB231_129
.LBB231_49:
	s_and_not1_b32 vcc_lo, exec_lo, s29
	s_cbranch_vccz .LBB231_167
	s_branch .LBB231_277
.LBB231_50:
	s_mov_b32 s30, -1
	s_mov_b32 s0, 0
	s_mov_b32 s29, 0
	s_branch .LBB231_87
.LBB231_51:
	s_mov_b32 s30, -1
	s_mov_b32 s0, 0
	s_mov_b32 s29, 0
	s_branch .LBB231_70
.LBB231_52:
	s_mov_b32 s28, -1
	s_mov_b32 s26, 0
	s_branch .LBB231_55
.LBB231_53:
	s_mov_b32 s30, -1
	s_mov_b32 s0, 0
	s_mov_b32 s29, 0
	s_branch .LBB231_66
.LBB231_54:
	s_mov_b32 s26, -1
.LBB231_55:
	s_mov_b32 s27, 0
                                        ; implicit-def: $vgpr1
.LBB231_56:
	s_and_b32 vcc_lo, exec_lo, s28
	s_cbranch_vccz .LBB231_169
; %bb.57:
	s_cmp_eq_u32 s0, 44
	s_cbranch_scc0 .LBB231_168
; %bb.58:
	global_load_u8 v1, v[4:5], off
	s_mov_b32 s26, 0
	s_mov_b32 s27, -1
	s_wait_loadcnt 0x0
	v_lshlrev_b32_e32 v3, 23, v1
	v_cmp_ne_u32_e32 vcc_lo, 0xff, v1
	s_delay_alu instid0(VALU_DEP_2) | instskip(NEXT) | instid1(VALU_DEP_1)
	v_cvt_f16_f32_e32 v3, v3
	v_cndmask_b32_e32 v3, 0x7e00, v3, vcc_lo
	v_cmp_ne_u32_e32 vcc_lo, 0, v1
	s_delay_alu instid0(VALU_DEP_2)
	v_cndmask_b32_e32 v1, 0, v3, vcc_lo
	s_branch .LBB231_169
.LBB231_59:
	s_mov_b32 s30, -1
	s_mov_b32 s0, 0
	s_mov_b32 s29, 0
.LBB231_60:
	s_and_b32 vcc_lo, exec_lo, s30
	s_cbranch_vccz .LBB231_65
; %bb.61:
	s_cmp_eq_u32 s28, 44
	s_mov_b32 s0, -1
	s_cbranch_scc0 .LBB231_65
; %bb.62:
	s_wait_xcnt 0x0
	v_cvt_f32_f16_e32 v4, v1
	v_mov_b32_e32 v5, 0xff
	s_mov_b32 s29, exec_lo
	s_delay_alu instid0(VALU_DEP_2) | instskip(NEXT) | instid1(VALU_DEP_1)
	v_bfe_u32 v6, v4, 23, 8
	v_cmpx_ne_u32_e32 0xff, v6
	s_cbranch_execz .LBB231_64
; %bb.63:
	v_and_b32_e32 v5, 0x400000, v4
	v_and_or_b32 v6, 0x3fffff, v4, v6
	v_lshrrev_b32_e32 v4, 23, v4
	s_delay_alu instid0(VALU_DEP_3) | instskip(NEXT) | instid1(VALU_DEP_3)
	v_cmp_ne_u32_e32 vcc_lo, 0, v5
	v_cmp_ne_u32_e64 s0, 0, v6
	s_and_b32 s0, vcc_lo, s0
	s_delay_alu instid0(SALU_CYCLE_1) | instskip(NEXT) | instid1(VALU_DEP_1)
	v_cndmask_b32_e64 v5, 0, 1, s0
	v_add_nc_u32_e32 v5, v4, v5
.LBB231_64:
	s_or_b32 exec_lo, exec_lo, s29
	s_mov_b32 s29, -1
	s_mov_b32 s0, 0
	global_store_b8 v[2:3], v5, off
.LBB231_65:
	s_mov_b32 s30, 0
.LBB231_66:
	s_delay_alu instid0(SALU_CYCLE_1)
	s_and_b32 vcc_lo, exec_lo, s30
	s_cbranch_vccz .LBB231_69
; %bb.67:
	s_cmp_eq_u32 s28, 29
	s_mov_b32 s0, -1
	s_cbranch_scc0 .LBB231_69
; %bb.68:
	s_wait_xcnt 0x0
	v_cvt_f32_f16_e32 v4, v1
	v_mov_b32_e32 v5, 0
	s_mov_b32 s29, -1
	s_mov_b32 s0, 0
	s_mov_b32 s30, 0
	v_cvt_u32_f32_e32 v4, v4
	global_store_b64 v[2:3], v[4:5], off
	s_branch .LBB231_70
.LBB231_69:
	s_mov_b32 s30, 0
.LBB231_70:
	s_delay_alu instid0(SALU_CYCLE_1)
	s_and_b32 vcc_lo, exec_lo, s30
	s_cbranch_vccz .LBB231_86
; %bb.71:
	s_cmp_lt_i32 s28, 27
	s_mov_b32 s29, -1
	s_cbranch_scc1 .LBB231_77
; %bb.72:
	s_cmp_gt_i32 s28, 27
	s_cbranch_scc0 .LBB231_74
; %bb.73:
	s_wait_xcnt 0x0
	v_cvt_f32_f16_e32 v4, v1
	s_mov_b32 s29, 0
	s_delay_alu instid0(VALU_DEP_1)
	v_cvt_u32_f32_e32 v4, v4
	global_store_b32 v[2:3], v4, off
.LBB231_74:
	s_and_not1_b32 vcc_lo, exec_lo, s29
	s_cbranch_vccnz .LBB231_76
; %bb.75:
	s_wait_xcnt 0x0
	v_cvt_u16_f16_e32 v4, v1
	global_store_b16 v[2:3], v4, off
.LBB231_76:
	s_mov_b32 s29, 0
.LBB231_77:
	s_delay_alu instid0(SALU_CYCLE_1)
	s_and_not1_b32 vcc_lo, exec_lo, s29
	s_cbranch_vccnz .LBB231_85
; %bb.78:
	s_wait_xcnt 0x0
	v_cvt_f32_f16_e32 v4, v1
	v_mov_b32_e32 v6, 0x80
	s_mov_b32 s29, exec_lo
	s_delay_alu instid0(VALU_DEP_2) | instskip(NEXT) | instid1(VALU_DEP_1)
	v_and_b32_e32 v5, 0x7fffffff, v4
	v_cmpx_gt_u32_e32 0x43800000, v5
	s_cbranch_execz .LBB231_84
; %bb.79:
	v_cmp_lt_u32_e32 vcc_lo, 0x3bffffff, v5
	s_mov_b32 s30, 0
                                        ; implicit-def: $vgpr5
	s_and_saveexec_b32 s31, vcc_lo
	s_delay_alu instid0(SALU_CYCLE_1)
	s_xor_b32 s31, exec_lo, s31
	s_cbranch_execz .LBB231_335
; %bb.80:
	v_bfe_u32 v5, v4, 20, 1
	s_mov_b32 s30, exec_lo
	s_delay_alu instid0(VALU_DEP_1) | instskip(NEXT) | instid1(VALU_DEP_1)
	v_add3_u32 v5, v4, v5, 0x487ffff
	v_lshrrev_b32_e32 v5, 20, v5
	s_and_not1_saveexec_b32 s31, s31
	s_cbranch_execnz .LBB231_336
.LBB231_81:
	s_or_b32 exec_lo, exec_lo, s31
	v_mov_b32_e32 v6, 0
	s_and_saveexec_b32 s31, s30
.LBB231_82:
	v_lshrrev_b32_e32 v4, 24, v4
	s_delay_alu instid0(VALU_DEP_1)
	v_and_or_b32 v6, 0x80, v4, v5
.LBB231_83:
	s_or_b32 exec_lo, exec_lo, s31
.LBB231_84:
	s_delay_alu instid0(SALU_CYCLE_1)
	s_or_b32 exec_lo, exec_lo, s29
	global_store_b8 v[2:3], v6, off
.LBB231_85:
	s_mov_b32 s29, -1
.LBB231_86:
	s_mov_b32 s30, 0
.LBB231_87:
	s_delay_alu instid0(SALU_CYCLE_1)
	s_and_b32 vcc_lo, exec_lo, s30
	s_cbranch_vccz .LBB231_128
; %bb.88:
	s_cmp_gt_i32 s28, 22
	s_mov_b32 s30, -1
	s_cbranch_scc0 .LBB231_120
; %bb.89:
	s_cmp_lt_i32 s28, 24
	s_mov_b32 s29, -1
	s_cbranch_scc1 .LBB231_109
; %bb.90:
	s_cmp_gt_i32 s28, 24
	s_cbranch_scc0 .LBB231_98
; %bb.91:
	s_wait_xcnt 0x0
	v_cvt_f32_f16_e32 v4, v1
	v_mov_b32_e32 v6, 0x80
	s_mov_b32 s29, exec_lo
	s_delay_alu instid0(VALU_DEP_2) | instskip(NEXT) | instid1(VALU_DEP_1)
	v_and_b32_e32 v5, 0x7fffffff, v4
	v_cmpx_gt_u32_e32 0x47800000, v5
	s_cbranch_execz .LBB231_97
; %bb.92:
	v_cmp_lt_u32_e32 vcc_lo, 0x37ffffff, v5
	s_mov_b32 s30, 0
                                        ; implicit-def: $vgpr5
	s_and_saveexec_b32 s31, vcc_lo
	s_delay_alu instid0(SALU_CYCLE_1)
	s_xor_b32 s31, exec_lo, s31
	s_cbranch_execz .LBB231_339
; %bb.93:
	v_bfe_u32 v5, v4, 21, 1
	s_mov_b32 s30, exec_lo
	s_delay_alu instid0(VALU_DEP_1) | instskip(NEXT) | instid1(VALU_DEP_1)
	v_add3_u32 v5, v4, v5, 0x88fffff
	v_lshrrev_b32_e32 v5, 21, v5
	s_and_not1_saveexec_b32 s31, s31
	s_cbranch_execnz .LBB231_340
.LBB231_94:
	s_or_b32 exec_lo, exec_lo, s31
	v_mov_b32_e32 v6, 0
	s_and_saveexec_b32 s31, s30
.LBB231_95:
	v_lshrrev_b32_e32 v4, 24, v4
	s_delay_alu instid0(VALU_DEP_1)
	v_and_or_b32 v6, 0x80, v4, v5
.LBB231_96:
	s_or_b32 exec_lo, exec_lo, s31
.LBB231_97:
	s_delay_alu instid0(SALU_CYCLE_1)
	s_or_b32 exec_lo, exec_lo, s29
	s_mov_b32 s29, 0
	global_store_b8 v[2:3], v6, off
.LBB231_98:
	s_and_b32 vcc_lo, exec_lo, s29
	s_cbranch_vccz .LBB231_108
; %bb.99:
	s_wait_xcnt 0x0
	v_cvt_f32_f16_e32 v4, v1
	s_mov_b32 s29, exec_lo
                                        ; implicit-def: $vgpr5
	s_delay_alu instid0(VALU_DEP_1) | instskip(NEXT) | instid1(VALU_DEP_1)
	v_and_b32_e32 v6, 0x7fffffff, v4
	v_cmpx_gt_u32_e32 0x43f00000, v6
	s_xor_b32 s29, exec_lo, s29
	s_cbranch_execz .LBB231_105
; %bb.100:
	s_mov_b32 s30, exec_lo
                                        ; implicit-def: $vgpr5
	v_cmpx_lt_u32_e32 0x3c7fffff, v6
	s_xor_b32 s30, exec_lo, s30
; %bb.101:
	v_bfe_u32 v5, v4, 20, 1
	s_delay_alu instid0(VALU_DEP_1) | instskip(NEXT) | instid1(VALU_DEP_1)
	v_add3_u32 v5, v4, v5, 0x407ffff
	v_and_b32_e32 v6, 0xff00000, v5
	v_lshrrev_b32_e32 v5, 20, v5
	s_delay_alu instid0(VALU_DEP_2) | instskip(NEXT) | instid1(VALU_DEP_2)
	v_cmp_ne_u32_e32 vcc_lo, 0x7f00000, v6
	v_cndmask_b32_e32 v5, 0x7e, v5, vcc_lo
; %bb.102:
	s_and_not1_saveexec_b32 s30, s30
; %bb.103:
	v_add_f32_e64 v5, 0x46800000, |v4|
; %bb.104:
	s_or_b32 exec_lo, exec_lo, s30
                                        ; implicit-def: $vgpr6
.LBB231_105:
	s_and_not1_saveexec_b32 s29, s29
; %bb.106:
	v_mov_b32_e32 v5, 0x7f
	v_cmp_lt_u32_e32 vcc_lo, 0x7f800000, v6
	s_delay_alu instid0(VALU_DEP_2)
	v_cndmask_b32_e32 v5, 0x7e, v5, vcc_lo
; %bb.107:
	s_or_b32 exec_lo, exec_lo, s29
	v_lshrrev_b32_e32 v4, 24, v4
	s_delay_alu instid0(VALU_DEP_1)
	v_and_or_b32 v4, 0x80, v4, v5
	global_store_b8 v[2:3], v4, off
.LBB231_108:
	s_mov_b32 s29, 0
.LBB231_109:
	s_delay_alu instid0(SALU_CYCLE_1)
	s_and_not1_b32 vcc_lo, exec_lo, s29
	s_cbranch_vccnz .LBB231_119
; %bb.110:
	s_wait_xcnt 0x0
	v_cvt_f32_f16_e32 v4, v1
	s_mov_b32 s29, exec_lo
                                        ; implicit-def: $vgpr5
	s_delay_alu instid0(VALU_DEP_1) | instskip(NEXT) | instid1(VALU_DEP_1)
	v_and_b32_e32 v6, 0x7fffffff, v4
	v_cmpx_gt_u32_e32 0x47800000, v6
	s_xor_b32 s29, exec_lo, s29
	s_cbranch_execz .LBB231_116
; %bb.111:
	s_mov_b32 s30, exec_lo
                                        ; implicit-def: $vgpr5
	v_cmpx_lt_u32_e32 0x387fffff, v6
	s_xor_b32 s30, exec_lo, s30
; %bb.112:
	v_bfe_u32 v5, v4, 21, 1
	s_delay_alu instid0(VALU_DEP_1) | instskip(NEXT) | instid1(VALU_DEP_1)
	v_add3_u32 v5, v4, v5, 0x80fffff
	v_lshrrev_b32_e32 v5, 21, v5
; %bb.113:
	s_and_not1_saveexec_b32 s30, s30
; %bb.114:
	v_add_f32_e64 v5, 0x43000000, |v4|
; %bb.115:
	s_or_b32 exec_lo, exec_lo, s30
                                        ; implicit-def: $vgpr6
.LBB231_116:
	s_and_not1_saveexec_b32 s29, s29
; %bb.117:
	v_mov_b32_e32 v5, 0x7f
	v_cmp_lt_u32_e32 vcc_lo, 0x7f800000, v6
	s_delay_alu instid0(VALU_DEP_2)
	v_cndmask_b32_e32 v5, 0x7c, v5, vcc_lo
; %bb.118:
	s_or_b32 exec_lo, exec_lo, s29
	v_lshrrev_b32_e32 v4, 24, v4
	s_delay_alu instid0(VALU_DEP_1)
	v_and_or_b32 v4, 0x80, v4, v5
	global_store_b8 v[2:3], v4, off
.LBB231_119:
	s_mov_b32 s30, 0
	s_mov_b32 s29, -1
.LBB231_120:
	s_and_not1_b32 vcc_lo, exec_lo, s30
	s_cbranch_vccnz .LBB231_128
; %bb.121:
	s_cmp_gt_i32 s28, 14
	s_mov_b32 s30, -1
	s_cbranch_scc0 .LBB231_125
; %bb.122:
	s_cmp_eq_u32 s28, 15
	s_mov_b32 s0, -1
	s_cbranch_scc0 .LBB231_124
; %bb.123:
	s_wait_xcnt 0x0
	v_cvt_f32_f16_e32 v4, v1
	v_cmp_o_f16_e32 vcc_lo, v1, v1
	s_mov_b32 s29, -1
	s_mov_b32 s0, 0
	s_delay_alu instid0(VALU_DEP_2) | instskip(NEXT) | instid1(VALU_DEP_1)
	v_bfe_u32 v5, v4, 16, 1
	v_add3_u32 v4, v4, v5, 0x7fff
	s_delay_alu instid0(VALU_DEP_1) | instskip(NEXT) | instid1(VALU_DEP_1)
	v_lshrrev_b32_e32 v4, 16, v4
	v_cndmask_b32_e32 v4, 0x7fc0, v4, vcc_lo
	global_store_b16 v[2:3], v4, off
.LBB231_124:
	s_mov_b32 s30, 0
.LBB231_125:
	s_delay_alu instid0(SALU_CYCLE_1)
	s_and_b32 vcc_lo, exec_lo, s30
	s_cbranch_vccz .LBB231_128
; %bb.126:
	s_cmp_eq_u32 s28, 11
	s_mov_b32 s0, -1
	s_cbranch_scc0 .LBB231_128
; %bb.127:
	s_wait_xcnt 0x0
	v_and_b32_e32 v4, 0x7fff, v1
	s_mov_b32 s0, 0
	s_mov_b32 s29, -1
	s_delay_alu instid0(VALU_DEP_1)
	v_cmp_ne_u16_e32 vcc_lo, 0, v4
	v_cndmask_b32_e64 v4, 0, 1, vcc_lo
	global_store_b8 v[2:3], v4, off
.LBB231_128:
	s_branch .LBB231_49
.LBB231_129:
	s_and_b32 s27, 0xffff, s27
	s_mov_b32 s28, -1
	s_cmp_lt_i32 s27, 5
	s_cbranch_scc1 .LBB231_150
; %bb.130:
	s_cmp_lt_i32 s27, 8
	s_cbranch_scc1 .LBB231_140
; %bb.131:
	;; [unrolled: 3-line block ×3, first 2 shown]
	s_cmp_gt_i32 s27, 9
	s_cbranch_scc0 .LBB231_134
; %bb.133:
	s_wait_xcnt 0x0
	v_cvt_f32_f16_e32 v4, v1
	v_mov_b32_e32 v6, 0
	s_mov_b32 s28, 0
	s_delay_alu instid0(VALU_DEP_2) | instskip(NEXT) | instid1(VALU_DEP_2)
	v_cvt_f64_f32_e32 v[4:5], v4
	v_mov_b32_e32 v7, v6
	global_store_b128 v[2:3], v[4:7], off
.LBB231_134:
	s_and_not1_b32 vcc_lo, exec_lo, s28
	s_cbranch_vccnz .LBB231_136
; %bb.135:
	s_wait_xcnt 0x0
	v_cvt_f32_f16_e32 v4, v1
	v_mov_b32_e32 v5, 0
	global_store_b64 v[2:3], v[4:5], off
.LBB231_136:
	s_mov_b32 s28, 0
.LBB231_137:
	s_delay_alu instid0(SALU_CYCLE_1)
	s_and_not1_b32 vcc_lo, exec_lo, s28
	s_cbranch_vccnz .LBB231_139
; %bb.138:
	s_wait_xcnt 0x0
	v_and_b32_e32 v4, 0xffff, v1
	global_store_b32 v[2:3], v4, off
.LBB231_139:
	s_mov_b32 s28, 0
.LBB231_140:
	s_delay_alu instid0(SALU_CYCLE_1)
	s_and_not1_b32 vcc_lo, exec_lo, s28
	s_cbranch_vccnz .LBB231_149
; %bb.141:
	s_cmp_lt_i32 s27, 6
	s_mov_b32 s28, -1
	s_cbranch_scc1 .LBB231_147
; %bb.142:
	s_cmp_gt_i32 s27, 6
	s_cbranch_scc0 .LBB231_144
; %bb.143:
	s_wait_xcnt 0x0
	v_cvt_f32_f16_e32 v4, v1
	s_mov_b32 s28, 0
	s_delay_alu instid0(VALU_DEP_1)
	v_cvt_f64_f32_e32 v[4:5], v4
	global_store_b64 v[2:3], v[4:5], off
.LBB231_144:
	s_and_not1_b32 vcc_lo, exec_lo, s28
	s_cbranch_vccnz .LBB231_146
; %bb.145:
	s_wait_xcnt 0x0
	v_cvt_f32_f16_e32 v4, v1
	global_store_b32 v[2:3], v4, off
.LBB231_146:
	s_mov_b32 s28, 0
.LBB231_147:
	s_delay_alu instid0(SALU_CYCLE_1)
	s_and_not1_b32 vcc_lo, exec_lo, s28
	s_cbranch_vccnz .LBB231_149
; %bb.148:
	global_store_b16 v[2:3], v1, off
.LBB231_149:
	s_mov_b32 s28, 0
.LBB231_150:
	s_delay_alu instid0(SALU_CYCLE_1)
	s_and_not1_b32 vcc_lo, exec_lo, s28
	s_cbranch_vccnz .LBB231_166
; %bb.151:
	s_cmp_lt_i32 s27, 2
	s_mov_b32 s28, -1
	s_cbranch_scc1 .LBB231_161
; %bb.152:
	s_cmp_lt_i32 s27, 3
	s_cbranch_scc1 .LBB231_158
; %bb.153:
	s_cmp_gt_i32 s27, 3
	s_cbranch_scc0 .LBB231_155
; %bb.154:
	s_wait_xcnt 0x0
	v_cvt_f32_f16_e32 v4, v1
	s_mov_b32 s28, 0
	s_delay_alu instid0(VALU_DEP_1) | instskip(NEXT) | instid1(VALU_DEP_1)
	v_cvt_i32_f32_e32 v4, v4
	v_ashrrev_i32_e32 v5, 31, v4
	global_store_b64 v[2:3], v[4:5], off
.LBB231_155:
	s_and_not1_b32 vcc_lo, exec_lo, s28
	s_cbranch_vccnz .LBB231_157
; %bb.156:
	s_wait_xcnt 0x0
	v_cvt_f32_f16_e32 v4, v1
	s_delay_alu instid0(VALU_DEP_1)
	v_cvt_i32_f32_e32 v4, v4
	global_store_b32 v[2:3], v4, off
.LBB231_157:
	s_mov_b32 s28, 0
.LBB231_158:
	s_delay_alu instid0(SALU_CYCLE_1)
	s_and_not1_b32 vcc_lo, exec_lo, s28
	s_cbranch_vccnz .LBB231_160
; %bb.159:
	s_wait_xcnt 0x0
	v_cvt_i16_f16_e32 v4, v1
	global_store_b16 v[2:3], v4, off
.LBB231_160:
	s_mov_b32 s28, 0
.LBB231_161:
	s_delay_alu instid0(SALU_CYCLE_1)
	s_and_not1_b32 vcc_lo, exec_lo, s28
	s_cbranch_vccnz .LBB231_166
; %bb.162:
	s_cmp_gt_i32 s27, 0
	s_mov_b32 s27, -1
	s_cbranch_scc0 .LBB231_164
; %bb.163:
	s_wait_xcnt 0x0
	v_cvt_i16_f16_e32 v4, v1
	s_mov_b32 s27, 0
	global_store_b8 v[2:3], v4, off
.LBB231_164:
	s_and_not1_b32 vcc_lo, exec_lo, s27
	s_cbranch_vccnz .LBB231_166
; %bb.165:
	s_wait_xcnt 0x0
	v_cvt_f32_f16_e32 v1, v1
	s_delay_alu instid0(VALU_DEP_1)
	v_cvt_i32_f32_e32 v1, v1
	global_store_b8 v[2:3], v1, off
.LBB231_166:
.LBB231_167:
	v_add_nc_u32_e32 v0, 0x80, v0
	s_mov_b32 s27, -1
	s_branch .LBB231_278
.LBB231_168:
	s_mov_b32 s26, -1
                                        ; implicit-def: $vgpr1
.LBB231_169:
	s_mov_b32 s28, 0
.LBB231_170:
	s_delay_alu instid0(SALU_CYCLE_1)
	s_and_b32 vcc_lo, exec_lo, s28
	s_cbranch_vccz .LBB231_174
; %bb.171:
	s_cmp_eq_u32 s0, 29
	s_cbranch_scc0 .LBB231_173
; %bb.172:
	global_load_b64 v[6:7], v[4:5], off
	s_mov_b32 s27, -1
	s_mov_b32 s26, 0
	s_mov_b32 s28, 0
	s_wait_loadcnt 0x0
	v_clz_i32_u32_e32 v1, v7
	s_delay_alu instid0(VALU_DEP_1) | instskip(NEXT) | instid1(VALU_DEP_1)
	v_min_u32_e32 v1, 32, v1
	v_lshlrev_b64_e32 v[6:7], v1, v[6:7]
	v_sub_nc_u32_e32 v1, 32, v1
	s_delay_alu instid0(VALU_DEP_2) | instskip(NEXT) | instid1(VALU_DEP_1)
	v_min_u32_e32 v3, 1, v6
	v_or_b32_e32 v3, v7, v3
	s_delay_alu instid0(VALU_DEP_1) | instskip(NEXT) | instid1(VALU_DEP_1)
	v_cvt_f32_u32_e32 v3, v3
	v_ldexp_f32 v1, v3, v1
	s_delay_alu instid0(VALU_DEP_1)
	v_cvt_f16_f32_e32 v1, v1
	s_branch .LBB231_175
.LBB231_173:
	s_mov_b32 s26, -1
                                        ; implicit-def: $vgpr1
.LBB231_174:
	s_mov_b32 s28, 0
.LBB231_175:
	s_delay_alu instid0(SALU_CYCLE_1)
	s_and_b32 vcc_lo, exec_lo, s28
	s_cbranch_vccz .LBB231_193
; %bb.176:
	s_cmp_lt_i32 s0, 27
	s_cbranch_scc1 .LBB231_179
; %bb.177:
	s_cmp_gt_i32 s0, 27
	s_cbranch_scc0 .LBB231_180
; %bb.178:
	global_load_b32 v1, v[4:5], off
	s_mov_b32 s27, 0
	s_wait_loadcnt 0x0
	v_cvt_f32_u32_e32 v1, v1
	s_delay_alu instid0(VALU_DEP_1)
	v_cvt_f16_f32_e32 v1, v1
	s_branch .LBB231_181
.LBB231_179:
	s_mov_b32 s27, -1
                                        ; implicit-def: $vgpr1
	s_branch .LBB231_184
.LBB231_180:
	s_mov_b32 s27, -1
                                        ; implicit-def: $vgpr1
.LBB231_181:
	s_delay_alu instid0(SALU_CYCLE_1)
	s_and_not1_b32 vcc_lo, exec_lo, s27
	s_cbranch_vccnz .LBB231_183
; %bb.182:
	global_load_u16 v1, v[4:5], off
	s_wait_loadcnt 0x0
	v_cvt_f16_u16_e32 v1, v1
.LBB231_183:
	s_mov_b32 s27, 0
.LBB231_184:
	s_delay_alu instid0(SALU_CYCLE_1)
	s_and_not1_b32 vcc_lo, exec_lo, s27
	s_cbranch_vccnz .LBB231_192
; %bb.185:
	global_load_u8 v3, v[4:5], off
	s_mov_b32 s27, 0
	s_mov_b32 s28, exec_lo
	s_wait_loadcnt 0x0
	v_cmpx_lt_i16_e32 0x7f, v3
	s_xor_b32 s28, exec_lo, s28
	s_cbranch_execz .LBB231_205
; %bb.186:
	s_mov_b32 s27, -1
	s_mov_b32 s29, exec_lo
	v_cmpx_eq_u16_e32 0x80, v3
; %bb.187:
	s_xor_b32 s27, exec_lo, -1
; %bb.188:
	s_or_b32 exec_lo, exec_lo, s29
	s_delay_alu instid0(SALU_CYCLE_1)
	s_and_b32 s27, s27, exec_lo
	s_or_saveexec_b32 s28, s28
	v_mov_b32_e32 v1, 0x7e00
	s_xor_b32 exec_lo, exec_lo, s28
	s_cbranch_execnz .LBB231_206
.LBB231_189:
	s_or_b32 exec_lo, exec_lo, s28
	s_and_saveexec_b32 s28, s27
	s_cbranch_execz .LBB231_191
.LBB231_190:
	v_and_b32_e32 v1, 0xffff, v3
	s_delay_alu instid0(VALU_DEP_1) | instskip(SKIP_1) | instid1(VALU_DEP_2)
	v_and_b32_e32 v6, 7, v1
	v_bfe_u32 v9, v1, 3, 4
	v_clz_i32_u32_e32 v7, v6
	s_delay_alu instid0(VALU_DEP_2) | instskip(NEXT) | instid1(VALU_DEP_2)
	v_cmp_eq_u32_e32 vcc_lo, 0, v9
	v_min_u32_e32 v7, 32, v7
	s_delay_alu instid0(VALU_DEP_1) | instskip(NEXT) | instid1(VALU_DEP_1)
	v_subrev_nc_u32_e32 v8, 28, v7
	v_dual_lshlrev_b32 v1, v8, v1 :: v_dual_sub_nc_u32 v7, 29, v7
	s_delay_alu instid0(VALU_DEP_1) | instskip(NEXT) | instid1(VALU_DEP_1)
	v_dual_lshlrev_b32 v3, 24, v3 :: v_dual_bitop2_b32 v1, 7, v1 bitop3:0x40
	v_dual_cndmask_b32 v1, v6, v1, vcc_lo :: v_dual_cndmask_b32 v7, v9, v7, vcc_lo
	s_delay_alu instid0(VALU_DEP_2) | instskip(NEXT) | instid1(VALU_DEP_2)
	v_and_b32_e32 v3, 0x80000000, v3
	v_lshlrev_b32_e32 v1, 20, v1
	s_delay_alu instid0(VALU_DEP_3) | instskip(NEXT) | instid1(VALU_DEP_1)
	v_lshl_add_u32 v6, v7, 23, 0x3b800000
	v_or3_b32 v1, v3, v6, v1
	s_delay_alu instid0(VALU_DEP_1)
	v_cvt_f16_f32_e32 v1, v1
.LBB231_191:
	s_or_b32 exec_lo, exec_lo, s28
.LBB231_192:
	s_mov_b32 s27, -1
.LBB231_193:
	s_branch .LBB231_228
.LBB231_194:
	s_cmp_gt_i32 s0, 22
	s_cbranch_scc0 .LBB231_204
; %bb.195:
	s_cmp_lt_i32 s0, 24
	s_cbranch_scc1 .LBB231_207
; %bb.196:
	s_cmp_gt_i32 s0, 24
	s_cbranch_scc0 .LBB231_208
; %bb.197:
	global_load_u8 v3, v[4:5], off
	s_mov_b32 s27, 0
	s_mov_b32 s28, exec_lo
	s_wait_loadcnt 0x0
	v_cmpx_lt_i16_e32 0x7f, v3
	s_xor_b32 s28, exec_lo, s28
	s_cbranch_execz .LBB231_220
; %bb.198:
	s_mov_b32 s27, -1
	s_mov_b32 s29, exec_lo
	v_cmpx_eq_u16_e32 0x80, v3
; %bb.199:
	s_xor_b32 s27, exec_lo, -1
; %bb.200:
	s_or_b32 exec_lo, exec_lo, s29
	s_delay_alu instid0(SALU_CYCLE_1)
	s_and_b32 s27, s27, exec_lo
	s_or_saveexec_b32 s28, s28
	v_mov_b32_e32 v1, 0x7e00
	s_xor_b32 exec_lo, exec_lo, s28
	s_cbranch_execnz .LBB231_221
.LBB231_201:
	s_or_b32 exec_lo, exec_lo, s28
	s_and_saveexec_b32 s28, s27
	s_cbranch_execz .LBB231_203
.LBB231_202:
	v_and_b32_e32 v1, 0xffff, v3
	s_delay_alu instid0(VALU_DEP_1) | instskip(SKIP_1) | instid1(VALU_DEP_2)
	v_and_b32_e32 v6, 3, v1
	v_bfe_u32 v9, v1, 2, 5
	v_clz_i32_u32_e32 v7, v6
	s_delay_alu instid0(VALU_DEP_2) | instskip(NEXT) | instid1(VALU_DEP_2)
	v_cmp_eq_u32_e32 vcc_lo, 0, v9
	v_min_u32_e32 v7, 32, v7
	s_delay_alu instid0(VALU_DEP_1) | instskip(NEXT) | instid1(VALU_DEP_1)
	v_subrev_nc_u32_e32 v8, 29, v7
	v_dual_lshlrev_b32 v1, v8, v1 :: v_dual_sub_nc_u32 v7, 30, v7
	s_delay_alu instid0(VALU_DEP_1) | instskip(NEXT) | instid1(VALU_DEP_1)
	v_dual_lshlrev_b32 v3, 24, v3 :: v_dual_bitop2_b32 v1, 3, v1 bitop3:0x40
	v_dual_cndmask_b32 v1, v6, v1, vcc_lo :: v_dual_cndmask_b32 v7, v9, v7, vcc_lo
	s_delay_alu instid0(VALU_DEP_2) | instskip(NEXT) | instid1(VALU_DEP_2)
	v_and_b32_e32 v3, 0x80000000, v3
	v_lshlrev_b32_e32 v1, 21, v1
	s_delay_alu instid0(VALU_DEP_3) | instskip(NEXT) | instid1(VALU_DEP_1)
	v_lshl_add_u32 v6, v7, 23, 0x37800000
	v_or3_b32 v1, v3, v6, v1
	s_delay_alu instid0(VALU_DEP_1)
	v_cvt_f16_f32_e32 v1, v1
.LBB231_203:
	s_or_b32 exec_lo, exec_lo, s28
	s_mov_b32 s27, 0
	s_branch .LBB231_209
.LBB231_204:
	s_mov_b32 s28, -1
                                        ; implicit-def: $vgpr1
	s_branch .LBB231_215
.LBB231_205:
	s_or_saveexec_b32 s28, s28
	v_mov_b32_e32 v1, 0x7e00
	s_xor_b32 exec_lo, exec_lo, s28
	s_cbranch_execz .LBB231_189
.LBB231_206:
	v_cmp_ne_u16_e32 vcc_lo, 0, v3
	v_mov_b32_e32 v1, v3
	s_and_not1_b32 s27, s27, exec_lo
	s_and_b32 s29, vcc_lo, exec_lo
	s_delay_alu instid0(SALU_CYCLE_1)
	s_or_b32 s27, s27, s29
	s_or_b32 exec_lo, exec_lo, s28
	s_and_saveexec_b32 s28, s27
	s_cbranch_execnz .LBB231_190
	s_branch .LBB231_191
.LBB231_207:
	s_mov_b32 s27, -1
                                        ; implicit-def: $vgpr1
	s_branch .LBB231_212
.LBB231_208:
	s_mov_b32 s27, -1
                                        ; implicit-def: $vgpr1
.LBB231_209:
	s_delay_alu instid0(SALU_CYCLE_1)
	s_and_b32 vcc_lo, exec_lo, s27
	s_cbranch_vccz .LBB231_211
; %bb.210:
	global_load_u8 v1, v[4:5], off
	s_wait_loadcnt 0x0
	v_lshlrev_b32_e32 v1, 24, v1
	s_delay_alu instid0(VALU_DEP_1) | instskip(NEXT) | instid1(VALU_DEP_1)
	v_and_b32_e32 v3, 0x7f000000, v1
	v_clz_i32_u32_e32 v6, v3
	v_cmp_ne_u32_e32 vcc_lo, 0, v3
	v_add_nc_u32_e32 v8, 0x1000000, v3
	s_delay_alu instid0(VALU_DEP_3) | instskip(NEXT) | instid1(VALU_DEP_1)
	v_min_u32_e32 v6, 32, v6
	v_sub_nc_u32_e64 v6, v6, 4 clamp
	s_delay_alu instid0(VALU_DEP_1) | instskip(NEXT) | instid1(VALU_DEP_1)
	v_dual_lshlrev_b32 v7, v6, v3 :: v_dual_lshlrev_b32 v6, 23, v6
	v_lshrrev_b32_e32 v7, 4, v7
	s_delay_alu instid0(VALU_DEP_1) | instskip(NEXT) | instid1(VALU_DEP_1)
	v_dual_sub_nc_u32 v6, v7, v6 :: v_dual_ashrrev_i32 v7, 8, v8
	v_add_nc_u32_e32 v6, 0x3c000000, v6
	s_delay_alu instid0(VALU_DEP_1) | instskip(NEXT) | instid1(VALU_DEP_1)
	v_and_or_b32 v6, 0x7f800000, v7, v6
	v_cndmask_b32_e32 v3, 0, v6, vcc_lo
	s_delay_alu instid0(VALU_DEP_1) | instskip(NEXT) | instid1(VALU_DEP_1)
	v_and_or_b32 v1, 0x80000000, v1, v3
	v_cvt_f16_f32_e32 v1, v1
.LBB231_211:
	s_mov_b32 s27, 0
.LBB231_212:
	s_delay_alu instid0(SALU_CYCLE_1)
	s_and_not1_b32 vcc_lo, exec_lo, s27
	s_cbranch_vccnz .LBB231_214
; %bb.213:
	global_load_u8 v1, v[4:5], off
	s_wait_loadcnt 0x0
	v_lshlrev_b32_e32 v3, 25, v1
	v_lshlrev_b16 v1, 8, v1
	s_delay_alu instid0(VALU_DEP_1) | instskip(SKIP_1) | instid1(VALU_DEP_2)
	v_and_or_b32 v7, 0x7f00, v1, 0.5
	v_bfe_i32 v1, v1, 0, 16
	v_add_f32_e32 v7, -0.5, v7
	v_lshrrev_b32_e32 v6, 4, v3
	v_cmp_gt_u32_e32 vcc_lo, 0x8000000, v3
	s_delay_alu instid0(VALU_DEP_2) | instskip(NEXT) | instid1(VALU_DEP_1)
	v_or_b32_e32 v6, 0x70000000, v6
	v_mul_f32_e32 v6, 0x7800000, v6
	s_delay_alu instid0(VALU_DEP_1) | instskip(NEXT) | instid1(VALU_DEP_1)
	v_cndmask_b32_e32 v3, v6, v7, vcc_lo
	v_and_or_b32 v1, 0x80000000, v1, v3
	s_delay_alu instid0(VALU_DEP_1)
	v_cvt_f16_f32_e32 v1, v1
.LBB231_214:
	s_mov_b32 s28, 0
	s_mov_b32 s27, -1
.LBB231_215:
	s_and_not1_b32 vcc_lo, exec_lo, s28
	s_cbranch_vccnz .LBB231_228
; %bb.216:
	s_cmp_gt_i32 s0, 14
	s_cbranch_scc0 .LBB231_219
; %bb.217:
	s_cmp_eq_u32 s0, 15
	s_cbranch_scc0 .LBB231_222
; %bb.218:
	global_load_u16 v1, v[4:5], off
	s_mov_b32 s27, -1
	s_mov_b32 s26, 0
	s_wait_loadcnt 0x0
	v_lshlrev_b32_e32 v1, 16, v1
	s_delay_alu instid0(VALU_DEP_1)
	v_cvt_f16_f32_e32 v1, v1
	s_branch .LBB231_223
.LBB231_219:
	s_mov_b32 s28, -1
                                        ; implicit-def: $vgpr1
	s_branch .LBB231_224
.LBB231_220:
	s_or_saveexec_b32 s28, s28
	v_mov_b32_e32 v1, 0x7e00
	s_xor_b32 exec_lo, exec_lo, s28
	s_cbranch_execz .LBB231_201
.LBB231_221:
	v_cmp_ne_u16_e32 vcc_lo, 0, v3
	v_mov_b32_e32 v1, v3
	s_and_not1_b32 s27, s27, exec_lo
	s_and_b32 s29, vcc_lo, exec_lo
	s_delay_alu instid0(SALU_CYCLE_1)
	s_or_b32 s27, s27, s29
	s_or_b32 exec_lo, exec_lo, s28
	s_and_saveexec_b32 s28, s27
	s_cbranch_execnz .LBB231_202
	s_branch .LBB231_203
.LBB231_222:
	s_mov_b32 s26, -1
                                        ; implicit-def: $vgpr1
.LBB231_223:
	s_mov_b32 s28, 0
.LBB231_224:
	s_delay_alu instid0(SALU_CYCLE_1)
	s_and_b32 vcc_lo, exec_lo, s28
	s_cbranch_vccz .LBB231_228
; %bb.225:
	s_cmp_eq_u32 s0, 11
	s_cbranch_scc0 .LBB231_227
; %bb.226:
	global_load_u8 v1, v[4:5], off
	s_mov_b32 s26, 0
	s_mov_b32 s27, -1
	s_wait_loadcnt 0x0
	v_cmp_ne_u16_e32 vcc_lo, 0, v1
	v_cndmask_b32_e64 v1, 0, 0x3c00, vcc_lo
	s_branch .LBB231_228
.LBB231_227:
	s_mov_b32 s26, -1
                                        ; implicit-def: $vgpr1
.LBB231_228:
	s_branch .LBB231_25
.LBB231_229:
	s_cmp_lt_i32 s0, 5
	s_cbranch_scc1 .LBB231_234
; %bb.230:
	s_cmp_lt_i32 s0, 8
	s_cbranch_scc1 .LBB231_235
; %bb.231:
	;; [unrolled: 3-line block ×3, first 2 shown]
	s_cmp_gt_i32 s0, 9
	s_cbranch_scc0 .LBB231_237
; %bb.233:
	global_load_b64 v[6:7], v[4:5], off
	s_mov_b32 s27, 0
	s_wait_loadcnt 0x0
	v_and_or_b32 v1, 0x1ff, v7, v6
	v_lshrrev_b32_e32 v3, 8, v7
	v_bfe_u32 v6, v7, 20, 11
	s_delay_alu instid0(VALU_DEP_3) | instskip(NEXT) | instid1(VALU_DEP_2)
	v_cmp_ne_u32_e32 vcc_lo, 0, v1
	v_sub_nc_u32_e32 v8, 0x3f1, v6
	v_add_nc_u32_e32 v6, 0xfffffc10, v6
	v_cndmask_b32_e64 v1, 0, 1, vcc_lo
	s_delay_alu instid0(VALU_DEP_1) | instskip(NEXT) | instid1(VALU_DEP_4)
	v_and_or_b32 v1, 0xffe, v3, v1
	v_med3_i32 v3, v8, 0, 13
	s_delay_alu instid0(VALU_DEP_2) | instskip(NEXT) | instid1(VALU_DEP_1)
	v_or_b32_e32 v8, 0x1000, v1
	v_lshrrev_b32_e32 v9, v3, v8
	s_delay_alu instid0(VALU_DEP_1) | instskip(NEXT) | instid1(VALU_DEP_1)
	v_lshlrev_b32_e32 v3, v3, v9
	v_cmp_ne_u32_e32 vcc_lo, v3, v8
	v_lshl_or_b32 v8, v6, 12, v1
	v_cndmask_b32_e64 v3, 0, 1, vcc_lo
	v_cmp_gt_i32_e32 vcc_lo, 1, v6
	s_delay_alu instid0(VALU_DEP_2) | instskip(NEXT) | instid1(VALU_DEP_1)
	v_or_b32_e32 v3, v9, v3
	v_cndmask_b32_e32 v3, v8, v3, vcc_lo
	s_delay_alu instid0(VALU_DEP_1) | instskip(NEXT) | instid1(VALU_DEP_1)
	v_dual_lshrrev_b32 v3, 2, v3 :: v_dual_bitop2_b32 v8, 7, v3 bitop3:0x40
	v_cmp_lt_i32_e32 vcc_lo, 5, v8
	v_cndmask_b32_e64 v9, 0, 1, vcc_lo
	v_cmp_eq_u32_e32 vcc_lo, 3, v8
	v_cndmask_b32_e64 v8, 0, 1, vcc_lo
	v_cmp_ne_u32_e32 vcc_lo, 0, v1
	s_delay_alu instid0(VALU_DEP_2) | instskip(SKIP_1) | instid1(VALU_DEP_2)
	v_or_b32_e32 v8, v8, v9
	v_mov_b32_e32 v9, 0x7e00
	v_add_nc_u32_e32 v3, v3, v8
	s_delay_alu instid0(VALU_DEP_2) | instskip(SKIP_1) | instid1(VALU_DEP_3)
	v_cndmask_b32_e32 v1, 0x7c00, v9, vcc_lo
	v_cmp_gt_i32_e32 vcc_lo, 31, v6
	v_cndmask_b32_e32 v3, 0x7c00, v3, vcc_lo
	v_cmp_eq_u32_e32 vcc_lo, 0x40f, v6
	s_delay_alu instid0(VALU_DEP_2) | instskip(NEXT) | instid1(VALU_DEP_1)
	v_dual_cndmask_b32 v1, v3, v1, vcc_lo :: v_dual_lshrrev_b32 v3, 16, v7
	v_and_or_b32 v1, 0x8000, v3, v1
	s_branch .LBB231_238
.LBB231_234:
                                        ; implicit-def: $vgpr1
	s_branch .LBB231_256
.LBB231_235:
	s_mov_b32 s27, -1
                                        ; implicit-def: $vgpr1
	s_branch .LBB231_244
.LBB231_236:
	s_mov_b32 s27, -1
                                        ; implicit-def: $vgpr1
	s_branch .LBB231_241
.LBB231_237:
	s_mov_b32 s27, -1
                                        ; implicit-def: $vgpr1
.LBB231_238:
	s_delay_alu instid0(SALU_CYCLE_1)
	s_and_not1_b32 vcc_lo, exec_lo, s27
	s_cbranch_vccnz .LBB231_240
; %bb.239:
	global_load_b32 v1, v[4:5], off
	s_wait_loadcnt 0x0
	v_cvt_f16_f32_e32 v1, v1
.LBB231_240:
	s_mov_b32 s27, 0
.LBB231_241:
	s_delay_alu instid0(SALU_CYCLE_1)
	s_and_not1_b32 vcc_lo, exec_lo, s27
	s_cbranch_vccnz .LBB231_243
; %bb.242:
	global_load_b32 v1, v[4:5], off
.LBB231_243:
	s_mov_b32 s27, 0
.LBB231_244:
	s_delay_alu instid0(SALU_CYCLE_1)
	s_and_not1_b32 vcc_lo, exec_lo, s27
	s_cbranch_vccnz .LBB231_255
; %bb.245:
	s_cmp_lt_i32 s0, 6
	s_cbranch_scc1 .LBB231_248
; %bb.246:
	s_cmp_gt_i32 s0, 6
	s_cbranch_scc0 .LBB231_249
; %bb.247:
	global_load_b64 v[6:7], v[4:5], off
	s_mov_b32 s27, 0
	s_wait_loadcnt 0x0
	v_and_or_b32 v1, 0x1ff, v7, v6
	v_lshrrev_b32_e32 v3, 8, v7
	v_bfe_u32 v6, v7, 20, 11
	s_delay_alu instid0(VALU_DEP_3) | instskip(NEXT) | instid1(VALU_DEP_2)
	v_cmp_ne_u32_e32 vcc_lo, 0, v1
	v_sub_nc_u32_e32 v8, 0x3f1, v6
	v_add_nc_u32_e32 v6, 0xfffffc10, v6
	v_cndmask_b32_e64 v1, 0, 1, vcc_lo
	s_delay_alu instid0(VALU_DEP_1) | instskip(NEXT) | instid1(VALU_DEP_4)
	v_and_or_b32 v1, 0xffe, v3, v1
	v_med3_i32 v3, v8, 0, 13
	s_delay_alu instid0(VALU_DEP_2) | instskip(NEXT) | instid1(VALU_DEP_1)
	v_or_b32_e32 v8, 0x1000, v1
	v_lshrrev_b32_e32 v9, v3, v8
	s_delay_alu instid0(VALU_DEP_1) | instskip(NEXT) | instid1(VALU_DEP_1)
	v_lshlrev_b32_e32 v3, v3, v9
	v_cmp_ne_u32_e32 vcc_lo, v3, v8
	v_lshl_or_b32 v8, v6, 12, v1
	v_cndmask_b32_e64 v3, 0, 1, vcc_lo
	v_cmp_gt_i32_e32 vcc_lo, 1, v6
	s_delay_alu instid0(VALU_DEP_2) | instskip(NEXT) | instid1(VALU_DEP_1)
	v_or_b32_e32 v3, v9, v3
	v_cndmask_b32_e32 v3, v8, v3, vcc_lo
	s_delay_alu instid0(VALU_DEP_1) | instskip(NEXT) | instid1(VALU_DEP_1)
	v_dual_lshrrev_b32 v3, 2, v3 :: v_dual_bitop2_b32 v8, 7, v3 bitop3:0x40
	v_cmp_lt_i32_e32 vcc_lo, 5, v8
	v_cndmask_b32_e64 v9, 0, 1, vcc_lo
	v_cmp_eq_u32_e32 vcc_lo, 3, v8
	v_cndmask_b32_e64 v8, 0, 1, vcc_lo
	v_cmp_ne_u32_e32 vcc_lo, 0, v1
	s_delay_alu instid0(VALU_DEP_2) | instskip(SKIP_1) | instid1(VALU_DEP_2)
	v_or_b32_e32 v8, v8, v9
	v_mov_b32_e32 v9, 0x7e00
	v_add_nc_u32_e32 v3, v3, v8
	s_delay_alu instid0(VALU_DEP_2) | instskip(SKIP_1) | instid1(VALU_DEP_3)
	v_cndmask_b32_e32 v1, 0x7c00, v9, vcc_lo
	v_cmp_gt_i32_e32 vcc_lo, 31, v6
	v_cndmask_b32_e32 v3, 0x7c00, v3, vcc_lo
	v_cmp_eq_u32_e32 vcc_lo, 0x40f, v6
	s_delay_alu instid0(VALU_DEP_2) | instskip(NEXT) | instid1(VALU_DEP_1)
	v_dual_cndmask_b32 v1, v3, v1, vcc_lo :: v_dual_lshrrev_b32 v3, 16, v7
	v_and_or_b32 v1, 0x8000, v3, v1
	s_branch .LBB231_250
.LBB231_248:
	s_mov_b32 s27, -1
                                        ; implicit-def: $vgpr1
	s_branch .LBB231_253
.LBB231_249:
	s_mov_b32 s27, -1
                                        ; implicit-def: $vgpr1
.LBB231_250:
	s_delay_alu instid0(SALU_CYCLE_1)
	s_and_not1_b32 vcc_lo, exec_lo, s27
	s_cbranch_vccnz .LBB231_252
; %bb.251:
	s_wait_loadcnt 0x0
	global_load_b32 v1, v[4:5], off
	s_wait_loadcnt 0x0
	v_cvt_f16_f32_e32 v1, v1
.LBB231_252:
	s_mov_b32 s27, 0
.LBB231_253:
	s_delay_alu instid0(SALU_CYCLE_1)
	s_and_not1_b32 vcc_lo, exec_lo, s27
	s_cbranch_vccnz .LBB231_255
; %bb.254:
	s_wait_loadcnt 0x0
	global_load_u16 v1, v[4:5], off
.LBB231_255:
	s_cbranch_execnz .LBB231_275
.LBB231_256:
	s_cmp_lt_i32 s0, 2
	s_cbranch_scc1 .LBB231_260
; %bb.257:
	s_cmp_lt_i32 s0, 3
	s_cbranch_scc1 .LBB231_261
; %bb.258:
	s_cmp_gt_i32 s0, 3
	s_cbranch_scc0 .LBB231_262
; %bb.259:
	global_load_b64 v[6:7], v[4:5], off
	s_mov_b32 s27, 0
	s_wait_loadcnt 0x0
	v_xor_b32_e32 v1, v6, v7
	v_cls_i32_e32 v3, v7
	s_delay_alu instid0(VALU_DEP_2) | instskip(NEXT) | instid1(VALU_DEP_1)
	v_ashrrev_i32_e32 v1, 31, v1
	v_add_nc_u32_e32 v1, 32, v1
	s_delay_alu instid0(VALU_DEP_1) | instskip(NEXT) | instid1(VALU_DEP_1)
	v_add_min_u32_e64 v1, v3, -1, v1
	v_lshlrev_b64_e32 v[6:7], v1, v[6:7]
	v_sub_nc_u32_e32 v1, 32, v1
	s_delay_alu instid0(VALU_DEP_2) | instskip(NEXT) | instid1(VALU_DEP_1)
	v_min_u32_e32 v3, 1, v6
	v_or_b32_e32 v3, v7, v3
	s_delay_alu instid0(VALU_DEP_1) | instskip(NEXT) | instid1(VALU_DEP_1)
	v_cvt_f32_i32_e32 v3, v3
	v_ldexp_f32 v1, v3, v1
	s_delay_alu instid0(VALU_DEP_1)
	v_cvt_f16_f32_e32 v1, v1
	s_branch .LBB231_263
.LBB231_260:
	s_mov_b32 s27, -1
                                        ; implicit-def: $vgpr1
	s_branch .LBB231_269
.LBB231_261:
	s_mov_b32 s27, -1
                                        ; implicit-def: $vgpr1
	s_branch .LBB231_266
.LBB231_262:
	s_mov_b32 s27, -1
                                        ; implicit-def: $vgpr1
.LBB231_263:
	s_delay_alu instid0(SALU_CYCLE_1)
	s_and_not1_b32 vcc_lo, exec_lo, s27
	s_cbranch_vccnz .LBB231_265
; %bb.264:
	s_wait_loadcnt 0x0
	global_load_b32 v1, v[4:5], off
	s_wait_loadcnt 0x0
	v_cvt_f32_i32_e32 v1, v1
	s_delay_alu instid0(VALU_DEP_1)
	v_cvt_f16_f32_e32 v1, v1
.LBB231_265:
	s_mov_b32 s27, 0
.LBB231_266:
	s_delay_alu instid0(SALU_CYCLE_1)
	s_and_not1_b32 vcc_lo, exec_lo, s27
	s_cbranch_vccnz .LBB231_268
; %bb.267:
	s_wait_loadcnt 0x0
	global_load_u16 v1, v[4:5], off
	s_wait_loadcnt 0x0
	v_cvt_f16_i16_e32 v1, v1
.LBB231_268:
	s_mov_b32 s27, 0
.LBB231_269:
	s_delay_alu instid0(SALU_CYCLE_1)
	s_and_not1_b32 vcc_lo, exec_lo, s27
	s_cbranch_vccnz .LBB231_275
; %bb.270:
	s_cmp_gt_i32 s0, 0
	s_mov_b32 s0, 0
	s_cbranch_scc0 .LBB231_272
; %bb.271:
	s_wait_loadcnt 0x0
	global_load_i8 v1, v[4:5], off
	s_wait_loadcnt 0x0
	v_cvt_f16_i16_e32 v1, v1
	s_branch .LBB231_273
.LBB231_272:
	s_mov_b32 s0, -1
                                        ; implicit-def: $vgpr1
.LBB231_273:
	s_delay_alu instid0(SALU_CYCLE_1)
	s_and_not1_b32 vcc_lo, exec_lo, s0
	s_cbranch_vccnz .LBB231_275
; %bb.274:
	s_wait_loadcnt 0x0
	global_load_u8 v1, v[4:5], off
	s_wait_loadcnt 0x0
	v_cvt_f16_u16_e32 v1, v1
.LBB231_275:
	s_branch .LBB231_26
.LBB231_276:
	s_mov_b32 s0, 0
.LBB231_277:
	s_mov_b32 s27, 0
                                        ; implicit-def: $vgpr0
.LBB231_278:
	s_and_b32 s42, s0, exec_lo
	s_and_b32 s43, s26, exec_lo
	s_or_not1_b32 s27, s27, exec_lo
.LBB231_279:
	s_wait_xcnt 0x0
	s_or_b32 exec_lo, exec_lo, s44
	s_mov_b32 s26, 0
	s_mov_b32 s0, 0
                                        ; implicit-def: $vgpr4_vgpr5
                                        ; implicit-def: $vgpr2
                                        ; implicit-def: $vgpr6
	s_and_saveexec_b32 s44, s27
	s_cbranch_execz .LBB231_287
; %bb.280:
	s_mov_b32 s0, -1
	s_mov_b32 s45, s43
	s_mov_b32 s46, s42
	s_mov_b32 s47, exec_lo
	v_cmpx_gt_i32_e64 s39, v0
	s_cbranch_execz .LBB231_571
; %bb.281:
	s_and_not1_b32 vcc_lo, exec_lo, s36
	s_cbranch_vccnz .LBB231_290
; %bb.282:
	s_and_not1_b32 vcc_lo, exec_lo, s41
	s_cbranch_vccnz .LBB231_291
; %bb.283:
	s_add_co_i32 s0, s40, 1
	s_cmp_eq_u32 s34, 2
	s_cbranch_scc1 .LBB231_292
; %bb.284:
	v_dual_mov_b32 v2, 0 :: v_dual_mov_b32 v4, 0
	s_wait_loadcnt 0x0
	v_mov_b32_e32 v1, v0
	s_and_b32 s26, s0, 28
	s_mov_b32 s27, 0
	s_mov_b64 s[28:29], s[2:3]
	s_mov_b64 s[30:31], s[24:25]
.LBB231_285:                            ; =>This Inner Loop Header: Depth=1
	s_clause 0x1
	s_load_b256 s[48:55], s[28:29], 0x4
	s_load_b128 s[64:67], s[28:29], 0x24
	s_load_b256 s[56:63], s[30:31], 0x0
	s_add_co_i32 s27, s27, 4
	s_wait_xcnt 0x0
	s_add_nc_u64 s[28:29], s[28:29], 48
	s_cmp_eq_u32 s26, s27
	s_add_nc_u64 s[30:31], s[30:31], 32
	s_wait_kmcnt 0x0
	v_mul_hi_u32 v3, s49, v1
	s_delay_alu instid0(VALU_DEP_1) | instskip(NEXT) | instid1(VALU_DEP_1)
	v_add_nc_u32_e32 v3, v1, v3
	v_lshrrev_b32_e32 v3, s50, v3
	s_delay_alu instid0(VALU_DEP_1) | instskip(NEXT) | instid1(VALU_DEP_1)
	v_mul_hi_u32 v5, s52, v3
	v_add_nc_u32_e32 v5, v3, v5
	s_delay_alu instid0(VALU_DEP_1) | instskip(NEXT) | instid1(VALU_DEP_1)
	v_lshrrev_b32_e32 v5, s53, v5
	v_mul_hi_u32 v6, s55, v5
	s_delay_alu instid0(VALU_DEP_1) | instskip(SKIP_1) | instid1(VALU_DEP_1)
	v_add_nc_u32_e32 v6, v5, v6
	v_mul_lo_u32 v7, v3, s48
	v_sub_nc_u32_e32 v1, v1, v7
	v_mul_lo_u32 v7, v5, s51
	s_delay_alu instid0(VALU_DEP_4) | instskip(NEXT) | instid1(VALU_DEP_3)
	v_lshrrev_b32_e32 v6, s64, v6
	v_mad_u32 v4, v1, s57, v4
	v_mad_u32 v1, v1, s56, v2
	s_delay_alu instid0(VALU_DEP_4) | instskip(NEXT) | instid1(VALU_DEP_4)
	v_sub_nc_u32_e32 v2, v3, v7
	v_mul_hi_u32 v8, s66, v6
	v_mul_lo_u32 v3, v6, s54
	s_delay_alu instid0(VALU_DEP_3) | instskip(SKIP_1) | instid1(VALU_DEP_3)
	v_mad_u32 v4, v2, s59, v4
	v_mad_u32 v2, v2, s58, v1
	v_dual_add_nc_u32 v7, v6, v8 :: v_dual_sub_nc_u32 v3, v5, v3
	s_delay_alu instid0(VALU_DEP_1) | instskip(NEXT) | instid1(VALU_DEP_2)
	v_lshrrev_b32_e32 v1, s67, v7
	v_mad_u32 v4, v3, s61, v4
	s_delay_alu instid0(VALU_DEP_4) | instskip(NEXT) | instid1(VALU_DEP_3)
	v_mad_u32 v2, v3, s60, v2
	v_mul_lo_u32 v5, v1, s65
	s_delay_alu instid0(VALU_DEP_1) | instskip(NEXT) | instid1(VALU_DEP_1)
	v_sub_nc_u32_e32 v3, v6, v5
	v_mad_u32 v4, v3, s63, v4
	s_delay_alu instid0(VALU_DEP_4)
	v_mad_u32 v2, v3, s62, v2
	s_cbranch_scc0 .LBB231_285
; %bb.286:
	s_delay_alu instid0(VALU_DEP_2)
	v_mov_b32_e32 v3, v4
	s_branch .LBB231_293
.LBB231_287:
	s_or_b32 exec_lo, exec_lo, s44
	s_mov_b32 s1, 0
	s_and_saveexec_b32 s6, s43
	s_cbranch_execnz .LBB231_966
.LBB231_288:
	s_or_b32 exec_lo, exec_lo, s6
	s_and_saveexec_b32 s6, s21
	s_delay_alu instid0(SALU_CYCLE_1)
	s_xor_b32 s6, exec_lo, s6
	s_cbranch_execz .LBB231_967
.LBB231_289:
	global_load_u8 v0, v[4:5], off
	s_or_b32 s0, s0, exec_lo
	s_wait_loadcnt 0x0
	v_cmp_ne_u16_e32 vcc_lo, 0, v0
	v_cndmask_b32_e64 v6, 0, 0x3c00, vcc_lo
	s_wait_xcnt 0x0
	s_or_b32 exec_lo, exec_lo, s6
	s_and_saveexec_b32 s6, s26
	s_cbranch_execz .LBB231_1013
	s_branch .LBB231_968
.LBB231_290:
                                        ; implicit-def: $vgpr4
                                        ; implicit-def: $vgpr2
	s_and_not1_b32 vcc_lo, exec_lo, s0
	s_cbranch_vccnz .LBB231_300
	s_branch .LBB231_298
.LBB231_291:
	v_dual_mov_b32 v4, 0 :: v_dual_mov_b32 v2, 0
	s_branch .LBB231_297
.LBB231_292:
	v_mov_b64_e32 v[2:3], 0
	s_wait_loadcnt 0x0
	v_mov_b32_e32 v1, v0
                                        ; implicit-def: $vgpr4
.LBB231_293:
	s_and_b32 s0, s0, 3
	s_mov_b32 s27, 0
	s_cmp_eq_u32 s0, 0
	s_cbranch_scc1 .LBB231_297
; %bb.294:
	s_lshl_b32 s28, s26, 3
	s_mov_b32 s29, s27
	s_mul_u64 s[30:31], s[26:27], 12
	s_add_nc_u64 s[28:29], s[2:3], s[28:29]
	s_delay_alu instid0(SALU_CYCLE_1)
	s_add_nc_u64 s[26:27], s[28:29], 0xc4
	s_add_nc_u64 s[28:29], s[2:3], s[30:31]
.LBB231_295:                            ; =>This Inner Loop Header: Depth=1
	s_load_b96 s[48:50], s[28:29], 0x4
	s_load_b64 s[30:31], s[26:27], 0x0
	s_add_co_i32 s0, s0, -1
	s_wait_xcnt 0x0
	s_add_nc_u64 s[28:29], s[28:29], 12
	s_cmp_lg_u32 s0, 0
	s_add_nc_u64 s[26:27], s[26:27], 8
	s_wait_kmcnt 0x0
	v_mul_hi_u32 v4, s49, v1
	s_delay_alu instid0(VALU_DEP_1) | instskip(NEXT) | instid1(VALU_DEP_1)
	v_add_nc_u32_e32 v4, v1, v4
	v_lshrrev_b32_e32 v4, s50, v4
	s_delay_alu instid0(VALU_DEP_1) | instskip(NEXT) | instid1(VALU_DEP_1)
	v_mul_lo_u32 v5, v4, s48
	v_sub_nc_u32_e32 v1, v1, v5
	s_delay_alu instid0(VALU_DEP_1)
	v_mad_u32 v3, v1, s31, v3
	v_mad_u32 v2, v1, s30, v2
	v_mov_b32_e32 v1, v4
	s_cbranch_scc1 .LBB231_295
; %bb.296:
	s_delay_alu instid0(VALU_DEP_3)
	v_mov_b32_e32 v4, v3
.LBB231_297:
	s_cbranch_execnz .LBB231_300
.LBB231_298:
	s_wait_loadcnt 0x0
	v_mov_b32_e32 v1, 0
	s_and_not1_b32 vcc_lo, exec_lo, s38
	s_delay_alu instid0(VALU_DEP_1) | instskip(NEXT) | instid1(VALU_DEP_1)
	v_mul_u64_e32 v[2:3], s[20:21], v[0:1]
	v_add_nc_u32_e32 v2, v0, v3
	s_delay_alu instid0(VALU_DEP_1) | instskip(NEXT) | instid1(VALU_DEP_1)
	v_lshrrev_b32_e32 v6, s14, v2
	v_mul_lo_u32 v2, v6, s12
	s_delay_alu instid0(VALU_DEP_1) | instskip(NEXT) | instid1(VALU_DEP_1)
	v_sub_nc_u32_e32 v2, v0, v2
	v_mul_lo_u32 v4, v2, s17
	v_mul_lo_u32 v2, v2, s16
	s_cbranch_vccnz .LBB231_300
; %bb.299:
	v_mov_b32_e32 v7, v1
	s_delay_alu instid0(VALU_DEP_1) | instskip(NEXT) | instid1(VALU_DEP_1)
	v_mul_u64_e32 v[8:9], s[22:23], v[6:7]
	v_add_nc_u32_e32 v1, v6, v9
	s_delay_alu instid0(VALU_DEP_1) | instskip(NEXT) | instid1(VALU_DEP_1)
	v_lshrrev_b32_e32 v1, s1, v1
	v_mul_lo_u32 v1, v1, s15
	s_delay_alu instid0(VALU_DEP_1) | instskip(NEXT) | instid1(VALU_DEP_1)
	v_sub_nc_u32_e32 v1, v6, v1
	v_mad_u32 v2, v1, s18, v2
	v_mad_u32 v4, v1, s19, v4
.LBB231_300:
	v_mov_b32_e32 v5, 0
	s_and_b32 s0, 0xffff, s13
	s_delay_alu instid0(SALU_CYCLE_1) | instskip(NEXT) | instid1(VALU_DEP_1)
	s_cmp_lt_i32 s0, 11
	v_add_nc_u64_e32 v[4:5], s[6:7], v[4:5]
	s_cbranch_scc1 .LBB231_307
; %bb.301:
	s_cmp_gt_i32 s0, 25
	s_cbranch_scc0 .LBB231_313
; %bb.302:
	s_cmp_gt_i32 s0, 28
	s_cbranch_scc0 .LBB231_314
; %bb.303:
	s_cmp_gt_i32 s0, 43
	s_cbranch_scc0 .LBB231_316
; %bb.304:
	s_cmp_gt_i32 s0, 45
	s_cbranch_scc0 .LBB231_337
; %bb.305:
	s_cmp_eq_u32 s0, 46
	s_mov_b32 s28, 0
	s_cbranch_scc0 .LBB231_341
; %bb.306:
	s_wait_loadcnt 0x0
	global_load_b32 v1, v[4:5], off
	s_mov_b32 s27, -1
	s_mov_b32 s26, 0
	s_wait_loadcnt 0x0
	v_lshlrev_b32_e32 v1, 16, v1
	s_delay_alu instid0(VALU_DEP_1)
	v_cvt_f16_f32_e32 v1, v1
	s_branch .LBB231_343
.LBB231_307:
	s_mov_b32 s27, 0
	s_mov_b32 s26, s43
                                        ; implicit-def: $vgpr1
	s_cbranch_execnz .LBB231_520
.LBB231_308:
	s_and_not1_b32 vcc_lo, exec_lo, s27
	s_cbranch_vccnz .LBB231_568
.LBB231_309:
	s_mov_b32 s0, exec_lo
	s_wait_loadcnt 0x0
	s_delay_alu instid0(VALU_DEP_1)
	v_cmpx_o_f16_e32 v1, v1
	s_cbranch_execz .LBB231_323
; %bb.310:
	v_cvt_f32_f16_e32 v3, v1
	s_cmp_lt_i32 s8, 1
	s_mov_b32 s27, 0
	s_cbranch_scc1 .LBB231_315
; %bb.311:
	s_cmp_eq_u32 s8, 1
	s_cbranch_scc0 .LBB231_317
; %bb.312:
	v_max_num_f32_e64 v1, s9, s9
	v_max_num_f32_e32 v4, v3, v3
	s_mov_b32 s28, 0
	s_delay_alu instid0(VALU_DEP_1) | instskip(NEXT) | instid1(VALU_DEP_1)
	v_min_num_f32_e32 v1, v4, v1
	v_cvt_f16_f32_e32 v1, v1
	s_branch .LBB231_318
.LBB231_313:
	s_mov_b32 s28, -1
	s_mov_b32 s27, 0
	s_mov_b32 s26, s43
                                        ; implicit-def: $vgpr1
	s_branch .LBB231_484
.LBB231_314:
	s_mov_b32 s28, -1
	s_mov_b32 s27, 0
	s_mov_b32 s26, s43
                                        ; implicit-def: $vgpr1
	s_branch .LBB231_465
.LBB231_315:
	s_mov_b32 s29, -1
	s_mov_b32 s28, 0
                                        ; implicit-def: $vgpr1
	s_branch .LBB231_319
.LBB231_316:
	s_mov_b32 s28, -1
	s_mov_b32 s27, 0
	s_mov_b32 s26, s43
                                        ; implicit-def: $vgpr1
	s_branch .LBB231_460
.LBB231_317:
	s_mov_b32 s28, -1
                                        ; implicit-def: $vgpr1
.LBB231_318:
	s_mov_b32 s29, 0
.LBB231_319:
	s_delay_alu instid0(SALU_CYCLE_1)
	s_and_b32 vcc_lo, exec_lo, s29
	s_cbranch_vccz .LBB231_330
; %bb.320:
	s_cmp_lg_u32 s8, 0
	s_mov_b32 s27, -1
	s_cselect_b32 s28, -1, 0
	s_delay_alu instid0(SALU_CYCLE_1)
	s_and_not1_b32 vcc_lo, exec_lo, s28
	s_cbranch_vccz .LBB231_331
.LBB231_321:
	s_and_not1_b32 vcc_lo, exec_lo, s27
	s_cbranch_vccnz .LBB231_323
.LBB231_322:
	v_max_num_f32_e64 v1, s9, s9
	v_max_num_f32_e32 v3, v3, v3
	s_delay_alu instid0(VALU_DEP_1) | instskip(NEXT) | instid1(VALU_DEP_1)
	v_max_num_f32_e32 v1, v3, v1
	v_cvt_f16_f32_e32 v1, v1
.LBB231_323:
	s_or_b32 exec_lo, exec_lo, s0
	v_mov_b32_e32 v3, 0
	s_and_b32 s27, s11, 0xff
	s_delay_alu instid0(SALU_CYCLE_1) | instskip(NEXT) | instid1(VALU_DEP_1)
	s_cmp_lt_i32 s27, 11
	v_add_nc_u64_e32 v[2:3], s[4:5], v[2:3]
	s_cbranch_scc1 .LBB231_332
; %bb.324:
	s_and_b32 s28, 0xffff, s27
	s_delay_alu instid0(SALU_CYCLE_1)
	s_cmp_gt_i32 s28, 25
	s_cbranch_scc0 .LBB231_333
; %bb.325:
	s_cmp_gt_i32 s28, 28
	s_cbranch_scc0 .LBB231_334
; %bb.326:
	;; [unrolled: 3-line block ×4, first 2 shown]
	s_mov_b32 s30, 0
	s_mov_b32 s0, -1
	s_cmp_eq_u32 s28, 46
	s_mov_b32 s29, 0
	s_cbranch_scc0 .LBB231_347
; %bb.329:
	v_cvt_f32_f16_e32 v4, v1
	v_cmp_o_f16_e32 vcc_lo, v1, v1
	s_mov_b32 s29, -1
	s_mov_b32 s0, 0
	s_delay_alu instid0(VALU_DEP_2) | instskip(NEXT) | instid1(VALU_DEP_1)
	v_bfe_u32 v5, v4, 16, 1
	v_add3_u32 v4, v4, v5, 0x7fff
	s_delay_alu instid0(VALU_DEP_1) | instskip(NEXT) | instid1(VALU_DEP_1)
	v_lshrrev_b32_e32 v4, 16, v4
	v_cndmask_b32_e32 v4, 0x7fc0, v4, vcc_lo
	global_store_b32 v[2:3], v4, off
	s_branch .LBB231_347
.LBB231_330:
	s_and_not1_b32 vcc_lo, exec_lo, s28
	s_cbranch_vccnz .LBB231_321
.LBB231_331:
	v_max_num_f32_e64 v1, s9, s9
	v_max_num_f32_e32 v4, v3, v3
	v_max_num_f32_e64 v5, s10, s10
	s_delay_alu instid0(VALU_DEP_1) | instskip(NEXT) | instid1(VALU_DEP_1)
	v_maxmin_num_f32 v1, v4, v1, v5
	v_cvt_f16_f32_e32 v1, v1
	s_cbranch_execz .LBB231_322
	s_branch .LBB231_323
.LBB231_332:
	s_mov_b32 s28, -1
	s_mov_b32 s29, 0
	s_mov_b32 s0, s42
	s_branch .LBB231_416
.LBB231_333:
	s_mov_b32 s30, -1
	s_mov_b32 s29, 0
	s_mov_b32 s0, s42
	s_branch .LBB231_374
.LBB231_334:
	s_mov_b32 s30, -1
	s_mov_b32 s29, 0
	s_mov_b32 s0, s42
	s_branch .LBB231_357
.LBB231_335:
	s_and_not1_saveexec_b32 s31, s31
	s_cbranch_execz .LBB231_81
.LBB231_336:
	v_add_f32_e64 v5, 0x46000000, |v4|
	s_and_not1_b32 s30, s30, exec_lo
	s_delay_alu instid0(VALU_DEP_1) | instskip(NEXT) | instid1(VALU_DEP_1)
	v_and_b32_e32 v5, 0xff, v5
	v_cmp_ne_u32_e32 vcc_lo, 0, v5
	s_and_b32 s42, vcc_lo, exec_lo
	s_delay_alu instid0(SALU_CYCLE_1)
	s_or_b32 s30, s30, s42
	s_or_b32 exec_lo, exec_lo, s31
	v_mov_b32_e32 v6, 0
	s_and_saveexec_b32 s31, s30
	s_cbranch_execnz .LBB231_82
	s_branch .LBB231_83
.LBB231_337:
	s_mov_b32 s28, -1
	s_mov_b32 s27, 0
	s_mov_b32 s26, s43
	s_branch .LBB231_342
.LBB231_338:
	s_mov_b32 s30, -1
	s_mov_b32 s29, 0
	s_mov_b32 s0, s42
	s_branch .LBB231_353
.LBB231_339:
	s_and_not1_saveexec_b32 s31, s31
	s_cbranch_execz .LBB231_94
.LBB231_340:
	v_add_f32_e64 v5, 0x42800000, |v4|
	s_and_not1_b32 s30, s30, exec_lo
	s_delay_alu instid0(VALU_DEP_1) | instskip(NEXT) | instid1(VALU_DEP_1)
	v_and_b32_e32 v5, 0xff, v5
	v_cmp_ne_u32_e32 vcc_lo, 0, v5
	s_and_b32 s42, vcc_lo, exec_lo
	s_delay_alu instid0(SALU_CYCLE_1)
	s_or_b32 s30, s30, s42
	s_or_b32 exec_lo, exec_lo, s31
	v_mov_b32_e32 v6, 0
	s_and_saveexec_b32 s31, s30
	s_cbranch_execnz .LBB231_95
	s_branch .LBB231_96
.LBB231_341:
	s_mov_b32 s26, -1
	s_mov_b32 s27, 0
.LBB231_342:
                                        ; implicit-def: $vgpr1
.LBB231_343:
	s_and_b32 vcc_lo, exec_lo, s28
	s_cbranch_vccz .LBB231_459
; %bb.344:
	s_cmp_eq_u32 s0, 44
	s_cbranch_scc0 .LBB231_458
; %bb.345:
	s_wait_loadcnt 0x0
	global_load_u8 v1, v[4:5], off
	s_mov_b32 s26, 0
	s_mov_b32 s27, -1
	s_wait_loadcnt 0x0
	v_lshlrev_b32_e32 v3, 23, v1
	v_cmp_ne_u32_e32 vcc_lo, 0xff, v1
	s_delay_alu instid0(VALU_DEP_2) | instskip(NEXT) | instid1(VALU_DEP_1)
	v_cvt_f16_f32_e32 v3, v3
	v_cndmask_b32_e32 v3, 0x7e00, v3, vcc_lo
	v_cmp_ne_u32_e32 vcc_lo, 0, v1
	s_delay_alu instid0(VALU_DEP_2)
	v_cndmask_b32_e32 v1, 0, v3, vcc_lo
	s_branch .LBB231_459
.LBB231_346:
	s_mov_b32 s30, -1
	s_mov_b32 s29, 0
	s_mov_b32 s0, s42
.LBB231_347:
	s_and_b32 vcc_lo, exec_lo, s30
	s_cbranch_vccz .LBB231_352
; %bb.348:
	s_cmp_eq_u32 s28, 44
	s_mov_b32 s0, -1
	s_cbranch_scc0 .LBB231_352
; %bb.349:
	s_wait_xcnt 0x0
	v_cvt_f32_f16_e32 v4, v1
	v_mov_b32_e32 v5, 0xff
	s_mov_b32 s29, exec_lo
	s_delay_alu instid0(VALU_DEP_2) | instskip(NEXT) | instid1(VALU_DEP_1)
	v_bfe_u32 v6, v4, 23, 8
	v_cmpx_ne_u32_e32 0xff, v6
	s_cbranch_execz .LBB231_351
; %bb.350:
	v_and_b32_e32 v5, 0x400000, v4
	v_and_or_b32 v6, 0x3fffff, v4, v6
	v_lshrrev_b32_e32 v4, 23, v4
	s_delay_alu instid0(VALU_DEP_3) | instskip(NEXT) | instid1(VALU_DEP_3)
	v_cmp_ne_u32_e32 vcc_lo, 0, v5
	v_cmp_ne_u32_e64 s0, 0, v6
	s_and_b32 s0, vcc_lo, s0
	s_delay_alu instid0(SALU_CYCLE_1) | instskip(NEXT) | instid1(VALU_DEP_1)
	v_cndmask_b32_e64 v5, 0, 1, s0
	v_add_nc_u32_e32 v5, v4, v5
.LBB231_351:
	s_or_b32 exec_lo, exec_lo, s29
	s_mov_b32 s29, -1
	s_mov_b32 s0, 0
	global_store_b8 v[2:3], v5, off
.LBB231_352:
	s_mov_b32 s30, 0
.LBB231_353:
	s_delay_alu instid0(SALU_CYCLE_1)
	s_and_b32 vcc_lo, exec_lo, s30
	s_cbranch_vccz .LBB231_356
; %bb.354:
	s_cmp_eq_u32 s28, 29
	s_mov_b32 s0, -1
	s_cbranch_scc0 .LBB231_356
; %bb.355:
	s_wait_xcnt 0x0
	v_cvt_f32_f16_e32 v4, v1
	v_mov_b32_e32 v5, 0
	s_mov_b32 s29, -1
	s_mov_b32 s0, 0
	s_mov_b32 s30, 0
	v_cvt_u32_f32_e32 v4, v4
	global_store_b64 v[2:3], v[4:5], off
	s_branch .LBB231_357
.LBB231_356:
	s_mov_b32 s30, 0
.LBB231_357:
	s_delay_alu instid0(SALU_CYCLE_1)
	s_and_b32 vcc_lo, exec_lo, s30
	s_cbranch_vccz .LBB231_373
; %bb.358:
	s_cmp_lt_i32 s28, 27
	s_mov_b32 s29, -1
	s_cbranch_scc1 .LBB231_364
; %bb.359:
	s_cmp_gt_i32 s28, 27
	s_cbranch_scc0 .LBB231_361
; %bb.360:
	s_wait_xcnt 0x0
	v_cvt_f32_f16_e32 v4, v1
	s_mov_b32 s29, 0
	s_delay_alu instid0(VALU_DEP_1)
	v_cvt_u32_f32_e32 v4, v4
	global_store_b32 v[2:3], v4, off
.LBB231_361:
	s_and_not1_b32 vcc_lo, exec_lo, s29
	s_cbranch_vccnz .LBB231_363
; %bb.362:
	s_wait_xcnt 0x0
	v_cvt_u16_f16_e32 v4, v1
	global_store_b16 v[2:3], v4, off
.LBB231_363:
	s_mov_b32 s29, 0
.LBB231_364:
	s_delay_alu instid0(SALU_CYCLE_1)
	s_and_not1_b32 vcc_lo, exec_lo, s29
	s_cbranch_vccnz .LBB231_372
; %bb.365:
	s_wait_xcnt 0x0
	v_cvt_f32_f16_e32 v4, v1
	v_mov_b32_e32 v6, 0x80
	s_mov_b32 s29, exec_lo
	s_delay_alu instid0(VALU_DEP_2) | instskip(NEXT) | instid1(VALU_DEP_1)
	v_and_b32_e32 v5, 0x7fffffff, v4
	v_cmpx_gt_u32_e32 0x43800000, v5
	s_cbranch_execz .LBB231_371
; %bb.366:
	v_cmp_lt_u32_e32 vcc_lo, 0x3bffffff, v5
	s_mov_b32 s30, 0
                                        ; implicit-def: $vgpr5
	s_and_saveexec_b32 s31, vcc_lo
	s_delay_alu instid0(SALU_CYCLE_1)
	s_xor_b32 s31, exec_lo, s31
	s_cbranch_execz .LBB231_601
; %bb.367:
	v_bfe_u32 v5, v4, 20, 1
	s_mov_b32 s30, exec_lo
	s_delay_alu instid0(VALU_DEP_1) | instskip(NEXT) | instid1(VALU_DEP_1)
	v_add3_u32 v5, v4, v5, 0x487ffff
	v_lshrrev_b32_e32 v5, 20, v5
	s_and_not1_saveexec_b32 s31, s31
	s_cbranch_execnz .LBB231_602
.LBB231_368:
	s_or_b32 exec_lo, exec_lo, s31
	v_mov_b32_e32 v6, 0
	s_and_saveexec_b32 s31, s30
.LBB231_369:
	v_lshrrev_b32_e32 v4, 24, v4
	s_delay_alu instid0(VALU_DEP_1)
	v_and_or_b32 v6, 0x80, v4, v5
.LBB231_370:
	s_or_b32 exec_lo, exec_lo, s31
.LBB231_371:
	s_delay_alu instid0(SALU_CYCLE_1)
	s_or_b32 exec_lo, exec_lo, s29
	global_store_b8 v[2:3], v6, off
.LBB231_372:
	s_mov_b32 s29, -1
.LBB231_373:
	s_mov_b32 s30, 0
.LBB231_374:
	s_delay_alu instid0(SALU_CYCLE_1)
	s_and_b32 vcc_lo, exec_lo, s30
	s_cbranch_vccz .LBB231_415
; %bb.375:
	s_cmp_gt_i32 s28, 22
	s_mov_b32 s30, -1
	s_cbranch_scc0 .LBB231_407
; %bb.376:
	s_cmp_lt_i32 s28, 24
	s_mov_b32 s29, -1
	s_cbranch_scc1 .LBB231_396
; %bb.377:
	s_cmp_gt_i32 s28, 24
	s_cbranch_scc0 .LBB231_385
; %bb.378:
	s_wait_xcnt 0x0
	v_cvt_f32_f16_e32 v4, v1
	v_mov_b32_e32 v6, 0x80
	s_mov_b32 s29, exec_lo
	s_delay_alu instid0(VALU_DEP_2) | instskip(NEXT) | instid1(VALU_DEP_1)
	v_and_b32_e32 v5, 0x7fffffff, v4
	v_cmpx_gt_u32_e32 0x47800000, v5
	s_cbranch_execz .LBB231_384
; %bb.379:
	v_cmp_lt_u32_e32 vcc_lo, 0x37ffffff, v5
	s_mov_b32 s30, 0
                                        ; implicit-def: $vgpr5
	s_and_saveexec_b32 s31, vcc_lo
	s_delay_alu instid0(SALU_CYCLE_1)
	s_xor_b32 s31, exec_lo, s31
	s_cbranch_execz .LBB231_604
; %bb.380:
	v_bfe_u32 v5, v4, 21, 1
	s_mov_b32 s30, exec_lo
	s_delay_alu instid0(VALU_DEP_1) | instskip(NEXT) | instid1(VALU_DEP_1)
	v_add3_u32 v5, v4, v5, 0x88fffff
	v_lshrrev_b32_e32 v5, 21, v5
	s_and_not1_saveexec_b32 s31, s31
	s_cbranch_execnz .LBB231_605
.LBB231_381:
	s_or_b32 exec_lo, exec_lo, s31
	v_mov_b32_e32 v6, 0
	s_and_saveexec_b32 s31, s30
.LBB231_382:
	v_lshrrev_b32_e32 v4, 24, v4
	s_delay_alu instid0(VALU_DEP_1)
	v_and_or_b32 v6, 0x80, v4, v5
.LBB231_383:
	s_or_b32 exec_lo, exec_lo, s31
.LBB231_384:
	s_delay_alu instid0(SALU_CYCLE_1)
	s_or_b32 exec_lo, exec_lo, s29
	s_mov_b32 s29, 0
	global_store_b8 v[2:3], v6, off
.LBB231_385:
	s_and_b32 vcc_lo, exec_lo, s29
	s_cbranch_vccz .LBB231_395
; %bb.386:
	s_wait_xcnt 0x0
	v_cvt_f32_f16_e32 v4, v1
	s_mov_b32 s29, exec_lo
                                        ; implicit-def: $vgpr5
	s_delay_alu instid0(VALU_DEP_1) | instskip(NEXT) | instid1(VALU_DEP_1)
	v_and_b32_e32 v6, 0x7fffffff, v4
	v_cmpx_gt_u32_e32 0x43f00000, v6
	s_xor_b32 s29, exec_lo, s29
	s_cbranch_execz .LBB231_392
; %bb.387:
	s_mov_b32 s30, exec_lo
                                        ; implicit-def: $vgpr5
	v_cmpx_lt_u32_e32 0x3c7fffff, v6
	s_xor_b32 s30, exec_lo, s30
; %bb.388:
	v_bfe_u32 v5, v4, 20, 1
	s_delay_alu instid0(VALU_DEP_1) | instskip(NEXT) | instid1(VALU_DEP_1)
	v_add3_u32 v5, v4, v5, 0x407ffff
	v_and_b32_e32 v6, 0xff00000, v5
	v_lshrrev_b32_e32 v5, 20, v5
	s_delay_alu instid0(VALU_DEP_2) | instskip(NEXT) | instid1(VALU_DEP_2)
	v_cmp_ne_u32_e32 vcc_lo, 0x7f00000, v6
	v_cndmask_b32_e32 v5, 0x7e, v5, vcc_lo
; %bb.389:
	s_and_not1_saveexec_b32 s30, s30
; %bb.390:
	v_add_f32_e64 v5, 0x46800000, |v4|
; %bb.391:
	s_or_b32 exec_lo, exec_lo, s30
                                        ; implicit-def: $vgpr6
.LBB231_392:
	s_and_not1_saveexec_b32 s29, s29
; %bb.393:
	v_mov_b32_e32 v5, 0x7f
	v_cmp_lt_u32_e32 vcc_lo, 0x7f800000, v6
	s_delay_alu instid0(VALU_DEP_2)
	v_cndmask_b32_e32 v5, 0x7e, v5, vcc_lo
; %bb.394:
	s_or_b32 exec_lo, exec_lo, s29
	v_lshrrev_b32_e32 v4, 24, v4
	s_delay_alu instid0(VALU_DEP_1)
	v_and_or_b32 v4, 0x80, v4, v5
	global_store_b8 v[2:3], v4, off
.LBB231_395:
	s_mov_b32 s29, 0
.LBB231_396:
	s_delay_alu instid0(SALU_CYCLE_1)
	s_and_not1_b32 vcc_lo, exec_lo, s29
	s_cbranch_vccnz .LBB231_406
; %bb.397:
	s_wait_xcnt 0x0
	v_cvt_f32_f16_e32 v4, v1
	s_mov_b32 s29, exec_lo
                                        ; implicit-def: $vgpr5
	s_delay_alu instid0(VALU_DEP_1) | instskip(NEXT) | instid1(VALU_DEP_1)
	v_and_b32_e32 v6, 0x7fffffff, v4
	v_cmpx_gt_u32_e32 0x47800000, v6
	s_xor_b32 s29, exec_lo, s29
	s_cbranch_execz .LBB231_403
; %bb.398:
	s_mov_b32 s30, exec_lo
                                        ; implicit-def: $vgpr5
	v_cmpx_lt_u32_e32 0x387fffff, v6
	s_xor_b32 s30, exec_lo, s30
; %bb.399:
	v_bfe_u32 v5, v4, 21, 1
	s_delay_alu instid0(VALU_DEP_1) | instskip(NEXT) | instid1(VALU_DEP_1)
	v_add3_u32 v5, v4, v5, 0x80fffff
	v_lshrrev_b32_e32 v5, 21, v5
; %bb.400:
	s_and_not1_saveexec_b32 s30, s30
; %bb.401:
	v_add_f32_e64 v5, 0x43000000, |v4|
; %bb.402:
	s_or_b32 exec_lo, exec_lo, s30
                                        ; implicit-def: $vgpr6
.LBB231_403:
	s_and_not1_saveexec_b32 s29, s29
; %bb.404:
	v_mov_b32_e32 v5, 0x7f
	v_cmp_lt_u32_e32 vcc_lo, 0x7f800000, v6
	s_delay_alu instid0(VALU_DEP_2)
	v_cndmask_b32_e32 v5, 0x7c, v5, vcc_lo
; %bb.405:
	s_or_b32 exec_lo, exec_lo, s29
	v_lshrrev_b32_e32 v4, 24, v4
	s_delay_alu instid0(VALU_DEP_1)
	v_and_or_b32 v4, 0x80, v4, v5
	global_store_b8 v[2:3], v4, off
.LBB231_406:
	s_mov_b32 s30, 0
	s_mov_b32 s29, -1
.LBB231_407:
	s_and_not1_b32 vcc_lo, exec_lo, s30
	s_cbranch_vccnz .LBB231_415
; %bb.408:
	s_cmp_gt_i32 s28, 14
	s_mov_b32 s30, -1
	s_cbranch_scc0 .LBB231_412
; %bb.409:
	s_cmp_eq_u32 s28, 15
	s_mov_b32 s0, -1
	s_cbranch_scc0 .LBB231_411
; %bb.410:
	s_wait_xcnt 0x0
	v_cvt_f32_f16_e32 v4, v1
	v_cmp_o_f16_e32 vcc_lo, v1, v1
	s_mov_b32 s29, -1
	s_mov_b32 s0, 0
	s_delay_alu instid0(VALU_DEP_2) | instskip(NEXT) | instid1(VALU_DEP_1)
	v_bfe_u32 v5, v4, 16, 1
	v_add3_u32 v4, v4, v5, 0x7fff
	s_delay_alu instid0(VALU_DEP_1) | instskip(NEXT) | instid1(VALU_DEP_1)
	v_lshrrev_b32_e32 v4, 16, v4
	v_cndmask_b32_e32 v4, 0x7fc0, v4, vcc_lo
	global_store_b16 v[2:3], v4, off
.LBB231_411:
	s_mov_b32 s30, 0
.LBB231_412:
	s_delay_alu instid0(SALU_CYCLE_1)
	s_and_b32 vcc_lo, exec_lo, s30
	s_cbranch_vccz .LBB231_415
; %bb.413:
	s_cmp_eq_u32 s28, 11
	s_mov_b32 s0, -1
	s_cbranch_scc0 .LBB231_415
; %bb.414:
	s_wait_xcnt 0x0
	v_and_b32_e32 v4, 0x7fff, v1
	s_mov_b32 s0, 0
	s_mov_b32 s29, -1
	s_delay_alu instid0(VALU_DEP_1)
	v_cmp_ne_u16_e32 vcc_lo, 0, v4
	v_cndmask_b32_e64 v4, 0, 1, vcc_lo
	global_store_b8 v[2:3], v4, off
.LBB231_415:
	s_mov_b32 s28, 0
.LBB231_416:
	s_delay_alu instid0(SALU_CYCLE_1)
	s_and_b32 vcc_lo, exec_lo, s28
	s_cbranch_vccz .LBB231_455
; %bb.417:
	s_and_b32 s27, 0xffff, s27
	s_mov_b32 s28, -1
	s_cmp_lt_i32 s27, 5
	s_cbranch_scc1 .LBB231_438
; %bb.418:
	s_cmp_lt_i32 s27, 8
	s_cbranch_scc1 .LBB231_428
; %bb.419:
	;; [unrolled: 3-line block ×3, first 2 shown]
	s_cmp_gt_i32 s27, 9
	s_cbranch_scc0 .LBB231_422
; %bb.421:
	s_wait_xcnt 0x0
	v_cvt_f32_f16_e32 v4, v1
	v_mov_b32_e32 v6, 0
	s_mov_b32 s28, 0
	s_delay_alu instid0(VALU_DEP_2) | instskip(NEXT) | instid1(VALU_DEP_2)
	v_cvt_f64_f32_e32 v[4:5], v4
	v_mov_b32_e32 v7, v6
	global_store_b128 v[2:3], v[4:7], off
.LBB231_422:
	s_and_not1_b32 vcc_lo, exec_lo, s28
	s_cbranch_vccnz .LBB231_424
; %bb.423:
	s_wait_xcnt 0x0
	v_cvt_f32_f16_e32 v4, v1
	v_mov_b32_e32 v5, 0
	global_store_b64 v[2:3], v[4:5], off
.LBB231_424:
	s_mov_b32 s28, 0
.LBB231_425:
	s_delay_alu instid0(SALU_CYCLE_1)
	s_and_not1_b32 vcc_lo, exec_lo, s28
	s_cbranch_vccnz .LBB231_427
; %bb.426:
	s_wait_xcnt 0x0
	v_and_b32_e32 v4, 0xffff, v1
	global_store_b32 v[2:3], v4, off
.LBB231_427:
	s_mov_b32 s28, 0
.LBB231_428:
	s_delay_alu instid0(SALU_CYCLE_1)
	s_and_not1_b32 vcc_lo, exec_lo, s28
	s_cbranch_vccnz .LBB231_437
; %bb.429:
	s_cmp_lt_i32 s27, 6
	s_mov_b32 s28, -1
	s_cbranch_scc1 .LBB231_435
; %bb.430:
	s_cmp_gt_i32 s27, 6
	s_cbranch_scc0 .LBB231_432
; %bb.431:
	s_wait_xcnt 0x0
	v_cvt_f32_f16_e32 v4, v1
	s_mov_b32 s28, 0
	s_delay_alu instid0(VALU_DEP_1)
	v_cvt_f64_f32_e32 v[4:5], v4
	global_store_b64 v[2:3], v[4:5], off
.LBB231_432:
	s_and_not1_b32 vcc_lo, exec_lo, s28
	s_cbranch_vccnz .LBB231_434
; %bb.433:
	s_wait_xcnt 0x0
	v_cvt_f32_f16_e32 v4, v1
	global_store_b32 v[2:3], v4, off
.LBB231_434:
	s_mov_b32 s28, 0
.LBB231_435:
	s_delay_alu instid0(SALU_CYCLE_1)
	s_and_not1_b32 vcc_lo, exec_lo, s28
	s_cbranch_vccnz .LBB231_437
; %bb.436:
	global_store_b16 v[2:3], v1, off
.LBB231_437:
	s_mov_b32 s28, 0
.LBB231_438:
	s_delay_alu instid0(SALU_CYCLE_1)
	s_and_not1_b32 vcc_lo, exec_lo, s28
	s_cbranch_vccnz .LBB231_454
; %bb.439:
	s_cmp_lt_i32 s27, 2
	s_mov_b32 s28, -1
	s_cbranch_scc1 .LBB231_449
; %bb.440:
	s_cmp_lt_i32 s27, 3
	s_cbranch_scc1 .LBB231_446
; %bb.441:
	s_cmp_gt_i32 s27, 3
	s_cbranch_scc0 .LBB231_443
; %bb.442:
	s_wait_xcnt 0x0
	v_cvt_f32_f16_e32 v4, v1
	s_mov_b32 s28, 0
	s_delay_alu instid0(VALU_DEP_1) | instskip(NEXT) | instid1(VALU_DEP_1)
	v_cvt_i32_f32_e32 v4, v4
	v_ashrrev_i32_e32 v5, 31, v4
	global_store_b64 v[2:3], v[4:5], off
.LBB231_443:
	s_and_not1_b32 vcc_lo, exec_lo, s28
	s_cbranch_vccnz .LBB231_445
; %bb.444:
	s_wait_xcnt 0x0
	v_cvt_f32_f16_e32 v4, v1
	s_delay_alu instid0(VALU_DEP_1)
	v_cvt_i32_f32_e32 v4, v4
	global_store_b32 v[2:3], v4, off
.LBB231_445:
	s_mov_b32 s28, 0
.LBB231_446:
	s_delay_alu instid0(SALU_CYCLE_1)
	s_and_not1_b32 vcc_lo, exec_lo, s28
	s_cbranch_vccnz .LBB231_448
; %bb.447:
	s_wait_xcnt 0x0
	v_cvt_i16_f16_e32 v4, v1
	global_store_b16 v[2:3], v4, off
.LBB231_448:
	s_mov_b32 s28, 0
.LBB231_449:
	s_delay_alu instid0(SALU_CYCLE_1)
	s_and_not1_b32 vcc_lo, exec_lo, s28
	s_cbranch_vccnz .LBB231_454
; %bb.450:
	s_cmp_gt_i32 s27, 0
	s_mov_b32 s27, -1
	s_cbranch_scc0 .LBB231_452
; %bb.451:
	s_wait_xcnt 0x0
	v_cvt_i16_f16_e32 v4, v1
	s_mov_b32 s27, 0
	global_store_b8 v[2:3], v4, off
.LBB231_452:
	s_and_not1_b32 vcc_lo, exec_lo, s27
	s_cbranch_vccnz .LBB231_454
; %bb.453:
	s_wait_xcnt 0x0
	v_cvt_f32_f16_e32 v1, v1
	s_delay_alu instid0(VALU_DEP_1)
	v_cvt_i32_f32_e32 v1, v1
	global_store_b8 v[2:3], v1, off
.LBB231_454:
	s_mov_b32 s29, -1
.LBB231_455:
	s_delay_alu instid0(SALU_CYCLE_1)
	s_and_not1_b32 vcc_lo, exec_lo, s29
	s_cbranch_vccnz .LBB231_457
; %bb.456:
	v_add_nc_u32_e32 v0, 0x80, v0
	s_mov_b32 s27, -1
	s_branch .LBB231_570
.LBB231_457:
	s_mov_b32 s27, 0
	s_branch .LBB231_569
.LBB231_458:
	s_mov_b32 s26, -1
                                        ; implicit-def: $vgpr1
.LBB231_459:
	s_mov_b32 s28, 0
.LBB231_460:
	s_delay_alu instid0(SALU_CYCLE_1)
	s_and_b32 vcc_lo, exec_lo, s28
	s_cbranch_vccz .LBB231_464
; %bb.461:
	s_cmp_eq_u32 s0, 29
	s_cbranch_scc0 .LBB231_463
; %bb.462:
	global_load_b64 v[6:7], v[4:5], off
	s_mov_b32 s27, -1
	s_mov_b32 s26, 0
	s_mov_b32 s28, 0
	s_wait_loadcnt 0x0
	v_clz_i32_u32_e32 v1, v7
	s_delay_alu instid0(VALU_DEP_1) | instskip(NEXT) | instid1(VALU_DEP_1)
	v_min_u32_e32 v1, 32, v1
	v_lshlrev_b64_e32 v[6:7], v1, v[6:7]
	v_sub_nc_u32_e32 v1, 32, v1
	s_delay_alu instid0(VALU_DEP_2) | instskip(NEXT) | instid1(VALU_DEP_1)
	v_min_u32_e32 v3, 1, v6
	v_or_b32_e32 v3, v7, v3
	s_delay_alu instid0(VALU_DEP_1) | instskip(NEXT) | instid1(VALU_DEP_1)
	v_cvt_f32_u32_e32 v3, v3
	v_ldexp_f32 v1, v3, v1
	s_delay_alu instid0(VALU_DEP_1)
	v_cvt_f16_f32_e32 v1, v1
	s_branch .LBB231_465
.LBB231_463:
	s_mov_b32 s26, -1
                                        ; implicit-def: $vgpr1
.LBB231_464:
	s_mov_b32 s28, 0
.LBB231_465:
	s_delay_alu instid0(SALU_CYCLE_1)
	s_and_b32 vcc_lo, exec_lo, s28
	s_cbranch_vccz .LBB231_483
; %bb.466:
	s_cmp_lt_i32 s0, 27
	s_cbranch_scc1 .LBB231_469
; %bb.467:
	s_cmp_gt_i32 s0, 27
	s_cbranch_scc0 .LBB231_470
; %bb.468:
	s_wait_loadcnt 0x0
	global_load_b32 v1, v[4:5], off
	s_mov_b32 s27, 0
	s_wait_loadcnt 0x0
	v_cvt_f32_u32_e32 v1, v1
	s_delay_alu instid0(VALU_DEP_1)
	v_cvt_f16_f32_e32 v1, v1
	s_branch .LBB231_471
.LBB231_469:
	s_mov_b32 s27, -1
                                        ; implicit-def: $vgpr1
	s_branch .LBB231_474
.LBB231_470:
	s_mov_b32 s27, -1
                                        ; implicit-def: $vgpr1
.LBB231_471:
	s_delay_alu instid0(SALU_CYCLE_1)
	s_and_not1_b32 vcc_lo, exec_lo, s27
	s_cbranch_vccnz .LBB231_473
; %bb.472:
	s_wait_loadcnt 0x0
	global_load_u16 v1, v[4:5], off
	s_wait_loadcnt 0x0
	v_cvt_f16_u16_e32 v1, v1
.LBB231_473:
	s_mov_b32 s27, 0
.LBB231_474:
	s_delay_alu instid0(SALU_CYCLE_1)
	s_and_not1_b32 vcc_lo, exec_lo, s27
	s_cbranch_vccnz .LBB231_482
; %bb.475:
	global_load_u8 v3, v[4:5], off
	s_mov_b32 s27, 0
	s_mov_b32 s28, exec_lo
	s_wait_loadcnt 0x0
	v_cmpx_lt_i16_e32 0x7f, v3
	s_xor_b32 s28, exec_lo, s28
	s_cbranch_execz .LBB231_496
; %bb.476:
	s_mov_b32 s27, -1
	s_mov_b32 s29, exec_lo
	v_cmpx_eq_u16_e32 0x80, v3
; %bb.477:
	s_xor_b32 s27, exec_lo, -1
; %bb.478:
	s_or_b32 exec_lo, exec_lo, s29
	s_delay_alu instid0(SALU_CYCLE_1)
	s_and_b32 s27, s27, exec_lo
	s_or_saveexec_b32 s28, s28
	v_mov_b32_e32 v1, 0x7e00
	s_xor_b32 exec_lo, exec_lo, s28
	s_cbranch_execnz .LBB231_497
.LBB231_479:
	s_or_b32 exec_lo, exec_lo, s28
	s_and_saveexec_b32 s28, s27
	s_cbranch_execz .LBB231_481
.LBB231_480:
	v_and_b32_e32 v1, 0xffff, v3
	s_delay_alu instid0(VALU_DEP_1) | instskip(SKIP_1) | instid1(VALU_DEP_2)
	v_and_b32_e32 v6, 7, v1
	v_bfe_u32 v9, v1, 3, 4
	v_clz_i32_u32_e32 v7, v6
	s_delay_alu instid0(VALU_DEP_2) | instskip(NEXT) | instid1(VALU_DEP_2)
	v_cmp_eq_u32_e32 vcc_lo, 0, v9
	v_min_u32_e32 v7, 32, v7
	s_delay_alu instid0(VALU_DEP_1) | instskip(NEXT) | instid1(VALU_DEP_1)
	v_subrev_nc_u32_e32 v8, 28, v7
	v_dual_lshlrev_b32 v1, v8, v1 :: v_dual_sub_nc_u32 v7, 29, v7
	s_delay_alu instid0(VALU_DEP_1) | instskip(NEXT) | instid1(VALU_DEP_1)
	v_dual_lshlrev_b32 v3, 24, v3 :: v_dual_bitop2_b32 v1, 7, v1 bitop3:0x40
	v_dual_cndmask_b32 v1, v6, v1, vcc_lo :: v_dual_cndmask_b32 v7, v9, v7, vcc_lo
	s_delay_alu instid0(VALU_DEP_2) | instskip(NEXT) | instid1(VALU_DEP_2)
	v_and_b32_e32 v3, 0x80000000, v3
	v_lshlrev_b32_e32 v1, 20, v1
	s_delay_alu instid0(VALU_DEP_3) | instskip(NEXT) | instid1(VALU_DEP_1)
	v_lshl_add_u32 v6, v7, 23, 0x3b800000
	v_or3_b32 v1, v3, v6, v1
	s_delay_alu instid0(VALU_DEP_1)
	v_cvt_f16_f32_e32 v1, v1
.LBB231_481:
	s_or_b32 exec_lo, exec_lo, s28
.LBB231_482:
	s_mov_b32 s27, -1
.LBB231_483:
	s_mov_b32 s28, 0
.LBB231_484:
	s_delay_alu instid0(SALU_CYCLE_1)
	s_and_b32 vcc_lo, exec_lo, s28
	s_cbranch_vccz .LBB231_519
; %bb.485:
	s_cmp_gt_i32 s0, 22
	s_cbranch_scc0 .LBB231_495
; %bb.486:
	s_cmp_lt_i32 s0, 24
	s_cbranch_scc1 .LBB231_498
; %bb.487:
	s_cmp_gt_i32 s0, 24
	s_cbranch_scc0 .LBB231_499
; %bb.488:
	global_load_u8 v3, v[4:5], off
	s_mov_b32 s27, 0
	s_mov_b32 s28, exec_lo
	s_wait_loadcnt 0x0
	v_cmpx_lt_i16_e32 0x7f, v3
	s_xor_b32 s28, exec_lo, s28
	s_cbranch_execz .LBB231_511
; %bb.489:
	s_mov_b32 s27, -1
	s_mov_b32 s29, exec_lo
	v_cmpx_eq_u16_e32 0x80, v3
; %bb.490:
	s_xor_b32 s27, exec_lo, -1
; %bb.491:
	s_or_b32 exec_lo, exec_lo, s29
	s_delay_alu instid0(SALU_CYCLE_1)
	s_and_b32 s27, s27, exec_lo
	s_or_saveexec_b32 s28, s28
	v_mov_b32_e32 v1, 0x7e00
	s_xor_b32 exec_lo, exec_lo, s28
	s_cbranch_execnz .LBB231_512
.LBB231_492:
	s_or_b32 exec_lo, exec_lo, s28
	s_and_saveexec_b32 s28, s27
	s_cbranch_execz .LBB231_494
.LBB231_493:
	v_and_b32_e32 v1, 0xffff, v3
	s_delay_alu instid0(VALU_DEP_1) | instskip(SKIP_1) | instid1(VALU_DEP_2)
	v_and_b32_e32 v6, 3, v1
	v_bfe_u32 v9, v1, 2, 5
	v_clz_i32_u32_e32 v7, v6
	s_delay_alu instid0(VALU_DEP_2) | instskip(NEXT) | instid1(VALU_DEP_2)
	v_cmp_eq_u32_e32 vcc_lo, 0, v9
	v_min_u32_e32 v7, 32, v7
	s_delay_alu instid0(VALU_DEP_1) | instskip(NEXT) | instid1(VALU_DEP_1)
	v_subrev_nc_u32_e32 v8, 29, v7
	v_dual_lshlrev_b32 v1, v8, v1 :: v_dual_sub_nc_u32 v7, 30, v7
	s_delay_alu instid0(VALU_DEP_1) | instskip(NEXT) | instid1(VALU_DEP_1)
	v_dual_lshlrev_b32 v3, 24, v3 :: v_dual_bitop2_b32 v1, 3, v1 bitop3:0x40
	v_dual_cndmask_b32 v1, v6, v1, vcc_lo :: v_dual_cndmask_b32 v7, v9, v7, vcc_lo
	s_delay_alu instid0(VALU_DEP_2) | instskip(NEXT) | instid1(VALU_DEP_2)
	v_and_b32_e32 v3, 0x80000000, v3
	v_lshlrev_b32_e32 v1, 21, v1
	s_delay_alu instid0(VALU_DEP_3) | instskip(NEXT) | instid1(VALU_DEP_1)
	v_lshl_add_u32 v6, v7, 23, 0x37800000
	v_or3_b32 v1, v3, v6, v1
	s_delay_alu instid0(VALU_DEP_1)
	v_cvt_f16_f32_e32 v1, v1
.LBB231_494:
	s_or_b32 exec_lo, exec_lo, s28
	s_mov_b32 s27, 0
	s_branch .LBB231_500
.LBB231_495:
	s_mov_b32 s28, -1
                                        ; implicit-def: $vgpr1
	s_branch .LBB231_506
.LBB231_496:
	s_or_saveexec_b32 s28, s28
	v_mov_b32_e32 v1, 0x7e00
	s_xor_b32 exec_lo, exec_lo, s28
	s_cbranch_execz .LBB231_479
.LBB231_497:
	v_cmp_ne_u16_e32 vcc_lo, 0, v3
	v_mov_b32_e32 v1, v3
	s_and_not1_b32 s27, s27, exec_lo
	s_and_b32 s29, vcc_lo, exec_lo
	s_delay_alu instid0(SALU_CYCLE_1)
	s_or_b32 s27, s27, s29
	s_or_b32 exec_lo, exec_lo, s28
	s_and_saveexec_b32 s28, s27
	s_cbranch_execnz .LBB231_480
	s_branch .LBB231_481
.LBB231_498:
	s_mov_b32 s27, -1
                                        ; implicit-def: $vgpr1
	s_branch .LBB231_503
.LBB231_499:
	s_mov_b32 s27, -1
                                        ; implicit-def: $vgpr1
.LBB231_500:
	s_delay_alu instid0(SALU_CYCLE_1)
	s_and_b32 vcc_lo, exec_lo, s27
	s_cbranch_vccz .LBB231_502
; %bb.501:
	s_wait_loadcnt 0x0
	global_load_u8 v1, v[4:5], off
	s_wait_loadcnt 0x0
	v_lshlrev_b32_e32 v1, 24, v1
	s_delay_alu instid0(VALU_DEP_1) | instskip(NEXT) | instid1(VALU_DEP_1)
	v_and_b32_e32 v3, 0x7f000000, v1
	v_clz_i32_u32_e32 v6, v3
	v_cmp_ne_u32_e32 vcc_lo, 0, v3
	v_add_nc_u32_e32 v8, 0x1000000, v3
	s_delay_alu instid0(VALU_DEP_3) | instskip(NEXT) | instid1(VALU_DEP_1)
	v_min_u32_e32 v6, 32, v6
	v_sub_nc_u32_e64 v6, v6, 4 clamp
	s_delay_alu instid0(VALU_DEP_1) | instskip(NEXT) | instid1(VALU_DEP_1)
	v_dual_lshlrev_b32 v7, v6, v3 :: v_dual_lshlrev_b32 v6, 23, v6
	v_lshrrev_b32_e32 v7, 4, v7
	s_delay_alu instid0(VALU_DEP_1) | instskip(NEXT) | instid1(VALU_DEP_1)
	v_dual_sub_nc_u32 v6, v7, v6 :: v_dual_ashrrev_i32 v7, 8, v8
	v_add_nc_u32_e32 v6, 0x3c000000, v6
	s_delay_alu instid0(VALU_DEP_1) | instskip(NEXT) | instid1(VALU_DEP_1)
	v_and_or_b32 v6, 0x7f800000, v7, v6
	v_cndmask_b32_e32 v3, 0, v6, vcc_lo
	s_delay_alu instid0(VALU_DEP_1) | instskip(NEXT) | instid1(VALU_DEP_1)
	v_and_or_b32 v1, 0x80000000, v1, v3
	v_cvt_f16_f32_e32 v1, v1
.LBB231_502:
	s_mov_b32 s27, 0
.LBB231_503:
	s_delay_alu instid0(SALU_CYCLE_1)
	s_and_not1_b32 vcc_lo, exec_lo, s27
	s_cbranch_vccnz .LBB231_505
; %bb.504:
	s_wait_loadcnt 0x0
	global_load_u8 v1, v[4:5], off
	s_wait_loadcnt 0x0
	v_lshlrev_b32_e32 v3, 25, v1
	v_lshlrev_b16 v1, 8, v1
	s_delay_alu instid0(VALU_DEP_1) | instskip(SKIP_1) | instid1(VALU_DEP_2)
	v_and_or_b32 v7, 0x7f00, v1, 0.5
	v_bfe_i32 v1, v1, 0, 16
	v_add_f32_e32 v7, -0.5, v7
	v_lshrrev_b32_e32 v6, 4, v3
	v_cmp_gt_u32_e32 vcc_lo, 0x8000000, v3
	s_delay_alu instid0(VALU_DEP_2) | instskip(NEXT) | instid1(VALU_DEP_1)
	v_or_b32_e32 v6, 0x70000000, v6
	v_mul_f32_e32 v6, 0x7800000, v6
	s_delay_alu instid0(VALU_DEP_1) | instskip(NEXT) | instid1(VALU_DEP_1)
	v_cndmask_b32_e32 v3, v6, v7, vcc_lo
	v_and_or_b32 v1, 0x80000000, v1, v3
	s_delay_alu instid0(VALU_DEP_1)
	v_cvt_f16_f32_e32 v1, v1
.LBB231_505:
	s_mov_b32 s28, 0
	s_mov_b32 s27, -1
.LBB231_506:
	s_and_not1_b32 vcc_lo, exec_lo, s28
	s_cbranch_vccnz .LBB231_519
; %bb.507:
	s_cmp_gt_i32 s0, 14
	s_cbranch_scc0 .LBB231_510
; %bb.508:
	s_cmp_eq_u32 s0, 15
	s_cbranch_scc0 .LBB231_513
; %bb.509:
	s_wait_loadcnt 0x0
	global_load_u16 v1, v[4:5], off
	s_mov_b32 s27, -1
	s_mov_b32 s26, 0
	s_wait_loadcnt 0x0
	v_lshlrev_b32_e32 v1, 16, v1
	s_delay_alu instid0(VALU_DEP_1)
	v_cvt_f16_f32_e32 v1, v1
	s_branch .LBB231_514
.LBB231_510:
	s_mov_b32 s28, -1
                                        ; implicit-def: $vgpr1
	s_branch .LBB231_515
.LBB231_511:
	s_or_saveexec_b32 s28, s28
	v_mov_b32_e32 v1, 0x7e00
	s_xor_b32 exec_lo, exec_lo, s28
	s_cbranch_execz .LBB231_492
.LBB231_512:
	v_cmp_ne_u16_e32 vcc_lo, 0, v3
	v_mov_b32_e32 v1, v3
	s_and_not1_b32 s27, s27, exec_lo
	s_and_b32 s29, vcc_lo, exec_lo
	s_delay_alu instid0(SALU_CYCLE_1)
	s_or_b32 s27, s27, s29
	s_or_b32 exec_lo, exec_lo, s28
	s_and_saveexec_b32 s28, s27
	s_cbranch_execnz .LBB231_493
	s_branch .LBB231_494
.LBB231_513:
	s_mov_b32 s26, -1
                                        ; implicit-def: $vgpr1
.LBB231_514:
	s_mov_b32 s28, 0
.LBB231_515:
	s_delay_alu instid0(SALU_CYCLE_1)
	s_and_b32 vcc_lo, exec_lo, s28
	s_cbranch_vccz .LBB231_519
; %bb.516:
	s_cmp_eq_u32 s0, 11
	s_cbranch_scc0 .LBB231_518
; %bb.517:
	s_wait_loadcnt 0x0
	global_load_u8 v1, v[4:5], off
	s_mov_b32 s26, 0
	s_mov_b32 s27, -1
	s_wait_loadcnt 0x0
	v_cmp_ne_u16_e32 vcc_lo, 0, v1
	v_cndmask_b32_e64 v1, 0, 0x3c00, vcc_lo
	s_branch .LBB231_519
.LBB231_518:
	s_mov_b32 s26, -1
                                        ; implicit-def: $vgpr1
.LBB231_519:
	s_branch .LBB231_308
.LBB231_520:
	s_cmp_lt_i32 s0, 5
	s_cbranch_scc1 .LBB231_525
; %bb.521:
	s_cmp_lt_i32 s0, 8
	s_cbranch_scc1 .LBB231_526
; %bb.522:
	;; [unrolled: 3-line block ×3, first 2 shown]
	s_cmp_gt_i32 s0, 9
	s_cbranch_scc0 .LBB231_528
; %bb.524:
	global_load_b64 v[6:7], v[4:5], off
	s_mov_b32 s27, 0
	s_wait_loadcnt 0x0
	v_and_or_b32 v1, 0x1ff, v7, v6
	v_lshrrev_b32_e32 v3, 8, v7
	v_bfe_u32 v6, v7, 20, 11
	s_delay_alu instid0(VALU_DEP_3) | instskip(NEXT) | instid1(VALU_DEP_2)
	v_cmp_ne_u32_e32 vcc_lo, 0, v1
	v_sub_nc_u32_e32 v8, 0x3f1, v6
	v_add_nc_u32_e32 v6, 0xfffffc10, v6
	v_cndmask_b32_e64 v1, 0, 1, vcc_lo
	s_delay_alu instid0(VALU_DEP_1) | instskip(NEXT) | instid1(VALU_DEP_4)
	v_and_or_b32 v1, 0xffe, v3, v1
	v_med3_i32 v3, v8, 0, 13
	s_delay_alu instid0(VALU_DEP_2) | instskip(NEXT) | instid1(VALU_DEP_1)
	v_or_b32_e32 v8, 0x1000, v1
	v_lshrrev_b32_e32 v9, v3, v8
	s_delay_alu instid0(VALU_DEP_1) | instskip(NEXT) | instid1(VALU_DEP_1)
	v_lshlrev_b32_e32 v3, v3, v9
	v_cmp_ne_u32_e32 vcc_lo, v3, v8
	v_lshl_or_b32 v8, v6, 12, v1
	v_cndmask_b32_e64 v3, 0, 1, vcc_lo
	v_cmp_gt_i32_e32 vcc_lo, 1, v6
	s_delay_alu instid0(VALU_DEP_2) | instskip(NEXT) | instid1(VALU_DEP_1)
	v_or_b32_e32 v3, v9, v3
	v_cndmask_b32_e32 v3, v8, v3, vcc_lo
	s_delay_alu instid0(VALU_DEP_1) | instskip(NEXT) | instid1(VALU_DEP_1)
	v_dual_lshrrev_b32 v3, 2, v3 :: v_dual_bitop2_b32 v8, 7, v3 bitop3:0x40
	v_cmp_lt_i32_e32 vcc_lo, 5, v8
	v_cndmask_b32_e64 v9, 0, 1, vcc_lo
	v_cmp_eq_u32_e32 vcc_lo, 3, v8
	v_cndmask_b32_e64 v8, 0, 1, vcc_lo
	v_cmp_ne_u32_e32 vcc_lo, 0, v1
	s_delay_alu instid0(VALU_DEP_2) | instskip(SKIP_1) | instid1(VALU_DEP_2)
	v_or_b32_e32 v8, v8, v9
	v_mov_b32_e32 v9, 0x7e00
	v_add_nc_u32_e32 v3, v3, v8
	s_delay_alu instid0(VALU_DEP_2) | instskip(SKIP_1) | instid1(VALU_DEP_3)
	v_cndmask_b32_e32 v1, 0x7c00, v9, vcc_lo
	v_cmp_gt_i32_e32 vcc_lo, 31, v6
	v_cndmask_b32_e32 v3, 0x7c00, v3, vcc_lo
	v_cmp_eq_u32_e32 vcc_lo, 0x40f, v6
	s_delay_alu instid0(VALU_DEP_2) | instskip(NEXT) | instid1(VALU_DEP_1)
	v_dual_cndmask_b32 v1, v3, v1, vcc_lo :: v_dual_lshrrev_b32 v3, 16, v7
	v_and_or_b32 v1, 0x8000, v3, v1
	s_branch .LBB231_529
.LBB231_525:
	s_mov_b32 s27, -1
                                        ; implicit-def: $vgpr1
	s_branch .LBB231_547
.LBB231_526:
	s_mov_b32 s27, -1
                                        ; implicit-def: $vgpr1
	s_branch .LBB231_535
.LBB231_527:
	s_mov_b32 s27, -1
                                        ; implicit-def: $vgpr1
	s_branch .LBB231_532
.LBB231_528:
	s_mov_b32 s27, -1
                                        ; implicit-def: $vgpr1
.LBB231_529:
	s_delay_alu instid0(SALU_CYCLE_1)
	s_and_not1_b32 vcc_lo, exec_lo, s27
	s_cbranch_vccnz .LBB231_531
; %bb.530:
	s_wait_loadcnt 0x0
	global_load_b32 v1, v[4:5], off
	s_wait_loadcnt 0x0
	v_cvt_f16_f32_e32 v1, v1
.LBB231_531:
	s_mov_b32 s27, 0
.LBB231_532:
	s_delay_alu instid0(SALU_CYCLE_1)
	s_and_not1_b32 vcc_lo, exec_lo, s27
	s_cbranch_vccnz .LBB231_534
; %bb.533:
	s_wait_loadcnt 0x0
	global_load_b32 v1, v[4:5], off
.LBB231_534:
	s_mov_b32 s27, 0
.LBB231_535:
	s_delay_alu instid0(SALU_CYCLE_1)
	s_and_not1_b32 vcc_lo, exec_lo, s27
	s_cbranch_vccnz .LBB231_546
; %bb.536:
	s_cmp_lt_i32 s0, 6
	s_cbranch_scc1 .LBB231_539
; %bb.537:
	s_cmp_gt_i32 s0, 6
	s_cbranch_scc0 .LBB231_540
; %bb.538:
	global_load_b64 v[6:7], v[4:5], off
	s_mov_b32 s27, 0
	s_wait_loadcnt 0x0
	v_and_or_b32 v1, 0x1ff, v7, v6
	v_lshrrev_b32_e32 v3, 8, v7
	v_bfe_u32 v6, v7, 20, 11
	s_delay_alu instid0(VALU_DEP_3) | instskip(NEXT) | instid1(VALU_DEP_2)
	v_cmp_ne_u32_e32 vcc_lo, 0, v1
	v_sub_nc_u32_e32 v8, 0x3f1, v6
	v_add_nc_u32_e32 v6, 0xfffffc10, v6
	v_cndmask_b32_e64 v1, 0, 1, vcc_lo
	s_delay_alu instid0(VALU_DEP_1) | instskip(NEXT) | instid1(VALU_DEP_4)
	v_and_or_b32 v1, 0xffe, v3, v1
	v_med3_i32 v3, v8, 0, 13
	s_delay_alu instid0(VALU_DEP_2) | instskip(NEXT) | instid1(VALU_DEP_1)
	v_or_b32_e32 v8, 0x1000, v1
	v_lshrrev_b32_e32 v9, v3, v8
	s_delay_alu instid0(VALU_DEP_1) | instskip(NEXT) | instid1(VALU_DEP_1)
	v_lshlrev_b32_e32 v3, v3, v9
	v_cmp_ne_u32_e32 vcc_lo, v3, v8
	v_lshl_or_b32 v8, v6, 12, v1
	v_cndmask_b32_e64 v3, 0, 1, vcc_lo
	v_cmp_gt_i32_e32 vcc_lo, 1, v6
	s_delay_alu instid0(VALU_DEP_2) | instskip(NEXT) | instid1(VALU_DEP_1)
	v_or_b32_e32 v3, v9, v3
	v_cndmask_b32_e32 v3, v8, v3, vcc_lo
	s_delay_alu instid0(VALU_DEP_1) | instskip(NEXT) | instid1(VALU_DEP_1)
	v_dual_lshrrev_b32 v3, 2, v3 :: v_dual_bitop2_b32 v8, 7, v3 bitop3:0x40
	v_cmp_lt_i32_e32 vcc_lo, 5, v8
	v_cndmask_b32_e64 v9, 0, 1, vcc_lo
	v_cmp_eq_u32_e32 vcc_lo, 3, v8
	v_cndmask_b32_e64 v8, 0, 1, vcc_lo
	v_cmp_ne_u32_e32 vcc_lo, 0, v1
	s_delay_alu instid0(VALU_DEP_2) | instskip(SKIP_1) | instid1(VALU_DEP_2)
	v_or_b32_e32 v8, v8, v9
	v_mov_b32_e32 v9, 0x7e00
	v_add_nc_u32_e32 v3, v3, v8
	s_delay_alu instid0(VALU_DEP_2) | instskip(SKIP_1) | instid1(VALU_DEP_3)
	v_cndmask_b32_e32 v1, 0x7c00, v9, vcc_lo
	v_cmp_gt_i32_e32 vcc_lo, 31, v6
	v_cndmask_b32_e32 v3, 0x7c00, v3, vcc_lo
	v_cmp_eq_u32_e32 vcc_lo, 0x40f, v6
	s_delay_alu instid0(VALU_DEP_2) | instskip(NEXT) | instid1(VALU_DEP_1)
	v_dual_cndmask_b32 v1, v3, v1, vcc_lo :: v_dual_lshrrev_b32 v3, 16, v7
	v_and_or_b32 v1, 0x8000, v3, v1
	s_branch .LBB231_541
.LBB231_539:
	s_mov_b32 s27, -1
                                        ; implicit-def: $vgpr1
	s_branch .LBB231_544
.LBB231_540:
	s_mov_b32 s27, -1
                                        ; implicit-def: $vgpr1
.LBB231_541:
	s_delay_alu instid0(SALU_CYCLE_1)
	s_and_not1_b32 vcc_lo, exec_lo, s27
	s_cbranch_vccnz .LBB231_543
; %bb.542:
	s_wait_loadcnt 0x0
	global_load_b32 v1, v[4:5], off
	s_wait_loadcnt 0x0
	v_cvt_f16_f32_e32 v1, v1
.LBB231_543:
	s_mov_b32 s27, 0
.LBB231_544:
	s_delay_alu instid0(SALU_CYCLE_1)
	s_and_not1_b32 vcc_lo, exec_lo, s27
	s_cbranch_vccnz .LBB231_546
; %bb.545:
	s_wait_loadcnt 0x0
	global_load_u16 v1, v[4:5], off
.LBB231_546:
	s_mov_b32 s27, 0
.LBB231_547:
	s_delay_alu instid0(SALU_CYCLE_1)
	s_and_not1_b32 vcc_lo, exec_lo, s27
	s_cbranch_vccnz .LBB231_567
; %bb.548:
	s_cmp_lt_i32 s0, 2
	s_cbranch_scc1 .LBB231_552
; %bb.549:
	s_cmp_lt_i32 s0, 3
	s_cbranch_scc1 .LBB231_553
; %bb.550:
	s_cmp_gt_i32 s0, 3
	s_cbranch_scc0 .LBB231_554
; %bb.551:
	global_load_b64 v[6:7], v[4:5], off
	s_mov_b32 s27, 0
	s_wait_loadcnt 0x0
	v_xor_b32_e32 v1, v6, v7
	v_cls_i32_e32 v3, v7
	s_delay_alu instid0(VALU_DEP_2) | instskip(NEXT) | instid1(VALU_DEP_1)
	v_ashrrev_i32_e32 v1, 31, v1
	v_add_nc_u32_e32 v1, 32, v1
	s_delay_alu instid0(VALU_DEP_1) | instskip(NEXT) | instid1(VALU_DEP_1)
	v_add_min_u32_e64 v1, v3, -1, v1
	v_lshlrev_b64_e32 v[6:7], v1, v[6:7]
	v_sub_nc_u32_e32 v1, 32, v1
	s_delay_alu instid0(VALU_DEP_2) | instskip(NEXT) | instid1(VALU_DEP_1)
	v_min_u32_e32 v3, 1, v6
	v_or_b32_e32 v3, v7, v3
	s_delay_alu instid0(VALU_DEP_1) | instskip(NEXT) | instid1(VALU_DEP_1)
	v_cvt_f32_i32_e32 v3, v3
	v_ldexp_f32 v1, v3, v1
	s_delay_alu instid0(VALU_DEP_1)
	v_cvt_f16_f32_e32 v1, v1
	s_branch .LBB231_555
.LBB231_552:
	s_mov_b32 s27, -1
                                        ; implicit-def: $vgpr1
	s_branch .LBB231_561
.LBB231_553:
	s_mov_b32 s27, -1
                                        ; implicit-def: $vgpr1
	s_branch .LBB231_558
.LBB231_554:
	s_mov_b32 s27, -1
                                        ; implicit-def: $vgpr1
.LBB231_555:
	s_delay_alu instid0(SALU_CYCLE_1)
	s_and_not1_b32 vcc_lo, exec_lo, s27
	s_cbranch_vccnz .LBB231_557
; %bb.556:
	s_wait_loadcnt 0x0
	global_load_b32 v1, v[4:5], off
	s_wait_loadcnt 0x0
	v_cvt_f32_i32_e32 v1, v1
	s_delay_alu instid0(VALU_DEP_1)
	v_cvt_f16_f32_e32 v1, v1
.LBB231_557:
	s_mov_b32 s27, 0
.LBB231_558:
	s_delay_alu instid0(SALU_CYCLE_1)
	s_and_not1_b32 vcc_lo, exec_lo, s27
	s_cbranch_vccnz .LBB231_560
; %bb.559:
	s_wait_loadcnt 0x0
	global_load_u16 v1, v[4:5], off
	s_wait_loadcnt 0x0
	v_cvt_f16_i16_e32 v1, v1
.LBB231_560:
	s_mov_b32 s27, 0
.LBB231_561:
	s_delay_alu instid0(SALU_CYCLE_1)
	s_and_not1_b32 vcc_lo, exec_lo, s27
	s_cbranch_vccnz .LBB231_567
; %bb.562:
	s_cmp_gt_i32 s0, 0
	s_mov_b32 s0, 0
	s_cbranch_scc0 .LBB231_564
; %bb.563:
	s_wait_loadcnt 0x0
	global_load_i8 v1, v[4:5], off
	s_wait_loadcnt 0x0
	v_cvt_f16_i16_e32 v1, v1
	s_branch .LBB231_565
.LBB231_564:
	s_mov_b32 s0, -1
                                        ; implicit-def: $vgpr1
.LBB231_565:
	s_delay_alu instid0(SALU_CYCLE_1)
	s_and_not1_b32 vcc_lo, exec_lo, s0
	s_cbranch_vccnz .LBB231_567
; %bb.566:
	s_wait_loadcnt 0x0
	global_load_u8 v1, v[4:5], off
	s_wait_loadcnt 0x0
	v_cvt_f16_u16_e32 v1, v1
.LBB231_567:
	s_branch .LBB231_309
.LBB231_568:
	s_mov_b32 s27, 0
	s_mov_b32 s0, s42
.LBB231_569:
                                        ; implicit-def: $vgpr0
.LBB231_570:
	s_and_not1_b32 s28, s42, exec_lo
	s_and_b32 s0, s0, exec_lo
	s_and_not1_b32 s29, s43, exec_lo
	s_and_b32 s26, s26, exec_lo
	s_or_b32 s46, s28, s0
	s_or_b32 s45, s29, s26
	s_or_not1_b32 s0, s27, exec_lo
.LBB231_571:
	s_wait_xcnt 0x0
	s_or_b32 exec_lo, exec_lo, s47
	s_mov_b32 s27, 0
	s_mov_b32 s26, 0
	;; [unrolled: 1-line block ×3, first 2 shown]
                                        ; implicit-def: $vgpr4_vgpr5
                                        ; implicit-def: $vgpr2
                                        ; implicit-def: $vgpr6
	s_and_saveexec_b32 s47, s0
	s_cbranch_execz .LBB231_965
; %bb.572:
	s_mov_b32 s29, -1
	s_mov_b32 s0, s45
	s_mov_b32 s30, s46
	s_mov_b32 s48, exec_lo
	v_cmpx_gt_i32_e64 s39, v0
	s_cbranch_execz .LBB231_862
; %bb.573:
	s_and_not1_b32 vcc_lo, exec_lo, s36
	s_cbranch_vccnz .LBB231_579
; %bb.574:
	s_and_not1_b32 vcc_lo, exec_lo, s41
	s_cbranch_vccnz .LBB231_580
; %bb.575:
	s_add_co_i32 s0, s40, 1
	s_cmp_eq_u32 s34, 2
	s_cbranch_scc1 .LBB231_581
; %bb.576:
	v_dual_mov_b32 v2, 0 :: v_dual_mov_b32 v4, 0
	s_wait_loadcnt 0x0
	v_mov_b32_e32 v1, v0
	s_and_b32 s26, s0, 28
	s_mov_b64 s[28:29], s[2:3]
	s_mov_b64 s[30:31], s[24:25]
.LBB231_577:                            ; =>This Inner Loop Header: Depth=1
	s_clause 0x1
	s_load_b256 s[52:59], s[28:29], 0x4
	s_load_b128 s[68:71], s[28:29], 0x24
	s_load_b256 s[60:67], s[30:31], 0x0
	s_add_co_i32 s27, s27, 4
	s_wait_xcnt 0x0
	s_add_nc_u64 s[28:29], s[28:29], 48
	s_cmp_eq_u32 s26, s27
	s_add_nc_u64 s[30:31], s[30:31], 32
	s_wait_kmcnt 0x0
	v_mul_hi_u32 v3, s53, v1
	s_delay_alu instid0(VALU_DEP_1) | instskip(NEXT) | instid1(VALU_DEP_1)
	v_add_nc_u32_e32 v3, v1, v3
	v_lshrrev_b32_e32 v3, s54, v3
	s_delay_alu instid0(VALU_DEP_1) | instskip(NEXT) | instid1(VALU_DEP_1)
	v_mul_hi_u32 v5, s56, v3
	v_add_nc_u32_e32 v5, v3, v5
	s_delay_alu instid0(VALU_DEP_1) | instskip(NEXT) | instid1(VALU_DEP_1)
	v_lshrrev_b32_e32 v5, s57, v5
	v_mul_hi_u32 v6, s59, v5
	s_delay_alu instid0(VALU_DEP_1) | instskip(SKIP_1) | instid1(VALU_DEP_1)
	v_add_nc_u32_e32 v6, v5, v6
	v_mul_lo_u32 v7, v3, s52
	v_sub_nc_u32_e32 v1, v1, v7
	v_mul_lo_u32 v7, v5, s55
	s_delay_alu instid0(VALU_DEP_4) | instskip(NEXT) | instid1(VALU_DEP_3)
	v_lshrrev_b32_e32 v6, s68, v6
	v_mad_u32 v4, v1, s61, v4
	v_mad_u32 v1, v1, s60, v2
	s_delay_alu instid0(VALU_DEP_4) | instskip(NEXT) | instid1(VALU_DEP_4)
	v_sub_nc_u32_e32 v2, v3, v7
	v_mul_hi_u32 v8, s70, v6
	v_mul_lo_u32 v3, v6, s58
	s_delay_alu instid0(VALU_DEP_3) | instskip(SKIP_1) | instid1(VALU_DEP_3)
	v_mad_u32 v4, v2, s63, v4
	v_mad_u32 v2, v2, s62, v1
	v_dual_add_nc_u32 v7, v6, v8 :: v_dual_sub_nc_u32 v3, v5, v3
	s_delay_alu instid0(VALU_DEP_1) | instskip(NEXT) | instid1(VALU_DEP_2)
	v_lshrrev_b32_e32 v1, s71, v7
	v_mad_u32 v4, v3, s65, v4
	s_delay_alu instid0(VALU_DEP_4) | instskip(NEXT) | instid1(VALU_DEP_3)
	v_mad_u32 v2, v3, s64, v2
	v_mul_lo_u32 v5, v1, s69
	s_delay_alu instid0(VALU_DEP_1) | instskip(NEXT) | instid1(VALU_DEP_1)
	v_sub_nc_u32_e32 v3, v6, v5
	v_mad_u32 v4, v3, s67, v4
	s_delay_alu instid0(VALU_DEP_4)
	v_mad_u32 v2, v3, s66, v2
	s_cbranch_scc0 .LBB231_577
; %bb.578:
	s_delay_alu instid0(VALU_DEP_2)
	v_mov_b32_e32 v3, v4
	s_branch .LBB231_582
.LBB231_579:
	s_mov_b32 s0, -1
                                        ; implicit-def: $vgpr4
                                        ; implicit-def: $vgpr2
	s_branch .LBB231_587
.LBB231_580:
	v_dual_mov_b32 v4, 0 :: v_dual_mov_b32 v2, 0
	s_branch .LBB231_586
.LBB231_581:
	v_mov_b64_e32 v[2:3], 0
	s_wait_loadcnt 0x0
	v_mov_b32_e32 v1, v0
                                        ; implicit-def: $vgpr4
.LBB231_582:
	s_and_b32 s0, s0, 3
	s_mov_b32 s27, 0
	s_cmp_eq_u32 s0, 0
	s_cbranch_scc1 .LBB231_586
; %bb.583:
	s_lshl_b32 s28, s26, 3
	s_mov_b32 s29, s27
	s_mul_u64 s[30:31], s[26:27], 12
	s_add_nc_u64 s[28:29], s[2:3], s[28:29]
	s_delay_alu instid0(SALU_CYCLE_1)
	s_add_nc_u64 s[26:27], s[28:29], 0xc4
	s_add_nc_u64 s[28:29], s[2:3], s[30:31]
.LBB231_584:                            ; =>This Inner Loop Header: Depth=1
	s_load_b96 s[52:54], s[28:29], 0x4
	s_load_b64 s[30:31], s[26:27], 0x0
	s_add_co_i32 s0, s0, -1
	s_wait_xcnt 0x0
	s_add_nc_u64 s[28:29], s[28:29], 12
	s_cmp_lg_u32 s0, 0
	s_add_nc_u64 s[26:27], s[26:27], 8
	s_wait_kmcnt 0x0
	v_mul_hi_u32 v4, s53, v1
	s_delay_alu instid0(VALU_DEP_1) | instskip(NEXT) | instid1(VALU_DEP_1)
	v_add_nc_u32_e32 v4, v1, v4
	v_lshrrev_b32_e32 v4, s54, v4
	s_delay_alu instid0(VALU_DEP_1) | instskip(NEXT) | instid1(VALU_DEP_1)
	v_mul_lo_u32 v5, v4, s52
	v_sub_nc_u32_e32 v1, v1, v5
	s_delay_alu instid0(VALU_DEP_1)
	v_mad_u32 v3, v1, s31, v3
	v_mad_u32 v2, v1, s30, v2
	v_mov_b32_e32 v1, v4
	s_cbranch_scc1 .LBB231_584
; %bb.585:
	s_delay_alu instid0(VALU_DEP_3)
	v_mov_b32_e32 v4, v3
.LBB231_586:
	s_mov_b32 s0, 0
.LBB231_587:
	s_delay_alu instid0(SALU_CYCLE_1)
	s_and_not1_b32 vcc_lo, exec_lo, s0
	s_cbranch_vccnz .LBB231_590
; %bb.588:
	s_wait_loadcnt 0x0
	v_mov_b32_e32 v1, 0
	s_and_not1_b32 vcc_lo, exec_lo, s38
	s_delay_alu instid0(VALU_DEP_1) | instskip(NEXT) | instid1(VALU_DEP_1)
	v_mul_u64_e32 v[2:3], s[20:21], v[0:1]
	v_add_nc_u32_e32 v2, v0, v3
	s_delay_alu instid0(VALU_DEP_1) | instskip(NEXT) | instid1(VALU_DEP_1)
	v_lshrrev_b32_e32 v6, s14, v2
	v_mul_lo_u32 v2, v6, s12
	s_delay_alu instid0(VALU_DEP_1) | instskip(NEXT) | instid1(VALU_DEP_1)
	v_sub_nc_u32_e32 v2, v0, v2
	v_mul_lo_u32 v4, v2, s17
	v_mul_lo_u32 v2, v2, s16
	s_cbranch_vccnz .LBB231_590
; %bb.589:
	v_mov_b32_e32 v7, v1
	s_delay_alu instid0(VALU_DEP_1) | instskip(NEXT) | instid1(VALU_DEP_1)
	v_mul_u64_e32 v[8:9], s[22:23], v[6:7]
	v_add_nc_u32_e32 v1, v6, v9
	s_delay_alu instid0(VALU_DEP_1) | instskip(NEXT) | instid1(VALU_DEP_1)
	v_lshrrev_b32_e32 v1, s1, v1
	v_mul_lo_u32 v1, v1, s15
	s_delay_alu instid0(VALU_DEP_1) | instskip(NEXT) | instid1(VALU_DEP_1)
	v_sub_nc_u32_e32 v1, v6, v1
	v_mad_u32 v2, v1, s18, v2
	v_mad_u32 v4, v1, s19, v4
.LBB231_590:
	v_mov_b32_e32 v5, 0
	s_and_b32 s0, 0xffff, s13
	s_delay_alu instid0(SALU_CYCLE_1) | instskip(NEXT) | instid1(VALU_DEP_1)
	s_cmp_lt_i32 s0, 11
	v_add_nc_u64_e32 v[4:5], s[6:7], v[4:5]
	s_cbranch_scc1 .LBB231_597
; %bb.591:
	s_cmp_gt_i32 s0, 25
	s_cbranch_scc0 .LBB231_598
; %bb.592:
	s_cmp_gt_i32 s0, 28
	s_cbranch_scc0 .LBB231_599
	;; [unrolled: 3-line block ×4, first 2 shown]
; %bb.595:
	s_cmp_eq_u32 s0, 46
	s_mov_b32 s28, 0
	s_cbranch_scc0 .LBB231_606
; %bb.596:
	s_wait_loadcnt 0x0
	global_load_b32 v1, v[4:5], off
	s_mov_b32 s27, -1
	s_mov_b32 s26, 0
	s_wait_loadcnt 0x0
	v_lshlrev_b32_e32 v1, 16, v1
	s_delay_alu instid0(VALU_DEP_1)
	v_cvt_f16_f32_e32 v1, v1
	s_branch .LBB231_608
.LBB231_597:
	s_mov_b32 s28, -1
	s_mov_b32 s27, 0
	s_mov_b32 s26, s45
                                        ; implicit-def: $vgpr1
	s_branch .LBB231_673
.LBB231_598:
	s_mov_b32 s28, -1
	s_mov_b32 s27, 0
	s_mov_b32 s26, s45
                                        ; implicit-def: $vgpr1
	s_branch .LBB231_637
.LBB231_599:
	s_mov_b32 s28, -1
	s_mov_b32 s27, 0
	s_mov_b32 s26, s45
                                        ; implicit-def: $vgpr1
	s_branch .LBB231_618
.LBB231_600:
	s_mov_b32 s28, -1
	s_mov_b32 s27, 0
	s_mov_b32 s26, s45
                                        ; implicit-def: $vgpr1
	s_branch .LBB231_613
.LBB231_601:
	s_and_not1_saveexec_b32 s31, s31
	s_cbranch_execz .LBB231_368
.LBB231_602:
	v_add_f32_e64 v5, 0x46000000, |v4|
	s_and_not1_b32 s30, s30, exec_lo
	s_delay_alu instid0(VALU_DEP_1) | instskip(NEXT) | instid1(VALU_DEP_1)
	v_and_b32_e32 v5, 0xff, v5
	v_cmp_ne_u32_e32 vcc_lo, 0, v5
	s_and_b32 s45, vcc_lo, exec_lo
	s_delay_alu instid0(SALU_CYCLE_1)
	s_or_b32 s30, s30, s45
	s_or_b32 exec_lo, exec_lo, s31
	v_mov_b32_e32 v6, 0
	s_and_saveexec_b32 s31, s30
	s_cbranch_execnz .LBB231_369
	s_branch .LBB231_370
.LBB231_603:
	s_mov_b32 s28, -1
	s_mov_b32 s27, 0
	s_mov_b32 s26, s45
	s_branch .LBB231_607
.LBB231_604:
	s_and_not1_saveexec_b32 s31, s31
	s_cbranch_execz .LBB231_381
.LBB231_605:
	v_add_f32_e64 v5, 0x42800000, |v4|
	s_and_not1_b32 s30, s30, exec_lo
	s_delay_alu instid0(VALU_DEP_1) | instskip(NEXT) | instid1(VALU_DEP_1)
	v_and_b32_e32 v5, 0xff, v5
	v_cmp_ne_u32_e32 vcc_lo, 0, v5
	s_and_b32 s45, vcc_lo, exec_lo
	s_delay_alu instid0(SALU_CYCLE_1)
	s_or_b32 s30, s30, s45
	s_or_b32 exec_lo, exec_lo, s31
	v_mov_b32_e32 v6, 0
	s_and_saveexec_b32 s31, s30
	s_cbranch_execnz .LBB231_382
	s_branch .LBB231_383
.LBB231_606:
	s_mov_b32 s26, -1
	s_mov_b32 s27, 0
.LBB231_607:
                                        ; implicit-def: $vgpr1
.LBB231_608:
	s_and_b32 vcc_lo, exec_lo, s28
	s_cbranch_vccz .LBB231_612
; %bb.609:
	s_cmp_eq_u32 s0, 44
	s_cbranch_scc0 .LBB231_611
; %bb.610:
	s_wait_loadcnt 0x0
	global_load_u8 v1, v[4:5], off
	s_mov_b32 s26, 0
	s_mov_b32 s27, -1
	s_wait_loadcnt 0x0
	v_lshlrev_b32_e32 v3, 23, v1
	v_cmp_ne_u32_e32 vcc_lo, 0xff, v1
	s_delay_alu instid0(VALU_DEP_2) | instskip(NEXT) | instid1(VALU_DEP_1)
	v_cvt_f16_f32_e32 v3, v3
	v_cndmask_b32_e32 v3, 0x7e00, v3, vcc_lo
	v_cmp_ne_u32_e32 vcc_lo, 0, v1
	s_delay_alu instid0(VALU_DEP_2)
	v_cndmask_b32_e32 v1, 0, v3, vcc_lo
	s_branch .LBB231_612
.LBB231_611:
	s_mov_b32 s26, -1
                                        ; implicit-def: $vgpr1
.LBB231_612:
	s_mov_b32 s28, 0
.LBB231_613:
	s_delay_alu instid0(SALU_CYCLE_1)
	s_and_b32 vcc_lo, exec_lo, s28
	s_cbranch_vccz .LBB231_617
; %bb.614:
	s_cmp_eq_u32 s0, 29
	s_cbranch_scc0 .LBB231_616
; %bb.615:
	global_load_b64 v[6:7], v[4:5], off
	s_mov_b32 s27, -1
	s_mov_b32 s26, 0
	s_mov_b32 s28, 0
	s_wait_loadcnt 0x0
	v_clz_i32_u32_e32 v1, v7
	s_delay_alu instid0(VALU_DEP_1) | instskip(NEXT) | instid1(VALU_DEP_1)
	v_min_u32_e32 v1, 32, v1
	v_lshlrev_b64_e32 v[6:7], v1, v[6:7]
	v_sub_nc_u32_e32 v1, 32, v1
	s_delay_alu instid0(VALU_DEP_2) | instskip(NEXT) | instid1(VALU_DEP_1)
	v_min_u32_e32 v3, 1, v6
	v_or_b32_e32 v3, v7, v3
	s_delay_alu instid0(VALU_DEP_1) | instskip(NEXT) | instid1(VALU_DEP_1)
	v_cvt_f32_u32_e32 v3, v3
	v_ldexp_f32 v1, v3, v1
	s_delay_alu instid0(VALU_DEP_1)
	v_cvt_f16_f32_e32 v1, v1
	s_branch .LBB231_618
.LBB231_616:
	s_mov_b32 s26, -1
                                        ; implicit-def: $vgpr1
.LBB231_617:
	s_mov_b32 s28, 0
.LBB231_618:
	s_delay_alu instid0(SALU_CYCLE_1)
	s_and_b32 vcc_lo, exec_lo, s28
	s_cbranch_vccz .LBB231_636
; %bb.619:
	s_cmp_lt_i32 s0, 27
	s_cbranch_scc1 .LBB231_622
; %bb.620:
	s_cmp_gt_i32 s0, 27
	s_cbranch_scc0 .LBB231_623
; %bb.621:
	s_wait_loadcnt 0x0
	global_load_b32 v1, v[4:5], off
	s_mov_b32 s27, 0
	s_wait_loadcnt 0x0
	v_cvt_f32_u32_e32 v1, v1
	s_delay_alu instid0(VALU_DEP_1)
	v_cvt_f16_f32_e32 v1, v1
	s_branch .LBB231_624
.LBB231_622:
	s_mov_b32 s27, -1
                                        ; implicit-def: $vgpr1
	s_branch .LBB231_627
.LBB231_623:
	s_mov_b32 s27, -1
                                        ; implicit-def: $vgpr1
.LBB231_624:
	s_delay_alu instid0(SALU_CYCLE_1)
	s_and_not1_b32 vcc_lo, exec_lo, s27
	s_cbranch_vccnz .LBB231_626
; %bb.625:
	s_wait_loadcnt 0x0
	global_load_u16 v1, v[4:5], off
	s_wait_loadcnt 0x0
	v_cvt_f16_u16_e32 v1, v1
.LBB231_626:
	s_mov_b32 s27, 0
.LBB231_627:
	s_delay_alu instid0(SALU_CYCLE_1)
	s_and_not1_b32 vcc_lo, exec_lo, s27
	s_cbranch_vccnz .LBB231_635
; %bb.628:
	global_load_u8 v3, v[4:5], off
	s_mov_b32 s27, 0
	s_mov_b32 s28, exec_lo
	s_wait_loadcnt 0x0
	v_cmpx_lt_i16_e32 0x7f, v3
	s_xor_b32 s28, exec_lo, s28
	s_cbranch_execz .LBB231_649
; %bb.629:
	s_mov_b32 s27, -1
	s_mov_b32 s29, exec_lo
	v_cmpx_eq_u16_e32 0x80, v3
; %bb.630:
	s_xor_b32 s27, exec_lo, -1
; %bb.631:
	s_or_b32 exec_lo, exec_lo, s29
	s_delay_alu instid0(SALU_CYCLE_1)
	s_and_b32 s27, s27, exec_lo
	s_or_saveexec_b32 s28, s28
	v_mov_b32_e32 v1, 0x7e00
	s_xor_b32 exec_lo, exec_lo, s28
	s_cbranch_execnz .LBB231_650
.LBB231_632:
	s_or_b32 exec_lo, exec_lo, s28
	s_and_saveexec_b32 s28, s27
	s_cbranch_execz .LBB231_634
.LBB231_633:
	v_and_b32_e32 v1, 0xffff, v3
	s_delay_alu instid0(VALU_DEP_1) | instskip(SKIP_1) | instid1(VALU_DEP_2)
	v_and_b32_e32 v6, 7, v1
	v_bfe_u32 v9, v1, 3, 4
	v_clz_i32_u32_e32 v7, v6
	s_delay_alu instid0(VALU_DEP_2) | instskip(NEXT) | instid1(VALU_DEP_2)
	v_cmp_eq_u32_e32 vcc_lo, 0, v9
	v_min_u32_e32 v7, 32, v7
	s_delay_alu instid0(VALU_DEP_1) | instskip(NEXT) | instid1(VALU_DEP_1)
	v_subrev_nc_u32_e32 v8, 28, v7
	v_dual_lshlrev_b32 v1, v8, v1 :: v_dual_sub_nc_u32 v7, 29, v7
	s_delay_alu instid0(VALU_DEP_1) | instskip(NEXT) | instid1(VALU_DEP_1)
	v_dual_lshlrev_b32 v3, 24, v3 :: v_dual_bitop2_b32 v1, 7, v1 bitop3:0x40
	v_dual_cndmask_b32 v1, v6, v1, vcc_lo :: v_dual_cndmask_b32 v7, v9, v7, vcc_lo
	s_delay_alu instid0(VALU_DEP_2) | instskip(NEXT) | instid1(VALU_DEP_2)
	v_and_b32_e32 v3, 0x80000000, v3
	v_lshlrev_b32_e32 v1, 20, v1
	s_delay_alu instid0(VALU_DEP_3) | instskip(NEXT) | instid1(VALU_DEP_1)
	v_lshl_add_u32 v6, v7, 23, 0x3b800000
	v_or3_b32 v1, v3, v6, v1
	s_delay_alu instid0(VALU_DEP_1)
	v_cvt_f16_f32_e32 v1, v1
.LBB231_634:
	s_or_b32 exec_lo, exec_lo, s28
.LBB231_635:
	s_mov_b32 s27, -1
.LBB231_636:
	s_mov_b32 s28, 0
.LBB231_637:
	s_delay_alu instid0(SALU_CYCLE_1)
	s_and_b32 vcc_lo, exec_lo, s28
	s_cbranch_vccz .LBB231_672
; %bb.638:
	s_cmp_gt_i32 s0, 22
	s_cbranch_scc0 .LBB231_648
; %bb.639:
	s_cmp_lt_i32 s0, 24
	s_cbranch_scc1 .LBB231_651
; %bb.640:
	s_cmp_gt_i32 s0, 24
	s_cbranch_scc0 .LBB231_652
; %bb.641:
	global_load_u8 v3, v[4:5], off
	s_mov_b32 s27, 0
	s_mov_b32 s28, exec_lo
	s_wait_loadcnt 0x0
	v_cmpx_lt_i16_e32 0x7f, v3
	s_xor_b32 s28, exec_lo, s28
	s_cbranch_execz .LBB231_664
; %bb.642:
	s_mov_b32 s27, -1
	s_mov_b32 s29, exec_lo
	v_cmpx_eq_u16_e32 0x80, v3
; %bb.643:
	s_xor_b32 s27, exec_lo, -1
; %bb.644:
	s_or_b32 exec_lo, exec_lo, s29
	s_delay_alu instid0(SALU_CYCLE_1)
	s_and_b32 s27, s27, exec_lo
	s_or_saveexec_b32 s28, s28
	v_mov_b32_e32 v1, 0x7e00
	s_xor_b32 exec_lo, exec_lo, s28
	s_cbranch_execnz .LBB231_665
.LBB231_645:
	s_or_b32 exec_lo, exec_lo, s28
	s_and_saveexec_b32 s28, s27
	s_cbranch_execz .LBB231_647
.LBB231_646:
	v_and_b32_e32 v1, 0xffff, v3
	s_delay_alu instid0(VALU_DEP_1) | instskip(SKIP_1) | instid1(VALU_DEP_2)
	v_and_b32_e32 v6, 3, v1
	v_bfe_u32 v9, v1, 2, 5
	v_clz_i32_u32_e32 v7, v6
	s_delay_alu instid0(VALU_DEP_2) | instskip(NEXT) | instid1(VALU_DEP_2)
	v_cmp_eq_u32_e32 vcc_lo, 0, v9
	v_min_u32_e32 v7, 32, v7
	s_delay_alu instid0(VALU_DEP_1) | instskip(NEXT) | instid1(VALU_DEP_1)
	v_subrev_nc_u32_e32 v8, 29, v7
	v_dual_lshlrev_b32 v1, v8, v1 :: v_dual_sub_nc_u32 v7, 30, v7
	s_delay_alu instid0(VALU_DEP_1) | instskip(NEXT) | instid1(VALU_DEP_1)
	v_dual_lshlrev_b32 v3, 24, v3 :: v_dual_bitop2_b32 v1, 3, v1 bitop3:0x40
	v_dual_cndmask_b32 v1, v6, v1, vcc_lo :: v_dual_cndmask_b32 v7, v9, v7, vcc_lo
	s_delay_alu instid0(VALU_DEP_2) | instskip(NEXT) | instid1(VALU_DEP_2)
	v_and_b32_e32 v3, 0x80000000, v3
	v_lshlrev_b32_e32 v1, 21, v1
	s_delay_alu instid0(VALU_DEP_3) | instskip(NEXT) | instid1(VALU_DEP_1)
	v_lshl_add_u32 v6, v7, 23, 0x37800000
	v_or3_b32 v1, v3, v6, v1
	s_delay_alu instid0(VALU_DEP_1)
	v_cvt_f16_f32_e32 v1, v1
.LBB231_647:
	s_or_b32 exec_lo, exec_lo, s28
	s_mov_b32 s27, 0
	s_branch .LBB231_653
.LBB231_648:
	s_mov_b32 s28, -1
                                        ; implicit-def: $vgpr1
	s_branch .LBB231_659
.LBB231_649:
	s_or_saveexec_b32 s28, s28
	v_mov_b32_e32 v1, 0x7e00
	s_xor_b32 exec_lo, exec_lo, s28
	s_cbranch_execz .LBB231_632
.LBB231_650:
	v_cmp_ne_u16_e32 vcc_lo, 0, v3
	v_mov_b32_e32 v1, v3
	s_and_not1_b32 s27, s27, exec_lo
	s_and_b32 s29, vcc_lo, exec_lo
	s_delay_alu instid0(SALU_CYCLE_1)
	s_or_b32 s27, s27, s29
	s_or_b32 exec_lo, exec_lo, s28
	s_and_saveexec_b32 s28, s27
	s_cbranch_execnz .LBB231_633
	s_branch .LBB231_634
.LBB231_651:
	s_mov_b32 s27, -1
                                        ; implicit-def: $vgpr1
	s_branch .LBB231_656
.LBB231_652:
	s_mov_b32 s27, -1
                                        ; implicit-def: $vgpr1
.LBB231_653:
	s_delay_alu instid0(SALU_CYCLE_1)
	s_and_b32 vcc_lo, exec_lo, s27
	s_cbranch_vccz .LBB231_655
; %bb.654:
	s_wait_loadcnt 0x0
	global_load_u8 v1, v[4:5], off
	s_wait_loadcnt 0x0
	v_lshlrev_b32_e32 v1, 24, v1
	s_delay_alu instid0(VALU_DEP_1) | instskip(NEXT) | instid1(VALU_DEP_1)
	v_and_b32_e32 v3, 0x7f000000, v1
	v_clz_i32_u32_e32 v6, v3
	v_cmp_ne_u32_e32 vcc_lo, 0, v3
	v_add_nc_u32_e32 v8, 0x1000000, v3
	s_delay_alu instid0(VALU_DEP_3) | instskip(NEXT) | instid1(VALU_DEP_1)
	v_min_u32_e32 v6, 32, v6
	v_sub_nc_u32_e64 v6, v6, 4 clamp
	s_delay_alu instid0(VALU_DEP_1) | instskip(NEXT) | instid1(VALU_DEP_1)
	v_dual_lshlrev_b32 v7, v6, v3 :: v_dual_lshlrev_b32 v6, 23, v6
	v_lshrrev_b32_e32 v7, 4, v7
	s_delay_alu instid0(VALU_DEP_1) | instskip(NEXT) | instid1(VALU_DEP_1)
	v_dual_sub_nc_u32 v6, v7, v6 :: v_dual_ashrrev_i32 v7, 8, v8
	v_add_nc_u32_e32 v6, 0x3c000000, v6
	s_delay_alu instid0(VALU_DEP_1) | instskip(NEXT) | instid1(VALU_DEP_1)
	v_and_or_b32 v6, 0x7f800000, v7, v6
	v_cndmask_b32_e32 v3, 0, v6, vcc_lo
	s_delay_alu instid0(VALU_DEP_1) | instskip(NEXT) | instid1(VALU_DEP_1)
	v_and_or_b32 v1, 0x80000000, v1, v3
	v_cvt_f16_f32_e32 v1, v1
.LBB231_655:
	s_mov_b32 s27, 0
.LBB231_656:
	s_delay_alu instid0(SALU_CYCLE_1)
	s_and_not1_b32 vcc_lo, exec_lo, s27
	s_cbranch_vccnz .LBB231_658
; %bb.657:
	s_wait_loadcnt 0x0
	global_load_u8 v1, v[4:5], off
	s_wait_loadcnt 0x0
	v_lshlrev_b32_e32 v3, 25, v1
	v_lshlrev_b16 v1, 8, v1
	s_delay_alu instid0(VALU_DEP_1) | instskip(SKIP_1) | instid1(VALU_DEP_2)
	v_and_or_b32 v7, 0x7f00, v1, 0.5
	v_bfe_i32 v1, v1, 0, 16
	v_add_f32_e32 v7, -0.5, v7
	v_lshrrev_b32_e32 v6, 4, v3
	v_cmp_gt_u32_e32 vcc_lo, 0x8000000, v3
	s_delay_alu instid0(VALU_DEP_2) | instskip(NEXT) | instid1(VALU_DEP_1)
	v_or_b32_e32 v6, 0x70000000, v6
	v_mul_f32_e32 v6, 0x7800000, v6
	s_delay_alu instid0(VALU_DEP_1) | instskip(NEXT) | instid1(VALU_DEP_1)
	v_cndmask_b32_e32 v3, v6, v7, vcc_lo
	v_and_or_b32 v1, 0x80000000, v1, v3
	s_delay_alu instid0(VALU_DEP_1)
	v_cvt_f16_f32_e32 v1, v1
.LBB231_658:
	s_mov_b32 s28, 0
	s_mov_b32 s27, -1
.LBB231_659:
	s_and_not1_b32 vcc_lo, exec_lo, s28
	s_cbranch_vccnz .LBB231_672
; %bb.660:
	s_cmp_gt_i32 s0, 14
	s_cbranch_scc0 .LBB231_663
; %bb.661:
	s_cmp_eq_u32 s0, 15
	s_cbranch_scc0 .LBB231_666
; %bb.662:
	s_wait_loadcnt 0x0
	global_load_u16 v1, v[4:5], off
	s_mov_b32 s27, -1
	s_mov_b32 s26, 0
	s_wait_loadcnt 0x0
	v_lshlrev_b32_e32 v1, 16, v1
	s_delay_alu instid0(VALU_DEP_1)
	v_cvt_f16_f32_e32 v1, v1
	s_branch .LBB231_667
.LBB231_663:
	s_mov_b32 s28, -1
                                        ; implicit-def: $vgpr1
	s_branch .LBB231_668
.LBB231_664:
	s_or_saveexec_b32 s28, s28
	v_mov_b32_e32 v1, 0x7e00
	s_xor_b32 exec_lo, exec_lo, s28
	s_cbranch_execz .LBB231_645
.LBB231_665:
	v_cmp_ne_u16_e32 vcc_lo, 0, v3
	v_mov_b32_e32 v1, v3
	s_and_not1_b32 s27, s27, exec_lo
	s_and_b32 s29, vcc_lo, exec_lo
	s_delay_alu instid0(SALU_CYCLE_1)
	s_or_b32 s27, s27, s29
	s_or_b32 exec_lo, exec_lo, s28
	s_and_saveexec_b32 s28, s27
	s_cbranch_execnz .LBB231_646
	s_branch .LBB231_647
.LBB231_666:
	s_mov_b32 s26, -1
                                        ; implicit-def: $vgpr1
.LBB231_667:
	s_mov_b32 s28, 0
.LBB231_668:
	s_delay_alu instid0(SALU_CYCLE_1)
	s_and_b32 vcc_lo, exec_lo, s28
	s_cbranch_vccz .LBB231_672
; %bb.669:
	s_cmp_eq_u32 s0, 11
	s_cbranch_scc0 .LBB231_671
; %bb.670:
	s_wait_loadcnt 0x0
	global_load_u8 v1, v[4:5], off
	s_mov_b32 s26, 0
	s_mov_b32 s27, -1
	s_wait_loadcnt 0x0
	v_cmp_ne_u16_e32 vcc_lo, 0, v1
	v_cndmask_b32_e64 v1, 0, 0x3c00, vcc_lo
	s_branch .LBB231_672
.LBB231_671:
	s_mov_b32 s26, -1
                                        ; implicit-def: $vgpr1
.LBB231_672:
	s_mov_b32 s28, 0
.LBB231_673:
	s_delay_alu instid0(SALU_CYCLE_1)
	s_and_b32 vcc_lo, exec_lo, s28
	s_cbranch_vccz .LBB231_722
; %bb.674:
	s_cmp_lt_i32 s0, 5
	s_cbranch_scc1 .LBB231_679
; %bb.675:
	s_cmp_lt_i32 s0, 8
	s_cbranch_scc1 .LBB231_680
	;; [unrolled: 3-line block ×3, first 2 shown]
; %bb.677:
	s_cmp_gt_i32 s0, 9
	s_cbranch_scc0 .LBB231_682
; %bb.678:
	global_load_b64 v[6:7], v[4:5], off
	s_mov_b32 s27, 0
	s_wait_loadcnt 0x0
	v_and_or_b32 v1, 0x1ff, v7, v6
	v_lshrrev_b32_e32 v3, 8, v7
	v_bfe_u32 v6, v7, 20, 11
	s_delay_alu instid0(VALU_DEP_3) | instskip(NEXT) | instid1(VALU_DEP_2)
	v_cmp_ne_u32_e32 vcc_lo, 0, v1
	v_sub_nc_u32_e32 v8, 0x3f1, v6
	v_add_nc_u32_e32 v6, 0xfffffc10, v6
	v_cndmask_b32_e64 v1, 0, 1, vcc_lo
	s_delay_alu instid0(VALU_DEP_1) | instskip(NEXT) | instid1(VALU_DEP_4)
	v_and_or_b32 v1, 0xffe, v3, v1
	v_med3_i32 v3, v8, 0, 13
	s_delay_alu instid0(VALU_DEP_2) | instskip(NEXT) | instid1(VALU_DEP_1)
	v_or_b32_e32 v8, 0x1000, v1
	v_lshrrev_b32_e32 v9, v3, v8
	s_delay_alu instid0(VALU_DEP_1) | instskip(NEXT) | instid1(VALU_DEP_1)
	v_lshlrev_b32_e32 v3, v3, v9
	v_cmp_ne_u32_e32 vcc_lo, v3, v8
	v_lshl_or_b32 v8, v6, 12, v1
	v_cndmask_b32_e64 v3, 0, 1, vcc_lo
	v_cmp_gt_i32_e32 vcc_lo, 1, v6
	s_delay_alu instid0(VALU_DEP_2) | instskip(NEXT) | instid1(VALU_DEP_1)
	v_or_b32_e32 v3, v9, v3
	v_cndmask_b32_e32 v3, v8, v3, vcc_lo
	s_delay_alu instid0(VALU_DEP_1) | instskip(NEXT) | instid1(VALU_DEP_1)
	v_dual_lshrrev_b32 v3, 2, v3 :: v_dual_bitop2_b32 v8, 7, v3 bitop3:0x40
	v_cmp_lt_i32_e32 vcc_lo, 5, v8
	v_cndmask_b32_e64 v9, 0, 1, vcc_lo
	v_cmp_eq_u32_e32 vcc_lo, 3, v8
	v_cndmask_b32_e64 v8, 0, 1, vcc_lo
	v_cmp_ne_u32_e32 vcc_lo, 0, v1
	s_delay_alu instid0(VALU_DEP_2) | instskip(SKIP_1) | instid1(VALU_DEP_2)
	v_or_b32_e32 v8, v8, v9
	v_mov_b32_e32 v9, 0x7e00
	v_add_nc_u32_e32 v3, v3, v8
	s_delay_alu instid0(VALU_DEP_2) | instskip(SKIP_1) | instid1(VALU_DEP_3)
	v_cndmask_b32_e32 v1, 0x7c00, v9, vcc_lo
	v_cmp_gt_i32_e32 vcc_lo, 31, v6
	v_cndmask_b32_e32 v3, 0x7c00, v3, vcc_lo
	v_cmp_eq_u32_e32 vcc_lo, 0x40f, v6
	s_delay_alu instid0(VALU_DEP_2) | instskip(NEXT) | instid1(VALU_DEP_1)
	v_dual_cndmask_b32 v1, v3, v1, vcc_lo :: v_dual_lshrrev_b32 v3, 16, v7
	v_and_or_b32 v1, 0x8000, v3, v1
	s_branch .LBB231_683
.LBB231_679:
	s_mov_b32 s27, -1
                                        ; implicit-def: $vgpr1
	s_branch .LBB231_701
.LBB231_680:
	s_mov_b32 s27, -1
                                        ; implicit-def: $vgpr1
	s_branch .LBB231_689
.LBB231_681:
	s_mov_b32 s27, -1
                                        ; implicit-def: $vgpr1
	s_branch .LBB231_686
.LBB231_682:
	s_mov_b32 s27, -1
                                        ; implicit-def: $vgpr1
.LBB231_683:
	s_delay_alu instid0(SALU_CYCLE_1)
	s_and_not1_b32 vcc_lo, exec_lo, s27
	s_cbranch_vccnz .LBB231_685
; %bb.684:
	s_wait_loadcnt 0x0
	global_load_b32 v1, v[4:5], off
	s_wait_loadcnt 0x0
	v_cvt_f16_f32_e32 v1, v1
.LBB231_685:
	s_mov_b32 s27, 0
.LBB231_686:
	s_delay_alu instid0(SALU_CYCLE_1)
	s_and_not1_b32 vcc_lo, exec_lo, s27
	s_cbranch_vccnz .LBB231_688
; %bb.687:
	s_wait_loadcnt 0x0
	global_load_b32 v1, v[4:5], off
.LBB231_688:
	s_mov_b32 s27, 0
.LBB231_689:
	s_delay_alu instid0(SALU_CYCLE_1)
	s_and_not1_b32 vcc_lo, exec_lo, s27
	s_cbranch_vccnz .LBB231_700
; %bb.690:
	s_cmp_lt_i32 s0, 6
	s_cbranch_scc1 .LBB231_693
; %bb.691:
	s_cmp_gt_i32 s0, 6
	s_cbranch_scc0 .LBB231_694
; %bb.692:
	global_load_b64 v[6:7], v[4:5], off
	s_mov_b32 s27, 0
	s_wait_loadcnt 0x0
	v_and_or_b32 v1, 0x1ff, v7, v6
	v_lshrrev_b32_e32 v3, 8, v7
	v_bfe_u32 v6, v7, 20, 11
	s_delay_alu instid0(VALU_DEP_3) | instskip(NEXT) | instid1(VALU_DEP_2)
	v_cmp_ne_u32_e32 vcc_lo, 0, v1
	v_sub_nc_u32_e32 v8, 0x3f1, v6
	v_add_nc_u32_e32 v6, 0xfffffc10, v6
	v_cndmask_b32_e64 v1, 0, 1, vcc_lo
	s_delay_alu instid0(VALU_DEP_1) | instskip(NEXT) | instid1(VALU_DEP_4)
	v_and_or_b32 v1, 0xffe, v3, v1
	v_med3_i32 v3, v8, 0, 13
	s_delay_alu instid0(VALU_DEP_2) | instskip(NEXT) | instid1(VALU_DEP_1)
	v_or_b32_e32 v8, 0x1000, v1
	v_lshrrev_b32_e32 v9, v3, v8
	s_delay_alu instid0(VALU_DEP_1) | instskip(NEXT) | instid1(VALU_DEP_1)
	v_lshlrev_b32_e32 v3, v3, v9
	v_cmp_ne_u32_e32 vcc_lo, v3, v8
	v_lshl_or_b32 v8, v6, 12, v1
	v_cndmask_b32_e64 v3, 0, 1, vcc_lo
	v_cmp_gt_i32_e32 vcc_lo, 1, v6
	s_delay_alu instid0(VALU_DEP_2) | instskip(NEXT) | instid1(VALU_DEP_1)
	v_or_b32_e32 v3, v9, v3
	v_cndmask_b32_e32 v3, v8, v3, vcc_lo
	s_delay_alu instid0(VALU_DEP_1) | instskip(NEXT) | instid1(VALU_DEP_1)
	v_dual_lshrrev_b32 v3, 2, v3 :: v_dual_bitop2_b32 v8, 7, v3 bitop3:0x40
	v_cmp_lt_i32_e32 vcc_lo, 5, v8
	v_cndmask_b32_e64 v9, 0, 1, vcc_lo
	v_cmp_eq_u32_e32 vcc_lo, 3, v8
	v_cndmask_b32_e64 v8, 0, 1, vcc_lo
	v_cmp_ne_u32_e32 vcc_lo, 0, v1
	s_delay_alu instid0(VALU_DEP_2) | instskip(SKIP_1) | instid1(VALU_DEP_2)
	v_or_b32_e32 v8, v8, v9
	v_mov_b32_e32 v9, 0x7e00
	v_add_nc_u32_e32 v3, v3, v8
	s_delay_alu instid0(VALU_DEP_2) | instskip(SKIP_1) | instid1(VALU_DEP_3)
	v_cndmask_b32_e32 v1, 0x7c00, v9, vcc_lo
	v_cmp_gt_i32_e32 vcc_lo, 31, v6
	v_cndmask_b32_e32 v3, 0x7c00, v3, vcc_lo
	v_cmp_eq_u32_e32 vcc_lo, 0x40f, v6
	s_delay_alu instid0(VALU_DEP_2) | instskip(NEXT) | instid1(VALU_DEP_1)
	v_dual_cndmask_b32 v1, v3, v1, vcc_lo :: v_dual_lshrrev_b32 v3, 16, v7
	v_and_or_b32 v1, 0x8000, v3, v1
	s_branch .LBB231_695
.LBB231_693:
	s_mov_b32 s27, -1
                                        ; implicit-def: $vgpr1
	s_branch .LBB231_698
.LBB231_694:
	s_mov_b32 s27, -1
                                        ; implicit-def: $vgpr1
.LBB231_695:
	s_delay_alu instid0(SALU_CYCLE_1)
	s_and_not1_b32 vcc_lo, exec_lo, s27
	s_cbranch_vccnz .LBB231_697
; %bb.696:
	s_wait_loadcnt 0x0
	global_load_b32 v1, v[4:5], off
	s_wait_loadcnt 0x0
	v_cvt_f16_f32_e32 v1, v1
.LBB231_697:
	s_mov_b32 s27, 0
.LBB231_698:
	s_delay_alu instid0(SALU_CYCLE_1)
	s_and_not1_b32 vcc_lo, exec_lo, s27
	s_cbranch_vccnz .LBB231_700
; %bb.699:
	s_wait_loadcnt 0x0
	global_load_u16 v1, v[4:5], off
.LBB231_700:
	s_mov_b32 s27, 0
.LBB231_701:
	s_delay_alu instid0(SALU_CYCLE_1)
	s_and_not1_b32 vcc_lo, exec_lo, s27
	s_cbranch_vccnz .LBB231_721
; %bb.702:
	s_cmp_lt_i32 s0, 2
	s_cbranch_scc1 .LBB231_706
; %bb.703:
	s_cmp_lt_i32 s0, 3
	s_cbranch_scc1 .LBB231_707
; %bb.704:
	s_cmp_gt_i32 s0, 3
	s_cbranch_scc0 .LBB231_708
; %bb.705:
	global_load_b64 v[6:7], v[4:5], off
	s_mov_b32 s27, 0
	s_wait_loadcnt 0x0
	v_xor_b32_e32 v1, v6, v7
	v_cls_i32_e32 v3, v7
	s_delay_alu instid0(VALU_DEP_2) | instskip(NEXT) | instid1(VALU_DEP_1)
	v_ashrrev_i32_e32 v1, 31, v1
	v_add_nc_u32_e32 v1, 32, v1
	s_delay_alu instid0(VALU_DEP_1) | instskip(NEXT) | instid1(VALU_DEP_1)
	v_add_min_u32_e64 v1, v3, -1, v1
	v_lshlrev_b64_e32 v[6:7], v1, v[6:7]
	v_sub_nc_u32_e32 v1, 32, v1
	s_delay_alu instid0(VALU_DEP_2) | instskip(NEXT) | instid1(VALU_DEP_1)
	v_min_u32_e32 v3, 1, v6
	v_or_b32_e32 v3, v7, v3
	s_delay_alu instid0(VALU_DEP_1) | instskip(NEXT) | instid1(VALU_DEP_1)
	v_cvt_f32_i32_e32 v3, v3
	v_ldexp_f32 v1, v3, v1
	s_delay_alu instid0(VALU_DEP_1)
	v_cvt_f16_f32_e32 v1, v1
	s_branch .LBB231_709
.LBB231_706:
	s_mov_b32 s27, -1
                                        ; implicit-def: $vgpr1
	s_branch .LBB231_715
.LBB231_707:
	s_mov_b32 s27, -1
                                        ; implicit-def: $vgpr1
	s_branch .LBB231_712
.LBB231_708:
	s_mov_b32 s27, -1
                                        ; implicit-def: $vgpr1
.LBB231_709:
	s_delay_alu instid0(SALU_CYCLE_1)
	s_and_not1_b32 vcc_lo, exec_lo, s27
	s_cbranch_vccnz .LBB231_711
; %bb.710:
	s_wait_loadcnt 0x0
	global_load_b32 v1, v[4:5], off
	s_wait_loadcnt 0x0
	v_cvt_f32_i32_e32 v1, v1
	s_delay_alu instid0(VALU_DEP_1)
	v_cvt_f16_f32_e32 v1, v1
.LBB231_711:
	s_mov_b32 s27, 0
.LBB231_712:
	s_delay_alu instid0(SALU_CYCLE_1)
	s_and_not1_b32 vcc_lo, exec_lo, s27
	s_cbranch_vccnz .LBB231_714
; %bb.713:
	s_wait_loadcnt 0x0
	global_load_u16 v1, v[4:5], off
	s_wait_loadcnt 0x0
	v_cvt_f16_i16_e32 v1, v1
.LBB231_714:
	s_mov_b32 s27, 0
.LBB231_715:
	s_delay_alu instid0(SALU_CYCLE_1)
	s_and_not1_b32 vcc_lo, exec_lo, s27
	s_cbranch_vccnz .LBB231_721
; %bb.716:
	s_cmp_gt_i32 s0, 0
	s_mov_b32 s0, 0
	s_cbranch_scc0 .LBB231_718
; %bb.717:
	s_wait_loadcnt 0x0
	global_load_i8 v1, v[4:5], off
	s_wait_loadcnt 0x0
	v_cvt_f16_i16_e32 v1, v1
	s_branch .LBB231_719
.LBB231_718:
	s_mov_b32 s0, -1
                                        ; implicit-def: $vgpr1
.LBB231_719:
	s_delay_alu instid0(SALU_CYCLE_1)
	s_and_not1_b32 vcc_lo, exec_lo, s0
	s_cbranch_vccnz .LBB231_721
; %bb.720:
	s_wait_loadcnt 0x0
	global_load_u8 v1, v[4:5], off
	s_wait_loadcnt 0x0
	v_cvt_f16_u16_e32 v1, v1
.LBB231_721:
	s_mov_b32 s27, -1
.LBB231_722:
	s_delay_alu instid0(SALU_CYCLE_1)
	s_and_not1_b32 vcc_lo, exec_lo, s27
	s_cbranch_vccnz .LBB231_727
; %bb.723:
	s_mov_b32 s0, exec_lo
	s_wait_loadcnt 0x0
	v_cmpx_o_f16_e32 v1, v1
	s_cbranch_execz .LBB231_735
; %bb.724:
	v_cvt_f32_f16_e32 v3, v1
	s_cmp_lt_i32 s8, 1
	s_mov_b32 s27, 0
	s_cbranch_scc1 .LBB231_728
; %bb.725:
	s_cmp_eq_u32 s8, 1
	s_cbranch_scc0 .LBB231_729
; %bb.726:
	v_max_num_f32_e64 v1, s9, s9
	v_max_num_f32_e32 v4, v3, v3
	s_mov_b32 s28, 0
	s_delay_alu instid0(VALU_DEP_1) | instskip(NEXT) | instid1(VALU_DEP_1)
	v_min_num_f32_e32 v1, v4, v1
	v_cvt_f16_f32_e32 v1, v1
	s_branch .LBB231_730
.LBB231_727:
	s_mov_b32 s27, 0
	s_mov_b32 s0, s46
	s_branch .LBB231_860
.LBB231_728:
	s_mov_b32 s29, -1
	s_mov_b32 s28, 0
                                        ; implicit-def: $vgpr1
	s_branch .LBB231_731
.LBB231_729:
	s_mov_b32 s28, -1
                                        ; implicit-def: $vgpr1
.LBB231_730:
	s_mov_b32 s29, 0
.LBB231_731:
	s_delay_alu instid0(SALU_CYCLE_1)
	s_and_b32 vcc_lo, exec_lo, s29
	s_cbranch_vccz .LBB231_742
; %bb.732:
	s_cmp_lg_u32 s8, 0
	s_mov_b32 s27, -1
	s_cselect_b32 s28, -1, 0
	s_delay_alu instid0(SALU_CYCLE_1)
	s_and_not1_b32 vcc_lo, exec_lo, s28
	s_cbranch_vccz .LBB231_743
.LBB231_733:
	s_and_not1_b32 vcc_lo, exec_lo, s27
	s_cbranch_vccnz .LBB231_735
.LBB231_734:
	v_max_num_f32_e64 v1, s9, s9
	v_max_num_f32_e32 v3, v3, v3
	s_delay_alu instid0(VALU_DEP_1) | instskip(NEXT) | instid1(VALU_DEP_1)
	v_max_num_f32_e32 v1, v3, v1
	v_cvt_f16_f32_e32 v1, v1
.LBB231_735:
	s_or_b32 exec_lo, exec_lo, s0
	v_mov_b32_e32 v3, 0
	s_and_b32 s27, s11, 0xff
	s_delay_alu instid0(SALU_CYCLE_1) | instskip(NEXT) | instid1(VALU_DEP_1)
	s_cmp_lt_i32 s27, 11
	v_add_nc_u64_e32 v[2:3], s[4:5], v[2:3]
	s_cbranch_scc1 .LBB231_744
; %bb.736:
	s_and_b32 s28, 0xffff, s27
	s_delay_alu instid0(SALU_CYCLE_1)
	s_cmp_gt_i32 s28, 25
	s_cbranch_scc0 .LBB231_745
; %bb.737:
	s_cmp_gt_i32 s28, 28
	s_cbranch_scc0 .LBB231_746
; %bb.738:
	;; [unrolled: 3-line block ×4, first 2 shown]
	s_mov_b32 s30, 0
	s_mov_b32 s0, -1
	s_cmp_eq_u32 s28, 46
	s_mov_b32 s29, 0
	s_cbranch_scc0 .LBB231_749
; %bb.741:
	v_cvt_f32_f16_e32 v4, v1
	v_cmp_o_f16_e32 vcc_lo, v1, v1
	s_mov_b32 s29, -1
	s_mov_b32 s0, 0
	s_delay_alu instid0(VALU_DEP_2) | instskip(NEXT) | instid1(VALU_DEP_1)
	v_bfe_u32 v5, v4, 16, 1
	v_add3_u32 v4, v4, v5, 0x7fff
	s_delay_alu instid0(VALU_DEP_1) | instskip(NEXT) | instid1(VALU_DEP_1)
	v_lshrrev_b32_e32 v4, 16, v4
	v_cndmask_b32_e32 v4, 0x7fc0, v4, vcc_lo
	global_store_b32 v[2:3], v4, off
	s_branch .LBB231_749
.LBB231_742:
	s_and_not1_b32 vcc_lo, exec_lo, s28
	s_cbranch_vccnz .LBB231_733
.LBB231_743:
	v_max_num_f32_e64 v1, s9, s9
	v_max_num_f32_e32 v4, v3, v3
	v_max_num_f32_e64 v5, s10, s10
	s_delay_alu instid0(VALU_DEP_1) | instskip(NEXT) | instid1(VALU_DEP_1)
	v_maxmin_num_f32 v1, v4, v1, v5
	v_cvt_f16_f32_e32 v1, v1
	s_cbranch_execz .LBB231_734
	s_branch .LBB231_735
.LBB231_744:
	s_mov_b32 s28, -1
	s_mov_b32 s29, 0
	s_mov_b32 s0, s46
	s_branch .LBB231_818
.LBB231_745:
	s_mov_b32 s30, -1
	s_mov_b32 s29, 0
	s_mov_b32 s0, s46
	s_branch .LBB231_776
.LBB231_746:
	s_mov_b32 s30, -1
	s_mov_b32 s29, 0
	s_mov_b32 s0, s46
	s_branch .LBB231_759
.LBB231_747:
	s_mov_b32 s30, -1
	s_mov_b32 s29, 0
	s_mov_b32 s0, s46
	s_branch .LBB231_755
.LBB231_748:
	s_mov_b32 s30, -1
	s_mov_b32 s29, 0
	s_mov_b32 s0, s46
.LBB231_749:
	s_and_b32 vcc_lo, exec_lo, s30
	s_cbranch_vccz .LBB231_754
; %bb.750:
	s_cmp_eq_u32 s28, 44
	s_mov_b32 s0, -1
	s_cbranch_scc0 .LBB231_754
; %bb.751:
	s_wait_xcnt 0x0
	v_cvt_f32_f16_e32 v4, v1
	v_mov_b32_e32 v5, 0xff
	s_mov_b32 s29, exec_lo
	s_delay_alu instid0(VALU_DEP_2) | instskip(NEXT) | instid1(VALU_DEP_1)
	v_bfe_u32 v6, v4, 23, 8
	v_cmpx_ne_u32_e32 0xff, v6
	s_cbranch_execz .LBB231_753
; %bb.752:
	v_and_b32_e32 v5, 0x400000, v4
	v_and_or_b32 v6, 0x3fffff, v4, v6
	v_lshrrev_b32_e32 v4, 23, v4
	s_delay_alu instid0(VALU_DEP_3) | instskip(NEXT) | instid1(VALU_DEP_3)
	v_cmp_ne_u32_e32 vcc_lo, 0, v5
	v_cmp_ne_u32_e64 s0, 0, v6
	s_and_b32 s0, vcc_lo, s0
	s_delay_alu instid0(SALU_CYCLE_1) | instskip(NEXT) | instid1(VALU_DEP_1)
	v_cndmask_b32_e64 v5, 0, 1, s0
	v_add_nc_u32_e32 v5, v4, v5
.LBB231_753:
	s_or_b32 exec_lo, exec_lo, s29
	s_mov_b32 s29, -1
	s_mov_b32 s0, 0
	global_store_b8 v[2:3], v5, off
.LBB231_754:
	s_mov_b32 s30, 0
.LBB231_755:
	s_delay_alu instid0(SALU_CYCLE_1)
	s_and_b32 vcc_lo, exec_lo, s30
	s_cbranch_vccz .LBB231_758
; %bb.756:
	s_cmp_eq_u32 s28, 29
	s_mov_b32 s0, -1
	s_cbranch_scc0 .LBB231_758
; %bb.757:
	s_wait_xcnt 0x0
	v_cvt_f32_f16_e32 v4, v1
	v_mov_b32_e32 v5, 0
	s_mov_b32 s29, -1
	s_mov_b32 s0, 0
	s_mov_b32 s30, 0
	v_cvt_u32_f32_e32 v4, v4
	global_store_b64 v[2:3], v[4:5], off
	s_branch .LBB231_759
.LBB231_758:
	s_mov_b32 s30, 0
.LBB231_759:
	s_delay_alu instid0(SALU_CYCLE_1)
	s_and_b32 vcc_lo, exec_lo, s30
	s_cbranch_vccz .LBB231_775
; %bb.760:
	s_cmp_lt_i32 s28, 27
	s_mov_b32 s29, -1
	s_cbranch_scc1 .LBB231_766
; %bb.761:
	s_cmp_gt_i32 s28, 27
	s_cbranch_scc0 .LBB231_763
; %bb.762:
	s_wait_xcnt 0x0
	v_cvt_f32_f16_e32 v4, v1
	s_mov_b32 s29, 0
	s_delay_alu instid0(VALU_DEP_1)
	v_cvt_u32_f32_e32 v4, v4
	global_store_b32 v[2:3], v4, off
.LBB231_763:
	s_and_not1_b32 vcc_lo, exec_lo, s29
	s_cbranch_vccnz .LBB231_765
; %bb.764:
	s_wait_xcnt 0x0
	v_cvt_u16_f16_e32 v4, v1
	global_store_b16 v[2:3], v4, off
.LBB231_765:
	s_mov_b32 s29, 0
.LBB231_766:
	s_delay_alu instid0(SALU_CYCLE_1)
	s_and_not1_b32 vcc_lo, exec_lo, s29
	s_cbranch_vccnz .LBB231_774
; %bb.767:
	s_wait_xcnt 0x0
	v_cvt_f32_f16_e32 v4, v1
	v_mov_b32_e32 v6, 0x80
	s_mov_b32 s29, exec_lo
	s_delay_alu instid0(VALU_DEP_2) | instskip(NEXT) | instid1(VALU_DEP_1)
	v_and_b32_e32 v5, 0x7fffffff, v4
	v_cmpx_gt_u32_e32 0x43800000, v5
	s_cbranch_execz .LBB231_773
; %bb.768:
	v_cmp_lt_u32_e32 vcc_lo, 0x3bffffff, v5
	s_mov_b32 s30, 0
                                        ; implicit-def: $vgpr5
	s_and_saveexec_b32 s31, vcc_lo
	s_delay_alu instid0(SALU_CYCLE_1)
	s_xor_b32 s31, exec_lo, s31
	s_cbranch_execz .LBB231_892
; %bb.769:
	v_bfe_u32 v5, v4, 20, 1
	s_mov_b32 s30, exec_lo
	s_delay_alu instid0(VALU_DEP_1) | instskip(NEXT) | instid1(VALU_DEP_1)
	v_add3_u32 v5, v4, v5, 0x487ffff
	v_lshrrev_b32_e32 v5, 20, v5
	s_and_not1_saveexec_b32 s31, s31
	s_cbranch_execnz .LBB231_893
.LBB231_770:
	s_or_b32 exec_lo, exec_lo, s31
	v_mov_b32_e32 v6, 0
	s_and_saveexec_b32 s31, s30
.LBB231_771:
	v_lshrrev_b32_e32 v4, 24, v4
	s_delay_alu instid0(VALU_DEP_1)
	v_and_or_b32 v6, 0x80, v4, v5
.LBB231_772:
	s_or_b32 exec_lo, exec_lo, s31
.LBB231_773:
	s_delay_alu instid0(SALU_CYCLE_1)
	s_or_b32 exec_lo, exec_lo, s29
	global_store_b8 v[2:3], v6, off
.LBB231_774:
	s_mov_b32 s29, -1
.LBB231_775:
	s_mov_b32 s30, 0
.LBB231_776:
	s_delay_alu instid0(SALU_CYCLE_1)
	s_and_b32 vcc_lo, exec_lo, s30
	s_cbranch_vccz .LBB231_817
; %bb.777:
	s_cmp_gt_i32 s28, 22
	s_mov_b32 s30, -1
	s_cbranch_scc0 .LBB231_809
; %bb.778:
	s_cmp_lt_i32 s28, 24
	s_mov_b32 s29, -1
	s_cbranch_scc1 .LBB231_798
; %bb.779:
	s_cmp_gt_i32 s28, 24
	s_cbranch_scc0 .LBB231_787
; %bb.780:
	s_wait_xcnt 0x0
	v_cvt_f32_f16_e32 v4, v1
	v_mov_b32_e32 v6, 0x80
	s_mov_b32 s29, exec_lo
	s_delay_alu instid0(VALU_DEP_2) | instskip(NEXT) | instid1(VALU_DEP_1)
	v_and_b32_e32 v5, 0x7fffffff, v4
	v_cmpx_gt_u32_e32 0x47800000, v5
	s_cbranch_execz .LBB231_786
; %bb.781:
	v_cmp_lt_u32_e32 vcc_lo, 0x37ffffff, v5
	s_mov_b32 s30, 0
                                        ; implicit-def: $vgpr5
	s_and_saveexec_b32 s31, vcc_lo
	s_delay_alu instid0(SALU_CYCLE_1)
	s_xor_b32 s31, exec_lo, s31
	s_cbranch_execz .LBB231_895
; %bb.782:
	v_bfe_u32 v5, v4, 21, 1
	s_mov_b32 s30, exec_lo
	s_delay_alu instid0(VALU_DEP_1) | instskip(NEXT) | instid1(VALU_DEP_1)
	v_add3_u32 v5, v4, v5, 0x88fffff
	v_lshrrev_b32_e32 v5, 21, v5
	s_and_not1_saveexec_b32 s31, s31
	s_cbranch_execnz .LBB231_896
.LBB231_783:
	s_or_b32 exec_lo, exec_lo, s31
	v_mov_b32_e32 v6, 0
	s_and_saveexec_b32 s31, s30
.LBB231_784:
	v_lshrrev_b32_e32 v4, 24, v4
	s_delay_alu instid0(VALU_DEP_1)
	v_and_or_b32 v6, 0x80, v4, v5
.LBB231_785:
	s_or_b32 exec_lo, exec_lo, s31
.LBB231_786:
	s_delay_alu instid0(SALU_CYCLE_1)
	s_or_b32 exec_lo, exec_lo, s29
	s_mov_b32 s29, 0
	global_store_b8 v[2:3], v6, off
.LBB231_787:
	s_and_b32 vcc_lo, exec_lo, s29
	s_cbranch_vccz .LBB231_797
; %bb.788:
	s_wait_xcnt 0x0
	v_cvt_f32_f16_e32 v4, v1
	s_mov_b32 s29, exec_lo
                                        ; implicit-def: $vgpr5
	s_delay_alu instid0(VALU_DEP_1) | instskip(NEXT) | instid1(VALU_DEP_1)
	v_and_b32_e32 v6, 0x7fffffff, v4
	v_cmpx_gt_u32_e32 0x43f00000, v6
	s_xor_b32 s29, exec_lo, s29
	s_cbranch_execz .LBB231_794
; %bb.789:
	s_mov_b32 s30, exec_lo
                                        ; implicit-def: $vgpr5
	v_cmpx_lt_u32_e32 0x3c7fffff, v6
	s_xor_b32 s30, exec_lo, s30
; %bb.790:
	v_bfe_u32 v5, v4, 20, 1
	s_delay_alu instid0(VALU_DEP_1) | instskip(NEXT) | instid1(VALU_DEP_1)
	v_add3_u32 v5, v4, v5, 0x407ffff
	v_and_b32_e32 v6, 0xff00000, v5
	v_lshrrev_b32_e32 v5, 20, v5
	s_delay_alu instid0(VALU_DEP_2) | instskip(NEXT) | instid1(VALU_DEP_2)
	v_cmp_ne_u32_e32 vcc_lo, 0x7f00000, v6
	v_cndmask_b32_e32 v5, 0x7e, v5, vcc_lo
; %bb.791:
	s_and_not1_saveexec_b32 s30, s30
; %bb.792:
	v_add_f32_e64 v5, 0x46800000, |v4|
; %bb.793:
	s_or_b32 exec_lo, exec_lo, s30
                                        ; implicit-def: $vgpr6
.LBB231_794:
	s_and_not1_saveexec_b32 s29, s29
; %bb.795:
	v_mov_b32_e32 v5, 0x7f
	v_cmp_lt_u32_e32 vcc_lo, 0x7f800000, v6
	s_delay_alu instid0(VALU_DEP_2)
	v_cndmask_b32_e32 v5, 0x7e, v5, vcc_lo
; %bb.796:
	s_or_b32 exec_lo, exec_lo, s29
	v_lshrrev_b32_e32 v4, 24, v4
	s_delay_alu instid0(VALU_DEP_1)
	v_and_or_b32 v4, 0x80, v4, v5
	global_store_b8 v[2:3], v4, off
.LBB231_797:
	s_mov_b32 s29, 0
.LBB231_798:
	s_delay_alu instid0(SALU_CYCLE_1)
	s_and_not1_b32 vcc_lo, exec_lo, s29
	s_cbranch_vccnz .LBB231_808
; %bb.799:
	s_wait_xcnt 0x0
	v_cvt_f32_f16_e32 v4, v1
	s_mov_b32 s29, exec_lo
                                        ; implicit-def: $vgpr5
	s_delay_alu instid0(VALU_DEP_1) | instskip(NEXT) | instid1(VALU_DEP_1)
	v_and_b32_e32 v6, 0x7fffffff, v4
	v_cmpx_gt_u32_e32 0x47800000, v6
	s_xor_b32 s29, exec_lo, s29
	s_cbranch_execz .LBB231_805
; %bb.800:
	s_mov_b32 s30, exec_lo
                                        ; implicit-def: $vgpr5
	v_cmpx_lt_u32_e32 0x387fffff, v6
	s_xor_b32 s30, exec_lo, s30
; %bb.801:
	v_bfe_u32 v5, v4, 21, 1
	s_delay_alu instid0(VALU_DEP_1) | instskip(NEXT) | instid1(VALU_DEP_1)
	v_add3_u32 v5, v4, v5, 0x80fffff
	v_lshrrev_b32_e32 v5, 21, v5
; %bb.802:
	s_and_not1_saveexec_b32 s30, s30
; %bb.803:
	v_add_f32_e64 v5, 0x43000000, |v4|
; %bb.804:
	s_or_b32 exec_lo, exec_lo, s30
                                        ; implicit-def: $vgpr6
.LBB231_805:
	s_and_not1_saveexec_b32 s29, s29
; %bb.806:
	v_mov_b32_e32 v5, 0x7f
	v_cmp_lt_u32_e32 vcc_lo, 0x7f800000, v6
	s_delay_alu instid0(VALU_DEP_2)
	v_cndmask_b32_e32 v5, 0x7c, v5, vcc_lo
; %bb.807:
	s_or_b32 exec_lo, exec_lo, s29
	v_lshrrev_b32_e32 v4, 24, v4
	s_delay_alu instid0(VALU_DEP_1)
	v_and_or_b32 v4, 0x80, v4, v5
	global_store_b8 v[2:3], v4, off
.LBB231_808:
	s_mov_b32 s30, 0
	s_mov_b32 s29, -1
.LBB231_809:
	s_and_not1_b32 vcc_lo, exec_lo, s30
	s_cbranch_vccnz .LBB231_817
; %bb.810:
	s_cmp_gt_i32 s28, 14
	s_mov_b32 s30, -1
	s_cbranch_scc0 .LBB231_814
; %bb.811:
	s_cmp_eq_u32 s28, 15
	s_mov_b32 s0, -1
	s_cbranch_scc0 .LBB231_813
; %bb.812:
	s_wait_xcnt 0x0
	v_cvt_f32_f16_e32 v4, v1
	v_cmp_o_f16_e32 vcc_lo, v1, v1
	s_mov_b32 s29, -1
	s_mov_b32 s0, 0
	s_delay_alu instid0(VALU_DEP_2) | instskip(NEXT) | instid1(VALU_DEP_1)
	v_bfe_u32 v5, v4, 16, 1
	v_add3_u32 v4, v4, v5, 0x7fff
	s_delay_alu instid0(VALU_DEP_1) | instskip(NEXT) | instid1(VALU_DEP_1)
	v_lshrrev_b32_e32 v4, 16, v4
	v_cndmask_b32_e32 v4, 0x7fc0, v4, vcc_lo
	global_store_b16 v[2:3], v4, off
.LBB231_813:
	s_mov_b32 s30, 0
.LBB231_814:
	s_delay_alu instid0(SALU_CYCLE_1)
	s_and_b32 vcc_lo, exec_lo, s30
	s_cbranch_vccz .LBB231_817
; %bb.815:
	s_cmp_eq_u32 s28, 11
	s_mov_b32 s0, -1
	s_cbranch_scc0 .LBB231_817
; %bb.816:
	s_wait_xcnt 0x0
	v_and_b32_e32 v4, 0x7fff, v1
	s_mov_b32 s0, 0
	s_mov_b32 s29, -1
	s_delay_alu instid0(VALU_DEP_1)
	v_cmp_ne_u16_e32 vcc_lo, 0, v4
	v_cndmask_b32_e64 v4, 0, 1, vcc_lo
	global_store_b8 v[2:3], v4, off
.LBB231_817:
	s_mov_b32 s28, 0
.LBB231_818:
	s_delay_alu instid0(SALU_CYCLE_1)
	s_and_b32 vcc_lo, exec_lo, s28
	s_cbranch_vccz .LBB231_857
; %bb.819:
	s_and_b32 s27, 0xffff, s27
	s_mov_b32 s28, -1
	s_cmp_lt_i32 s27, 5
	s_cbranch_scc1 .LBB231_840
; %bb.820:
	s_cmp_lt_i32 s27, 8
	s_cbranch_scc1 .LBB231_830
; %bb.821:
	;; [unrolled: 3-line block ×3, first 2 shown]
	s_cmp_gt_i32 s27, 9
	s_cbranch_scc0 .LBB231_824
; %bb.823:
	s_wait_xcnt 0x0
	v_cvt_f32_f16_e32 v4, v1
	v_mov_b32_e32 v6, 0
	s_mov_b32 s28, 0
	s_delay_alu instid0(VALU_DEP_2) | instskip(NEXT) | instid1(VALU_DEP_2)
	v_cvt_f64_f32_e32 v[4:5], v4
	v_mov_b32_e32 v7, v6
	global_store_b128 v[2:3], v[4:7], off
.LBB231_824:
	s_and_not1_b32 vcc_lo, exec_lo, s28
	s_cbranch_vccnz .LBB231_826
; %bb.825:
	s_wait_xcnt 0x0
	v_cvt_f32_f16_e32 v4, v1
	v_mov_b32_e32 v5, 0
	global_store_b64 v[2:3], v[4:5], off
.LBB231_826:
	s_mov_b32 s28, 0
.LBB231_827:
	s_delay_alu instid0(SALU_CYCLE_1)
	s_and_not1_b32 vcc_lo, exec_lo, s28
	s_cbranch_vccnz .LBB231_829
; %bb.828:
	s_wait_xcnt 0x0
	v_and_b32_e32 v4, 0xffff, v1
	global_store_b32 v[2:3], v4, off
.LBB231_829:
	s_mov_b32 s28, 0
.LBB231_830:
	s_delay_alu instid0(SALU_CYCLE_1)
	s_and_not1_b32 vcc_lo, exec_lo, s28
	s_cbranch_vccnz .LBB231_839
; %bb.831:
	s_cmp_lt_i32 s27, 6
	s_mov_b32 s28, -1
	s_cbranch_scc1 .LBB231_837
; %bb.832:
	s_cmp_gt_i32 s27, 6
	s_cbranch_scc0 .LBB231_834
; %bb.833:
	s_wait_xcnt 0x0
	v_cvt_f32_f16_e32 v4, v1
	s_mov_b32 s28, 0
	s_delay_alu instid0(VALU_DEP_1)
	v_cvt_f64_f32_e32 v[4:5], v4
	global_store_b64 v[2:3], v[4:5], off
.LBB231_834:
	s_and_not1_b32 vcc_lo, exec_lo, s28
	s_cbranch_vccnz .LBB231_836
; %bb.835:
	s_wait_xcnt 0x0
	v_cvt_f32_f16_e32 v4, v1
	global_store_b32 v[2:3], v4, off
.LBB231_836:
	s_mov_b32 s28, 0
.LBB231_837:
	s_delay_alu instid0(SALU_CYCLE_1)
	s_and_not1_b32 vcc_lo, exec_lo, s28
	s_cbranch_vccnz .LBB231_839
; %bb.838:
	global_store_b16 v[2:3], v1, off
.LBB231_839:
	s_mov_b32 s28, 0
.LBB231_840:
	s_delay_alu instid0(SALU_CYCLE_1)
	s_and_not1_b32 vcc_lo, exec_lo, s28
	s_cbranch_vccnz .LBB231_856
; %bb.841:
	s_cmp_lt_i32 s27, 2
	s_mov_b32 s28, -1
	s_cbranch_scc1 .LBB231_851
; %bb.842:
	s_cmp_lt_i32 s27, 3
	s_cbranch_scc1 .LBB231_848
; %bb.843:
	s_cmp_gt_i32 s27, 3
	s_cbranch_scc0 .LBB231_845
; %bb.844:
	s_wait_xcnt 0x0
	v_cvt_f32_f16_e32 v4, v1
	s_mov_b32 s28, 0
	s_delay_alu instid0(VALU_DEP_1) | instskip(NEXT) | instid1(VALU_DEP_1)
	v_cvt_i32_f32_e32 v4, v4
	v_ashrrev_i32_e32 v5, 31, v4
	global_store_b64 v[2:3], v[4:5], off
.LBB231_845:
	s_and_not1_b32 vcc_lo, exec_lo, s28
	s_cbranch_vccnz .LBB231_847
; %bb.846:
	s_wait_xcnt 0x0
	v_cvt_f32_f16_e32 v4, v1
	s_delay_alu instid0(VALU_DEP_1)
	v_cvt_i32_f32_e32 v4, v4
	global_store_b32 v[2:3], v4, off
.LBB231_847:
	s_mov_b32 s28, 0
.LBB231_848:
	s_delay_alu instid0(SALU_CYCLE_1)
	s_and_not1_b32 vcc_lo, exec_lo, s28
	s_cbranch_vccnz .LBB231_850
; %bb.849:
	s_wait_xcnt 0x0
	v_cvt_i16_f16_e32 v4, v1
	global_store_b16 v[2:3], v4, off
.LBB231_850:
	s_mov_b32 s28, 0
.LBB231_851:
	s_delay_alu instid0(SALU_CYCLE_1)
	s_and_not1_b32 vcc_lo, exec_lo, s28
	s_cbranch_vccnz .LBB231_856
; %bb.852:
	s_cmp_gt_i32 s27, 0
	s_mov_b32 s27, -1
	s_cbranch_scc0 .LBB231_854
; %bb.853:
	s_wait_xcnt 0x0
	v_cvt_i16_f16_e32 v4, v1
	s_mov_b32 s27, 0
	global_store_b8 v[2:3], v4, off
.LBB231_854:
	s_and_not1_b32 vcc_lo, exec_lo, s27
	s_cbranch_vccnz .LBB231_856
; %bb.855:
	s_wait_xcnt 0x0
	v_cvt_f32_f16_e32 v1, v1
	s_delay_alu instid0(VALU_DEP_1)
	v_cvt_i32_f32_e32 v1, v1
	global_store_b8 v[2:3], v1, off
.LBB231_856:
	s_mov_b32 s29, -1
.LBB231_857:
	s_delay_alu instid0(SALU_CYCLE_1)
	s_and_not1_b32 vcc_lo, exec_lo, s29
	s_cbranch_vccnz .LBB231_859
; %bb.858:
	v_add_nc_u32_e32 v0, 0x80, v0
	s_mov_b32 s27, -1
	s_branch .LBB231_861
.LBB231_859:
	s_mov_b32 s27, 0
.LBB231_860:
                                        ; implicit-def: $vgpr0
.LBB231_861:
	s_and_not1_b32 s28, s46, exec_lo
	s_and_b32 s0, s0, exec_lo
	s_and_not1_b32 s29, s45, exec_lo
	s_and_b32 s26, s26, exec_lo
	s_or_b32 s30, s28, s0
	s_or_b32 s0, s29, s26
	s_or_not1_b32 s29, s27, exec_lo
.LBB231_862:
	s_wait_xcnt 0x0
	s_or_b32 exec_lo, exec_lo, s48
	s_mov_b32 s27, 0
	s_mov_b32 s26, 0
	;; [unrolled: 1-line block ×3, first 2 shown]
                                        ; implicit-def: $vgpr4_vgpr5
                                        ; implicit-def: $vgpr2
                                        ; implicit-def: $vgpr6
	s_and_saveexec_b32 s31, s29
	s_cbranch_execz .LBB231_964
; %bb.863:
	v_cmp_gt_i32_e32 vcc_lo, s39, v0
	s_mov_b32 s29, s0
                                        ; implicit-def: $vgpr4_vgpr5
                                        ; implicit-def: $vgpr2
                                        ; implicit-def: $vgpr6
	s_and_saveexec_b32 s39, vcc_lo
	s_cbranch_execz .LBB231_963
; %bb.864:
	s_and_not1_b32 vcc_lo, exec_lo, s36
	s_cbranch_vccnz .LBB231_870
; %bb.865:
	s_and_not1_b32 vcc_lo, exec_lo, s41
	s_cbranch_vccnz .LBB231_871
; %bb.866:
	s_add_co_i32 s40, s40, 1
	s_cmp_eq_u32 s34, 2
	s_cbranch_scc1 .LBB231_872
; %bb.867:
	v_dual_mov_b32 v2, 0 :: v_dual_mov_b32 v4, 0
	s_wait_loadcnt 0x0
	v_mov_b32_e32 v1, v0
	s_and_b32 s26, s40, 28
	s_mov_b64 s[28:29], s[2:3]
.LBB231_868:                            ; =>This Inner Loop Header: Depth=1
	s_clause 0x1
	s_load_b256 s[48:55], s[28:29], 0x4
	s_load_b128 s[64:67], s[28:29], 0x24
	s_load_b256 s[56:63], s[24:25], 0x0
	s_add_co_i32 s27, s27, 4
	s_wait_xcnt 0x0
	s_add_nc_u64 s[28:29], s[28:29], 48
	s_cmp_eq_u32 s26, s27
	s_add_nc_u64 s[24:25], s[24:25], 32
	s_wait_kmcnt 0x0
	v_mul_hi_u32 v3, s49, v1
	s_delay_alu instid0(VALU_DEP_1) | instskip(NEXT) | instid1(VALU_DEP_1)
	v_add_nc_u32_e32 v3, v1, v3
	v_lshrrev_b32_e32 v3, s50, v3
	s_delay_alu instid0(VALU_DEP_1) | instskip(NEXT) | instid1(VALU_DEP_1)
	v_mul_hi_u32 v5, s52, v3
	v_add_nc_u32_e32 v5, v3, v5
	s_delay_alu instid0(VALU_DEP_1) | instskip(NEXT) | instid1(VALU_DEP_1)
	v_lshrrev_b32_e32 v5, s53, v5
	v_mul_hi_u32 v6, s55, v5
	s_delay_alu instid0(VALU_DEP_1) | instskip(SKIP_1) | instid1(VALU_DEP_1)
	v_add_nc_u32_e32 v6, v5, v6
	v_mul_lo_u32 v7, v3, s48
	v_sub_nc_u32_e32 v1, v1, v7
	v_mul_lo_u32 v7, v5, s51
	s_delay_alu instid0(VALU_DEP_4) | instskip(NEXT) | instid1(VALU_DEP_3)
	v_lshrrev_b32_e32 v6, s64, v6
	v_mad_u32 v4, v1, s57, v4
	v_mad_u32 v1, v1, s56, v2
	s_delay_alu instid0(VALU_DEP_4) | instskip(NEXT) | instid1(VALU_DEP_4)
	v_sub_nc_u32_e32 v2, v3, v7
	v_mul_hi_u32 v8, s66, v6
	v_mul_lo_u32 v3, v6, s54
	s_delay_alu instid0(VALU_DEP_3) | instskip(SKIP_1) | instid1(VALU_DEP_3)
	v_mad_u32 v4, v2, s59, v4
	v_mad_u32 v2, v2, s58, v1
	v_dual_add_nc_u32 v7, v6, v8 :: v_dual_sub_nc_u32 v3, v5, v3
	s_delay_alu instid0(VALU_DEP_1) | instskip(NEXT) | instid1(VALU_DEP_2)
	v_lshrrev_b32_e32 v1, s67, v7
	v_mad_u32 v4, v3, s61, v4
	s_delay_alu instid0(VALU_DEP_4) | instskip(NEXT) | instid1(VALU_DEP_3)
	v_mad_u32 v2, v3, s60, v2
	v_mul_lo_u32 v5, v1, s65
	s_delay_alu instid0(VALU_DEP_1) | instskip(NEXT) | instid1(VALU_DEP_1)
	v_sub_nc_u32_e32 v3, v6, v5
	v_mad_u32 v4, v3, s63, v4
	s_delay_alu instid0(VALU_DEP_4)
	v_mad_u32 v2, v3, s62, v2
	s_cbranch_scc0 .LBB231_868
; %bb.869:
	s_delay_alu instid0(VALU_DEP_2)
	v_mov_b32_e32 v3, v4
	s_branch .LBB231_873
.LBB231_870:
	s_mov_b32 s24, -1
                                        ; implicit-def: $vgpr4
                                        ; implicit-def: $vgpr2
	s_branch .LBB231_878
.LBB231_871:
	v_dual_mov_b32 v4, 0 :: v_dual_mov_b32 v2, 0
	s_branch .LBB231_877
.LBB231_872:
	v_mov_b64_e32 v[2:3], 0
	s_wait_loadcnt 0x0
	v_mov_b32_e32 v1, v0
                                        ; implicit-def: $vgpr4
.LBB231_873:
	s_and_b32 s28, s40, 3
	s_mov_b32 s27, 0
	s_cmp_eq_u32 s28, 0
	s_cbranch_scc1 .LBB231_877
; %bb.874:
	s_lshl_b32 s24, s26, 3
	s_mov_b32 s25, s27
	s_mul_u64 s[26:27], s[26:27], 12
	s_add_nc_u64 s[24:25], s[2:3], s[24:25]
	s_add_nc_u64 s[26:27], s[2:3], s[26:27]
	;; [unrolled: 1-line block ×3, first 2 shown]
.LBB231_875:                            ; =>This Inner Loop Header: Depth=1
	s_load_b96 s[48:50], s[26:27], 0x4
	s_load_b64 s[40:41], s[24:25], 0x0
	s_add_co_i32 s28, s28, -1
	s_wait_xcnt 0x0
	s_add_nc_u64 s[26:27], s[26:27], 12
	s_cmp_lg_u32 s28, 0
	s_add_nc_u64 s[24:25], s[24:25], 8
	s_wait_kmcnt 0x0
	v_mul_hi_u32 v4, s49, v1
	s_delay_alu instid0(VALU_DEP_1) | instskip(NEXT) | instid1(VALU_DEP_1)
	v_add_nc_u32_e32 v4, v1, v4
	v_lshrrev_b32_e32 v4, s50, v4
	s_delay_alu instid0(VALU_DEP_1) | instskip(NEXT) | instid1(VALU_DEP_1)
	v_mul_lo_u32 v5, v4, s48
	v_sub_nc_u32_e32 v1, v1, v5
	s_delay_alu instid0(VALU_DEP_1)
	v_mad_u32 v3, v1, s41, v3
	v_mad_u32 v2, v1, s40, v2
	v_mov_b32_e32 v1, v4
	s_cbranch_scc1 .LBB231_875
; %bb.876:
	s_delay_alu instid0(VALU_DEP_3)
	v_mov_b32_e32 v4, v3
.LBB231_877:
	s_mov_b32 s24, 0
.LBB231_878:
	s_delay_alu instid0(SALU_CYCLE_1)
	s_and_not1_b32 vcc_lo, exec_lo, s24
	s_cbranch_vccnz .LBB231_881
; %bb.879:
	s_wait_loadcnt 0x0
	v_mov_b32_e32 v1, 0
	s_and_not1_b32 vcc_lo, exec_lo, s38
	s_delay_alu instid0(VALU_DEP_1) | instskip(NEXT) | instid1(VALU_DEP_1)
	v_mul_u64_e32 v[2:3], s[20:21], v[0:1]
	v_add_nc_u32_e32 v2, v0, v3
	s_delay_alu instid0(VALU_DEP_1) | instskip(NEXT) | instid1(VALU_DEP_1)
	v_lshrrev_b32_e32 v6, s14, v2
	v_mul_lo_u32 v2, v6, s12
	s_delay_alu instid0(VALU_DEP_1) | instskip(NEXT) | instid1(VALU_DEP_1)
	v_sub_nc_u32_e32 v0, v0, v2
	v_mul_lo_u32 v4, v0, s17
	v_mul_lo_u32 v2, v0, s16
	s_cbranch_vccnz .LBB231_881
; %bb.880:
	v_mov_b32_e32 v7, v1
	s_delay_alu instid0(VALU_DEP_1) | instskip(NEXT) | instid1(VALU_DEP_1)
	v_mul_u64_e32 v[0:1], s[22:23], v[6:7]
	v_add_nc_u32_e32 v0, v6, v1
	s_delay_alu instid0(VALU_DEP_1) | instskip(NEXT) | instid1(VALU_DEP_1)
	v_lshrrev_b32_e32 v0, s1, v0
	v_mul_lo_u32 v0, v0, s15
	s_delay_alu instid0(VALU_DEP_1) | instskip(NEXT) | instid1(VALU_DEP_1)
	v_sub_nc_u32_e32 v0, v6, v0
	v_mad_u32 v2, v0, s18, v2
	v_mad_u32 v4, v0, s19, v4
.LBB231_881:
	v_mov_b32_e32 v5, 0
	s_and_b32 s1, 0xffff, s13
	s_delay_alu instid0(SALU_CYCLE_1) | instskip(NEXT) | instid1(VALU_DEP_1)
	s_cmp_lt_i32 s1, 11
	v_add_nc_u64_e32 v[4:5], s[6:7], v[4:5]
	s_cbranch_scc1 .LBB231_888
; %bb.882:
	s_cmp_gt_i32 s1, 25
	s_mov_b32 s7, 0
	s_cbranch_scc0 .LBB231_889
; %bb.883:
	s_cmp_gt_i32 s1, 28
	s_cbranch_scc0 .LBB231_890
; %bb.884:
	s_cmp_gt_i32 s1, 43
	;; [unrolled: 3-line block ×3, first 2 shown]
	s_cbranch_scc0 .LBB231_894
; %bb.886:
	s_cmp_eq_u32 s1, 46
	s_mov_b32 s14, 0
	s_cbranch_scc0 .LBB231_897
; %bb.887:
	global_load_b32 v0, v[4:5], off
	s_mov_b32 s6, 0
	s_mov_b32 s12, -1
	s_wait_loadcnt 0x0
	v_lshlrev_b32_e32 v0, 16, v0
	s_delay_alu instid0(VALU_DEP_1)
	v_cvt_f16_f32_e32 v6, v0
	s_branch .LBB231_899
.LBB231_888:
	s_mov_b32 s1, -1
	s_mov_b32 s12, 0
	s_mov_b32 s7, 0
	;; [unrolled: 1-line block ×3, first 2 shown]
                                        ; implicit-def: $vgpr6
	s_branch .LBB231_962
.LBB231_889:
	s_mov_b32 s14, -1
	s_mov_b32 s12, 0
	s_mov_b32 s6, s0
                                        ; implicit-def: $vgpr6
	s_branch .LBB231_928
.LBB231_890:
	s_mov_b32 s14, -1
	s_mov_b32 s12, 0
	s_mov_b32 s6, s0
                                        ; implicit-def: $vgpr6
	s_branch .LBB231_909
.LBB231_891:
	s_mov_b32 s14, -1
	s_mov_b32 s12, 0
	s_mov_b32 s6, s0
                                        ; implicit-def: $vgpr6
	s_branch .LBB231_904
.LBB231_892:
	s_and_not1_saveexec_b32 s31, s31
	s_cbranch_execz .LBB231_770
.LBB231_893:
	v_add_f32_e64 v5, 0x46000000, |v4|
	s_and_not1_b32 s30, s30, exec_lo
	s_delay_alu instid0(VALU_DEP_1) | instskip(NEXT) | instid1(VALU_DEP_1)
	v_and_b32_e32 v5, 0xff, v5
	v_cmp_ne_u32_e32 vcc_lo, 0, v5
	s_and_b32 s49, vcc_lo, exec_lo
	s_delay_alu instid0(SALU_CYCLE_1)
	s_or_b32 s30, s30, s49
	s_or_b32 exec_lo, exec_lo, s31
	v_mov_b32_e32 v6, 0
	s_and_saveexec_b32 s31, s30
	s_cbranch_execnz .LBB231_771
	s_branch .LBB231_772
.LBB231_894:
	s_mov_b32 s14, -1
	s_mov_b32 s12, 0
	s_mov_b32 s6, s0
	s_branch .LBB231_898
.LBB231_895:
	s_and_not1_saveexec_b32 s31, s31
	s_cbranch_execz .LBB231_783
.LBB231_896:
	v_add_f32_e64 v5, 0x42800000, |v4|
	s_and_not1_b32 s30, s30, exec_lo
	s_delay_alu instid0(VALU_DEP_1) | instskip(NEXT) | instid1(VALU_DEP_1)
	v_and_b32_e32 v5, 0xff, v5
	v_cmp_ne_u32_e32 vcc_lo, 0, v5
	s_and_b32 s49, vcc_lo, exec_lo
	s_delay_alu instid0(SALU_CYCLE_1)
	s_or_b32 s30, s30, s49
	s_or_b32 exec_lo, exec_lo, s31
	v_mov_b32_e32 v6, 0
	s_and_saveexec_b32 s31, s30
	s_cbranch_execnz .LBB231_784
	s_branch .LBB231_785
.LBB231_897:
	s_mov_b32 s6, -1
	s_mov_b32 s12, 0
.LBB231_898:
                                        ; implicit-def: $vgpr6
.LBB231_899:
	s_and_b32 vcc_lo, exec_lo, s14
	s_cbranch_vccz .LBB231_903
; %bb.900:
	s_cmp_eq_u32 s1, 44
	s_cbranch_scc0 .LBB231_902
; %bb.901:
	global_load_u8 v0, v[4:5], off
	s_mov_b32 s6, 0
	s_mov_b32 s12, -1
	s_wait_loadcnt 0x0
	v_lshlrev_b32_e32 v1, 23, v0
	v_cmp_ne_u32_e32 vcc_lo, 0xff, v0
	s_delay_alu instid0(VALU_DEP_2) | instskip(NEXT) | instid1(VALU_DEP_1)
	v_cvt_f16_f32_e32 v1, v1
	v_cndmask_b32_e32 v1, 0x7e00, v1, vcc_lo
	v_cmp_ne_u32_e32 vcc_lo, 0, v0
	s_delay_alu instid0(VALU_DEP_2)
	v_cndmask_b32_e32 v6, 0, v1, vcc_lo
	s_branch .LBB231_903
.LBB231_902:
	s_mov_b32 s6, -1
                                        ; implicit-def: $vgpr6
.LBB231_903:
	s_mov_b32 s14, 0
.LBB231_904:
	s_delay_alu instid0(SALU_CYCLE_1)
	s_and_b32 vcc_lo, exec_lo, s14
	s_cbranch_vccz .LBB231_908
; %bb.905:
	s_cmp_eq_u32 s1, 29
	s_cbranch_scc0 .LBB231_907
; %bb.906:
	s_wait_loadcnt 0x0
	global_load_b64 v[0:1], v[4:5], off
	s_mov_b32 s6, 0
	s_mov_b32 s12, -1
	s_mov_b32 s14, 0
	s_wait_loadcnt 0x0
	v_clz_i32_u32_e32 v3, v1
	s_delay_alu instid0(VALU_DEP_1) | instskip(NEXT) | instid1(VALU_DEP_1)
	v_min_u32_e32 v3, 32, v3
	v_lshlrev_b64_e32 v[0:1], v3, v[0:1]
	s_delay_alu instid0(VALU_DEP_1) | instskip(NEXT) | instid1(VALU_DEP_1)
	v_min_u32_e32 v0, 1, v0
	v_dual_sub_nc_u32 v1, 32, v3 :: v_dual_bitop2_b32 v0, v1, v0 bitop3:0x54
	s_delay_alu instid0(VALU_DEP_1) | instskip(NEXT) | instid1(VALU_DEP_1)
	v_cvt_f32_u32_e32 v0, v0
	v_ldexp_f32 v0, v0, v1
	s_delay_alu instid0(VALU_DEP_1)
	v_cvt_f16_f32_e32 v6, v0
	s_branch .LBB231_909
.LBB231_907:
	s_mov_b32 s6, -1
                                        ; implicit-def: $vgpr6
.LBB231_908:
	s_mov_b32 s14, 0
.LBB231_909:
	s_delay_alu instid0(SALU_CYCLE_1)
	s_and_b32 vcc_lo, exec_lo, s14
	s_cbranch_vccz .LBB231_927
; %bb.910:
	s_cmp_lt_i32 s1, 27
	s_cbranch_scc1 .LBB231_913
; %bb.911:
	s_cmp_gt_i32 s1, 27
	s_cbranch_scc0 .LBB231_914
; %bb.912:
	global_load_b32 v0, v[4:5], off
	s_mov_b32 s12, 0
	s_wait_loadcnt 0x0
	v_cvt_f32_u32_e32 v0, v0
	s_delay_alu instid0(VALU_DEP_1)
	v_cvt_f16_f32_e32 v6, v0
	s_branch .LBB231_915
.LBB231_913:
	s_mov_b32 s12, -1
                                        ; implicit-def: $vgpr6
	s_branch .LBB231_918
.LBB231_914:
	s_mov_b32 s12, -1
                                        ; implicit-def: $vgpr6
.LBB231_915:
	s_delay_alu instid0(SALU_CYCLE_1)
	s_and_not1_b32 vcc_lo, exec_lo, s12
	s_cbranch_vccnz .LBB231_917
; %bb.916:
	global_load_u16 v0, v[4:5], off
	s_wait_loadcnt 0x0
	v_cvt_f16_u16_e32 v6, v0
.LBB231_917:
	s_mov_b32 s12, 0
.LBB231_918:
	s_delay_alu instid0(SALU_CYCLE_1)
	s_and_not1_b32 vcc_lo, exec_lo, s12
	s_cbranch_vccnz .LBB231_926
; %bb.919:
	global_load_u8 v0, v[4:5], off
	s_mov_b32 s12, 0
	s_mov_b32 s14, exec_lo
	s_wait_loadcnt 0x0
	v_cmpx_lt_i16_e32 0x7f, v0
	s_xor_b32 s14, exec_lo, s14
	s_cbranch_execz .LBB231_940
; %bb.920:
	s_mov_b32 s12, -1
	s_mov_b32 s15, exec_lo
	v_cmpx_eq_u16_e32 0x80, v0
; %bb.921:
	s_xor_b32 s12, exec_lo, -1
; %bb.922:
	s_or_b32 exec_lo, exec_lo, s15
	s_delay_alu instid0(SALU_CYCLE_1)
	s_and_b32 s12, s12, exec_lo
	s_or_saveexec_b32 s14, s14
	v_mov_b32_e32 v6, 0x7e00
	s_xor_b32 exec_lo, exec_lo, s14
	s_cbranch_execnz .LBB231_941
.LBB231_923:
	s_or_b32 exec_lo, exec_lo, s14
	s_and_saveexec_b32 s14, s12
	s_cbranch_execz .LBB231_925
.LBB231_924:
	v_and_b32_e32 v1, 0xffff, v0
	s_delay_alu instid0(VALU_DEP_1) | instskip(SKIP_1) | instid1(VALU_DEP_2)
	v_and_b32_e32 v3, 7, v1
	v_bfe_u32 v8, v1, 3, 4
	v_clz_i32_u32_e32 v6, v3
	s_delay_alu instid0(VALU_DEP_2) | instskip(NEXT) | instid1(VALU_DEP_2)
	v_cmp_eq_u32_e32 vcc_lo, 0, v8
	v_min_u32_e32 v6, 32, v6
	s_delay_alu instid0(VALU_DEP_1) | instskip(NEXT) | instid1(VALU_DEP_1)
	v_subrev_nc_u32_e32 v7, 28, v6
	v_dual_lshlrev_b32 v1, v7, v1 :: v_dual_sub_nc_u32 v6, 29, v6
	s_delay_alu instid0(VALU_DEP_1) | instskip(NEXT) | instid1(VALU_DEP_1)
	v_dual_lshlrev_b32 v0, 24, v0 :: v_dual_bitop2_b32 v1, 7, v1 bitop3:0x40
	v_dual_cndmask_b32 v6, v8, v6 :: v_dual_cndmask_b32 v1, v3, v1
	s_delay_alu instid0(VALU_DEP_2) | instskip(NEXT) | instid1(VALU_DEP_2)
	v_and_b32_e32 v0, 0x80000000, v0
	v_lshl_add_u32 v3, v6, 23, 0x3b800000
	s_delay_alu instid0(VALU_DEP_3) | instskip(NEXT) | instid1(VALU_DEP_1)
	v_lshlrev_b32_e32 v1, 20, v1
	v_or3_b32 v0, v0, v3, v1
	s_delay_alu instid0(VALU_DEP_1)
	v_cvt_f16_f32_e32 v6, v0
.LBB231_925:
	s_or_b32 exec_lo, exec_lo, s14
.LBB231_926:
	s_mov_b32 s12, -1
.LBB231_927:
	s_mov_b32 s14, 0
.LBB231_928:
	s_delay_alu instid0(SALU_CYCLE_1)
	s_and_b32 vcc_lo, exec_lo, s14
	s_cbranch_vccz .LBB231_961
; %bb.929:
	s_cmp_gt_i32 s1, 22
	s_cbranch_scc0 .LBB231_939
; %bb.930:
	s_cmp_lt_i32 s1, 24
	s_cbranch_scc1 .LBB231_942
; %bb.931:
	s_cmp_gt_i32 s1, 24
	s_cbranch_scc0 .LBB231_943
; %bb.932:
	global_load_u8 v0, v[4:5], off
	s_mov_b32 s12, exec_lo
	s_wait_loadcnt 0x0
	v_cmpx_lt_i16_e32 0x7f, v0
	s_xor_b32 s12, exec_lo, s12
	s_cbranch_execz .LBB231_955
; %bb.933:
	s_mov_b32 s7, -1
	s_mov_b32 s14, exec_lo
	v_cmpx_eq_u16_e32 0x80, v0
; %bb.934:
	s_xor_b32 s7, exec_lo, -1
; %bb.935:
	s_or_b32 exec_lo, exec_lo, s14
	s_delay_alu instid0(SALU_CYCLE_1)
	s_and_b32 s7, s7, exec_lo
	s_or_saveexec_b32 s12, s12
	v_mov_b32_e32 v6, 0x7e00
	s_xor_b32 exec_lo, exec_lo, s12
	s_cbranch_execnz .LBB231_956
.LBB231_936:
	s_or_b32 exec_lo, exec_lo, s12
	s_and_saveexec_b32 s12, s7
	s_cbranch_execz .LBB231_938
.LBB231_937:
	v_and_b32_e32 v1, 0xffff, v0
	s_delay_alu instid0(VALU_DEP_1) | instskip(SKIP_1) | instid1(VALU_DEP_2)
	v_and_b32_e32 v3, 3, v1
	v_bfe_u32 v8, v1, 2, 5
	v_clz_i32_u32_e32 v6, v3
	s_delay_alu instid0(VALU_DEP_2) | instskip(NEXT) | instid1(VALU_DEP_2)
	v_cmp_eq_u32_e32 vcc_lo, 0, v8
	v_min_u32_e32 v6, 32, v6
	s_delay_alu instid0(VALU_DEP_1) | instskip(NEXT) | instid1(VALU_DEP_1)
	v_subrev_nc_u32_e32 v7, 29, v6
	v_dual_lshlrev_b32 v1, v7, v1 :: v_dual_sub_nc_u32 v6, 30, v6
	s_delay_alu instid0(VALU_DEP_1) | instskip(NEXT) | instid1(VALU_DEP_1)
	v_dual_lshlrev_b32 v0, 24, v0 :: v_dual_bitop2_b32 v1, 3, v1 bitop3:0x40
	v_dual_cndmask_b32 v6, v8, v6 :: v_dual_cndmask_b32 v1, v3, v1
	s_delay_alu instid0(VALU_DEP_2) | instskip(NEXT) | instid1(VALU_DEP_2)
	v_and_b32_e32 v0, 0x80000000, v0
	v_lshl_add_u32 v3, v6, 23, 0x37800000
	s_delay_alu instid0(VALU_DEP_3) | instskip(NEXT) | instid1(VALU_DEP_1)
	v_lshlrev_b32_e32 v1, 21, v1
	v_or3_b32 v0, v0, v3, v1
	s_delay_alu instid0(VALU_DEP_1)
	v_cvt_f16_f32_e32 v6, v0
.LBB231_938:
	s_or_b32 exec_lo, exec_lo, s12
	s_mov_b32 s7, 0
	s_branch .LBB231_944
.LBB231_939:
	s_mov_b32 s7, -1
                                        ; implicit-def: $vgpr6
	s_branch .LBB231_950
.LBB231_940:
	s_or_saveexec_b32 s14, s14
	v_mov_b32_e32 v6, 0x7e00
	s_xor_b32 exec_lo, exec_lo, s14
	s_cbranch_execz .LBB231_923
.LBB231_941:
	v_cmp_ne_u16_e32 vcc_lo, 0, v0
	v_mov_b32_e32 v6, v0
	s_and_not1_b32 s12, s12, exec_lo
	s_and_b32 s15, vcc_lo, exec_lo
	s_delay_alu instid0(SALU_CYCLE_1)
	s_or_b32 s12, s12, s15
	s_or_b32 exec_lo, exec_lo, s14
	s_and_saveexec_b32 s14, s12
	s_cbranch_execnz .LBB231_924
	s_branch .LBB231_925
.LBB231_942:
	s_mov_b32 s7, -1
                                        ; implicit-def: $vgpr6
	s_branch .LBB231_947
.LBB231_943:
	s_mov_b32 s7, -1
                                        ; implicit-def: $vgpr6
.LBB231_944:
	s_delay_alu instid0(SALU_CYCLE_1)
	s_and_b32 vcc_lo, exec_lo, s7
	s_cbranch_vccz .LBB231_946
; %bb.945:
	global_load_u8 v0, v[4:5], off
	s_wait_loadcnt 0x0
	v_lshlrev_b32_e32 v0, 24, v0
	s_delay_alu instid0(VALU_DEP_1) | instskip(NEXT) | instid1(VALU_DEP_1)
	v_and_b32_e32 v1, 0x7f000000, v0
	v_clz_i32_u32_e32 v3, v1
	v_add_nc_u32_e32 v7, 0x1000000, v1
	v_cmp_ne_u32_e32 vcc_lo, 0, v1
	s_delay_alu instid0(VALU_DEP_3) | instskip(NEXT) | instid1(VALU_DEP_1)
	v_min_u32_e32 v3, 32, v3
	v_sub_nc_u32_e64 v3, v3, 4 clamp
	s_delay_alu instid0(VALU_DEP_1) | instskip(NEXT) | instid1(VALU_DEP_1)
	v_dual_lshlrev_b32 v6, v3, v1 :: v_dual_lshlrev_b32 v3, 23, v3
	v_lshrrev_b32_e32 v6, 4, v6
	s_delay_alu instid0(VALU_DEP_1) | instskip(SKIP_1) | instid1(VALU_DEP_2)
	v_sub_nc_u32_e32 v3, v6, v3
	v_ashrrev_i32_e32 v6, 8, v7
	v_add_nc_u32_e32 v3, 0x3c000000, v3
	s_delay_alu instid0(VALU_DEP_1) | instskip(NEXT) | instid1(VALU_DEP_1)
	v_and_or_b32 v3, 0x7f800000, v6, v3
	v_cndmask_b32_e32 v1, 0, v3, vcc_lo
	s_delay_alu instid0(VALU_DEP_1) | instskip(NEXT) | instid1(VALU_DEP_1)
	v_and_or_b32 v0, 0x80000000, v0, v1
	v_cvt_f16_f32_e32 v6, v0
.LBB231_946:
	s_mov_b32 s7, 0
.LBB231_947:
	s_delay_alu instid0(SALU_CYCLE_1)
	s_and_not1_b32 vcc_lo, exec_lo, s7
	s_cbranch_vccnz .LBB231_949
; %bb.948:
	global_load_u8 v0, v[4:5], off
	s_wait_loadcnt 0x0
	v_lshlrev_b32_e32 v1, 25, v0
	v_lshlrev_b16 v0, 8, v0
	s_delay_alu instid0(VALU_DEP_1) | instskip(SKIP_1) | instid1(VALU_DEP_2)
	v_and_or_b32 v6, 0x7f00, v0, 0.5
	v_bfe_i32 v0, v0, 0, 16
	v_dual_add_f32 v6, -0.5, v6 :: v_dual_lshrrev_b32 v3, 4, v1
	v_cmp_gt_u32_e32 vcc_lo, 0x8000000, v1
	s_delay_alu instid0(VALU_DEP_2) | instskip(NEXT) | instid1(VALU_DEP_1)
	v_or_b32_e32 v3, 0x70000000, v3
	v_mul_f32_e32 v3, 0x7800000, v3
	s_delay_alu instid0(VALU_DEP_1) | instskip(NEXT) | instid1(VALU_DEP_1)
	v_cndmask_b32_e32 v1, v3, v6, vcc_lo
	v_and_or_b32 v0, 0x80000000, v0, v1
	s_delay_alu instid0(VALU_DEP_1)
	v_cvt_f16_f32_e32 v6, v0
.LBB231_949:
	s_mov_b32 s7, 0
	s_mov_b32 s12, -1
.LBB231_950:
	s_and_not1_b32 vcc_lo, exec_lo, s7
	s_mov_b32 s7, 0
	s_cbranch_vccnz .LBB231_961
; %bb.951:
	s_cmp_gt_i32 s1, 14
	s_cbranch_scc0 .LBB231_954
; %bb.952:
	s_cmp_eq_u32 s1, 15
	s_cbranch_scc0 .LBB231_957
; %bb.953:
	global_load_u16 v0, v[4:5], off
	s_mov_b32 s6, 0
	s_mov_b32 s12, -1
	s_wait_loadcnt 0x0
	v_lshlrev_b32_e32 v0, 16, v0
	s_delay_alu instid0(VALU_DEP_1)
	v_cvt_f16_f32_e32 v6, v0
	s_branch .LBB231_959
.LBB231_954:
	s_mov_b32 s7, -1
	s_branch .LBB231_958
.LBB231_955:
	s_or_saveexec_b32 s12, s12
	v_mov_b32_e32 v6, 0x7e00
	s_xor_b32 exec_lo, exec_lo, s12
	s_cbranch_execz .LBB231_936
.LBB231_956:
	v_cmp_ne_u16_e32 vcc_lo, 0, v0
	v_mov_b32_e32 v6, v0
	s_and_not1_b32 s7, s7, exec_lo
	s_and_b32 s14, vcc_lo, exec_lo
	s_delay_alu instid0(SALU_CYCLE_1)
	s_or_b32 s7, s7, s14
	s_or_b32 exec_lo, exec_lo, s12
	s_and_saveexec_b32 s12, s7
	s_cbranch_execnz .LBB231_937
	s_branch .LBB231_938
.LBB231_957:
	s_mov_b32 s6, -1
.LBB231_958:
                                        ; implicit-def: $vgpr6
.LBB231_959:
	s_and_b32 vcc_lo, exec_lo, s7
	s_mov_b32 s7, 0
	s_cbranch_vccz .LBB231_961
; %bb.960:
	s_cmp_lg_u32 s1, 11
	s_mov_b32 s7, -1
	s_cselect_b32 s1, -1, 0
	s_and_not1_b32 s6, s6, exec_lo
	s_and_b32 s1, s1, exec_lo
	s_delay_alu instid0(SALU_CYCLE_1)
	s_or_b32 s6, s6, s1
.LBB231_961:
	s_mov_b32 s1, 0
.LBB231_962:
	s_delay_alu instid0(SALU_CYCLE_1)
	s_and_b32 s26, s1, exec_lo
	s_and_not1_b32 s1, s0, exec_lo
	s_and_b32 s6, s6, exec_lo
	s_and_b32 s28, s12, exec_lo
	;; [unrolled: 1-line block ×3, first 2 shown]
	s_or_b32 s29, s1, s6
.LBB231_963:
	s_wait_xcnt 0x0
	s_or_b32 exec_lo, exec_lo, s39
	s_delay_alu instid0(SALU_CYCLE_1)
	s_and_not1_b32 s0, s0, exec_lo
	s_and_b32 s1, s29, exec_lo
	s_and_b32 s28, s28, exec_lo
	;; [unrolled: 1-line block ×4, first 2 shown]
	s_or_b32 s0, s0, s1
.LBB231_964:
	s_or_b32 exec_lo, exec_lo, s31
	s_delay_alu instid0(SALU_CYCLE_1)
	s_and_not1_b32 s1, s46, exec_lo
	s_and_b32 s6, s30, exec_lo
	s_and_b32 s0, s0, exec_lo
	s_or_b32 s46, s1, s6
	s_and_not1_b32 s1, s45, exec_lo
	s_and_b32 s28, s28, exec_lo
	s_and_b32 s26, s26, exec_lo
	;; [unrolled: 1-line block ×3, first 2 shown]
	s_or_b32 s45, s1, s0
.LBB231_965:
	s_or_b32 exec_lo, exec_lo, s47
	s_delay_alu instid0(SALU_CYCLE_1)
	s_and_not1_b32 s0, s42, exec_lo
	s_and_b32 s1, s46, exec_lo
	s_and_b32 s6, s45, exec_lo
	s_or_b32 s42, s0, s1
	s_and_not1_b32 s1, s43, exec_lo
	s_and_b32 s0, s28, exec_lo
	s_and_b32 s26, s26, exec_lo
	;; [unrolled: 1-line block ×3, first 2 shown]
	s_or_b32 s43, s1, s6
	s_or_b32 exec_lo, exec_lo, s44
	s_mov_b32 s1, 0
	s_and_saveexec_b32 s6, s43
	s_cbranch_execz .LBB231_288
.LBB231_966:
	s_mov_b32 s1, exec_lo
	s_and_not1_b32 s21, s21, exec_lo
	s_trap 2
	s_or_b32 exec_lo, exec_lo, s6
	s_and_saveexec_b32 s6, s21
	s_delay_alu instid0(SALU_CYCLE_1)
	s_xor_b32 s6, exec_lo, s6
	s_cbranch_execnz .LBB231_289
.LBB231_967:
	s_or_b32 exec_lo, exec_lo, s6
	s_and_saveexec_b32 s6, s26
	s_cbranch_execz .LBB231_1013
.LBB231_968:
	s_sext_i32_i16 s7, s13
	s_delay_alu instid0(SALU_CYCLE_1)
	s_cmp_lt_i32 s7, 5
	s_cbranch_scc1 .LBB231_973
; %bb.969:
	s_cmp_lt_i32 s7, 8
	s_cbranch_scc1 .LBB231_974
; %bb.970:
	;; [unrolled: 3-line block ×3, first 2 shown]
	s_cmp_gt_i32 s7, 9
	s_cbranch_scc0 .LBB231_976
; %bb.972:
	s_wait_loadcnt 0x0
	global_load_b64 v[0:1], v[4:5], off
	s_mov_b32 s7, 0
	s_wait_loadcnt 0x0
	v_and_or_b32 v0, 0x1ff, v1, v0
	v_lshrrev_b32_e32 v3, 8, v1
	v_bfe_u32 v6, v1, 20, 11
	v_lshrrev_b32_e32 v1, 16, v1
	s_delay_alu instid0(VALU_DEP_4) | instskip(NEXT) | instid1(VALU_DEP_3)
	v_cmp_ne_u32_e32 vcc_lo, 0, v0
	v_sub_nc_u32_e32 v7, 0x3f1, v6
	v_cndmask_b32_e64 v0, 0, 1, vcc_lo
	s_delay_alu instid0(VALU_DEP_1) | instskip(NEXT) | instid1(VALU_DEP_3)
	v_and_or_b32 v0, 0xffe, v3, v0
	v_med3_i32 v3, v7, 0, 13
	s_delay_alu instid0(VALU_DEP_2) | instskip(NEXT) | instid1(VALU_DEP_1)
	v_or_b32_e32 v7, 0x1000, v0
	v_lshrrev_b32_e32 v8, v3, v7
	s_delay_alu instid0(VALU_DEP_1) | instskip(NEXT) | instid1(VALU_DEP_1)
	v_lshlrev_b32_e32 v3, v3, v8
	v_cmp_ne_u32_e32 vcc_lo, v3, v7
	v_cndmask_b32_e64 v3, 0, 1, vcc_lo
	s_delay_alu instid0(VALU_DEP_1) | instskip(SKIP_1) | instid1(VALU_DEP_1)
	v_or_b32_e32 v3, v8, v3
	v_add_nc_u32_e32 v6, 0xfffffc10, v6
	v_lshl_or_b32 v7, v6, 12, v0
	v_cmp_gt_i32_e32 vcc_lo, 1, v6
	s_delay_alu instid0(VALU_DEP_2) | instskip(NEXT) | instid1(VALU_DEP_1)
	v_cndmask_b32_e32 v3, v7, v3, vcc_lo
	v_dual_lshrrev_b32 v3, 2, v3 :: v_dual_bitop2_b32 v7, 7, v3 bitop3:0x40
	s_delay_alu instid0(VALU_DEP_1) | instskip(SKIP_4) | instid1(VALU_DEP_2)
	v_cmp_lt_i32_e32 vcc_lo, 5, v7
	v_cndmask_b32_e64 v8, 0, 1, vcc_lo
	v_cmp_eq_u32_e32 vcc_lo, 3, v7
	v_cndmask_b32_e64 v7, 0, 1, vcc_lo
	v_cmp_ne_u32_e32 vcc_lo, 0, v0
	v_or_b32_e32 v7, v7, v8
	s_delay_alu instid0(VALU_DEP_1) | instskip(NEXT) | instid1(VALU_DEP_1)
	v_dual_mov_b32 v8, 0x7e00 :: v_dual_add_nc_u32 v3, v3, v7
	v_cndmask_b32_e32 v0, 0x7c00, v8, vcc_lo
	v_cmp_gt_i32_e32 vcc_lo, 31, v6
	s_delay_alu instid0(VALU_DEP_3) | instskip(SKIP_1) | instid1(VALU_DEP_2)
	v_cndmask_b32_e32 v3, 0x7c00, v3, vcc_lo
	v_cmp_eq_u32_e32 vcc_lo, 0x40f, v6
	v_cndmask_b32_e32 v0, v3, v0, vcc_lo
	s_delay_alu instid0(VALU_DEP_1)
	v_and_or_b32 v6, 0x8000, v1, v0
	s_branch .LBB231_977
.LBB231_973:
                                        ; implicit-def: $vgpr6
	s_branch .LBB231_994
.LBB231_974:
                                        ; implicit-def: $vgpr6
	s_branch .LBB231_983
.LBB231_975:
	s_mov_b32 s7, -1
                                        ; implicit-def: $vgpr6
	s_branch .LBB231_980
.LBB231_976:
	s_mov_b32 s7, -1
                                        ; implicit-def: $vgpr6
.LBB231_977:
	s_delay_alu instid0(SALU_CYCLE_1)
	s_and_not1_b32 vcc_lo, exec_lo, s7
	s_cbranch_vccnz .LBB231_979
; %bb.978:
	global_load_b32 v0, v[4:5], off
	s_wait_loadcnt 0x0
	v_cvt_f16_f32_e32 v6, v0
.LBB231_979:
	s_mov_b32 s7, 0
.LBB231_980:
	s_delay_alu instid0(SALU_CYCLE_1)
	s_and_not1_b32 vcc_lo, exec_lo, s7
	s_cbranch_vccnz .LBB231_982
; %bb.981:
	global_load_b32 v6, v[4:5], off
.LBB231_982:
	s_cbranch_execnz .LBB231_993
.LBB231_983:
	s_sext_i32_i16 s7, s13
	s_delay_alu instid0(SALU_CYCLE_1)
	s_cmp_lt_i32 s7, 6
	s_cbranch_scc1 .LBB231_986
; %bb.984:
	s_cmp_gt_i32 s7, 6
	s_cbranch_scc0 .LBB231_987
; %bb.985:
	s_wait_loadcnt 0x0
	global_load_b64 v[0:1], v[4:5], off
	s_mov_b32 s7, 0
	s_wait_loadcnt 0x0
	v_and_or_b32 v0, 0x1ff, v1, v0
	v_lshrrev_b32_e32 v3, 8, v1
	v_bfe_u32 v6, v1, 20, 11
	v_lshrrev_b32_e32 v1, 16, v1
	s_delay_alu instid0(VALU_DEP_4) | instskip(NEXT) | instid1(VALU_DEP_3)
	v_cmp_ne_u32_e32 vcc_lo, 0, v0
	v_sub_nc_u32_e32 v7, 0x3f1, v6
	v_cndmask_b32_e64 v0, 0, 1, vcc_lo
	s_delay_alu instid0(VALU_DEP_1) | instskip(NEXT) | instid1(VALU_DEP_3)
	v_and_or_b32 v0, 0xffe, v3, v0
	v_med3_i32 v3, v7, 0, 13
	s_delay_alu instid0(VALU_DEP_2) | instskip(NEXT) | instid1(VALU_DEP_1)
	v_or_b32_e32 v7, 0x1000, v0
	v_lshrrev_b32_e32 v8, v3, v7
	s_delay_alu instid0(VALU_DEP_1) | instskip(NEXT) | instid1(VALU_DEP_1)
	v_lshlrev_b32_e32 v3, v3, v8
	v_cmp_ne_u32_e32 vcc_lo, v3, v7
	v_cndmask_b32_e64 v3, 0, 1, vcc_lo
	s_delay_alu instid0(VALU_DEP_1) | instskip(SKIP_1) | instid1(VALU_DEP_1)
	v_or_b32_e32 v3, v8, v3
	v_add_nc_u32_e32 v6, 0xfffffc10, v6
	v_lshl_or_b32 v7, v6, 12, v0
	v_cmp_gt_i32_e32 vcc_lo, 1, v6
	s_delay_alu instid0(VALU_DEP_2) | instskip(NEXT) | instid1(VALU_DEP_1)
	v_cndmask_b32_e32 v3, v7, v3, vcc_lo
	v_dual_lshrrev_b32 v3, 2, v3 :: v_dual_bitop2_b32 v7, 7, v3 bitop3:0x40
	s_delay_alu instid0(VALU_DEP_1) | instskip(SKIP_4) | instid1(VALU_DEP_2)
	v_cmp_lt_i32_e32 vcc_lo, 5, v7
	v_cndmask_b32_e64 v8, 0, 1, vcc_lo
	v_cmp_eq_u32_e32 vcc_lo, 3, v7
	v_cndmask_b32_e64 v7, 0, 1, vcc_lo
	v_cmp_ne_u32_e32 vcc_lo, 0, v0
	v_or_b32_e32 v7, v7, v8
	s_delay_alu instid0(VALU_DEP_1) | instskip(NEXT) | instid1(VALU_DEP_1)
	v_dual_mov_b32 v8, 0x7e00 :: v_dual_add_nc_u32 v3, v3, v7
	v_cndmask_b32_e32 v0, 0x7c00, v8, vcc_lo
	v_cmp_gt_i32_e32 vcc_lo, 31, v6
	s_delay_alu instid0(VALU_DEP_3) | instskip(SKIP_1) | instid1(VALU_DEP_2)
	v_cndmask_b32_e32 v3, 0x7c00, v3, vcc_lo
	v_cmp_eq_u32_e32 vcc_lo, 0x40f, v6
	v_cndmask_b32_e32 v0, v3, v0, vcc_lo
	s_delay_alu instid0(VALU_DEP_1)
	v_and_or_b32 v6, 0x8000, v1, v0
	s_branch .LBB231_988
.LBB231_986:
	s_mov_b32 s7, -1
                                        ; implicit-def: $vgpr6
	s_branch .LBB231_991
.LBB231_987:
	s_mov_b32 s7, -1
                                        ; implicit-def: $vgpr6
.LBB231_988:
	s_delay_alu instid0(SALU_CYCLE_1)
	s_and_not1_b32 vcc_lo, exec_lo, s7
	s_cbranch_vccnz .LBB231_990
; %bb.989:
	global_load_b32 v0, v[4:5], off
	s_wait_loadcnt 0x0
	v_cvt_f16_f32_e32 v6, v0
.LBB231_990:
	s_mov_b32 s7, 0
.LBB231_991:
	s_delay_alu instid0(SALU_CYCLE_1)
	s_and_not1_b32 vcc_lo, exec_lo, s7
	s_cbranch_vccnz .LBB231_993
; %bb.992:
	s_wait_loadcnt 0x0
	global_load_u16 v6, v[4:5], off
.LBB231_993:
	s_cbranch_execnz .LBB231_1012
.LBB231_994:
	s_sext_i32_i16 s7, s13
	s_delay_alu instid0(SALU_CYCLE_1)
	s_cmp_lt_i32 s7, 2
	s_cbranch_scc1 .LBB231_998
; %bb.995:
	s_cmp_lt_i32 s7, 3
	s_cbranch_scc1 .LBB231_999
; %bb.996:
	s_cmp_gt_i32 s7, 3
	s_cbranch_scc0 .LBB231_1000
; %bb.997:
	s_wait_loadcnt 0x0
	global_load_b64 v[0:1], v[4:5], off
	s_mov_b32 s7, 0
	s_wait_loadcnt 0x0
	v_xor_b32_e32 v3, v0, v1
	v_cls_i32_e32 v6, v1
	s_delay_alu instid0(VALU_DEP_2) | instskip(NEXT) | instid1(VALU_DEP_1)
	v_ashrrev_i32_e32 v3, 31, v3
	v_add_nc_u32_e32 v3, 32, v3
	s_delay_alu instid0(VALU_DEP_1) | instskip(NEXT) | instid1(VALU_DEP_1)
	v_add_min_u32_e64 v3, v6, -1, v3
	v_lshlrev_b64_e32 v[0:1], v3, v[0:1]
	s_delay_alu instid0(VALU_DEP_1) | instskip(NEXT) | instid1(VALU_DEP_1)
	v_min_u32_e32 v0, 1, v0
	v_dual_sub_nc_u32 v1, 32, v3 :: v_dual_bitop2_b32 v0, v1, v0 bitop3:0x54
	s_delay_alu instid0(VALU_DEP_1) | instskip(NEXT) | instid1(VALU_DEP_1)
	v_cvt_f32_i32_e32 v0, v0
	v_ldexp_f32 v0, v0, v1
	s_delay_alu instid0(VALU_DEP_1)
	v_cvt_f16_f32_e32 v6, v0
	s_branch .LBB231_1001
.LBB231_998:
                                        ; implicit-def: $vgpr6
	s_branch .LBB231_1007
.LBB231_999:
	s_mov_b32 s7, -1
                                        ; implicit-def: $vgpr6
	s_branch .LBB231_1004
.LBB231_1000:
	s_mov_b32 s7, -1
                                        ; implicit-def: $vgpr6
.LBB231_1001:
	s_delay_alu instid0(SALU_CYCLE_1)
	s_and_not1_b32 vcc_lo, exec_lo, s7
	s_cbranch_vccnz .LBB231_1003
; %bb.1002:
	global_load_b32 v0, v[4:5], off
	s_wait_loadcnt 0x0
	v_cvt_f32_i32_e32 v0, v0
	s_delay_alu instid0(VALU_DEP_1)
	v_cvt_f16_f32_e32 v6, v0
.LBB231_1003:
	s_mov_b32 s7, 0
.LBB231_1004:
	s_delay_alu instid0(SALU_CYCLE_1)
	s_and_not1_b32 vcc_lo, exec_lo, s7
	s_cbranch_vccnz .LBB231_1006
; %bb.1005:
	global_load_u16 v0, v[4:5], off
	s_wait_loadcnt 0x0
	v_cvt_f16_i16_e32 v6, v0
.LBB231_1006:
	s_cbranch_execnz .LBB231_1012
.LBB231_1007:
	s_sext_i32_i16 s7, s13
	s_delay_alu instid0(SALU_CYCLE_1)
	s_cmp_gt_i32 s7, 0
	s_mov_b32 s7, 0
	s_cbranch_scc0 .LBB231_1009
; %bb.1008:
	global_load_i8 v0, v[4:5], off
	s_wait_loadcnt 0x0
	v_cvt_f16_i16_e32 v6, v0
	s_branch .LBB231_1010
.LBB231_1009:
	s_mov_b32 s7, -1
                                        ; implicit-def: $vgpr6
.LBB231_1010:
	s_delay_alu instid0(SALU_CYCLE_1)
	s_and_not1_b32 vcc_lo, exec_lo, s7
	s_cbranch_vccnz .LBB231_1012
; %bb.1011:
	global_load_u8 v0, v[4:5], off
	s_wait_loadcnt 0x0
	v_cvt_f16_u16_e32 v6, v0
.LBB231_1012:
	s_or_b32 s0, s0, exec_lo
.LBB231_1013:
	s_wait_xcnt 0x0
	s_or_b32 exec_lo, exec_lo, s6
	s_mov_b32 s13, 0
	s_mov_b32 s12, 0
                                        ; implicit-def: $sgpr6
                                        ; implicit-def: $vgpr0_vgpr1
	s_and_saveexec_b32 s7, s0
	s_cbranch_execz .LBB231_1020
; %bb.1014:
	s_mov_b32 s0, exec_lo
	s_wait_loadcnt 0x0
	v_cmpx_o_f16_e32 v6, v6
	s_cbranch_execz .LBB231_1028
; %bb.1015:
	v_cvt_f32_f16_e32 v0, v6
	s_cmp_lt_i32 s8, 1
	s_mov_b32 s6, 0
	s_cbranch_scc1 .LBB231_1023
; %bb.1016:
	s_cmp_eq_u32 s8, 1
	s_cbranch_scc0 .LBB231_1024
; %bb.1017:
	v_max_num_f32_e64 v1, s9, s9
	v_max_num_f32_e32 v3, v0, v0
	s_delay_alu instid0(VALU_DEP_1) | instskip(NEXT) | instid1(VALU_DEP_1)
	v_min_num_f32_e32 v1, v3, v1
	v_cvt_f16_f32_e32 v6, v1
	s_and_b32 vcc_lo, exec_lo, s13
	s_cbranch_vccnz .LBB231_1025
.LBB231_1018:
	s_and_not1_b32 vcc_lo, exec_lo, s12
	s_cbranch_vccnz .LBB231_1026
.LBB231_1019:
	v_max_num_f32_e64 v1, s9, s9
	v_max_num_f32_e32 v3, v0, v0
	v_max_num_f32_e64 v4, s10, s10
	s_delay_alu instid0(VALU_DEP_1) | instskip(NEXT) | instid1(VALU_DEP_1)
	v_maxmin_num_f32 v1, v3, v1, v4
	v_cvt_f16_f32_e32 v6, v1
	s_cbranch_execz .LBB231_1027
	s_branch .LBB231_1028
.LBB231_1020:
	s_or_b32 exec_lo, exec_lo, s7
	s_and_saveexec_b32 s0, s42
	s_cbranch_execnz .LBB231_1105
.LBB231_1021:
	s_or_b32 exec_lo, exec_lo, s0
	s_and_saveexec_b32 s0, s13
	s_delay_alu instid0(SALU_CYCLE_1)
	s_xor_b32 s0, exec_lo, s0
	s_cbranch_execz .LBB231_1106
.LBB231_1022:
	s_wait_loadcnt 0x0
	v_and_b32_e32 v2, 0x7fff, v6
	s_delay_alu instid0(VALU_DEP_1)
	v_cmp_ne_u16_e32 vcc_lo, 0, v2
	v_cndmask_b32_e64 v2, 0, 1, vcc_lo
	global_store_b8 v[0:1], v2, off
	s_wait_xcnt 0x0
	s_or_b32 exec_lo, exec_lo, s0
	s_and_saveexec_b32 s0, s12
	s_delay_alu instid0(SALU_CYCLE_1)
	s_xor_b32 s0, exec_lo, s0
	s_cbranch_execz .LBB231_1144
	s_branch .LBB231_1107
.LBB231_1023:
                                        ; implicit-def: $vgpr6
	s_cbranch_execnz .LBB231_1025
	s_branch .LBB231_1018
.LBB231_1024:
	s_mov_b32 s12, -1
                                        ; implicit-def: $vgpr6
	s_and_b32 vcc_lo, exec_lo, s13
	s_cbranch_vccz .LBB231_1018
.LBB231_1025:
	s_cmp_lg_u32 s8, 0
	s_mov_b32 s6, -1
	s_cselect_b32 s12, -1, 0
	s_delay_alu instid0(SALU_CYCLE_1)
	s_and_not1_b32 vcc_lo, exec_lo, s12
	s_cbranch_vccz .LBB231_1019
.LBB231_1026:
	s_and_not1_b32 vcc_lo, exec_lo, s6
	s_cbranch_vccnz .LBB231_1028
.LBB231_1027:
	v_max_num_f32_e64 v1, s9, s9
	v_max_num_f32_e32 v0, v0, v0
	s_delay_alu instid0(VALU_DEP_1) | instskip(NEXT) | instid1(VALU_DEP_1)
	v_max_num_f32_e32 v0, v0, v1
	v_cvt_f16_f32_e32 v6, v0
.LBB231_1028:
	s_or_b32 exec_lo, exec_lo, s0
	v_mov_b32_e32 v3, 0
	s_and_b32 s6, s11, 0xff
	s_delay_alu instid0(SALU_CYCLE_1) | instskip(NEXT) | instid1(VALU_DEP_1)
	s_cmp_lt_i32 s6, 11
	v_add_nc_u64_e32 v[0:1], s[4:5], v[2:3]
	s_cbranch_scc1 .LBB231_1035
; %bb.1029:
	s_and_b32 s4, 0xffff, s6
	s_mov_b32 s5, -1
	s_cmp_gt_i32 s4, 25
	s_mov_b32 s0, s42
	s_cbranch_scc0 .LBB231_1063
; %bb.1030:
	s_cmp_gt_i32 s4, 28
	s_mov_b32 s0, s42
	s_cbranch_scc0 .LBB231_1047
; %bb.1031:
	;; [unrolled: 4-line block ×4, first 2 shown]
	s_cmp_eq_u32 s4, 46
	s_mov_b32 s0, -1
	s_cbranch_scc0 .LBB231_1036
; %bb.1034:
	v_cvt_f32_f16_e32 v2, v6
	v_cmp_o_f16_e32 vcc_lo, v6, v6
	s_mov_b32 s0, 0
	s_mov_b32 s5, 0
	s_delay_alu instid0(VALU_DEP_2) | instskip(NEXT) | instid1(VALU_DEP_1)
	v_bfe_u32 v3, v2, 16, 1
	v_add3_u32 v2, v2, v3, 0x7fff
	s_delay_alu instid0(VALU_DEP_1) | instskip(NEXT) | instid1(VALU_DEP_1)
	v_lshrrev_b32_e32 v2, 16, v2
	v_cndmask_b32_e32 v2, 0x7fc0, v2, vcc_lo
	global_store_b32 v[0:1], v2, off
	s_branch .LBB231_1037
.LBB231_1035:
	s_mov_b32 s8, 0
	s_mov_b32 s5, -1
	s_mov_b32 s0, s42
	s_branch .LBB231_1104
.LBB231_1036:
	s_mov_b32 s5, 0
.LBB231_1037:
	s_delay_alu instid0(SALU_CYCLE_1)
	s_and_b32 vcc_lo, exec_lo, s5
	s_cbranch_vccz .LBB231_1042
; %bb.1038:
	s_cmp_eq_u32 s4, 44
	s_mov_b32 s0, -1
	s_cbranch_scc0 .LBB231_1042
; %bb.1039:
	s_wait_xcnt 0x0
	v_cvt_f32_f16_e32 v2, v6
	v_mov_b32_e32 v3, 0xff
	s_mov_b32 s5, exec_lo
	s_delay_alu instid0(VALU_DEP_2) | instskip(NEXT) | instid1(VALU_DEP_1)
	v_bfe_u32 v4, v2, 23, 8
	v_cmpx_ne_u32_e32 0xff, v4
	s_cbranch_execz .LBB231_1041
; %bb.1040:
	v_and_b32_e32 v3, 0x400000, v2
	v_and_or_b32 v4, 0x3fffff, v2, v4
	v_lshrrev_b32_e32 v2, 23, v2
	s_delay_alu instid0(VALU_DEP_3) | instskip(NEXT) | instid1(VALU_DEP_3)
	v_cmp_ne_u32_e32 vcc_lo, 0, v3
	v_cmp_ne_u32_e64 s0, 0, v4
	s_and_b32 s0, vcc_lo, s0
	s_delay_alu instid0(SALU_CYCLE_1) | instskip(NEXT) | instid1(VALU_DEP_1)
	v_cndmask_b32_e64 v3, 0, 1, s0
	v_add_nc_u32_e32 v3, v2, v3
.LBB231_1041:
	s_or_b32 exec_lo, exec_lo, s5
	s_mov_b32 s0, 0
	global_store_b8 v[0:1], v3, off
.LBB231_1042:
	s_mov_b32 s5, 0
.LBB231_1043:
	s_delay_alu instid0(SALU_CYCLE_1)
	s_and_b32 vcc_lo, exec_lo, s5
	s_cbranch_vccz .LBB231_1046
; %bb.1044:
	s_cmp_eq_u32 s4, 29
	s_mov_b32 s0, -1
	s_cbranch_scc0 .LBB231_1046
; %bb.1045:
	s_wait_xcnt 0x0
	v_cvt_f32_f16_e32 v2, v6
	v_mov_b32_e32 v3, 0
	s_mov_b32 s0, 0
	s_mov_b32 s5, 0
	s_delay_alu instid0(VALU_DEP_2)
	v_cvt_u32_f32_e32 v2, v2
	global_store_b64 v[0:1], v[2:3], off
	s_branch .LBB231_1047
.LBB231_1046:
	s_mov_b32 s5, 0
.LBB231_1047:
	s_delay_alu instid0(SALU_CYCLE_1)
	s_and_b32 vcc_lo, exec_lo, s5
	s_cbranch_vccz .LBB231_1062
; %bb.1048:
	s_cmp_lt_i32 s4, 27
	s_mov_b32 s5, -1
	s_cbranch_scc1 .LBB231_1054
; %bb.1049:
	s_cmp_gt_i32 s4, 27
	s_cbranch_scc0 .LBB231_1051
; %bb.1050:
	s_wait_xcnt 0x0
	v_cvt_f32_f16_e32 v2, v6
	s_mov_b32 s5, 0
	s_delay_alu instid0(VALU_DEP_1)
	v_cvt_u32_f32_e32 v2, v2
	global_store_b32 v[0:1], v2, off
.LBB231_1051:
	s_and_not1_b32 vcc_lo, exec_lo, s5
	s_cbranch_vccnz .LBB231_1053
; %bb.1052:
	s_wait_xcnt 0x0
	v_cvt_u16_f16_e32 v2, v6
	global_store_b16 v[0:1], v2, off
.LBB231_1053:
	s_mov_b32 s5, 0
.LBB231_1054:
	s_delay_alu instid0(SALU_CYCLE_1)
	s_and_not1_b32 vcc_lo, exec_lo, s5
	s_cbranch_vccnz .LBB231_1062
; %bb.1055:
	s_wait_xcnt 0x0
	v_cvt_f32_f16_e32 v2, v6
	v_mov_b32_e32 v4, 0x80
	s_mov_b32 s5, exec_lo
	s_delay_alu instid0(VALU_DEP_2) | instskip(NEXT) | instid1(VALU_DEP_1)
	v_and_b32_e32 v3, 0x7fffffff, v2
	v_cmpx_gt_u32_e32 0x43800000, v3
	s_cbranch_execz .LBB231_1061
; %bb.1056:
	v_cmp_lt_u32_e32 vcc_lo, 0x3bffffff, v3
	s_mov_b32 s8, 0
                                        ; implicit-def: $vgpr3
	s_and_saveexec_b32 s9, vcc_lo
	s_delay_alu instid0(SALU_CYCLE_1)
	s_xor_b32 s9, exec_lo, s9
	s_cbranch_execz .LBB231_1219
; %bb.1057:
	v_bfe_u32 v3, v2, 20, 1
	s_mov_b32 s8, exec_lo
	s_delay_alu instid0(VALU_DEP_1) | instskip(NEXT) | instid1(VALU_DEP_1)
	v_add3_u32 v3, v2, v3, 0x487ffff
	v_lshrrev_b32_e32 v3, 20, v3
	s_and_not1_saveexec_b32 s9, s9
	s_cbranch_execnz .LBB231_1220
.LBB231_1058:
	s_or_b32 exec_lo, exec_lo, s9
	v_mov_b32_e32 v4, 0
	s_and_saveexec_b32 s9, s8
.LBB231_1059:
	v_lshrrev_b32_e32 v2, 24, v2
	s_delay_alu instid0(VALU_DEP_1)
	v_and_or_b32 v4, 0x80, v2, v3
.LBB231_1060:
	s_or_b32 exec_lo, exec_lo, s9
.LBB231_1061:
	s_delay_alu instid0(SALU_CYCLE_1)
	s_or_b32 exec_lo, exec_lo, s5
	global_store_b8 v[0:1], v4, off
.LBB231_1062:
	s_mov_b32 s5, 0
.LBB231_1063:
	s_delay_alu instid0(SALU_CYCLE_1)
	s_and_b32 vcc_lo, exec_lo, s5
	s_mov_b32 s5, 0
	s_cbranch_vccz .LBB231_1103
; %bb.1064:
	s_cmp_gt_i32 s4, 22
	s_mov_b32 s8, -1
	s_cbranch_scc0 .LBB231_1096
; %bb.1065:
	s_cmp_lt_i32 s4, 24
	s_cbranch_scc1 .LBB231_1085
; %bb.1066:
	s_cmp_gt_i32 s4, 24
	s_cbranch_scc0 .LBB231_1074
; %bb.1067:
	s_wait_xcnt 0x0
	v_cvt_f32_f16_e32 v2, v6
	v_mov_b32_e32 v4, 0x80
	s_mov_b32 s8, exec_lo
	s_delay_alu instid0(VALU_DEP_2) | instskip(NEXT) | instid1(VALU_DEP_1)
	v_and_b32_e32 v3, 0x7fffffff, v2
	v_cmpx_gt_u32_e32 0x47800000, v3
	s_cbranch_execz .LBB231_1073
; %bb.1068:
	v_cmp_lt_u32_e32 vcc_lo, 0x37ffffff, v3
	s_mov_b32 s9, 0
                                        ; implicit-def: $vgpr3
	s_and_saveexec_b32 s10, vcc_lo
	s_delay_alu instid0(SALU_CYCLE_1)
	s_xor_b32 s10, exec_lo, s10
	s_cbranch_execz .LBB231_1357
; %bb.1069:
	v_bfe_u32 v3, v2, 21, 1
	s_mov_b32 s9, exec_lo
	s_delay_alu instid0(VALU_DEP_1) | instskip(NEXT) | instid1(VALU_DEP_1)
	v_add3_u32 v3, v2, v3, 0x88fffff
	v_lshrrev_b32_e32 v3, 21, v3
	s_and_not1_saveexec_b32 s10, s10
	s_cbranch_execnz .LBB231_1358
.LBB231_1070:
	s_or_b32 exec_lo, exec_lo, s10
	v_mov_b32_e32 v4, 0
	s_and_saveexec_b32 s10, s9
.LBB231_1071:
	v_lshrrev_b32_e32 v2, 24, v2
	s_delay_alu instid0(VALU_DEP_1)
	v_and_or_b32 v4, 0x80, v2, v3
.LBB231_1072:
	s_or_b32 exec_lo, exec_lo, s10
.LBB231_1073:
	s_delay_alu instid0(SALU_CYCLE_1)
	s_or_b32 exec_lo, exec_lo, s8
	s_mov_b32 s8, 0
	global_store_b8 v[0:1], v4, off
.LBB231_1074:
	s_and_b32 vcc_lo, exec_lo, s8
	s_cbranch_vccz .LBB231_1084
; %bb.1075:
	s_wait_xcnt 0x0
	v_cvt_f32_f16_e32 v2, v6
	s_mov_b32 s8, exec_lo
                                        ; implicit-def: $vgpr3
	s_delay_alu instid0(VALU_DEP_1) | instskip(NEXT) | instid1(VALU_DEP_1)
	v_and_b32_e32 v4, 0x7fffffff, v2
	v_cmpx_gt_u32_e32 0x43f00000, v4
	s_xor_b32 s8, exec_lo, s8
	s_cbranch_execz .LBB231_1081
; %bb.1076:
	s_mov_b32 s9, exec_lo
                                        ; implicit-def: $vgpr3
	v_cmpx_lt_u32_e32 0x3c7fffff, v4
	s_xor_b32 s9, exec_lo, s9
; %bb.1077:
	v_bfe_u32 v3, v2, 20, 1
	s_delay_alu instid0(VALU_DEP_1) | instskip(NEXT) | instid1(VALU_DEP_1)
	v_add3_u32 v3, v2, v3, 0x407ffff
	v_and_b32_e32 v4, 0xff00000, v3
	v_lshrrev_b32_e32 v3, 20, v3
	s_delay_alu instid0(VALU_DEP_2) | instskip(NEXT) | instid1(VALU_DEP_2)
	v_cmp_ne_u32_e32 vcc_lo, 0x7f00000, v4
	v_cndmask_b32_e32 v3, 0x7e, v3, vcc_lo
; %bb.1078:
	s_and_not1_saveexec_b32 s9, s9
; %bb.1079:
	v_add_f32_e64 v3, 0x46800000, |v2|
; %bb.1080:
	s_or_b32 exec_lo, exec_lo, s9
                                        ; implicit-def: $vgpr4
.LBB231_1081:
	s_and_not1_saveexec_b32 s8, s8
; %bb.1082:
	v_mov_b32_e32 v3, 0x7f
	v_cmp_lt_u32_e32 vcc_lo, 0x7f800000, v4
	s_delay_alu instid0(VALU_DEP_2)
	v_cndmask_b32_e32 v3, 0x7e, v3, vcc_lo
; %bb.1083:
	s_or_b32 exec_lo, exec_lo, s8
	v_lshrrev_b32_e32 v2, 24, v2
	s_delay_alu instid0(VALU_DEP_1)
	v_and_or_b32 v2, 0x80, v2, v3
	global_store_b8 v[0:1], v2, off
.LBB231_1084:
	s_mov_b32 s8, 0
.LBB231_1085:
	s_delay_alu instid0(SALU_CYCLE_1)
	s_and_not1_b32 vcc_lo, exec_lo, s8
	s_cbranch_vccnz .LBB231_1095
; %bb.1086:
	s_wait_xcnt 0x0
	v_cvt_f32_f16_e32 v2, v6
	s_mov_b32 s8, exec_lo
                                        ; implicit-def: $vgpr3
	s_delay_alu instid0(VALU_DEP_1) | instskip(NEXT) | instid1(VALU_DEP_1)
	v_and_b32_e32 v4, 0x7fffffff, v2
	v_cmpx_gt_u32_e32 0x47800000, v4
	s_xor_b32 s8, exec_lo, s8
	s_cbranch_execz .LBB231_1092
; %bb.1087:
	s_mov_b32 s9, exec_lo
                                        ; implicit-def: $vgpr3
	v_cmpx_lt_u32_e32 0x387fffff, v4
	s_xor_b32 s9, exec_lo, s9
; %bb.1088:
	v_bfe_u32 v3, v2, 21, 1
	s_delay_alu instid0(VALU_DEP_1) | instskip(NEXT) | instid1(VALU_DEP_1)
	v_add3_u32 v3, v2, v3, 0x80fffff
	v_lshrrev_b32_e32 v3, 21, v3
; %bb.1089:
	s_and_not1_saveexec_b32 s9, s9
; %bb.1090:
	v_add_f32_e64 v3, 0x43000000, |v2|
; %bb.1091:
	s_or_b32 exec_lo, exec_lo, s9
                                        ; implicit-def: $vgpr4
.LBB231_1092:
	s_and_not1_saveexec_b32 s8, s8
; %bb.1093:
	v_mov_b32_e32 v3, 0x7f
	v_cmp_lt_u32_e32 vcc_lo, 0x7f800000, v4
	s_delay_alu instid0(VALU_DEP_2)
	v_cndmask_b32_e32 v3, 0x7c, v3, vcc_lo
; %bb.1094:
	s_or_b32 exec_lo, exec_lo, s8
	v_lshrrev_b32_e32 v2, 24, v2
	s_delay_alu instid0(VALU_DEP_1)
	v_and_or_b32 v2, 0x80, v2, v3
	global_store_b8 v[0:1], v2, off
.LBB231_1095:
	s_mov_b32 s8, 0
.LBB231_1096:
	s_delay_alu instid0(SALU_CYCLE_1)
	s_and_not1_b32 vcc_lo, exec_lo, s8
	s_mov_b32 s8, 0
	s_cbranch_vccnz .LBB231_1104
; %bb.1097:
	s_cmp_gt_i32 s4, 14
	s_mov_b32 s8, -1
	s_cbranch_scc0 .LBB231_1101
; %bb.1098:
	s_cmp_eq_u32 s4, 15
	s_mov_b32 s0, -1
	s_cbranch_scc0 .LBB231_1100
; %bb.1099:
	s_wait_xcnt 0x0
	v_cvt_f32_f16_e32 v2, v6
	v_cmp_o_f16_e32 vcc_lo, v6, v6
	s_mov_b32 s0, 0
	s_delay_alu instid0(VALU_DEP_2) | instskip(NEXT) | instid1(VALU_DEP_1)
	v_bfe_u32 v3, v2, 16, 1
	v_add3_u32 v2, v2, v3, 0x7fff
	s_delay_alu instid0(VALU_DEP_1) | instskip(NEXT) | instid1(VALU_DEP_1)
	v_lshrrev_b32_e32 v2, 16, v2
	v_cndmask_b32_e32 v2, 0x7fc0, v2, vcc_lo
	global_store_b16 v[0:1], v2, off
.LBB231_1100:
	s_mov_b32 s8, 0
.LBB231_1101:
	s_delay_alu instid0(SALU_CYCLE_1)
	s_and_b32 vcc_lo, exec_lo, s8
	s_mov_b32 s8, 0
	s_cbranch_vccz .LBB231_1104
; %bb.1102:
	s_cmp_lg_u32 s4, 11
	s_mov_b32 s8, -1
	s_cselect_b32 s4, -1, 0
	s_and_not1_b32 s0, s0, exec_lo
	s_and_b32 s4, s4, exec_lo
	s_delay_alu instid0(SALU_CYCLE_1)
	s_or_b32 s0, s0, s4
	s_branch .LBB231_1104
.LBB231_1103:
	s_mov_b32 s8, 0
.LBB231_1104:
	s_and_not1_b32 s4, s42, exec_lo
	s_and_b32 s0, s0, exec_lo
	s_and_b32 s12, s5, exec_lo
	;; [unrolled: 1-line block ×3, first 2 shown]
	s_or_b32 s42, s4, s0
	s_wait_xcnt 0x0
	s_or_b32 exec_lo, exec_lo, s7
	s_and_saveexec_b32 s0, s42
	s_cbranch_execz .LBB231_1021
.LBB231_1105:
	s_or_b32 s1, s1, exec_lo
	s_and_not1_b32 s13, s13, exec_lo
	s_trap 2
	s_or_b32 exec_lo, exec_lo, s0
	s_and_saveexec_b32 s0, s13
	s_delay_alu instid0(SALU_CYCLE_1)
	s_xor_b32 s0, exec_lo, s0
	s_cbranch_execnz .LBB231_1022
.LBB231_1106:
	s_or_b32 exec_lo, exec_lo, s0
	s_and_saveexec_b32 s0, s12
	s_delay_alu instid0(SALU_CYCLE_1)
	s_xor_b32 s0, exec_lo, s0
	s_cbranch_execz .LBB231_1144
.LBB231_1107:
	s_sext_i32_i16 s5, s6
	s_mov_b32 s4, -1
	s_cmp_lt_i32 s5, 5
	s_cbranch_scc1 .LBB231_1128
; %bb.1108:
	s_cmp_lt_i32 s5, 8
	s_cbranch_scc1 .LBB231_1118
; %bb.1109:
	;; [unrolled: 3-line block ×3, first 2 shown]
	s_cmp_gt_i32 s5, 9
	s_cbranch_scc0 .LBB231_1112
; %bb.1111:
	s_wait_loadcnt 0x0
	v_cvt_f32_f16_e32 v2, v6
	v_mov_b32_e32 v4, 0
	s_mov_b32 s4, 0
	s_delay_alu instid0(VALU_DEP_2) | instskip(NEXT) | instid1(VALU_DEP_2)
	v_cvt_f64_f32_e32 v[2:3], v2
	v_mov_b32_e32 v5, v4
	global_store_b128 v[0:1], v[2:5], off
.LBB231_1112:
	s_and_not1_b32 vcc_lo, exec_lo, s4
	s_cbranch_vccnz .LBB231_1114
; %bb.1113:
	s_wait_loadcnt 0x0
	v_cvt_f32_f16_e32 v2, v6
	v_mov_b32_e32 v3, 0
	global_store_b64 v[0:1], v[2:3], off
.LBB231_1114:
	s_mov_b32 s4, 0
.LBB231_1115:
	s_delay_alu instid0(SALU_CYCLE_1)
	s_and_not1_b32 vcc_lo, exec_lo, s4
	s_cbranch_vccnz .LBB231_1117
; %bb.1116:
	s_wait_loadcnt 0x0
	v_and_b32_e32 v2, 0xffff, v6
	global_store_b32 v[0:1], v2, off
.LBB231_1117:
	s_mov_b32 s4, 0
.LBB231_1118:
	s_delay_alu instid0(SALU_CYCLE_1)
	s_and_not1_b32 vcc_lo, exec_lo, s4
	s_cbranch_vccnz .LBB231_1127
; %bb.1119:
	s_sext_i32_i16 s5, s6
	s_mov_b32 s4, -1
	s_cmp_lt_i32 s5, 6
	s_cbranch_scc1 .LBB231_1125
; %bb.1120:
	s_cmp_gt_i32 s5, 6
	s_cbranch_scc0 .LBB231_1122
; %bb.1121:
	s_wait_loadcnt 0x0
	v_cvt_f32_f16_e32 v2, v6
	s_mov_b32 s4, 0
	s_delay_alu instid0(VALU_DEP_1)
	v_cvt_f64_f32_e32 v[2:3], v2
	global_store_b64 v[0:1], v[2:3], off
.LBB231_1122:
	s_and_not1_b32 vcc_lo, exec_lo, s4
	s_cbranch_vccnz .LBB231_1124
; %bb.1123:
	s_wait_loadcnt 0x0
	v_cvt_f32_f16_e32 v2, v6
	global_store_b32 v[0:1], v2, off
.LBB231_1124:
	s_mov_b32 s4, 0
.LBB231_1125:
	s_delay_alu instid0(SALU_CYCLE_1)
	s_and_not1_b32 vcc_lo, exec_lo, s4
	s_cbranch_vccnz .LBB231_1127
; %bb.1126:
	s_wait_loadcnt 0x0
	global_store_b16 v[0:1], v6, off
.LBB231_1127:
	s_mov_b32 s4, 0
.LBB231_1128:
	s_delay_alu instid0(SALU_CYCLE_1)
	s_and_not1_b32 vcc_lo, exec_lo, s4
	s_cbranch_vccnz .LBB231_1144
; %bb.1129:
	s_sext_i32_i16 s5, s6
	s_mov_b32 s4, -1
	s_cmp_lt_i32 s5, 2
	s_cbranch_scc1 .LBB231_1139
; %bb.1130:
	s_cmp_lt_i32 s5, 3
	s_cbranch_scc1 .LBB231_1136
; %bb.1131:
	s_cmp_gt_i32 s5, 3
	s_cbranch_scc0 .LBB231_1133
; %bb.1132:
	s_wait_loadcnt 0x0
	v_cvt_f32_f16_e32 v2, v6
	s_mov_b32 s4, 0
	s_delay_alu instid0(VALU_DEP_1) | instskip(NEXT) | instid1(VALU_DEP_1)
	v_cvt_i32_f32_e32 v2, v2
	v_ashrrev_i32_e32 v3, 31, v2
	global_store_b64 v[0:1], v[2:3], off
.LBB231_1133:
	s_and_not1_b32 vcc_lo, exec_lo, s4
	s_cbranch_vccnz .LBB231_1135
; %bb.1134:
	s_wait_loadcnt 0x0
	v_cvt_f32_f16_e32 v2, v6
	s_delay_alu instid0(VALU_DEP_1)
	v_cvt_i32_f32_e32 v2, v2
	global_store_b32 v[0:1], v2, off
.LBB231_1135:
	s_mov_b32 s4, 0
.LBB231_1136:
	s_delay_alu instid0(SALU_CYCLE_1)
	s_and_not1_b32 vcc_lo, exec_lo, s4
	s_cbranch_vccnz .LBB231_1138
; %bb.1137:
	s_wait_loadcnt 0x0
	v_cvt_i16_f16_e32 v2, v6
	global_store_b16 v[0:1], v2, off
.LBB231_1138:
	s_mov_b32 s4, 0
.LBB231_1139:
	s_delay_alu instid0(SALU_CYCLE_1)
	s_and_not1_b32 vcc_lo, exec_lo, s4
	s_cbranch_vccnz .LBB231_1144
; %bb.1140:
	s_sext_i32_i16 s4, s6
	s_delay_alu instid0(SALU_CYCLE_1)
	s_cmp_gt_i32 s4, 0
	s_mov_b32 s4, -1
	s_cbranch_scc0 .LBB231_1142
; %bb.1141:
	s_wait_loadcnt 0x0
	v_cvt_i16_f16_e32 v2, v6
	s_mov_b32 s4, 0
	global_store_b8 v[0:1], v2, off
.LBB231_1142:
	s_and_not1_b32 vcc_lo, exec_lo, s4
	s_cbranch_vccnz .LBB231_1144
; %bb.1143:
	s_wait_loadcnt 0x0
	v_cvt_f32_f16_e32 v2, v6
	s_delay_alu instid0(VALU_DEP_1)
	v_cvt_i32_f32_e32 v2, v2
	global_store_b8 v[0:1], v2, off
.LBB231_1144:
	s_wait_xcnt 0x0
	s_or_b32 exec_lo, exec_lo, s0
	s_delay_alu instid0(SALU_CYCLE_1)
	s_and_b32 s8, s1, exec_lo
                                        ; implicit-def: $vgpr9
                                        ; implicit-def: $vgpr0
.LBB231_1145:
	s_or_saveexec_b32 s9, s37
	s_mov_b32 s0, 0
                                        ; implicit-def: $vgpr2_vgpr3
                                        ; implicit-def: $sgpr1
                                        ; implicit-def: $vgpr10
	s_xor_b32 exec_lo, exec_lo, s9
	s_cbranch_execz .LBB231_1765
; %bb.1146:
	s_wait_loadcnt 0x0
	v_cndmask_b32_e64 v1, 0, 1, s36
	s_and_not1_b32 vcc_lo, exec_lo, s36
	s_cbranch_vccnz .LBB231_1152
; %bb.1147:
	s_cmp_lg_u32 s33, 0
	s_mov_b32 s10, 0
	s_cbranch_scc0 .LBB231_1153
; %bb.1148:
	s_min_u32 s1, s34, 15
	s_delay_alu instid0(SALU_CYCLE_1)
	s_add_co_i32 s1, s1, 1
	s_cmp_eq_u32 s34, 2
	s_cbranch_scc1 .LBB231_1154
; %bb.1149:
	v_dual_mov_b32 v6, 0 :: v_dual_mov_b32 v14, 0
	v_mov_b32_e32 v2, v0
	s_and_b32 s0, s1, 28
	s_add_nc_u64 s[4:5], s[2:3], 0xc4
	s_mov_b32 s11, 0
	s_mov_b64 s[6:7], s[2:3]
.LBB231_1150:                           ; =>This Inner Loop Header: Depth=1
	s_clause 0x1
	s_load_b256 s[12:19], s[6:7], 0x4
	s_load_b128 s[28:31], s[6:7], 0x24
	s_load_b256 s[20:27], s[4:5], 0x0
	s_add_co_i32 s11, s11, 4
	s_wait_xcnt 0x0
	s_add_nc_u64 s[6:7], s[6:7], 48
	s_cmp_lg_u32 s0, s11
	s_add_nc_u64 s[4:5], s[4:5], 32
	s_wait_kmcnt 0x0
	v_mul_hi_u32 v3, s13, v2
	s_delay_alu instid0(VALU_DEP_1) | instskip(NEXT) | instid1(VALU_DEP_1)
	v_add_nc_u32_e32 v3, v2, v3
	v_lshrrev_b32_e32 v3, s14, v3
	s_delay_alu instid0(VALU_DEP_1) | instskip(NEXT) | instid1(VALU_DEP_1)
	v_mul_hi_u32 v4, s16, v3
	v_add_nc_u32_e32 v4, v3, v4
	s_delay_alu instid0(VALU_DEP_1) | instskip(NEXT) | instid1(VALU_DEP_1)
	v_lshrrev_b32_e32 v4, s17, v4
	v_mul_hi_u32 v5, s19, v4
	s_delay_alu instid0(VALU_DEP_1) | instskip(SKIP_1) | instid1(VALU_DEP_1)
	v_add_nc_u32_e32 v5, v4, v5
	v_mul_lo_u32 v7, v3, s12
	v_sub_nc_u32_e32 v2, v2, v7
	v_mul_lo_u32 v7, v4, s15
	s_delay_alu instid0(VALU_DEP_4) | instskip(NEXT) | instid1(VALU_DEP_3)
	v_lshrrev_b32_e32 v5, s28, v5
	v_mad_u32 v10, v2, s21, v14
	v_mad_u32 v2, v2, s20, v6
	s_delay_alu instid0(VALU_DEP_4) | instskip(NEXT) | instid1(VALU_DEP_4)
	v_sub_nc_u32_e32 v3, v3, v7
	v_mul_hi_u32 v8, s30, v5
	v_mul_lo_u32 v6, v5, s18
	s_delay_alu instid0(VALU_DEP_1) | instskip(NEXT) | instid1(VALU_DEP_4)
	v_dual_add_nc_u32 v7, v5, v8 :: v_dual_sub_nc_u32 v4, v4, v6
	v_mad_u32 v8, v3, s23, v10
	v_mad_u32 v3, v3, s22, v2
	s_delay_alu instid0(VALU_DEP_3) | instskip(NEXT) | instid1(VALU_DEP_1)
	v_lshrrev_b32_e32 v2, s31, v7
	v_mul_lo_u32 v6, v2, s29
	s_delay_alu instid0(VALU_DEP_4) | instskip(NEXT) | instid1(VALU_DEP_4)
	v_mad_u32 v7, v4, s25, v8
	v_mad_u32 v3, v4, s24, v3
	s_delay_alu instid0(VALU_DEP_3) | instskip(NEXT) | instid1(VALU_DEP_1)
	v_sub_nc_u32_e32 v4, v5, v6
	v_mad_u32 v14, v4, s27, v7
	s_delay_alu instid0(VALU_DEP_3)
	v_mad_u32 v6, v4, s26, v3
	s_cbranch_scc1 .LBB231_1150
; %bb.1151:
	s_delay_alu instid0(VALU_DEP_2)
	v_mov_b32_e32 v7, v14
	s_and_b32 s6, s1, 3
	s_mov_b32 s1, 0
	s_cmp_eq_u32 s6, 0
	s_cbranch_scc0 .LBB231_1155
	s_branch .LBB231_1158
.LBB231_1152:
	s_mov_b32 s10, -1
                                        ; implicit-def: $vgpr14
                                        ; implicit-def: $vgpr6
	s_branch .LBB231_1158
.LBB231_1153:
	v_dual_mov_b32 v14, 0 :: v_dual_mov_b32 v6, 0
	s_branch .LBB231_1158
.LBB231_1154:
	v_mov_b64_e32 v[6:7], 0
	v_mov_b32_e32 v2, v0
                                        ; implicit-def: $vgpr14
	s_and_b32 s6, s1, 3
	s_mov_b32 s1, 0
	s_cmp_eq_u32 s6, 0
	s_cbranch_scc1 .LBB231_1158
.LBB231_1155:
	s_lshl_b32 s4, s0, 3
	s_mov_b32 s5, s1
	s_mul_u64 s[12:13], s[0:1], 12
	s_add_nc_u64 s[4:5], s[2:3], s[4:5]
	s_delay_alu instid0(SALU_CYCLE_1)
	s_add_nc_u64 s[0:1], s[4:5], 0xc4
	s_add_nc_u64 s[4:5], s[2:3], s[12:13]
.LBB231_1156:                           ; =>This Inner Loop Header: Depth=1
	s_load_b96 s[12:14], s[4:5], 0x4
	s_add_co_i32 s6, s6, -1
	s_wait_xcnt 0x0
	s_add_nc_u64 s[4:5], s[4:5], 12
	s_cmp_lg_u32 s6, 0
	s_wait_kmcnt 0x0
	v_mul_hi_u32 v3, s13, v2
	s_delay_alu instid0(VALU_DEP_1) | instskip(NEXT) | instid1(VALU_DEP_1)
	v_add_nc_u32_e32 v3, v2, v3
	v_lshrrev_b32_e32 v3, s14, v3
	s_load_b64 s[14:15], s[0:1], 0x0
	s_wait_xcnt 0x0
	s_add_nc_u64 s[0:1], s[0:1], 8
	s_delay_alu instid0(VALU_DEP_1) | instskip(NEXT) | instid1(VALU_DEP_1)
	v_mul_lo_u32 v4, v3, s12
	v_sub_nc_u32_e32 v2, v2, v4
	s_wait_kmcnt 0x0
	s_delay_alu instid0(VALU_DEP_1)
	v_mad_u32 v7, v2, s15, v7
	v_mad_u32 v6, v2, s14, v6
	v_mov_b32_e32 v2, v3
	s_cbranch_scc1 .LBB231_1156
; %bb.1157:
	s_delay_alu instid0(VALU_DEP_3)
	v_mov_b32_e32 v14, v7
.LBB231_1158:
	s_and_not1_b32 vcc_lo, exec_lo, s10
	s_cbranch_vccnz .LBB231_1161
; %bb.1159:
	s_clause 0x1
	s_load_b96 s[4:6], s[2:3], 0x4
	s_load_b64 s[0:1], s[2:3], 0xc4
	s_cmp_lt_u32 s33, 2
	s_wait_kmcnt 0x0
	v_mul_hi_u32 v2, s5, v0
	s_delay_alu instid0(VALU_DEP_1) | instskip(NEXT) | instid1(VALU_DEP_1)
	v_add_nc_u32_e32 v2, v0, v2
	v_lshrrev_b32_e32 v2, s6, v2
	s_delay_alu instid0(VALU_DEP_1) | instskip(NEXT) | instid1(VALU_DEP_1)
	v_mul_lo_u32 v3, v2, s4
	v_sub_nc_u32_e32 v3, v0, v3
	s_delay_alu instid0(VALU_DEP_1)
	v_mul_lo_u32 v14, v3, s1
	v_mul_lo_u32 v6, v3, s0
	s_cbranch_scc1 .LBB231_1161
; %bb.1160:
	s_clause 0x1
	s_load_b96 s[4:6], s[2:3], 0x10
	s_load_b64 s[0:1], s[2:3], 0xcc
	s_wait_kmcnt 0x0
	v_mul_hi_u32 v3, s5, v2
	s_delay_alu instid0(VALU_DEP_1) | instskip(NEXT) | instid1(VALU_DEP_1)
	v_add_nc_u32_e32 v3, v2, v3
	v_lshrrev_b32_e32 v3, s6, v3
	s_delay_alu instid0(VALU_DEP_1) | instskip(NEXT) | instid1(VALU_DEP_1)
	v_mul_lo_u32 v3, v3, s4
	v_sub_nc_u32_e32 v2, v2, v3
	s_delay_alu instid0(VALU_DEP_1)
	v_mad_u32 v6, v2, s0, v6
	v_mad_u32 v14, v2, s1, v14
.LBB231_1161:
	v_cmp_ne_u32_e32 vcc_lo, 1, v1
	v_add_nc_u32_e32 v2, 0x80, v0
	s_cbranch_vccnz .LBB231_1167
; %bb.1162:
	s_cmp_lg_u32 s33, 0
	s_mov_b32 s10, 0
	s_cbranch_scc0 .LBB231_1168
; %bb.1163:
	s_min_u32 s1, s34, 15
	s_delay_alu instid0(SALU_CYCLE_1)
	s_add_co_i32 s1, s1, 1
	s_cmp_eq_u32 s34, 2
	s_cbranch_scc1 .LBB231_1169
; %bb.1164:
	v_dual_mov_b32 v4, 0 :: v_dual_mov_b32 v12, 0
	v_mov_b32_e32 v3, v2
	s_and_b32 s0, s1, 28
	s_add_nc_u64 s[4:5], s[2:3], 0xc4
	s_mov_b32 s11, 0
	s_mov_b64 s[6:7], s[2:3]
.LBB231_1165:                           ; =>This Inner Loop Header: Depth=1
	s_clause 0x1
	s_load_b256 s[12:19], s[6:7], 0x4
	s_load_b128 s[28:31], s[6:7], 0x24
	s_load_b256 s[20:27], s[4:5], 0x0
	s_add_co_i32 s11, s11, 4
	s_wait_xcnt 0x0
	s_add_nc_u64 s[6:7], s[6:7], 48
	s_cmp_lg_u32 s0, s11
	s_add_nc_u64 s[4:5], s[4:5], 32
	s_wait_kmcnt 0x0
	v_mul_hi_u32 v5, s13, v3
	s_delay_alu instid0(VALU_DEP_1) | instskip(NEXT) | instid1(VALU_DEP_1)
	v_add_nc_u32_e32 v5, v3, v5
	v_lshrrev_b32_e32 v5, s14, v5
	s_delay_alu instid0(VALU_DEP_1) | instskip(NEXT) | instid1(VALU_DEP_1)
	v_mul_hi_u32 v7, s16, v5
	v_add_nc_u32_e32 v7, v5, v7
	s_delay_alu instid0(VALU_DEP_1) | instskip(NEXT) | instid1(VALU_DEP_1)
	v_lshrrev_b32_e32 v7, s17, v7
	v_mul_hi_u32 v8, s19, v7
	s_delay_alu instid0(VALU_DEP_1) | instskip(SKIP_1) | instid1(VALU_DEP_1)
	v_add_nc_u32_e32 v8, v7, v8
	v_mul_lo_u32 v10, v5, s12
	v_sub_nc_u32_e32 v3, v3, v10
	v_mul_lo_u32 v10, v7, s15
	s_delay_alu instid0(VALU_DEP_4) | instskip(NEXT) | instid1(VALU_DEP_3)
	v_lshrrev_b32_e32 v8, s28, v8
	v_mad_u32 v12, v3, s21, v12
	v_mad_u32 v3, v3, s20, v4
	s_delay_alu instid0(VALU_DEP_4) | instskip(NEXT) | instid1(VALU_DEP_4)
	v_sub_nc_u32_e32 v4, v5, v10
	v_mul_hi_u32 v11, s30, v8
	v_mul_lo_u32 v5, v8, s18
	s_delay_alu instid0(VALU_DEP_1) | instskip(NEXT) | instid1(VALU_DEP_4)
	v_dual_add_nc_u32 v10, v8, v11 :: v_dual_sub_nc_u32 v5, v7, v5
	v_mad_u32 v11, v4, s23, v12
	v_mad_u32 v4, v4, s22, v3
	s_delay_alu instid0(VALU_DEP_3) | instskip(NEXT) | instid1(VALU_DEP_1)
	v_lshrrev_b32_e32 v3, s31, v10
	v_mul_lo_u32 v7, v3, s29
	s_delay_alu instid0(VALU_DEP_4) | instskip(NEXT) | instid1(VALU_DEP_4)
	v_mad_u32 v10, v5, s25, v11
	v_mad_u32 v4, v5, s24, v4
	s_delay_alu instid0(VALU_DEP_3) | instskip(NEXT) | instid1(VALU_DEP_1)
	v_sub_nc_u32_e32 v5, v8, v7
	v_mad_u32 v12, v5, s27, v10
	s_delay_alu instid0(VALU_DEP_3)
	v_mad_u32 v4, v5, s26, v4
	s_cbranch_scc1 .LBB231_1165
; %bb.1166:
	s_delay_alu instid0(VALU_DEP_2)
	v_mov_b32_e32 v5, v12
	s_and_b32 s6, s1, 3
	s_mov_b32 s1, 0
	s_cmp_eq_u32 s6, 0
	s_cbranch_scc0 .LBB231_1170
	s_branch .LBB231_1173
.LBB231_1167:
	s_mov_b32 s10, -1
                                        ; implicit-def: $vgpr12
                                        ; implicit-def: $vgpr4
	s_branch .LBB231_1173
.LBB231_1168:
	v_dual_mov_b32 v12, 0 :: v_dual_mov_b32 v4, 0
	s_branch .LBB231_1173
.LBB231_1169:
	v_mov_b64_e32 v[4:5], 0
	v_mov_b32_e32 v3, v2
	s_mov_b32 s0, 0
                                        ; implicit-def: $vgpr12
	s_and_b32 s6, s1, 3
	s_mov_b32 s1, 0
	s_cmp_eq_u32 s6, 0
	s_cbranch_scc1 .LBB231_1173
.LBB231_1170:
	s_lshl_b32 s4, s0, 3
	s_mov_b32 s5, s1
	s_mul_u64 s[12:13], s[0:1], 12
	s_add_nc_u64 s[4:5], s[2:3], s[4:5]
	s_delay_alu instid0(SALU_CYCLE_1)
	s_add_nc_u64 s[0:1], s[4:5], 0xc4
	s_add_nc_u64 s[4:5], s[2:3], s[12:13]
.LBB231_1171:                           ; =>This Inner Loop Header: Depth=1
	s_load_b96 s[12:14], s[4:5], 0x4
	s_add_co_i32 s6, s6, -1
	s_wait_xcnt 0x0
	s_add_nc_u64 s[4:5], s[4:5], 12
	s_cmp_lg_u32 s6, 0
	s_wait_kmcnt 0x0
	v_mul_hi_u32 v7, s13, v3
	s_delay_alu instid0(VALU_DEP_1) | instskip(NEXT) | instid1(VALU_DEP_1)
	v_add_nc_u32_e32 v7, v3, v7
	v_lshrrev_b32_e32 v7, s14, v7
	s_load_b64 s[14:15], s[0:1], 0x0
	s_wait_xcnt 0x0
	s_add_nc_u64 s[0:1], s[0:1], 8
	s_delay_alu instid0(VALU_DEP_1) | instskip(NEXT) | instid1(VALU_DEP_1)
	v_mul_lo_u32 v8, v7, s12
	v_sub_nc_u32_e32 v3, v3, v8
	s_wait_kmcnt 0x0
	s_delay_alu instid0(VALU_DEP_1)
	v_mad_u32 v5, v3, s15, v5
	v_mad_u32 v4, v3, s14, v4
	v_mov_b32_e32 v3, v7
	s_cbranch_scc1 .LBB231_1171
; %bb.1172:
	s_delay_alu instid0(VALU_DEP_3)
	v_mov_b32_e32 v12, v5
.LBB231_1173:
	s_and_not1_b32 vcc_lo, exec_lo, s10
	s_cbranch_vccnz .LBB231_1176
; %bb.1174:
	s_clause 0x1
	s_load_b96 s[4:6], s[2:3], 0x4
	s_load_b64 s[0:1], s[2:3], 0xc4
	s_cmp_lt_u32 s33, 2
	s_wait_kmcnt 0x0
	v_mul_hi_u32 v3, s5, v2
	s_delay_alu instid0(VALU_DEP_1) | instskip(NEXT) | instid1(VALU_DEP_1)
	v_add_nc_u32_e32 v3, v2, v3
	v_lshrrev_b32_e32 v3, s6, v3
	s_delay_alu instid0(VALU_DEP_1) | instskip(NEXT) | instid1(VALU_DEP_1)
	v_mul_lo_u32 v4, v3, s4
	v_sub_nc_u32_e32 v2, v2, v4
	s_delay_alu instid0(VALU_DEP_1)
	v_mul_lo_u32 v12, v2, s1
	v_mul_lo_u32 v4, v2, s0
	s_cbranch_scc1 .LBB231_1176
; %bb.1175:
	s_clause 0x1
	s_load_b96 s[4:6], s[2:3], 0x10
	s_load_b64 s[0:1], s[2:3], 0xcc
	s_wait_kmcnt 0x0
	v_mul_hi_u32 v2, s5, v3
	s_delay_alu instid0(VALU_DEP_1) | instskip(NEXT) | instid1(VALU_DEP_1)
	v_add_nc_u32_e32 v2, v3, v2
	v_lshrrev_b32_e32 v2, s6, v2
	s_delay_alu instid0(VALU_DEP_1) | instskip(NEXT) | instid1(VALU_DEP_1)
	v_mul_lo_u32 v2, v2, s4
	v_sub_nc_u32_e32 v2, v3, v2
	s_delay_alu instid0(VALU_DEP_1)
	v_mad_u32 v4, v2, s0, v4
	v_mad_u32 v12, v2, s1, v12
.LBB231_1176:
	v_cmp_ne_u32_e32 vcc_lo, 1, v1
	v_add_nc_u32_e32 v0, 0x100, v0
	s_cbranch_vccnz .LBB231_1182
; %bb.1177:
	s_cmp_lg_u32 s33, 0
	s_mov_b32 s10, 0
	s_cbranch_scc0 .LBB231_1183
; %bb.1178:
	s_min_u32 s1, s34, 15
	s_delay_alu instid0(SALU_CYCLE_1)
	s_add_co_i32 s1, s1, 1
	s_cmp_eq_u32 s34, 2
	s_cbranch_scc1 .LBB231_1184
; %bb.1179:
	v_dual_mov_b32 v2, 0 :: v_dual_mov_b32 v10, 0
	v_mov_b32_e32 v5, v0
	s_and_b32 s0, s1, 28
	s_add_nc_u64 s[4:5], s[2:3], 0xc4
	s_mov_b32 s11, 0
	s_mov_b64 s[6:7], s[2:3]
.LBB231_1180:                           ; =>This Inner Loop Header: Depth=1
	s_clause 0x1
	s_load_b256 s[12:19], s[6:7], 0x4
	s_load_b128 s[28:31], s[6:7], 0x24
	s_load_b256 s[20:27], s[4:5], 0x0
	s_add_co_i32 s11, s11, 4
	s_wait_xcnt 0x0
	s_add_nc_u64 s[6:7], s[6:7], 48
	s_cmp_lg_u32 s0, s11
	s_add_nc_u64 s[4:5], s[4:5], 32
	s_wait_kmcnt 0x0
	v_mul_hi_u32 v3, s13, v5
	s_delay_alu instid0(VALU_DEP_1) | instskip(NEXT) | instid1(VALU_DEP_1)
	v_add_nc_u32_e32 v3, v5, v3
	v_lshrrev_b32_e32 v3, s14, v3
	s_delay_alu instid0(VALU_DEP_1) | instskip(NEXT) | instid1(VALU_DEP_1)
	v_mul_hi_u32 v7, s16, v3
	v_add_nc_u32_e32 v7, v3, v7
	s_delay_alu instid0(VALU_DEP_1) | instskip(NEXT) | instid1(VALU_DEP_1)
	v_lshrrev_b32_e32 v7, s17, v7
	v_mul_hi_u32 v8, s19, v7
	s_delay_alu instid0(VALU_DEP_1) | instskip(NEXT) | instid1(VALU_DEP_1)
	v_add_nc_u32_e32 v8, v7, v8
	v_lshrrev_b32_e32 v8, s28, v8
	v_mul_lo_u32 v11, v3, s12
	s_delay_alu instid0(VALU_DEP_2) | instskip(NEXT) | instid1(VALU_DEP_2)
	v_mul_hi_u32 v13, s30, v8
	v_sub_nc_u32_e32 v5, v5, v11
	s_delay_alu instid0(VALU_DEP_1) | instskip(SKIP_1) | instid1(VALU_DEP_4)
	v_mad_u32 v10, v5, s21, v10
	v_mad_u32 v2, v5, s20, v2
	v_add_nc_u32_e32 v5, v8, v13
	s_delay_alu instid0(VALU_DEP_1) | instskip(SKIP_1) | instid1(VALU_DEP_1)
	v_lshrrev_b32_e32 v5, s31, v5
	v_mul_lo_u32 v11, v7, s15
	v_sub_nc_u32_e32 v3, v3, v11
	v_mul_lo_u32 v11, v8, s18
	s_delay_alu instid0(VALU_DEP_2) | instskip(SKIP_1) | instid1(VALU_DEP_3)
	v_mad_u32 v10, v3, s23, v10
	v_mad_u32 v2, v3, s22, v2
	v_sub_nc_u32_e32 v3, v7, v11
	v_mul_lo_u32 v7, v5, s29
	s_delay_alu instid0(VALU_DEP_2) | instskip(NEXT) | instid1(VALU_DEP_4)
	v_mad_u32 v10, v3, s25, v10
	v_mad_u32 v2, v3, s24, v2
	s_delay_alu instid0(VALU_DEP_3) | instskip(NEXT) | instid1(VALU_DEP_1)
	v_sub_nc_u32_e32 v3, v8, v7
	v_mad_u32 v10, v3, s27, v10
	s_delay_alu instid0(VALU_DEP_3)
	v_mad_u32 v2, v3, s26, v2
	s_cbranch_scc1 .LBB231_1180
; %bb.1181:
	s_delay_alu instid0(VALU_DEP_2)
	v_mov_b32_e32 v3, v10
	s_and_b32 s6, s1, 3
	s_mov_b32 s1, 0
	s_cmp_eq_u32 s6, 0
	s_cbranch_scc0 .LBB231_1185
	s_branch .LBB231_1188
.LBB231_1182:
	s_mov_b32 s10, -1
                                        ; implicit-def: $vgpr10
                                        ; implicit-def: $vgpr2
	s_branch .LBB231_1188
.LBB231_1183:
	v_dual_mov_b32 v10, 0 :: v_dual_mov_b32 v2, 0
	s_branch .LBB231_1188
.LBB231_1184:
	v_mov_b64_e32 v[2:3], 0
	v_mov_b32_e32 v5, v0
	s_mov_b32 s0, 0
                                        ; implicit-def: $vgpr10
	s_and_b32 s6, s1, 3
	s_mov_b32 s1, 0
	s_cmp_eq_u32 s6, 0
	s_cbranch_scc1 .LBB231_1188
.LBB231_1185:
	s_lshl_b32 s4, s0, 3
	s_mov_b32 s5, s1
	s_mul_u64 s[12:13], s[0:1], 12
	s_add_nc_u64 s[4:5], s[2:3], s[4:5]
	s_delay_alu instid0(SALU_CYCLE_1)
	s_add_nc_u64 s[0:1], s[4:5], 0xc4
	s_add_nc_u64 s[4:5], s[2:3], s[12:13]
.LBB231_1186:                           ; =>This Inner Loop Header: Depth=1
	s_load_b96 s[12:14], s[4:5], 0x4
	s_add_co_i32 s6, s6, -1
	s_wait_xcnt 0x0
	s_add_nc_u64 s[4:5], s[4:5], 12
	s_cmp_lg_u32 s6, 0
	s_wait_kmcnt 0x0
	v_mul_hi_u32 v7, s13, v5
	s_delay_alu instid0(VALU_DEP_1) | instskip(NEXT) | instid1(VALU_DEP_1)
	v_add_nc_u32_e32 v7, v5, v7
	v_lshrrev_b32_e32 v7, s14, v7
	s_load_b64 s[14:15], s[0:1], 0x0
	s_wait_xcnt 0x0
	s_add_nc_u64 s[0:1], s[0:1], 8
	s_delay_alu instid0(VALU_DEP_1) | instskip(NEXT) | instid1(VALU_DEP_1)
	v_mul_lo_u32 v8, v7, s12
	v_sub_nc_u32_e32 v5, v5, v8
	s_wait_kmcnt 0x0
	s_delay_alu instid0(VALU_DEP_1)
	v_mad_u32 v3, v5, s15, v3
	v_mad_u32 v2, v5, s14, v2
	v_mov_b32_e32 v5, v7
	s_cbranch_scc1 .LBB231_1186
; %bb.1187:
	s_delay_alu instid0(VALU_DEP_3)
	v_mov_b32_e32 v10, v3
.LBB231_1188:
	s_and_not1_b32 vcc_lo, exec_lo, s10
	s_cbranch_vccnz .LBB231_1191
; %bb.1189:
	s_clause 0x1
	s_load_b96 s[4:6], s[2:3], 0x4
	s_load_b64 s[0:1], s[2:3], 0xc4
	s_cmp_lt_u32 s33, 2
	s_wait_kmcnt 0x0
	v_mul_hi_u32 v2, s5, v0
	s_delay_alu instid0(VALU_DEP_1) | instskip(NEXT) | instid1(VALU_DEP_1)
	v_add_nc_u32_e32 v2, v0, v2
	v_lshrrev_b32_e32 v3, s6, v2
	s_delay_alu instid0(VALU_DEP_1) | instskip(NEXT) | instid1(VALU_DEP_1)
	v_mul_lo_u32 v2, v3, s4
	v_sub_nc_u32_e32 v0, v0, v2
	s_delay_alu instid0(VALU_DEP_1)
	v_mul_lo_u32 v10, v0, s1
	v_mul_lo_u32 v2, v0, s0
	s_cbranch_scc1 .LBB231_1191
; %bb.1190:
	s_clause 0x1
	s_load_b96 s[4:6], s[2:3], 0x10
	s_load_b64 s[0:1], s[2:3], 0xcc
	s_wait_kmcnt 0x0
	v_mul_hi_u32 v0, s5, v3
	s_delay_alu instid0(VALU_DEP_1) | instskip(NEXT) | instid1(VALU_DEP_1)
	v_add_nc_u32_e32 v0, v3, v0
	v_lshrrev_b32_e32 v0, s6, v0
	s_delay_alu instid0(VALU_DEP_1) | instskip(NEXT) | instid1(VALU_DEP_1)
	v_mul_lo_u32 v0, v0, s4
	v_sub_nc_u32_e32 v0, v3, v0
	s_delay_alu instid0(VALU_DEP_1)
	v_mad_u32 v2, v0, s0, v2
	v_mad_u32 v10, v0, s1, v10
.LBB231_1191:
	v_cmp_ne_u32_e32 vcc_lo, 1, v1
	s_cbranch_vccnz .LBB231_1197
; %bb.1192:
	s_cmp_lg_u32 s33, 0
	s_mov_b32 s10, 0
	s_cbranch_scc0 .LBB231_1198
; %bb.1193:
	s_min_u32 s1, s34, 15
	s_delay_alu instid0(SALU_CYCLE_1)
	s_add_co_i32 s1, s1, 1
	s_cmp_eq_u32 s34, 2
	s_cbranch_scc1 .LBB231_1199
; %bb.1194:
	v_dual_mov_b32 v0, 0 :: v_dual_mov_b32 v8, 0
	v_mov_b32_e32 v3, v9
	s_and_b32 s0, s1, 28
	s_add_nc_u64 s[4:5], s[2:3], 0xc4
	s_mov_b32 s11, 0
	s_mov_b64 s[6:7], s[2:3]
.LBB231_1195:                           ; =>This Inner Loop Header: Depth=1
	s_clause 0x1
	s_load_b256 s[12:19], s[6:7], 0x4
	s_load_b128 s[28:31], s[6:7], 0x24
	s_load_b256 s[20:27], s[4:5], 0x0
	s_add_co_i32 s11, s11, 4
	s_wait_xcnt 0x0
	s_add_nc_u64 s[6:7], s[6:7], 48
	s_cmp_lg_u32 s0, s11
	s_add_nc_u64 s[4:5], s[4:5], 32
	s_wait_kmcnt 0x0
	v_mul_hi_u32 v1, s13, v3
	s_delay_alu instid0(VALU_DEP_1) | instskip(NEXT) | instid1(VALU_DEP_1)
	v_add_nc_u32_e32 v1, v3, v1
	v_lshrrev_b32_e32 v1, s14, v1
	s_delay_alu instid0(VALU_DEP_1) | instskip(NEXT) | instid1(VALU_DEP_1)
	v_mul_lo_u32 v11, v1, s12
	v_sub_nc_u32_e32 v3, v3, v11
	v_mul_hi_u32 v5, s16, v1
	s_delay_alu instid0(VALU_DEP_2) | instskip(SKIP_1) | instid1(VALU_DEP_3)
	v_mad_u32 v8, v3, s21, v8
	v_mad_u32 v0, v3, s20, v0
	v_add_nc_u32_e32 v5, v1, v5
	s_delay_alu instid0(VALU_DEP_1) | instskip(NEXT) | instid1(VALU_DEP_1)
	v_lshrrev_b32_e32 v5, s17, v5
	v_mul_lo_u32 v11, v5, s15
	s_delay_alu instid0(VALU_DEP_1) | instskip(SKIP_1) | instid1(VALU_DEP_2)
	v_sub_nc_u32_e32 v1, v1, v11
	v_mul_hi_u32 v7, s19, v5
	v_mad_u32 v8, v1, s23, v8
	v_mad_u32 v0, v1, s22, v0
	s_delay_alu instid0(VALU_DEP_3) | instskip(NEXT) | instid1(VALU_DEP_1)
	v_add_nc_u32_e32 v7, v5, v7
	v_lshrrev_b32_e32 v7, s28, v7
	s_delay_alu instid0(VALU_DEP_1) | instskip(SKIP_1) | instid1(VALU_DEP_1)
	v_mul_hi_u32 v13, s30, v7
	v_mul_lo_u32 v11, v7, s18
	v_dual_add_nc_u32 v3, v7, v13 :: v_dual_sub_nc_u32 v1, v5, v11
	s_delay_alu instid0(VALU_DEP_1) | instskip(NEXT) | instid1(VALU_DEP_2)
	v_lshrrev_b32_e32 v3, s31, v3
	v_mad_u32 v8, v1, s25, v8
	v_mad_u32 v0, v1, s24, v0
	s_delay_alu instid0(VALU_DEP_3) | instskip(NEXT) | instid1(VALU_DEP_1)
	v_mul_lo_u32 v5, v3, s29
	v_sub_nc_u32_e32 v1, v7, v5
	s_delay_alu instid0(VALU_DEP_1) | instskip(NEXT) | instid1(VALU_DEP_4)
	v_mad_u32 v8, v1, s27, v8
	v_mad_u32 v0, v1, s26, v0
	s_cbranch_scc1 .LBB231_1195
; %bb.1196:
	s_delay_alu instid0(VALU_DEP_2)
	v_mov_b32_e32 v1, v8
	s_and_b32 s6, s1, 3
	s_mov_b32 s1, 0
	s_cmp_eq_u32 s6, 0
	s_cbranch_scc0 .LBB231_1200
	s_branch .LBB231_1203
.LBB231_1197:
	s_mov_b32 s10, -1
                                        ; implicit-def: $vgpr8
                                        ; implicit-def: $vgpr0
	s_branch .LBB231_1203
.LBB231_1198:
	v_dual_mov_b32 v8, 0 :: v_dual_mov_b32 v0, 0
	s_branch .LBB231_1203
.LBB231_1199:
	v_mov_b64_e32 v[0:1], 0
	v_mov_b32_e32 v3, v9
	s_mov_b32 s0, 0
                                        ; implicit-def: $vgpr8
	s_and_b32 s6, s1, 3
	s_mov_b32 s1, 0
	s_cmp_eq_u32 s6, 0
	s_cbranch_scc1 .LBB231_1203
.LBB231_1200:
	s_lshl_b32 s4, s0, 3
	s_mov_b32 s5, s1
	s_mul_u64 s[12:13], s[0:1], 12
	s_add_nc_u64 s[4:5], s[2:3], s[4:5]
	s_delay_alu instid0(SALU_CYCLE_1)
	s_add_nc_u64 s[0:1], s[4:5], 0xc4
	s_add_nc_u64 s[4:5], s[2:3], s[12:13]
.LBB231_1201:                           ; =>This Inner Loop Header: Depth=1
	s_load_b96 s[12:14], s[4:5], 0x4
	s_add_co_i32 s6, s6, -1
	s_wait_xcnt 0x0
	s_add_nc_u64 s[4:5], s[4:5], 12
	s_cmp_lg_u32 s6, 0
	s_wait_kmcnt 0x0
	v_mul_hi_u32 v5, s13, v3
	s_delay_alu instid0(VALU_DEP_1) | instskip(NEXT) | instid1(VALU_DEP_1)
	v_add_nc_u32_e32 v5, v3, v5
	v_lshrrev_b32_e32 v5, s14, v5
	s_load_b64 s[14:15], s[0:1], 0x0
	s_wait_xcnt 0x0
	s_add_nc_u64 s[0:1], s[0:1], 8
	s_delay_alu instid0(VALU_DEP_1) | instskip(NEXT) | instid1(VALU_DEP_1)
	v_mul_lo_u32 v7, v5, s12
	v_sub_nc_u32_e32 v3, v3, v7
	s_wait_kmcnt 0x0
	s_delay_alu instid0(VALU_DEP_1)
	v_mad_u32 v1, v3, s15, v1
	v_mad_u32 v0, v3, s14, v0
	v_mov_b32_e32 v3, v5
	s_cbranch_scc1 .LBB231_1201
; %bb.1202:
	s_delay_alu instid0(VALU_DEP_3)
	v_mov_b32_e32 v8, v1
.LBB231_1203:
	s_and_not1_b32 vcc_lo, exec_lo, s10
	s_cbranch_vccnz .LBB231_1206
; %bb.1204:
	s_clause 0x1
	s_load_b96 s[4:6], s[2:3], 0x4
	s_load_b64 s[0:1], s[2:3], 0xc4
	s_cmp_lt_u32 s33, 2
	s_wait_kmcnt 0x0
	v_mul_hi_u32 v0, s5, v9
	s_delay_alu instid0(VALU_DEP_1) | instskip(NEXT) | instid1(VALU_DEP_1)
	v_add_nc_u32_e32 v0, v9, v0
	v_lshrrev_b32_e32 v1, s6, v0
	s_delay_alu instid0(VALU_DEP_1) | instskip(NEXT) | instid1(VALU_DEP_1)
	v_mul_lo_u32 v0, v1, s4
	v_sub_nc_u32_e32 v0, v9, v0
	s_delay_alu instid0(VALU_DEP_1)
	v_mul_lo_u32 v8, v0, s1
	v_mul_lo_u32 v0, v0, s0
	s_cbranch_scc1 .LBB231_1206
; %bb.1205:
	s_clause 0x1
	s_load_b96 s[4:6], s[2:3], 0x10
	s_load_b64 s[0:1], s[2:3], 0xcc
	s_wait_kmcnt 0x0
	v_mul_hi_u32 v3, s5, v1
	s_delay_alu instid0(VALU_DEP_1) | instskip(NEXT) | instid1(VALU_DEP_1)
	v_add_nc_u32_e32 v3, v1, v3
	v_lshrrev_b32_e32 v3, s6, v3
	s_delay_alu instid0(VALU_DEP_1) | instskip(NEXT) | instid1(VALU_DEP_1)
	v_mul_lo_u32 v3, v3, s4
	v_sub_nc_u32_e32 v1, v1, v3
	s_delay_alu instid0(VALU_DEP_1)
	v_mad_u32 v0, v1, s0, v0
	v_mad_u32 v8, v1, s1, v8
.LBB231_1206:
	v_mov_b32_e32 v15, 0
	s_load_b128 s[4:7], s[2:3], 0x148
	global_load_u8 v1, v15, s[2:3] offset:357
	s_wait_kmcnt 0x0
	v_add_nc_u64_e32 v[14:15], s[6:7], v[14:15]
	s_wait_loadcnt 0x0
	v_and_b32_e32 v3, 0xffff, v1
	v_readfirstlane_b32 s11, v1
	s_delay_alu instid0(VALU_DEP_2)
	v_cmp_gt_i32_e32 vcc_lo, 11, v3
	s_cbranch_vccnz .LBB231_1213
; %bb.1207:
	s_and_b32 s0, 0xffff, s11
	s_mov_b32 s12, 0
	s_cmp_gt_i32 s0, 25
	s_cbranch_scc0 .LBB231_1215
; %bb.1208:
	s_cmp_gt_i32 s0, 28
	s_cbranch_scc0 .LBB231_1216
; %bb.1209:
	;; [unrolled: 3-line block ×4, first 2 shown]
	s_cmp_eq_u32 s0, 46
	s_mov_b32 s10, 0
	s_cbranch_scc0 .LBB231_1221
; %bb.1212:
	global_load_b32 v1, v[14:15], off
	s_mov_b32 s1, 0
	s_mov_b32 s13, -1
	s_wait_loadcnt 0x0
	v_lshlrev_b32_e32 v1, 16, v1
	s_delay_alu instid0(VALU_DEP_1)
	v_cvt_f16_f32_e32 v1, v1
	s_branch .LBB231_1223
.LBB231_1213:
	s_mov_b32 s13, 0
	s_mov_b32 s10, s8
                                        ; implicit-def: $vgpr1
	s_cbranch_execnz .LBB231_1286
.LBB231_1214:
	s_and_not1_b32 vcc_lo, exec_lo, s13
	s_cbranch_vccz .LBB231_1331
	s_branch .LBB231_1763
.LBB231_1215:
	s_mov_b32 s13, 0
	s_mov_b32 s1, 0
                                        ; implicit-def: $vgpr1
	s_cbranch_execnz .LBB231_1251
	s_branch .LBB231_1282
.LBB231_1216:
	s_mov_b32 s10, -1
	s_mov_b32 s13, 0
	s_mov_b32 s1, 0
                                        ; implicit-def: $vgpr1
	s_branch .LBB231_1232
.LBB231_1217:
	s_mov_b32 s13, 0
	s_mov_b32 s1, 0
                                        ; implicit-def: $vgpr1
	s_cbranch_execnz .LBB231_1228
	s_branch .LBB231_1231
.LBB231_1218:
	s_mov_b32 s10, -1
	s_mov_b32 s13, 0
	s_mov_b32 s1, 0
	s_branch .LBB231_1222
.LBB231_1219:
	s_and_not1_saveexec_b32 s9, s9
	s_cbranch_execz .LBB231_1058
.LBB231_1220:
	v_add_f32_e64 v3, 0x46000000, |v2|
	s_and_not1_b32 s8, s8, exec_lo
	s_delay_alu instid0(VALU_DEP_1) | instskip(NEXT) | instid1(VALU_DEP_1)
	v_and_b32_e32 v3, 0xff, v3
	v_cmp_ne_u32_e32 vcc_lo, 0, v3
	s_and_b32 s10, vcc_lo, exec_lo
	s_delay_alu instid0(SALU_CYCLE_1)
	s_or_b32 s8, s8, s10
	s_or_b32 exec_lo, exec_lo, s9
	v_mov_b32_e32 v4, 0
	s_and_saveexec_b32 s9, s8
	s_cbranch_execnz .LBB231_1059
	s_branch .LBB231_1060
.LBB231_1221:
	s_mov_b32 s1, -1
	s_mov_b32 s13, 0
.LBB231_1222:
                                        ; implicit-def: $vgpr1
.LBB231_1223:
	s_and_b32 vcc_lo, exec_lo, s10
	s_cbranch_vccz .LBB231_1226
; %bb.1224:
	s_cmp_eq_u32 s0, 44
	s_cbranch_scc0 .LBB231_1227
; %bb.1225:
	global_load_u8 v1, v[14:15], off
	s_mov_b32 s1, 0
	s_mov_b32 s13, -1
	s_wait_loadcnt 0x0
	v_lshlrev_b32_e32 v3, 23, v1
	v_cmp_ne_u32_e32 vcc_lo, 0xff, v1
	s_delay_alu instid0(VALU_DEP_2) | instskip(NEXT) | instid1(VALU_DEP_1)
	v_cvt_f16_f32_e32 v3, v3
	v_cndmask_b32_e32 v3, 0x7e00, v3, vcc_lo
	v_cmp_ne_u32_e32 vcc_lo, 0, v1
	s_delay_alu instid0(VALU_DEP_2)
	v_cndmask_b32_e32 v1, 0, v3, vcc_lo
.LBB231_1226:
	s_branch .LBB231_1231
.LBB231_1227:
	s_mov_b32 s1, -1
                                        ; implicit-def: $vgpr1
	s_branch .LBB231_1231
.LBB231_1228:
	s_cmp_eq_u32 s0, 29
	s_cbranch_scc0 .LBB231_1230
; %bb.1229:
	global_load_b64 v[16:17], v[14:15], off
	s_mov_b32 s1, 0
	s_mov_b32 s13, -1
	s_mov_b32 s10, 0
	s_wait_loadcnt 0x0
	v_clz_i32_u32_e32 v1, v17
	s_delay_alu instid0(VALU_DEP_1) | instskip(NEXT) | instid1(VALU_DEP_1)
	v_min_u32_e32 v1, 32, v1
	v_lshlrev_b64_e32 v[16:17], v1, v[16:17]
	v_sub_nc_u32_e32 v1, 32, v1
	s_delay_alu instid0(VALU_DEP_2) | instskip(NEXT) | instid1(VALU_DEP_1)
	v_min_u32_e32 v3, 1, v16
	v_or_b32_e32 v3, v17, v3
	s_delay_alu instid0(VALU_DEP_1) | instskip(NEXT) | instid1(VALU_DEP_1)
	v_cvt_f32_u32_e32 v3, v3
	v_ldexp_f32 v1, v3, v1
	s_delay_alu instid0(VALU_DEP_1)
	v_cvt_f16_f32_e32 v1, v1
	s_branch .LBB231_1232
.LBB231_1230:
	s_mov_b32 s1, -1
                                        ; implicit-def: $vgpr1
.LBB231_1231:
	s_mov_b32 s10, 0
.LBB231_1232:
	s_delay_alu instid0(SALU_CYCLE_1)
	s_and_b32 vcc_lo, exec_lo, s10
	s_cbranch_vccz .LBB231_1250
; %bb.1233:
	s_cmp_lt_i32 s0, 27
	s_cbranch_scc1 .LBB231_1236
; %bb.1234:
	s_cmp_gt_i32 s0, 27
	s_cbranch_scc0 .LBB231_1237
; %bb.1235:
	global_load_b32 v1, v[14:15], off
	s_mov_b32 s10, 0
	s_wait_loadcnt 0x0
	v_cvt_f32_u32_e32 v1, v1
	s_delay_alu instid0(VALU_DEP_1)
	v_cvt_f16_f32_e32 v1, v1
	s_branch .LBB231_1238
.LBB231_1236:
	s_mov_b32 s10, -1
                                        ; implicit-def: $vgpr1
	s_branch .LBB231_1241
.LBB231_1237:
	s_mov_b32 s10, -1
                                        ; implicit-def: $vgpr1
.LBB231_1238:
	s_delay_alu instid0(SALU_CYCLE_1)
	s_and_not1_b32 vcc_lo, exec_lo, s10
	s_cbranch_vccnz .LBB231_1240
; %bb.1239:
	global_load_u16 v1, v[14:15], off
	s_wait_loadcnt 0x0
	v_cvt_f16_u16_e32 v1, v1
.LBB231_1240:
	s_mov_b32 s10, 0
.LBB231_1241:
	s_delay_alu instid0(SALU_CYCLE_1)
	s_and_not1_b32 vcc_lo, exec_lo, s10
	s_cbranch_vccnz .LBB231_1249
; %bb.1242:
	global_load_u8 v3, v[14:15], off
	s_mov_b32 s10, 0
	s_mov_b32 s13, exec_lo
	s_wait_loadcnt 0x0
	v_cmpx_lt_i16_e32 0x7f, v3
	s_xor_b32 s13, exec_lo, s13
	s_cbranch_execz .LBB231_1262
; %bb.1243:
	s_mov_b32 s10, -1
	s_mov_b32 s14, exec_lo
	v_cmpx_eq_u16_e32 0x80, v3
; %bb.1244:
	s_xor_b32 s10, exec_lo, -1
; %bb.1245:
	s_or_b32 exec_lo, exec_lo, s14
	s_delay_alu instid0(SALU_CYCLE_1)
	s_and_b32 s10, s10, exec_lo
	s_or_saveexec_b32 s13, s13
	v_mov_b32_e32 v1, 0x7e00
	s_xor_b32 exec_lo, exec_lo, s13
	s_cbranch_execnz .LBB231_1263
.LBB231_1246:
	s_or_b32 exec_lo, exec_lo, s13
	s_and_saveexec_b32 s13, s10
	s_cbranch_execz .LBB231_1248
.LBB231_1247:
	v_and_b32_e32 v1, 0xffff, v3
	s_delay_alu instid0(VALU_DEP_1) | instskip(SKIP_1) | instid1(VALU_DEP_2)
	v_and_b32_e32 v5, 7, v1
	v_bfe_u32 v11, v1, 3, 4
	v_clz_i32_u32_e32 v7, v5
	s_delay_alu instid0(VALU_DEP_2) | instskip(NEXT) | instid1(VALU_DEP_2)
	v_cmp_eq_u32_e32 vcc_lo, 0, v11
	v_min_u32_e32 v7, 32, v7
	s_delay_alu instid0(VALU_DEP_1) | instskip(NEXT) | instid1(VALU_DEP_1)
	v_subrev_nc_u32_e32 v9, 28, v7
	v_dual_lshlrev_b32 v1, v9, v1 :: v_dual_sub_nc_u32 v7, 29, v7
	s_delay_alu instid0(VALU_DEP_1) | instskip(NEXT) | instid1(VALU_DEP_1)
	v_dual_lshlrev_b32 v3, 24, v3 :: v_dual_bitop2_b32 v1, 7, v1 bitop3:0x40
	v_dual_cndmask_b32 v1, v5, v1, vcc_lo :: v_dual_cndmask_b32 v7, v11, v7, vcc_lo
	s_delay_alu instid0(VALU_DEP_2) | instskip(NEXT) | instid1(VALU_DEP_2)
	v_and_b32_e32 v3, 0x80000000, v3
	v_lshlrev_b32_e32 v1, 20, v1
	s_delay_alu instid0(VALU_DEP_3) | instskip(NEXT) | instid1(VALU_DEP_1)
	v_lshl_add_u32 v5, v7, 23, 0x3b800000
	v_or3_b32 v1, v3, v5, v1
	s_delay_alu instid0(VALU_DEP_1)
	v_cvt_f16_f32_e32 v1, v1
.LBB231_1248:
	s_or_b32 exec_lo, exec_lo, s13
.LBB231_1249:
	s_mov_b32 s13, -1
.LBB231_1250:
	s_branch .LBB231_1282
.LBB231_1251:
	s_cmp_gt_i32 s0, 22
	s_cbranch_scc0 .LBB231_1261
; %bb.1252:
	s_cmp_lt_i32 s0, 24
	s_cbranch_scc1 .LBB231_1264
; %bb.1253:
	s_cmp_gt_i32 s0, 24
	s_cbranch_scc0 .LBB231_1265
; %bb.1254:
	global_load_u8 v3, v[14:15], off
	s_mov_b32 s10, 0
	s_mov_b32 s12, exec_lo
	s_wait_loadcnt 0x0
	v_cmpx_lt_i16_e32 0x7f, v3
	s_xor_b32 s12, exec_lo, s12
	s_cbranch_execz .LBB231_1276
; %bb.1255:
	s_mov_b32 s10, -1
	s_mov_b32 s13, exec_lo
	v_cmpx_eq_u16_e32 0x80, v3
; %bb.1256:
	s_xor_b32 s10, exec_lo, -1
; %bb.1257:
	s_or_b32 exec_lo, exec_lo, s13
	s_delay_alu instid0(SALU_CYCLE_1)
	s_and_b32 s10, s10, exec_lo
	s_or_saveexec_b32 s12, s12
	v_mov_b32_e32 v1, 0x7e00
	s_xor_b32 exec_lo, exec_lo, s12
	s_cbranch_execnz .LBB231_1277
.LBB231_1258:
	s_or_b32 exec_lo, exec_lo, s12
	s_and_saveexec_b32 s12, s10
	s_cbranch_execz .LBB231_1260
.LBB231_1259:
	v_and_b32_e32 v1, 0xffff, v3
	s_delay_alu instid0(VALU_DEP_1) | instskip(SKIP_1) | instid1(VALU_DEP_2)
	v_and_b32_e32 v5, 3, v1
	v_bfe_u32 v11, v1, 2, 5
	v_clz_i32_u32_e32 v7, v5
	s_delay_alu instid0(VALU_DEP_2) | instskip(NEXT) | instid1(VALU_DEP_2)
	v_cmp_eq_u32_e32 vcc_lo, 0, v11
	v_min_u32_e32 v7, 32, v7
	s_delay_alu instid0(VALU_DEP_1) | instskip(NEXT) | instid1(VALU_DEP_1)
	v_subrev_nc_u32_e32 v9, 29, v7
	v_dual_lshlrev_b32 v1, v9, v1 :: v_dual_sub_nc_u32 v7, 30, v7
	s_delay_alu instid0(VALU_DEP_1) | instskip(NEXT) | instid1(VALU_DEP_1)
	v_dual_lshlrev_b32 v3, 24, v3 :: v_dual_bitop2_b32 v1, 3, v1 bitop3:0x40
	v_dual_cndmask_b32 v1, v5, v1, vcc_lo :: v_dual_cndmask_b32 v7, v11, v7, vcc_lo
	s_delay_alu instid0(VALU_DEP_2) | instskip(NEXT) | instid1(VALU_DEP_2)
	v_and_b32_e32 v3, 0x80000000, v3
	v_lshlrev_b32_e32 v1, 21, v1
	s_delay_alu instid0(VALU_DEP_3) | instskip(NEXT) | instid1(VALU_DEP_1)
	v_lshl_add_u32 v5, v7, 23, 0x37800000
	v_or3_b32 v1, v3, v5, v1
	s_delay_alu instid0(VALU_DEP_1)
	v_cvt_f16_f32_e32 v1, v1
.LBB231_1260:
	s_or_b32 exec_lo, exec_lo, s12
	s_mov_b32 s10, 0
	s_branch .LBB231_1266
.LBB231_1261:
                                        ; implicit-def: $vgpr1
	s_mov_b32 s12, 0
	s_branch .LBB231_1272
.LBB231_1262:
	s_or_saveexec_b32 s13, s13
	v_mov_b32_e32 v1, 0x7e00
	s_xor_b32 exec_lo, exec_lo, s13
	s_cbranch_execz .LBB231_1246
.LBB231_1263:
	v_cmp_ne_u16_e32 vcc_lo, 0, v3
	v_mov_b32_e32 v1, v3
	s_and_not1_b32 s10, s10, exec_lo
	s_and_b32 s14, vcc_lo, exec_lo
	s_delay_alu instid0(SALU_CYCLE_1)
	s_or_b32 s10, s10, s14
	s_or_b32 exec_lo, exec_lo, s13
	s_and_saveexec_b32 s13, s10
	s_cbranch_execnz .LBB231_1247
	s_branch .LBB231_1248
.LBB231_1264:
	s_mov_b32 s10, -1
                                        ; implicit-def: $vgpr1
	s_branch .LBB231_1269
.LBB231_1265:
	s_mov_b32 s10, -1
                                        ; implicit-def: $vgpr1
.LBB231_1266:
	s_delay_alu instid0(SALU_CYCLE_1)
	s_and_b32 vcc_lo, exec_lo, s10
	s_cbranch_vccz .LBB231_1268
; %bb.1267:
	global_load_u8 v1, v[14:15], off
	s_wait_loadcnt 0x0
	v_lshlrev_b32_e32 v1, 24, v1
	s_delay_alu instid0(VALU_DEP_1) | instskip(NEXT) | instid1(VALU_DEP_1)
	v_and_b32_e32 v3, 0x7f000000, v1
	v_clz_i32_u32_e32 v5, v3
	v_add_nc_u32_e32 v9, 0x1000000, v3
	v_cmp_ne_u32_e32 vcc_lo, 0, v3
	s_delay_alu instid0(VALU_DEP_3) | instskip(NEXT) | instid1(VALU_DEP_1)
	v_min_u32_e32 v5, 32, v5
	v_sub_nc_u32_e64 v5, v5, 4 clamp
	s_delay_alu instid0(VALU_DEP_1) | instskip(NEXT) | instid1(VALU_DEP_1)
	v_dual_lshlrev_b32 v7, v5, v3 :: v_dual_lshlrev_b32 v5, 23, v5
	v_lshrrev_b32_e32 v7, 4, v7
	s_delay_alu instid0(VALU_DEP_1) | instskip(SKIP_1) | instid1(VALU_DEP_2)
	v_sub_nc_u32_e32 v5, v7, v5
	v_ashrrev_i32_e32 v7, 8, v9
	v_add_nc_u32_e32 v5, 0x3c000000, v5
	s_delay_alu instid0(VALU_DEP_1) | instskip(NEXT) | instid1(VALU_DEP_1)
	v_and_or_b32 v5, 0x7f800000, v7, v5
	v_cndmask_b32_e32 v3, 0, v5, vcc_lo
	s_delay_alu instid0(VALU_DEP_1) | instskip(NEXT) | instid1(VALU_DEP_1)
	v_and_or_b32 v1, 0x80000000, v1, v3
	v_cvt_f16_f32_e32 v1, v1
.LBB231_1268:
	s_mov_b32 s10, 0
.LBB231_1269:
	s_delay_alu instid0(SALU_CYCLE_1)
	s_and_not1_b32 vcc_lo, exec_lo, s10
	s_cbranch_vccnz .LBB231_1271
; %bb.1270:
	global_load_u8 v1, v[14:15], off
	s_wait_loadcnt 0x0
	v_lshlrev_b32_e32 v3, 25, v1
	v_lshlrev_b16 v1, 8, v1
	s_delay_alu instid0(VALU_DEP_1) | instskip(SKIP_1) | instid1(VALU_DEP_2)
	v_and_or_b32 v7, 0x7f00, v1, 0.5
	v_bfe_i32 v1, v1, 0, 16
	v_add_f32_e32 v7, -0.5, v7
	v_lshrrev_b32_e32 v5, 4, v3
	v_cmp_gt_u32_e32 vcc_lo, 0x8000000, v3
	s_delay_alu instid0(VALU_DEP_2) | instskip(NEXT) | instid1(VALU_DEP_1)
	v_or_b32_e32 v5, 0x70000000, v5
	v_mul_f32_e32 v5, 0x7800000, v5
	s_delay_alu instid0(VALU_DEP_1) | instskip(NEXT) | instid1(VALU_DEP_1)
	v_cndmask_b32_e32 v3, v5, v7, vcc_lo
	v_and_or_b32 v1, 0x80000000, v1, v3
	s_delay_alu instid0(VALU_DEP_1)
	v_cvt_f16_f32_e32 v1, v1
.LBB231_1271:
	s_mov_b32 s13, -1
	s_mov_b32 s12, 0
	s_cbranch_execnz .LBB231_1282
.LBB231_1272:
	s_cmp_gt_i32 s0, 14
	s_cbranch_scc0 .LBB231_1275
; %bb.1273:
	s_cmp_eq_u32 s0, 15
	s_cbranch_scc0 .LBB231_1278
; %bb.1274:
	global_load_u16 v1, v[14:15], off
	s_mov_b32 s1, 0
	s_mov_b32 s13, -1
	s_wait_loadcnt 0x0
	v_lshlrev_b32_e32 v1, 16, v1
	s_delay_alu instid0(VALU_DEP_1)
	v_cvt_f16_f32_e32 v1, v1
	s_branch .LBB231_1279
.LBB231_1275:
	s_mov_b32 s10, -1
                                        ; implicit-def: $vgpr1
	s_branch .LBB231_1280
.LBB231_1276:
	s_or_saveexec_b32 s12, s12
	v_mov_b32_e32 v1, 0x7e00
	s_xor_b32 exec_lo, exec_lo, s12
	s_cbranch_execz .LBB231_1258
.LBB231_1277:
	v_cmp_ne_u16_e32 vcc_lo, 0, v3
	v_mov_b32_e32 v1, v3
	s_and_not1_b32 s10, s10, exec_lo
	s_and_b32 s13, vcc_lo, exec_lo
	s_delay_alu instid0(SALU_CYCLE_1)
	s_or_b32 s10, s10, s13
	s_or_b32 exec_lo, exec_lo, s12
	s_and_saveexec_b32 s12, s10
	s_cbranch_execnz .LBB231_1259
	s_branch .LBB231_1260
.LBB231_1278:
	s_mov_b32 s1, -1
                                        ; implicit-def: $vgpr1
.LBB231_1279:
	s_mov_b32 s10, 0
.LBB231_1280:
	s_delay_alu instid0(SALU_CYCLE_1)
	s_and_b32 vcc_lo, exec_lo, s10
	s_cbranch_vccz .LBB231_1282
; %bb.1281:
	s_cmp_lg_u32 s0, 11
	s_mov_b32 s12, -1
	s_cselect_b32 s1, -1, 0
.LBB231_1282:
	s_delay_alu instid0(SALU_CYCLE_1)
	s_and_b32 vcc_lo, exec_lo, s1
	s_mov_b32 s10, s8
	s_cbranch_vccnz .LBB231_1355
; %bb.1283:
	s_and_not1_b32 vcc_lo, exec_lo, s12
	s_cbranch_vccnz .LBB231_1285
.LBB231_1284:
	global_load_u8 v1, v[14:15], off
	s_mov_b32 s13, -1
	s_wait_loadcnt 0x0
	v_cmp_ne_u16_e32 vcc_lo, 0, v1
	v_cndmask_b32_e64 v1, 0, 0x3c00, vcc_lo
.LBB231_1285:
	s_branch .LBB231_1214
.LBB231_1286:
	s_and_b32 s0, 0xffff, s11
	s_delay_alu instid0(SALU_CYCLE_1)
	s_cmp_lt_i32 s0, 5
	s_cbranch_scc1 .LBB231_1291
; %bb.1287:
	s_cmp_lt_i32 s0, 8
	s_cbranch_scc1 .LBB231_1292
; %bb.1288:
	;; [unrolled: 3-line block ×3, first 2 shown]
	s_cmp_gt_i32 s0, 9
	s_cbranch_scc0 .LBB231_1294
; %bb.1290:
	global_load_b64 v[16:17], v[14:15], off
	s_mov_b32 s1, 0
	s_wait_loadcnt 0x0
	v_and_or_b32 v1, 0x1ff, v17, v16
	v_lshrrev_b32_e32 v3, 8, v17
	v_bfe_u32 v5, v17, 20, 11
	s_delay_alu instid0(VALU_DEP_3) | instskip(NEXT) | instid1(VALU_DEP_2)
	v_cmp_ne_u32_e32 vcc_lo, 0, v1
	v_sub_nc_u32_e32 v7, 0x3f1, v5
	v_add_nc_u32_e32 v5, 0xfffffc10, v5
	v_cndmask_b32_e64 v1, 0, 1, vcc_lo
	s_delay_alu instid0(VALU_DEP_1) | instskip(NEXT) | instid1(VALU_DEP_4)
	v_and_or_b32 v1, 0xffe, v3, v1
	v_med3_i32 v3, v7, 0, 13
	s_delay_alu instid0(VALU_DEP_2) | instskip(NEXT) | instid1(VALU_DEP_1)
	v_or_b32_e32 v7, 0x1000, v1
	v_lshrrev_b32_e32 v9, v3, v7
	s_delay_alu instid0(VALU_DEP_1) | instskip(NEXT) | instid1(VALU_DEP_1)
	v_lshlrev_b32_e32 v3, v3, v9
	v_cmp_ne_u32_e32 vcc_lo, v3, v7
	v_lshl_or_b32 v7, v5, 12, v1
	v_cndmask_b32_e64 v3, 0, 1, vcc_lo
	v_cmp_gt_i32_e32 vcc_lo, 1, v5
	s_delay_alu instid0(VALU_DEP_2) | instskip(NEXT) | instid1(VALU_DEP_1)
	v_or_b32_e32 v3, v9, v3
	v_cndmask_b32_e32 v3, v7, v3, vcc_lo
	s_delay_alu instid0(VALU_DEP_1) | instskip(NEXT) | instid1(VALU_DEP_1)
	v_and_b32_e32 v7, 7, v3
	v_cmp_lt_i32_e32 vcc_lo, 5, v7
	v_cndmask_b32_e64 v9, 0, 1, vcc_lo
	v_cmp_eq_u32_e32 vcc_lo, 3, v7
	v_cndmask_b32_e64 v7, 0, 1, vcc_lo
	v_cmp_ne_u32_e32 vcc_lo, 0, v1
	s_delay_alu instid0(VALU_DEP_2) | instskip(SKIP_1) | instid1(VALU_DEP_2)
	v_dual_lshrrev_b32 v3, 2, v3 :: v_dual_bitop2_b32 v7, v7, v9 bitop3:0x54
	v_mov_b32_e32 v9, 0x7e00
	v_add_nc_u32_e32 v3, v3, v7
	s_delay_alu instid0(VALU_DEP_2) | instskip(SKIP_1) | instid1(VALU_DEP_3)
	v_cndmask_b32_e32 v1, 0x7c00, v9, vcc_lo
	v_cmp_gt_i32_e32 vcc_lo, 31, v5
	v_cndmask_b32_e32 v3, 0x7c00, v3, vcc_lo
	v_cmp_eq_u32_e32 vcc_lo, 0x40f, v5
	s_delay_alu instid0(VALU_DEP_2) | instskip(SKIP_1) | instid1(VALU_DEP_1)
	v_cndmask_b32_e32 v1, v3, v1, vcc_lo
	v_lshrrev_b32_e32 v3, 16, v17
	v_and_or_b32 v1, 0x8000, v3, v1
	s_branch .LBB231_1295
.LBB231_1291:
                                        ; implicit-def: $vgpr1
	s_branch .LBB231_1312
.LBB231_1292:
                                        ; implicit-def: $vgpr1
	s_branch .LBB231_1301
.LBB231_1293:
	s_mov_b32 s1, -1
                                        ; implicit-def: $vgpr1
	s_branch .LBB231_1298
.LBB231_1294:
	s_mov_b32 s1, -1
                                        ; implicit-def: $vgpr1
.LBB231_1295:
	s_delay_alu instid0(SALU_CYCLE_1)
	s_and_not1_b32 vcc_lo, exec_lo, s1
	s_cbranch_vccnz .LBB231_1297
; %bb.1296:
	global_load_b32 v1, v[14:15], off
	s_wait_loadcnt 0x0
	v_cvt_f16_f32_e32 v1, v1
.LBB231_1297:
	s_mov_b32 s1, 0
.LBB231_1298:
	s_delay_alu instid0(SALU_CYCLE_1)
	s_and_not1_b32 vcc_lo, exec_lo, s1
	s_cbranch_vccnz .LBB231_1300
; %bb.1299:
	global_load_b32 v1, v[14:15], off
.LBB231_1300:
	s_cbranch_execnz .LBB231_1311
.LBB231_1301:
	s_cmp_lt_i32 s0, 6
	s_cbranch_scc1 .LBB231_1304
; %bb.1302:
	s_cmp_gt_i32 s0, 6
	s_cbranch_scc0 .LBB231_1305
; %bb.1303:
	global_load_b64 v[16:17], v[14:15], off
	s_mov_b32 s1, 0
	s_wait_loadcnt 0x0
	v_and_or_b32 v1, 0x1ff, v17, v16
	v_lshrrev_b32_e32 v3, 8, v17
	v_bfe_u32 v5, v17, 20, 11
	s_delay_alu instid0(VALU_DEP_3) | instskip(NEXT) | instid1(VALU_DEP_2)
	v_cmp_ne_u32_e32 vcc_lo, 0, v1
	v_sub_nc_u32_e32 v7, 0x3f1, v5
	v_add_nc_u32_e32 v5, 0xfffffc10, v5
	v_cndmask_b32_e64 v1, 0, 1, vcc_lo
	s_delay_alu instid0(VALU_DEP_1) | instskip(NEXT) | instid1(VALU_DEP_4)
	v_and_or_b32 v1, 0xffe, v3, v1
	v_med3_i32 v3, v7, 0, 13
	s_delay_alu instid0(VALU_DEP_2) | instskip(NEXT) | instid1(VALU_DEP_1)
	v_or_b32_e32 v7, 0x1000, v1
	v_lshrrev_b32_e32 v9, v3, v7
	s_delay_alu instid0(VALU_DEP_1) | instskip(NEXT) | instid1(VALU_DEP_1)
	v_lshlrev_b32_e32 v3, v3, v9
	v_cmp_ne_u32_e32 vcc_lo, v3, v7
	v_lshl_or_b32 v7, v5, 12, v1
	v_cndmask_b32_e64 v3, 0, 1, vcc_lo
	v_cmp_gt_i32_e32 vcc_lo, 1, v5
	s_delay_alu instid0(VALU_DEP_2) | instskip(NEXT) | instid1(VALU_DEP_1)
	v_or_b32_e32 v3, v9, v3
	v_cndmask_b32_e32 v3, v7, v3, vcc_lo
	s_delay_alu instid0(VALU_DEP_1) | instskip(NEXT) | instid1(VALU_DEP_1)
	v_and_b32_e32 v7, 7, v3
	v_cmp_lt_i32_e32 vcc_lo, 5, v7
	v_cndmask_b32_e64 v9, 0, 1, vcc_lo
	v_cmp_eq_u32_e32 vcc_lo, 3, v7
	v_cndmask_b32_e64 v7, 0, 1, vcc_lo
	v_cmp_ne_u32_e32 vcc_lo, 0, v1
	s_delay_alu instid0(VALU_DEP_2) | instskip(SKIP_1) | instid1(VALU_DEP_2)
	v_dual_lshrrev_b32 v3, 2, v3 :: v_dual_bitop2_b32 v7, v7, v9 bitop3:0x54
	v_mov_b32_e32 v9, 0x7e00
	v_add_nc_u32_e32 v3, v3, v7
	s_delay_alu instid0(VALU_DEP_2) | instskip(SKIP_1) | instid1(VALU_DEP_3)
	v_cndmask_b32_e32 v1, 0x7c00, v9, vcc_lo
	v_cmp_gt_i32_e32 vcc_lo, 31, v5
	v_cndmask_b32_e32 v3, 0x7c00, v3, vcc_lo
	v_cmp_eq_u32_e32 vcc_lo, 0x40f, v5
	s_delay_alu instid0(VALU_DEP_2) | instskip(SKIP_1) | instid1(VALU_DEP_1)
	v_cndmask_b32_e32 v1, v3, v1, vcc_lo
	v_lshrrev_b32_e32 v3, 16, v17
	v_and_or_b32 v1, 0x8000, v3, v1
	s_branch .LBB231_1306
.LBB231_1304:
	s_mov_b32 s1, -1
                                        ; implicit-def: $vgpr1
	s_branch .LBB231_1309
.LBB231_1305:
	s_mov_b32 s1, -1
                                        ; implicit-def: $vgpr1
.LBB231_1306:
	s_delay_alu instid0(SALU_CYCLE_1)
	s_and_not1_b32 vcc_lo, exec_lo, s1
	s_cbranch_vccnz .LBB231_1308
; %bb.1307:
	s_wait_loadcnt 0x0
	global_load_b32 v1, v[14:15], off
	s_wait_loadcnt 0x0
	v_cvt_f16_f32_e32 v1, v1
.LBB231_1308:
	s_mov_b32 s1, 0
.LBB231_1309:
	s_delay_alu instid0(SALU_CYCLE_1)
	s_and_not1_b32 vcc_lo, exec_lo, s1
	s_cbranch_vccnz .LBB231_1311
; %bb.1310:
	s_wait_loadcnt 0x0
	global_load_u16 v1, v[14:15], off
.LBB231_1311:
	s_cbranch_execnz .LBB231_1330
.LBB231_1312:
	s_cmp_lt_i32 s0, 2
	s_cbranch_scc1 .LBB231_1316
; %bb.1313:
	s_cmp_lt_i32 s0, 3
	s_cbranch_scc1 .LBB231_1317
; %bb.1314:
	s_cmp_gt_i32 s0, 3
	s_cbranch_scc0 .LBB231_1318
; %bb.1315:
	global_load_b64 v[16:17], v[14:15], off
	s_mov_b32 s1, 0
	s_wait_loadcnt 0x0
	v_xor_b32_e32 v1, v16, v17
	v_cls_i32_e32 v3, v17
	s_delay_alu instid0(VALU_DEP_2) | instskip(NEXT) | instid1(VALU_DEP_1)
	v_ashrrev_i32_e32 v1, 31, v1
	v_add_nc_u32_e32 v1, 32, v1
	s_delay_alu instid0(VALU_DEP_1) | instskip(NEXT) | instid1(VALU_DEP_1)
	v_add_min_u32_e64 v1, v3, -1, v1
	v_lshlrev_b64_e32 v[16:17], v1, v[16:17]
	v_sub_nc_u32_e32 v1, 32, v1
	s_delay_alu instid0(VALU_DEP_2) | instskip(NEXT) | instid1(VALU_DEP_1)
	v_min_u32_e32 v3, 1, v16
	v_or_b32_e32 v3, v17, v3
	s_delay_alu instid0(VALU_DEP_1) | instskip(NEXT) | instid1(VALU_DEP_1)
	v_cvt_f32_i32_e32 v3, v3
	v_ldexp_f32 v1, v3, v1
	s_delay_alu instid0(VALU_DEP_1)
	v_cvt_f16_f32_e32 v1, v1
	s_branch .LBB231_1319
.LBB231_1316:
                                        ; implicit-def: $vgpr1
	s_branch .LBB231_1325
.LBB231_1317:
	s_mov_b32 s1, -1
                                        ; implicit-def: $vgpr1
	s_branch .LBB231_1322
.LBB231_1318:
	s_mov_b32 s1, -1
                                        ; implicit-def: $vgpr1
.LBB231_1319:
	s_delay_alu instid0(SALU_CYCLE_1)
	s_and_not1_b32 vcc_lo, exec_lo, s1
	s_cbranch_vccnz .LBB231_1321
; %bb.1320:
	s_wait_loadcnt 0x0
	global_load_b32 v1, v[14:15], off
	s_wait_loadcnt 0x0
	v_cvt_f32_i32_e32 v1, v1
	s_delay_alu instid0(VALU_DEP_1)
	v_cvt_f16_f32_e32 v1, v1
.LBB231_1321:
	s_mov_b32 s1, 0
.LBB231_1322:
	s_delay_alu instid0(SALU_CYCLE_1)
	s_and_not1_b32 vcc_lo, exec_lo, s1
	s_cbranch_vccnz .LBB231_1324
; %bb.1323:
	s_wait_loadcnt 0x0
	global_load_u16 v1, v[14:15], off
	s_wait_loadcnt 0x0
	v_cvt_f16_i16_e32 v1, v1
.LBB231_1324:
	s_cbranch_execnz .LBB231_1330
.LBB231_1325:
	s_cmp_gt_i32 s0, 0
	s_mov_b32 s0, 0
	s_cbranch_scc0 .LBB231_1327
; %bb.1326:
	s_wait_loadcnt 0x0
	global_load_i8 v1, v[14:15], off
	s_wait_loadcnt 0x0
	v_cvt_f16_i16_e32 v1, v1
	s_branch .LBB231_1328
.LBB231_1327:
	s_mov_b32 s0, -1
                                        ; implicit-def: $vgpr1
.LBB231_1328:
	s_delay_alu instid0(SALU_CYCLE_1)
	s_and_not1_b32 vcc_lo, exec_lo, s0
	s_cbranch_vccnz .LBB231_1330
; %bb.1329:
	s_wait_loadcnt 0x0
	global_load_u8 v1, v[14:15], off
	s_wait_loadcnt 0x0
	v_cvt_f16_u16_e32 v1, v1
.LBB231_1330:
.LBB231_1331:
	s_mov_b32 s12, exec_lo
	s_wait_loadcnt 0x0
	s_delay_alu instid0(VALU_DEP_1)
	v_cmpx_o_f16_e32 v1, v1
	s_cbranch_execz .LBB231_1343
; %bb.1332:
	s_load_b64 s[0:1], s[2:3], 0x158
	v_cvt_f32_f16_e32 v3, v1
	s_mov_b32 s13, 0
	s_wait_kmcnt 0x0
	s_cmp_lt_i32 s0, 1
	s_cbranch_scc1 .LBB231_1335
; %bb.1333:
	s_cmp_eq_u32 s0, 1
	s_cbranch_scc0 .LBB231_1336
; %bb.1334:
	v_max_num_f32_e64 v1, s1, s1
	v_max_num_f32_e32 v5, v3, v3
	s_mov_b32 s14, 0
	s_delay_alu instid0(VALU_DEP_1) | instskip(NEXT) | instid1(VALU_DEP_1)
	v_min_num_f32_e32 v1, v5, v1
	v_cvt_f16_f32_e32 v1, v1
	s_branch .LBB231_1337
.LBB231_1335:
	s_mov_b32 s14, 0
                                        ; implicit-def: $vgpr1
	s_cbranch_execnz .LBB231_1338
	s_branch .LBB231_1339
.LBB231_1336:
	s_mov_b32 s14, -1
                                        ; implicit-def: $vgpr1
.LBB231_1337:
	s_branch .LBB231_1339
.LBB231_1338:
	s_cmp_lg_u32 s0, 0
	s_mov_b32 s13, -1
	s_cselect_b32 s14, -1, 0
.LBB231_1339:
	s_delay_alu instid0(SALU_CYCLE_1)
	s_and_not1_b32 vcc_lo, exec_lo, s14
	s_cbranch_vccnz .LBB231_1341
; %bb.1340:
	s_load_b32 s0, s[2:3], 0x160
	v_max_num_f32_e64 v1, s1, s1
	v_max_num_f32_e32 v5, v3, v3
	s_wait_kmcnt 0x0
	v_max_num_f32_e64 v7, s0, s0
	s_delay_alu instid0(VALU_DEP_1) | instskip(NEXT) | instid1(VALU_DEP_1)
	v_maxmin_num_f32 v1, v5, v1, v7
	v_cvt_f16_f32_e32 v1, v1
	s_cbranch_execz .LBB231_1342
	s_branch .LBB231_1343
.LBB231_1341:
	s_and_not1_b32 vcc_lo, exec_lo, s13
	s_cbranch_vccnz .LBB231_1343
.LBB231_1342:
	v_max_num_f32_e64 v1, s1, s1
	v_max_num_f32_e32 v3, v3, v3
	s_delay_alu instid0(VALU_DEP_1) | instskip(NEXT) | instid1(VALU_DEP_1)
	v_max_num_f32_e32 v1, v3, v1
	v_cvt_f16_f32_e32 v1, v1
.LBB231_1343:
	s_or_b32 exec_lo, exec_lo, s12
	v_mov_b32_e32 v13, 0
	s_and_b32 s11, 0xffff, s11
	s_delay_alu instid0(SALU_CYCLE_1) | instskip(NEXT) | instid1(VALU_DEP_1)
	s_cmp_lt_i32 s11, 11
	v_add_nc_u64_e32 v[12:13], s[6:7], v[12:13]
	s_cbranch_scc1 .LBB231_1350
; %bb.1344:
	s_cmp_gt_i32 s11, 25
	s_mov_b32 s1, 0
	s_cbranch_scc0 .LBB231_1352
; %bb.1345:
	s_cmp_gt_i32 s11, 28
	s_cbranch_scc0 .LBB231_1353
; %bb.1346:
	s_cmp_gt_i32 s11, 43
	;; [unrolled: 3-line block ×3, first 2 shown]
	s_cbranch_scc0 .LBB231_1356
; %bb.1348:
	s_cmp_eq_u32 s11, 46
	s_mov_b32 s13, 0
	s_cbranch_scc0 .LBB231_1359
; %bb.1349:
	global_load_b32 v3, v[12:13], off
	s_mov_b32 s0, 0
	s_mov_b32 s12, -1
	s_wait_loadcnt 0x0
	v_lshlrev_b32_e32 v3, 16, v3
	s_delay_alu instid0(VALU_DEP_1)
	v_cvt_f16_f32_e32 v3, v3
	s_branch .LBB231_1361
.LBB231_1350:
	s_mov_b32 s12, 0
                                        ; implicit-def: $vgpr3
	s_cbranch_execnz .LBB231_1426
.LBB231_1351:
	s_and_not1_b32 vcc_lo, exec_lo, s12
	s_cbranch_vccnz .LBB231_1763
	s_branch .LBB231_1473
.LBB231_1352:
	s_mov_b32 s12, 0
	s_mov_b32 s0, 0
                                        ; implicit-def: $vgpr3
	s_cbranch_execnz .LBB231_1390
	s_branch .LBB231_1422
.LBB231_1353:
	s_mov_b32 s13, -1
	s_mov_b32 s12, 0
	s_mov_b32 s0, 0
                                        ; implicit-def: $vgpr3
	s_branch .LBB231_1371
.LBB231_1354:
	s_mov_b32 s13, -1
	s_mov_b32 s12, 0
	s_mov_b32 s0, 0
                                        ; implicit-def: $vgpr3
	s_branch .LBB231_1366
.LBB231_1355:
	s_or_b32 s10, s8, exec_lo
	s_trap 2
	s_cbranch_execz .LBB231_1284
	s_branch .LBB231_1285
.LBB231_1356:
	s_mov_b32 s13, -1
	s_mov_b32 s12, 0
	s_mov_b32 s0, 0
	s_branch .LBB231_1360
.LBB231_1357:
	s_and_not1_saveexec_b32 s10, s10
	s_cbranch_execz .LBB231_1070
.LBB231_1358:
	v_add_f32_e64 v3, 0x42800000, |v2|
	s_and_not1_b32 s9, s9, exec_lo
	s_delay_alu instid0(VALU_DEP_1) | instskip(NEXT) | instid1(VALU_DEP_1)
	v_and_b32_e32 v3, 0xff, v3
	v_cmp_ne_u32_e32 vcc_lo, 0, v3
	s_and_b32 s11, vcc_lo, exec_lo
	s_delay_alu instid0(SALU_CYCLE_1)
	s_or_b32 s9, s9, s11
	s_or_b32 exec_lo, exec_lo, s10
	v_mov_b32_e32 v4, 0
	s_and_saveexec_b32 s10, s9
	s_cbranch_execnz .LBB231_1071
	s_branch .LBB231_1072
.LBB231_1359:
	s_mov_b32 s0, -1
	s_mov_b32 s12, 0
.LBB231_1360:
                                        ; implicit-def: $vgpr3
.LBB231_1361:
	s_and_b32 vcc_lo, exec_lo, s13
	s_cbranch_vccz .LBB231_1365
; %bb.1362:
	s_cmp_eq_u32 s11, 44
	s_cbranch_scc0 .LBB231_1364
; %bb.1363:
	global_load_u8 v3, v[12:13], off
	s_mov_b32 s0, 0
	s_mov_b32 s12, -1
	s_wait_loadcnt 0x0
	v_lshlrev_b32_e32 v5, 23, v3
	v_cmp_ne_u32_e32 vcc_lo, 0xff, v3
	s_delay_alu instid0(VALU_DEP_2) | instskip(NEXT) | instid1(VALU_DEP_1)
	v_cvt_f16_f32_e32 v5, v5
	v_cndmask_b32_e32 v5, 0x7e00, v5, vcc_lo
	v_cmp_ne_u32_e32 vcc_lo, 0, v3
	s_delay_alu instid0(VALU_DEP_2)
	v_cndmask_b32_e32 v3, 0, v5, vcc_lo
	s_branch .LBB231_1365
.LBB231_1364:
	s_mov_b32 s0, -1
                                        ; implicit-def: $vgpr3
.LBB231_1365:
	s_mov_b32 s13, 0
.LBB231_1366:
	s_delay_alu instid0(SALU_CYCLE_1)
	s_and_b32 vcc_lo, exec_lo, s13
	s_cbranch_vccz .LBB231_1370
; %bb.1367:
	s_cmp_eq_u32 s11, 29
	s_cbranch_scc0 .LBB231_1369
; %bb.1368:
	global_load_b64 v[14:15], v[12:13], off
	s_mov_b32 s0, 0
	s_mov_b32 s12, -1
	s_mov_b32 s13, 0
	s_wait_loadcnt 0x0
	v_clz_i32_u32_e32 v3, v15
	s_delay_alu instid0(VALU_DEP_1) | instskip(NEXT) | instid1(VALU_DEP_1)
	v_min_u32_e32 v3, 32, v3
	v_lshlrev_b64_e32 v[14:15], v3, v[14:15]
	v_sub_nc_u32_e32 v3, 32, v3
	s_delay_alu instid0(VALU_DEP_2) | instskip(NEXT) | instid1(VALU_DEP_1)
	v_min_u32_e32 v5, 1, v14
	v_or_b32_e32 v5, v15, v5
	s_delay_alu instid0(VALU_DEP_1) | instskip(NEXT) | instid1(VALU_DEP_1)
	v_cvt_f32_u32_e32 v5, v5
	v_ldexp_f32 v3, v5, v3
	s_delay_alu instid0(VALU_DEP_1)
	v_cvt_f16_f32_e32 v3, v3
	s_branch .LBB231_1371
.LBB231_1369:
	s_mov_b32 s0, -1
                                        ; implicit-def: $vgpr3
.LBB231_1370:
	s_mov_b32 s13, 0
.LBB231_1371:
	s_delay_alu instid0(SALU_CYCLE_1)
	s_and_b32 vcc_lo, exec_lo, s13
	s_cbranch_vccz .LBB231_1389
; %bb.1372:
	s_cmp_lt_i32 s11, 27
	s_cbranch_scc1 .LBB231_1375
; %bb.1373:
	s_cmp_gt_i32 s11, 27
	s_cbranch_scc0 .LBB231_1376
; %bb.1374:
	global_load_b32 v3, v[12:13], off
	s_mov_b32 s12, 0
	s_wait_loadcnt 0x0
	v_cvt_f32_u32_e32 v3, v3
	s_delay_alu instid0(VALU_DEP_1)
	v_cvt_f16_f32_e32 v3, v3
	s_branch .LBB231_1377
.LBB231_1375:
	s_mov_b32 s12, -1
                                        ; implicit-def: $vgpr3
	s_branch .LBB231_1380
.LBB231_1376:
	s_mov_b32 s12, -1
                                        ; implicit-def: $vgpr3
.LBB231_1377:
	s_delay_alu instid0(SALU_CYCLE_1)
	s_and_not1_b32 vcc_lo, exec_lo, s12
	s_cbranch_vccnz .LBB231_1379
; %bb.1378:
	global_load_u16 v3, v[12:13], off
	s_wait_loadcnt 0x0
	v_cvt_f16_u16_e32 v3, v3
.LBB231_1379:
	s_mov_b32 s12, 0
.LBB231_1380:
	s_delay_alu instid0(SALU_CYCLE_1)
	s_and_not1_b32 vcc_lo, exec_lo, s12
	s_cbranch_vccnz .LBB231_1388
; %bb.1381:
	global_load_u8 v5, v[12:13], off
	s_mov_b32 s12, 0
	s_mov_b32 s13, exec_lo
	s_wait_loadcnt 0x0
	v_cmpx_lt_i16_e32 0x7f, v5
	s_xor_b32 s13, exec_lo, s13
	s_cbranch_execz .LBB231_1401
; %bb.1382:
	s_mov_b32 s12, -1
	s_mov_b32 s14, exec_lo
	v_cmpx_eq_u16_e32 0x80, v5
; %bb.1383:
	s_xor_b32 s12, exec_lo, -1
; %bb.1384:
	s_or_b32 exec_lo, exec_lo, s14
	s_delay_alu instid0(SALU_CYCLE_1)
	s_and_b32 s12, s12, exec_lo
	s_or_saveexec_b32 s13, s13
	v_mov_b32_e32 v3, 0x7e00
	s_xor_b32 exec_lo, exec_lo, s13
	s_cbranch_execnz .LBB231_1402
.LBB231_1385:
	s_or_b32 exec_lo, exec_lo, s13
	s_and_saveexec_b32 s13, s12
	s_cbranch_execz .LBB231_1387
.LBB231_1386:
	v_and_b32_e32 v3, 0xffff, v5
	s_delay_alu instid0(VALU_DEP_1) | instskip(SKIP_1) | instid1(VALU_DEP_2)
	v_and_b32_e32 v7, 7, v3
	v_bfe_u32 v14, v3, 3, 4
	v_clz_i32_u32_e32 v9, v7
	s_delay_alu instid0(VALU_DEP_2) | instskip(NEXT) | instid1(VALU_DEP_2)
	v_cmp_eq_u32_e32 vcc_lo, 0, v14
	v_min_u32_e32 v9, 32, v9
	s_delay_alu instid0(VALU_DEP_1) | instskip(NEXT) | instid1(VALU_DEP_1)
	v_subrev_nc_u32_e32 v11, 28, v9
	v_dual_lshlrev_b32 v3, v11, v3 :: v_dual_sub_nc_u32 v9, 29, v9
	s_delay_alu instid0(VALU_DEP_1) | instskip(NEXT) | instid1(VALU_DEP_1)
	v_dual_lshlrev_b32 v5, 24, v5 :: v_dual_bitop2_b32 v3, 7, v3 bitop3:0x40
	v_dual_cndmask_b32 v3, v7, v3, vcc_lo :: v_dual_cndmask_b32 v9, v14, v9, vcc_lo
	s_delay_alu instid0(VALU_DEP_2) | instskip(NEXT) | instid1(VALU_DEP_2)
	v_and_b32_e32 v5, 0x80000000, v5
	v_lshlrev_b32_e32 v3, 20, v3
	s_delay_alu instid0(VALU_DEP_3) | instskip(NEXT) | instid1(VALU_DEP_1)
	v_lshl_add_u32 v7, v9, 23, 0x3b800000
	v_or3_b32 v3, v5, v7, v3
	s_delay_alu instid0(VALU_DEP_1)
	v_cvt_f16_f32_e32 v3, v3
.LBB231_1387:
	s_or_b32 exec_lo, exec_lo, s13
.LBB231_1388:
	s_mov_b32 s12, -1
.LBB231_1389:
	s_branch .LBB231_1422
.LBB231_1390:
	s_cmp_gt_i32 s11, 22
	s_cbranch_scc0 .LBB231_1400
; %bb.1391:
	s_cmp_lt_i32 s11, 24
	s_cbranch_scc1 .LBB231_1403
; %bb.1392:
	s_cmp_gt_i32 s11, 24
	s_cbranch_scc0 .LBB231_1404
; %bb.1393:
	global_load_u8 v5, v[12:13], off
	s_mov_b32 s12, exec_lo
	s_wait_loadcnt 0x0
	v_cmpx_lt_i16_e32 0x7f, v5
	s_xor_b32 s12, exec_lo, s12
	s_cbranch_execz .LBB231_1416
; %bb.1394:
	s_mov_b32 s1, -1
	s_mov_b32 s13, exec_lo
	v_cmpx_eq_u16_e32 0x80, v5
; %bb.1395:
	s_xor_b32 s1, exec_lo, -1
; %bb.1396:
	s_or_b32 exec_lo, exec_lo, s13
	s_delay_alu instid0(SALU_CYCLE_1)
	s_and_b32 s1, s1, exec_lo
	s_or_saveexec_b32 s12, s12
	v_mov_b32_e32 v3, 0x7e00
	s_xor_b32 exec_lo, exec_lo, s12
	s_cbranch_execnz .LBB231_1417
.LBB231_1397:
	s_or_b32 exec_lo, exec_lo, s12
	s_and_saveexec_b32 s12, s1
	s_cbranch_execz .LBB231_1399
.LBB231_1398:
	v_and_b32_e32 v3, 0xffff, v5
	s_delay_alu instid0(VALU_DEP_1) | instskip(SKIP_1) | instid1(VALU_DEP_2)
	v_and_b32_e32 v7, 3, v3
	v_bfe_u32 v14, v3, 2, 5
	v_clz_i32_u32_e32 v9, v7
	s_delay_alu instid0(VALU_DEP_2) | instskip(NEXT) | instid1(VALU_DEP_2)
	v_cmp_eq_u32_e32 vcc_lo, 0, v14
	v_min_u32_e32 v9, 32, v9
	s_delay_alu instid0(VALU_DEP_1) | instskip(NEXT) | instid1(VALU_DEP_1)
	v_subrev_nc_u32_e32 v11, 29, v9
	v_dual_lshlrev_b32 v3, v11, v3 :: v_dual_sub_nc_u32 v9, 30, v9
	s_delay_alu instid0(VALU_DEP_1) | instskip(NEXT) | instid1(VALU_DEP_1)
	v_dual_lshlrev_b32 v5, 24, v5 :: v_dual_bitop2_b32 v3, 3, v3 bitop3:0x40
	v_dual_cndmask_b32 v3, v7, v3, vcc_lo :: v_dual_cndmask_b32 v9, v14, v9, vcc_lo
	s_delay_alu instid0(VALU_DEP_2) | instskip(NEXT) | instid1(VALU_DEP_2)
	v_and_b32_e32 v5, 0x80000000, v5
	v_lshlrev_b32_e32 v3, 21, v3
	s_delay_alu instid0(VALU_DEP_3) | instskip(NEXT) | instid1(VALU_DEP_1)
	v_lshl_add_u32 v7, v9, 23, 0x37800000
	v_or3_b32 v3, v5, v7, v3
	s_delay_alu instid0(VALU_DEP_1)
	v_cvt_f16_f32_e32 v3, v3
.LBB231_1399:
	s_or_b32 exec_lo, exec_lo, s12
	s_mov_b32 s1, 0
	s_branch .LBB231_1405
.LBB231_1400:
	s_mov_b32 s1, -1
                                        ; implicit-def: $vgpr3
	s_branch .LBB231_1411
.LBB231_1401:
	s_or_saveexec_b32 s13, s13
	v_mov_b32_e32 v3, 0x7e00
	s_xor_b32 exec_lo, exec_lo, s13
	s_cbranch_execz .LBB231_1385
.LBB231_1402:
	v_cmp_ne_u16_e32 vcc_lo, 0, v5
	v_mov_b32_e32 v3, v5
	s_and_not1_b32 s12, s12, exec_lo
	s_and_b32 s14, vcc_lo, exec_lo
	s_delay_alu instid0(SALU_CYCLE_1)
	s_or_b32 s12, s12, s14
	s_or_b32 exec_lo, exec_lo, s13
	s_and_saveexec_b32 s13, s12
	s_cbranch_execnz .LBB231_1386
	s_branch .LBB231_1387
.LBB231_1403:
	s_mov_b32 s1, -1
                                        ; implicit-def: $vgpr3
	s_branch .LBB231_1408
.LBB231_1404:
	s_mov_b32 s1, -1
                                        ; implicit-def: $vgpr3
.LBB231_1405:
	s_delay_alu instid0(SALU_CYCLE_1)
	s_and_b32 vcc_lo, exec_lo, s1
	s_cbranch_vccz .LBB231_1407
; %bb.1406:
	global_load_u8 v3, v[12:13], off
	s_wait_loadcnt 0x0
	v_lshlrev_b32_e32 v3, 24, v3
	s_delay_alu instid0(VALU_DEP_1) | instskip(NEXT) | instid1(VALU_DEP_1)
	v_and_b32_e32 v5, 0x7f000000, v3
	v_clz_i32_u32_e32 v7, v5
	v_add_nc_u32_e32 v11, 0x1000000, v5
	v_cmp_ne_u32_e32 vcc_lo, 0, v5
	s_delay_alu instid0(VALU_DEP_3) | instskip(NEXT) | instid1(VALU_DEP_1)
	v_min_u32_e32 v7, 32, v7
	v_sub_nc_u32_e64 v7, v7, 4 clamp
	s_delay_alu instid0(VALU_DEP_1) | instskip(NEXT) | instid1(VALU_DEP_1)
	v_dual_lshlrev_b32 v9, v7, v5 :: v_dual_lshlrev_b32 v7, 23, v7
	v_lshrrev_b32_e32 v9, 4, v9
	s_delay_alu instid0(VALU_DEP_1) | instskip(SKIP_1) | instid1(VALU_DEP_2)
	v_sub_nc_u32_e32 v7, v9, v7
	v_ashrrev_i32_e32 v9, 8, v11
	v_add_nc_u32_e32 v7, 0x3c000000, v7
	s_delay_alu instid0(VALU_DEP_1) | instskip(NEXT) | instid1(VALU_DEP_1)
	v_and_or_b32 v7, 0x7f800000, v9, v7
	v_cndmask_b32_e32 v5, 0, v7, vcc_lo
	s_delay_alu instid0(VALU_DEP_1) | instskip(NEXT) | instid1(VALU_DEP_1)
	v_and_or_b32 v3, 0x80000000, v3, v5
	v_cvt_f16_f32_e32 v3, v3
.LBB231_1407:
	s_mov_b32 s1, 0
.LBB231_1408:
	s_delay_alu instid0(SALU_CYCLE_1)
	s_and_not1_b32 vcc_lo, exec_lo, s1
	s_cbranch_vccnz .LBB231_1410
; %bb.1409:
	global_load_u8 v3, v[12:13], off
	s_wait_loadcnt 0x0
	v_lshlrev_b32_e32 v5, 25, v3
	v_lshlrev_b16 v3, 8, v3
	s_delay_alu instid0(VALU_DEP_1) | instskip(SKIP_1) | instid1(VALU_DEP_2)
	v_and_or_b32 v9, 0x7f00, v3, 0.5
	v_bfe_i32 v3, v3, 0, 16
	v_add_f32_e32 v9, -0.5, v9
	v_lshrrev_b32_e32 v7, 4, v5
	v_cmp_gt_u32_e32 vcc_lo, 0x8000000, v5
	s_delay_alu instid0(VALU_DEP_2) | instskip(NEXT) | instid1(VALU_DEP_1)
	v_or_b32_e32 v7, 0x70000000, v7
	v_mul_f32_e32 v7, 0x7800000, v7
	s_delay_alu instid0(VALU_DEP_1) | instskip(NEXT) | instid1(VALU_DEP_1)
	v_cndmask_b32_e32 v5, v7, v9, vcc_lo
	v_and_or_b32 v3, 0x80000000, v3, v5
	s_delay_alu instid0(VALU_DEP_1)
	v_cvt_f16_f32_e32 v3, v3
.LBB231_1410:
	s_mov_b32 s1, 0
	s_mov_b32 s12, -1
.LBB231_1411:
	s_and_not1_b32 vcc_lo, exec_lo, s1
	s_mov_b32 s1, 0
	s_cbranch_vccnz .LBB231_1422
; %bb.1412:
	s_cmp_gt_i32 s11, 14
	s_cbranch_scc0 .LBB231_1415
; %bb.1413:
	s_cmp_eq_u32 s11, 15
	s_cbranch_scc0 .LBB231_1418
; %bb.1414:
	global_load_u16 v3, v[12:13], off
	s_mov_b32 s0, 0
	s_mov_b32 s12, -1
	s_wait_loadcnt 0x0
	v_lshlrev_b32_e32 v3, 16, v3
	s_delay_alu instid0(VALU_DEP_1)
	v_cvt_f16_f32_e32 v3, v3
	s_branch .LBB231_1420
.LBB231_1415:
	s_mov_b32 s1, -1
	s_branch .LBB231_1419
.LBB231_1416:
	s_or_saveexec_b32 s12, s12
	v_mov_b32_e32 v3, 0x7e00
	s_xor_b32 exec_lo, exec_lo, s12
	s_cbranch_execz .LBB231_1397
.LBB231_1417:
	v_cmp_ne_u16_e32 vcc_lo, 0, v5
	v_mov_b32_e32 v3, v5
	s_and_not1_b32 s1, s1, exec_lo
	s_and_b32 s13, vcc_lo, exec_lo
	s_delay_alu instid0(SALU_CYCLE_1)
	s_or_b32 s1, s1, s13
	s_or_b32 exec_lo, exec_lo, s12
	s_and_saveexec_b32 s12, s1
	s_cbranch_execnz .LBB231_1398
	s_branch .LBB231_1399
.LBB231_1418:
	s_mov_b32 s0, -1
.LBB231_1419:
                                        ; implicit-def: $vgpr3
.LBB231_1420:
	s_and_b32 vcc_lo, exec_lo, s1
	s_mov_b32 s1, 0
	s_cbranch_vccz .LBB231_1422
; %bb.1421:
	s_cmp_lg_u32 s11, 11
	s_mov_b32 s1, -1
	s_cselect_b32 s0, -1, 0
.LBB231_1422:
	s_delay_alu instid0(SALU_CYCLE_1)
	s_and_b32 vcc_lo, exec_lo, s0
	s_cbranch_vccnz .LBB231_1497
; %bb.1423:
	s_and_not1_b32 vcc_lo, exec_lo, s1
	s_cbranch_vccnz .LBB231_1425
.LBB231_1424:
	global_load_u8 v3, v[12:13], off
	s_mov_b32 s12, -1
	s_wait_loadcnt 0x0
	v_cmp_ne_u16_e32 vcc_lo, 0, v3
	v_cndmask_b32_e64 v3, 0, 0x3c00, vcc_lo
.LBB231_1425:
	s_branch .LBB231_1351
.LBB231_1426:
	s_cmp_lt_i32 s11, 5
	s_cbranch_scc1 .LBB231_1431
; %bb.1427:
	s_cmp_lt_i32 s11, 8
	s_cbranch_scc1 .LBB231_1432
; %bb.1428:
	;; [unrolled: 3-line block ×3, first 2 shown]
	s_cmp_gt_i32 s11, 9
	s_cbranch_scc0 .LBB231_1434
; %bb.1430:
	global_load_b64 v[14:15], v[12:13], off
	s_mov_b32 s0, 0
	s_wait_loadcnt 0x0
	v_and_or_b32 v3, 0x1ff, v15, v14
	v_lshrrev_b32_e32 v5, 8, v15
	v_bfe_u32 v7, v15, 20, 11
	s_delay_alu instid0(VALU_DEP_3) | instskip(NEXT) | instid1(VALU_DEP_2)
	v_cmp_ne_u32_e32 vcc_lo, 0, v3
	v_sub_nc_u32_e32 v9, 0x3f1, v7
	v_add_nc_u32_e32 v7, 0xfffffc10, v7
	v_cndmask_b32_e64 v3, 0, 1, vcc_lo
	s_delay_alu instid0(VALU_DEP_1) | instskip(NEXT) | instid1(VALU_DEP_4)
	v_and_or_b32 v3, 0xffe, v5, v3
	v_med3_i32 v5, v9, 0, 13
	s_delay_alu instid0(VALU_DEP_2) | instskip(NEXT) | instid1(VALU_DEP_1)
	v_or_b32_e32 v9, 0x1000, v3
	v_lshrrev_b32_e32 v11, v5, v9
	s_delay_alu instid0(VALU_DEP_1) | instskip(NEXT) | instid1(VALU_DEP_1)
	v_lshlrev_b32_e32 v5, v5, v11
	v_cmp_ne_u32_e32 vcc_lo, v5, v9
	v_lshl_or_b32 v9, v7, 12, v3
	v_cndmask_b32_e64 v5, 0, 1, vcc_lo
	v_cmp_gt_i32_e32 vcc_lo, 1, v7
	s_delay_alu instid0(VALU_DEP_2) | instskip(NEXT) | instid1(VALU_DEP_1)
	v_or_b32_e32 v5, v11, v5
	v_cndmask_b32_e32 v5, v9, v5, vcc_lo
	s_delay_alu instid0(VALU_DEP_1) | instskip(NEXT) | instid1(VALU_DEP_1)
	v_and_b32_e32 v9, 7, v5
	v_cmp_lt_i32_e32 vcc_lo, 5, v9
	v_cndmask_b32_e64 v11, 0, 1, vcc_lo
	v_cmp_eq_u32_e32 vcc_lo, 3, v9
	v_cndmask_b32_e64 v9, 0, 1, vcc_lo
	v_cmp_ne_u32_e32 vcc_lo, 0, v3
	s_delay_alu instid0(VALU_DEP_2) | instskip(SKIP_1) | instid1(VALU_DEP_2)
	v_dual_lshrrev_b32 v5, 2, v5 :: v_dual_bitop2_b32 v9, v9, v11 bitop3:0x54
	v_mov_b32_e32 v11, 0x7e00
	v_add_nc_u32_e32 v5, v5, v9
	s_delay_alu instid0(VALU_DEP_2) | instskip(SKIP_1) | instid1(VALU_DEP_3)
	v_cndmask_b32_e32 v3, 0x7c00, v11, vcc_lo
	v_cmp_gt_i32_e32 vcc_lo, 31, v7
	v_cndmask_b32_e32 v5, 0x7c00, v5, vcc_lo
	v_cmp_eq_u32_e32 vcc_lo, 0x40f, v7
	s_delay_alu instid0(VALU_DEP_2) | instskip(SKIP_1) | instid1(VALU_DEP_1)
	v_cndmask_b32_e32 v3, v5, v3, vcc_lo
	v_lshrrev_b32_e32 v5, 16, v15
	v_and_or_b32 v3, 0x8000, v5, v3
	s_branch .LBB231_1435
.LBB231_1431:
                                        ; implicit-def: $vgpr3
	s_branch .LBB231_1453
.LBB231_1432:
	s_mov_b32 s0, -1
                                        ; implicit-def: $vgpr3
	s_branch .LBB231_1441
.LBB231_1433:
	s_mov_b32 s0, -1
                                        ; implicit-def: $vgpr3
	s_branch .LBB231_1438
.LBB231_1434:
	s_mov_b32 s0, -1
                                        ; implicit-def: $vgpr3
.LBB231_1435:
	s_delay_alu instid0(SALU_CYCLE_1)
	s_and_not1_b32 vcc_lo, exec_lo, s0
	s_cbranch_vccnz .LBB231_1437
; %bb.1436:
	global_load_b32 v3, v[12:13], off
	s_wait_loadcnt 0x0
	v_cvt_f16_f32_e32 v3, v3
.LBB231_1437:
	s_mov_b32 s0, 0
.LBB231_1438:
	s_delay_alu instid0(SALU_CYCLE_1)
	s_and_not1_b32 vcc_lo, exec_lo, s0
	s_cbranch_vccnz .LBB231_1440
; %bb.1439:
	global_load_b32 v3, v[12:13], off
.LBB231_1440:
	s_mov_b32 s0, 0
.LBB231_1441:
	s_delay_alu instid0(SALU_CYCLE_1)
	s_and_not1_b32 vcc_lo, exec_lo, s0
	s_cbranch_vccnz .LBB231_1452
; %bb.1442:
	s_cmp_lt_i32 s11, 6
	s_cbranch_scc1 .LBB231_1445
; %bb.1443:
	s_cmp_gt_i32 s11, 6
	s_cbranch_scc0 .LBB231_1446
; %bb.1444:
	global_load_b64 v[14:15], v[12:13], off
	s_mov_b32 s0, 0
	s_wait_loadcnt 0x0
	v_and_or_b32 v3, 0x1ff, v15, v14
	v_lshrrev_b32_e32 v5, 8, v15
	v_bfe_u32 v7, v15, 20, 11
	s_delay_alu instid0(VALU_DEP_3) | instskip(NEXT) | instid1(VALU_DEP_2)
	v_cmp_ne_u32_e32 vcc_lo, 0, v3
	v_sub_nc_u32_e32 v9, 0x3f1, v7
	v_add_nc_u32_e32 v7, 0xfffffc10, v7
	v_cndmask_b32_e64 v3, 0, 1, vcc_lo
	s_delay_alu instid0(VALU_DEP_1) | instskip(NEXT) | instid1(VALU_DEP_4)
	v_and_or_b32 v3, 0xffe, v5, v3
	v_med3_i32 v5, v9, 0, 13
	s_delay_alu instid0(VALU_DEP_2) | instskip(NEXT) | instid1(VALU_DEP_1)
	v_or_b32_e32 v9, 0x1000, v3
	v_lshrrev_b32_e32 v11, v5, v9
	s_delay_alu instid0(VALU_DEP_1) | instskip(NEXT) | instid1(VALU_DEP_1)
	v_lshlrev_b32_e32 v5, v5, v11
	v_cmp_ne_u32_e32 vcc_lo, v5, v9
	v_lshl_or_b32 v9, v7, 12, v3
	v_cndmask_b32_e64 v5, 0, 1, vcc_lo
	v_cmp_gt_i32_e32 vcc_lo, 1, v7
	s_delay_alu instid0(VALU_DEP_2) | instskip(NEXT) | instid1(VALU_DEP_1)
	v_or_b32_e32 v5, v11, v5
	v_cndmask_b32_e32 v5, v9, v5, vcc_lo
	s_delay_alu instid0(VALU_DEP_1) | instskip(NEXT) | instid1(VALU_DEP_1)
	v_and_b32_e32 v9, 7, v5
	v_cmp_lt_i32_e32 vcc_lo, 5, v9
	v_cndmask_b32_e64 v11, 0, 1, vcc_lo
	v_cmp_eq_u32_e32 vcc_lo, 3, v9
	v_cndmask_b32_e64 v9, 0, 1, vcc_lo
	v_cmp_ne_u32_e32 vcc_lo, 0, v3
	s_delay_alu instid0(VALU_DEP_2) | instskip(SKIP_1) | instid1(VALU_DEP_2)
	v_dual_lshrrev_b32 v5, 2, v5 :: v_dual_bitop2_b32 v9, v9, v11 bitop3:0x54
	v_mov_b32_e32 v11, 0x7e00
	v_add_nc_u32_e32 v5, v5, v9
	s_delay_alu instid0(VALU_DEP_2) | instskip(SKIP_1) | instid1(VALU_DEP_3)
	v_cndmask_b32_e32 v3, 0x7c00, v11, vcc_lo
	v_cmp_gt_i32_e32 vcc_lo, 31, v7
	v_cndmask_b32_e32 v5, 0x7c00, v5, vcc_lo
	v_cmp_eq_u32_e32 vcc_lo, 0x40f, v7
	s_delay_alu instid0(VALU_DEP_2) | instskip(SKIP_1) | instid1(VALU_DEP_1)
	v_cndmask_b32_e32 v3, v5, v3, vcc_lo
	v_lshrrev_b32_e32 v5, 16, v15
	v_and_or_b32 v3, 0x8000, v5, v3
	s_branch .LBB231_1447
.LBB231_1445:
	s_mov_b32 s0, -1
                                        ; implicit-def: $vgpr3
	s_branch .LBB231_1450
.LBB231_1446:
	s_mov_b32 s0, -1
                                        ; implicit-def: $vgpr3
.LBB231_1447:
	s_delay_alu instid0(SALU_CYCLE_1)
	s_and_not1_b32 vcc_lo, exec_lo, s0
	s_cbranch_vccnz .LBB231_1449
; %bb.1448:
	s_wait_loadcnt 0x0
	global_load_b32 v3, v[12:13], off
	s_wait_loadcnt 0x0
	v_cvt_f16_f32_e32 v3, v3
.LBB231_1449:
	s_mov_b32 s0, 0
.LBB231_1450:
	s_delay_alu instid0(SALU_CYCLE_1)
	s_and_not1_b32 vcc_lo, exec_lo, s0
	s_cbranch_vccnz .LBB231_1452
; %bb.1451:
	s_wait_loadcnt 0x0
	global_load_u16 v3, v[12:13], off
.LBB231_1452:
	s_cbranch_execnz .LBB231_1472
.LBB231_1453:
	s_cmp_lt_i32 s11, 2
	s_cbranch_scc1 .LBB231_1457
; %bb.1454:
	s_cmp_lt_i32 s11, 3
	s_cbranch_scc1 .LBB231_1458
; %bb.1455:
	s_cmp_gt_i32 s11, 3
	s_cbranch_scc0 .LBB231_1459
; %bb.1456:
	global_load_b64 v[14:15], v[12:13], off
	s_mov_b32 s0, 0
	s_wait_loadcnt 0x0
	v_xor_b32_e32 v3, v14, v15
	v_cls_i32_e32 v5, v15
	s_delay_alu instid0(VALU_DEP_2) | instskip(NEXT) | instid1(VALU_DEP_1)
	v_ashrrev_i32_e32 v3, 31, v3
	v_add_nc_u32_e32 v3, 32, v3
	s_delay_alu instid0(VALU_DEP_1) | instskip(NEXT) | instid1(VALU_DEP_1)
	v_add_min_u32_e64 v3, v5, -1, v3
	v_lshlrev_b64_e32 v[14:15], v3, v[14:15]
	v_sub_nc_u32_e32 v3, 32, v3
	s_delay_alu instid0(VALU_DEP_2) | instskip(NEXT) | instid1(VALU_DEP_1)
	v_min_u32_e32 v5, 1, v14
	v_or_b32_e32 v5, v15, v5
	s_delay_alu instid0(VALU_DEP_1) | instskip(NEXT) | instid1(VALU_DEP_1)
	v_cvt_f32_i32_e32 v5, v5
	v_ldexp_f32 v3, v5, v3
	s_delay_alu instid0(VALU_DEP_1)
	v_cvt_f16_f32_e32 v3, v3
	s_branch .LBB231_1460
.LBB231_1457:
	s_mov_b32 s0, -1
                                        ; implicit-def: $vgpr3
	s_branch .LBB231_1466
.LBB231_1458:
	s_mov_b32 s0, -1
                                        ; implicit-def: $vgpr3
	s_branch .LBB231_1463
.LBB231_1459:
	s_mov_b32 s0, -1
                                        ; implicit-def: $vgpr3
.LBB231_1460:
	s_delay_alu instid0(SALU_CYCLE_1)
	s_and_not1_b32 vcc_lo, exec_lo, s0
	s_cbranch_vccnz .LBB231_1462
; %bb.1461:
	s_wait_loadcnt 0x0
	global_load_b32 v3, v[12:13], off
	s_wait_loadcnt 0x0
	v_cvt_f32_i32_e32 v3, v3
	s_delay_alu instid0(VALU_DEP_1)
	v_cvt_f16_f32_e32 v3, v3
.LBB231_1462:
	s_mov_b32 s0, 0
.LBB231_1463:
	s_delay_alu instid0(SALU_CYCLE_1)
	s_and_not1_b32 vcc_lo, exec_lo, s0
	s_cbranch_vccnz .LBB231_1465
; %bb.1464:
	s_wait_loadcnt 0x0
	global_load_u16 v3, v[12:13], off
	s_wait_loadcnt 0x0
	v_cvt_f16_i16_e32 v3, v3
.LBB231_1465:
	s_mov_b32 s0, 0
.LBB231_1466:
	s_delay_alu instid0(SALU_CYCLE_1)
	s_and_not1_b32 vcc_lo, exec_lo, s0
	s_cbranch_vccnz .LBB231_1472
; %bb.1467:
	s_cmp_gt_i32 s11, 0
	s_mov_b32 s0, 0
	s_cbranch_scc0 .LBB231_1469
; %bb.1468:
	s_wait_loadcnt 0x0
	global_load_i8 v3, v[12:13], off
	s_wait_loadcnt 0x0
	v_cvt_f16_i16_e32 v3, v3
	s_branch .LBB231_1470
.LBB231_1469:
	s_mov_b32 s0, -1
                                        ; implicit-def: $vgpr3
.LBB231_1470:
	s_delay_alu instid0(SALU_CYCLE_1)
	s_and_not1_b32 vcc_lo, exec_lo, s0
	s_cbranch_vccnz .LBB231_1472
; %bb.1471:
	s_wait_loadcnt 0x0
	global_load_u8 v3, v[12:13], off
	s_wait_loadcnt 0x0
	v_cvt_f16_u16_e32 v3, v3
.LBB231_1472:
.LBB231_1473:
	s_mov_b32 s12, exec_lo
	s_wait_loadcnt 0x0
	s_delay_alu instid0(VALU_DEP_1)
	v_cmpx_o_f16_e32 v3, v3
	s_cbranch_execz .LBB231_1485
; %bb.1474:
	s_load_b64 s[0:1], s[2:3], 0x158
	v_cvt_f32_f16_e32 v5, v3
	s_mov_b32 s13, 0
	s_wait_kmcnt 0x0
	s_cmp_lt_i32 s0, 1
	s_cbranch_scc1 .LBB231_1477
; %bb.1475:
	s_cmp_eq_u32 s0, 1
	s_cbranch_scc0 .LBB231_1480
; %bb.1476:
	v_max_num_f32_e64 v3, s1, s1
	v_max_num_f32_e32 v7, v5, v5
	s_mov_b32 s14, 0
	s_delay_alu instid0(VALU_DEP_1) | instskip(NEXT) | instid1(VALU_DEP_1)
	v_min_num_f32_e32 v3, v7, v3
	v_cvt_f16_f32_e32 v3, v3
	s_branch .LBB231_1481
.LBB231_1477:
	s_mov_b32 s14, 0
                                        ; implicit-def: $vgpr3
	s_cbranch_execnz .LBB231_1482
.LBB231_1478:
	s_and_not1_b32 vcc_lo, exec_lo, s14
	s_cbranch_vccnz .LBB231_1483
.LBB231_1479:
	s_load_b32 s0, s[2:3], 0x160
	v_max_num_f32_e64 v3, s1, s1
	v_max_num_f32_e32 v7, v5, v5
	s_wait_kmcnt 0x0
	v_max_num_f32_e64 v9, s0, s0
	s_delay_alu instid0(VALU_DEP_1) | instskip(NEXT) | instid1(VALU_DEP_1)
	v_maxmin_num_f32 v3, v7, v3, v9
	v_cvt_f16_f32_e32 v3, v3
	s_cbranch_execz .LBB231_1484
	s_branch .LBB231_1485
.LBB231_1480:
	s_mov_b32 s14, -1
                                        ; implicit-def: $vgpr3
.LBB231_1481:
	s_branch .LBB231_1478
.LBB231_1482:
	s_cmp_lg_u32 s0, 0
	s_mov_b32 s13, -1
	s_cselect_b32 s14, -1, 0
	s_delay_alu instid0(SALU_CYCLE_1)
	s_and_not1_b32 vcc_lo, exec_lo, s14
	s_cbranch_vccz .LBB231_1479
.LBB231_1483:
	s_and_not1_b32 vcc_lo, exec_lo, s13
	s_cbranch_vccnz .LBB231_1485
.LBB231_1484:
	v_max_num_f32_e64 v3, s1, s1
	v_max_num_f32_e32 v5, v5, v5
	s_delay_alu instid0(VALU_DEP_1) | instskip(NEXT) | instid1(VALU_DEP_1)
	v_max_num_f32_e32 v3, v5, v3
	v_cvt_f16_f32_e32 v3, v3
.LBB231_1485:
	s_or_b32 exec_lo, exec_lo, s12
	v_mov_b32_e32 v11, 0
	s_cmp_lt_i32 s11, 11
	s_delay_alu instid0(VALU_DEP_1)
	v_add_nc_u64_e32 v[10:11], s[6:7], v[10:11]
	s_cbranch_scc1 .LBB231_1492
; %bb.1486:
	s_cmp_gt_i32 s11, 25
	s_mov_b32 s1, 0
	s_cbranch_scc0 .LBB231_1494
; %bb.1487:
	s_cmp_gt_i32 s11, 28
	s_cbranch_scc0 .LBB231_1495
; %bb.1488:
	s_cmp_gt_i32 s11, 43
	;; [unrolled: 3-line block ×3, first 2 shown]
	s_cbranch_scc0 .LBB231_1498
; %bb.1490:
	s_cmp_eq_u32 s11, 46
	s_mov_b32 s13, 0
	s_cbranch_scc0 .LBB231_1499
; %bb.1491:
	global_load_b32 v5, v[10:11], off
	s_mov_b32 s0, 0
	s_mov_b32 s12, -1
	s_wait_loadcnt 0x0
	v_lshlrev_b32_e32 v5, 16, v5
	s_delay_alu instid0(VALU_DEP_1)
	v_cvt_f16_f32_e32 v12, v5
	s_branch .LBB231_1501
.LBB231_1492:
	s_mov_b32 s12, 0
                                        ; implicit-def: $vgpr12
	s_cbranch_execnz .LBB231_1567
.LBB231_1493:
	s_and_not1_b32 vcc_lo, exec_lo, s12
	s_cbranch_vccnz .LBB231_1763
	s_branch .LBB231_1615
.LBB231_1494:
	s_mov_b32 s13, -1
	s_mov_b32 s12, 0
	s_mov_b32 s0, 0
                                        ; implicit-def: $vgpr12
	s_branch .LBB231_1530
.LBB231_1495:
	s_mov_b32 s13, -1
	s_mov_b32 s12, 0
	s_mov_b32 s0, 0
                                        ; implicit-def: $vgpr12
	s_branch .LBB231_1511
.LBB231_1496:
	s_mov_b32 s13, -1
	s_mov_b32 s12, 0
	s_mov_b32 s0, 0
                                        ; implicit-def: $vgpr12
	s_branch .LBB231_1506
.LBB231_1497:
	s_or_b32 s10, s10, exec_lo
	s_trap 2
	s_cbranch_execz .LBB231_1424
	s_branch .LBB231_1425
.LBB231_1498:
	s_mov_b32 s13, -1
	s_mov_b32 s12, 0
	s_mov_b32 s0, 0
	s_branch .LBB231_1500
.LBB231_1499:
	s_mov_b32 s0, -1
	s_mov_b32 s12, 0
.LBB231_1500:
                                        ; implicit-def: $vgpr12
.LBB231_1501:
	s_and_b32 vcc_lo, exec_lo, s13
	s_cbranch_vccz .LBB231_1505
; %bb.1502:
	s_cmp_eq_u32 s11, 44
	s_cbranch_scc0 .LBB231_1504
; %bb.1503:
	global_load_u8 v5, v[10:11], off
	s_mov_b32 s0, 0
	s_mov_b32 s12, -1
	s_wait_loadcnt 0x0
	v_lshlrev_b32_e32 v7, 23, v5
	v_cmp_ne_u32_e32 vcc_lo, 0xff, v5
	s_delay_alu instid0(VALU_DEP_2) | instskip(NEXT) | instid1(VALU_DEP_1)
	v_cvt_f16_f32_e32 v7, v7
	v_cndmask_b32_e32 v7, 0x7e00, v7, vcc_lo
	v_cmp_ne_u32_e32 vcc_lo, 0, v5
	s_delay_alu instid0(VALU_DEP_2)
	v_cndmask_b32_e32 v12, 0, v7, vcc_lo
	s_branch .LBB231_1505
.LBB231_1504:
	s_mov_b32 s0, -1
                                        ; implicit-def: $vgpr12
.LBB231_1505:
	s_mov_b32 s13, 0
.LBB231_1506:
	s_delay_alu instid0(SALU_CYCLE_1)
	s_and_b32 vcc_lo, exec_lo, s13
	s_cbranch_vccz .LBB231_1510
; %bb.1507:
	s_cmp_eq_u32 s11, 29
	s_cbranch_scc0 .LBB231_1509
; %bb.1508:
	global_load_b64 v[12:13], v[10:11], off
	s_mov_b32 s0, 0
	s_mov_b32 s12, -1
	s_mov_b32 s13, 0
	s_wait_loadcnt 0x0
	v_clz_i32_u32_e32 v5, v13
	s_delay_alu instid0(VALU_DEP_1) | instskip(NEXT) | instid1(VALU_DEP_1)
	v_min_u32_e32 v5, 32, v5
	v_lshlrev_b64_e32 v[12:13], v5, v[12:13]
	v_sub_nc_u32_e32 v5, 32, v5
	s_delay_alu instid0(VALU_DEP_2) | instskip(NEXT) | instid1(VALU_DEP_1)
	v_min_u32_e32 v7, 1, v12
	v_or_b32_e32 v7, v13, v7
	s_delay_alu instid0(VALU_DEP_1) | instskip(NEXT) | instid1(VALU_DEP_1)
	v_cvt_f32_u32_e32 v7, v7
	v_ldexp_f32 v5, v7, v5
	s_delay_alu instid0(VALU_DEP_1)
	v_cvt_f16_f32_e32 v12, v5
	s_branch .LBB231_1511
.LBB231_1509:
	s_mov_b32 s0, -1
                                        ; implicit-def: $vgpr12
.LBB231_1510:
	s_mov_b32 s13, 0
.LBB231_1511:
	s_delay_alu instid0(SALU_CYCLE_1)
	s_and_b32 vcc_lo, exec_lo, s13
	s_cbranch_vccz .LBB231_1529
; %bb.1512:
	s_cmp_lt_i32 s11, 27
	s_cbranch_scc1 .LBB231_1515
; %bb.1513:
	s_cmp_gt_i32 s11, 27
	s_cbranch_scc0 .LBB231_1516
; %bb.1514:
	global_load_b32 v5, v[10:11], off
	s_mov_b32 s12, 0
	s_wait_loadcnt 0x0
	v_cvt_f32_u32_e32 v5, v5
	s_delay_alu instid0(VALU_DEP_1)
	v_cvt_f16_f32_e32 v12, v5
	s_branch .LBB231_1517
.LBB231_1515:
	s_mov_b32 s12, -1
                                        ; implicit-def: $vgpr12
	s_branch .LBB231_1520
.LBB231_1516:
	s_mov_b32 s12, -1
                                        ; implicit-def: $vgpr12
.LBB231_1517:
	s_delay_alu instid0(SALU_CYCLE_1)
	s_and_not1_b32 vcc_lo, exec_lo, s12
	s_cbranch_vccnz .LBB231_1519
; %bb.1518:
	global_load_u16 v5, v[10:11], off
	s_wait_loadcnt 0x0
	v_cvt_f16_u16_e32 v12, v5
.LBB231_1519:
	s_mov_b32 s12, 0
.LBB231_1520:
	s_delay_alu instid0(SALU_CYCLE_1)
	s_and_not1_b32 vcc_lo, exec_lo, s12
	s_cbranch_vccnz .LBB231_1528
; %bb.1521:
	global_load_u8 v5, v[10:11], off
	s_mov_b32 s12, 0
	s_mov_b32 s13, exec_lo
	s_wait_loadcnt 0x0
	v_cmpx_lt_i16_e32 0x7f, v5
	s_xor_b32 s13, exec_lo, s13
	s_cbranch_execz .LBB231_1542
; %bb.1522:
	s_mov_b32 s12, -1
	s_mov_b32 s14, exec_lo
	v_cmpx_eq_u16_e32 0x80, v5
; %bb.1523:
	s_xor_b32 s12, exec_lo, -1
; %bb.1524:
	s_or_b32 exec_lo, exec_lo, s14
	s_delay_alu instid0(SALU_CYCLE_1)
	s_and_b32 s12, s12, exec_lo
	s_or_saveexec_b32 s13, s13
	v_mov_b32_e32 v12, 0x7e00
	s_xor_b32 exec_lo, exec_lo, s13
	s_cbranch_execnz .LBB231_1543
.LBB231_1525:
	s_or_b32 exec_lo, exec_lo, s13
	s_and_saveexec_b32 s13, s12
	s_cbranch_execz .LBB231_1527
.LBB231_1526:
	v_and_b32_e32 v7, 0xffff, v5
	s_delay_alu instid0(VALU_DEP_1) | instskip(SKIP_1) | instid1(VALU_DEP_2)
	v_and_b32_e32 v9, 7, v7
	v_bfe_u32 v14, v7, 3, 4
	v_clz_i32_u32_e32 v12, v9
	s_delay_alu instid0(VALU_DEP_2) | instskip(NEXT) | instid1(VALU_DEP_2)
	v_cmp_eq_u32_e32 vcc_lo, 0, v14
	v_min_u32_e32 v12, 32, v12
	s_delay_alu instid0(VALU_DEP_1) | instskip(NEXT) | instid1(VALU_DEP_1)
	v_subrev_nc_u32_e32 v13, 28, v12
	v_dual_lshlrev_b32 v7, v13, v7 :: v_dual_sub_nc_u32 v12, 29, v12
	s_delay_alu instid0(VALU_DEP_1) | instskip(NEXT) | instid1(VALU_DEP_1)
	v_dual_lshlrev_b32 v5, 24, v5 :: v_dual_bitop2_b32 v7, 7, v7 bitop3:0x40
	v_dual_cndmask_b32 v12, v14, v12 :: v_dual_cndmask_b32 v7, v9, v7
	s_delay_alu instid0(VALU_DEP_2) | instskip(NEXT) | instid1(VALU_DEP_2)
	v_and_b32_e32 v5, 0x80000000, v5
	v_lshl_add_u32 v9, v12, 23, 0x3b800000
	s_delay_alu instid0(VALU_DEP_3) | instskip(NEXT) | instid1(VALU_DEP_1)
	v_lshlrev_b32_e32 v7, 20, v7
	v_or3_b32 v5, v5, v9, v7
	s_delay_alu instid0(VALU_DEP_1)
	v_cvt_f16_f32_e32 v12, v5
.LBB231_1527:
	s_or_b32 exec_lo, exec_lo, s13
.LBB231_1528:
	s_mov_b32 s12, -1
.LBB231_1529:
	s_mov_b32 s13, 0
.LBB231_1530:
	s_delay_alu instid0(SALU_CYCLE_1)
	s_and_b32 vcc_lo, exec_lo, s13
	s_cbranch_vccz .LBB231_1563
; %bb.1531:
	s_cmp_gt_i32 s11, 22
	s_cbranch_scc0 .LBB231_1541
; %bb.1532:
	s_cmp_lt_i32 s11, 24
	s_cbranch_scc1 .LBB231_1544
; %bb.1533:
	s_cmp_gt_i32 s11, 24
	s_cbranch_scc0 .LBB231_1545
; %bb.1534:
	global_load_u8 v5, v[10:11], off
	s_mov_b32 s12, exec_lo
	s_wait_loadcnt 0x0
	v_cmpx_lt_i16_e32 0x7f, v5
	s_xor_b32 s12, exec_lo, s12
	s_cbranch_execz .LBB231_1557
; %bb.1535:
	s_mov_b32 s1, -1
	s_mov_b32 s13, exec_lo
	v_cmpx_eq_u16_e32 0x80, v5
; %bb.1536:
	s_xor_b32 s1, exec_lo, -1
; %bb.1537:
	s_or_b32 exec_lo, exec_lo, s13
	s_delay_alu instid0(SALU_CYCLE_1)
	s_and_b32 s1, s1, exec_lo
	s_or_saveexec_b32 s12, s12
	v_mov_b32_e32 v12, 0x7e00
	s_xor_b32 exec_lo, exec_lo, s12
	s_cbranch_execnz .LBB231_1558
.LBB231_1538:
	s_or_b32 exec_lo, exec_lo, s12
	s_and_saveexec_b32 s12, s1
	s_cbranch_execz .LBB231_1540
.LBB231_1539:
	v_and_b32_e32 v7, 0xffff, v5
	s_delay_alu instid0(VALU_DEP_1) | instskip(SKIP_1) | instid1(VALU_DEP_2)
	v_and_b32_e32 v9, 3, v7
	v_bfe_u32 v14, v7, 2, 5
	v_clz_i32_u32_e32 v12, v9
	s_delay_alu instid0(VALU_DEP_2) | instskip(NEXT) | instid1(VALU_DEP_2)
	v_cmp_eq_u32_e32 vcc_lo, 0, v14
	v_min_u32_e32 v12, 32, v12
	s_delay_alu instid0(VALU_DEP_1) | instskip(NEXT) | instid1(VALU_DEP_1)
	v_subrev_nc_u32_e32 v13, 29, v12
	v_dual_lshlrev_b32 v7, v13, v7 :: v_dual_sub_nc_u32 v12, 30, v12
	s_delay_alu instid0(VALU_DEP_1) | instskip(NEXT) | instid1(VALU_DEP_1)
	v_dual_lshlrev_b32 v5, 24, v5 :: v_dual_bitop2_b32 v7, 3, v7 bitop3:0x40
	v_dual_cndmask_b32 v12, v14, v12 :: v_dual_cndmask_b32 v7, v9, v7
	s_delay_alu instid0(VALU_DEP_2) | instskip(NEXT) | instid1(VALU_DEP_2)
	v_and_b32_e32 v5, 0x80000000, v5
	v_lshl_add_u32 v9, v12, 23, 0x37800000
	s_delay_alu instid0(VALU_DEP_3) | instskip(NEXT) | instid1(VALU_DEP_1)
	v_lshlrev_b32_e32 v7, 21, v7
	v_or3_b32 v5, v5, v9, v7
	s_delay_alu instid0(VALU_DEP_1)
	v_cvt_f16_f32_e32 v12, v5
.LBB231_1540:
	s_or_b32 exec_lo, exec_lo, s12
	s_mov_b32 s1, 0
	s_branch .LBB231_1546
.LBB231_1541:
	s_mov_b32 s1, -1
                                        ; implicit-def: $vgpr12
	s_branch .LBB231_1552
.LBB231_1542:
	s_or_saveexec_b32 s13, s13
	v_mov_b32_e32 v12, 0x7e00
	s_xor_b32 exec_lo, exec_lo, s13
	s_cbranch_execz .LBB231_1525
.LBB231_1543:
	v_cmp_ne_u16_e32 vcc_lo, 0, v5
	v_mov_b32_e32 v12, v5
	s_and_not1_b32 s12, s12, exec_lo
	s_and_b32 s14, vcc_lo, exec_lo
	s_delay_alu instid0(SALU_CYCLE_1)
	s_or_b32 s12, s12, s14
	s_or_b32 exec_lo, exec_lo, s13
	s_and_saveexec_b32 s13, s12
	s_cbranch_execnz .LBB231_1526
	s_branch .LBB231_1527
.LBB231_1544:
	s_mov_b32 s1, -1
                                        ; implicit-def: $vgpr12
	s_branch .LBB231_1549
.LBB231_1545:
	s_mov_b32 s1, -1
                                        ; implicit-def: $vgpr12
.LBB231_1546:
	s_delay_alu instid0(SALU_CYCLE_1)
	s_and_b32 vcc_lo, exec_lo, s1
	s_cbranch_vccz .LBB231_1548
; %bb.1547:
	global_load_u8 v5, v[10:11], off
	s_wait_loadcnt 0x0
	v_lshlrev_b32_e32 v5, 24, v5
	s_delay_alu instid0(VALU_DEP_1) | instskip(NEXT) | instid1(VALU_DEP_1)
	v_and_b32_e32 v7, 0x7f000000, v5
	v_clz_i32_u32_e32 v9, v7
	v_add_nc_u32_e32 v13, 0x1000000, v7
	v_cmp_ne_u32_e32 vcc_lo, 0, v7
	s_delay_alu instid0(VALU_DEP_3) | instskip(NEXT) | instid1(VALU_DEP_1)
	v_min_u32_e32 v9, 32, v9
	v_sub_nc_u32_e64 v9, v9, 4 clamp
	s_delay_alu instid0(VALU_DEP_1) | instskip(NEXT) | instid1(VALU_DEP_1)
	v_dual_lshlrev_b32 v12, v9, v7 :: v_dual_lshlrev_b32 v9, 23, v9
	v_lshrrev_b32_e32 v12, 4, v12
	s_delay_alu instid0(VALU_DEP_1) | instskip(SKIP_1) | instid1(VALU_DEP_2)
	v_sub_nc_u32_e32 v9, v12, v9
	v_ashrrev_i32_e32 v12, 8, v13
	v_add_nc_u32_e32 v9, 0x3c000000, v9
	s_delay_alu instid0(VALU_DEP_1) | instskip(NEXT) | instid1(VALU_DEP_1)
	v_and_or_b32 v9, 0x7f800000, v12, v9
	v_cndmask_b32_e32 v7, 0, v9, vcc_lo
	s_delay_alu instid0(VALU_DEP_1) | instskip(NEXT) | instid1(VALU_DEP_1)
	v_and_or_b32 v5, 0x80000000, v5, v7
	v_cvt_f16_f32_e32 v12, v5
.LBB231_1548:
	s_mov_b32 s1, 0
.LBB231_1549:
	s_delay_alu instid0(SALU_CYCLE_1)
	s_and_not1_b32 vcc_lo, exec_lo, s1
	s_cbranch_vccnz .LBB231_1551
; %bb.1550:
	global_load_u8 v5, v[10:11], off
	s_wait_loadcnt 0x0
	v_lshlrev_b32_e32 v7, 25, v5
	v_lshlrev_b16 v5, 8, v5
	s_delay_alu instid0(VALU_DEP_1) | instskip(SKIP_1) | instid1(VALU_DEP_2)
	v_and_or_b32 v12, 0x7f00, v5, 0.5
	v_bfe_i32 v5, v5, 0, 16
	v_dual_add_f32 v12, -0.5, v12 :: v_dual_lshrrev_b32 v9, 4, v7
	v_cmp_gt_u32_e32 vcc_lo, 0x8000000, v7
	s_delay_alu instid0(VALU_DEP_2) | instskip(NEXT) | instid1(VALU_DEP_1)
	v_or_b32_e32 v9, 0x70000000, v9
	v_mul_f32_e32 v9, 0x7800000, v9
	s_delay_alu instid0(VALU_DEP_1) | instskip(NEXT) | instid1(VALU_DEP_1)
	v_cndmask_b32_e32 v7, v9, v12, vcc_lo
	v_and_or_b32 v5, 0x80000000, v5, v7
	s_delay_alu instid0(VALU_DEP_1)
	v_cvt_f16_f32_e32 v12, v5
.LBB231_1551:
	s_mov_b32 s1, 0
	s_mov_b32 s12, -1
.LBB231_1552:
	s_and_not1_b32 vcc_lo, exec_lo, s1
	s_mov_b32 s1, 0
	s_cbranch_vccnz .LBB231_1563
; %bb.1553:
	s_cmp_gt_i32 s11, 14
	s_cbranch_scc0 .LBB231_1556
; %bb.1554:
	s_cmp_eq_u32 s11, 15
	s_cbranch_scc0 .LBB231_1559
; %bb.1555:
	global_load_u16 v5, v[10:11], off
	s_mov_b32 s0, 0
	s_mov_b32 s12, -1
	s_wait_loadcnt 0x0
	v_lshlrev_b32_e32 v5, 16, v5
	s_delay_alu instid0(VALU_DEP_1)
	v_cvt_f16_f32_e32 v12, v5
	s_branch .LBB231_1561
.LBB231_1556:
	s_mov_b32 s1, -1
	s_branch .LBB231_1560
.LBB231_1557:
	s_or_saveexec_b32 s12, s12
	v_mov_b32_e32 v12, 0x7e00
	s_xor_b32 exec_lo, exec_lo, s12
	s_cbranch_execz .LBB231_1538
.LBB231_1558:
	v_cmp_ne_u16_e32 vcc_lo, 0, v5
	v_mov_b32_e32 v12, v5
	s_and_not1_b32 s1, s1, exec_lo
	s_and_b32 s13, vcc_lo, exec_lo
	s_delay_alu instid0(SALU_CYCLE_1)
	s_or_b32 s1, s1, s13
	s_or_b32 exec_lo, exec_lo, s12
	s_and_saveexec_b32 s12, s1
	s_cbranch_execnz .LBB231_1539
	s_branch .LBB231_1540
.LBB231_1559:
	s_mov_b32 s0, -1
.LBB231_1560:
                                        ; implicit-def: $vgpr12
.LBB231_1561:
	s_and_b32 vcc_lo, exec_lo, s1
	s_mov_b32 s1, 0
	s_cbranch_vccz .LBB231_1563
; %bb.1562:
	s_cmp_lg_u32 s11, 11
	s_mov_b32 s1, -1
	s_cselect_b32 s0, -1, 0
.LBB231_1563:
	s_delay_alu instid0(SALU_CYCLE_1)
	s_and_b32 vcc_lo, exec_lo, s0
	s_cbranch_vccnz .LBB231_1639
; %bb.1564:
	s_and_not1_b32 vcc_lo, exec_lo, s1
	s_cbranch_vccnz .LBB231_1566
.LBB231_1565:
	global_load_u8 v5, v[10:11], off
	s_mov_b32 s12, -1
	s_wait_loadcnt 0x0
	v_cmp_ne_u16_e32 vcc_lo, 0, v5
	v_cndmask_b32_e64 v12, 0, 0x3c00, vcc_lo
.LBB231_1566:
	s_branch .LBB231_1493
.LBB231_1567:
	s_cmp_lt_i32 s11, 5
	s_cbranch_scc1 .LBB231_1572
; %bb.1568:
	s_cmp_lt_i32 s11, 8
	s_cbranch_scc1 .LBB231_1573
; %bb.1569:
	;; [unrolled: 3-line block ×3, first 2 shown]
	s_cmp_gt_i32 s11, 9
	s_cbranch_scc0 .LBB231_1575
; %bb.1571:
	global_load_b64 v[12:13], v[10:11], off
	s_mov_b32 s0, 0
	s_wait_loadcnt 0x0
	v_and_or_b32 v5, 0x1ff, v13, v12
	v_lshrrev_b32_e32 v7, 8, v13
	v_bfe_u32 v9, v13, 20, 11
	s_delay_alu instid0(VALU_DEP_3) | instskip(NEXT) | instid1(VALU_DEP_2)
	v_cmp_ne_u32_e32 vcc_lo, 0, v5
	v_sub_nc_u32_e32 v12, 0x3f1, v9
	v_add_nc_u32_e32 v9, 0xfffffc10, v9
	v_cndmask_b32_e64 v5, 0, 1, vcc_lo
	s_delay_alu instid0(VALU_DEP_1) | instskip(NEXT) | instid1(VALU_DEP_4)
	v_and_or_b32 v5, 0xffe, v7, v5
	v_med3_i32 v7, v12, 0, 13
	s_delay_alu instid0(VALU_DEP_2) | instskip(NEXT) | instid1(VALU_DEP_1)
	v_or_b32_e32 v12, 0x1000, v5
	v_lshrrev_b32_e32 v14, v7, v12
	s_delay_alu instid0(VALU_DEP_1) | instskip(NEXT) | instid1(VALU_DEP_1)
	v_lshlrev_b32_e32 v7, v7, v14
	v_cmp_ne_u32_e32 vcc_lo, v7, v12
	v_lshl_or_b32 v12, v9, 12, v5
	v_cndmask_b32_e64 v7, 0, 1, vcc_lo
	v_cmp_gt_i32_e32 vcc_lo, 1, v9
	s_delay_alu instid0(VALU_DEP_2) | instskip(NEXT) | instid1(VALU_DEP_1)
	v_or_b32_e32 v7, v14, v7
	v_cndmask_b32_e32 v7, v12, v7, vcc_lo
	s_delay_alu instid0(VALU_DEP_1) | instskip(NEXT) | instid1(VALU_DEP_1)
	v_dual_lshrrev_b32 v7, 2, v7 :: v_dual_bitop2_b32 v12, 7, v7 bitop3:0x40
	v_cmp_lt_i32_e32 vcc_lo, 5, v12
	v_cndmask_b32_e64 v14, 0, 1, vcc_lo
	v_cmp_eq_u32_e32 vcc_lo, 3, v12
	v_cndmask_b32_e64 v12, 0, 1, vcc_lo
	v_cmp_ne_u32_e32 vcc_lo, 0, v5
	s_delay_alu instid0(VALU_DEP_2) | instskip(NEXT) | instid1(VALU_DEP_1)
	v_or_b32_e32 v12, v12, v14
	v_dual_mov_b32 v14, 0x7e00 :: v_dual_add_nc_u32 v7, v7, v12
	s_delay_alu instid0(VALU_DEP_1) | instskip(SKIP_1) | instid1(VALU_DEP_3)
	v_cndmask_b32_e32 v5, 0x7c00, v14, vcc_lo
	v_cmp_gt_i32_e32 vcc_lo, 31, v9
	v_cndmask_b32_e32 v7, 0x7c00, v7, vcc_lo
	v_cmp_eq_u32_e32 vcc_lo, 0x40f, v9
	s_delay_alu instid0(VALU_DEP_2) | instskip(SKIP_1) | instid1(VALU_DEP_1)
	v_cndmask_b32_e32 v5, v7, v5, vcc_lo
	v_lshrrev_b32_e32 v7, 16, v13
	v_and_or_b32 v12, 0x8000, v7, v5
	s_branch .LBB231_1576
.LBB231_1572:
	s_mov_b32 s0, -1
                                        ; implicit-def: $vgpr12
	s_branch .LBB231_1594
.LBB231_1573:
	s_mov_b32 s0, -1
                                        ; implicit-def: $vgpr12
	s_branch .LBB231_1582
.LBB231_1574:
	s_mov_b32 s0, -1
                                        ; implicit-def: $vgpr12
	s_branch .LBB231_1579
.LBB231_1575:
	s_mov_b32 s0, -1
                                        ; implicit-def: $vgpr12
.LBB231_1576:
	s_delay_alu instid0(SALU_CYCLE_1)
	s_and_not1_b32 vcc_lo, exec_lo, s0
	s_cbranch_vccnz .LBB231_1578
; %bb.1577:
	global_load_b32 v5, v[10:11], off
	s_wait_loadcnt 0x0
	v_cvt_f16_f32_e32 v12, v5
.LBB231_1578:
	s_mov_b32 s0, 0
.LBB231_1579:
	s_delay_alu instid0(SALU_CYCLE_1)
	s_and_not1_b32 vcc_lo, exec_lo, s0
	s_cbranch_vccnz .LBB231_1581
; %bb.1580:
	global_load_b32 v12, v[10:11], off
.LBB231_1581:
	s_mov_b32 s0, 0
.LBB231_1582:
	s_delay_alu instid0(SALU_CYCLE_1)
	s_and_not1_b32 vcc_lo, exec_lo, s0
	s_cbranch_vccnz .LBB231_1593
; %bb.1583:
	s_cmp_lt_i32 s11, 6
	s_cbranch_scc1 .LBB231_1586
; %bb.1584:
	s_cmp_gt_i32 s11, 6
	s_cbranch_scc0 .LBB231_1587
; %bb.1585:
	s_wait_loadcnt 0x0
	global_load_b64 v[12:13], v[10:11], off
	s_mov_b32 s0, 0
	s_wait_loadcnt 0x0
	v_and_or_b32 v5, 0x1ff, v13, v12
	v_lshrrev_b32_e32 v7, 8, v13
	v_bfe_u32 v9, v13, 20, 11
	s_delay_alu instid0(VALU_DEP_3) | instskip(NEXT) | instid1(VALU_DEP_2)
	v_cmp_ne_u32_e32 vcc_lo, 0, v5
	v_sub_nc_u32_e32 v12, 0x3f1, v9
	v_add_nc_u32_e32 v9, 0xfffffc10, v9
	v_cndmask_b32_e64 v5, 0, 1, vcc_lo
	s_delay_alu instid0(VALU_DEP_1) | instskip(NEXT) | instid1(VALU_DEP_4)
	v_and_or_b32 v5, 0xffe, v7, v5
	v_med3_i32 v7, v12, 0, 13
	s_delay_alu instid0(VALU_DEP_2) | instskip(NEXT) | instid1(VALU_DEP_1)
	v_or_b32_e32 v12, 0x1000, v5
	v_lshrrev_b32_e32 v14, v7, v12
	s_delay_alu instid0(VALU_DEP_1) | instskip(NEXT) | instid1(VALU_DEP_1)
	v_lshlrev_b32_e32 v7, v7, v14
	v_cmp_ne_u32_e32 vcc_lo, v7, v12
	v_lshl_or_b32 v12, v9, 12, v5
	v_cndmask_b32_e64 v7, 0, 1, vcc_lo
	v_cmp_gt_i32_e32 vcc_lo, 1, v9
	s_delay_alu instid0(VALU_DEP_2) | instskip(NEXT) | instid1(VALU_DEP_1)
	v_or_b32_e32 v7, v14, v7
	v_cndmask_b32_e32 v7, v12, v7, vcc_lo
	s_delay_alu instid0(VALU_DEP_1) | instskip(NEXT) | instid1(VALU_DEP_1)
	v_dual_lshrrev_b32 v7, 2, v7 :: v_dual_bitop2_b32 v12, 7, v7 bitop3:0x40
	v_cmp_lt_i32_e32 vcc_lo, 5, v12
	v_cndmask_b32_e64 v14, 0, 1, vcc_lo
	v_cmp_eq_u32_e32 vcc_lo, 3, v12
	v_cndmask_b32_e64 v12, 0, 1, vcc_lo
	v_cmp_ne_u32_e32 vcc_lo, 0, v5
	s_delay_alu instid0(VALU_DEP_2) | instskip(NEXT) | instid1(VALU_DEP_1)
	v_or_b32_e32 v12, v12, v14
	v_dual_mov_b32 v14, 0x7e00 :: v_dual_add_nc_u32 v7, v7, v12
	s_delay_alu instid0(VALU_DEP_1) | instskip(SKIP_1) | instid1(VALU_DEP_3)
	v_cndmask_b32_e32 v5, 0x7c00, v14, vcc_lo
	v_cmp_gt_i32_e32 vcc_lo, 31, v9
	v_cndmask_b32_e32 v7, 0x7c00, v7, vcc_lo
	v_cmp_eq_u32_e32 vcc_lo, 0x40f, v9
	s_delay_alu instid0(VALU_DEP_2) | instskip(SKIP_1) | instid1(VALU_DEP_1)
	v_cndmask_b32_e32 v5, v7, v5, vcc_lo
	v_lshrrev_b32_e32 v7, 16, v13
	v_and_or_b32 v12, 0x8000, v7, v5
	s_branch .LBB231_1588
.LBB231_1586:
	s_mov_b32 s0, -1
                                        ; implicit-def: $vgpr12
	s_branch .LBB231_1591
.LBB231_1587:
	s_mov_b32 s0, -1
                                        ; implicit-def: $vgpr12
.LBB231_1588:
	s_delay_alu instid0(SALU_CYCLE_1)
	s_and_not1_b32 vcc_lo, exec_lo, s0
	s_cbranch_vccnz .LBB231_1590
; %bb.1589:
	global_load_b32 v5, v[10:11], off
	s_wait_loadcnt 0x0
	v_cvt_f16_f32_e32 v12, v5
.LBB231_1590:
	s_mov_b32 s0, 0
.LBB231_1591:
	s_delay_alu instid0(SALU_CYCLE_1)
	s_and_not1_b32 vcc_lo, exec_lo, s0
	s_cbranch_vccnz .LBB231_1593
; %bb.1592:
	s_wait_loadcnt 0x0
	global_load_u16 v12, v[10:11], off
.LBB231_1593:
	s_mov_b32 s0, 0
.LBB231_1594:
	s_delay_alu instid0(SALU_CYCLE_1)
	s_and_not1_b32 vcc_lo, exec_lo, s0
	s_cbranch_vccnz .LBB231_1614
; %bb.1595:
	s_cmp_lt_i32 s11, 2
	s_cbranch_scc1 .LBB231_1599
; %bb.1596:
	s_cmp_lt_i32 s11, 3
	s_cbranch_scc1 .LBB231_1600
; %bb.1597:
	s_cmp_gt_i32 s11, 3
	s_cbranch_scc0 .LBB231_1601
; %bb.1598:
	s_wait_loadcnt 0x0
	global_load_b64 v[12:13], v[10:11], off
	s_mov_b32 s0, 0
	s_wait_loadcnt 0x0
	v_xor_b32_e32 v5, v12, v13
	v_cls_i32_e32 v7, v13
	s_delay_alu instid0(VALU_DEP_2) | instskip(NEXT) | instid1(VALU_DEP_1)
	v_ashrrev_i32_e32 v5, 31, v5
	v_add_nc_u32_e32 v5, 32, v5
	s_delay_alu instid0(VALU_DEP_1) | instskip(NEXT) | instid1(VALU_DEP_1)
	v_add_min_u32_e64 v5, v7, -1, v5
	v_lshlrev_b64_e32 v[12:13], v5, v[12:13]
	v_sub_nc_u32_e32 v5, 32, v5
	s_delay_alu instid0(VALU_DEP_2) | instskip(NEXT) | instid1(VALU_DEP_1)
	v_min_u32_e32 v7, 1, v12
	v_or_b32_e32 v7, v13, v7
	s_delay_alu instid0(VALU_DEP_1) | instskip(NEXT) | instid1(VALU_DEP_1)
	v_cvt_f32_i32_e32 v7, v7
	v_ldexp_f32 v5, v7, v5
	s_delay_alu instid0(VALU_DEP_1)
	v_cvt_f16_f32_e32 v12, v5
	s_branch .LBB231_1602
.LBB231_1599:
	s_mov_b32 s0, -1
                                        ; implicit-def: $vgpr12
	s_branch .LBB231_1608
.LBB231_1600:
	s_mov_b32 s0, -1
                                        ; implicit-def: $vgpr12
	s_branch .LBB231_1605
.LBB231_1601:
	s_mov_b32 s0, -1
                                        ; implicit-def: $vgpr12
.LBB231_1602:
	s_delay_alu instid0(SALU_CYCLE_1)
	s_and_not1_b32 vcc_lo, exec_lo, s0
	s_cbranch_vccnz .LBB231_1604
; %bb.1603:
	global_load_b32 v5, v[10:11], off
	s_wait_loadcnt 0x0
	v_cvt_f32_i32_e32 v5, v5
	s_delay_alu instid0(VALU_DEP_1)
	v_cvt_f16_f32_e32 v12, v5
.LBB231_1604:
	s_mov_b32 s0, 0
.LBB231_1605:
	s_delay_alu instid0(SALU_CYCLE_1)
	s_and_not1_b32 vcc_lo, exec_lo, s0
	s_cbranch_vccnz .LBB231_1607
; %bb.1606:
	global_load_u16 v5, v[10:11], off
	s_wait_loadcnt 0x0
	v_cvt_f16_i16_e32 v12, v5
.LBB231_1607:
	s_mov_b32 s0, 0
.LBB231_1608:
	s_delay_alu instid0(SALU_CYCLE_1)
	s_and_not1_b32 vcc_lo, exec_lo, s0
	s_cbranch_vccnz .LBB231_1614
; %bb.1609:
	s_cmp_gt_i32 s11, 0
	s_mov_b32 s0, 0
	s_cbranch_scc0 .LBB231_1611
; %bb.1610:
	global_load_i8 v5, v[10:11], off
	s_wait_loadcnt 0x0
	v_cvt_f16_i16_e32 v12, v5
	s_branch .LBB231_1612
.LBB231_1611:
	s_mov_b32 s0, -1
                                        ; implicit-def: $vgpr12
.LBB231_1612:
	s_delay_alu instid0(SALU_CYCLE_1)
	s_and_not1_b32 vcc_lo, exec_lo, s0
	s_cbranch_vccnz .LBB231_1614
; %bb.1613:
	global_load_u8 v5, v[10:11], off
	s_wait_loadcnt 0x0
	v_cvt_f16_u16_e32 v12, v5
.LBB231_1614:
.LBB231_1615:
	s_mov_b32 s12, exec_lo
	s_wait_loadcnt 0x0
	s_delay_alu instid0(VALU_DEP_1)
	v_cmpx_o_f16_e32 v12, v12
	s_cbranch_execz .LBB231_1626
; %bb.1616:
	s_load_b64 s[0:1], s[2:3], 0x158
	v_cvt_f32_f16_e32 v5, v12
	s_mov_b32 s13, 0
	s_wait_kmcnt 0x0
	s_cmp_lt_i32 s0, 1
	s_cbranch_scc1 .LBB231_1619
; %bb.1617:
	s_cmp_eq_u32 s0, 1
	s_cbranch_scc0 .LBB231_1620
; %bb.1618:
	v_max_num_f32_e64 v7, s1, s1
	v_max_num_f32_e32 v9, v5, v5
	s_mov_b32 s14, 0
	s_delay_alu instid0(VALU_DEP_1) | instskip(NEXT) | instid1(VALU_DEP_1)
	v_min_num_f32_e32 v7, v9, v7
	v_cvt_f16_f32_e32 v12, v7
	s_branch .LBB231_1621
.LBB231_1619:
	s_mov_b32 s15, -1
	s_mov_b32 s14, 0
                                        ; implicit-def: $vgpr12
	s_branch .LBB231_1622
.LBB231_1620:
	s_mov_b32 s14, -1
                                        ; implicit-def: $vgpr12
.LBB231_1621:
	s_mov_b32 s15, 0
.LBB231_1622:
	s_delay_alu instid0(SALU_CYCLE_1)
	s_and_b32 vcc_lo, exec_lo, s15
	s_cbranch_vccz .LBB231_1633
; %bb.1623:
	s_cmp_lg_u32 s0, 0
	s_mov_b32 s13, -1
	s_cselect_b32 s14, -1, 0
	s_delay_alu instid0(SALU_CYCLE_1)
	s_and_not1_b32 vcc_lo, exec_lo, s14
	s_cbranch_vccz .LBB231_1634
.LBB231_1624:
	s_and_not1_b32 vcc_lo, exec_lo, s13
	s_cbranch_vccnz .LBB231_1626
.LBB231_1625:
	v_max_num_f32_e64 v7, s1, s1
	v_max_num_f32_e32 v5, v5, v5
	s_delay_alu instid0(VALU_DEP_1) | instskip(NEXT) | instid1(VALU_DEP_1)
	v_max_num_f32_e32 v5, v5, v7
	v_cvt_f16_f32_e32 v12, v5
.LBB231_1626:
	s_or_b32 exec_lo, exec_lo, s12
	v_mov_b32_e32 v9, 0
	s_cmp_lt_i32 s11, 11
	s_delay_alu instid0(VALU_DEP_1)
	v_add_nc_u64_e32 v[8:9], s[6:7], v[8:9]
	s_cbranch_scc1 .LBB231_1635
; %bb.1627:
	s_cmp_gt_i32 s11, 25
	s_mov_b32 s1, 0
	s_cbranch_scc0 .LBB231_1636
; %bb.1628:
	s_cmp_gt_i32 s11, 28
	s_cbranch_scc0 .LBB231_1637
; %bb.1629:
	s_cmp_gt_i32 s11, 43
	;; [unrolled: 3-line block ×3, first 2 shown]
	s_cbranch_scc0 .LBB231_1640
; %bb.1631:
	s_cmp_eq_u32 s11, 46
	s_mov_b32 s7, 0
	s_cbranch_scc0 .LBB231_1641
; %bb.1632:
	global_load_b32 v5, v[8:9], off
	s_mov_b32 s0, 0
	s_mov_b32 s6, -1
	s_wait_loadcnt 0x0
	v_lshlrev_b32_e32 v5, 16, v5
	s_delay_alu instid0(VALU_DEP_1)
	v_cvt_f16_f32_e32 v10, v5
	s_branch .LBB231_1643
.LBB231_1633:
	s_and_not1_b32 vcc_lo, exec_lo, s14
	s_cbranch_vccnz .LBB231_1624
.LBB231_1634:
	s_load_b32 s0, s[2:3], 0x160
	v_max_num_f32_e64 v7, s1, s1
	v_max_num_f32_e32 v9, v5, v5
	s_wait_kmcnt 0x0
	v_max_num_f32_e64 v10, s0, s0
	s_delay_alu instid0(VALU_DEP_1) | instskip(NEXT) | instid1(VALU_DEP_1)
	v_maxmin_num_f32 v7, v9, v7, v10
	v_cvt_f16_f32_e32 v12, v7
	s_cbranch_execz .LBB231_1625
	s_branch .LBB231_1626
.LBB231_1635:
	s_mov_b32 s0, -1
	s_mov_b32 s6, 0
                                        ; implicit-def: $vgpr10
	s_branch .LBB231_1709
.LBB231_1636:
	s_mov_b32 s7, -1
	s_mov_b32 s6, 0
	s_mov_b32 s0, 0
                                        ; implicit-def: $vgpr10
	s_branch .LBB231_1672
.LBB231_1637:
	s_mov_b32 s7, -1
	s_mov_b32 s6, 0
	s_mov_b32 s0, 0
                                        ; implicit-def: $vgpr10
	s_branch .LBB231_1653
.LBB231_1638:
	s_mov_b32 s7, -1
	s_mov_b32 s6, 0
	s_mov_b32 s0, 0
                                        ; implicit-def: $vgpr10
	s_branch .LBB231_1648
.LBB231_1639:
	s_or_b32 s10, s10, exec_lo
	s_trap 2
	s_cbranch_execz .LBB231_1565
	s_branch .LBB231_1566
.LBB231_1640:
	s_mov_b32 s7, -1
	s_mov_b32 s6, 0
	s_mov_b32 s0, 0
	s_branch .LBB231_1642
.LBB231_1641:
	s_mov_b32 s0, -1
	s_mov_b32 s6, 0
.LBB231_1642:
                                        ; implicit-def: $vgpr10
.LBB231_1643:
	s_and_b32 vcc_lo, exec_lo, s7
	s_cbranch_vccz .LBB231_1647
; %bb.1644:
	s_cmp_eq_u32 s11, 44
	s_cbranch_scc0 .LBB231_1646
; %bb.1645:
	global_load_u8 v5, v[8:9], off
	s_mov_b32 s0, 0
	s_mov_b32 s6, -1
	s_wait_loadcnt 0x0
	v_lshlrev_b32_e32 v7, 23, v5
	v_cmp_ne_u32_e32 vcc_lo, 0xff, v5
	s_delay_alu instid0(VALU_DEP_2) | instskip(NEXT) | instid1(VALU_DEP_1)
	v_cvt_f16_f32_e32 v7, v7
	v_cndmask_b32_e32 v7, 0x7e00, v7, vcc_lo
	v_cmp_ne_u32_e32 vcc_lo, 0, v5
	s_delay_alu instid0(VALU_DEP_2)
	v_cndmask_b32_e32 v10, 0, v7, vcc_lo
	s_branch .LBB231_1647
.LBB231_1646:
	s_mov_b32 s0, -1
                                        ; implicit-def: $vgpr10
.LBB231_1647:
	s_mov_b32 s7, 0
.LBB231_1648:
	s_delay_alu instid0(SALU_CYCLE_1)
	s_and_b32 vcc_lo, exec_lo, s7
	s_cbranch_vccz .LBB231_1652
; %bb.1649:
	s_cmp_eq_u32 s11, 29
	s_cbranch_scc0 .LBB231_1651
; %bb.1650:
	global_load_b64 v[10:11], v[8:9], off
	s_mov_b32 s0, 0
	s_mov_b32 s6, -1
	s_mov_b32 s7, 0
	s_wait_loadcnt 0x0
	v_clz_i32_u32_e32 v5, v11
	s_delay_alu instid0(VALU_DEP_1) | instskip(NEXT) | instid1(VALU_DEP_1)
	v_min_u32_e32 v5, 32, v5
	v_lshlrev_b64_e32 v[10:11], v5, v[10:11]
	v_sub_nc_u32_e32 v5, 32, v5
	s_delay_alu instid0(VALU_DEP_2) | instskip(NEXT) | instid1(VALU_DEP_1)
	v_min_u32_e32 v7, 1, v10
	v_or_b32_e32 v7, v11, v7
	s_delay_alu instid0(VALU_DEP_1) | instskip(NEXT) | instid1(VALU_DEP_1)
	v_cvt_f32_u32_e32 v7, v7
	v_ldexp_f32 v5, v7, v5
	s_delay_alu instid0(VALU_DEP_1)
	v_cvt_f16_f32_e32 v10, v5
	s_branch .LBB231_1653
.LBB231_1651:
	s_mov_b32 s0, -1
                                        ; implicit-def: $vgpr10
.LBB231_1652:
	s_mov_b32 s7, 0
.LBB231_1653:
	s_delay_alu instid0(SALU_CYCLE_1)
	s_and_b32 vcc_lo, exec_lo, s7
	s_cbranch_vccz .LBB231_1671
; %bb.1654:
	s_cmp_lt_i32 s11, 27
	s_cbranch_scc1 .LBB231_1657
; %bb.1655:
	s_cmp_gt_i32 s11, 27
	s_cbranch_scc0 .LBB231_1658
; %bb.1656:
	global_load_b32 v5, v[8:9], off
	s_mov_b32 s6, 0
	s_wait_loadcnt 0x0
	v_cvt_f32_u32_e32 v5, v5
	s_delay_alu instid0(VALU_DEP_1)
	v_cvt_f16_f32_e32 v10, v5
	s_branch .LBB231_1659
.LBB231_1657:
	s_mov_b32 s6, -1
                                        ; implicit-def: $vgpr10
	s_branch .LBB231_1662
.LBB231_1658:
	s_mov_b32 s6, -1
                                        ; implicit-def: $vgpr10
.LBB231_1659:
	s_delay_alu instid0(SALU_CYCLE_1)
	s_and_not1_b32 vcc_lo, exec_lo, s6
	s_cbranch_vccnz .LBB231_1661
; %bb.1660:
	global_load_u16 v5, v[8:9], off
	s_wait_loadcnt 0x0
	v_cvt_f16_u16_e32 v10, v5
.LBB231_1661:
	s_mov_b32 s6, 0
.LBB231_1662:
	s_delay_alu instid0(SALU_CYCLE_1)
	s_and_not1_b32 vcc_lo, exec_lo, s6
	s_cbranch_vccnz .LBB231_1670
; %bb.1663:
	global_load_u8 v5, v[8:9], off
	s_mov_b32 s6, 0
	s_mov_b32 s7, exec_lo
	s_wait_loadcnt 0x0
	v_cmpx_lt_i16_e32 0x7f, v5
	s_xor_b32 s7, exec_lo, s7
	s_cbranch_execz .LBB231_1684
; %bb.1664:
	s_mov_b32 s6, -1
	s_mov_b32 s12, exec_lo
	v_cmpx_eq_u16_e32 0x80, v5
; %bb.1665:
	s_xor_b32 s6, exec_lo, -1
; %bb.1666:
	s_or_b32 exec_lo, exec_lo, s12
	s_delay_alu instid0(SALU_CYCLE_1)
	s_and_b32 s6, s6, exec_lo
	s_or_saveexec_b32 s7, s7
	v_mov_b32_e32 v10, 0x7e00
	s_xor_b32 exec_lo, exec_lo, s7
	s_cbranch_execnz .LBB231_1685
.LBB231_1667:
	s_or_b32 exec_lo, exec_lo, s7
	s_and_saveexec_b32 s7, s6
	s_cbranch_execz .LBB231_1669
.LBB231_1668:
	v_and_b32_e32 v7, 0xffff, v5
	s_delay_alu instid0(VALU_DEP_1) | instskip(SKIP_1) | instid1(VALU_DEP_2)
	v_dual_lshlrev_b32 v5, 24, v5 :: v_dual_bitop2_b32 v10, 7, v7 bitop3:0x40
	v_bfe_u32 v14, v7, 3, 4
	v_and_b32_e32 v5, 0x80000000, v5
	s_delay_alu instid0(VALU_DEP_3) | instskip(NEXT) | instid1(VALU_DEP_3)
	v_clz_i32_u32_e32 v11, v10
	v_cmp_eq_u32_e32 vcc_lo, 0, v14
	s_delay_alu instid0(VALU_DEP_2) | instskip(NEXT) | instid1(VALU_DEP_1)
	v_min_u32_e32 v11, 32, v11
	v_subrev_nc_u32_e32 v13, 28, v11
	v_sub_nc_u32_e32 v11, 29, v11
	s_delay_alu instid0(VALU_DEP_2) | instskip(NEXT) | instid1(VALU_DEP_2)
	v_lshlrev_b32_e32 v7, v13, v7
	v_cndmask_b32_e32 v11, v14, v11, vcc_lo
	s_delay_alu instid0(VALU_DEP_2) | instskip(NEXT) | instid1(VALU_DEP_1)
	v_and_b32_e32 v7, 7, v7
	v_cndmask_b32_e32 v7, v10, v7, vcc_lo
	s_delay_alu instid0(VALU_DEP_3) | instskip(NEXT) | instid1(VALU_DEP_2)
	v_lshl_add_u32 v10, v11, 23, 0x3b800000
	v_lshlrev_b32_e32 v7, 20, v7
	s_delay_alu instid0(VALU_DEP_1) | instskip(NEXT) | instid1(VALU_DEP_1)
	v_or3_b32 v5, v5, v10, v7
	v_cvt_f16_f32_e32 v10, v5
.LBB231_1669:
	s_or_b32 exec_lo, exec_lo, s7
.LBB231_1670:
	s_mov_b32 s6, -1
.LBB231_1671:
	s_mov_b32 s7, 0
.LBB231_1672:
	s_delay_alu instid0(SALU_CYCLE_1)
	s_and_b32 vcc_lo, exec_lo, s7
	s_cbranch_vccz .LBB231_1705
; %bb.1673:
	s_cmp_gt_i32 s11, 22
	s_cbranch_scc0 .LBB231_1683
; %bb.1674:
	s_cmp_lt_i32 s11, 24
	s_cbranch_scc1 .LBB231_1686
; %bb.1675:
	s_cmp_gt_i32 s11, 24
	s_cbranch_scc0 .LBB231_1687
; %bb.1676:
	global_load_u8 v5, v[8:9], off
	s_mov_b32 s6, exec_lo
	s_wait_loadcnt 0x0
	v_cmpx_lt_i16_e32 0x7f, v5
	s_xor_b32 s6, exec_lo, s6
	s_cbranch_execz .LBB231_1699
; %bb.1677:
	s_mov_b32 s1, -1
	s_mov_b32 s7, exec_lo
	v_cmpx_eq_u16_e32 0x80, v5
; %bb.1678:
	s_xor_b32 s1, exec_lo, -1
; %bb.1679:
	s_or_b32 exec_lo, exec_lo, s7
	s_delay_alu instid0(SALU_CYCLE_1)
	s_and_b32 s1, s1, exec_lo
	s_or_saveexec_b32 s6, s6
	v_mov_b32_e32 v10, 0x7e00
	s_xor_b32 exec_lo, exec_lo, s6
	s_cbranch_execnz .LBB231_1700
.LBB231_1680:
	s_or_b32 exec_lo, exec_lo, s6
	s_and_saveexec_b32 s6, s1
	s_cbranch_execz .LBB231_1682
.LBB231_1681:
	v_and_b32_e32 v7, 0xffff, v5
	s_delay_alu instid0(VALU_DEP_1) | instskip(SKIP_1) | instid1(VALU_DEP_2)
	v_dual_lshlrev_b32 v5, 24, v5 :: v_dual_bitop2_b32 v10, 3, v7 bitop3:0x40
	v_bfe_u32 v14, v7, 2, 5
	v_and_b32_e32 v5, 0x80000000, v5
	s_delay_alu instid0(VALU_DEP_3) | instskip(NEXT) | instid1(VALU_DEP_3)
	v_clz_i32_u32_e32 v11, v10
	v_cmp_eq_u32_e32 vcc_lo, 0, v14
	s_delay_alu instid0(VALU_DEP_2) | instskip(NEXT) | instid1(VALU_DEP_1)
	v_min_u32_e32 v11, 32, v11
	v_subrev_nc_u32_e32 v13, 29, v11
	v_sub_nc_u32_e32 v11, 30, v11
	s_delay_alu instid0(VALU_DEP_2) | instskip(NEXT) | instid1(VALU_DEP_2)
	v_lshlrev_b32_e32 v7, v13, v7
	v_cndmask_b32_e32 v11, v14, v11, vcc_lo
	s_delay_alu instid0(VALU_DEP_2) | instskip(NEXT) | instid1(VALU_DEP_1)
	v_and_b32_e32 v7, 3, v7
	v_cndmask_b32_e32 v7, v10, v7, vcc_lo
	s_delay_alu instid0(VALU_DEP_3) | instskip(NEXT) | instid1(VALU_DEP_2)
	v_lshl_add_u32 v10, v11, 23, 0x37800000
	v_lshlrev_b32_e32 v7, 21, v7
	s_delay_alu instid0(VALU_DEP_1) | instskip(NEXT) | instid1(VALU_DEP_1)
	v_or3_b32 v5, v5, v10, v7
	v_cvt_f16_f32_e32 v10, v5
.LBB231_1682:
	s_or_b32 exec_lo, exec_lo, s6
	s_mov_b32 s1, 0
	s_branch .LBB231_1688
.LBB231_1683:
	s_mov_b32 s1, -1
                                        ; implicit-def: $vgpr10
	s_branch .LBB231_1694
.LBB231_1684:
	s_or_saveexec_b32 s7, s7
	v_mov_b32_e32 v10, 0x7e00
	s_xor_b32 exec_lo, exec_lo, s7
	s_cbranch_execz .LBB231_1667
.LBB231_1685:
	v_cmp_ne_u16_e32 vcc_lo, 0, v5
	v_mov_b32_e32 v10, v5
	s_and_not1_b32 s6, s6, exec_lo
	s_and_b32 s12, vcc_lo, exec_lo
	s_delay_alu instid0(SALU_CYCLE_1)
	s_or_b32 s6, s6, s12
	s_or_b32 exec_lo, exec_lo, s7
	s_and_saveexec_b32 s7, s6
	s_cbranch_execnz .LBB231_1668
	s_branch .LBB231_1669
.LBB231_1686:
	s_mov_b32 s1, -1
                                        ; implicit-def: $vgpr10
	s_branch .LBB231_1691
.LBB231_1687:
	s_mov_b32 s1, -1
                                        ; implicit-def: $vgpr10
.LBB231_1688:
	s_delay_alu instid0(SALU_CYCLE_1)
	s_and_b32 vcc_lo, exec_lo, s1
	s_cbranch_vccz .LBB231_1690
; %bb.1689:
	global_load_u8 v5, v[8:9], off
	s_wait_loadcnt 0x0
	v_lshlrev_b32_e32 v5, 24, v5
	s_delay_alu instid0(VALU_DEP_1) | instskip(NEXT) | instid1(VALU_DEP_1)
	v_and_b32_e32 v7, 0x7f000000, v5
	v_clz_i32_u32_e32 v10, v7
	v_add_nc_u32_e32 v13, 0x1000000, v7
	v_cmp_ne_u32_e32 vcc_lo, 0, v7
	s_delay_alu instid0(VALU_DEP_3) | instskip(NEXT) | instid1(VALU_DEP_1)
	v_min_u32_e32 v10, 32, v10
	v_sub_nc_u32_e64 v10, v10, 4 clamp
	s_delay_alu instid0(VALU_DEP_1) | instskip(NEXT) | instid1(VALU_DEP_1)
	v_dual_lshlrev_b32 v11, v10, v7 :: v_dual_lshlrev_b32 v10, 23, v10
	v_lshrrev_b32_e32 v11, 4, v11
	s_delay_alu instid0(VALU_DEP_1) | instskip(NEXT) | instid1(VALU_DEP_1)
	v_dual_sub_nc_u32 v10, v11, v10 :: v_dual_ashrrev_i32 v11, 8, v13
	v_add_nc_u32_e32 v10, 0x3c000000, v10
	s_delay_alu instid0(VALU_DEP_1) | instskip(NEXT) | instid1(VALU_DEP_1)
	v_and_or_b32 v10, 0x7f800000, v11, v10
	v_cndmask_b32_e32 v7, 0, v10, vcc_lo
	s_delay_alu instid0(VALU_DEP_1) | instskip(NEXT) | instid1(VALU_DEP_1)
	v_and_or_b32 v5, 0x80000000, v5, v7
	v_cvt_f16_f32_e32 v10, v5
.LBB231_1690:
	s_mov_b32 s1, 0
.LBB231_1691:
	s_delay_alu instid0(SALU_CYCLE_1)
	s_and_not1_b32 vcc_lo, exec_lo, s1
	s_cbranch_vccnz .LBB231_1693
; %bb.1692:
	global_load_u8 v5, v[8:9], off
	s_wait_loadcnt 0x0
	v_lshlrev_b32_e32 v7, 25, v5
	v_lshlrev_b16 v5, 8, v5
	s_delay_alu instid0(VALU_DEP_1) | instskip(SKIP_1) | instid1(VALU_DEP_2)
	v_and_or_b32 v11, 0x7f00, v5, 0.5
	v_bfe_i32 v5, v5, 0, 16
	v_add_f32_e32 v11, -0.5, v11
	v_lshrrev_b32_e32 v10, 4, v7
	v_cmp_gt_u32_e32 vcc_lo, 0x8000000, v7
	s_delay_alu instid0(VALU_DEP_2) | instskip(NEXT) | instid1(VALU_DEP_1)
	v_or_b32_e32 v10, 0x70000000, v10
	v_mul_f32_e32 v10, 0x7800000, v10
	s_delay_alu instid0(VALU_DEP_1) | instskip(NEXT) | instid1(VALU_DEP_1)
	v_cndmask_b32_e32 v7, v10, v11, vcc_lo
	v_and_or_b32 v5, 0x80000000, v5, v7
	s_delay_alu instid0(VALU_DEP_1)
	v_cvt_f16_f32_e32 v10, v5
.LBB231_1693:
	s_mov_b32 s1, 0
	s_mov_b32 s6, -1
.LBB231_1694:
	s_and_not1_b32 vcc_lo, exec_lo, s1
	s_mov_b32 s1, 0
	s_cbranch_vccnz .LBB231_1705
; %bb.1695:
	s_cmp_gt_i32 s11, 14
	s_cbranch_scc0 .LBB231_1698
; %bb.1696:
	s_cmp_eq_u32 s11, 15
	s_cbranch_scc0 .LBB231_1701
; %bb.1697:
	global_load_u16 v5, v[8:9], off
	s_mov_b32 s0, 0
	s_mov_b32 s6, -1
	s_wait_loadcnt 0x0
	v_lshlrev_b32_e32 v5, 16, v5
	s_delay_alu instid0(VALU_DEP_1)
	v_cvt_f16_f32_e32 v10, v5
	s_branch .LBB231_1703
.LBB231_1698:
	s_mov_b32 s1, -1
	s_branch .LBB231_1702
.LBB231_1699:
	s_or_saveexec_b32 s6, s6
	v_mov_b32_e32 v10, 0x7e00
	s_xor_b32 exec_lo, exec_lo, s6
	s_cbranch_execz .LBB231_1680
.LBB231_1700:
	v_cmp_ne_u16_e32 vcc_lo, 0, v5
	v_mov_b32_e32 v10, v5
	s_and_not1_b32 s1, s1, exec_lo
	s_and_b32 s7, vcc_lo, exec_lo
	s_delay_alu instid0(SALU_CYCLE_1)
	s_or_b32 s1, s1, s7
	s_or_b32 exec_lo, exec_lo, s6
	s_and_saveexec_b32 s6, s1
	s_cbranch_execnz .LBB231_1681
	s_branch .LBB231_1682
.LBB231_1701:
	s_mov_b32 s0, -1
.LBB231_1702:
                                        ; implicit-def: $vgpr10
.LBB231_1703:
	s_and_b32 vcc_lo, exec_lo, s1
	s_mov_b32 s1, 0
	s_cbranch_vccz .LBB231_1705
; %bb.1704:
	s_cmp_lg_u32 s11, 11
	s_mov_b32 s1, -1
	s_cselect_b32 s0, -1, 0
.LBB231_1705:
	s_delay_alu instid0(SALU_CYCLE_1)
	s_and_b32 vcc_lo, exec_lo, s0
	s_cbranch_vccnz .LBB231_2252
; %bb.1706:
	s_and_not1_b32 vcc_lo, exec_lo, s1
	s_cbranch_vccnz .LBB231_1708
.LBB231_1707:
	global_load_u8 v5, v[8:9], off
	s_mov_b32 s6, -1
	s_wait_loadcnt 0x0
	v_cmp_ne_u16_e32 vcc_lo, 0, v5
	v_cndmask_b32_e64 v10, 0, 0x3c00, vcc_lo
.LBB231_1708:
	s_mov_b32 s0, 0
.LBB231_1709:
	s_delay_alu instid0(SALU_CYCLE_1)
	s_and_b32 vcc_lo, exec_lo, s0
	s_cbranch_vccz .LBB231_1758
; %bb.1710:
	s_cmp_lt_i32 s11, 5
	s_cbranch_scc1 .LBB231_1715
; %bb.1711:
	s_cmp_lt_i32 s11, 8
	s_cbranch_scc1 .LBB231_1716
	;; [unrolled: 3-line block ×3, first 2 shown]
; %bb.1713:
	s_cmp_gt_i32 s11, 9
	s_cbranch_scc0 .LBB231_1718
; %bb.1714:
	global_load_b64 v[10:11], v[8:9], off
	s_mov_b32 s0, 0
	s_wait_loadcnt 0x0
	v_and_or_b32 v5, 0x1ff, v11, v10
	v_lshrrev_b32_e32 v7, 8, v11
	v_bfe_u32 v10, v11, 20, 11
	s_delay_alu instid0(VALU_DEP_3) | instskip(NEXT) | instid1(VALU_DEP_2)
	v_cmp_ne_u32_e32 vcc_lo, 0, v5
	v_sub_nc_u32_e32 v13, 0x3f1, v10
	v_add_nc_u32_e32 v10, 0xfffffc10, v10
	v_cndmask_b32_e64 v5, 0, 1, vcc_lo
	s_delay_alu instid0(VALU_DEP_1) | instskip(NEXT) | instid1(VALU_DEP_4)
	v_and_or_b32 v5, 0xffe, v7, v5
	v_med3_i32 v7, v13, 0, 13
	s_delay_alu instid0(VALU_DEP_2) | instskip(NEXT) | instid1(VALU_DEP_1)
	v_or_b32_e32 v13, 0x1000, v5
	v_lshrrev_b32_e32 v14, v7, v13
	s_delay_alu instid0(VALU_DEP_1) | instskip(NEXT) | instid1(VALU_DEP_1)
	v_lshlrev_b32_e32 v7, v7, v14
	v_cmp_ne_u32_e32 vcc_lo, v7, v13
	v_lshl_or_b32 v13, v10, 12, v5
	v_cndmask_b32_e64 v7, 0, 1, vcc_lo
	v_cmp_gt_i32_e32 vcc_lo, 1, v10
	s_delay_alu instid0(VALU_DEP_2) | instskip(NEXT) | instid1(VALU_DEP_1)
	v_or_b32_e32 v7, v14, v7
	v_cndmask_b32_e32 v7, v13, v7, vcc_lo
	s_delay_alu instid0(VALU_DEP_1) | instskip(NEXT) | instid1(VALU_DEP_1)
	v_dual_lshrrev_b32 v7, 2, v7 :: v_dual_bitop2_b32 v13, 7, v7 bitop3:0x40
	v_cmp_lt_i32_e32 vcc_lo, 5, v13
	v_cndmask_b32_e64 v14, 0, 1, vcc_lo
	v_cmp_eq_u32_e32 vcc_lo, 3, v13
	v_cndmask_b32_e64 v13, 0, 1, vcc_lo
	v_cmp_ne_u32_e32 vcc_lo, 0, v5
	s_delay_alu instid0(VALU_DEP_2) | instskip(NEXT) | instid1(VALU_DEP_1)
	v_or_b32_e32 v13, v13, v14
	v_dual_mov_b32 v14, 0x7e00 :: v_dual_add_nc_u32 v7, v7, v13
	s_delay_alu instid0(VALU_DEP_1) | instskip(SKIP_1) | instid1(VALU_DEP_3)
	v_cndmask_b32_e32 v5, 0x7c00, v14, vcc_lo
	v_cmp_gt_i32_e32 vcc_lo, 31, v10
	v_cndmask_b32_e32 v7, 0x7c00, v7, vcc_lo
	v_cmp_eq_u32_e32 vcc_lo, 0x40f, v10
	s_delay_alu instid0(VALU_DEP_2) | instskip(NEXT) | instid1(VALU_DEP_1)
	v_dual_cndmask_b32 v5, v7, v5, vcc_lo :: v_dual_lshrrev_b32 v7, 16, v11
	v_and_or_b32 v10, 0x8000, v7, v5
	s_branch .LBB231_1719
.LBB231_1715:
	s_mov_b32 s0, -1
                                        ; implicit-def: $vgpr10
	s_branch .LBB231_1737
.LBB231_1716:
	s_mov_b32 s0, -1
                                        ; implicit-def: $vgpr10
	s_branch .LBB231_1725
.LBB231_1717:
	s_mov_b32 s0, -1
                                        ; implicit-def: $vgpr10
	s_branch .LBB231_1722
.LBB231_1718:
	s_mov_b32 s0, -1
                                        ; implicit-def: $vgpr10
.LBB231_1719:
	s_delay_alu instid0(SALU_CYCLE_1)
	s_and_not1_b32 vcc_lo, exec_lo, s0
	s_cbranch_vccnz .LBB231_1721
; %bb.1720:
	global_load_b32 v5, v[8:9], off
	s_wait_loadcnt 0x0
	v_cvt_f16_f32_e32 v10, v5
.LBB231_1721:
	s_mov_b32 s0, 0
.LBB231_1722:
	s_delay_alu instid0(SALU_CYCLE_1)
	s_and_not1_b32 vcc_lo, exec_lo, s0
	s_cbranch_vccnz .LBB231_1724
; %bb.1723:
	global_load_b32 v10, v[8:9], off
.LBB231_1724:
	s_mov_b32 s0, 0
.LBB231_1725:
	s_delay_alu instid0(SALU_CYCLE_1)
	s_and_not1_b32 vcc_lo, exec_lo, s0
	s_cbranch_vccnz .LBB231_1736
; %bb.1726:
	s_cmp_lt_i32 s11, 6
	s_cbranch_scc1 .LBB231_1729
; %bb.1727:
	s_cmp_gt_i32 s11, 6
	s_cbranch_scc0 .LBB231_1730
; %bb.1728:
	s_wait_loadcnt 0x0
	global_load_b64 v[10:11], v[8:9], off
	s_mov_b32 s0, 0
	s_wait_loadcnt 0x0
	v_and_or_b32 v5, 0x1ff, v11, v10
	v_lshrrev_b32_e32 v7, 8, v11
	v_bfe_u32 v10, v11, 20, 11
	s_delay_alu instid0(VALU_DEP_3) | instskip(NEXT) | instid1(VALU_DEP_2)
	v_cmp_ne_u32_e32 vcc_lo, 0, v5
	v_sub_nc_u32_e32 v13, 0x3f1, v10
	v_add_nc_u32_e32 v10, 0xfffffc10, v10
	v_cndmask_b32_e64 v5, 0, 1, vcc_lo
	s_delay_alu instid0(VALU_DEP_1) | instskip(NEXT) | instid1(VALU_DEP_4)
	v_and_or_b32 v5, 0xffe, v7, v5
	v_med3_i32 v7, v13, 0, 13
	s_delay_alu instid0(VALU_DEP_2) | instskip(NEXT) | instid1(VALU_DEP_1)
	v_or_b32_e32 v13, 0x1000, v5
	v_lshrrev_b32_e32 v14, v7, v13
	s_delay_alu instid0(VALU_DEP_1) | instskip(NEXT) | instid1(VALU_DEP_1)
	v_lshlrev_b32_e32 v7, v7, v14
	v_cmp_ne_u32_e32 vcc_lo, v7, v13
	v_lshl_or_b32 v13, v10, 12, v5
	v_cndmask_b32_e64 v7, 0, 1, vcc_lo
	v_cmp_gt_i32_e32 vcc_lo, 1, v10
	s_delay_alu instid0(VALU_DEP_2) | instskip(NEXT) | instid1(VALU_DEP_1)
	v_or_b32_e32 v7, v14, v7
	v_cndmask_b32_e32 v7, v13, v7, vcc_lo
	s_delay_alu instid0(VALU_DEP_1) | instskip(NEXT) | instid1(VALU_DEP_1)
	v_dual_lshrrev_b32 v7, 2, v7 :: v_dual_bitop2_b32 v13, 7, v7 bitop3:0x40
	v_cmp_lt_i32_e32 vcc_lo, 5, v13
	v_cndmask_b32_e64 v14, 0, 1, vcc_lo
	v_cmp_eq_u32_e32 vcc_lo, 3, v13
	v_cndmask_b32_e64 v13, 0, 1, vcc_lo
	v_cmp_ne_u32_e32 vcc_lo, 0, v5
	s_delay_alu instid0(VALU_DEP_2) | instskip(NEXT) | instid1(VALU_DEP_1)
	v_or_b32_e32 v13, v13, v14
	v_dual_mov_b32 v14, 0x7e00 :: v_dual_add_nc_u32 v7, v7, v13
	s_delay_alu instid0(VALU_DEP_1) | instskip(SKIP_1) | instid1(VALU_DEP_3)
	v_cndmask_b32_e32 v5, 0x7c00, v14, vcc_lo
	v_cmp_gt_i32_e32 vcc_lo, 31, v10
	v_cndmask_b32_e32 v7, 0x7c00, v7, vcc_lo
	v_cmp_eq_u32_e32 vcc_lo, 0x40f, v10
	s_delay_alu instid0(VALU_DEP_2) | instskip(NEXT) | instid1(VALU_DEP_1)
	v_dual_cndmask_b32 v5, v7, v5, vcc_lo :: v_dual_lshrrev_b32 v7, 16, v11
	v_and_or_b32 v10, 0x8000, v7, v5
	s_branch .LBB231_1731
.LBB231_1729:
	s_mov_b32 s0, -1
                                        ; implicit-def: $vgpr10
	s_branch .LBB231_1734
.LBB231_1730:
	s_mov_b32 s0, -1
                                        ; implicit-def: $vgpr10
.LBB231_1731:
	s_delay_alu instid0(SALU_CYCLE_1)
	s_and_not1_b32 vcc_lo, exec_lo, s0
	s_cbranch_vccnz .LBB231_1733
; %bb.1732:
	global_load_b32 v5, v[8:9], off
	s_wait_loadcnt 0x0
	v_cvt_f16_f32_e32 v10, v5
.LBB231_1733:
	s_mov_b32 s0, 0
.LBB231_1734:
	s_delay_alu instid0(SALU_CYCLE_1)
	s_and_not1_b32 vcc_lo, exec_lo, s0
	s_cbranch_vccnz .LBB231_1736
; %bb.1735:
	s_wait_loadcnt 0x0
	global_load_u16 v10, v[8:9], off
.LBB231_1736:
	s_mov_b32 s0, 0
.LBB231_1737:
	s_delay_alu instid0(SALU_CYCLE_1)
	s_and_not1_b32 vcc_lo, exec_lo, s0
	s_cbranch_vccnz .LBB231_1757
; %bb.1738:
	s_cmp_lt_i32 s11, 2
	s_cbranch_scc1 .LBB231_1742
; %bb.1739:
	s_cmp_lt_i32 s11, 3
	s_cbranch_scc1 .LBB231_1743
; %bb.1740:
	s_cmp_gt_i32 s11, 3
	s_cbranch_scc0 .LBB231_1744
; %bb.1741:
	s_wait_loadcnt 0x0
	global_load_b64 v[10:11], v[8:9], off
	s_mov_b32 s0, 0
	s_wait_loadcnt 0x0
	v_xor_b32_e32 v5, v10, v11
	v_cls_i32_e32 v7, v11
	s_delay_alu instid0(VALU_DEP_2) | instskip(NEXT) | instid1(VALU_DEP_1)
	v_ashrrev_i32_e32 v5, 31, v5
	v_add_nc_u32_e32 v5, 32, v5
	s_delay_alu instid0(VALU_DEP_1) | instskip(NEXT) | instid1(VALU_DEP_1)
	v_add_min_u32_e64 v5, v7, -1, v5
	v_lshlrev_b64_e32 v[10:11], v5, v[10:11]
	v_sub_nc_u32_e32 v5, 32, v5
	s_delay_alu instid0(VALU_DEP_2) | instskip(NEXT) | instid1(VALU_DEP_1)
	v_min_u32_e32 v7, 1, v10
	v_or_b32_e32 v7, v11, v7
	s_delay_alu instid0(VALU_DEP_1) | instskip(NEXT) | instid1(VALU_DEP_1)
	v_cvt_f32_i32_e32 v7, v7
	v_ldexp_f32 v5, v7, v5
	s_delay_alu instid0(VALU_DEP_1)
	v_cvt_f16_f32_e32 v10, v5
	s_branch .LBB231_1745
.LBB231_1742:
	s_mov_b32 s0, -1
                                        ; implicit-def: $vgpr10
	s_branch .LBB231_1751
.LBB231_1743:
	s_mov_b32 s0, -1
                                        ; implicit-def: $vgpr10
	s_branch .LBB231_1748
.LBB231_1744:
	s_mov_b32 s0, -1
                                        ; implicit-def: $vgpr10
.LBB231_1745:
	s_delay_alu instid0(SALU_CYCLE_1)
	s_and_not1_b32 vcc_lo, exec_lo, s0
	s_cbranch_vccnz .LBB231_1747
; %bb.1746:
	global_load_b32 v5, v[8:9], off
	s_wait_loadcnt 0x0
	v_cvt_f32_i32_e32 v5, v5
	s_delay_alu instid0(VALU_DEP_1)
	v_cvt_f16_f32_e32 v10, v5
.LBB231_1747:
	s_mov_b32 s0, 0
.LBB231_1748:
	s_delay_alu instid0(SALU_CYCLE_1)
	s_and_not1_b32 vcc_lo, exec_lo, s0
	s_cbranch_vccnz .LBB231_1750
; %bb.1749:
	global_load_u16 v5, v[8:9], off
	s_wait_loadcnt 0x0
	v_cvt_f16_i16_e32 v10, v5
.LBB231_1750:
	s_mov_b32 s0, 0
.LBB231_1751:
	s_delay_alu instid0(SALU_CYCLE_1)
	s_and_not1_b32 vcc_lo, exec_lo, s0
	s_cbranch_vccnz .LBB231_1757
; %bb.1752:
	s_cmp_gt_i32 s11, 0
	s_mov_b32 s0, 0
	s_cbranch_scc0 .LBB231_1754
; %bb.1753:
	global_load_i8 v5, v[8:9], off
	s_wait_loadcnt 0x0
	v_cvt_f16_i16_e32 v10, v5
	s_branch .LBB231_1755
.LBB231_1754:
	s_mov_b32 s0, -1
                                        ; implicit-def: $vgpr10
.LBB231_1755:
	s_delay_alu instid0(SALU_CYCLE_1)
	s_and_not1_b32 vcc_lo, exec_lo, s0
	s_cbranch_vccnz .LBB231_1757
; %bb.1756:
	global_load_u8 v5, v[8:9], off
	s_wait_loadcnt 0x0
	v_cvt_f16_u16_e32 v10, v5
.LBB231_1757:
	s_mov_b32 s6, -1
.LBB231_1758:
	s_delay_alu instid0(SALU_CYCLE_1)
	s_and_not1_b32 vcc_lo, exec_lo, s6
	s_cbranch_vccnz .LBB231_1763
; %bb.1759:
	s_mov_b32 s6, exec_lo
	s_wait_loadcnt 0x0
	v_cmpx_o_f16_e32 v10, v10
	s_cbranch_execz .LBB231_1815
; %bb.1760:
	s_load_b64 s[0:1], s[2:3], 0x158
	v_cvt_f32_f16_e32 v5, v10
	s_mov_b32 s7, 0
	s_wait_kmcnt 0x0
	s_cmp_lt_i32 s0, 1
	s_cbranch_scc1 .LBB231_1808
; %bb.1761:
	s_cmp_eq_u32 s0, 1
	s_cbranch_scc0 .LBB231_1809
; %bb.1762:
	v_max_num_f32_e64 v7, s1, s1
	v_max_num_f32_e32 v8, v5, v5
	s_mov_b32 s11, 0
	s_delay_alu instid0(VALU_DEP_1) | instskip(NEXT) | instid1(VALU_DEP_1)
	v_min_num_f32_e32 v7, v8, v7
	v_cvt_f16_f32_e32 v10, v7
	s_branch .LBB231_1810
.LBB231_1763:
	s_mov_b32 s0, 0
	s_mov_b32 s3, 0
                                        ; implicit-def: $vgpr2_vgpr3
                                        ; implicit-def: $sgpr1
                                        ; implicit-def: $vgpr10
.LBB231_1764:
	s_and_not1_b32 s2, s8, exec_lo
	s_and_b32 s4, s10, exec_lo
	s_and_b32 s0, s0, exec_lo
	;; [unrolled: 1-line block ×3, first 2 shown]
	s_or_b32 s8, s2, s4
.LBB231_1765:
	s_wait_xcnt 0x0
	s_or_b32 exec_lo, exec_lo, s9
	s_and_saveexec_b32 s2, s8
	s_cbranch_execz .LBB231_1768
; %bb.1766:
	; divergent unreachable
	s_or_b32 exec_lo, exec_lo, s2
	s_and_saveexec_b32 s2, s35
	s_delay_alu instid0(SALU_CYCLE_1)
	s_xor_b32 s2, exec_lo, s2
	s_cbranch_execnz .LBB231_1769
.LBB231_1767:
	s_or_b32 exec_lo, exec_lo, s2
	s_and_saveexec_b32 s2, s0
	s_cbranch_execnz .LBB231_1770
	s_branch .LBB231_1807
.LBB231_1768:
	s_or_b32 exec_lo, exec_lo, s2
	s_and_saveexec_b32 s2, s35
	s_delay_alu instid0(SALU_CYCLE_1)
	s_xor_b32 s2, exec_lo, s2
	s_cbranch_execz .LBB231_1767
.LBB231_1769:
	s_wait_loadcnt 0x0
	v_and_b32_e32 v0, 0x7fff, v10
	s_delay_alu instid0(VALU_DEP_1)
	v_cmp_ne_u16_e32 vcc_lo, 0, v0
	v_cndmask_b32_e64 v0, 0, 1, vcc_lo
	global_store_b8 v[2:3], v0, off
	s_wait_xcnt 0x0
	s_or_b32 exec_lo, exec_lo, s2
	s_and_saveexec_b32 s2, s0
	s_cbranch_execz .LBB231_1807
.LBB231_1770:
	s_sext_i32_i16 s2, s1
	s_mov_b32 s0, -1
	s_cmp_lt_i32 s2, 5
	s_cbranch_scc1 .LBB231_1791
; %bb.1771:
	s_cmp_lt_i32 s2, 8
	s_cbranch_scc1 .LBB231_1781
; %bb.1772:
	;; [unrolled: 3-line block ×3, first 2 shown]
	s_cmp_gt_i32 s2, 9
	s_cbranch_scc0 .LBB231_1775
; %bb.1774:
	s_wait_loadcnt 0x0
	v_cvt_f32_f16_e32 v0, v10
	v_mov_b32_e32 v6, 0
	s_mov_b32 s0, 0
	s_delay_alu instid0(VALU_DEP_2) | instskip(NEXT) | instid1(VALU_DEP_2)
	v_cvt_f64_f32_e32 v[4:5], v0
	v_mov_b32_e32 v7, v6
	global_store_b128 v[2:3], v[4:7], off
.LBB231_1775:
	s_and_not1_b32 vcc_lo, exec_lo, s0
	s_cbranch_vccnz .LBB231_1777
; %bb.1776:
	s_wait_loadcnt 0x0
	v_cvt_f32_f16_e32 v0, v10
	v_mov_b32_e32 v1, 0
	global_store_b64 v[2:3], v[0:1], off
.LBB231_1777:
	s_mov_b32 s0, 0
.LBB231_1778:
	s_delay_alu instid0(SALU_CYCLE_1)
	s_and_not1_b32 vcc_lo, exec_lo, s0
	s_cbranch_vccnz .LBB231_1780
; %bb.1779:
	s_wait_loadcnt 0x0
	v_and_b32_e32 v0, 0xffff, v10
	global_store_b32 v[2:3], v0, off
.LBB231_1780:
	s_mov_b32 s0, 0
.LBB231_1781:
	s_delay_alu instid0(SALU_CYCLE_1)
	s_and_not1_b32 vcc_lo, exec_lo, s0
	s_cbranch_vccnz .LBB231_1790
; %bb.1782:
	s_sext_i32_i16 s2, s1
	s_mov_b32 s0, -1
	s_cmp_lt_i32 s2, 6
	s_cbranch_scc1 .LBB231_1788
; %bb.1783:
	s_cmp_gt_i32 s2, 6
	s_cbranch_scc0 .LBB231_1785
; %bb.1784:
	s_wait_loadcnt 0x0
	v_cvt_f32_f16_e32 v0, v10
	s_mov_b32 s0, 0
	s_delay_alu instid0(VALU_DEP_1)
	v_cvt_f64_f32_e32 v[0:1], v0
	global_store_b64 v[2:3], v[0:1], off
.LBB231_1785:
	s_and_not1_b32 vcc_lo, exec_lo, s0
	s_cbranch_vccnz .LBB231_1787
; %bb.1786:
	s_wait_loadcnt 0x0
	v_cvt_f32_f16_e32 v0, v10
	global_store_b32 v[2:3], v0, off
.LBB231_1787:
	s_mov_b32 s0, 0
.LBB231_1788:
	s_delay_alu instid0(SALU_CYCLE_1)
	s_and_not1_b32 vcc_lo, exec_lo, s0
	s_cbranch_vccnz .LBB231_1790
; %bb.1789:
	s_wait_loadcnt 0x0
	global_store_b16 v[2:3], v10, off
.LBB231_1790:
	s_mov_b32 s0, 0
.LBB231_1791:
	s_delay_alu instid0(SALU_CYCLE_1)
	s_and_not1_b32 vcc_lo, exec_lo, s0
	s_cbranch_vccnz .LBB231_1807
; %bb.1792:
	s_sext_i32_i16 s2, s1
	s_mov_b32 s0, -1
	s_cmp_lt_i32 s2, 2
	s_cbranch_scc1 .LBB231_1802
; %bb.1793:
	s_cmp_lt_i32 s2, 3
	s_cbranch_scc1 .LBB231_1799
; %bb.1794:
	s_cmp_gt_i32 s2, 3
	s_cbranch_scc0 .LBB231_1796
; %bb.1795:
	s_wait_loadcnt 0x0
	v_cvt_f32_f16_e32 v0, v10
	s_mov_b32 s0, 0
	s_delay_alu instid0(VALU_DEP_1) | instskip(NEXT) | instid1(VALU_DEP_1)
	v_cvt_i32_f32_e32 v0, v0
	v_ashrrev_i32_e32 v1, 31, v0
	global_store_b64 v[2:3], v[0:1], off
.LBB231_1796:
	s_and_not1_b32 vcc_lo, exec_lo, s0
	s_cbranch_vccnz .LBB231_1798
; %bb.1797:
	s_wait_loadcnt 0x0
	v_cvt_f32_f16_e32 v0, v10
	s_delay_alu instid0(VALU_DEP_1)
	v_cvt_i32_f32_e32 v0, v0
	global_store_b32 v[2:3], v0, off
.LBB231_1798:
	s_mov_b32 s0, 0
.LBB231_1799:
	s_delay_alu instid0(SALU_CYCLE_1)
	s_and_not1_b32 vcc_lo, exec_lo, s0
	s_cbranch_vccnz .LBB231_1801
; %bb.1800:
	s_wait_loadcnt 0x0
	v_cvt_i16_f16_e32 v0, v10
	global_store_b16 v[2:3], v0, off
.LBB231_1801:
	s_mov_b32 s0, 0
.LBB231_1802:
	s_delay_alu instid0(SALU_CYCLE_1)
	s_and_not1_b32 vcc_lo, exec_lo, s0
	s_cbranch_vccnz .LBB231_1807
; %bb.1803:
	s_sext_i32_i16 s0, s1
	s_delay_alu instid0(SALU_CYCLE_1)
	s_cmp_gt_i32 s0, 0
	s_mov_b32 s0, -1
	s_cbranch_scc0 .LBB231_1805
; %bb.1804:
	s_wait_loadcnt 0x0
	v_cvt_i16_f16_e32 v0, v10
	s_mov_b32 s0, 0
	global_store_b8 v[2:3], v0, off
.LBB231_1805:
	s_and_not1_b32 vcc_lo, exec_lo, s0
	s_cbranch_vccnz .LBB231_1807
; %bb.1806:
	s_wait_loadcnt 0x0
	v_cvt_f32_f16_e32 v0, v10
	s_delay_alu instid0(VALU_DEP_1)
	v_cvt_i32_f32_e32 v0, v0
	global_store_b8 v[2:3], v0, off
	s_endpgm
.LBB231_1807:
	s_endpgm
.LBB231_1808:
	s_mov_b32 s12, -1
	s_mov_b32 s11, 0
                                        ; implicit-def: $vgpr10
	s_branch .LBB231_1811
.LBB231_1809:
	s_mov_b32 s11, -1
                                        ; implicit-def: $vgpr10
.LBB231_1810:
	s_mov_b32 s12, 0
.LBB231_1811:
	s_delay_alu instid0(SALU_CYCLE_1)
	s_and_b32 vcc_lo, exec_lo, s12
	s_cbranch_vccz .LBB231_1893
; %bb.1812:
	s_cmp_lg_u32 s0, 0
	s_mov_b32 s7, -1
	s_cselect_b32 s11, -1, 0
	s_delay_alu instid0(SALU_CYCLE_1)
	s_and_not1_b32 vcc_lo, exec_lo, s11
	s_cbranch_vccz .LBB231_1894
.LBB231_1813:
	s_and_not1_b32 vcc_lo, exec_lo, s7
	s_cbranch_vccnz .LBB231_1815
.LBB231_1814:
	v_max_num_f32_e64 v7, s1, s1
	v_max_num_f32_e32 v5, v5, v5
	s_delay_alu instid0(VALU_DEP_1) | instskip(NEXT) | instid1(VALU_DEP_1)
	v_max_num_f32_e32 v5, v5, v7
	v_cvt_f16_f32_e32 v10, v5
.LBB231_1815:
	s_or_b32 exec_lo, exec_lo, s6
	s_load_b32 s0, s[2:3], 0x164
	v_mov_b32_e32 v7, 0
	s_delay_alu instid0(VALU_DEP_1) | instskip(SKIP_2) | instid1(SALU_CYCLE_1)
	v_add_nc_u64_e32 v[6:7], s[4:5], v[6:7]
	s_wait_kmcnt 0x0
	s_and_b32 s1, s0, 0xff
	s_cmp_lt_i32 s1, 11
	s_cbranch_scc1 .LBB231_1895
; %bb.1816:
	s_and_b32 s2, 0xffff, s1
	s_mov_b32 s7, -1
	s_mov_b32 s3, 0
	s_cmp_gt_i32 s2, 25
	s_mov_b32 s6, 0
	s_mov_b32 s0, 0
	s_cbranch_scc0 .LBB231_1849
; %bb.1817:
	s_cmp_gt_i32 s2, 28
	s_cbranch_scc0 .LBB231_1832
; %bb.1818:
	s_cmp_gt_i32 s2, 43
	;; [unrolled: 3-line block ×3, first 2 shown]
	s_cbranch_scc0 .LBB231_1822
; %bb.1820:
	s_mov_b32 s0, -1
	s_mov_b32 s7, 0
	s_cmp_eq_u32 s2, 46
	s_cbranch_scc0 .LBB231_1822
; %bb.1821:
	v_cvt_f32_f16_e32 v5, v1
	v_cmp_o_f16_e32 vcc_lo, v1, v1
	s_mov_b32 s0, 0
	s_mov_b32 s6, -1
	s_delay_alu instid0(VALU_DEP_2) | instskip(NEXT) | instid1(VALU_DEP_1)
	v_bfe_u32 v8, v5, 16, 1
	v_add3_u32 v5, v5, v8, 0x7fff
	s_delay_alu instid0(VALU_DEP_1) | instskip(NEXT) | instid1(VALU_DEP_1)
	v_lshrrev_b32_e32 v5, 16, v5
	v_cndmask_b32_e32 v5, 0x7fc0, v5, vcc_lo
	global_store_b32 v[6:7], v5, off
.LBB231_1822:
	s_and_b32 vcc_lo, exec_lo, s7
	s_cbranch_vccz .LBB231_1827
; %bb.1823:
	s_cmp_eq_u32 s2, 44
	s_mov_b32 s0, -1
	s_cbranch_scc0 .LBB231_1827
; %bb.1824:
	s_wait_xcnt 0x0
	v_cvt_f32_f16_e32 v5, v1
	v_mov_b32_e32 v8, 0xff
	s_mov_b32 s6, exec_lo
	s_delay_alu instid0(VALU_DEP_2) | instskip(NEXT) | instid1(VALU_DEP_1)
	v_bfe_u32 v9, v5, 23, 8
	v_cmpx_ne_u32_e32 0xff, v9
	s_cbranch_execz .LBB231_1826
; %bb.1825:
	v_and_b32_e32 v8, 0x400000, v5
	v_and_or_b32 v9, 0x3fffff, v5, v9
	v_lshrrev_b32_e32 v5, 23, v5
	s_delay_alu instid0(VALU_DEP_3) | instskip(NEXT) | instid1(VALU_DEP_3)
	v_cmp_ne_u32_e32 vcc_lo, 0, v8
	v_cmp_ne_u32_e64 s0, 0, v9
	s_and_b32 s0, vcc_lo, s0
	s_delay_alu instid0(SALU_CYCLE_1) | instskip(NEXT) | instid1(VALU_DEP_1)
	v_cndmask_b32_e64 v8, 0, 1, s0
	v_add_nc_u32_e32 v8, v5, v8
.LBB231_1826:
	s_or_b32 exec_lo, exec_lo, s6
	s_mov_b32 s0, 0
	s_mov_b32 s6, -1
	global_store_b8 v[6:7], v8, off
.LBB231_1827:
	s_mov_b32 s7, 0
.LBB231_1828:
	s_delay_alu instid0(SALU_CYCLE_1)
	s_and_b32 vcc_lo, exec_lo, s7
	s_cbranch_vccz .LBB231_1831
; %bb.1829:
	s_cmp_eq_u32 s2, 29
	s_mov_b32 s0, -1
	s_cbranch_scc0 .LBB231_1831
; %bb.1830:
	s_wait_xcnt 0x0
	v_cvt_f32_f16_e32 v5, v1
	v_mov_b32_e32 v9, 0
	s_mov_b32 s0, 0
	s_mov_b32 s6, -1
	s_delay_alu instid0(VALU_DEP_2)
	v_cvt_u32_f32_e32 v8, v5
	global_store_b64 v[6:7], v[8:9], off
.LBB231_1831:
	s_mov_b32 s7, 0
.LBB231_1832:
	s_delay_alu instid0(SALU_CYCLE_1)
	s_and_b32 vcc_lo, exec_lo, s7
	s_cbranch_vccz .LBB231_1848
; %bb.1833:
	s_cmp_lt_i32 s2, 27
	s_mov_b32 s6, -1
	s_cbranch_scc1 .LBB231_1839
; %bb.1834:
	s_cmp_gt_i32 s2, 27
	s_cbranch_scc0 .LBB231_1836
; %bb.1835:
	s_wait_xcnt 0x0
	v_cvt_f32_f16_e32 v5, v1
	s_mov_b32 s6, 0
	s_delay_alu instid0(VALU_DEP_1)
	v_cvt_u32_f32_e32 v5, v5
	global_store_b32 v[6:7], v5, off
.LBB231_1836:
	s_and_not1_b32 vcc_lo, exec_lo, s6
	s_cbranch_vccnz .LBB231_1838
; %bb.1837:
	s_wait_xcnt 0x0
	v_cvt_u16_f16_e32 v5, v1
	global_store_b16 v[6:7], v5, off
.LBB231_1838:
	s_mov_b32 s6, 0
.LBB231_1839:
	s_delay_alu instid0(SALU_CYCLE_1)
	s_and_not1_b32 vcc_lo, exec_lo, s6
	s_cbranch_vccnz .LBB231_1847
; %bb.1840:
	s_wait_xcnt 0x0
	v_cvt_f32_f16_e32 v5, v1
	v_mov_b32_e32 v9, 0x80
	s_mov_b32 s6, exec_lo
	s_delay_alu instid0(VALU_DEP_2) | instskip(NEXT) | instid1(VALU_DEP_1)
	v_and_b32_e32 v8, 0x7fffffff, v5
	v_cmpx_gt_u32_e32 0x43800000, v8
	s_cbranch_execz .LBB231_1846
; %bb.1841:
	v_cmp_lt_u32_e32 vcc_lo, 0x3bffffff, v8
	s_mov_b32 s7, 0
                                        ; implicit-def: $vgpr8
	s_and_saveexec_b32 s11, vcc_lo
	s_delay_alu instid0(SALU_CYCLE_1)
	s_xor_b32 s11, exec_lo, s11
	s_cbranch_execz .LBB231_2253
; %bb.1842:
	v_bfe_u32 v8, v5, 20, 1
	s_mov_b32 s7, exec_lo
	s_delay_alu instid0(VALU_DEP_1) | instskip(NEXT) | instid1(VALU_DEP_1)
	v_add3_u32 v8, v5, v8, 0x487ffff
	v_lshrrev_b32_e32 v8, 20, v8
	s_and_not1_saveexec_b32 s11, s11
	s_cbranch_execnz .LBB231_2254
.LBB231_1843:
	s_or_b32 exec_lo, exec_lo, s11
	v_mov_b32_e32 v9, 0
	s_and_saveexec_b32 s11, s7
.LBB231_1844:
	v_lshrrev_b32_e32 v5, 24, v5
	s_delay_alu instid0(VALU_DEP_1)
	v_and_or_b32 v9, 0x80, v5, v8
.LBB231_1845:
	s_or_b32 exec_lo, exec_lo, s11
.LBB231_1846:
	s_delay_alu instid0(SALU_CYCLE_1)
	s_or_b32 exec_lo, exec_lo, s6
	global_store_b8 v[6:7], v9, off
.LBB231_1847:
	s_mov_b32 s6, -1
.LBB231_1848:
	s_mov_b32 s7, 0
.LBB231_1849:
	s_delay_alu instid0(SALU_CYCLE_1)
	s_and_b32 vcc_lo, exec_lo, s7
	s_cbranch_vccz .LBB231_1889
; %bb.1850:
	s_cmp_gt_i32 s2, 22
	s_mov_b32 s3, -1
	s_cbranch_scc0 .LBB231_1882
; %bb.1851:
	s_cmp_lt_i32 s2, 24
	s_cbranch_scc1 .LBB231_1871
; %bb.1852:
	s_cmp_gt_i32 s2, 24
	s_cbranch_scc0 .LBB231_1860
; %bb.1853:
	s_wait_xcnt 0x0
	v_cvt_f32_f16_e32 v5, v1
	v_mov_b32_e32 v9, 0x80
	s_mov_b32 s3, exec_lo
	s_delay_alu instid0(VALU_DEP_2) | instskip(NEXT) | instid1(VALU_DEP_1)
	v_and_b32_e32 v8, 0x7fffffff, v5
	v_cmpx_gt_u32_e32 0x47800000, v8
	s_cbranch_execz .LBB231_1859
; %bb.1854:
	v_cmp_lt_u32_e32 vcc_lo, 0x37ffffff, v8
	s_mov_b32 s6, 0
                                        ; implicit-def: $vgpr8
	s_and_saveexec_b32 s7, vcc_lo
	s_delay_alu instid0(SALU_CYCLE_1)
	s_xor_b32 s7, exec_lo, s7
	s_cbranch_execz .LBB231_2256
; %bb.1855:
	v_bfe_u32 v8, v5, 21, 1
	s_mov_b32 s6, exec_lo
	s_delay_alu instid0(VALU_DEP_1) | instskip(NEXT) | instid1(VALU_DEP_1)
	v_add3_u32 v8, v5, v8, 0x88fffff
	v_lshrrev_b32_e32 v8, 21, v8
	s_and_not1_saveexec_b32 s7, s7
	s_cbranch_execnz .LBB231_2257
.LBB231_1856:
	s_or_b32 exec_lo, exec_lo, s7
	v_mov_b32_e32 v9, 0
	s_and_saveexec_b32 s7, s6
.LBB231_1857:
	v_lshrrev_b32_e32 v5, 24, v5
	s_delay_alu instid0(VALU_DEP_1)
	v_and_or_b32 v9, 0x80, v5, v8
.LBB231_1858:
	s_or_b32 exec_lo, exec_lo, s7
.LBB231_1859:
	s_delay_alu instid0(SALU_CYCLE_1)
	s_or_b32 exec_lo, exec_lo, s3
	s_mov_b32 s3, 0
	global_store_b8 v[6:7], v9, off
.LBB231_1860:
	s_and_b32 vcc_lo, exec_lo, s3
	s_cbranch_vccz .LBB231_1870
; %bb.1861:
	s_wait_xcnt 0x0
	v_cvt_f32_f16_e32 v5, v1
	s_mov_b32 s3, exec_lo
                                        ; implicit-def: $vgpr8
	s_delay_alu instid0(VALU_DEP_1) | instskip(NEXT) | instid1(VALU_DEP_1)
	v_and_b32_e32 v9, 0x7fffffff, v5
	v_cmpx_gt_u32_e32 0x43f00000, v9
	s_xor_b32 s3, exec_lo, s3
	s_cbranch_execz .LBB231_1867
; %bb.1862:
	s_mov_b32 s6, exec_lo
                                        ; implicit-def: $vgpr8
	v_cmpx_lt_u32_e32 0x3c7fffff, v9
	s_xor_b32 s6, exec_lo, s6
; %bb.1863:
	v_bfe_u32 v8, v5, 20, 1
	s_delay_alu instid0(VALU_DEP_1) | instskip(NEXT) | instid1(VALU_DEP_1)
	v_add3_u32 v8, v5, v8, 0x407ffff
	v_and_b32_e32 v9, 0xff00000, v8
	v_lshrrev_b32_e32 v8, 20, v8
	s_delay_alu instid0(VALU_DEP_2) | instskip(NEXT) | instid1(VALU_DEP_2)
	v_cmp_ne_u32_e32 vcc_lo, 0x7f00000, v9
	v_cndmask_b32_e32 v8, 0x7e, v8, vcc_lo
; %bb.1864:
	s_and_not1_saveexec_b32 s6, s6
; %bb.1865:
	v_add_f32_e64 v8, 0x46800000, |v5|
; %bb.1866:
	s_or_b32 exec_lo, exec_lo, s6
                                        ; implicit-def: $vgpr9
.LBB231_1867:
	s_and_not1_saveexec_b32 s3, s3
; %bb.1868:
	v_mov_b32_e32 v8, 0x7f
	v_cmp_lt_u32_e32 vcc_lo, 0x7f800000, v9
	s_delay_alu instid0(VALU_DEP_2)
	v_cndmask_b32_e32 v8, 0x7e, v8, vcc_lo
; %bb.1869:
	s_or_b32 exec_lo, exec_lo, s3
	v_lshrrev_b32_e32 v5, 24, v5
	s_delay_alu instid0(VALU_DEP_1)
	v_and_or_b32 v5, 0x80, v5, v8
	global_store_b8 v[6:7], v5, off
.LBB231_1870:
	s_mov_b32 s3, 0
.LBB231_1871:
	s_delay_alu instid0(SALU_CYCLE_1)
	s_and_not1_b32 vcc_lo, exec_lo, s3
	s_cbranch_vccnz .LBB231_1881
; %bb.1872:
	s_wait_xcnt 0x0
	v_cvt_f32_f16_e32 v5, v1
	s_mov_b32 s3, exec_lo
                                        ; implicit-def: $vgpr8
	s_delay_alu instid0(VALU_DEP_1) | instskip(NEXT) | instid1(VALU_DEP_1)
	v_and_b32_e32 v9, 0x7fffffff, v5
	v_cmpx_gt_u32_e32 0x47800000, v9
	s_xor_b32 s3, exec_lo, s3
	s_cbranch_execz .LBB231_1878
; %bb.1873:
	s_mov_b32 s6, exec_lo
                                        ; implicit-def: $vgpr8
	v_cmpx_lt_u32_e32 0x387fffff, v9
	s_xor_b32 s6, exec_lo, s6
; %bb.1874:
	v_bfe_u32 v8, v5, 21, 1
	s_delay_alu instid0(VALU_DEP_1) | instskip(NEXT) | instid1(VALU_DEP_1)
	v_add3_u32 v8, v5, v8, 0x80fffff
	v_lshrrev_b32_e32 v8, 21, v8
; %bb.1875:
	s_and_not1_saveexec_b32 s6, s6
; %bb.1876:
	v_add_f32_e64 v8, 0x43000000, |v5|
; %bb.1877:
	s_or_b32 exec_lo, exec_lo, s6
                                        ; implicit-def: $vgpr9
.LBB231_1878:
	s_and_not1_saveexec_b32 s3, s3
; %bb.1879:
	v_mov_b32_e32 v8, 0x7f
	v_cmp_lt_u32_e32 vcc_lo, 0x7f800000, v9
	s_delay_alu instid0(VALU_DEP_2)
	v_cndmask_b32_e32 v8, 0x7c, v8, vcc_lo
; %bb.1880:
	s_or_b32 exec_lo, exec_lo, s3
	v_lshrrev_b32_e32 v5, 24, v5
	s_delay_alu instid0(VALU_DEP_1)
	v_and_or_b32 v5, 0x80, v5, v8
	global_store_b8 v[6:7], v5, off
.LBB231_1881:
	s_mov_b32 s3, 0
	s_mov_b32 s6, -1
.LBB231_1882:
	s_and_not1_b32 vcc_lo, exec_lo, s3
	s_mov_b32 s3, 0
	s_cbranch_vccnz .LBB231_1889
; %bb.1883:
	s_cmp_gt_i32 s2, 14
	s_mov_b32 s3, -1
	s_cbranch_scc0 .LBB231_1887
; %bb.1884:
	s_cmp_eq_u32 s2, 15
	s_mov_b32 s0, -1
	s_cbranch_scc0 .LBB231_1886
; %bb.1885:
	s_wait_xcnt 0x0
	v_cvt_f32_f16_e32 v5, v1
	v_cmp_o_f16_e32 vcc_lo, v1, v1
	s_mov_b32 s0, 0
	s_mov_b32 s6, -1
	s_delay_alu instid0(VALU_DEP_2) | instskip(NEXT) | instid1(VALU_DEP_1)
	v_bfe_u32 v8, v5, 16, 1
	v_add3_u32 v5, v5, v8, 0x7fff
	s_delay_alu instid0(VALU_DEP_1) | instskip(NEXT) | instid1(VALU_DEP_1)
	v_lshrrev_b32_e32 v5, 16, v5
	v_cndmask_b32_e32 v5, 0x7fc0, v5, vcc_lo
	global_store_b16 v[6:7], v5, off
.LBB231_1886:
	s_mov_b32 s3, 0
.LBB231_1887:
	s_delay_alu instid0(SALU_CYCLE_1)
	s_and_b32 vcc_lo, exec_lo, s3
	s_mov_b32 s3, 0
	s_cbranch_vccz .LBB231_1889
; %bb.1888:
	s_cmp_lg_u32 s2, 11
	s_mov_b32 s3, -1
	s_cselect_b32 s0, -1, 0
.LBB231_1889:
	s_delay_alu instid0(SALU_CYCLE_1)
	s_and_b32 vcc_lo, exec_lo, s0
	s_cbranch_vccnz .LBB231_2255
; %bb.1890:
	s_and_not1_b32 vcc_lo, exec_lo, s3
	s_cbranch_vccnz .LBB231_1892
.LBB231_1891:
	s_wait_xcnt 0x0
	v_and_b32_e32 v5, 0x7fff, v1
	s_mov_b32 s6, -1
	s_delay_alu instid0(VALU_DEP_1)
	v_cmp_ne_u16_e32 vcc_lo, 0, v5
	v_cndmask_b32_e64 v5, 0, 1, vcc_lo
	global_store_b8 v[6:7], v5, off
.LBB231_1892:
	s_mov_b32 s0, 0
	s_branch .LBB231_1896
.LBB231_1893:
	s_and_not1_b32 vcc_lo, exec_lo, s11
	s_cbranch_vccnz .LBB231_1813
.LBB231_1894:
	s_load_b32 s0, s[2:3], 0x160
	v_max_num_f32_e64 v7, s1, s1
	v_max_num_f32_e32 v8, v5, v5
	s_wait_kmcnt 0x0
	v_max_num_f32_e64 v9, s0, s0
	s_delay_alu instid0(VALU_DEP_1) | instskip(NEXT) | instid1(VALU_DEP_1)
	v_maxmin_num_f32 v7, v8, v7, v9
	v_cvt_f16_f32_e32 v10, v7
	s_cbranch_execz .LBB231_1814
	s_branch .LBB231_1815
.LBB231_1895:
	s_mov_b32 s0, -1
	s_mov_b32 s6, 0
.LBB231_1896:
	s_and_b32 vcc_lo, exec_lo, s0
	s_cbranch_vccz .LBB231_1935
; %bb.1897:
	s_and_b32 s0, 0xffff, s1
	s_mov_b32 s2, -1
	s_cmp_lt_i32 s0, 5
	s_cbranch_scc1 .LBB231_1918
; %bb.1898:
	s_cmp_lt_i32 s0, 8
	s_cbranch_scc1 .LBB231_1908
; %bb.1899:
	;; [unrolled: 3-line block ×3, first 2 shown]
	s_cmp_gt_i32 s0, 9
	s_cbranch_scc0 .LBB231_1902
; %bb.1901:
	s_wait_xcnt 0x0
	v_cvt_f32_f16_e32 v5, v1
	v_mov_b32_e32 v16, 0
	s_mov_b32 s2, 0
	s_delay_alu instid0(VALU_DEP_2) | instskip(NEXT) | instid1(VALU_DEP_2)
	v_cvt_f64_f32_e32 v[14:15], v5
	v_mov_b32_e32 v17, v16
	global_store_b128 v[6:7], v[14:17], off
.LBB231_1902:
	s_and_not1_b32 vcc_lo, exec_lo, s2
	s_cbranch_vccnz .LBB231_1904
; %bb.1903:
	s_wait_xcnt 0x0
	v_cvt_f32_f16_e32 v8, v1
	v_mov_b32_e32 v9, 0
	global_store_b64 v[6:7], v[8:9], off
.LBB231_1904:
	s_mov_b32 s2, 0
.LBB231_1905:
	s_delay_alu instid0(SALU_CYCLE_1)
	s_and_not1_b32 vcc_lo, exec_lo, s2
	s_cbranch_vccnz .LBB231_1907
; %bb.1906:
	s_wait_xcnt 0x0
	v_and_b32_e32 v5, 0xffff, v1
	global_store_b32 v[6:7], v5, off
.LBB231_1907:
	s_mov_b32 s2, 0
.LBB231_1908:
	s_delay_alu instid0(SALU_CYCLE_1)
	s_and_not1_b32 vcc_lo, exec_lo, s2
	s_cbranch_vccnz .LBB231_1917
; %bb.1909:
	s_cmp_lt_i32 s0, 6
	s_mov_b32 s2, -1
	s_cbranch_scc1 .LBB231_1915
; %bb.1910:
	s_cmp_gt_i32 s0, 6
	s_cbranch_scc0 .LBB231_1912
; %bb.1911:
	s_wait_xcnt 0x0
	v_cvt_f32_f16_e32 v5, v1
	s_mov_b32 s2, 0
	s_delay_alu instid0(VALU_DEP_1)
	v_cvt_f64_f32_e32 v[8:9], v5
	global_store_b64 v[6:7], v[8:9], off
.LBB231_1912:
	s_and_not1_b32 vcc_lo, exec_lo, s2
	s_cbranch_vccnz .LBB231_1914
; %bb.1913:
	s_wait_xcnt 0x0
	v_cvt_f32_f16_e32 v5, v1
	global_store_b32 v[6:7], v5, off
.LBB231_1914:
	s_mov_b32 s2, 0
.LBB231_1915:
	s_delay_alu instid0(SALU_CYCLE_1)
	s_and_not1_b32 vcc_lo, exec_lo, s2
	s_cbranch_vccnz .LBB231_1917
; %bb.1916:
	global_store_b16 v[6:7], v1, off
.LBB231_1917:
	s_mov_b32 s2, 0
.LBB231_1918:
	s_delay_alu instid0(SALU_CYCLE_1)
	s_and_not1_b32 vcc_lo, exec_lo, s2
	s_cbranch_vccnz .LBB231_1934
; %bb.1919:
	s_cmp_lt_i32 s0, 2
	s_mov_b32 s2, -1
	s_cbranch_scc1 .LBB231_1929
; %bb.1920:
	s_cmp_lt_i32 s0, 3
	s_cbranch_scc1 .LBB231_1926
; %bb.1921:
	s_cmp_gt_i32 s0, 3
	s_cbranch_scc0 .LBB231_1923
; %bb.1922:
	s_wait_xcnt 0x0
	v_cvt_f32_f16_e32 v5, v1
	s_mov_b32 s2, 0
	s_delay_alu instid0(VALU_DEP_1) | instskip(NEXT) | instid1(VALU_DEP_1)
	v_cvt_i32_f32_e32 v8, v5
	v_ashrrev_i32_e32 v9, 31, v8
	global_store_b64 v[6:7], v[8:9], off
.LBB231_1923:
	s_and_not1_b32 vcc_lo, exec_lo, s2
	s_cbranch_vccnz .LBB231_1925
; %bb.1924:
	s_wait_xcnt 0x0
	v_cvt_f32_f16_e32 v5, v1
	s_delay_alu instid0(VALU_DEP_1)
	v_cvt_i32_f32_e32 v5, v5
	global_store_b32 v[6:7], v5, off
.LBB231_1925:
	s_mov_b32 s2, 0
.LBB231_1926:
	s_delay_alu instid0(SALU_CYCLE_1)
	s_and_not1_b32 vcc_lo, exec_lo, s2
	s_cbranch_vccnz .LBB231_1928
; %bb.1927:
	s_wait_xcnt 0x0
	v_cvt_i16_f16_e32 v5, v1
	global_store_b16 v[6:7], v5, off
.LBB231_1928:
	s_mov_b32 s2, 0
.LBB231_1929:
	s_delay_alu instid0(SALU_CYCLE_1)
	s_and_not1_b32 vcc_lo, exec_lo, s2
	s_cbranch_vccnz .LBB231_1934
; %bb.1930:
	s_cmp_gt_i32 s0, 0
	s_mov_b32 s0, -1
	s_cbranch_scc0 .LBB231_1932
; %bb.1931:
	s_wait_xcnt 0x0
	v_cvt_i16_f16_e32 v5, v1
	s_mov_b32 s0, 0
	global_store_b8 v[6:7], v5, off
.LBB231_1932:
	s_and_not1_b32 vcc_lo, exec_lo, s0
	s_cbranch_vccnz .LBB231_1934
; %bb.1933:
	s_wait_xcnt 0x0
	v_cvt_f32_f16_e32 v1, v1
	s_delay_alu instid0(VALU_DEP_1)
	v_cvt_i32_f32_e32 v1, v1
	global_store_b8 v[6:7], v1, off
.LBB231_1934:
	s_mov_b32 s6, -1
.LBB231_1935:
	s_delay_alu instid0(SALU_CYCLE_1)
	s_and_not1_b32 vcc_lo, exec_lo, s6
	s_cbranch_vccnz .LBB231_2250
; %bb.1936:
	s_wait_xcnt 0x0
	v_mov_b32_e32 v5, 0
	s_and_b32 s2, 0xffff, s1
	s_delay_alu instid0(SALU_CYCLE_1) | instskip(NEXT) | instid1(VALU_DEP_1)
	s_cmp_lt_i32 s2, 11
	v_add_nc_u64_e32 v[4:5], s[4:5], v[4:5]
	s_cbranch_scc1 .LBB231_2014
; %bb.1937:
	s_mov_b32 s7, -1
	s_mov_b32 s3, 0
	s_cmp_gt_i32 s2, 25
	s_mov_b32 s6, 0
	s_mov_b32 s0, 0
	s_cbranch_scc0 .LBB231_1970
; %bb.1938:
	s_cmp_gt_i32 s2, 28
	s_cbranch_scc0 .LBB231_1953
; %bb.1939:
	s_cmp_gt_i32 s2, 43
	;; [unrolled: 3-line block ×3, first 2 shown]
	s_cbranch_scc0 .LBB231_1943
; %bb.1941:
	s_mov_b32 s0, -1
	s_mov_b32 s7, 0
	s_cmp_eq_u32 s2, 46
	s_cbranch_scc0 .LBB231_1943
; %bb.1942:
	v_cvt_f32_f16_e32 v1, v3
	v_cmp_o_f16_e32 vcc_lo, v3, v3
	s_mov_b32 s0, 0
	s_mov_b32 s6, -1
	s_delay_alu instid0(VALU_DEP_2) | instskip(NEXT) | instid1(VALU_DEP_1)
	v_bfe_u32 v6, v1, 16, 1
	v_add3_u32 v1, v1, v6, 0x7fff
	s_delay_alu instid0(VALU_DEP_1) | instskip(NEXT) | instid1(VALU_DEP_1)
	v_lshrrev_b32_e32 v1, 16, v1
	v_cndmask_b32_e32 v1, 0x7fc0, v1, vcc_lo
	global_store_b32 v[4:5], v1, off
.LBB231_1943:
	s_and_b32 vcc_lo, exec_lo, s7
	s_cbranch_vccz .LBB231_1948
; %bb.1944:
	s_cmp_eq_u32 s2, 44
	s_mov_b32 s0, -1
	s_cbranch_scc0 .LBB231_1948
; %bb.1945:
	s_wait_xcnt 0x0
	v_cvt_f32_f16_e32 v1, v3
	v_mov_b32_e32 v6, 0xff
	s_mov_b32 s6, exec_lo
	s_delay_alu instid0(VALU_DEP_2) | instskip(NEXT) | instid1(VALU_DEP_1)
	v_bfe_u32 v7, v1, 23, 8
	v_cmpx_ne_u32_e32 0xff, v7
	s_cbranch_execz .LBB231_1947
; %bb.1946:
	v_and_b32_e32 v6, 0x400000, v1
	v_and_or_b32 v7, 0x3fffff, v1, v7
	v_lshrrev_b32_e32 v1, 23, v1
	s_delay_alu instid0(VALU_DEP_3) | instskip(NEXT) | instid1(VALU_DEP_3)
	v_cmp_ne_u32_e32 vcc_lo, 0, v6
	v_cmp_ne_u32_e64 s0, 0, v7
	s_and_b32 s0, vcc_lo, s0
	s_delay_alu instid0(SALU_CYCLE_1) | instskip(NEXT) | instid1(VALU_DEP_1)
	v_cndmask_b32_e64 v6, 0, 1, s0
	v_add_nc_u32_e32 v6, v1, v6
.LBB231_1947:
	s_or_b32 exec_lo, exec_lo, s6
	s_mov_b32 s0, 0
	s_mov_b32 s6, -1
	global_store_b8 v[4:5], v6, off
.LBB231_1948:
	s_mov_b32 s7, 0
.LBB231_1949:
	s_delay_alu instid0(SALU_CYCLE_1)
	s_and_b32 vcc_lo, exec_lo, s7
	s_cbranch_vccz .LBB231_1952
; %bb.1950:
	s_cmp_eq_u32 s2, 29
	s_mov_b32 s0, -1
	s_cbranch_scc0 .LBB231_1952
; %bb.1951:
	s_wait_xcnt 0x0
	v_cvt_f32_f16_e32 v1, v3
	v_mov_b32_e32 v7, 0
	s_mov_b32 s0, 0
	s_mov_b32 s6, -1
	s_delay_alu instid0(VALU_DEP_2)
	v_cvt_u32_f32_e32 v6, v1
	global_store_b64 v[4:5], v[6:7], off
.LBB231_1952:
	s_mov_b32 s7, 0
.LBB231_1953:
	s_delay_alu instid0(SALU_CYCLE_1)
	s_and_b32 vcc_lo, exec_lo, s7
	s_cbranch_vccz .LBB231_1969
; %bb.1954:
	s_cmp_lt_i32 s2, 27
	s_mov_b32 s6, -1
	s_cbranch_scc1 .LBB231_1960
; %bb.1955:
	s_cmp_gt_i32 s2, 27
	s_cbranch_scc0 .LBB231_1957
; %bb.1956:
	s_wait_xcnt 0x0
	v_cvt_f32_f16_e32 v1, v3
	s_mov_b32 s6, 0
	s_delay_alu instid0(VALU_DEP_1)
	v_cvt_u32_f32_e32 v1, v1
	global_store_b32 v[4:5], v1, off
.LBB231_1957:
	s_and_not1_b32 vcc_lo, exec_lo, s6
	s_cbranch_vccnz .LBB231_1959
; %bb.1958:
	s_wait_xcnt 0x0
	v_cvt_u16_f16_e32 v1, v3
	global_store_b16 v[4:5], v1, off
.LBB231_1959:
	s_mov_b32 s6, 0
.LBB231_1960:
	s_delay_alu instid0(SALU_CYCLE_1)
	s_and_not1_b32 vcc_lo, exec_lo, s6
	s_cbranch_vccnz .LBB231_1968
; %bb.1961:
	s_wait_xcnt 0x0
	v_cvt_f32_f16_e32 v1, v3
	v_mov_b32_e32 v7, 0x80
	s_mov_b32 s6, exec_lo
	s_delay_alu instid0(VALU_DEP_2) | instskip(NEXT) | instid1(VALU_DEP_1)
	v_and_b32_e32 v6, 0x7fffffff, v1
	v_cmpx_gt_u32_e32 0x43800000, v6
	s_cbranch_execz .LBB231_1967
; %bb.1962:
	v_cmp_lt_u32_e32 vcc_lo, 0x3bffffff, v6
	s_mov_b32 s7, 0
                                        ; implicit-def: $vgpr6
	s_and_saveexec_b32 s11, vcc_lo
	s_delay_alu instid0(SALU_CYCLE_1)
	s_xor_b32 s11, exec_lo, s11
	s_cbranch_execz .LBB231_2258
; %bb.1963:
	v_bfe_u32 v6, v1, 20, 1
	s_mov_b32 s7, exec_lo
	s_delay_alu instid0(VALU_DEP_1) | instskip(NEXT) | instid1(VALU_DEP_1)
	v_add3_u32 v6, v1, v6, 0x487ffff
	v_lshrrev_b32_e32 v6, 20, v6
	s_and_not1_saveexec_b32 s11, s11
	s_cbranch_execnz .LBB231_2259
.LBB231_1964:
	s_or_b32 exec_lo, exec_lo, s11
	v_mov_b32_e32 v7, 0
	s_and_saveexec_b32 s11, s7
.LBB231_1965:
	v_lshrrev_b32_e32 v1, 24, v1
	s_delay_alu instid0(VALU_DEP_1)
	v_and_or_b32 v7, 0x80, v1, v6
.LBB231_1966:
	s_or_b32 exec_lo, exec_lo, s11
.LBB231_1967:
	s_delay_alu instid0(SALU_CYCLE_1)
	s_or_b32 exec_lo, exec_lo, s6
	global_store_b8 v[4:5], v7, off
.LBB231_1968:
	s_mov_b32 s6, -1
.LBB231_1969:
	s_mov_b32 s7, 0
.LBB231_1970:
	s_delay_alu instid0(SALU_CYCLE_1)
	s_and_b32 vcc_lo, exec_lo, s7
	s_cbranch_vccz .LBB231_2010
; %bb.1971:
	s_cmp_gt_i32 s2, 22
	s_mov_b32 s3, -1
	s_cbranch_scc0 .LBB231_2003
; %bb.1972:
	s_cmp_lt_i32 s2, 24
	s_cbranch_scc1 .LBB231_1992
; %bb.1973:
	s_cmp_gt_i32 s2, 24
	s_cbranch_scc0 .LBB231_1981
; %bb.1974:
	s_wait_xcnt 0x0
	v_cvt_f32_f16_e32 v1, v3
	v_mov_b32_e32 v7, 0x80
	s_mov_b32 s3, exec_lo
	s_delay_alu instid0(VALU_DEP_2) | instskip(NEXT) | instid1(VALU_DEP_1)
	v_and_b32_e32 v6, 0x7fffffff, v1
	v_cmpx_gt_u32_e32 0x47800000, v6
	s_cbranch_execz .LBB231_1980
; %bb.1975:
	v_cmp_lt_u32_e32 vcc_lo, 0x37ffffff, v6
	s_mov_b32 s6, 0
                                        ; implicit-def: $vgpr6
	s_and_saveexec_b32 s7, vcc_lo
	s_delay_alu instid0(SALU_CYCLE_1)
	s_xor_b32 s7, exec_lo, s7
	s_cbranch_execz .LBB231_2261
; %bb.1976:
	v_bfe_u32 v6, v1, 21, 1
	s_mov_b32 s6, exec_lo
	s_delay_alu instid0(VALU_DEP_1) | instskip(NEXT) | instid1(VALU_DEP_1)
	v_add3_u32 v6, v1, v6, 0x88fffff
	v_lshrrev_b32_e32 v6, 21, v6
	s_and_not1_saveexec_b32 s7, s7
	s_cbranch_execnz .LBB231_2262
.LBB231_1977:
	s_or_b32 exec_lo, exec_lo, s7
	v_mov_b32_e32 v7, 0
	s_and_saveexec_b32 s7, s6
.LBB231_1978:
	v_lshrrev_b32_e32 v1, 24, v1
	s_delay_alu instid0(VALU_DEP_1)
	v_and_or_b32 v7, 0x80, v1, v6
.LBB231_1979:
	s_or_b32 exec_lo, exec_lo, s7
.LBB231_1980:
	s_delay_alu instid0(SALU_CYCLE_1)
	s_or_b32 exec_lo, exec_lo, s3
	s_mov_b32 s3, 0
	global_store_b8 v[4:5], v7, off
.LBB231_1981:
	s_and_b32 vcc_lo, exec_lo, s3
	s_cbranch_vccz .LBB231_1991
; %bb.1982:
	s_wait_xcnt 0x0
	v_cvt_f32_f16_e32 v1, v3
	s_mov_b32 s3, exec_lo
                                        ; implicit-def: $vgpr6
	s_delay_alu instid0(VALU_DEP_1) | instskip(NEXT) | instid1(VALU_DEP_1)
	v_and_b32_e32 v7, 0x7fffffff, v1
	v_cmpx_gt_u32_e32 0x43f00000, v7
	s_xor_b32 s3, exec_lo, s3
	s_cbranch_execz .LBB231_1988
; %bb.1983:
	s_mov_b32 s6, exec_lo
                                        ; implicit-def: $vgpr6
	v_cmpx_lt_u32_e32 0x3c7fffff, v7
	s_xor_b32 s6, exec_lo, s6
; %bb.1984:
	v_bfe_u32 v6, v1, 20, 1
	s_delay_alu instid0(VALU_DEP_1) | instskip(NEXT) | instid1(VALU_DEP_1)
	v_add3_u32 v6, v1, v6, 0x407ffff
	v_and_b32_e32 v7, 0xff00000, v6
	v_lshrrev_b32_e32 v6, 20, v6
	s_delay_alu instid0(VALU_DEP_2) | instskip(NEXT) | instid1(VALU_DEP_2)
	v_cmp_ne_u32_e32 vcc_lo, 0x7f00000, v7
	v_cndmask_b32_e32 v6, 0x7e, v6, vcc_lo
; %bb.1985:
	s_and_not1_saveexec_b32 s6, s6
; %bb.1986:
	v_add_f32_e64 v6, 0x46800000, |v1|
; %bb.1987:
	s_or_b32 exec_lo, exec_lo, s6
                                        ; implicit-def: $vgpr7
.LBB231_1988:
	s_and_not1_saveexec_b32 s3, s3
; %bb.1989:
	v_mov_b32_e32 v6, 0x7f
	v_cmp_lt_u32_e32 vcc_lo, 0x7f800000, v7
	s_delay_alu instid0(VALU_DEP_2)
	v_cndmask_b32_e32 v6, 0x7e, v6, vcc_lo
; %bb.1990:
	s_or_b32 exec_lo, exec_lo, s3
	v_lshrrev_b32_e32 v1, 24, v1
	s_delay_alu instid0(VALU_DEP_1)
	v_and_or_b32 v1, 0x80, v1, v6
	global_store_b8 v[4:5], v1, off
.LBB231_1991:
	s_mov_b32 s3, 0
.LBB231_1992:
	s_delay_alu instid0(SALU_CYCLE_1)
	s_and_not1_b32 vcc_lo, exec_lo, s3
	s_cbranch_vccnz .LBB231_2002
; %bb.1993:
	s_wait_xcnt 0x0
	v_cvt_f32_f16_e32 v1, v3
	s_mov_b32 s3, exec_lo
                                        ; implicit-def: $vgpr6
	s_delay_alu instid0(VALU_DEP_1) | instskip(NEXT) | instid1(VALU_DEP_1)
	v_and_b32_e32 v7, 0x7fffffff, v1
	v_cmpx_gt_u32_e32 0x47800000, v7
	s_xor_b32 s3, exec_lo, s3
	s_cbranch_execz .LBB231_1999
; %bb.1994:
	s_mov_b32 s6, exec_lo
                                        ; implicit-def: $vgpr6
	v_cmpx_lt_u32_e32 0x387fffff, v7
	s_xor_b32 s6, exec_lo, s6
; %bb.1995:
	v_bfe_u32 v6, v1, 21, 1
	s_delay_alu instid0(VALU_DEP_1) | instskip(NEXT) | instid1(VALU_DEP_1)
	v_add3_u32 v6, v1, v6, 0x80fffff
	v_lshrrev_b32_e32 v6, 21, v6
; %bb.1996:
	s_and_not1_saveexec_b32 s6, s6
; %bb.1997:
	v_add_f32_e64 v6, 0x43000000, |v1|
; %bb.1998:
	s_or_b32 exec_lo, exec_lo, s6
                                        ; implicit-def: $vgpr7
.LBB231_1999:
	s_and_not1_saveexec_b32 s3, s3
; %bb.2000:
	v_mov_b32_e32 v6, 0x7f
	v_cmp_lt_u32_e32 vcc_lo, 0x7f800000, v7
	s_delay_alu instid0(VALU_DEP_2)
	v_cndmask_b32_e32 v6, 0x7c, v6, vcc_lo
; %bb.2001:
	s_or_b32 exec_lo, exec_lo, s3
	v_lshrrev_b32_e32 v1, 24, v1
	s_delay_alu instid0(VALU_DEP_1)
	v_and_or_b32 v1, 0x80, v1, v6
	global_store_b8 v[4:5], v1, off
.LBB231_2002:
	s_mov_b32 s3, 0
	s_mov_b32 s6, -1
.LBB231_2003:
	s_and_not1_b32 vcc_lo, exec_lo, s3
	s_mov_b32 s3, 0
	s_cbranch_vccnz .LBB231_2010
; %bb.2004:
	s_cmp_gt_i32 s2, 14
	s_mov_b32 s3, -1
	s_cbranch_scc0 .LBB231_2008
; %bb.2005:
	s_cmp_eq_u32 s2, 15
	s_mov_b32 s0, -1
	s_cbranch_scc0 .LBB231_2007
; %bb.2006:
	s_wait_xcnt 0x0
	v_cvt_f32_f16_e32 v1, v3
	v_cmp_o_f16_e32 vcc_lo, v3, v3
	s_mov_b32 s0, 0
	s_mov_b32 s6, -1
	s_delay_alu instid0(VALU_DEP_2) | instskip(NEXT) | instid1(VALU_DEP_1)
	v_bfe_u32 v6, v1, 16, 1
	v_add3_u32 v1, v1, v6, 0x7fff
	s_delay_alu instid0(VALU_DEP_1) | instskip(NEXT) | instid1(VALU_DEP_1)
	v_lshrrev_b32_e32 v1, 16, v1
	v_cndmask_b32_e32 v1, 0x7fc0, v1, vcc_lo
	global_store_b16 v[4:5], v1, off
.LBB231_2007:
	s_mov_b32 s3, 0
.LBB231_2008:
	s_delay_alu instid0(SALU_CYCLE_1)
	s_and_b32 vcc_lo, exec_lo, s3
	s_mov_b32 s3, 0
	s_cbranch_vccz .LBB231_2010
; %bb.2009:
	s_cmp_lg_u32 s2, 11
	s_mov_b32 s3, -1
	s_cselect_b32 s0, -1, 0
.LBB231_2010:
	s_delay_alu instid0(SALU_CYCLE_1)
	s_and_b32 vcc_lo, exec_lo, s0
	s_cbranch_vccnz .LBB231_2260
; %bb.2011:
	s_and_not1_b32 vcc_lo, exec_lo, s3
	s_cbranch_vccnz .LBB231_2013
.LBB231_2012:
	s_wait_xcnt 0x0
	v_and_b32_e32 v1, 0x7fff, v3
	s_mov_b32 s6, -1
	s_delay_alu instid0(VALU_DEP_1)
	v_cmp_ne_u16_e32 vcc_lo, 0, v1
	v_cndmask_b32_e64 v1, 0, 1, vcc_lo
	global_store_b8 v[4:5], v1, off
.LBB231_2013:
	s_mov_b32 s0, 0
	s_branch .LBB231_2015
.LBB231_2014:
	s_mov_b32 s0, -1
	s_mov_b32 s6, 0
.LBB231_2015:
	s_and_b32 vcc_lo, exec_lo, s0
	s_cbranch_vccz .LBB231_2054
; %bb.2016:
	s_cmp_lt_i32 s2, 5
	s_mov_b32 s0, -1
	s_cbranch_scc1 .LBB231_2037
; %bb.2017:
	s_cmp_lt_i32 s2, 8
	s_cbranch_scc1 .LBB231_2027
; %bb.2018:
	s_cmp_lt_i32 s2, 9
	s_cbranch_scc1 .LBB231_2024
; %bb.2019:
	s_cmp_gt_i32 s2, 9
	s_cbranch_scc0 .LBB231_2021
; %bb.2020:
	s_wait_xcnt 0x0
	v_cvt_f32_f16_e32 v1, v3
	v_mov_b32_e32 v8, 0
	s_mov_b32 s0, 0
	s_delay_alu instid0(VALU_DEP_2) | instskip(NEXT) | instid1(VALU_DEP_2)
	v_cvt_f64_f32_e32 v[6:7], v1
	v_mov_b32_e32 v9, v8
	global_store_b128 v[4:5], v[6:9], off
.LBB231_2021:
	s_and_not1_b32 vcc_lo, exec_lo, s0
	s_cbranch_vccnz .LBB231_2023
; %bb.2022:
	s_wait_xcnt 0x0
	v_cvt_f32_f16_e32 v6, v3
	v_mov_b32_e32 v7, 0
	global_store_b64 v[4:5], v[6:7], off
.LBB231_2023:
	s_mov_b32 s0, 0
.LBB231_2024:
	s_delay_alu instid0(SALU_CYCLE_1)
	s_and_not1_b32 vcc_lo, exec_lo, s0
	s_cbranch_vccnz .LBB231_2026
; %bb.2025:
	s_wait_xcnt 0x0
	v_and_b32_e32 v1, 0xffff, v3
	global_store_b32 v[4:5], v1, off
.LBB231_2026:
	s_mov_b32 s0, 0
.LBB231_2027:
	s_delay_alu instid0(SALU_CYCLE_1)
	s_and_not1_b32 vcc_lo, exec_lo, s0
	s_cbranch_vccnz .LBB231_2036
; %bb.2028:
	s_cmp_lt_i32 s2, 6
	s_mov_b32 s0, -1
	s_cbranch_scc1 .LBB231_2034
; %bb.2029:
	s_cmp_gt_i32 s2, 6
	s_cbranch_scc0 .LBB231_2031
; %bb.2030:
	s_wait_xcnt 0x0
	v_cvt_f32_f16_e32 v1, v3
	s_mov_b32 s0, 0
	s_delay_alu instid0(VALU_DEP_1)
	v_cvt_f64_f32_e32 v[6:7], v1
	global_store_b64 v[4:5], v[6:7], off
.LBB231_2031:
	s_and_not1_b32 vcc_lo, exec_lo, s0
	s_cbranch_vccnz .LBB231_2033
; %bb.2032:
	s_wait_xcnt 0x0
	v_cvt_f32_f16_e32 v1, v3
	global_store_b32 v[4:5], v1, off
.LBB231_2033:
	s_mov_b32 s0, 0
.LBB231_2034:
	s_delay_alu instid0(SALU_CYCLE_1)
	s_and_not1_b32 vcc_lo, exec_lo, s0
	s_cbranch_vccnz .LBB231_2036
; %bb.2035:
	global_store_b16 v[4:5], v3, off
.LBB231_2036:
	s_mov_b32 s0, 0
.LBB231_2037:
	s_delay_alu instid0(SALU_CYCLE_1)
	s_and_not1_b32 vcc_lo, exec_lo, s0
	s_cbranch_vccnz .LBB231_2053
; %bb.2038:
	s_cmp_lt_i32 s2, 2
	s_mov_b32 s0, -1
	s_cbranch_scc1 .LBB231_2048
; %bb.2039:
	s_cmp_lt_i32 s2, 3
	s_cbranch_scc1 .LBB231_2045
; %bb.2040:
	s_cmp_gt_i32 s2, 3
	s_cbranch_scc0 .LBB231_2042
; %bb.2041:
	s_wait_xcnt 0x0
	v_cvt_f32_f16_e32 v1, v3
	s_mov_b32 s0, 0
	s_delay_alu instid0(VALU_DEP_1) | instskip(NEXT) | instid1(VALU_DEP_1)
	v_cvt_i32_f32_e32 v6, v1
	v_ashrrev_i32_e32 v7, 31, v6
	global_store_b64 v[4:5], v[6:7], off
.LBB231_2042:
	s_and_not1_b32 vcc_lo, exec_lo, s0
	s_cbranch_vccnz .LBB231_2044
; %bb.2043:
	s_wait_xcnt 0x0
	v_cvt_f32_f16_e32 v1, v3
	s_delay_alu instid0(VALU_DEP_1)
	v_cvt_i32_f32_e32 v1, v1
	global_store_b32 v[4:5], v1, off
.LBB231_2044:
	s_mov_b32 s0, 0
.LBB231_2045:
	s_delay_alu instid0(SALU_CYCLE_1)
	s_and_not1_b32 vcc_lo, exec_lo, s0
	s_cbranch_vccnz .LBB231_2047
; %bb.2046:
	s_wait_xcnt 0x0
	v_cvt_i16_f16_e32 v1, v3
	global_store_b16 v[4:5], v1, off
.LBB231_2047:
	s_mov_b32 s0, 0
.LBB231_2048:
	s_delay_alu instid0(SALU_CYCLE_1)
	s_and_not1_b32 vcc_lo, exec_lo, s0
	s_cbranch_vccnz .LBB231_2053
; %bb.2049:
	s_cmp_gt_i32 s2, 0
	s_mov_b32 s0, -1
	s_cbranch_scc0 .LBB231_2051
; %bb.2050:
	s_wait_xcnt 0x0
	v_cvt_i16_f16_e32 v1, v3
	s_mov_b32 s0, 0
	global_store_b8 v[4:5], v1, off
.LBB231_2051:
	s_and_not1_b32 vcc_lo, exec_lo, s0
	s_cbranch_vccnz .LBB231_2053
; %bb.2052:
	s_wait_xcnt 0x0
	v_cvt_f32_f16_e32 v1, v3
	s_delay_alu instid0(VALU_DEP_1)
	v_cvt_i32_f32_e32 v1, v1
	global_store_b8 v[4:5], v1, off
.LBB231_2053:
	s_mov_b32 s6, -1
.LBB231_2054:
	s_delay_alu instid0(SALU_CYCLE_1)
	s_and_not1_b32 vcc_lo, exec_lo, s6
	s_cbranch_vccnz .LBB231_2250
; %bb.2055:
	s_wait_xcnt 0x0
	v_mov_b32_e32 v3, 0
	s_cmp_lt_i32 s2, 11
	s_delay_alu instid0(VALU_DEP_1)
	v_add_nc_u64_e32 v[2:3], s[4:5], v[2:3]
	s_cbranch_scc1 .LBB231_2133
; %bb.2056:
	s_mov_b32 s7, -1
	s_mov_b32 s3, 0
	s_cmp_gt_i32 s2, 25
	s_mov_b32 s6, 0
	s_mov_b32 s0, 0
	s_cbranch_scc0 .LBB231_2089
; %bb.2057:
	s_cmp_gt_i32 s2, 28
	s_cbranch_scc0 .LBB231_2072
; %bb.2058:
	s_cmp_gt_i32 s2, 43
	;; [unrolled: 3-line block ×3, first 2 shown]
	s_cbranch_scc0 .LBB231_2062
; %bb.2060:
	s_mov_b32 s0, -1
	s_mov_b32 s7, 0
	s_cmp_eq_u32 s2, 46
	s_cbranch_scc0 .LBB231_2062
; %bb.2061:
	v_cvt_f32_f16_e32 v1, v12
	v_cmp_o_f16_e32 vcc_lo, v12, v12
	s_mov_b32 s0, 0
	s_mov_b32 s6, -1
	s_delay_alu instid0(VALU_DEP_2) | instskip(NEXT) | instid1(VALU_DEP_1)
	v_bfe_u32 v4, v1, 16, 1
	v_add3_u32 v1, v1, v4, 0x7fff
	s_delay_alu instid0(VALU_DEP_1) | instskip(NEXT) | instid1(VALU_DEP_1)
	v_lshrrev_b32_e32 v1, 16, v1
	v_cndmask_b32_e32 v1, 0x7fc0, v1, vcc_lo
	global_store_b32 v[2:3], v1, off
.LBB231_2062:
	s_and_b32 vcc_lo, exec_lo, s7
	s_cbranch_vccz .LBB231_2067
; %bb.2063:
	s_cmp_eq_u32 s2, 44
	s_mov_b32 s0, -1
	s_cbranch_scc0 .LBB231_2067
; %bb.2064:
	s_wait_xcnt 0x0
	v_cvt_f32_f16_e32 v1, v12
	v_mov_b32_e32 v4, 0xff
	s_mov_b32 s6, exec_lo
	s_delay_alu instid0(VALU_DEP_2) | instskip(NEXT) | instid1(VALU_DEP_1)
	v_bfe_u32 v5, v1, 23, 8
	v_cmpx_ne_u32_e32 0xff, v5
	s_cbranch_execz .LBB231_2066
; %bb.2065:
	v_and_b32_e32 v4, 0x400000, v1
	v_and_or_b32 v5, 0x3fffff, v1, v5
	v_lshrrev_b32_e32 v1, 23, v1
	s_delay_alu instid0(VALU_DEP_3) | instskip(NEXT) | instid1(VALU_DEP_3)
	v_cmp_ne_u32_e32 vcc_lo, 0, v4
	v_cmp_ne_u32_e64 s0, 0, v5
	s_and_b32 s0, vcc_lo, s0
	s_delay_alu instid0(SALU_CYCLE_1) | instskip(NEXT) | instid1(VALU_DEP_1)
	v_cndmask_b32_e64 v4, 0, 1, s0
	v_add_nc_u32_e32 v4, v1, v4
.LBB231_2066:
	s_or_b32 exec_lo, exec_lo, s6
	s_mov_b32 s0, 0
	s_mov_b32 s6, -1
	global_store_b8 v[2:3], v4, off
.LBB231_2067:
	s_mov_b32 s7, 0
.LBB231_2068:
	s_delay_alu instid0(SALU_CYCLE_1)
	s_and_b32 vcc_lo, exec_lo, s7
	s_cbranch_vccz .LBB231_2071
; %bb.2069:
	s_cmp_eq_u32 s2, 29
	s_mov_b32 s0, -1
	s_cbranch_scc0 .LBB231_2071
; %bb.2070:
	s_wait_xcnt 0x0
	v_cvt_f32_f16_e32 v1, v12
	v_mov_b32_e32 v5, 0
	s_mov_b32 s0, 0
	s_mov_b32 s6, -1
	s_delay_alu instid0(VALU_DEP_2)
	v_cvt_u32_f32_e32 v4, v1
	global_store_b64 v[2:3], v[4:5], off
.LBB231_2071:
	s_mov_b32 s7, 0
.LBB231_2072:
	s_delay_alu instid0(SALU_CYCLE_1)
	s_and_b32 vcc_lo, exec_lo, s7
	s_cbranch_vccz .LBB231_2088
; %bb.2073:
	s_cmp_lt_i32 s2, 27
	s_mov_b32 s6, -1
	s_cbranch_scc1 .LBB231_2079
; %bb.2074:
	s_cmp_gt_i32 s2, 27
	s_cbranch_scc0 .LBB231_2076
; %bb.2075:
	s_wait_xcnt 0x0
	v_cvt_f32_f16_e32 v1, v12
	s_mov_b32 s6, 0
	s_delay_alu instid0(VALU_DEP_1)
	v_cvt_u32_f32_e32 v1, v1
	global_store_b32 v[2:3], v1, off
.LBB231_2076:
	s_and_not1_b32 vcc_lo, exec_lo, s6
	s_cbranch_vccnz .LBB231_2078
; %bb.2077:
	s_wait_xcnt 0x0
	v_cvt_u16_f16_e32 v1, v12
	global_store_b16 v[2:3], v1, off
.LBB231_2078:
	s_mov_b32 s6, 0
.LBB231_2079:
	s_delay_alu instid0(SALU_CYCLE_1)
	s_and_not1_b32 vcc_lo, exec_lo, s6
	s_cbranch_vccnz .LBB231_2087
; %bb.2080:
	s_wait_xcnt 0x0
	v_cvt_f32_f16_e32 v1, v12
	v_mov_b32_e32 v5, 0x80
	s_mov_b32 s6, exec_lo
	s_delay_alu instid0(VALU_DEP_2) | instskip(NEXT) | instid1(VALU_DEP_1)
	v_and_b32_e32 v4, 0x7fffffff, v1
	v_cmpx_gt_u32_e32 0x43800000, v4
	s_cbranch_execz .LBB231_2086
; %bb.2081:
	v_cmp_lt_u32_e32 vcc_lo, 0x3bffffff, v4
	s_mov_b32 s7, 0
                                        ; implicit-def: $vgpr4
	s_and_saveexec_b32 s11, vcc_lo
	s_delay_alu instid0(SALU_CYCLE_1)
	s_xor_b32 s11, exec_lo, s11
	s_cbranch_execz .LBB231_2263
; %bb.2082:
	v_bfe_u32 v4, v1, 20, 1
	s_mov_b32 s7, exec_lo
	s_delay_alu instid0(VALU_DEP_1) | instskip(NEXT) | instid1(VALU_DEP_1)
	v_add3_u32 v4, v1, v4, 0x487ffff
	v_lshrrev_b32_e32 v4, 20, v4
	s_and_not1_saveexec_b32 s11, s11
	s_cbranch_execnz .LBB231_2264
.LBB231_2083:
	s_or_b32 exec_lo, exec_lo, s11
	v_mov_b32_e32 v5, 0
	s_and_saveexec_b32 s11, s7
.LBB231_2084:
	v_lshrrev_b32_e32 v1, 24, v1
	s_delay_alu instid0(VALU_DEP_1)
	v_and_or_b32 v5, 0x80, v1, v4
.LBB231_2085:
	s_or_b32 exec_lo, exec_lo, s11
.LBB231_2086:
	s_delay_alu instid0(SALU_CYCLE_1)
	s_or_b32 exec_lo, exec_lo, s6
	global_store_b8 v[2:3], v5, off
.LBB231_2087:
	s_mov_b32 s6, -1
.LBB231_2088:
	s_mov_b32 s7, 0
.LBB231_2089:
	s_delay_alu instid0(SALU_CYCLE_1)
	s_and_b32 vcc_lo, exec_lo, s7
	s_cbranch_vccz .LBB231_2129
; %bb.2090:
	s_cmp_gt_i32 s2, 22
	s_mov_b32 s3, -1
	s_cbranch_scc0 .LBB231_2122
; %bb.2091:
	s_cmp_lt_i32 s2, 24
	s_cbranch_scc1 .LBB231_2111
; %bb.2092:
	s_cmp_gt_i32 s2, 24
	s_cbranch_scc0 .LBB231_2100
; %bb.2093:
	s_wait_xcnt 0x0
	v_cvt_f32_f16_e32 v1, v12
	v_mov_b32_e32 v5, 0x80
	s_mov_b32 s3, exec_lo
	s_delay_alu instid0(VALU_DEP_2) | instskip(NEXT) | instid1(VALU_DEP_1)
	v_and_b32_e32 v4, 0x7fffffff, v1
	v_cmpx_gt_u32_e32 0x47800000, v4
	s_cbranch_execz .LBB231_2099
; %bb.2094:
	v_cmp_lt_u32_e32 vcc_lo, 0x37ffffff, v4
	s_mov_b32 s6, 0
                                        ; implicit-def: $vgpr4
	s_and_saveexec_b32 s7, vcc_lo
	s_delay_alu instid0(SALU_CYCLE_1)
	s_xor_b32 s7, exec_lo, s7
	s_cbranch_execz .LBB231_2266
; %bb.2095:
	v_bfe_u32 v4, v1, 21, 1
	s_mov_b32 s6, exec_lo
	s_delay_alu instid0(VALU_DEP_1) | instskip(NEXT) | instid1(VALU_DEP_1)
	v_add3_u32 v4, v1, v4, 0x88fffff
	v_lshrrev_b32_e32 v4, 21, v4
	s_and_not1_saveexec_b32 s7, s7
	s_cbranch_execnz .LBB231_2267
.LBB231_2096:
	s_or_b32 exec_lo, exec_lo, s7
	v_mov_b32_e32 v5, 0
	s_and_saveexec_b32 s7, s6
.LBB231_2097:
	v_lshrrev_b32_e32 v1, 24, v1
	s_delay_alu instid0(VALU_DEP_1)
	v_and_or_b32 v5, 0x80, v1, v4
.LBB231_2098:
	s_or_b32 exec_lo, exec_lo, s7
.LBB231_2099:
	s_delay_alu instid0(SALU_CYCLE_1)
	s_or_b32 exec_lo, exec_lo, s3
	s_mov_b32 s3, 0
	global_store_b8 v[2:3], v5, off
.LBB231_2100:
	s_and_b32 vcc_lo, exec_lo, s3
	s_cbranch_vccz .LBB231_2110
; %bb.2101:
	s_wait_xcnt 0x0
	v_cvt_f32_f16_e32 v1, v12
	s_mov_b32 s3, exec_lo
                                        ; implicit-def: $vgpr4
	s_delay_alu instid0(VALU_DEP_1) | instskip(NEXT) | instid1(VALU_DEP_1)
	v_and_b32_e32 v5, 0x7fffffff, v1
	v_cmpx_gt_u32_e32 0x43f00000, v5
	s_xor_b32 s3, exec_lo, s3
	s_cbranch_execz .LBB231_2107
; %bb.2102:
	s_mov_b32 s6, exec_lo
                                        ; implicit-def: $vgpr4
	v_cmpx_lt_u32_e32 0x3c7fffff, v5
	s_xor_b32 s6, exec_lo, s6
; %bb.2103:
	v_bfe_u32 v4, v1, 20, 1
	s_delay_alu instid0(VALU_DEP_1) | instskip(NEXT) | instid1(VALU_DEP_1)
	v_add3_u32 v4, v1, v4, 0x407ffff
	v_and_b32_e32 v5, 0xff00000, v4
	v_lshrrev_b32_e32 v4, 20, v4
	s_delay_alu instid0(VALU_DEP_2) | instskip(NEXT) | instid1(VALU_DEP_2)
	v_cmp_ne_u32_e32 vcc_lo, 0x7f00000, v5
	v_cndmask_b32_e32 v4, 0x7e, v4, vcc_lo
; %bb.2104:
	s_and_not1_saveexec_b32 s6, s6
; %bb.2105:
	v_add_f32_e64 v4, 0x46800000, |v1|
; %bb.2106:
	s_or_b32 exec_lo, exec_lo, s6
                                        ; implicit-def: $vgpr5
.LBB231_2107:
	s_and_not1_saveexec_b32 s3, s3
; %bb.2108:
	v_mov_b32_e32 v4, 0x7f
	v_cmp_lt_u32_e32 vcc_lo, 0x7f800000, v5
	s_delay_alu instid0(VALU_DEP_2)
	v_cndmask_b32_e32 v4, 0x7e, v4, vcc_lo
; %bb.2109:
	s_or_b32 exec_lo, exec_lo, s3
	v_lshrrev_b32_e32 v1, 24, v1
	s_delay_alu instid0(VALU_DEP_1)
	v_and_or_b32 v1, 0x80, v1, v4
	global_store_b8 v[2:3], v1, off
.LBB231_2110:
	s_mov_b32 s3, 0
.LBB231_2111:
	s_delay_alu instid0(SALU_CYCLE_1)
	s_and_not1_b32 vcc_lo, exec_lo, s3
	s_cbranch_vccnz .LBB231_2121
; %bb.2112:
	s_wait_xcnt 0x0
	v_cvt_f32_f16_e32 v1, v12
	s_mov_b32 s3, exec_lo
                                        ; implicit-def: $vgpr4
	s_delay_alu instid0(VALU_DEP_1) | instskip(NEXT) | instid1(VALU_DEP_1)
	v_and_b32_e32 v5, 0x7fffffff, v1
	v_cmpx_gt_u32_e32 0x47800000, v5
	s_xor_b32 s3, exec_lo, s3
	s_cbranch_execz .LBB231_2118
; %bb.2113:
	s_mov_b32 s6, exec_lo
                                        ; implicit-def: $vgpr4
	v_cmpx_lt_u32_e32 0x387fffff, v5
	s_xor_b32 s6, exec_lo, s6
; %bb.2114:
	v_bfe_u32 v4, v1, 21, 1
	s_delay_alu instid0(VALU_DEP_1) | instskip(NEXT) | instid1(VALU_DEP_1)
	v_add3_u32 v4, v1, v4, 0x80fffff
	v_lshrrev_b32_e32 v4, 21, v4
; %bb.2115:
	s_and_not1_saveexec_b32 s6, s6
; %bb.2116:
	v_add_f32_e64 v4, 0x43000000, |v1|
; %bb.2117:
	s_or_b32 exec_lo, exec_lo, s6
                                        ; implicit-def: $vgpr5
.LBB231_2118:
	s_and_not1_saveexec_b32 s3, s3
; %bb.2119:
	v_mov_b32_e32 v4, 0x7f
	v_cmp_lt_u32_e32 vcc_lo, 0x7f800000, v5
	s_delay_alu instid0(VALU_DEP_2)
	v_cndmask_b32_e32 v4, 0x7c, v4, vcc_lo
; %bb.2120:
	s_or_b32 exec_lo, exec_lo, s3
	v_lshrrev_b32_e32 v1, 24, v1
	s_delay_alu instid0(VALU_DEP_1)
	v_and_or_b32 v1, 0x80, v1, v4
	global_store_b8 v[2:3], v1, off
.LBB231_2121:
	s_mov_b32 s3, 0
	s_mov_b32 s6, -1
.LBB231_2122:
	s_and_not1_b32 vcc_lo, exec_lo, s3
	s_mov_b32 s3, 0
	s_cbranch_vccnz .LBB231_2129
; %bb.2123:
	s_cmp_gt_i32 s2, 14
	s_mov_b32 s3, -1
	s_cbranch_scc0 .LBB231_2127
; %bb.2124:
	s_cmp_eq_u32 s2, 15
	s_mov_b32 s0, -1
	s_cbranch_scc0 .LBB231_2126
; %bb.2125:
	s_wait_xcnt 0x0
	v_cvt_f32_f16_e32 v1, v12
	v_cmp_o_f16_e32 vcc_lo, v12, v12
	s_mov_b32 s0, 0
	s_mov_b32 s6, -1
	s_delay_alu instid0(VALU_DEP_2) | instskip(NEXT) | instid1(VALU_DEP_1)
	v_bfe_u32 v4, v1, 16, 1
	v_add3_u32 v1, v1, v4, 0x7fff
	s_delay_alu instid0(VALU_DEP_1) | instskip(NEXT) | instid1(VALU_DEP_1)
	v_lshrrev_b32_e32 v1, 16, v1
	v_cndmask_b32_e32 v1, 0x7fc0, v1, vcc_lo
	global_store_b16 v[2:3], v1, off
.LBB231_2126:
	s_mov_b32 s3, 0
.LBB231_2127:
	s_delay_alu instid0(SALU_CYCLE_1)
	s_and_b32 vcc_lo, exec_lo, s3
	s_mov_b32 s3, 0
	s_cbranch_vccz .LBB231_2129
; %bb.2128:
	s_cmp_lg_u32 s2, 11
	s_mov_b32 s3, -1
	s_cselect_b32 s0, -1, 0
.LBB231_2129:
	s_delay_alu instid0(SALU_CYCLE_1)
	s_and_b32 vcc_lo, exec_lo, s0
	s_cbranch_vccnz .LBB231_2265
; %bb.2130:
	s_and_not1_b32 vcc_lo, exec_lo, s3
	s_cbranch_vccnz .LBB231_2132
.LBB231_2131:
	s_wait_xcnt 0x0
	v_and_b32_e32 v1, 0x7fff, v12
	s_mov_b32 s6, -1
	s_delay_alu instid0(VALU_DEP_1)
	v_cmp_ne_u16_e32 vcc_lo, 0, v1
	v_cndmask_b32_e64 v1, 0, 1, vcc_lo
	global_store_b8 v[2:3], v1, off
.LBB231_2132:
	s_mov_b32 s0, 0
	s_branch .LBB231_2134
.LBB231_2133:
	s_mov_b32 s0, -1
	s_mov_b32 s6, 0
.LBB231_2134:
	s_and_b32 vcc_lo, exec_lo, s0
	s_cbranch_vccz .LBB231_2173
; %bb.2135:
	s_cmp_lt_i32 s2, 5
	s_mov_b32 s0, -1
	s_cbranch_scc1 .LBB231_2156
; %bb.2136:
	s_cmp_lt_i32 s2, 8
	s_cbranch_scc1 .LBB231_2146
; %bb.2137:
	s_cmp_lt_i32 s2, 9
	s_cbranch_scc1 .LBB231_2143
; %bb.2138:
	s_cmp_gt_i32 s2, 9
	s_cbranch_scc0 .LBB231_2140
; %bb.2139:
	s_wait_xcnt 0x0
	v_cvt_f32_f16_e32 v1, v12
	v_mov_b32_e32 v6, 0
	s_mov_b32 s0, 0
	s_delay_alu instid0(VALU_DEP_2) | instskip(NEXT) | instid1(VALU_DEP_2)
	v_cvt_f64_f32_e32 v[4:5], v1
	v_mov_b32_e32 v7, v6
	global_store_b128 v[2:3], v[4:7], off
.LBB231_2140:
	s_and_not1_b32 vcc_lo, exec_lo, s0
	s_cbranch_vccnz .LBB231_2142
; %bb.2141:
	s_wait_xcnt 0x0
	v_cvt_f32_f16_e32 v4, v12
	v_mov_b32_e32 v5, 0
	global_store_b64 v[2:3], v[4:5], off
.LBB231_2142:
	s_mov_b32 s0, 0
.LBB231_2143:
	s_delay_alu instid0(SALU_CYCLE_1)
	s_and_not1_b32 vcc_lo, exec_lo, s0
	s_cbranch_vccnz .LBB231_2145
; %bb.2144:
	s_wait_xcnt 0x0
	v_and_b32_e32 v1, 0xffff, v12
	global_store_b32 v[2:3], v1, off
.LBB231_2145:
	s_mov_b32 s0, 0
.LBB231_2146:
	s_delay_alu instid0(SALU_CYCLE_1)
	s_and_not1_b32 vcc_lo, exec_lo, s0
	s_cbranch_vccnz .LBB231_2155
; %bb.2147:
	s_cmp_lt_i32 s2, 6
	s_mov_b32 s0, -1
	s_cbranch_scc1 .LBB231_2153
; %bb.2148:
	s_cmp_gt_i32 s2, 6
	s_cbranch_scc0 .LBB231_2150
; %bb.2149:
	s_wait_xcnt 0x0
	v_cvt_f32_f16_e32 v1, v12
	s_mov_b32 s0, 0
	s_delay_alu instid0(VALU_DEP_1)
	v_cvt_f64_f32_e32 v[4:5], v1
	global_store_b64 v[2:3], v[4:5], off
.LBB231_2150:
	s_and_not1_b32 vcc_lo, exec_lo, s0
	s_cbranch_vccnz .LBB231_2152
; %bb.2151:
	s_wait_xcnt 0x0
	v_cvt_f32_f16_e32 v1, v12
	global_store_b32 v[2:3], v1, off
.LBB231_2152:
	s_mov_b32 s0, 0
.LBB231_2153:
	s_delay_alu instid0(SALU_CYCLE_1)
	s_and_not1_b32 vcc_lo, exec_lo, s0
	s_cbranch_vccnz .LBB231_2155
; %bb.2154:
	global_store_b16 v[2:3], v12, off
.LBB231_2155:
	s_mov_b32 s0, 0
.LBB231_2156:
	s_delay_alu instid0(SALU_CYCLE_1)
	s_and_not1_b32 vcc_lo, exec_lo, s0
	s_cbranch_vccnz .LBB231_2172
; %bb.2157:
	s_cmp_lt_i32 s2, 2
	s_mov_b32 s0, -1
	s_cbranch_scc1 .LBB231_2167
; %bb.2158:
	s_cmp_lt_i32 s2, 3
	s_cbranch_scc1 .LBB231_2164
; %bb.2159:
	s_cmp_gt_i32 s2, 3
	s_cbranch_scc0 .LBB231_2161
; %bb.2160:
	s_wait_xcnt 0x0
	v_cvt_f32_f16_e32 v1, v12
	s_mov_b32 s0, 0
	s_delay_alu instid0(VALU_DEP_1) | instskip(NEXT) | instid1(VALU_DEP_1)
	v_cvt_i32_f32_e32 v4, v1
	v_ashrrev_i32_e32 v5, 31, v4
	global_store_b64 v[2:3], v[4:5], off
.LBB231_2161:
	s_and_not1_b32 vcc_lo, exec_lo, s0
	s_cbranch_vccnz .LBB231_2163
; %bb.2162:
	s_wait_xcnt 0x0
	v_cvt_f32_f16_e32 v1, v12
	s_delay_alu instid0(VALU_DEP_1)
	v_cvt_i32_f32_e32 v1, v1
	global_store_b32 v[2:3], v1, off
.LBB231_2163:
	s_mov_b32 s0, 0
.LBB231_2164:
	s_delay_alu instid0(SALU_CYCLE_1)
	s_and_not1_b32 vcc_lo, exec_lo, s0
	s_cbranch_vccnz .LBB231_2166
; %bb.2165:
	s_wait_xcnt 0x0
	v_cvt_i16_f16_e32 v1, v12
	global_store_b16 v[2:3], v1, off
.LBB231_2166:
	s_mov_b32 s0, 0
.LBB231_2167:
	s_delay_alu instid0(SALU_CYCLE_1)
	s_and_not1_b32 vcc_lo, exec_lo, s0
	s_cbranch_vccnz .LBB231_2172
; %bb.2168:
	s_cmp_gt_i32 s2, 0
	s_mov_b32 s0, -1
	s_cbranch_scc0 .LBB231_2170
; %bb.2169:
	s_wait_xcnt 0x0
	v_cvt_i16_f16_e32 v1, v12
	s_mov_b32 s0, 0
	global_store_b8 v[2:3], v1, off
.LBB231_2170:
	s_and_not1_b32 vcc_lo, exec_lo, s0
	s_cbranch_vccnz .LBB231_2172
; %bb.2171:
	s_wait_xcnt 0x0
	v_cvt_f32_f16_e32 v1, v12
	s_delay_alu instid0(VALU_DEP_1)
	v_cvt_i32_f32_e32 v1, v1
	global_store_b8 v[2:3], v1, off
.LBB231_2172:
	s_mov_b32 s6, -1
.LBB231_2173:
	s_delay_alu instid0(SALU_CYCLE_1)
	s_and_not1_b32 vcc_lo, exec_lo, s6
	s_cbranch_vccnz .LBB231_2250
; %bb.2174:
	s_wait_xcnt 0x0
	v_mov_b32_e32 v1, 0
	s_cmp_lt_i32 s2, 11
	s_delay_alu instid0(VALU_DEP_1)
	v_add_nc_u64_e32 v[2:3], s[4:5], v[0:1]
	s_cbranch_scc1 .LBB231_2251
; %bb.2175:
	s_mov_b32 s4, -1
	s_mov_b32 s3, 0
	s_cmp_gt_i32 s2, 25
	s_mov_b32 s0, 0
	s_cbranch_scc0 .LBB231_2208
; %bb.2176:
	s_cmp_gt_i32 s2, 28
	s_cbranch_scc0 .LBB231_2192
; %bb.2177:
	s_cmp_gt_i32 s2, 43
	;; [unrolled: 3-line block ×3, first 2 shown]
	s_cbranch_scc0 .LBB231_2182
; %bb.2179:
	s_cmp_eq_u32 s2, 46
	s_mov_b32 s0, -1
	s_cbranch_scc0 .LBB231_2181
; %bb.2180:
	v_cvt_f32_f16_e32 v0, v10
	v_cmp_o_f16_e32 vcc_lo, v10, v10
	s_mov_b32 s0, 0
	s_delay_alu instid0(VALU_DEP_2) | instskip(NEXT) | instid1(VALU_DEP_1)
	v_bfe_u32 v1, v0, 16, 1
	v_add3_u32 v0, v0, v1, 0x7fff
	s_delay_alu instid0(VALU_DEP_1) | instskip(NEXT) | instid1(VALU_DEP_1)
	v_lshrrev_b32_e32 v0, 16, v0
	v_cndmask_b32_e32 v0, 0x7fc0, v0, vcc_lo
	global_store_b32 v[2:3], v0, off
.LBB231_2181:
	s_mov_b32 s4, 0
.LBB231_2182:
	s_delay_alu instid0(SALU_CYCLE_1)
	s_and_b32 vcc_lo, exec_lo, s4
	s_cbranch_vccz .LBB231_2187
; %bb.2183:
	s_cmp_eq_u32 s2, 44
	s_mov_b32 s0, -1
	s_cbranch_scc0 .LBB231_2187
; %bb.2184:
	s_wait_xcnt 0x0
	v_cvt_f32_f16_e32 v0, v10
	v_mov_b32_e32 v1, 0xff
	s_mov_b32 s4, exec_lo
	s_delay_alu instid0(VALU_DEP_2) | instskip(NEXT) | instid1(VALU_DEP_1)
	v_bfe_u32 v4, v0, 23, 8
	v_cmpx_ne_u32_e32 0xff, v4
	s_cbranch_execz .LBB231_2186
; %bb.2185:
	v_and_b32_e32 v1, 0x400000, v0
	v_and_or_b32 v4, 0x3fffff, v0, v4
	v_lshrrev_b32_e32 v0, 23, v0
	s_delay_alu instid0(VALU_DEP_3) | instskip(NEXT) | instid1(VALU_DEP_3)
	v_cmp_ne_u32_e32 vcc_lo, 0, v1
	v_cmp_ne_u32_e64 s0, 0, v4
	s_and_b32 s0, vcc_lo, s0
	s_delay_alu instid0(SALU_CYCLE_1) | instskip(NEXT) | instid1(VALU_DEP_1)
	v_cndmask_b32_e64 v1, 0, 1, s0
	v_add_nc_u32_e32 v1, v0, v1
.LBB231_2186:
	s_or_b32 exec_lo, exec_lo, s4
	s_mov_b32 s0, 0
	global_store_b8 v[2:3], v1, off
.LBB231_2187:
	s_mov_b32 s4, 0
.LBB231_2188:
	s_delay_alu instid0(SALU_CYCLE_1)
	s_and_b32 vcc_lo, exec_lo, s4
	s_cbranch_vccz .LBB231_2191
; %bb.2189:
	s_cmp_eq_u32 s2, 29
	s_mov_b32 s0, -1
	s_cbranch_scc0 .LBB231_2191
; %bb.2190:
	s_wait_xcnt 0x0
	v_cvt_f32_f16_e32 v0, v10
	v_mov_b32_e32 v1, 0
	s_mov_b32 s0, 0
	s_delay_alu instid0(VALU_DEP_2)
	v_cvt_u32_f32_e32 v0, v0
	global_store_b64 v[2:3], v[0:1], off
.LBB231_2191:
	s_mov_b32 s4, 0
.LBB231_2192:
	s_delay_alu instid0(SALU_CYCLE_1)
	s_and_b32 vcc_lo, exec_lo, s4
	s_cbranch_vccz .LBB231_2207
; %bb.2193:
	s_cmp_lt_i32 s2, 27
	s_mov_b32 s4, -1
	s_cbranch_scc1 .LBB231_2199
; %bb.2194:
	s_cmp_gt_i32 s2, 27
	s_cbranch_scc0 .LBB231_2196
; %bb.2195:
	s_wait_xcnt 0x0
	v_cvt_f32_f16_e32 v0, v10
	s_mov_b32 s4, 0
	s_delay_alu instid0(VALU_DEP_1)
	v_cvt_u32_f32_e32 v0, v0
	global_store_b32 v[2:3], v0, off
.LBB231_2196:
	s_and_not1_b32 vcc_lo, exec_lo, s4
	s_cbranch_vccnz .LBB231_2198
; %bb.2197:
	s_wait_xcnt 0x0
	v_cvt_u16_f16_e32 v0, v10
	global_store_b16 v[2:3], v0, off
.LBB231_2198:
	s_mov_b32 s4, 0
.LBB231_2199:
	s_delay_alu instid0(SALU_CYCLE_1)
	s_and_not1_b32 vcc_lo, exec_lo, s4
	s_cbranch_vccnz .LBB231_2207
; %bb.2200:
	s_wait_xcnt 0x0
	v_cvt_f32_f16_e32 v0, v10
	v_mov_b32_e32 v4, 0x80
	s_mov_b32 s4, exec_lo
	s_delay_alu instid0(VALU_DEP_2) | instskip(NEXT) | instid1(VALU_DEP_1)
	v_and_b32_e32 v1, 0x7fffffff, v0
	v_cmpx_gt_u32_e32 0x43800000, v1
	s_cbranch_execz .LBB231_2206
; %bb.2201:
	v_cmp_lt_u32_e32 vcc_lo, 0x3bffffff, v1
	s_mov_b32 s5, 0
                                        ; implicit-def: $vgpr1
	s_and_saveexec_b32 s6, vcc_lo
	s_delay_alu instid0(SALU_CYCLE_1)
	s_xor_b32 s6, exec_lo, s6
	s_cbranch_execz .LBB231_2268
; %bb.2202:
	v_bfe_u32 v1, v0, 20, 1
	s_mov_b32 s5, exec_lo
	s_delay_alu instid0(VALU_DEP_1) | instskip(NEXT) | instid1(VALU_DEP_1)
	v_add3_u32 v1, v0, v1, 0x487ffff
	v_lshrrev_b32_e32 v1, 20, v1
	s_and_not1_saveexec_b32 s6, s6
	s_cbranch_execnz .LBB231_2269
.LBB231_2203:
	s_or_b32 exec_lo, exec_lo, s6
	v_mov_b32_e32 v4, 0
	s_and_saveexec_b32 s6, s5
.LBB231_2204:
	v_lshrrev_b32_e32 v0, 24, v0
	s_delay_alu instid0(VALU_DEP_1)
	v_and_or_b32 v4, 0x80, v0, v1
.LBB231_2205:
	s_or_b32 exec_lo, exec_lo, s6
.LBB231_2206:
	s_delay_alu instid0(SALU_CYCLE_1)
	s_or_b32 exec_lo, exec_lo, s4
	global_store_b8 v[2:3], v4, off
.LBB231_2207:
	s_mov_b32 s4, 0
.LBB231_2208:
	s_delay_alu instid0(SALU_CYCLE_1)
	s_and_b32 vcc_lo, exec_lo, s4
	s_cbranch_vccz .LBB231_2248
; %bb.2209:
	s_cmp_gt_i32 s2, 22
	s_mov_b32 s3, -1
	s_cbranch_scc0 .LBB231_2241
; %bb.2210:
	s_cmp_lt_i32 s2, 24
	s_cbranch_scc1 .LBB231_2230
; %bb.2211:
	s_cmp_gt_i32 s2, 24
	s_cbranch_scc0 .LBB231_2219
; %bb.2212:
	s_wait_xcnt 0x0
	v_cvt_f32_f16_e32 v0, v10
	v_mov_b32_e32 v4, 0x80
	s_mov_b32 s3, exec_lo
	s_delay_alu instid0(VALU_DEP_2) | instskip(NEXT) | instid1(VALU_DEP_1)
	v_and_b32_e32 v1, 0x7fffffff, v0
	v_cmpx_gt_u32_e32 0x47800000, v1
	s_cbranch_execz .LBB231_2218
; %bb.2213:
	v_cmp_lt_u32_e32 vcc_lo, 0x37ffffff, v1
	s_mov_b32 s4, 0
                                        ; implicit-def: $vgpr1
	s_and_saveexec_b32 s5, vcc_lo
	s_delay_alu instid0(SALU_CYCLE_1)
	s_xor_b32 s5, exec_lo, s5
	s_cbranch_execz .LBB231_2271
; %bb.2214:
	v_bfe_u32 v1, v0, 21, 1
	s_mov_b32 s4, exec_lo
	s_delay_alu instid0(VALU_DEP_1) | instskip(NEXT) | instid1(VALU_DEP_1)
	v_add3_u32 v1, v0, v1, 0x88fffff
	v_lshrrev_b32_e32 v1, 21, v1
	s_and_not1_saveexec_b32 s5, s5
	s_cbranch_execnz .LBB231_2272
.LBB231_2215:
	s_or_b32 exec_lo, exec_lo, s5
	v_mov_b32_e32 v4, 0
	s_and_saveexec_b32 s5, s4
.LBB231_2216:
	v_lshrrev_b32_e32 v0, 24, v0
	s_delay_alu instid0(VALU_DEP_1)
	v_and_or_b32 v4, 0x80, v0, v1
.LBB231_2217:
	s_or_b32 exec_lo, exec_lo, s5
.LBB231_2218:
	s_delay_alu instid0(SALU_CYCLE_1)
	s_or_b32 exec_lo, exec_lo, s3
	s_mov_b32 s3, 0
	global_store_b8 v[2:3], v4, off
.LBB231_2219:
	s_and_b32 vcc_lo, exec_lo, s3
	s_cbranch_vccz .LBB231_2229
; %bb.2220:
	s_wait_xcnt 0x0
	v_cvt_f32_f16_e32 v0, v10
	s_mov_b32 s3, exec_lo
                                        ; implicit-def: $vgpr1
	s_delay_alu instid0(VALU_DEP_1) | instskip(NEXT) | instid1(VALU_DEP_1)
	v_and_b32_e32 v4, 0x7fffffff, v0
	v_cmpx_gt_u32_e32 0x43f00000, v4
	s_xor_b32 s3, exec_lo, s3
	s_cbranch_execz .LBB231_2226
; %bb.2221:
	s_mov_b32 s4, exec_lo
                                        ; implicit-def: $vgpr1
	v_cmpx_lt_u32_e32 0x3c7fffff, v4
	s_xor_b32 s4, exec_lo, s4
; %bb.2222:
	v_bfe_u32 v1, v0, 20, 1
	s_delay_alu instid0(VALU_DEP_1) | instskip(NEXT) | instid1(VALU_DEP_1)
	v_add3_u32 v1, v0, v1, 0x407ffff
	v_and_b32_e32 v4, 0xff00000, v1
	v_lshrrev_b32_e32 v1, 20, v1
	s_delay_alu instid0(VALU_DEP_2) | instskip(NEXT) | instid1(VALU_DEP_2)
	v_cmp_ne_u32_e32 vcc_lo, 0x7f00000, v4
	v_cndmask_b32_e32 v1, 0x7e, v1, vcc_lo
; %bb.2223:
	s_and_not1_saveexec_b32 s4, s4
; %bb.2224:
	v_add_f32_e64 v1, 0x46800000, |v0|
; %bb.2225:
	s_or_b32 exec_lo, exec_lo, s4
                                        ; implicit-def: $vgpr4
.LBB231_2226:
	s_and_not1_saveexec_b32 s3, s3
; %bb.2227:
	v_mov_b32_e32 v1, 0x7f
	v_cmp_lt_u32_e32 vcc_lo, 0x7f800000, v4
	s_delay_alu instid0(VALU_DEP_2)
	v_cndmask_b32_e32 v1, 0x7e, v1, vcc_lo
; %bb.2228:
	s_or_b32 exec_lo, exec_lo, s3
	v_lshrrev_b32_e32 v0, 24, v0
	s_delay_alu instid0(VALU_DEP_1)
	v_and_or_b32 v0, 0x80, v0, v1
	global_store_b8 v[2:3], v0, off
.LBB231_2229:
	s_mov_b32 s3, 0
.LBB231_2230:
	s_delay_alu instid0(SALU_CYCLE_1)
	s_and_not1_b32 vcc_lo, exec_lo, s3
	s_cbranch_vccnz .LBB231_2240
; %bb.2231:
	s_wait_xcnt 0x0
	v_cvt_f32_f16_e32 v0, v10
	s_mov_b32 s3, exec_lo
                                        ; implicit-def: $vgpr1
	s_delay_alu instid0(VALU_DEP_1) | instskip(NEXT) | instid1(VALU_DEP_1)
	v_and_b32_e32 v4, 0x7fffffff, v0
	v_cmpx_gt_u32_e32 0x47800000, v4
	s_xor_b32 s3, exec_lo, s3
	s_cbranch_execz .LBB231_2237
; %bb.2232:
	s_mov_b32 s4, exec_lo
                                        ; implicit-def: $vgpr1
	v_cmpx_lt_u32_e32 0x387fffff, v4
	s_xor_b32 s4, exec_lo, s4
; %bb.2233:
	v_bfe_u32 v1, v0, 21, 1
	s_delay_alu instid0(VALU_DEP_1) | instskip(NEXT) | instid1(VALU_DEP_1)
	v_add3_u32 v1, v0, v1, 0x80fffff
	v_lshrrev_b32_e32 v1, 21, v1
; %bb.2234:
	s_and_not1_saveexec_b32 s4, s4
; %bb.2235:
	v_add_f32_e64 v1, 0x43000000, |v0|
; %bb.2236:
	s_or_b32 exec_lo, exec_lo, s4
                                        ; implicit-def: $vgpr4
.LBB231_2237:
	s_and_not1_saveexec_b32 s3, s3
; %bb.2238:
	v_mov_b32_e32 v1, 0x7f
	v_cmp_lt_u32_e32 vcc_lo, 0x7f800000, v4
	s_delay_alu instid0(VALU_DEP_2)
	v_cndmask_b32_e32 v1, 0x7c, v1, vcc_lo
; %bb.2239:
	s_or_b32 exec_lo, exec_lo, s3
	v_lshrrev_b32_e32 v0, 24, v0
	s_delay_alu instid0(VALU_DEP_1)
	v_and_or_b32 v0, 0x80, v0, v1
	global_store_b8 v[2:3], v0, off
.LBB231_2240:
	s_mov_b32 s3, 0
.LBB231_2241:
	s_delay_alu instid0(SALU_CYCLE_1)
	s_and_not1_b32 vcc_lo, exec_lo, s3
	s_mov_b32 s3, 0
	s_cbranch_vccnz .LBB231_2248
; %bb.2242:
	s_cmp_gt_i32 s2, 14
	s_mov_b32 s3, -1
	s_cbranch_scc0 .LBB231_2246
; %bb.2243:
	s_cmp_eq_u32 s2, 15
	s_mov_b32 s0, -1
	s_cbranch_scc0 .LBB231_2245
; %bb.2244:
	s_wait_xcnt 0x0
	v_cvt_f32_f16_e32 v0, v10
	v_cmp_o_f16_e32 vcc_lo, v10, v10
	s_mov_b32 s0, 0
	s_delay_alu instid0(VALU_DEP_2) | instskip(NEXT) | instid1(VALU_DEP_1)
	v_bfe_u32 v1, v0, 16, 1
	v_add3_u32 v0, v0, v1, 0x7fff
	s_delay_alu instid0(VALU_DEP_1) | instskip(NEXT) | instid1(VALU_DEP_1)
	v_lshrrev_b32_e32 v0, 16, v0
	v_cndmask_b32_e32 v0, 0x7fc0, v0, vcc_lo
	global_store_b16 v[2:3], v0, off
.LBB231_2245:
	s_mov_b32 s3, 0
.LBB231_2246:
	s_delay_alu instid0(SALU_CYCLE_1)
	s_and_b32 vcc_lo, exec_lo, s3
	s_mov_b32 s3, 0
	s_cbranch_vccz .LBB231_2248
; %bb.2247:
	s_cmp_lg_u32 s2, 11
	s_mov_b32 s3, -1
	s_cselect_b32 s0, -1, 0
.LBB231_2248:
	s_delay_alu instid0(SALU_CYCLE_1)
	s_and_b32 vcc_lo, exec_lo, s0
	s_cbranch_vccnz .LBB231_2270
.LBB231_2249:
	s_mov_b32 s0, 0
	s_branch .LBB231_1764
.LBB231_2250:
	s_mov_b32 s0, 0
	s_mov_b32 s3, 0
                                        ; implicit-def: $vgpr2_vgpr3
                                        ; implicit-def: $sgpr1
	s_branch .LBB231_1764
.LBB231_2251:
	s_mov_b32 s3, 0
	s_mov_b32 s0, -1
	s_branch .LBB231_1764
.LBB231_2252:
	s_or_b32 s10, s10, exec_lo
	s_trap 2
	s_cbranch_execz .LBB231_1707
	s_branch .LBB231_1708
.LBB231_2253:
	s_and_not1_saveexec_b32 s11, s11
	s_cbranch_execz .LBB231_1843
.LBB231_2254:
	v_add_f32_e64 v8, 0x46000000, |v5|
	s_and_not1_b32 s7, s7, exec_lo
	s_delay_alu instid0(VALU_DEP_1) | instskip(NEXT) | instid1(VALU_DEP_1)
	v_and_b32_e32 v8, 0xff, v8
	v_cmp_ne_u32_e32 vcc_lo, 0, v8
	s_and_b32 s12, vcc_lo, exec_lo
	s_delay_alu instid0(SALU_CYCLE_1)
	s_or_b32 s7, s7, s12
	s_or_b32 exec_lo, exec_lo, s11
	v_mov_b32_e32 v9, 0
	s_and_saveexec_b32 s11, s7
	s_cbranch_execnz .LBB231_1844
	s_branch .LBB231_1845
.LBB231_2255:
	s_or_b32 s10, s10, exec_lo
	s_trap 2
	s_cbranch_execz .LBB231_1891
	s_branch .LBB231_1892
.LBB231_2256:
	s_and_not1_saveexec_b32 s7, s7
	s_cbranch_execz .LBB231_1856
.LBB231_2257:
	v_add_f32_e64 v8, 0x42800000, |v5|
	s_and_not1_b32 s6, s6, exec_lo
	s_delay_alu instid0(VALU_DEP_1) | instskip(NEXT) | instid1(VALU_DEP_1)
	v_and_b32_e32 v8, 0xff, v8
	v_cmp_ne_u32_e32 vcc_lo, 0, v8
	s_and_b32 s11, vcc_lo, exec_lo
	s_delay_alu instid0(SALU_CYCLE_1)
	s_or_b32 s6, s6, s11
	s_or_b32 exec_lo, exec_lo, s7
	v_mov_b32_e32 v9, 0
	s_and_saveexec_b32 s7, s6
	s_cbranch_execnz .LBB231_1857
	s_branch .LBB231_1858
.LBB231_2258:
	s_and_not1_saveexec_b32 s11, s11
	s_cbranch_execz .LBB231_1964
.LBB231_2259:
	v_add_f32_e64 v6, 0x46000000, |v1|
	s_and_not1_b32 s7, s7, exec_lo
	s_delay_alu instid0(VALU_DEP_1) | instskip(NEXT) | instid1(VALU_DEP_1)
	v_and_b32_e32 v6, 0xff, v6
	v_cmp_ne_u32_e32 vcc_lo, 0, v6
	s_and_b32 s12, vcc_lo, exec_lo
	s_delay_alu instid0(SALU_CYCLE_1)
	s_or_b32 s7, s7, s12
	s_or_b32 exec_lo, exec_lo, s11
	v_mov_b32_e32 v7, 0
	s_and_saveexec_b32 s11, s7
	s_cbranch_execnz .LBB231_1965
	s_branch .LBB231_1966
.LBB231_2260:
	s_or_b32 s10, s10, exec_lo
	s_trap 2
	s_cbranch_execz .LBB231_2012
	s_branch .LBB231_2013
.LBB231_2261:
	s_and_not1_saveexec_b32 s7, s7
	s_cbranch_execz .LBB231_1977
.LBB231_2262:
	v_add_f32_e64 v6, 0x42800000, |v1|
	s_and_not1_b32 s6, s6, exec_lo
	s_delay_alu instid0(VALU_DEP_1) | instskip(NEXT) | instid1(VALU_DEP_1)
	v_and_b32_e32 v6, 0xff, v6
	v_cmp_ne_u32_e32 vcc_lo, 0, v6
	s_and_b32 s11, vcc_lo, exec_lo
	s_delay_alu instid0(SALU_CYCLE_1)
	s_or_b32 s6, s6, s11
	s_or_b32 exec_lo, exec_lo, s7
	v_mov_b32_e32 v7, 0
	s_and_saveexec_b32 s7, s6
	s_cbranch_execnz .LBB231_1978
	s_branch .LBB231_1979
.LBB231_2263:
	s_and_not1_saveexec_b32 s11, s11
	s_cbranch_execz .LBB231_2083
.LBB231_2264:
	v_add_f32_e64 v4, 0x46000000, |v1|
	s_and_not1_b32 s7, s7, exec_lo
	s_delay_alu instid0(VALU_DEP_1) | instskip(NEXT) | instid1(VALU_DEP_1)
	v_and_b32_e32 v4, 0xff, v4
	v_cmp_ne_u32_e32 vcc_lo, 0, v4
	s_and_b32 s12, vcc_lo, exec_lo
	s_delay_alu instid0(SALU_CYCLE_1)
	s_or_b32 s7, s7, s12
	s_or_b32 exec_lo, exec_lo, s11
	v_mov_b32_e32 v5, 0
	s_and_saveexec_b32 s11, s7
	s_cbranch_execnz .LBB231_2084
	s_branch .LBB231_2085
.LBB231_2265:
	s_or_b32 s10, s10, exec_lo
	s_trap 2
	s_cbranch_execz .LBB231_2131
	s_branch .LBB231_2132
.LBB231_2266:
	s_and_not1_saveexec_b32 s7, s7
	s_cbranch_execz .LBB231_2096
.LBB231_2267:
	v_add_f32_e64 v4, 0x42800000, |v1|
	s_and_not1_b32 s6, s6, exec_lo
	s_delay_alu instid0(VALU_DEP_1) | instskip(NEXT) | instid1(VALU_DEP_1)
	v_and_b32_e32 v4, 0xff, v4
	v_cmp_ne_u32_e32 vcc_lo, 0, v4
	s_and_b32 s11, vcc_lo, exec_lo
	s_delay_alu instid0(SALU_CYCLE_1)
	s_or_b32 s6, s6, s11
	s_or_b32 exec_lo, exec_lo, s7
	v_mov_b32_e32 v5, 0
	s_and_saveexec_b32 s7, s6
	s_cbranch_execnz .LBB231_2097
	s_branch .LBB231_2098
.LBB231_2268:
	s_and_not1_saveexec_b32 s6, s6
	s_cbranch_execz .LBB231_2203
.LBB231_2269:
	v_add_f32_e64 v1, 0x46000000, |v0|
	s_and_not1_b32 s5, s5, exec_lo
	s_delay_alu instid0(VALU_DEP_1) | instskip(NEXT) | instid1(VALU_DEP_1)
	v_and_b32_e32 v1, 0xff, v1
	v_cmp_ne_u32_e32 vcc_lo, 0, v1
	s_and_b32 s7, vcc_lo, exec_lo
	s_delay_alu instid0(SALU_CYCLE_1)
	s_or_b32 s5, s5, s7
	s_or_b32 exec_lo, exec_lo, s6
	v_mov_b32_e32 v4, 0
	s_and_saveexec_b32 s6, s5
	s_cbranch_execnz .LBB231_2204
	s_branch .LBB231_2205
.LBB231_2270:
	s_mov_b32 s3, 0
	s_or_b32 s10, s10, exec_lo
	s_trap 2
	s_branch .LBB231_2249
.LBB231_2271:
	s_and_not1_saveexec_b32 s5, s5
	s_cbranch_execz .LBB231_2215
.LBB231_2272:
	v_add_f32_e64 v1, 0x42800000, |v0|
	s_and_not1_b32 s4, s4, exec_lo
	s_delay_alu instid0(VALU_DEP_1) | instskip(NEXT) | instid1(VALU_DEP_1)
	v_and_b32_e32 v1, 0xff, v1
	v_cmp_ne_u32_e32 vcc_lo, 0, v1
	s_and_b32 s6, vcc_lo, exec_lo
	s_delay_alu instid0(SALU_CYCLE_1)
	s_or_b32 s4, s4, s6
	s_or_b32 exec_lo, exec_lo, s5
	v_mov_b32_e32 v4, 0
	s_and_saveexec_b32 s5, s4
	s_cbranch_execnz .LBB231_2216
	s_branch .LBB231_2217
	.section	.rodata,"a",@progbits
	.p2align	6, 0x0
	.amdhsa_kernel _ZN2at6native32elementwise_kernel_manual_unrollILi128ELi4EZNS0_15gpu_kernel_implIZZZNS0_12_GLOBAL__N_119launch_clamp_scalarERNS_18TensorIteratorBaseEN3c106ScalarES7_NS0_6detail11ClampLimitsEENKUlvE_clEvENKUlvE6_clEvEUlNS6_4HalfEE_EEvS5_RKT_EUlibE0_EEviT1_
		.amdhsa_group_segment_fixed_size 0
		.amdhsa_private_segment_fixed_size 0
		.amdhsa_kernarg_size 368
		.amdhsa_user_sgpr_count 2
		.amdhsa_user_sgpr_dispatch_ptr 0
		.amdhsa_user_sgpr_queue_ptr 0
		.amdhsa_user_sgpr_kernarg_segment_ptr 1
		.amdhsa_user_sgpr_dispatch_id 0
		.amdhsa_user_sgpr_kernarg_preload_length 0
		.amdhsa_user_sgpr_kernarg_preload_offset 0
		.amdhsa_user_sgpr_private_segment_size 0
		.amdhsa_wavefront_size32 1
		.amdhsa_uses_dynamic_stack 0
		.amdhsa_enable_private_segment 0
		.amdhsa_system_sgpr_workgroup_id_x 1
		.amdhsa_system_sgpr_workgroup_id_y 0
		.amdhsa_system_sgpr_workgroup_id_z 0
		.amdhsa_system_sgpr_workgroup_info 0
		.amdhsa_system_vgpr_workitem_id 0
		.amdhsa_next_free_vgpr 18
		.amdhsa_next_free_sgpr 72
		.amdhsa_named_barrier_count 0
		.amdhsa_reserve_vcc 1
		.amdhsa_float_round_mode_32 0
		.amdhsa_float_round_mode_16_64 0
		.amdhsa_float_denorm_mode_32 3
		.amdhsa_float_denorm_mode_16_64 3
		.amdhsa_fp16_overflow 0
		.amdhsa_memory_ordered 1
		.amdhsa_forward_progress 1
		.amdhsa_inst_pref_size 255
		.amdhsa_round_robin_scheduling 0
		.amdhsa_exception_fp_ieee_invalid_op 0
		.amdhsa_exception_fp_denorm_src 0
		.amdhsa_exception_fp_ieee_div_zero 0
		.amdhsa_exception_fp_ieee_overflow 0
		.amdhsa_exception_fp_ieee_underflow 0
		.amdhsa_exception_fp_ieee_inexact 0
		.amdhsa_exception_int_div_zero 0
	.end_amdhsa_kernel
	.section	.text._ZN2at6native32elementwise_kernel_manual_unrollILi128ELi4EZNS0_15gpu_kernel_implIZZZNS0_12_GLOBAL__N_119launch_clamp_scalarERNS_18TensorIteratorBaseEN3c106ScalarES7_NS0_6detail11ClampLimitsEENKUlvE_clEvENKUlvE6_clEvEUlNS6_4HalfEE_EEvS5_RKT_EUlibE0_EEviT1_,"axG",@progbits,_ZN2at6native32elementwise_kernel_manual_unrollILi128ELi4EZNS0_15gpu_kernel_implIZZZNS0_12_GLOBAL__N_119launch_clamp_scalarERNS_18TensorIteratorBaseEN3c106ScalarES7_NS0_6detail11ClampLimitsEENKUlvE_clEvENKUlvE6_clEvEUlNS6_4HalfEE_EEvS5_RKT_EUlibE0_EEviT1_,comdat
.Lfunc_end231:
	.size	_ZN2at6native32elementwise_kernel_manual_unrollILi128ELi4EZNS0_15gpu_kernel_implIZZZNS0_12_GLOBAL__N_119launch_clamp_scalarERNS_18TensorIteratorBaseEN3c106ScalarES7_NS0_6detail11ClampLimitsEENKUlvE_clEvENKUlvE6_clEvEUlNS6_4HalfEE_EEvS5_RKT_EUlibE0_EEviT1_, .Lfunc_end231-_ZN2at6native32elementwise_kernel_manual_unrollILi128ELi4EZNS0_15gpu_kernel_implIZZZNS0_12_GLOBAL__N_119launch_clamp_scalarERNS_18TensorIteratorBaseEN3c106ScalarES7_NS0_6detail11ClampLimitsEENKUlvE_clEvENKUlvE6_clEvEUlNS6_4HalfEE_EEvS5_RKT_EUlibE0_EEviT1_
                                        ; -- End function
	.set _ZN2at6native32elementwise_kernel_manual_unrollILi128ELi4EZNS0_15gpu_kernel_implIZZZNS0_12_GLOBAL__N_119launch_clamp_scalarERNS_18TensorIteratorBaseEN3c106ScalarES7_NS0_6detail11ClampLimitsEENKUlvE_clEvENKUlvE6_clEvEUlNS6_4HalfEE_EEvS5_RKT_EUlibE0_EEviT1_.num_vgpr, 18
	.set _ZN2at6native32elementwise_kernel_manual_unrollILi128ELi4EZNS0_15gpu_kernel_implIZZZNS0_12_GLOBAL__N_119launch_clamp_scalarERNS_18TensorIteratorBaseEN3c106ScalarES7_NS0_6detail11ClampLimitsEENKUlvE_clEvENKUlvE6_clEvEUlNS6_4HalfEE_EEvS5_RKT_EUlibE0_EEviT1_.num_agpr, 0
	.set _ZN2at6native32elementwise_kernel_manual_unrollILi128ELi4EZNS0_15gpu_kernel_implIZZZNS0_12_GLOBAL__N_119launch_clamp_scalarERNS_18TensorIteratorBaseEN3c106ScalarES7_NS0_6detail11ClampLimitsEENKUlvE_clEvENKUlvE6_clEvEUlNS6_4HalfEE_EEvS5_RKT_EUlibE0_EEviT1_.numbered_sgpr, 72
	.set _ZN2at6native32elementwise_kernel_manual_unrollILi128ELi4EZNS0_15gpu_kernel_implIZZZNS0_12_GLOBAL__N_119launch_clamp_scalarERNS_18TensorIteratorBaseEN3c106ScalarES7_NS0_6detail11ClampLimitsEENKUlvE_clEvENKUlvE6_clEvEUlNS6_4HalfEE_EEvS5_RKT_EUlibE0_EEviT1_.num_named_barrier, 0
	.set _ZN2at6native32elementwise_kernel_manual_unrollILi128ELi4EZNS0_15gpu_kernel_implIZZZNS0_12_GLOBAL__N_119launch_clamp_scalarERNS_18TensorIteratorBaseEN3c106ScalarES7_NS0_6detail11ClampLimitsEENKUlvE_clEvENKUlvE6_clEvEUlNS6_4HalfEE_EEvS5_RKT_EUlibE0_EEviT1_.private_seg_size, 0
	.set _ZN2at6native32elementwise_kernel_manual_unrollILi128ELi4EZNS0_15gpu_kernel_implIZZZNS0_12_GLOBAL__N_119launch_clamp_scalarERNS_18TensorIteratorBaseEN3c106ScalarES7_NS0_6detail11ClampLimitsEENKUlvE_clEvENKUlvE6_clEvEUlNS6_4HalfEE_EEvS5_RKT_EUlibE0_EEviT1_.uses_vcc, 1
	.set _ZN2at6native32elementwise_kernel_manual_unrollILi128ELi4EZNS0_15gpu_kernel_implIZZZNS0_12_GLOBAL__N_119launch_clamp_scalarERNS_18TensorIteratorBaseEN3c106ScalarES7_NS0_6detail11ClampLimitsEENKUlvE_clEvENKUlvE6_clEvEUlNS6_4HalfEE_EEvS5_RKT_EUlibE0_EEviT1_.uses_flat_scratch, 0
	.set _ZN2at6native32elementwise_kernel_manual_unrollILi128ELi4EZNS0_15gpu_kernel_implIZZZNS0_12_GLOBAL__N_119launch_clamp_scalarERNS_18TensorIteratorBaseEN3c106ScalarES7_NS0_6detail11ClampLimitsEENKUlvE_clEvENKUlvE6_clEvEUlNS6_4HalfEE_EEvS5_RKT_EUlibE0_EEviT1_.has_dyn_sized_stack, 0
	.set _ZN2at6native32elementwise_kernel_manual_unrollILi128ELi4EZNS0_15gpu_kernel_implIZZZNS0_12_GLOBAL__N_119launch_clamp_scalarERNS_18TensorIteratorBaseEN3c106ScalarES7_NS0_6detail11ClampLimitsEENKUlvE_clEvENKUlvE6_clEvEUlNS6_4HalfEE_EEvS5_RKT_EUlibE0_EEviT1_.has_recursion, 0
	.set _ZN2at6native32elementwise_kernel_manual_unrollILi128ELi4EZNS0_15gpu_kernel_implIZZZNS0_12_GLOBAL__N_119launch_clamp_scalarERNS_18TensorIteratorBaseEN3c106ScalarES7_NS0_6detail11ClampLimitsEENKUlvE_clEvENKUlvE6_clEvEUlNS6_4HalfEE_EEvS5_RKT_EUlibE0_EEviT1_.has_indirect_call, 0
	.section	.AMDGPU.csdata,"",@progbits
; Kernel info:
; codeLenInByte = 49028
; TotalNumSgprs: 74
; NumVgprs: 18
; ScratchSize: 0
; MemoryBound: 0
; FloatMode: 240
; IeeeMode: 1
; LDSByteSize: 0 bytes/workgroup (compile time only)
; SGPRBlocks: 0
; VGPRBlocks: 1
; NumSGPRsForWavesPerEU: 74
; NumVGPRsForWavesPerEU: 18
; NamedBarCnt: 0
; Occupancy: 16
; WaveLimiterHint : 1
; COMPUTE_PGM_RSRC2:SCRATCH_EN: 0
; COMPUTE_PGM_RSRC2:USER_SGPR: 2
; COMPUTE_PGM_RSRC2:TRAP_HANDLER: 0
; COMPUTE_PGM_RSRC2:TGID_X_EN: 1
; COMPUTE_PGM_RSRC2:TGID_Y_EN: 0
; COMPUTE_PGM_RSRC2:TGID_Z_EN: 0
; COMPUTE_PGM_RSRC2:TIDIG_COMP_CNT: 0
	.section	.text._ZN2at6native29vectorized_elementwise_kernelILi16EZZZNS0_12_GLOBAL__N_119launch_clamp_scalarERNS_18TensorIteratorBaseEN3c106ScalarES6_NS0_6detail11ClampLimitsEENKUlvE_clEvENKUlvE7_clEvEUlNS5_8BFloat16EE_St5arrayIPcLm2EEEEviT0_T1_,"axG",@progbits,_ZN2at6native29vectorized_elementwise_kernelILi16EZZZNS0_12_GLOBAL__N_119launch_clamp_scalarERNS_18TensorIteratorBaseEN3c106ScalarES6_NS0_6detail11ClampLimitsEENKUlvE_clEvENKUlvE7_clEvEUlNS5_8BFloat16EE_St5arrayIPcLm2EEEEviT0_T1_,comdat
	.globl	_ZN2at6native29vectorized_elementwise_kernelILi16EZZZNS0_12_GLOBAL__N_119launch_clamp_scalarERNS_18TensorIteratorBaseEN3c106ScalarES6_NS0_6detail11ClampLimitsEENKUlvE_clEvENKUlvE7_clEvEUlNS5_8BFloat16EE_St5arrayIPcLm2EEEEviT0_T1_ ; -- Begin function _ZN2at6native29vectorized_elementwise_kernelILi16EZZZNS0_12_GLOBAL__N_119launch_clamp_scalarERNS_18TensorIteratorBaseEN3c106ScalarES6_NS0_6detail11ClampLimitsEENKUlvE_clEvENKUlvE7_clEvEUlNS5_8BFloat16EE_St5arrayIPcLm2EEEEviT0_T1_
	.p2align	8
	.type	_ZN2at6native29vectorized_elementwise_kernelILi16EZZZNS0_12_GLOBAL__N_119launch_clamp_scalarERNS_18TensorIteratorBaseEN3c106ScalarES6_NS0_6detail11ClampLimitsEENKUlvE_clEvENKUlvE7_clEvEUlNS5_8BFloat16EE_St5arrayIPcLm2EEEEviT0_T1_,@function
_ZN2at6native29vectorized_elementwise_kernelILi16EZZZNS0_12_GLOBAL__N_119launch_clamp_scalarERNS_18TensorIteratorBaseEN3c106ScalarES6_NS0_6detail11ClampLimitsEENKUlvE_clEvENKUlvE7_clEvEUlNS5_8BFloat16EE_St5arrayIPcLm2EEEEviT0_T1_: ; @_ZN2at6native29vectorized_elementwise_kernelILi16EZZZNS0_12_GLOBAL__N_119launch_clamp_scalarERNS_18TensorIteratorBaseEN3c106ScalarES6_NS0_6detail11ClampLimitsEENKUlvE_clEvENKUlvE7_clEvEUlNS5_8BFloat16EE_St5arrayIPcLm2EEEEviT0_T1_
; %bb.0:
	s_load_b256 s[4:11], s[0:1], 0x0
	s_wait_xcnt 0x0
	s_bfe_u32 s0, ttmp6, 0x4000c
	s_and_b32 s1, ttmp6, 15
	s_add_co_i32 s0, s0, 1
	s_getreg_b32 s2, hwreg(HW_REG_IB_STS2, 6, 4)
	s_mul_i32 s0, ttmp9, s0
	s_delay_alu instid0(SALU_CYCLE_1) | instskip(SKIP_2) | instid1(SALU_CYCLE_1)
	s_add_co_i32 s1, s1, s0
	s_cmp_eq_u32 s2, 0
	s_cselect_b32 s0, ttmp9, s1
	s_lshl_b32 s2, s0, 11
	s_mov_b32 s0, -1
	s_wait_kmcnt 0x0
	s_sub_co_i32 s4, s4, s2
	s_delay_alu instid0(SALU_CYCLE_1)
	s_cmp_gt_i32 s4, 0x7ff
	s_cbranch_scc0 .LBB232_97
; %bb.1:
	s_ashr_i32 s3, s2, 31
	s_delay_alu instid0(SALU_CYCLE_1)
	s_lshl_b64 s[0:1], s[2:3], 1
	s_mov_b32 s3, exec_lo
	s_add_nc_u64 s[12:13], s[10:11], s[0:1]
	global_load_b128 v[2:5], v0, s[12:13] scale_offset
	s_wait_loadcnt 0x0
	v_dual_mov_b32 v1, v2 :: v_dual_lshlrev_b32 v6, 16, v2
	s_delay_alu instid0(VALU_DEP_1)
	v_cmpx_o_f32_e32 v6, v6
	s_cbranch_execz .LBB232_12
; %bb.2:
	s_cmp_lt_i32 s5, 1
	s_mov_b32 s12, 0
	s_cbranch_scc1 .LBB232_5
; %bb.3:
	s_cmp_eq_u32 s5, 1
	s_cbranch_scc0 .LBB232_6
; %bb.4:
	v_max_num_f32_e64 v1, s6, s6
	v_max_num_f32_e32 v7, v6, v6
	s_mov_b32 s13, 0
	s_delay_alu instid0(VALU_DEP_1) | instskip(NEXT) | instid1(VALU_DEP_1)
	v_min_num_f32_e32 v1, v7, v1
	v_bfe_u32 v7, v1, 16, 1
	s_delay_alu instid0(VALU_DEP_1) | instskip(NEXT) | instid1(VALU_DEP_1)
	v_add3_u32 v1, v1, v7, 0x7fff
	v_lshrrev_b32_e32 v1, 16, v1
	s_branch .LBB232_7
.LBB232_5:
	s_mov_b32 s13, 0
                                        ; implicit-def: $vgpr1
	s_cbranch_execnz .LBB232_8
	s_branch .LBB232_9
.LBB232_6:
	s_mov_b32 s13, -1
                                        ; implicit-def: $vgpr1
.LBB232_7:
	s_branch .LBB232_9
.LBB232_8:
	s_cmp_lg_u32 s5, 0
	s_mov_b32 s12, -1
	s_cselect_b32 s13, -1, 0
.LBB232_9:
	v_max_num_f32_e32 v6, v6, v6
	s_and_not1_b32 vcc_lo, exec_lo, s13
	s_cbranch_vccz .LBB232_16
; %bb.10:
	s_and_not1_b32 vcc_lo, exec_lo, s12
	s_cbranch_vccnz .LBB232_12
.LBB232_11:
	v_max_num_f32_e64 v1, s6, s6
	s_delay_alu instid0(VALU_DEP_1) | instskip(NEXT) | instid1(VALU_DEP_1)
	v_max_num_f32_e32 v1, v6, v1
	v_bfe_u32 v6, v1, 16, 1
	s_delay_alu instid0(VALU_DEP_1) | instskip(NEXT) | instid1(VALU_DEP_1)
	v_add3_u32 v1, v1, v6, 0x7fff
	v_lshrrev_b32_e32 v1, 16, v1
.LBB232_12:
	s_or_b32 exec_lo, exec_lo, s3
	v_and_b32_e32 v6, 0xffff0000, v2
	v_lshrrev_b32_e32 v2, 16, v2
	s_mov_b32 s3, exec_lo
	s_delay_alu instid0(VALU_DEP_2)
	v_cmpx_o_f32_e32 v6, v6
	s_cbranch_execz .LBB232_24
; %bb.13:
	s_cmp_lt_i32 s5, 1
	s_mov_b32 s12, 0
	s_cbranch_scc1 .LBB232_17
; %bb.14:
	s_cmp_eq_u32 s5, 1
	s_cbranch_scc0 .LBB232_18
; %bb.15:
	v_max_num_f32_e64 v2, s6, s6
	v_max_num_f32_e32 v7, v6, v6
	s_mov_b32 s13, 0
	s_delay_alu instid0(VALU_DEP_1) | instskip(NEXT) | instid1(VALU_DEP_1)
	v_min_num_f32_e32 v2, v7, v2
	v_bfe_u32 v7, v2, 16, 1
	s_delay_alu instid0(VALU_DEP_1) | instskip(NEXT) | instid1(VALU_DEP_1)
	v_add3_u32 v2, v2, v7, 0x7fff
	v_lshrrev_b32_e32 v2, 16, v2
	s_branch .LBB232_19
.LBB232_16:
	v_max_num_f32_e64 v1, s6, s6
	v_max_num_f32_e64 v7, s7, s7
	s_delay_alu instid0(VALU_DEP_1) | instskip(NEXT) | instid1(VALU_DEP_1)
	v_maxmin_num_f32 v1, v6, v1, v7
	v_bfe_u32 v7, v1, 16, 1
	s_delay_alu instid0(VALU_DEP_1) | instskip(NEXT) | instid1(VALU_DEP_1)
	v_add3_u32 v1, v1, v7, 0x7fff
	v_lshrrev_b32_e32 v1, 16, v1
	s_cbranch_execz .LBB232_11
	s_branch .LBB232_12
.LBB232_17:
	s_mov_b32 s13, 0
                                        ; implicit-def: $vgpr2
	s_cbranch_execnz .LBB232_20
	s_branch .LBB232_21
.LBB232_18:
	s_mov_b32 s13, -1
                                        ; implicit-def: $vgpr2
.LBB232_19:
	s_branch .LBB232_21
.LBB232_20:
	s_cmp_lg_u32 s5, 0
	s_mov_b32 s12, -1
	s_cselect_b32 s13, -1, 0
.LBB232_21:
	v_max_num_f32_e32 v6, v6, v6
	s_and_not1_b32 vcc_lo, exec_lo, s13
	s_cbranch_vccz .LBB232_28
; %bb.22:
	s_and_not1_b32 vcc_lo, exec_lo, s12
	s_cbranch_vccnz .LBB232_24
.LBB232_23:
	v_max_num_f32_e64 v2, s6, s6
	s_delay_alu instid0(VALU_DEP_1) | instskip(NEXT) | instid1(VALU_DEP_1)
	v_max_num_f32_e32 v2, v6, v2
	v_bfe_u32 v6, v2, 16, 1
	s_delay_alu instid0(VALU_DEP_1) | instskip(NEXT) | instid1(VALU_DEP_1)
	v_add3_u32 v2, v2, v6, 0x7fff
	v_lshrrev_b32_e32 v2, 16, v2
.LBB232_24:
	s_or_b32 exec_lo, exec_lo, s3
	v_dual_mov_b32 v6, v3 :: v_dual_lshlrev_b32 v7, 16, v3
	s_mov_b32 s3, exec_lo
	s_delay_alu instid0(VALU_DEP_1)
	v_cmpx_o_f32_e32 v7, v7
	s_cbranch_execz .LBB232_36
; %bb.25:
	s_cmp_lt_i32 s5, 1
	s_mov_b32 s12, 0
	s_cbranch_scc1 .LBB232_29
; %bb.26:
	s_cmp_eq_u32 s5, 1
	s_cbranch_scc0 .LBB232_30
; %bb.27:
	v_max_num_f32_e64 v6, s6, s6
	v_max_num_f32_e32 v8, v7, v7
	s_mov_b32 s13, 0
	s_delay_alu instid0(VALU_DEP_1) | instskip(NEXT) | instid1(VALU_DEP_1)
	v_min_num_f32_e32 v6, v8, v6
	v_bfe_u32 v8, v6, 16, 1
	s_delay_alu instid0(VALU_DEP_1) | instskip(NEXT) | instid1(VALU_DEP_1)
	v_add3_u32 v6, v6, v8, 0x7fff
	v_lshrrev_b32_e32 v6, 16, v6
	s_branch .LBB232_31
.LBB232_28:
	v_max_num_f32_e64 v2, s6, s6
	v_max_num_f32_e64 v7, s7, s7
	s_delay_alu instid0(VALU_DEP_1) | instskip(NEXT) | instid1(VALU_DEP_1)
	v_maxmin_num_f32 v2, v6, v2, v7
	v_bfe_u32 v7, v2, 16, 1
	s_delay_alu instid0(VALU_DEP_1) | instskip(NEXT) | instid1(VALU_DEP_1)
	v_add3_u32 v2, v2, v7, 0x7fff
	v_lshrrev_b32_e32 v2, 16, v2
	s_cbranch_execz .LBB232_23
	s_branch .LBB232_24
.LBB232_29:
	s_mov_b32 s13, 0
                                        ; implicit-def: $vgpr6
	s_cbranch_execnz .LBB232_32
	s_branch .LBB232_33
.LBB232_30:
	s_mov_b32 s13, -1
                                        ; implicit-def: $vgpr6
.LBB232_31:
	s_branch .LBB232_33
.LBB232_32:
	s_cmp_lg_u32 s5, 0
	s_mov_b32 s12, -1
	s_cselect_b32 s13, -1, 0
.LBB232_33:
	v_max_num_f32_e32 v7, v7, v7
	s_and_not1_b32 vcc_lo, exec_lo, s13
	s_cbranch_vccz .LBB232_40
; %bb.34:
	s_and_not1_b32 vcc_lo, exec_lo, s12
	s_cbranch_vccnz .LBB232_36
.LBB232_35:
	v_max_num_f32_e64 v6, s6, s6
	s_delay_alu instid0(VALU_DEP_1) | instskip(NEXT) | instid1(VALU_DEP_1)
	v_max_num_f32_e32 v6, v7, v6
	v_bfe_u32 v7, v6, 16, 1
	s_delay_alu instid0(VALU_DEP_1) | instskip(NEXT) | instid1(VALU_DEP_1)
	v_add3_u32 v6, v6, v7, 0x7fff
	v_lshrrev_b32_e32 v6, 16, v6
.LBB232_36:
	s_or_b32 exec_lo, exec_lo, s3
	v_and_b32_e32 v7, 0xffff0000, v3
	v_lshrrev_b32_e32 v3, 16, v3
	s_mov_b32 s3, exec_lo
	s_delay_alu instid0(VALU_DEP_2)
	v_cmpx_o_f32_e32 v7, v7
	s_cbranch_execz .LBB232_48
; %bb.37:
	s_cmp_lt_i32 s5, 1
	s_mov_b32 s12, 0
	s_cbranch_scc1 .LBB232_41
; %bb.38:
	s_cmp_eq_u32 s5, 1
	s_cbranch_scc0 .LBB232_42
; %bb.39:
	v_max_num_f32_e64 v3, s6, s6
	v_max_num_f32_e32 v8, v7, v7
	s_mov_b32 s13, 0
	s_delay_alu instid0(VALU_DEP_1) | instskip(NEXT) | instid1(VALU_DEP_1)
	v_min_num_f32_e32 v3, v8, v3
	v_bfe_u32 v8, v3, 16, 1
	s_delay_alu instid0(VALU_DEP_1) | instskip(NEXT) | instid1(VALU_DEP_1)
	v_add3_u32 v3, v3, v8, 0x7fff
	v_lshrrev_b32_e32 v3, 16, v3
	s_branch .LBB232_43
.LBB232_40:
	v_max_num_f32_e64 v6, s6, s6
	v_max_num_f32_e64 v8, s7, s7
	s_delay_alu instid0(VALU_DEP_1) | instskip(NEXT) | instid1(VALU_DEP_1)
	v_maxmin_num_f32 v6, v7, v6, v8
	v_bfe_u32 v8, v6, 16, 1
	s_delay_alu instid0(VALU_DEP_1) | instskip(NEXT) | instid1(VALU_DEP_1)
	v_add3_u32 v6, v6, v8, 0x7fff
	v_lshrrev_b32_e32 v6, 16, v6
	s_cbranch_execz .LBB232_35
	s_branch .LBB232_36
.LBB232_41:
	s_mov_b32 s13, 0
                                        ; implicit-def: $vgpr3
	s_cbranch_execnz .LBB232_44
	s_branch .LBB232_45
.LBB232_42:
	s_mov_b32 s13, -1
                                        ; implicit-def: $vgpr3
.LBB232_43:
	s_branch .LBB232_45
.LBB232_44:
	s_cmp_lg_u32 s5, 0
	s_mov_b32 s12, -1
	s_cselect_b32 s13, -1, 0
.LBB232_45:
	v_max_num_f32_e32 v7, v7, v7
	s_and_not1_b32 vcc_lo, exec_lo, s13
	s_cbranch_vccz .LBB232_52
; %bb.46:
	s_and_not1_b32 vcc_lo, exec_lo, s12
	s_cbranch_vccnz .LBB232_48
.LBB232_47:
	v_max_num_f32_e64 v3, s6, s6
	s_delay_alu instid0(VALU_DEP_1) | instskip(NEXT) | instid1(VALU_DEP_1)
	v_max_num_f32_e32 v3, v7, v3
	v_bfe_u32 v7, v3, 16, 1
	s_delay_alu instid0(VALU_DEP_1) | instskip(NEXT) | instid1(VALU_DEP_1)
	v_add3_u32 v3, v3, v7, 0x7fff
	v_lshrrev_b32_e32 v3, 16, v3
.LBB232_48:
	s_or_b32 exec_lo, exec_lo, s3
	v_dual_mov_b32 v7, v4 :: v_dual_lshlrev_b32 v8, 16, v4
	s_mov_b32 s3, exec_lo
	s_delay_alu instid0(VALU_DEP_1)
	v_cmpx_o_f32_e32 v8, v8
	s_cbranch_execz .LBB232_60
; %bb.49:
	s_cmp_lt_i32 s5, 1
	s_mov_b32 s12, 0
	s_cbranch_scc1 .LBB232_53
; %bb.50:
	s_cmp_eq_u32 s5, 1
	s_cbranch_scc0 .LBB232_54
; %bb.51:
	v_max_num_f32_e64 v7, s6, s6
	v_max_num_f32_e32 v9, v8, v8
	s_mov_b32 s13, 0
	s_delay_alu instid0(VALU_DEP_1) | instskip(NEXT) | instid1(VALU_DEP_1)
	v_min_num_f32_e32 v7, v9, v7
	v_bfe_u32 v9, v7, 16, 1
	s_delay_alu instid0(VALU_DEP_1) | instskip(NEXT) | instid1(VALU_DEP_1)
	v_add3_u32 v7, v7, v9, 0x7fff
	v_lshrrev_b32_e32 v7, 16, v7
	s_branch .LBB232_55
.LBB232_52:
	v_max_num_f32_e64 v3, s6, s6
	v_max_num_f32_e64 v8, s7, s7
	s_delay_alu instid0(VALU_DEP_1) | instskip(NEXT) | instid1(VALU_DEP_1)
	v_maxmin_num_f32 v3, v7, v3, v8
	v_bfe_u32 v8, v3, 16, 1
	s_delay_alu instid0(VALU_DEP_1) | instskip(NEXT) | instid1(VALU_DEP_1)
	v_add3_u32 v3, v3, v8, 0x7fff
	v_lshrrev_b32_e32 v3, 16, v3
	s_cbranch_execz .LBB232_47
	s_branch .LBB232_48
.LBB232_53:
	s_mov_b32 s13, 0
                                        ; implicit-def: $vgpr7
	s_cbranch_execnz .LBB232_56
	s_branch .LBB232_57
.LBB232_54:
	s_mov_b32 s13, -1
                                        ; implicit-def: $vgpr7
.LBB232_55:
	s_branch .LBB232_57
.LBB232_56:
	s_cmp_lg_u32 s5, 0
	s_mov_b32 s12, -1
	s_cselect_b32 s13, -1, 0
.LBB232_57:
	v_max_num_f32_e32 v8, v8, v8
	s_and_not1_b32 vcc_lo, exec_lo, s13
	s_cbranch_vccz .LBB232_64
; %bb.58:
	s_and_not1_b32 vcc_lo, exec_lo, s12
	s_cbranch_vccnz .LBB232_60
.LBB232_59:
	v_max_num_f32_e64 v7, s6, s6
	s_delay_alu instid0(VALU_DEP_1) | instskip(NEXT) | instid1(VALU_DEP_1)
	v_max_num_f32_e32 v7, v8, v7
	v_bfe_u32 v8, v7, 16, 1
	s_delay_alu instid0(VALU_DEP_1) | instskip(NEXT) | instid1(VALU_DEP_1)
	v_add3_u32 v7, v7, v8, 0x7fff
	v_lshrrev_b32_e32 v7, 16, v7
.LBB232_60:
	s_or_b32 exec_lo, exec_lo, s3
	v_and_b32_e32 v8, 0xffff0000, v4
	v_lshrrev_b32_e32 v4, 16, v4
	s_mov_b32 s3, exec_lo
	s_delay_alu instid0(VALU_DEP_2)
	v_cmpx_o_f32_e32 v8, v8
	s_cbranch_execz .LBB232_72
; %bb.61:
	s_cmp_lt_i32 s5, 1
	s_mov_b32 s12, 0
	s_cbranch_scc1 .LBB232_65
; %bb.62:
	s_cmp_eq_u32 s5, 1
	s_cbranch_scc0 .LBB232_66
; %bb.63:
	v_max_num_f32_e64 v4, s6, s6
	v_max_num_f32_e32 v9, v8, v8
	s_mov_b32 s13, 0
	s_delay_alu instid0(VALU_DEP_1) | instskip(NEXT) | instid1(VALU_DEP_1)
	v_min_num_f32_e32 v4, v9, v4
	v_bfe_u32 v9, v4, 16, 1
	s_delay_alu instid0(VALU_DEP_1) | instskip(NEXT) | instid1(VALU_DEP_1)
	v_add3_u32 v4, v4, v9, 0x7fff
	v_lshrrev_b32_e32 v4, 16, v4
	s_branch .LBB232_67
.LBB232_64:
	v_max_num_f32_e64 v7, s6, s6
	v_max_num_f32_e64 v9, s7, s7
	s_delay_alu instid0(VALU_DEP_1) | instskip(NEXT) | instid1(VALU_DEP_1)
	v_maxmin_num_f32 v7, v8, v7, v9
	v_bfe_u32 v9, v7, 16, 1
	s_delay_alu instid0(VALU_DEP_1) | instskip(NEXT) | instid1(VALU_DEP_1)
	v_add3_u32 v7, v7, v9, 0x7fff
	v_lshrrev_b32_e32 v7, 16, v7
	s_cbranch_execz .LBB232_59
	s_branch .LBB232_60
.LBB232_65:
	s_mov_b32 s13, 0
                                        ; implicit-def: $vgpr4
	s_cbranch_execnz .LBB232_68
	s_branch .LBB232_69
.LBB232_66:
	s_mov_b32 s13, -1
                                        ; implicit-def: $vgpr4
.LBB232_67:
	s_branch .LBB232_69
.LBB232_68:
	s_cmp_lg_u32 s5, 0
	s_mov_b32 s12, -1
	s_cselect_b32 s13, -1, 0
.LBB232_69:
	v_max_num_f32_e32 v8, v8, v8
	s_and_not1_b32 vcc_lo, exec_lo, s13
	s_cbranch_vccz .LBB232_76
; %bb.70:
	s_and_not1_b32 vcc_lo, exec_lo, s12
	s_cbranch_vccnz .LBB232_72
.LBB232_71:
	v_max_num_f32_e64 v4, s6, s6
	s_delay_alu instid0(VALU_DEP_1) | instskip(NEXT) | instid1(VALU_DEP_1)
	v_max_num_f32_e32 v4, v8, v4
	v_bfe_u32 v8, v4, 16, 1
	s_delay_alu instid0(VALU_DEP_1) | instskip(NEXT) | instid1(VALU_DEP_1)
	v_add3_u32 v4, v4, v8, 0x7fff
	v_lshrrev_b32_e32 v4, 16, v4
.LBB232_72:
	s_or_b32 exec_lo, exec_lo, s3
	v_dual_mov_b32 v8, v5 :: v_dual_lshlrev_b32 v9, 16, v5
	s_mov_b32 s3, exec_lo
	s_delay_alu instid0(VALU_DEP_1)
	v_cmpx_o_f32_e32 v9, v9
	s_cbranch_execz .LBB232_84
; %bb.73:
	s_cmp_lt_i32 s5, 1
	s_mov_b32 s12, 0
	s_cbranch_scc1 .LBB232_77
; %bb.74:
	s_cmp_eq_u32 s5, 1
	s_cbranch_scc0 .LBB232_78
; %bb.75:
	v_max_num_f32_e64 v8, s6, s6
	v_max_num_f32_e32 v10, v9, v9
	s_mov_b32 s13, 0
	s_delay_alu instid0(VALU_DEP_1) | instskip(NEXT) | instid1(VALU_DEP_1)
	v_min_num_f32_e32 v8, v10, v8
	v_bfe_u32 v10, v8, 16, 1
	s_delay_alu instid0(VALU_DEP_1) | instskip(NEXT) | instid1(VALU_DEP_1)
	v_add3_u32 v8, v8, v10, 0x7fff
	v_lshrrev_b32_e32 v8, 16, v8
	s_branch .LBB232_79
.LBB232_76:
	v_max_num_f32_e64 v4, s6, s6
	v_max_num_f32_e64 v9, s7, s7
	s_delay_alu instid0(VALU_DEP_1) | instskip(NEXT) | instid1(VALU_DEP_1)
	v_maxmin_num_f32 v4, v8, v4, v9
	v_bfe_u32 v9, v4, 16, 1
	s_delay_alu instid0(VALU_DEP_1) | instskip(NEXT) | instid1(VALU_DEP_1)
	v_add3_u32 v4, v4, v9, 0x7fff
	v_lshrrev_b32_e32 v4, 16, v4
	s_cbranch_execz .LBB232_71
	s_branch .LBB232_72
.LBB232_77:
	s_mov_b32 s13, 0
                                        ; implicit-def: $vgpr8
	s_cbranch_execnz .LBB232_80
	s_branch .LBB232_81
.LBB232_78:
	s_mov_b32 s13, -1
                                        ; implicit-def: $vgpr8
.LBB232_79:
	s_branch .LBB232_81
.LBB232_80:
	s_cmp_lg_u32 s5, 0
	s_mov_b32 s12, -1
	s_cselect_b32 s13, -1, 0
.LBB232_81:
	v_max_num_f32_e32 v9, v9, v9
	s_and_not1_b32 vcc_lo, exec_lo, s13
	s_cbranch_vccz .LBB232_88
; %bb.82:
	s_and_not1_b32 vcc_lo, exec_lo, s12
	s_cbranch_vccnz .LBB232_84
.LBB232_83:
	v_max_num_f32_e64 v8, s6, s6
	s_delay_alu instid0(VALU_DEP_1) | instskip(NEXT) | instid1(VALU_DEP_1)
	v_max_num_f32_e32 v8, v9, v8
	v_bfe_u32 v9, v8, 16, 1
	s_delay_alu instid0(VALU_DEP_1) | instskip(NEXT) | instid1(VALU_DEP_1)
	v_add3_u32 v8, v8, v9, 0x7fff
	v_lshrrev_b32_e32 v8, 16, v8
.LBB232_84:
	s_or_b32 exec_lo, exec_lo, s3
	v_and_b32_e32 v9, 0xffff0000, v5
	v_lshrrev_b32_e32 v5, 16, v5
	s_mov_b32 s3, exec_lo
	s_delay_alu instid0(VALU_DEP_2)
	v_cmpx_o_f32_e32 v9, v9
	s_cbranch_execz .LBB232_96
; %bb.85:
	s_cmp_lt_i32 s5, 1
	s_mov_b32 s12, 0
	s_cbranch_scc1 .LBB232_89
; %bb.86:
	s_cmp_eq_u32 s5, 1
	s_cbranch_scc0 .LBB232_90
; %bb.87:
	v_max_num_f32_e64 v5, s6, s6
	v_max_num_f32_e32 v10, v9, v9
	s_mov_b32 s13, 0
	s_delay_alu instid0(VALU_DEP_1) | instskip(NEXT) | instid1(VALU_DEP_1)
	v_min_num_f32_e32 v5, v10, v5
	v_bfe_u32 v10, v5, 16, 1
	s_delay_alu instid0(VALU_DEP_1) | instskip(NEXT) | instid1(VALU_DEP_1)
	v_add3_u32 v5, v5, v10, 0x7fff
	v_lshrrev_b32_e32 v5, 16, v5
	s_branch .LBB232_91
.LBB232_88:
	v_max_num_f32_e64 v8, s6, s6
	v_max_num_f32_e64 v10, s7, s7
	s_delay_alu instid0(VALU_DEP_1) | instskip(NEXT) | instid1(VALU_DEP_1)
	v_maxmin_num_f32 v8, v9, v8, v10
	v_bfe_u32 v10, v8, 16, 1
	s_delay_alu instid0(VALU_DEP_1) | instskip(NEXT) | instid1(VALU_DEP_1)
	v_add3_u32 v8, v8, v10, 0x7fff
	v_lshrrev_b32_e32 v8, 16, v8
	s_cbranch_execz .LBB232_83
	s_branch .LBB232_84
.LBB232_89:
	s_mov_b32 s13, 0
                                        ; implicit-def: $vgpr5
	s_cbranch_execnz .LBB232_92
	s_branch .LBB232_93
.LBB232_90:
	s_mov_b32 s13, -1
                                        ; implicit-def: $vgpr5
.LBB232_91:
	s_branch .LBB232_93
.LBB232_92:
	s_cmp_lg_u32 s5, 0
	s_mov_b32 s12, -1
	s_cselect_b32 s13, -1, 0
.LBB232_93:
	v_max_num_f32_e32 v9, v9, v9
	s_and_not1_b32 vcc_lo, exec_lo, s13
	s_cbranch_vccz .LBB232_120
; %bb.94:
	s_and_not1_b32 vcc_lo, exec_lo, s12
	s_cbranch_vccnz .LBB232_96
.LBB232_95:
	v_max_num_f32_e64 v5, s6, s6
	s_delay_alu instid0(VALU_DEP_1) | instskip(NEXT) | instid1(VALU_DEP_1)
	v_max_num_f32_e32 v5, v9, v5
	v_bfe_u32 v9, v5, 16, 1
	s_delay_alu instid0(VALU_DEP_1) | instskip(NEXT) | instid1(VALU_DEP_1)
	v_add3_u32 v5, v5, v9, 0x7fff
	v_lshrrev_b32_e32 v5, 16, v5
.LBB232_96:
	s_or_b32 exec_lo, exec_lo, s3
	s_delay_alu instid0(VALU_DEP_1)
	v_perm_b32 v5, v5, v8, 0x5040100
	v_perm_b32 v4, v4, v7, 0x5040100
	;; [unrolled: 1-line block ×4, first 2 shown]
	s_add_nc_u64 s[12:13], s[8:9], s[0:1]
	s_mov_b32 s0, 0
	global_store_b128 v0, v[2:5], s[12:13] scale_offset
.LBB232_97:
	s_and_b32 vcc_lo, exec_lo, s0
	s_cbranch_vccz .LBB232_242
; %bb.98:
	v_cmp_gt_i32_e64 s0, s4, v0
	s_wait_xcnt 0x0
	v_dual_mov_b32 v3, 0 :: v_dual_bitop2_b32 v1, s2, v0 bitop3:0x54
	v_or_b32_e32 v2, 0x100, v0
	v_dual_mov_b32 v5, 0 :: v_dual_mov_b32 v11, v0
	s_and_saveexec_b32 s1, s0
	s_cbranch_execz .LBB232_100
; %bb.99:
	global_load_u16 v5, v1, s[10:11] scale_offset
	v_or_b32_e32 v11, 0x100, v0
.LBB232_100:
	s_wait_xcnt 0x0
	s_or_b32 exec_lo, exec_lo, s1
	s_delay_alu instid0(SALU_CYCLE_1) | instskip(NEXT) | instid1(VALU_DEP_1)
	s_mov_b32 s1, exec_lo
	v_cmpx_gt_i32_e64 s4, v11
	s_cbranch_execz .LBB232_102
; %bb.101:
	v_add_nc_u32_e32 v3, s2, v11
	v_add_nc_u32_e32 v11, 0x100, v11
	global_load_u16 v3, v3, s[10:11] scale_offset
.LBB232_102:
	s_wait_xcnt 0x0
	s_or_b32 exec_lo, exec_lo, s1
	v_dual_mov_b32 v4, 0 :: v_dual_mov_b32 v7, 0
	s_mov_b32 s1, exec_lo
	v_cmpx_gt_i32_e64 s4, v11
	s_cbranch_execz .LBB232_104
; %bb.103:
	v_add_nc_u32_e32 v6, s2, v11
	v_add_nc_u32_e32 v11, 0x100, v11
	global_load_u16 v7, v6, s[10:11] scale_offset
.LBB232_104:
	s_wait_xcnt 0x0
	s_or_b32 exec_lo, exec_lo, s1
	s_delay_alu instid0(SALU_CYCLE_1)
	s_mov_b32 s1, exec_lo
	v_cmpx_gt_i32_e64 s4, v11
	s_cbranch_execz .LBB232_106
; %bb.105:
	v_add_nc_u32_e32 v4, s2, v11
	v_add_nc_u32_e32 v11, 0x100, v11
	global_load_u16 v4, v4, s[10:11] scale_offset
.LBB232_106:
	s_wait_xcnt 0x0
	s_or_b32 exec_lo, exec_lo, s1
	v_dual_mov_b32 v6, 0 :: v_dual_mov_b32 v9, 0
	s_mov_b32 s1, exec_lo
	v_cmpx_gt_i32_e64 s4, v11
	s_cbranch_execz .LBB232_108
; %bb.107:
	v_add_nc_u32_e32 v8, s2, v11
	v_add_nc_u32_e32 v11, 0x100, v11
	global_load_u16 v9, v8, s[10:11] scale_offset
.LBB232_108:
	s_wait_xcnt 0x0
	s_or_b32 exec_lo, exec_lo, s1
	s_delay_alu instid0(SALU_CYCLE_1)
	s_mov_b32 s1, exec_lo
	v_cmpx_gt_i32_e64 s4, v11
	s_cbranch_execz .LBB232_110
; %bb.109:
	v_add_nc_u32_e32 v6, s2, v11
	v_add_nc_u32_e32 v11, 0x100, v11
	global_load_u16 v6, v6, s[10:11] scale_offset
.LBB232_110:
	s_wait_xcnt 0x0
	s_or_b32 exec_lo, exec_lo, s1
	v_dual_mov_b32 v8, 0 :: v_dual_mov_b32 v10, 0
	s_mov_b32 s1, exec_lo
	v_cmpx_gt_i32_e64 s4, v11
	s_cbranch_execnz .LBB232_114
; %bb.111:
	s_or_b32 exec_lo, exec_lo, s1
	s_delay_alu instid0(SALU_CYCLE_1)
	s_mov_b32 s1, exec_lo
	v_cmpx_gt_i32_e64 s4, v11
	s_cbranch_execnz .LBB232_115
.LBB232_112:
	s_or_b32 exec_lo, exec_lo, s1
	s_and_saveexec_b32 s1, s0
	s_cbranch_execnz .LBB232_116
.LBB232_113:
	s_or_b32 exec_lo, exec_lo, s1
	s_delay_alu instid0(SALU_CYCLE_1)
	s_mov_b32 s1, exec_lo
	v_cmpx_gt_i32_e64 s4, v2
	s_cbranch_execnz .LBB232_129
	s_branch .LBB232_142
.LBB232_114:
	v_add_nc_u32_e32 v10, s2, v11
	v_add_nc_u32_e32 v11, 0x100, v11
	global_load_u16 v10, v10, s[10:11] scale_offset
	s_wait_xcnt 0x0
	s_or_b32 exec_lo, exec_lo, s1
	s_delay_alu instid0(SALU_CYCLE_1)
	s_mov_b32 s1, exec_lo
	v_cmpx_gt_i32_e64 s4, v11
	s_cbranch_execz .LBB232_112
.LBB232_115:
	v_add_nc_u32_e32 v8, s2, v11
	global_load_u16 v8, v8, s[10:11] scale_offset
	s_wait_xcnt 0x0
	s_or_b32 exec_lo, exec_lo, s1
	s_and_saveexec_b32 s1, s0
	s_cbranch_execz .LBB232_113
.LBB232_116:
	s_wait_loadcnt 0x0
	v_lshlrev_b32_e32 v11, 16, v5
	s_mov_b32 s3, exec_lo
	s_delay_alu instid0(VALU_DEP_1)
	v_cmpx_o_f32_e32 v11, v11
	s_cbranch_execz .LBB232_128
; %bb.117:
	s_cmp_lt_i32 s5, 1
	s_mov_b32 s10, 0
	s_cbranch_scc1 .LBB232_121
; %bb.118:
	s_cmp_eq_u32 s5, 1
	s_cbranch_scc0 .LBB232_122
; %bb.119:
	v_max_num_f32_e64 v5, s6, s6
	v_max_num_f32_e32 v12, v11, v11
	s_mov_b32 s11, 0
	s_delay_alu instid0(VALU_DEP_1) | instskip(NEXT) | instid1(VALU_DEP_1)
	v_min_num_f32_e32 v5, v12, v5
	v_bfe_u32 v12, v5, 16, 1
	s_delay_alu instid0(VALU_DEP_1) | instskip(NEXT) | instid1(VALU_DEP_1)
	v_add3_u32 v5, v5, v12, 0x7fff
	v_lshrrev_b32_e32 v5, 16, v5
	s_branch .LBB232_123
.LBB232_120:
	v_max_num_f32_e64 v5, s6, s6
	v_max_num_f32_e64 v10, s7, s7
	s_delay_alu instid0(VALU_DEP_1) | instskip(NEXT) | instid1(VALU_DEP_1)
	v_maxmin_num_f32 v5, v9, v5, v10
	v_bfe_u32 v10, v5, 16, 1
	s_delay_alu instid0(VALU_DEP_1) | instskip(NEXT) | instid1(VALU_DEP_1)
	v_add3_u32 v5, v5, v10, 0x7fff
	v_lshrrev_b32_e32 v5, 16, v5
	s_cbranch_execz .LBB232_95
	s_branch .LBB232_96
.LBB232_121:
	s_mov_b32 s11, 0
                                        ; implicit-def: $vgpr5
	s_cbranch_execnz .LBB232_124
	s_branch .LBB232_125
.LBB232_122:
	s_mov_b32 s11, -1
                                        ; implicit-def: $vgpr5
.LBB232_123:
	s_branch .LBB232_125
.LBB232_124:
	s_cmp_lg_u32 s5, 0
	s_mov_b32 s10, -1
	s_cselect_b32 s11, -1, 0
.LBB232_125:
	v_max_num_f32_e32 v11, v11, v11
	s_and_not1_b32 vcc_lo, exec_lo, s11
	s_cbranch_vccz .LBB232_133
; %bb.126:
	s_and_not1_b32 vcc_lo, exec_lo, s10
	s_cbranch_vccnz .LBB232_128
.LBB232_127:
	v_max_num_f32_e64 v5, s6, s6
	s_delay_alu instid0(VALU_DEP_1) | instskip(NEXT) | instid1(VALU_DEP_1)
	v_max_num_f32_e32 v5, v11, v5
	v_bfe_u32 v11, v5, 16, 1
	s_delay_alu instid0(VALU_DEP_1) | instskip(NEXT) | instid1(VALU_DEP_1)
	v_add3_u32 v5, v5, v11, 0x7fff
	v_lshrrev_b32_e32 v5, 16, v5
.LBB232_128:
	s_or_b32 exec_lo, exec_lo, s3
	s_delay_alu instid0(SALU_CYCLE_1) | instskip(NEXT) | instid1(SALU_CYCLE_1)
	s_or_b32 exec_lo, exec_lo, s1
	s_mov_b32 s1, exec_lo
	v_cmpx_gt_i32_e64 s4, v2
	s_cbranch_execz .LBB232_142
.LBB232_129:
	s_wait_loadcnt 0x0
	v_lshlrev_b32_e32 v11, 16, v3
	s_mov_b32 s3, exec_lo
	s_delay_alu instid0(VALU_DEP_1)
	v_cmpx_o_f32_e32 v11, v11
	s_cbranch_execz .LBB232_141
; %bb.130:
	s_cmp_lt_i32 s5, 1
	s_mov_b32 s10, 0
	s_cbranch_scc1 .LBB232_134
; %bb.131:
	s_cmp_eq_u32 s5, 1
	s_cbranch_scc0 .LBB232_135
; %bb.132:
	v_max_num_f32_e64 v3, s6, s6
	v_max_num_f32_e32 v12, v11, v11
	s_mov_b32 s11, 0
	s_delay_alu instid0(VALU_DEP_1) | instskip(NEXT) | instid1(VALU_DEP_1)
	v_min_num_f32_e32 v3, v12, v3
	v_bfe_u32 v12, v3, 16, 1
	s_delay_alu instid0(VALU_DEP_1) | instskip(NEXT) | instid1(VALU_DEP_1)
	v_add3_u32 v3, v3, v12, 0x7fff
	v_lshrrev_b32_e32 v3, 16, v3
	s_branch .LBB232_136
.LBB232_133:
	v_max_num_f32_e64 v5, s6, s6
	v_max_num_f32_e64 v12, s7, s7
	s_delay_alu instid0(VALU_DEP_1) | instskip(NEXT) | instid1(VALU_DEP_1)
	v_maxmin_num_f32 v5, v11, v5, v12
	v_bfe_u32 v12, v5, 16, 1
	s_delay_alu instid0(VALU_DEP_1) | instskip(NEXT) | instid1(VALU_DEP_1)
	v_add3_u32 v5, v5, v12, 0x7fff
	v_lshrrev_b32_e32 v5, 16, v5
	s_cbranch_execz .LBB232_127
	s_branch .LBB232_128
.LBB232_134:
	s_mov_b32 s11, 0
                                        ; implicit-def: $vgpr3
	s_cbranch_execnz .LBB232_137
	s_branch .LBB232_138
.LBB232_135:
	s_mov_b32 s11, -1
                                        ; implicit-def: $vgpr3
.LBB232_136:
	s_branch .LBB232_138
.LBB232_137:
	s_cmp_lg_u32 s5, 0
	s_mov_b32 s10, -1
	s_cselect_b32 s11, -1, 0
.LBB232_138:
	v_max_num_f32_e32 v11, v11, v11
	s_and_not1_b32 vcc_lo, exec_lo, s11
	s_cbranch_vccz .LBB232_147
; %bb.139:
	s_and_not1_b32 vcc_lo, exec_lo, s10
	s_cbranch_vccnz .LBB232_141
.LBB232_140:
	v_max_num_f32_e64 v3, s6, s6
	s_delay_alu instid0(VALU_DEP_1) | instskip(NEXT) | instid1(VALU_DEP_1)
	v_max_num_f32_e32 v3, v11, v3
	v_bfe_u32 v11, v3, 16, 1
	s_delay_alu instid0(VALU_DEP_1) | instskip(NEXT) | instid1(VALU_DEP_1)
	v_add3_u32 v3, v3, v11, 0x7fff
	v_lshrrev_b32_e32 v3, 16, v3
.LBB232_141:
	s_or_b32 exec_lo, exec_lo, s3
.LBB232_142:
	s_delay_alu instid0(SALU_CYCLE_1) | instskip(SKIP_2) | instid1(VALU_DEP_1)
	s_or_b32 exec_lo, exec_lo, s1
	v_or_b32_e32 v11, 0x200, v0
	s_mov_b32 s1, exec_lo
	v_cmpx_gt_i32_e64 s4, v11
	s_cbranch_execz .LBB232_156
; %bb.143:
	s_wait_loadcnt 0x0
	v_lshlrev_b32_e32 v11, 16, v7
	s_mov_b32 s3, exec_lo
	s_delay_alu instid0(VALU_DEP_1)
	v_cmpx_o_f32_e32 v11, v11
	s_cbranch_execz .LBB232_155
; %bb.144:
	s_cmp_lt_i32 s5, 1
	s_mov_b32 s10, 0
	s_cbranch_scc1 .LBB232_148
; %bb.145:
	s_cmp_eq_u32 s5, 1
	s_cbranch_scc0 .LBB232_149
; %bb.146:
	v_max_num_f32_e64 v7, s6, s6
	v_max_num_f32_e32 v12, v11, v11
	s_mov_b32 s11, 0
	s_delay_alu instid0(VALU_DEP_1) | instskip(NEXT) | instid1(VALU_DEP_1)
	v_min_num_f32_e32 v7, v12, v7
	v_bfe_u32 v12, v7, 16, 1
	s_delay_alu instid0(VALU_DEP_1) | instskip(NEXT) | instid1(VALU_DEP_1)
	v_add3_u32 v7, v7, v12, 0x7fff
	v_lshrrev_b32_e32 v7, 16, v7
	s_branch .LBB232_150
.LBB232_147:
	v_max_num_f32_e64 v3, s6, s6
	v_max_num_f32_e64 v12, s7, s7
	s_delay_alu instid0(VALU_DEP_1) | instskip(NEXT) | instid1(VALU_DEP_1)
	v_maxmin_num_f32 v3, v11, v3, v12
	v_bfe_u32 v12, v3, 16, 1
	s_delay_alu instid0(VALU_DEP_1) | instskip(NEXT) | instid1(VALU_DEP_1)
	v_add3_u32 v3, v3, v12, 0x7fff
	v_lshrrev_b32_e32 v3, 16, v3
	s_cbranch_execz .LBB232_140
	s_branch .LBB232_141
.LBB232_148:
	s_mov_b32 s11, 0
                                        ; implicit-def: $vgpr7
	s_cbranch_execnz .LBB232_151
	s_branch .LBB232_152
.LBB232_149:
	s_mov_b32 s11, -1
                                        ; implicit-def: $vgpr7
.LBB232_150:
	s_branch .LBB232_152
.LBB232_151:
	s_cmp_lg_u32 s5, 0
	s_mov_b32 s10, -1
	s_cselect_b32 s11, -1, 0
.LBB232_152:
	v_max_num_f32_e32 v11, v11, v11
	s_and_not1_b32 vcc_lo, exec_lo, s11
	s_cbranch_vccz .LBB232_161
; %bb.153:
	s_and_not1_b32 vcc_lo, exec_lo, s10
	s_cbranch_vccnz .LBB232_155
.LBB232_154:
	v_max_num_f32_e64 v7, s6, s6
	s_delay_alu instid0(VALU_DEP_1) | instskip(NEXT) | instid1(VALU_DEP_1)
	v_max_num_f32_e32 v7, v11, v7
	v_bfe_u32 v11, v7, 16, 1
	s_delay_alu instid0(VALU_DEP_1) | instskip(NEXT) | instid1(VALU_DEP_1)
	v_add3_u32 v7, v7, v11, 0x7fff
	v_lshrrev_b32_e32 v7, 16, v7
.LBB232_155:
	s_or_b32 exec_lo, exec_lo, s3
.LBB232_156:
	s_delay_alu instid0(SALU_CYCLE_1) | instskip(SKIP_2) | instid1(VALU_DEP_1)
	s_or_b32 exec_lo, exec_lo, s1
	v_or_b32_e32 v11, 0x300, v0
	s_mov_b32 s1, exec_lo
	v_cmpx_gt_i32_e64 s4, v11
	s_cbranch_execz .LBB232_170
; %bb.157:
	s_wait_loadcnt 0x0
	v_lshlrev_b32_e32 v11, 16, v4
	s_mov_b32 s3, exec_lo
	s_delay_alu instid0(VALU_DEP_1)
	v_cmpx_o_f32_e32 v11, v11
	s_cbranch_execz .LBB232_169
; %bb.158:
	s_cmp_lt_i32 s5, 1
	s_mov_b32 s10, 0
	s_cbranch_scc1 .LBB232_162
; %bb.159:
	s_cmp_eq_u32 s5, 1
	s_cbranch_scc0 .LBB232_163
; %bb.160:
	v_max_num_f32_e64 v4, s6, s6
	v_max_num_f32_e32 v12, v11, v11
	s_mov_b32 s11, 0
	s_delay_alu instid0(VALU_DEP_1) | instskip(NEXT) | instid1(VALU_DEP_1)
	v_min_num_f32_e32 v4, v12, v4
	v_bfe_u32 v12, v4, 16, 1
	s_delay_alu instid0(VALU_DEP_1) | instskip(NEXT) | instid1(VALU_DEP_1)
	v_add3_u32 v4, v4, v12, 0x7fff
	v_lshrrev_b32_e32 v4, 16, v4
	s_branch .LBB232_164
.LBB232_161:
	v_max_num_f32_e64 v7, s6, s6
	v_max_num_f32_e64 v12, s7, s7
	s_delay_alu instid0(VALU_DEP_1) | instskip(NEXT) | instid1(VALU_DEP_1)
	v_maxmin_num_f32 v7, v11, v7, v12
	v_bfe_u32 v12, v7, 16, 1
	s_delay_alu instid0(VALU_DEP_1) | instskip(NEXT) | instid1(VALU_DEP_1)
	v_add3_u32 v7, v7, v12, 0x7fff
	v_lshrrev_b32_e32 v7, 16, v7
	s_cbranch_execz .LBB232_154
	s_branch .LBB232_155
.LBB232_162:
	s_mov_b32 s11, 0
                                        ; implicit-def: $vgpr4
	s_cbranch_execnz .LBB232_165
	s_branch .LBB232_166
.LBB232_163:
	s_mov_b32 s11, -1
                                        ; implicit-def: $vgpr4
.LBB232_164:
	s_branch .LBB232_166
.LBB232_165:
	s_cmp_lg_u32 s5, 0
	s_mov_b32 s10, -1
	s_cselect_b32 s11, -1, 0
.LBB232_166:
	v_max_num_f32_e32 v11, v11, v11
	s_and_not1_b32 vcc_lo, exec_lo, s11
	s_cbranch_vccz .LBB232_175
; %bb.167:
	s_and_not1_b32 vcc_lo, exec_lo, s10
	s_cbranch_vccnz .LBB232_169
.LBB232_168:
	v_max_num_f32_e64 v4, s6, s6
	s_delay_alu instid0(VALU_DEP_1) | instskip(NEXT) | instid1(VALU_DEP_1)
	v_max_num_f32_e32 v4, v11, v4
	v_bfe_u32 v11, v4, 16, 1
	s_delay_alu instid0(VALU_DEP_1) | instskip(NEXT) | instid1(VALU_DEP_1)
	v_add3_u32 v4, v4, v11, 0x7fff
	v_lshrrev_b32_e32 v4, 16, v4
.LBB232_169:
	s_or_b32 exec_lo, exec_lo, s3
.LBB232_170:
	s_delay_alu instid0(SALU_CYCLE_1) | instskip(SKIP_2) | instid1(VALU_DEP_1)
	s_or_b32 exec_lo, exec_lo, s1
	v_or_b32_e32 v11, 0x400, v0
	s_mov_b32 s1, exec_lo
	v_cmpx_gt_i32_e64 s4, v11
	s_cbranch_execz .LBB232_184
; %bb.171:
	s_wait_loadcnt 0x0
	v_lshlrev_b32_e32 v11, 16, v9
	s_mov_b32 s3, exec_lo
	s_delay_alu instid0(VALU_DEP_1)
	v_cmpx_o_f32_e32 v11, v11
	s_cbranch_execz .LBB232_183
; %bb.172:
	s_cmp_lt_i32 s5, 1
	s_mov_b32 s10, 0
	s_cbranch_scc1 .LBB232_176
; %bb.173:
	s_cmp_eq_u32 s5, 1
	s_cbranch_scc0 .LBB232_177
; %bb.174:
	v_max_num_f32_e64 v9, s6, s6
	v_max_num_f32_e32 v12, v11, v11
	s_mov_b32 s11, 0
	s_delay_alu instid0(VALU_DEP_1) | instskip(NEXT) | instid1(VALU_DEP_1)
	v_min_num_f32_e32 v9, v12, v9
	v_bfe_u32 v12, v9, 16, 1
	s_delay_alu instid0(VALU_DEP_1) | instskip(NEXT) | instid1(VALU_DEP_1)
	v_add3_u32 v9, v9, v12, 0x7fff
	v_lshrrev_b32_e32 v9, 16, v9
	s_branch .LBB232_178
.LBB232_175:
	v_max_num_f32_e64 v4, s6, s6
	v_max_num_f32_e64 v12, s7, s7
	s_delay_alu instid0(VALU_DEP_1) | instskip(NEXT) | instid1(VALU_DEP_1)
	v_maxmin_num_f32 v4, v11, v4, v12
	v_bfe_u32 v12, v4, 16, 1
	s_delay_alu instid0(VALU_DEP_1) | instskip(NEXT) | instid1(VALU_DEP_1)
	v_add3_u32 v4, v4, v12, 0x7fff
	v_lshrrev_b32_e32 v4, 16, v4
	s_cbranch_execz .LBB232_168
	s_branch .LBB232_169
.LBB232_176:
	s_mov_b32 s11, 0
                                        ; implicit-def: $vgpr9
	s_cbranch_execnz .LBB232_179
	s_branch .LBB232_180
.LBB232_177:
	s_mov_b32 s11, -1
                                        ; implicit-def: $vgpr9
.LBB232_178:
	s_branch .LBB232_180
.LBB232_179:
	s_cmp_lg_u32 s5, 0
	s_mov_b32 s10, -1
	s_cselect_b32 s11, -1, 0
.LBB232_180:
	v_max_num_f32_e32 v11, v11, v11
	s_and_not1_b32 vcc_lo, exec_lo, s11
	s_cbranch_vccz .LBB232_189
; %bb.181:
	s_and_not1_b32 vcc_lo, exec_lo, s10
	s_cbranch_vccnz .LBB232_183
.LBB232_182:
	v_max_num_f32_e64 v9, s6, s6
	s_delay_alu instid0(VALU_DEP_1) | instskip(NEXT) | instid1(VALU_DEP_1)
	v_max_num_f32_e32 v9, v11, v9
	v_bfe_u32 v11, v9, 16, 1
	s_delay_alu instid0(VALU_DEP_1) | instskip(NEXT) | instid1(VALU_DEP_1)
	v_add3_u32 v9, v9, v11, 0x7fff
	v_lshrrev_b32_e32 v9, 16, v9
.LBB232_183:
	s_or_b32 exec_lo, exec_lo, s3
.LBB232_184:
	s_delay_alu instid0(SALU_CYCLE_1) | instskip(SKIP_2) | instid1(VALU_DEP_1)
	s_or_b32 exec_lo, exec_lo, s1
	v_or_b32_e32 v11, 0x500, v0
	s_mov_b32 s1, exec_lo
	v_cmpx_gt_i32_e64 s4, v11
	s_cbranch_execz .LBB232_198
; %bb.185:
	s_wait_loadcnt 0x0
	v_lshlrev_b32_e32 v11, 16, v6
	s_mov_b32 s3, exec_lo
	s_delay_alu instid0(VALU_DEP_1)
	v_cmpx_o_f32_e32 v11, v11
	s_cbranch_execz .LBB232_197
; %bb.186:
	s_cmp_lt_i32 s5, 1
	s_mov_b32 s10, 0
	s_cbranch_scc1 .LBB232_190
; %bb.187:
	s_cmp_eq_u32 s5, 1
	s_cbranch_scc0 .LBB232_191
; %bb.188:
	v_max_num_f32_e64 v6, s6, s6
	v_max_num_f32_e32 v12, v11, v11
	s_mov_b32 s11, 0
	s_delay_alu instid0(VALU_DEP_1) | instskip(NEXT) | instid1(VALU_DEP_1)
	v_min_num_f32_e32 v6, v12, v6
	v_bfe_u32 v12, v6, 16, 1
	s_delay_alu instid0(VALU_DEP_1) | instskip(NEXT) | instid1(VALU_DEP_1)
	v_add3_u32 v6, v6, v12, 0x7fff
	v_lshrrev_b32_e32 v6, 16, v6
	s_branch .LBB232_192
.LBB232_189:
	v_max_num_f32_e64 v9, s6, s6
	v_max_num_f32_e64 v12, s7, s7
	s_delay_alu instid0(VALU_DEP_1) | instskip(NEXT) | instid1(VALU_DEP_1)
	v_maxmin_num_f32 v9, v11, v9, v12
	v_bfe_u32 v12, v9, 16, 1
	s_delay_alu instid0(VALU_DEP_1) | instskip(NEXT) | instid1(VALU_DEP_1)
	v_add3_u32 v9, v9, v12, 0x7fff
	v_lshrrev_b32_e32 v9, 16, v9
	s_cbranch_execz .LBB232_182
	s_branch .LBB232_183
.LBB232_190:
	s_mov_b32 s11, 0
                                        ; implicit-def: $vgpr6
	s_cbranch_execnz .LBB232_193
	s_branch .LBB232_194
.LBB232_191:
	s_mov_b32 s11, -1
                                        ; implicit-def: $vgpr6
.LBB232_192:
	s_branch .LBB232_194
.LBB232_193:
	s_cmp_lg_u32 s5, 0
	s_mov_b32 s10, -1
	s_cselect_b32 s11, -1, 0
.LBB232_194:
	v_max_num_f32_e32 v11, v11, v11
	s_and_not1_b32 vcc_lo, exec_lo, s11
	s_cbranch_vccz .LBB232_203
; %bb.195:
	s_and_not1_b32 vcc_lo, exec_lo, s10
	s_cbranch_vccnz .LBB232_197
.LBB232_196:
	v_max_num_f32_e64 v6, s6, s6
	s_delay_alu instid0(VALU_DEP_1) | instskip(NEXT) | instid1(VALU_DEP_1)
	v_max_num_f32_e32 v6, v11, v6
	v_bfe_u32 v11, v6, 16, 1
	s_delay_alu instid0(VALU_DEP_1) | instskip(NEXT) | instid1(VALU_DEP_1)
	v_add3_u32 v6, v6, v11, 0x7fff
	v_lshrrev_b32_e32 v6, 16, v6
.LBB232_197:
	s_or_b32 exec_lo, exec_lo, s3
.LBB232_198:
	s_delay_alu instid0(SALU_CYCLE_1) | instskip(SKIP_2) | instid1(VALU_DEP_1)
	s_or_b32 exec_lo, exec_lo, s1
	v_or_b32_e32 v11, 0x600, v0
	s_mov_b32 s1, exec_lo
	v_cmpx_gt_i32_e64 s4, v11
	s_cbranch_execz .LBB232_212
; %bb.199:
	s_wait_loadcnt 0x0
	v_lshlrev_b32_e32 v11, 16, v10
	s_mov_b32 s3, exec_lo
	s_delay_alu instid0(VALU_DEP_1)
	v_cmpx_o_f32_e32 v11, v11
	s_cbranch_execz .LBB232_211
; %bb.200:
	s_cmp_lt_i32 s5, 1
	s_mov_b32 s10, 0
	s_cbranch_scc1 .LBB232_204
; %bb.201:
	s_cmp_eq_u32 s5, 1
	s_cbranch_scc0 .LBB232_205
; %bb.202:
	v_max_num_f32_e64 v10, s6, s6
	v_max_num_f32_e32 v12, v11, v11
	s_mov_b32 s11, 0
	s_delay_alu instid0(VALU_DEP_1) | instskip(NEXT) | instid1(VALU_DEP_1)
	v_min_num_f32_e32 v10, v12, v10
	v_bfe_u32 v12, v10, 16, 1
	s_delay_alu instid0(VALU_DEP_1) | instskip(NEXT) | instid1(VALU_DEP_1)
	v_add3_u32 v10, v10, v12, 0x7fff
	v_lshrrev_b32_e32 v10, 16, v10
	s_branch .LBB232_206
.LBB232_203:
	v_max_num_f32_e64 v6, s6, s6
	v_max_num_f32_e64 v12, s7, s7
	s_delay_alu instid0(VALU_DEP_1) | instskip(NEXT) | instid1(VALU_DEP_1)
	v_maxmin_num_f32 v6, v11, v6, v12
	v_bfe_u32 v12, v6, 16, 1
	s_delay_alu instid0(VALU_DEP_1) | instskip(NEXT) | instid1(VALU_DEP_1)
	v_add3_u32 v6, v6, v12, 0x7fff
	v_lshrrev_b32_e32 v6, 16, v6
	s_cbranch_execz .LBB232_196
	s_branch .LBB232_197
.LBB232_204:
	s_mov_b32 s11, 0
                                        ; implicit-def: $vgpr10
	s_cbranch_execnz .LBB232_207
	s_branch .LBB232_208
.LBB232_205:
	s_mov_b32 s11, -1
                                        ; implicit-def: $vgpr10
.LBB232_206:
	s_branch .LBB232_208
.LBB232_207:
	s_cmp_lg_u32 s5, 0
	s_mov_b32 s10, -1
	s_cselect_b32 s11, -1, 0
.LBB232_208:
	v_max_num_f32_e32 v11, v11, v11
	s_and_not1_b32 vcc_lo, exec_lo, s11
	s_cbranch_vccz .LBB232_226
; %bb.209:
	s_and_not1_b32 vcc_lo, exec_lo, s10
	s_cbranch_vccnz .LBB232_211
.LBB232_210:
	v_max_num_f32_e64 v10, s6, s6
	s_delay_alu instid0(VALU_DEP_1) | instskip(NEXT) | instid1(VALU_DEP_1)
	v_max_num_f32_e32 v10, v11, v10
	v_bfe_u32 v11, v10, 16, 1
	s_delay_alu instid0(VALU_DEP_1) | instskip(NEXT) | instid1(VALU_DEP_1)
	v_add3_u32 v10, v10, v11, 0x7fff
	v_lshrrev_b32_e32 v10, 16, v10
.LBB232_211:
	s_or_b32 exec_lo, exec_lo, s3
.LBB232_212:
	s_delay_alu instid0(SALU_CYCLE_1) | instskip(SKIP_2) | instid1(VALU_DEP_1)
	s_or_b32 exec_lo, exec_lo, s1
	v_or_b32_e32 v11, 0x700, v0
	s_mov_b32 s1, exec_lo
	v_cmpx_gt_i32_e64 s4, v11
	s_cbranch_execnz .LBB232_222
; %bb.213:
	s_or_b32 exec_lo, exec_lo, s1
	s_and_saveexec_b32 s1, s0
	s_delay_alu instid0(SALU_CYCLE_1)
	s_xor_b32 s0, exec_lo, s1
	s_cbranch_execnz .LBB232_235
.LBB232_214:
	s_or_b32 exec_lo, exec_lo, s0
	s_delay_alu instid0(SALU_CYCLE_1)
	s_mov_b32 s0, exec_lo
	v_cmpx_gt_i32_e64 s4, v0
	s_cbranch_execnz .LBB232_236
.LBB232_215:
	s_or_b32 exec_lo, exec_lo, s0
	s_delay_alu instid0(SALU_CYCLE_1)
	s_mov_b32 s0, exec_lo
	v_cmpx_gt_i32_e64 s4, v0
	s_cbranch_execnz .LBB232_237
.LBB232_216:
	s_or_b32 exec_lo, exec_lo, s0
	s_delay_alu instid0(SALU_CYCLE_1)
	s_mov_b32 s0, exec_lo
	v_cmpx_gt_i32_e64 s4, v0
	s_cbranch_execnz .LBB232_238
.LBB232_217:
	s_or_b32 exec_lo, exec_lo, s0
	s_delay_alu instid0(SALU_CYCLE_1)
	s_mov_b32 s0, exec_lo
	v_cmpx_gt_i32_e64 s4, v0
	s_cbranch_execnz .LBB232_239
.LBB232_218:
	s_or_b32 exec_lo, exec_lo, s0
	s_delay_alu instid0(SALU_CYCLE_1)
	s_mov_b32 s0, exec_lo
	v_cmpx_gt_i32_e64 s4, v0
	s_cbranch_execnz .LBB232_240
.LBB232_219:
	s_or_b32 exec_lo, exec_lo, s0
	s_delay_alu instid0(SALU_CYCLE_1)
	s_mov_b32 s0, exec_lo
	v_cmpx_gt_i32_e64 s4, v0
	s_cbranch_execnz .LBB232_241
.LBB232_220:
	s_or_b32 exec_lo, exec_lo, s0
	s_delay_alu instid0(SALU_CYCLE_1)
	s_mov_b32 s0, exec_lo
	v_cmpx_gt_i32_e64 s4, v0
	s_cbranch_execz .LBB232_242
.LBB232_221:
	v_add_nc_u32_e32 v0, s2, v0
	s_wait_loadcnt 0x0
	global_store_b16 v0, v8, s[8:9] scale_offset
	s_endpgm
.LBB232_222:
	s_wait_loadcnt 0x0
	v_lshlrev_b32_e32 v11, 16, v8
	s_mov_b32 s3, exec_lo
	s_delay_alu instid0(VALU_DEP_1)
	v_cmpx_o_f32_e32 v11, v11
	s_cbranch_execz .LBB232_234
; %bb.223:
	s_cmp_lt_i32 s5, 1
	s_mov_b32 s10, 0
	s_cbranch_scc1 .LBB232_227
; %bb.224:
	s_cmp_eq_u32 s5, 1
	s_cbranch_scc0 .LBB232_228
; %bb.225:
	v_max_num_f32_e64 v8, s6, s6
	v_max_num_f32_e32 v12, v11, v11
	s_mov_b32 s11, 0
	s_delay_alu instid0(VALU_DEP_1) | instskip(NEXT) | instid1(VALU_DEP_1)
	v_min_num_f32_e32 v8, v12, v8
	v_bfe_u32 v12, v8, 16, 1
	s_delay_alu instid0(VALU_DEP_1) | instskip(NEXT) | instid1(VALU_DEP_1)
	v_add3_u32 v8, v8, v12, 0x7fff
	v_lshrrev_b32_e32 v8, 16, v8
	s_branch .LBB232_229
.LBB232_226:
	v_max_num_f32_e64 v10, s6, s6
	v_max_num_f32_e64 v12, s7, s7
	s_delay_alu instid0(VALU_DEP_1) | instskip(NEXT) | instid1(VALU_DEP_1)
	v_maxmin_num_f32 v10, v11, v10, v12
	v_bfe_u32 v12, v10, 16, 1
	s_delay_alu instid0(VALU_DEP_1) | instskip(NEXT) | instid1(VALU_DEP_1)
	v_add3_u32 v10, v10, v12, 0x7fff
	v_lshrrev_b32_e32 v10, 16, v10
	s_cbranch_execz .LBB232_210
	s_branch .LBB232_211
.LBB232_227:
	s_mov_b32 s11, 0
                                        ; implicit-def: $vgpr8
	s_cbranch_execnz .LBB232_230
	s_branch .LBB232_231
.LBB232_228:
	s_mov_b32 s11, -1
                                        ; implicit-def: $vgpr8
.LBB232_229:
	s_branch .LBB232_231
.LBB232_230:
	s_cmp_lg_u32 s5, 0
	s_mov_b32 s10, -1
	s_cselect_b32 s11, -1, 0
.LBB232_231:
	v_max_num_f32_e64 v12, s6, s6
	v_max_num_f32_e32 v11, v11, v11
	s_and_not1_b32 vcc_lo, exec_lo, s11
	s_cbranch_vccz .LBB232_243
; %bb.232:
	s_and_not1_b32 vcc_lo, exec_lo, s10
	s_cbranch_vccnz .LBB232_234
.LBB232_233:
	v_max_num_f32_e32 v8, v11, v12
	s_delay_alu instid0(VALU_DEP_1) | instskip(NEXT) | instid1(VALU_DEP_1)
	v_bfe_u32 v11, v8, 16, 1
	v_add3_u32 v8, v8, v11, 0x7fff
	s_delay_alu instid0(VALU_DEP_1)
	v_lshrrev_b32_e32 v8, 16, v8
.LBB232_234:
	s_or_b32 exec_lo, exec_lo, s3
	s_delay_alu instid0(SALU_CYCLE_1) | instskip(SKIP_1) | instid1(SALU_CYCLE_1)
	s_or_b32 exec_lo, exec_lo, s1
	s_and_saveexec_b32 s1, s0
	s_xor_b32 s0, exec_lo, s1
	s_cbranch_execz .LBB232_214
.LBB232_235:
	v_mov_b32_e32 v0, v2
	s_wait_loadcnt 0x0
	global_store_b16 v1, v5, s[8:9] scale_offset
	s_wait_xcnt 0x0
	s_or_b32 exec_lo, exec_lo, s0
	s_delay_alu instid0(SALU_CYCLE_1)
	s_mov_b32 s0, exec_lo
	v_cmpx_gt_i32_e64 s4, v0
	s_cbranch_execz .LBB232_215
.LBB232_236:
	v_add_nc_u32_e32 v1, s2, v0
	v_add_nc_u32_e32 v0, 0x100, v0
	s_wait_loadcnt 0x0
	global_store_b16 v1, v3, s[8:9] scale_offset
	s_wait_xcnt 0x0
	s_or_b32 exec_lo, exec_lo, s0
	s_delay_alu instid0(SALU_CYCLE_1)
	s_mov_b32 s0, exec_lo
	v_cmpx_gt_i32_e64 s4, v0
	s_cbranch_execz .LBB232_216
.LBB232_237:
	v_add_nc_u32_e32 v1, s2, v0
	v_add_nc_u32_e32 v0, 0x100, v0
	s_wait_loadcnt 0x0
	global_store_b16 v1, v7, s[8:9] scale_offset
	s_wait_xcnt 0x0
	s_or_b32 exec_lo, exec_lo, s0
	s_delay_alu instid0(SALU_CYCLE_1)
	s_mov_b32 s0, exec_lo
	v_cmpx_gt_i32_e64 s4, v0
	s_cbranch_execz .LBB232_217
.LBB232_238:
	v_add_nc_u32_e32 v1, s2, v0
	v_add_nc_u32_e32 v0, 0x100, v0
	s_wait_loadcnt 0x0
	global_store_b16 v1, v4, s[8:9] scale_offset
	s_wait_xcnt 0x0
	s_or_b32 exec_lo, exec_lo, s0
	s_delay_alu instid0(SALU_CYCLE_1)
	s_mov_b32 s0, exec_lo
	v_cmpx_gt_i32_e64 s4, v0
	s_cbranch_execz .LBB232_218
.LBB232_239:
	v_add_nc_u32_e32 v1, s2, v0
	v_add_nc_u32_e32 v0, 0x100, v0
	s_wait_loadcnt 0x0
	global_store_b16 v1, v9, s[8:9] scale_offset
	s_wait_xcnt 0x0
	s_or_b32 exec_lo, exec_lo, s0
	s_delay_alu instid0(SALU_CYCLE_1)
	s_mov_b32 s0, exec_lo
	v_cmpx_gt_i32_e64 s4, v0
	s_cbranch_execz .LBB232_219
.LBB232_240:
	v_add_nc_u32_e32 v1, s2, v0
	v_add_nc_u32_e32 v0, 0x100, v0
	s_wait_loadcnt 0x0
	global_store_b16 v1, v6, s[8:9] scale_offset
	s_wait_xcnt 0x0
	s_or_b32 exec_lo, exec_lo, s0
	s_delay_alu instid0(SALU_CYCLE_1)
	s_mov_b32 s0, exec_lo
	v_cmpx_gt_i32_e64 s4, v0
	s_cbranch_execz .LBB232_220
.LBB232_241:
	v_add_nc_u32_e32 v1, s2, v0
	v_add_nc_u32_e32 v0, 0x100, v0
	s_wait_loadcnt 0x0
	global_store_b16 v1, v10, s[8:9] scale_offset
	s_wait_xcnt 0x0
	s_or_b32 exec_lo, exec_lo, s0
	s_delay_alu instid0(SALU_CYCLE_1)
	s_mov_b32 s0, exec_lo
	v_cmpx_gt_i32_e64 s4, v0
	s_cbranch_execnz .LBB232_221
.LBB232_242:
	s_endpgm
.LBB232_243:
	v_max_num_f32_e64 v8, s7, s7
	s_delay_alu instid0(VALU_DEP_1) | instskip(NEXT) | instid1(VALU_DEP_1)
	v_maxmin_num_f32 v8, v11, v12, v8
	v_bfe_u32 v13, v8, 16, 1
	s_delay_alu instid0(VALU_DEP_1) | instskip(NEXT) | instid1(VALU_DEP_1)
	v_add3_u32 v8, v8, v13, 0x7fff
	v_lshrrev_b32_e32 v8, 16, v8
	s_cbranch_execz .LBB232_233
	s_branch .LBB232_234
	.section	.rodata,"a",@progbits
	.p2align	6, 0x0
	.amdhsa_kernel _ZN2at6native29vectorized_elementwise_kernelILi16EZZZNS0_12_GLOBAL__N_119launch_clamp_scalarERNS_18TensorIteratorBaseEN3c106ScalarES6_NS0_6detail11ClampLimitsEENKUlvE_clEvENKUlvE7_clEvEUlNS5_8BFloat16EE_St5arrayIPcLm2EEEEviT0_T1_
		.amdhsa_group_segment_fixed_size 0
		.amdhsa_private_segment_fixed_size 0
		.amdhsa_kernarg_size 32
		.amdhsa_user_sgpr_count 2
		.amdhsa_user_sgpr_dispatch_ptr 0
		.amdhsa_user_sgpr_queue_ptr 0
		.amdhsa_user_sgpr_kernarg_segment_ptr 1
		.amdhsa_user_sgpr_dispatch_id 0
		.amdhsa_user_sgpr_kernarg_preload_length 0
		.amdhsa_user_sgpr_kernarg_preload_offset 0
		.amdhsa_user_sgpr_private_segment_size 0
		.amdhsa_wavefront_size32 1
		.amdhsa_uses_dynamic_stack 0
		.amdhsa_enable_private_segment 0
		.amdhsa_system_sgpr_workgroup_id_x 1
		.amdhsa_system_sgpr_workgroup_id_y 0
		.amdhsa_system_sgpr_workgroup_id_z 0
		.amdhsa_system_sgpr_workgroup_info 0
		.amdhsa_system_vgpr_workitem_id 0
		.amdhsa_next_free_vgpr 14
		.amdhsa_next_free_sgpr 14
		.amdhsa_named_barrier_count 0
		.amdhsa_reserve_vcc 1
		.amdhsa_float_round_mode_32 0
		.amdhsa_float_round_mode_16_64 0
		.amdhsa_float_denorm_mode_32 3
		.amdhsa_float_denorm_mode_16_64 3
		.amdhsa_fp16_overflow 0
		.amdhsa_memory_ordered 1
		.amdhsa_forward_progress 1
		.amdhsa_inst_pref_size 46
		.amdhsa_round_robin_scheduling 0
		.amdhsa_exception_fp_ieee_invalid_op 0
		.amdhsa_exception_fp_denorm_src 0
		.amdhsa_exception_fp_ieee_div_zero 0
		.amdhsa_exception_fp_ieee_overflow 0
		.amdhsa_exception_fp_ieee_underflow 0
		.amdhsa_exception_fp_ieee_inexact 0
		.amdhsa_exception_int_div_zero 0
	.end_amdhsa_kernel
	.section	.text._ZN2at6native29vectorized_elementwise_kernelILi16EZZZNS0_12_GLOBAL__N_119launch_clamp_scalarERNS_18TensorIteratorBaseEN3c106ScalarES6_NS0_6detail11ClampLimitsEENKUlvE_clEvENKUlvE7_clEvEUlNS5_8BFloat16EE_St5arrayIPcLm2EEEEviT0_T1_,"axG",@progbits,_ZN2at6native29vectorized_elementwise_kernelILi16EZZZNS0_12_GLOBAL__N_119launch_clamp_scalarERNS_18TensorIteratorBaseEN3c106ScalarES6_NS0_6detail11ClampLimitsEENKUlvE_clEvENKUlvE7_clEvEUlNS5_8BFloat16EE_St5arrayIPcLm2EEEEviT0_T1_,comdat
.Lfunc_end232:
	.size	_ZN2at6native29vectorized_elementwise_kernelILi16EZZZNS0_12_GLOBAL__N_119launch_clamp_scalarERNS_18TensorIteratorBaseEN3c106ScalarES6_NS0_6detail11ClampLimitsEENKUlvE_clEvENKUlvE7_clEvEUlNS5_8BFloat16EE_St5arrayIPcLm2EEEEviT0_T1_, .Lfunc_end232-_ZN2at6native29vectorized_elementwise_kernelILi16EZZZNS0_12_GLOBAL__N_119launch_clamp_scalarERNS_18TensorIteratorBaseEN3c106ScalarES6_NS0_6detail11ClampLimitsEENKUlvE_clEvENKUlvE7_clEvEUlNS5_8BFloat16EE_St5arrayIPcLm2EEEEviT0_T1_
                                        ; -- End function
	.set _ZN2at6native29vectorized_elementwise_kernelILi16EZZZNS0_12_GLOBAL__N_119launch_clamp_scalarERNS_18TensorIteratorBaseEN3c106ScalarES6_NS0_6detail11ClampLimitsEENKUlvE_clEvENKUlvE7_clEvEUlNS5_8BFloat16EE_St5arrayIPcLm2EEEEviT0_T1_.num_vgpr, 14
	.set _ZN2at6native29vectorized_elementwise_kernelILi16EZZZNS0_12_GLOBAL__N_119launch_clamp_scalarERNS_18TensorIteratorBaseEN3c106ScalarES6_NS0_6detail11ClampLimitsEENKUlvE_clEvENKUlvE7_clEvEUlNS5_8BFloat16EE_St5arrayIPcLm2EEEEviT0_T1_.num_agpr, 0
	.set _ZN2at6native29vectorized_elementwise_kernelILi16EZZZNS0_12_GLOBAL__N_119launch_clamp_scalarERNS_18TensorIteratorBaseEN3c106ScalarES6_NS0_6detail11ClampLimitsEENKUlvE_clEvENKUlvE7_clEvEUlNS5_8BFloat16EE_St5arrayIPcLm2EEEEviT0_T1_.numbered_sgpr, 14
	.set _ZN2at6native29vectorized_elementwise_kernelILi16EZZZNS0_12_GLOBAL__N_119launch_clamp_scalarERNS_18TensorIteratorBaseEN3c106ScalarES6_NS0_6detail11ClampLimitsEENKUlvE_clEvENKUlvE7_clEvEUlNS5_8BFloat16EE_St5arrayIPcLm2EEEEviT0_T1_.num_named_barrier, 0
	.set _ZN2at6native29vectorized_elementwise_kernelILi16EZZZNS0_12_GLOBAL__N_119launch_clamp_scalarERNS_18TensorIteratorBaseEN3c106ScalarES6_NS0_6detail11ClampLimitsEENKUlvE_clEvENKUlvE7_clEvEUlNS5_8BFloat16EE_St5arrayIPcLm2EEEEviT0_T1_.private_seg_size, 0
	.set _ZN2at6native29vectorized_elementwise_kernelILi16EZZZNS0_12_GLOBAL__N_119launch_clamp_scalarERNS_18TensorIteratorBaseEN3c106ScalarES6_NS0_6detail11ClampLimitsEENKUlvE_clEvENKUlvE7_clEvEUlNS5_8BFloat16EE_St5arrayIPcLm2EEEEviT0_T1_.uses_vcc, 1
	.set _ZN2at6native29vectorized_elementwise_kernelILi16EZZZNS0_12_GLOBAL__N_119launch_clamp_scalarERNS_18TensorIteratorBaseEN3c106ScalarES6_NS0_6detail11ClampLimitsEENKUlvE_clEvENKUlvE7_clEvEUlNS5_8BFloat16EE_St5arrayIPcLm2EEEEviT0_T1_.uses_flat_scratch, 0
	.set _ZN2at6native29vectorized_elementwise_kernelILi16EZZZNS0_12_GLOBAL__N_119launch_clamp_scalarERNS_18TensorIteratorBaseEN3c106ScalarES6_NS0_6detail11ClampLimitsEENKUlvE_clEvENKUlvE7_clEvEUlNS5_8BFloat16EE_St5arrayIPcLm2EEEEviT0_T1_.has_dyn_sized_stack, 0
	.set _ZN2at6native29vectorized_elementwise_kernelILi16EZZZNS0_12_GLOBAL__N_119launch_clamp_scalarERNS_18TensorIteratorBaseEN3c106ScalarES6_NS0_6detail11ClampLimitsEENKUlvE_clEvENKUlvE7_clEvEUlNS5_8BFloat16EE_St5arrayIPcLm2EEEEviT0_T1_.has_recursion, 0
	.set _ZN2at6native29vectorized_elementwise_kernelILi16EZZZNS0_12_GLOBAL__N_119launch_clamp_scalarERNS_18TensorIteratorBaseEN3c106ScalarES6_NS0_6detail11ClampLimitsEENKUlvE_clEvENKUlvE7_clEvEUlNS5_8BFloat16EE_St5arrayIPcLm2EEEEviT0_T1_.has_indirect_call, 0
	.section	.AMDGPU.csdata,"",@progbits
; Kernel info:
; codeLenInByte = 5788
; TotalNumSgprs: 16
; NumVgprs: 14
; ScratchSize: 0
; MemoryBound: 0
; FloatMode: 240
; IeeeMode: 1
; LDSByteSize: 0 bytes/workgroup (compile time only)
; SGPRBlocks: 0
; VGPRBlocks: 0
; NumSGPRsForWavesPerEU: 16
; NumVGPRsForWavesPerEU: 14
; NamedBarCnt: 0
; Occupancy: 16
; WaveLimiterHint : 0
; COMPUTE_PGM_RSRC2:SCRATCH_EN: 0
; COMPUTE_PGM_RSRC2:USER_SGPR: 2
; COMPUTE_PGM_RSRC2:TRAP_HANDLER: 0
; COMPUTE_PGM_RSRC2:TGID_X_EN: 1
; COMPUTE_PGM_RSRC2:TGID_Y_EN: 0
; COMPUTE_PGM_RSRC2:TGID_Z_EN: 0
; COMPUTE_PGM_RSRC2:TIDIG_COMP_CNT: 0
	.section	.text._ZN2at6native29vectorized_elementwise_kernelILi8EZZZNS0_12_GLOBAL__N_119launch_clamp_scalarERNS_18TensorIteratorBaseEN3c106ScalarES6_NS0_6detail11ClampLimitsEENKUlvE_clEvENKUlvE7_clEvEUlNS5_8BFloat16EE_St5arrayIPcLm2EEEEviT0_T1_,"axG",@progbits,_ZN2at6native29vectorized_elementwise_kernelILi8EZZZNS0_12_GLOBAL__N_119launch_clamp_scalarERNS_18TensorIteratorBaseEN3c106ScalarES6_NS0_6detail11ClampLimitsEENKUlvE_clEvENKUlvE7_clEvEUlNS5_8BFloat16EE_St5arrayIPcLm2EEEEviT0_T1_,comdat
	.globl	_ZN2at6native29vectorized_elementwise_kernelILi8EZZZNS0_12_GLOBAL__N_119launch_clamp_scalarERNS_18TensorIteratorBaseEN3c106ScalarES6_NS0_6detail11ClampLimitsEENKUlvE_clEvENKUlvE7_clEvEUlNS5_8BFloat16EE_St5arrayIPcLm2EEEEviT0_T1_ ; -- Begin function _ZN2at6native29vectorized_elementwise_kernelILi8EZZZNS0_12_GLOBAL__N_119launch_clamp_scalarERNS_18TensorIteratorBaseEN3c106ScalarES6_NS0_6detail11ClampLimitsEENKUlvE_clEvENKUlvE7_clEvEUlNS5_8BFloat16EE_St5arrayIPcLm2EEEEviT0_T1_
	.p2align	8
	.type	_ZN2at6native29vectorized_elementwise_kernelILi8EZZZNS0_12_GLOBAL__N_119launch_clamp_scalarERNS_18TensorIteratorBaseEN3c106ScalarES6_NS0_6detail11ClampLimitsEENKUlvE_clEvENKUlvE7_clEvEUlNS5_8BFloat16EE_St5arrayIPcLm2EEEEviT0_T1_,@function
_ZN2at6native29vectorized_elementwise_kernelILi8EZZZNS0_12_GLOBAL__N_119launch_clamp_scalarERNS_18TensorIteratorBaseEN3c106ScalarES6_NS0_6detail11ClampLimitsEENKUlvE_clEvENKUlvE7_clEvEUlNS5_8BFloat16EE_St5arrayIPcLm2EEEEviT0_T1_: ; @_ZN2at6native29vectorized_elementwise_kernelILi8EZZZNS0_12_GLOBAL__N_119launch_clamp_scalarERNS_18TensorIteratorBaseEN3c106ScalarES6_NS0_6detail11ClampLimitsEENKUlvE_clEvENKUlvE7_clEvEUlNS5_8BFloat16EE_St5arrayIPcLm2EEEEviT0_T1_
; %bb.0:
	s_load_b256 s[4:11], s[0:1], 0x0
	s_wait_xcnt 0x0
	s_bfe_u32 s0, ttmp6, 0x4000c
	s_and_b32 s1, ttmp6, 15
	s_add_co_i32 s0, s0, 1
	s_getreg_b32 s2, hwreg(HW_REG_IB_STS2, 6, 4)
	s_mul_i32 s0, ttmp9, s0
	s_delay_alu instid0(SALU_CYCLE_1) | instskip(SKIP_2) | instid1(SALU_CYCLE_1)
	s_add_co_i32 s1, s1, s0
	s_cmp_eq_u32 s2, 0
	s_cselect_b32 s0, ttmp9, s1
	s_lshl_b32 s2, s0, 11
	s_mov_b32 s0, -1
	s_wait_kmcnt 0x0
	s_sub_co_i32 s4, s4, s2
	s_delay_alu instid0(SALU_CYCLE_1)
	s_cmp_gt_i32 s4, 0x7ff
	s_cbranch_scc0 .LBB233_97
; %bb.1:
	s_ashr_i32 s3, s2, 31
	s_delay_alu instid0(SALU_CYCLE_1)
	s_lshl_b64 s[0:1], s[2:3], 1
	s_mov_b32 s3, exec_lo
	s_add_nc_u64 s[12:13], s[10:11], s[0:1]
	global_load_b128 v[2:5], v0, s[12:13] scale_offset
	s_wait_loadcnt 0x0
	v_dual_mov_b32 v1, v2 :: v_dual_lshlrev_b32 v6, 16, v2
	s_delay_alu instid0(VALU_DEP_1)
	v_cmpx_o_f32_e32 v6, v6
	s_cbranch_execz .LBB233_12
; %bb.2:
	s_cmp_lt_i32 s5, 1
	s_mov_b32 s12, 0
	s_cbranch_scc1 .LBB233_5
; %bb.3:
	s_cmp_eq_u32 s5, 1
	s_cbranch_scc0 .LBB233_6
; %bb.4:
	v_max_num_f32_e64 v1, s6, s6
	v_max_num_f32_e32 v7, v6, v6
	s_mov_b32 s13, 0
	s_delay_alu instid0(VALU_DEP_1) | instskip(NEXT) | instid1(VALU_DEP_1)
	v_min_num_f32_e32 v1, v7, v1
	v_bfe_u32 v7, v1, 16, 1
	s_delay_alu instid0(VALU_DEP_1) | instskip(NEXT) | instid1(VALU_DEP_1)
	v_add3_u32 v1, v1, v7, 0x7fff
	v_lshrrev_b32_e32 v1, 16, v1
	s_branch .LBB233_7
.LBB233_5:
	s_mov_b32 s13, 0
                                        ; implicit-def: $vgpr1
	s_cbranch_execnz .LBB233_8
	s_branch .LBB233_9
.LBB233_6:
	s_mov_b32 s13, -1
                                        ; implicit-def: $vgpr1
.LBB233_7:
	s_branch .LBB233_9
.LBB233_8:
	s_cmp_lg_u32 s5, 0
	s_mov_b32 s12, -1
	s_cselect_b32 s13, -1, 0
.LBB233_9:
	v_max_num_f32_e32 v6, v6, v6
	s_and_not1_b32 vcc_lo, exec_lo, s13
	s_cbranch_vccz .LBB233_16
; %bb.10:
	s_and_not1_b32 vcc_lo, exec_lo, s12
	s_cbranch_vccnz .LBB233_12
.LBB233_11:
	v_max_num_f32_e64 v1, s6, s6
	s_delay_alu instid0(VALU_DEP_1) | instskip(NEXT) | instid1(VALU_DEP_1)
	v_max_num_f32_e32 v1, v6, v1
	v_bfe_u32 v6, v1, 16, 1
	s_delay_alu instid0(VALU_DEP_1) | instskip(NEXT) | instid1(VALU_DEP_1)
	v_add3_u32 v1, v1, v6, 0x7fff
	v_lshrrev_b32_e32 v1, 16, v1
.LBB233_12:
	s_or_b32 exec_lo, exec_lo, s3
	v_and_b32_e32 v6, 0xffff0000, v2
	v_lshrrev_b32_e32 v2, 16, v2
	s_mov_b32 s3, exec_lo
	s_delay_alu instid0(VALU_DEP_2)
	v_cmpx_o_f32_e32 v6, v6
	s_cbranch_execz .LBB233_24
; %bb.13:
	s_cmp_lt_i32 s5, 1
	s_mov_b32 s12, 0
	s_cbranch_scc1 .LBB233_17
; %bb.14:
	s_cmp_eq_u32 s5, 1
	s_cbranch_scc0 .LBB233_18
; %bb.15:
	v_max_num_f32_e64 v2, s6, s6
	v_max_num_f32_e32 v7, v6, v6
	s_mov_b32 s13, 0
	s_delay_alu instid0(VALU_DEP_1) | instskip(NEXT) | instid1(VALU_DEP_1)
	v_min_num_f32_e32 v2, v7, v2
	v_bfe_u32 v7, v2, 16, 1
	s_delay_alu instid0(VALU_DEP_1) | instskip(NEXT) | instid1(VALU_DEP_1)
	v_add3_u32 v2, v2, v7, 0x7fff
	v_lshrrev_b32_e32 v2, 16, v2
	s_branch .LBB233_19
.LBB233_16:
	v_max_num_f32_e64 v1, s6, s6
	v_max_num_f32_e64 v7, s7, s7
	s_delay_alu instid0(VALU_DEP_1) | instskip(NEXT) | instid1(VALU_DEP_1)
	v_maxmin_num_f32 v1, v6, v1, v7
	v_bfe_u32 v7, v1, 16, 1
	s_delay_alu instid0(VALU_DEP_1) | instskip(NEXT) | instid1(VALU_DEP_1)
	v_add3_u32 v1, v1, v7, 0x7fff
	v_lshrrev_b32_e32 v1, 16, v1
	s_cbranch_execz .LBB233_11
	s_branch .LBB233_12
.LBB233_17:
	s_mov_b32 s13, 0
                                        ; implicit-def: $vgpr2
	s_cbranch_execnz .LBB233_20
	s_branch .LBB233_21
.LBB233_18:
	s_mov_b32 s13, -1
                                        ; implicit-def: $vgpr2
.LBB233_19:
	s_branch .LBB233_21
.LBB233_20:
	s_cmp_lg_u32 s5, 0
	s_mov_b32 s12, -1
	s_cselect_b32 s13, -1, 0
.LBB233_21:
	v_max_num_f32_e32 v6, v6, v6
	s_and_not1_b32 vcc_lo, exec_lo, s13
	s_cbranch_vccz .LBB233_28
; %bb.22:
	s_and_not1_b32 vcc_lo, exec_lo, s12
	s_cbranch_vccnz .LBB233_24
.LBB233_23:
	v_max_num_f32_e64 v2, s6, s6
	s_delay_alu instid0(VALU_DEP_1) | instskip(NEXT) | instid1(VALU_DEP_1)
	v_max_num_f32_e32 v2, v6, v2
	v_bfe_u32 v6, v2, 16, 1
	s_delay_alu instid0(VALU_DEP_1) | instskip(NEXT) | instid1(VALU_DEP_1)
	v_add3_u32 v2, v2, v6, 0x7fff
	v_lshrrev_b32_e32 v2, 16, v2
.LBB233_24:
	s_or_b32 exec_lo, exec_lo, s3
	v_dual_mov_b32 v6, v3 :: v_dual_lshlrev_b32 v7, 16, v3
	s_mov_b32 s3, exec_lo
	s_delay_alu instid0(VALU_DEP_1)
	v_cmpx_o_f32_e32 v7, v7
	s_cbranch_execz .LBB233_36
; %bb.25:
	s_cmp_lt_i32 s5, 1
	s_mov_b32 s12, 0
	s_cbranch_scc1 .LBB233_29
; %bb.26:
	s_cmp_eq_u32 s5, 1
	s_cbranch_scc0 .LBB233_30
; %bb.27:
	v_max_num_f32_e64 v6, s6, s6
	v_max_num_f32_e32 v8, v7, v7
	s_mov_b32 s13, 0
	s_delay_alu instid0(VALU_DEP_1) | instskip(NEXT) | instid1(VALU_DEP_1)
	v_min_num_f32_e32 v6, v8, v6
	v_bfe_u32 v8, v6, 16, 1
	s_delay_alu instid0(VALU_DEP_1) | instskip(NEXT) | instid1(VALU_DEP_1)
	v_add3_u32 v6, v6, v8, 0x7fff
	v_lshrrev_b32_e32 v6, 16, v6
	s_branch .LBB233_31
.LBB233_28:
	v_max_num_f32_e64 v2, s6, s6
	v_max_num_f32_e64 v7, s7, s7
	s_delay_alu instid0(VALU_DEP_1) | instskip(NEXT) | instid1(VALU_DEP_1)
	v_maxmin_num_f32 v2, v6, v2, v7
	v_bfe_u32 v7, v2, 16, 1
	s_delay_alu instid0(VALU_DEP_1) | instskip(NEXT) | instid1(VALU_DEP_1)
	v_add3_u32 v2, v2, v7, 0x7fff
	v_lshrrev_b32_e32 v2, 16, v2
	s_cbranch_execz .LBB233_23
	s_branch .LBB233_24
.LBB233_29:
	s_mov_b32 s13, 0
                                        ; implicit-def: $vgpr6
	s_cbranch_execnz .LBB233_32
	s_branch .LBB233_33
.LBB233_30:
	s_mov_b32 s13, -1
                                        ; implicit-def: $vgpr6
.LBB233_31:
	s_branch .LBB233_33
.LBB233_32:
	s_cmp_lg_u32 s5, 0
	s_mov_b32 s12, -1
	s_cselect_b32 s13, -1, 0
.LBB233_33:
	v_max_num_f32_e32 v7, v7, v7
	s_and_not1_b32 vcc_lo, exec_lo, s13
	s_cbranch_vccz .LBB233_40
; %bb.34:
	s_and_not1_b32 vcc_lo, exec_lo, s12
	s_cbranch_vccnz .LBB233_36
.LBB233_35:
	v_max_num_f32_e64 v6, s6, s6
	s_delay_alu instid0(VALU_DEP_1) | instskip(NEXT) | instid1(VALU_DEP_1)
	v_max_num_f32_e32 v6, v7, v6
	v_bfe_u32 v7, v6, 16, 1
	s_delay_alu instid0(VALU_DEP_1) | instskip(NEXT) | instid1(VALU_DEP_1)
	v_add3_u32 v6, v6, v7, 0x7fff
	v_lshrrev_b32_e32 v6, 16, v6
.LBB233_36:
	s_or_b32 exec_lo, exec_lo, s3
	v_and_b32_e32 v7, 0xffff0000, v3
	v_lshrrev_b32_e32 v3, 16, v3
	s_mov_b32 s3, exec_lo
	s_delay_alu instid0(VALU_DEP_2)
	v_cmpx_o_f32_e32 v7, v7
	s_cbranch_execz .LBB233_48
; %bb.37:
	s_cmp_lt_i32 s5, 1
	s_mov_b32 s12, 0
	s_cbranch_scc1 .LBB233_41
; %bb.38:
	s_cmp_eq_u32 s5, 1
	s_cbranch_scc0 .LBB233_42
; %bb.39:
	v_max_num_f32_e64 v3, s6, s6
	v_max_num_f32_e32 v8, v7, v7
	s_mov_b32 s13, 0
	s_delay_alu instid0(VALU_DEP_1) | instskip(NEXT) | instid1(VALU_DEP_1)
	v_min_num_f32_e32 v3, v8, v3
	v_bfe_u32 v8, v3, 16, 1
	s_delay_alu instid0(VALU_DEP_1) | instskip(NEXT) | instid1(VALU_DEP_1)
	v_add3_u32 v3, v3, v8, 0x7fff
	v_lshrrev_b32_e32 v3, 16, v3
	s_branch .LBB233_43
.LBB233_40:
	v_max_num_f32_e64 v6, s6, s6
	v_max_num_f32_e64 v8, s7, s7
	s_delay_alu instid0(VALU_DEP_1) | instskip(NEXT) | instid1(VALU_DEP_1)
	v_maxmin_num_f32 v6, v7, v6, v8
	v_bfe_u32 v8, v6, 16, 1
	s_delay_alu instid0(VALU_DEP_1) | instskip(NEXT) | instid1(VALU_DEP_1)
	v_add3_u32 v6, v6, v8, 0x7fff
	v_lshrrev_b32_e32 v6, 16, v6
	s_cbranch_execz .LBB233_35
	s_branch .LBB233_36
.LBB233_41:
	s_mov_b32 s13, 0
                                        ; implicit-def: $vgpr3
	s_cbranch_execnz .LBB233_44
	s_branch .LBB233_45
.LBB233_42:
	s_mov_b32 s13, -1
                                        ; implicit-def: $vgpr3
.LBB233_43:
	s_branch .LBB233_45
.LBB233_44:
	s_cmp_lg_u32 s5, 0
	s_mov_b32 s12, -1
	s_cselect_b32 s13, -1, 0
.LBB233_45:
	v_max_num_f32_e32 v7, v7, v7
	s_and_not1_b32 vcc_lo, exec_lo, s13
	s_cbranch_vccz .LBB233_52
; %bb.46:
	s_and_not1_b32 vcc_lo, exec_lo, s12
	s_cbranch_vccnz .LBB233_48
.LBB233_47:
	v_max_num_f32_e64 v3, s6, s6
	s_delay_alu instid0(VALU_DEP_1) | instskip(NEXT) | instid1(VALU_DEP_1)
	v_max_num_f32_e32 v3, v7, v3
	v_bfe_u32 v7, v3, 16, 1
	s_delay_alu instid0(VALU_DEP_1) | instskip(NEXT) | instid1(VALU_DEP_1)
	v_add3_u32 v3, v3, v7, 0x7fff
	v_lshrrev_b32_e32 v3, 16, v3
.LBB233_48:
	s_or_b32 exec_lo, exec_lo, s3
	v_dual_mov_b32 v7, v4 :: v_dual_lshlrev_b32 v8, 16, v4
	s_mov_b32 s3, exec_lo
	s_delay_alu instid0(VALU_DEP_1)
	v_cmpx_o_f32_e32 v8, v8
	s_cbranch_execz .LBB233_60
; %bb.49:
	s_cmp_lt_i32 s5, 1
	s_mov_b32 s12, 0
	s_cbranch_scc1 .LBB233_53
; %bb.50:
	s_cmp_eq_u32 s5, 1
	s_cbranch_scc0 .LBB233_54
; %bb.51:
	v_max_num_f32_e64 v7, s6, s6
	v_max_num_f32_e32 v9, v8, v8
	s_mov_b32 s13, 0
	s_delay_alu instid0(VALU_DEP_1) | instskip(NEXT) | instid1(VALU_DEP_1)
	v_min_num_f32_e32 v7, v9, v7
	v_bfe_u32 v9, v7, 16, 1
	s_delay_alu instid0(VALU_DEP_1) | instskip(NEXT) | instid1(VALU_DEP_1)
	v_add3_u32 v7, v7, v9, 0x7fff
	v_lshrrev_b32_e32 v7, 16, v7
	s_branch .LBB233_55
.LBB233_52:
	v_max_num_f32_e64 v3, s6, s6
	v_max_num_f32_e64 v8, s7, s7
	s_delay_alu instid0(VALU_DEP_1) | instskip(NEXT) | instid1(VALU_DEP_1)
	v_maxmin_num_f32 v3, v7, v3, v8
	v_bfe_u32 v8, v3, 16, 1
	s_delay_alu instid0(VALU_DEP_1) | instskip(NEXT) | instid1(VALU_DEP_1)
	v_add3_u32 v3, v3, v8, 0x7fff
	v_lshrrev_b32_e32 v3, 16, v3
	s_cbranch_execz .LBB233_47
	s_branch .LBB233_48
.LBB233_53:
	s_mov_b32 s13, 0
                                        ; implicit-def: $vgpr7
	s_cbranch_execnz .LBB233_56
	s_branch .LBB233_57
.LBB233_54:
	s_mov_b32 s13, -1
                                        ; implicit-def: $vgpr7
.LBB233_55:
	s_branch .LBB233_57
.LBB233_56:
	s_cmp_lg_u32 s5, 0
	s_mov_b32 s12, -1
	s_cselect_b32 s13, -1, 0
.LBB233_57:
	v_max_num_f32_e32 v8, v8, v8
	s_and_not1_b32 vcc_lo, exec_lo, s13
	s_cbranch_vccz .LBB233_64
; %bb.58:
	s_and_not1_b32 vcc_lo, exec_lo, s12
	s_cbranch_vccnz .LBB233_60
.LBB233_59:
	v_max_num_f32_e64 v7, s6, s6
	s_delay_alu instid0(VALU_DEP_1) | instskip(NEXT) | instid1(VALU_DEP_1)
	v_max_num_f32_e32 v7, v8, v7
	v_bfe_u32 v8, v7, 16, 1
	s_delay_alu instid0(VALU_DEP_1) | instskip(NEXT) | instid1(VALU_DEP_1)
	v_add3_u32 v7, v7, v8, 0x7fff
	v_lshrrev_b32_e32 v7, 16, v7
.LBB233_60:
	s_or_b32 exec_lo, exec_lo, s3
	v_and_b32_e32 v8, 0xffff0000, v4
	v_lshrrev_b32_e32 v4, 16, v4
	s_mov_b32 s3, exec_lo
	s_delay_alu instid0(VALU_DEP_2)
	v_cmpx_o_f32_e32 v8, v8
	s_cbranch_execz .LBB233_72
; %bb.61:
	s_cmp_lt_i32 s5, 1
	s_mov_b32 s12, 0
	s_cbranch_scc1 .LBB233_65
; %bb.62:
	s_cmp_eq_u32 s5, 1
	s_cbranch_scc0 .LBB233_66
; %bb.63:
	v_max_num_f32_e64 v4, s6, s6
	v_max_num_f32_e32 v9, v8, v8
	s_mov_b32 s13, 0
	s_delay_alu instid0(VALU_DEP_1) | instskip(NEXT) | instid1(VALU_DEP_1)
	v_min_num_f32_e32 v4, v9, v4
	v_bfe_u32 v9, v4, 16, 1
	s_delay_alu instid0(VALU_DEP_1) | instskip(NEXT) | instid1(VALU_DEP_1)
	v_add3_u32 v4, v4, v9, 0x7fff
	v_lshrrev_b32_e32 v4, 16, v4
	s_branch .LBB233_67
.LBB233_64:
	v_max_num_f32_e64 v7, s6, s6
	v_max_num_f32_e64 v9, s7, s7
	s_delay_alu instid0(VALU_DEP_1) | instskip(NEXT) | instid1(VALU_DEP_1)
	v_maxmin_num_f32 v7, v8, v7, v9
	v_bfe_u32 v9, v7, 16, 1
	s_delay_alu instid0(VALU_DEP_1) | instskip(NEXT) | instid1(VALU_DEP_1)
	v_add3_u32 v7, v7, v9, 0x7fff
	v_lshrrev_b32_e32 v7, 16, v7
	s_cbranch_execz .LBB233_59
	s_branch .LBB233_60
.LBB233_65:
	s_mov_b32 s13, 0
                                        ; implicit-def: $vgpr4
	s_cbranch_execnz .LBB233_68
	s_branch .LBB233_69
.LBB233_66:
	s_mov_b32 s13, -1
                                        ; implicit-def: $vgpr4
.LBB233_67:
	s_branch .LBB233_69
.LBB233_68:
	s_cmp_lg_u32 s5, 0
	s_mov_b32 s12, -1
	s_cselect_b32 s13, -1, 0
.LBB233_69:
	v_max_num_f32_e32 v8, v8, v8
	s_and_not1_b32 vcc_lo, exec_lo, s13
	s_cbranch_vccz .LBB233_76
; %bb.70:
	s_and_not1_b32 vcc_lo, exec_lo, s12
	s_cbranch_vccnz .LBB233_72
.LBB233_71:
	v_max_num_f32_e64 v4, s6, s6
	s_delay_alu instid0(VALU_DEP_1) | instskip(NEXT) | instid1(VALU_DEP_1)
	v_max_num_f32_e32 v4, v8, v4
	v_bfe_u32 v8, v4, 16, 1
	s_delay_alu instid0(VALU_DEP_1) | instskip(NEXT) | instid1(VALU_DEP_1)
	v_add3_u32 v4, v4, v8, 0x7fff
	v_lshrrev_b32_e32 v4, 16, v4
.LBB233_72:
	s_or_b32 exec_lo, exec_lo, s3
	v_dual_mov_b32 v8, v5 :: v_dual_lshlrev_b32 v9, 16, v5
	s_mov_b32 s3, exec_lo
	s_delay_alu instid0(VALU_DEP_1)
	v_cmpx_o_f32_e32 v9, v9
	s_cbranch_execz .LBB233_84
; %bb.73:
	s_cmp_lt_i32 s5, 1
	s_mov_b32 s12, 0
	s_cbranch_scc1 .LBB233_77
; %bb.74:
	s_cmp_eq_u32 s5, 1
	s_cbranch_scc0 .LBB233_78
; %bb.75:
	v_max_num_f32_e64 v8, s6, s6
	v_max_num_f32_e32 v10, v9, v9
	s_mov_b32 s13, 0
	s_delay_alu instid0(VALU_DEP_1) | instskip(NEXT) | instid1(VALU_DEP_1)
	v_min_num_f32_e32 v8, v10, v8
	v_bfe_u32 v10, v8, 16, 1
	s_delay_alu instid0(VALU_DEP_1) | instskip(NEXT) | instid1(VALU_DEP_1)
	v_add3_u32 v8, v8, v10, 0x7fff
	v_lshrrev_b32_e32 v8, 16, v8
	s_branch .LBB233_79
.LBB233_76:
	v_max_num_f32_e64 v4, s6, s6
	v_max_num_f32_e64 v9, s7, s7
	s_delay_alu instid0(VALU_DEP_1) | instskip(NEXT) | instid1(VALU_DEP_1)
	v_maxmin_num_f32 v4, v8, v4, v9
	v_bfe_u32 v9, v4, 16, 1
	s_delay_alu instid0(VALU_DEP_1) | instskip(NEXT) | instid1(VALU_DEP_1)
	v_add3_u32 v4, v4, v9, 0x7fff
	v_lshrrev_b32_e32 v4, 16, v4
	s_cbranch_execz .LBB233_71
	s_branch .LBB233_72
.LBB233_77:
	s_mov_b32 s13, 0
                                        ; implicit-def: $vgpr8
	s_cbranch_execnz .LBB233_80
	s_branch .LBB233_81
.LBB233_78:
	s_mov_b32 s13, -1
                                        ; implicit-def: $vgpr8
.LBB233_79:
	s_branch .LBB233_81
.LBB233_80:
	s_cmp_lg_u32 s5, 0
	s_mov_b32 s12, -1
	s_cselect_b32 s13, -1, 0
.LBB233_81:
	v_max_num_f32_e32 v9, v9, v9
	s_and_not1_b32 vcc_lo, exec_lo, s13
	s_cbranch_vccz .LBB233_88
; %bb.82:
	s_and_not1_b32 vcc_lo, exec_lo, s12
	s_cbranch_vccnz .LBB233_84
.LBB233_83:
	v_max_num_f32_e64 v8, s6, s6
	s_delay_alu instid0(VALU_DEP_1) | instskip(NEXT) | instid1(VALU_DEP_1)
	v_max_num_f32_e32 v8, v9, v8
	v_bfe_u32 v9, v8, 16, 1
	s_delay_alu instid0(VALU_DEP_1) | instskip(NEXT) | instid1(VALU_DEP_1)
	v_add3_u32 v8, v8, v9, 0x7fff
	v_lshrrev_b32_e32 v8, 16, v8
.LBB233_84:
	s_or_b32 exec_lo, exec_lo, s3
	v_and_b32_e32 v9, 0xffff0000, v5
	v_lshrrev_b32_e32 v5, 16, v5
	s_mov_b32 s3, exec_lo
	s_delay_alu instid0(VALU_DEP_2)
	v_cmpx_o_f32_e32 v9, v9
	s_cbranch_execz .LBB233_96
; %bb.85:
	s_cmp_lt_i32 s5, 1
	s_mov_b32 s12, 0
	s_cbranch_scc1 .LBB233_89
; %bb.86:
	s_cmp_eq_u32 s5, 1
	s_cbranch_scc0 .LBB233_90
; %bb.87:
	v_max_num_f32_e64 v5, s6, s6
	v_max_num_f32_e32 v10, v9, v9
	s_mov_b32 s13, 0
	s_delay_alu instid0(VALU_DEP_1) | instskip(NEXT) | instid1(VALU_DEP_1)
	v_min_num_f32_e32 v5, v10, v5
	v_bfe_u32 v10, v5, 16, 1
	s_delay_alu instid0(VALU_DEP_1) | instskip(NEXT) | instid1(VALU_DEP_1)
	v_add3_u32 v5, v5, v10, 0x7fff
	v_lshrrev_b32_e32 v5, 16, v5
	s_branch .LBB233_91
.LBB233_88:
	v_max_num_f32_e64 v8, s6, s6
	v_max_num_f32_e64 v10, s7, s7
	s_delay_alu instid0(VALU_DEP_1) | instskip(NEXT) | instid1(VALU_DEP_1)
	v_maxmin_num_f32 v8, v9, v8, v10
	v_bfe_u32 v10, v8, 16, 1
	s_delay_alu instid0(VALU_DEP_1) | instskip(NEXT) | instid1(VALU_DEP_1)
	v_add3_u32 v8, v8, v10, 0x7fff
	v_lshrrev_b32_e32 v8, 16, v8
	s_cbranch_execz .LBB233_83
	s_branch .LBB233_84
.LBB233_89:
	s_mov_b32 s13, 0
                                        ; implicit-def: $vgpr5
	s_cbranch_execnz .LBB233_92
	s_branch .LBB233_93
.LBB233_90:
	s_mov_b32 s13, -1
                                        ; implicit-def: $vgpr5
.LBB233_91:
	s_branch .LBB233_93
.LBB233_92:
	s_cmp_lg_u32 s5, 0
	s_mov_b32 s12, -1
	s_cselect_b32 s13, -1, 0
.LBB233_93:
	v_max_num_f32_e32 v9, v9, v9
	s_and_not1_b32 vcc_lo, exec_lo, s13
	s_cbranch_vccz .LBB233_120
; %bb.94:
	s_and_not1_b32 vcc_lo, exec_lo, s12
	s_cbranch_vccnz .LBB233_96
.LBB233_95:
	v_max_num_f32_e64 v5, s6, s6
	s_delay_alu instid0(VALU_DEP_1) | instskip(NEXT) | instid1(VALU_DEP_1)
	v_max_num_f32_e32 v5, v9, v5
	v_bfe_u32 v9, v5, 16, 1
	s_delay_alu instid0(VALU_DEP_1) | instskip(NEXT) | instid1(VALU_DEP_1)
	v_add3_u32 v5, v5, v9, 0x7fff
	v_lshrrev_b32_e32 v5, 16, v5
.LBB233_96:
	s_or_b32 exec_lo, exec_lo, s3
	s_delay_alu instid0(VALU_DEP_1)
	v_perm_b32 v5, v5, v8, 0x5040100
	v_perm_b32 v4, v4, v7, 0x5040100
	v_perm_b32 v3, v3, v6, 0x5040100
	v_perm_b32 v2, v2, v1, 0x5040100
	s_add_nc_u64 s[12:13], s[8:9], s[0:1]
	s_mov_b32 s0, 0
	global_store_b128 v0, v[2:5], s[12:13] scale_offset
.LBB233_97:
	s_and_b32 vcc_lo, exec_lo, s0
	s_cbranch_vccz .LBB233_242
; %bb.98:
	v_cmp_gt_i32_e64 s0, s4, v0
	s_wait_xcnt 0x0
	v_dual_mov_b32 v3, 0 :: v_dual_bitop2_b32 v1, s2, v0 bitop3:0x54
	v_or_b32_e32 v2, 0x100, v0
	v_dual_mov_b32 v5, 0 :: v_dual_mov_b32 v11, v0
	s_and_saveexec_b32 s1, s0
	s_cbranch_execz .LBB233_100
; %bb.99:
	global_load_u16 v5, v1, s[10:11] scale_offset
	v_or_b32_e32 v11, 0x100, v0
.LBB233_100:
	s_wait_xcnt 0x0
	s_or_b32 exec_lo, exec_lo, s1
	s_delay_alu instid0(SALU_CYCLE_1) | instskip(NEXT) | instid1(VALU_DEP_1)
	s_mov_b32 s1, exec_lo
	v_cmpx_gt_i32_e64 s4, v11
	s_cbranch_execz .LBB233_102
; %bb.101:
	v_add_nc_u32_e32 v3, s2, v11
	v_add_nc_u32_e32 v11, 0x100, v11
	global_load_u16 v3, v3, s[10:11] scale_offset
.LBB233_102:
	s_wait_xcnt 0x0
	s_or_b32 exec_lo, exec_lo, s1
	v_dual_mov_b32 v4, 0 :: v_dual_mov_b32 v7, 0
	s_mov_b32 s1, exec_lo
	v_cmpx_gt_i32_e64 s4, v11
	s_cbranch_execz .LBB233_104
; %bb.103:
	v_add_nc_u32_e32 v6, s2, v11
	v_add_nc_u32_e32 v11, 0x100, v11
	global_load_u16 v7, v6, s[10:11] scale_offset
.LBB233_104:
	s_wait_xcnt 0x0
	s_or_b32 exec_lo, exec_lo, s1
	s_delay_alu instid0(SALU_CYCLE_1)
	s_mov_b32 s1, exec_lo
	v_cmpx_gt_i32_e64 s4, v11
	s_cbranch_execz .LBB233_106
; %bb.105:
	v_add_nc_u32_e32 v4, s2, v11
	v_add_nc_u32_e32 v11, 0x100, v11
	global_load_u16 v4, v4, s[10:11] scale_offset
.LBB233_106:
	s_wait_xcnt 0x0
	s_or_b32 exec_lo, exec_lo, s1
	v_dual_mov_b32 v6, 0 :: v_dual_mov_b32 v9, 0
	s_mov_b32 s1, exec_lo
	v_cmpx_gt_i32_e64 s4, v11
	s_cbranch_execz .LBB233_108
; %bb.107:
	v_add_nc_u32_e32 v8, s2, v11
	v_add_nc_u32_e32 v11, 0x100, v11
	global_load_u16 v9, v8, s[10:11] scale_offset
.LBB233_108:
	s_wait_xcnt 0x0
	s_or_b32 exec_lo, exec_lo, s1
	s_delay_alu instid0(SALU_CYCLE_1)
	s_mov_b32 s1, exec_lo
	v_cmpx_gt_i32_e64 s4, v11
	s_cbranch_execz .LBB233_110
; %bb.109:
	v_add_nc_u32_e32 v6, s2, v11
	v_add_nc_u32_e32 v11, 0x100, v11
	global_load_u16 v6, v6, s[10:11] scale_offset
.LBB233_110:
	s_wait_xcnt 0x0
	s_or_b32 exec_lo, exec_lo, s1
	v_dual_mov_b32 v8, 0 :: v_dual_mov_b32 v10, 0
	s_mov_b32 s1, exec_lo
	v_cmpx_gt_i32_e64 s4, v11
	s_cbranch_execnz .LBB233_114
; %bb.111:
	s_or_b32 exec_lo, exec_lo, s1
	s_delay_alu instid0(SALU_CYCLE_1)
	s_mov_b32 s1, exec_lo
	v_cmpx_gt_i32_e64 s4, v11
	s_cbranch_execnz .LBB233_115
.LBB233_112:
	s_or_b32 exec_lo, exec_lo, s1
	s_and_saveexec_b32 s1, s0
	s_cbranch_execnz .LBB233_116
.LBB233_113:
	s_or_b32 exec_lo, exec_lo, s1
	s_delay_alu instid0(SALU_CYCLE_1)
	s_mov_b32 s1, exec_lo
	v_cmpx_gt_i32_e64 s4, v2
	s_cbranch_execnz .LBB233_129
	s_branch .LBB233_142
.LBB233_114:
	v_add_nc_u32_e32 v10, s2, v11
	v_add_nc_u32_e32 v11, 0x100, v11
	global_load_u16 v10, v10, s[10:11] scale_offset
	s_wait_xcnt 0x0
	s_or_b32 exec_lo, exec_lo, s1
	s_delay_alu instid0(SALU_CYCLE_1)
	s_mov_b32 s1, exec_lo
	v_cmpx_gt_i32_e64 s4, v11
	s_cbranch_execz .LBB233_112
.LBB233_115:
	v_add_nc_u32_e32 v8, s2, v11
	global_load_u16 v8, v8, s[10:11] scale_offset
	s_wait_xcnt 0x0
	s_or_b32 exec_lo, exec_lo, s1
	s_and_saveexec_b32 s1, s0
	s_cbranch_execz .LBB233_113
.LBB233_116:
	s_wait_loadcnt 0x0
	v_lshlrev_b32_e32 v11, 16, v5
	s_mov_b32 s3, exec_lo
	s_delay_alu instid0(VALU_DEP_1)
	v_cmpx_o_f32_e32 v11, v11
	s_cbranch_execz .LBB233_128
; %bb.117:
	s_cmp_lt_i32 s5, 1
	s_mov_b32 s10, 0
	s_cbranch_scc1 .LBB233_121
; %bb.118:
	s_cmp_eq_u32 s5, 1
	s_cbranch_scc0 .LBB233_122
; %bb.119:
	v_max_num_f32_e64 v5, s6, s6
	v_max_num_f32_e32 v12, v11, v11
	s_mov_b32 s11, 0
	s_delay_alu instid0(VALU_DEP_1) | instskip(NEXT) | instid1(VALU_DEP_1)
	v_min_num_f32_e32 v5, v12, v5
	v_bfe_u32 v12, v5, 16, 1
	s_delay_alu instid0(VALU_DEP_1) | instskip(NEXT) | instid1(VALU_DEP_1)
	v_add3_u32 v5, v5, v12, 0x7fff
	v_lshrrev_b32_e32 v5, 16, v5
	s_branch .LBB233_123
.LBB233_120:
	v_max_num_f32_e64 v5, s6, s6
	v_max_num_f32_e64 v10, s7, s7
	s_delay_alu instid0(VALU_DEP_1) | instskip(NEXT) | instid1(VALU_DEP_1)
	v_maxmin_num_f32 v5, v9, v5, v10
	v_bfe_u32 v10, v5, 16, 1
	s_delay_alu instid0(VALU_DEP_1) | instskip(NEXT) | instid1(VALU_DEP_1)
	v_add3_u32 v5, v5, v10, 0x7fff
	v_lshrrev_b32_e32 v5, 16, v5
	s_cbranch_execz .LBB233_95
	s_branch .LBB233_96
.LBB233_121:
	s_mov_b32 s11, 0
                                        ; implicit-def: $vgpr5
	s_cbranch_execnz .LBB233_124
	s_branch .LBB233_125
.LBB233_122:
	s_mov_b32 s11, -1
                                        ; implicit-def: $vgpr5
.LBB233_123:
	s_branch .LBB233_125
.LBB233_124:
	s_cmp_lg_u32 s5, 0
	s_mov_b32 s10, -1
	s_cselect_b32 s11, -1, 0
.LBB233_125:
	v_max_num_f32_e32 v11, v11, v11
	s_and_not1_b32 vcc_lo, exec_lo, s11
	s_cbranch_vccz .LBB233_133
; %bb.126:
	s_and_not1_b32 vcc_lo, exec_lo, s10
	s_cbranch_vccnz .LBB233_128
.LBB233_127:
	v_max_num_f32_e64 v5, s6, s6
	s_delay_alu instid0(VALU_DEP_1) | instskip(NEXT) | instid1(VALU_DEP_1)
	v_max_num_f32_e32 v5, v11, v5
	v_bfe_u32 v11, v5, 16, 1
	s_delay_alu instid0(VALU_DEP_1) | instskip(NEXT) | instid1(VALU_DEP_1)
	v_add3_u32 v5, v5, v11, 0x7fff
	v_lshrrev_b32_e32 v5, 16, v5
.LBB233_128:
	s_or_b32 exec_lo, exec_lo, s3
	s_delay_alu instid0(SALU_CYCLE_1) | instskip(NEXT) | instid1(SALU_CYCLE_1)
	s_or_b32 exec_lo, exec_lo, s1
	s_mov_b32 s1, exec_lo
	v_cmpx_gt_i32_e64 s4, v2
	s_cbranch_execz .LBB233_142
.LBB233_129:
	s_wait_loadcnt 0x0
	v_lshlrev_b32_e32 v11, 16, v3
	s_mov_b32 s3, exec_lo
	s_delay_alu instid0(VALU_DEP_1)
	v_cmpx_o_f32_e32 v11, v11
	s_cbranch_execz .LBB233_141
; %bb.130:
	s_cmp_lt_i32 s5, 1
	s_mov_b32 s10, 0
	s_cbranch_scc1 .LBB233_134
; %bb.131:
	s_cmp_eq_u32 s5, 1
	s_cbranch_scc0 .LBB233_135
; %bb.132:
	v_max_num_f32_e64 v3, s6, s6
	v_max_num_f32_e32 v12, v11, v11
	s_mov_b32 s11, 0
	s_delay_alu instid0(VALU_DEP_1) | instskip(NEXT) | instid1(VALU_DEP_1)
	v_min_num_f32_e32 v3, v12, v3
	v_bfe_u32 v12, v3, 16, 1
	s_delay_alu instid0(VALU_DEP_1) | instskip(NEXT) | instid1(VALU_DEP_1)
	v_add3_u32 v3, v3, v12, 0x7fff
	v_lshrrev_b32_e32 v3, 16, v3
	s_branch .LBB233_136
.LBB233_133:
	v_max_num_f32_e64 v5, s6, s6
	v_max_num_f32_e64 v12, s7, s7
	s_delay_alu instid0(VALU_DEP_1) | instskip(NEXT) | instid1(VALU_DEP_1)
	v_maxmin_num_f32 v5, v11, v5, v12
	v_bfe_u32 v12, v5, 16, 1
	s_delay_alu instid0(VALU_DEP_1) | instskip(NEXT) | instid1(VALU_DEP_1)
	v_add3_u32 v5, v5, v12, 0x7fff
	v_lshrrev_b32_e32 v5, 16, v5
	s_cbranch_execz .LBB233_127
	s_branch .LBB233_128
.LBB233_134:
	s_mov_b32 s11, 0
                                        ; implicit-def: $vgpr3
	s_cbranch_execnz .LBB233_137
	s_branch .LBB233_138
.LBB233_135:
	s_mov_b32 s11, -1
                                        ; implicit-def: $vgpr3
.LBB233_136:
	s_branch .LBB233_138
.LBB233_137:
	s_cmp_lg_u32 s5, 0
	s_mov_b32 s10, -1
	s_cselect_b32 s11, -1, 0
.LBB233_138:
	v_max_num_f32_e32 v11, v11, v11
	s_and_not1_b32 vcc_lo, exec_lo, s11
	s_cbranch_vccz .LBB233_147
; %bb.139:
	s_and_not1_b32 vcc_lo, exec_lo, s10
	s_cbranch_vccnz .LBB233_141
.LBB233_140:
	v_max_num_f32_e64 v3, s6, s6
	s_delay_alu instid0(VALU_DEP_1) | instskip(NEXT) | instid1(VALU_DEP_1)
	v_max_num_f32_e32 v3, v11, v3
	v_bfe_u32 v11, v3, 16, 1
	s_delay_alu instid0(VALU_DEP_1) | instskip(NEXT) | instid1(VALU_DEP_1)
	v_add3_u32 v3, v3, v11, 0x7fff
	v_lshrrev_b32_e32 v3, 16, v3
.LBB233_141:
	s_or_b32 exec_lo, exec_lo, s3
.LBB233_142:
	s_delay_alu instid0(SALU_CYCLE_1) | instskip(SKIP_2) | instid1(VALU_DEP_1)
	s_or_b32 exec_lo, exec_lo, s1
	v_or_b32_e32 v11, 0x200, v0
	s_mov_b32 s1, exec_lo
	v_cmpx_gt_i32_e64 s4, v11
	s_cbranch_execz .LBB233_156
; %bb.143:
	s_wait_loadcnt 0x0
	v_lshlrev_b32_e32 v11, 16, v7
	s_mov_b32 s3, exec_lo
	s_delay_alu instid0(VALU_DEP_1)
	v_cmpx_o_f32_e32 v11, v11
	s_cbranch_execz .LBB233_155
; %bb.144:
	s_cmp_lt_i32 s5, 1
	s_mov_b32 s10, 0
	s_cbranch_scc1 .LBB233_148
; %bb.145:
	s_cmp_eq_u32 s5, 1
	s_cbranch_scc0 .LBB233_149
; %bb.146:
	v_max_num_f32_e64 v7, s6, s6
	v_max_num_f32_e32 v12, v11, v11
	s_mov_b32 s11, 0
	s_delay_alu instid0(VALU_DEP_1) | instskip(NEXT) | instid1(VALU_DEP_1)
	v_min_num_f32_e32 v7, v12, v7
	v_bfe_u32 v12, v7, 16, 1
	s_delay_alu instid0(VALU_DEP_1) | instskip(NEXT) | instid1(VALU_DEP_1)
	v_add3_u32 v7, v7, v12, 0x7fff
	v_lshrrev_b32_e32 v7, 16, v7
	s_branch .LBB233_150
.LBB233_147:
	v_max_num_f32_e64 v3, s6, s6
	v_max_num_f32_e64 v12, s7, s7
	s_delay_alu instid0(VALU_DEP_1) | instskip(NEXT) | instid1(VALU_DEP_1)
	v_maxmin_num_f32 v3, v11, v3, v12
	v_bfe_u32 v12, v3, 16, 1
	s_delay_alu instid0(VALU_DEP_1) | instskip(NEXT) | instid1(VALU_DEP_1)
	v_add3_u32 v3, v3, v12, 0x7fff
	v_lshrrev_b32_e32 v3, 16, v3
	s_cbranch_execz .LBB233_140
	s_branch .LBB233_141
.LBB233_148:
	s_mov_b32 s11, 0
                                        ; implicit-def: $vgpr7
	s_cbranch_execnz .LBB233_151
	s_branch .LBB233_152
.LBB233_149:
	s_mov_b32 s11, -1
                                        ; implicit-def: $vgpr7
.LBB233_150:
	s_branch .LBB233_152
.LBB233_151:
	s_cmp_lg_u32 s5, 0
	s_mov_b32 s10, -1
	s_cselect_b32 s11, -1, 0
.LBB233_152:
	v_max_num_f32_e32 v11, v11, v11
	s_and_not1_b32 vcc_lo, exec_lo, s11
	s_cbranch_vccz .LBB233_161
; %bb.153:
	s_and_not1_b32 vcc_lo, exec_lo, s10
	s_cbranch_vccnz .LBB233_155
.LBB233_154:
	v_max_num_f32_e64 v7, s6, s6
	s_delay_alu instid0(VALU_DEP_1) | instskip(NEXT) | instid1(VALU_DEP_1)
	v_max_num_f32_e32 v7, v11, v7
	v_bfe_u32 v11, v7, 16, 1
	s_delay_alu instid0(VALU_DEP_1) | instskip(NEXT) | instid1(VALU_DEP_1)
	v_add3_u32 v7, v7, v11, 0x7fff
	v_lshrrev_b32_e32 v7, 16, v7
.LBB233_155:
	s_or_b32 exec_lo, exec_lo, s3
.LBB233_156:
	s_delay_alu instid0(SALU_CYCLE_1) | instskip(SKIP_2) | instid1(VALU_DEP_1)
	s_or_b32 exec_lo, exec_lo, s1
	v_or_b32_e32 v11, 0x300, v0
	s_mov_b32 s1, exec_lo
	v_cmpx_gt_i32_e64 s4, v11
	s_cbranch_execz .LBB233_170
; %bb.157:
	s_wait_loadcnt 0x0
	v_lshlrev_b32_e32 v11, 16, v4
	s_mov_b32 s3, exec_lo
	s_delay_alu instid0(VALU_DEP_1)
	v_cmpx_o_f32_e32 v11, v11
	s_cbranch_execz .LBB233_169
; %bb.158:
	s_cmp_lt_i32 s5, 1
	s_mov_b32 s10, 0
	s_cbranch_scc1 .LBB233_162
; %bb.159:
	s_cmp_eq_u32 s5, 1
	s_cbranch_scc0 .LBB233_163
; %bb.160:
	v_max_num_f32_e64 v4, s6, s6
	v_max_num_f32_e32 v12, v11, v11
	s_mov_b32 s11, 0
	s_delay_alu instid0(VALU_DEP_1) | instskip(NEXT) | instid1(VALU_DEP_1)
	v_min_num_f32_e32 v4, v12, v4
	v_bfe_u32 v12, v4, 16, 1
	s_delay_alu instid0(VALU_DEP_1) | instskip(NEXT) | instid1(VALU_DEP_1)
	v_add3_u32 v4, v4, v12, 0x7fff
	v_lshrrev_b32_e32 v4, 16, v4
	s_branch .LBB233_164
.LBB233_161:
	v_max_num_f32_e64 v7, s6, s6
	v_max_num_f32_e64 v12, s7, s7
	s_delay_alu instid0(VALU_DEP_1) | instskip(NEXT) | instid1(VALU_DEP_1)
	v_maxmin_num_f32 v7, v11, v7, v12
	v_bfe_u32 v12, v7, 16, 1
	s_delay_alu instid0(VALU_DEP_1) | instskip(NEXT) | instid1(VALU_DEP_1)
	v_add3_u32 v7, v7, v12, 0x7fff
	v_lshrrev_b32_e32 v7, 16, v7
	s_cbranch_execz .LBB233_154
	s_branch .LBB233_155
.LBB233_162:
	s_mov_b32 s11, 0
                                        ; implicit-def: $vgpr4
	s_cbranch_execnz .LBB233_165
	s_branch .LBB233_166
.LBB233_163:
	s_mov_b32 s11, -1
                                        ; implicit-def: $vgpr4
.LBB233_164:
	s_branch .LBB233_166
.LBB233_165:
	s_cmp_lg_u32 s5, 0
	s_mov_b32 s10, -1
	s_cselect_b32 s11, -1, 0
.LBB233_166:
	v_max_num_f32_e32 v11, v11, v11
	s_and_not1_b32 vcc_lo, exec_lo, s11
	s_cbranch_vccz .LBB233_175
; %bb.167:
	s_and_not1_b32 vcc_lo, exec_lo, s10
	s_cbranch_vccnz .LBB233_169
.LBB233_168:
	v_max_num_f32_e64 v4, s6, s6
	s_delay_alu instid0(VALU_DEP_1) | instskip(NEXT) | instid1(VALU_DEP_1)
	v_max_num_f32_e32 v4, v11, v4
	v_bfe_u32 v11, v4, 16, 1
	s_delay_alu instid0(VALU_DEP_1) | instskip(NEXT) | instid1(VALU_DEP_1)
	v_add3_u32 v4, v4, v11, 0x7fff
	v_lshrrev_b32_e32 v4, 16, v4
.LBB233_169:
	s_or_b32 exec_lo, exec_lo, s3
.LBB233_170:
	s_delay_alu instid0(SALU_CYCLE_1) | instskip(SKIP_2) | instid1(VALU_DEP_1)
	s_or_b32 exec_lo, exec_lo, s1
	v_or_b32_e32 v11, 0x400, v0
	s_mov_b32 s1, exec_lo
	v_cmpx_gt_i32_e64 s4, v11
	s_cbranch_execz .LBB233_184
; %bb.171:
	s_wait_loadcnt 0x0
	v_lshlrev_b32_e32 v11, 16, v9
	s_mov_b32 s3, exec_lo
	s_delay_alu instid0(VALU_DEP_1)
	v_cmpx_o_f32_e32 v11, v11
	s_cbranch_execz .LBB233_183
; %bb.172:
	s_cmp_lt_i32 s5, 1
	s_mov_b32 s10, 0
	s_cbranch_scc1 .LBB233_176
; %bb.173:
	s_cmp_eq_u32 s5, 1
	s_cbranch_scc0 .LBB233_177
; %bb.174:
	v_max_num_f32_e64 v9, s6, s6
	v_max_num_f32_e32 v12, v11, v11
	s_mov_b32 s11, 0
	s_delay_alu instid0(VALU_DEP_1) | instskip(NEXT) | instid1(VALU_DEP_1)
	v_min_num_f32_e32 v9, v12, v9
	v_bfe_u32 v12, v9, 16, 1
	s_delay_alu instid0(VALU_DEP_1) | instskip(NEXT) | instid1(VALU_DEP_1)
	v_add3_u32 v9, v9, v12, 0x7fff
	v_lshrrev_b32_e32 v9, 16, v9
	s_branch .LBB233_178
.LBB233_175:
	v_max_num_f32_e64 v4, s6, s6
	v_max_num_f32_e64 v12, s7, s7
	s_delay_alu instid0(VALU_DEP_1) | instskip(NEXT) | instid1(VALU_DEP_1)
	v_maxmin_num_f32 v4, v11, v4, v12
	v_bfe_u32 v12, v4, 16, 1
	s_delay_alu instid0(VALU_DEP_1) | instskip(NEXT) | instid1(VALU_DEP_1)
	v_add3_u32 v4, v4, v12, 0x7fff
	v_lshrrev_b32_e32 v4, 16, v4
	s_cbranch_execz .LBB233_168
	s_branch .LBB233_169
.LBB233_176:
	s_mov_b32 s11, 0
                                        ; implicit-def: $vgpr9
	s_cbranch_execnz .LBB233_179
	s_branch .LBB233_180
.LBB233_177:
	s_mov_b32 s11, -1
                                        ; implicit-def: $vgpr9
.LBB233_178:
	s_branch .LBB233_180
.LBB233_179:
	s_cmp_lg_u32 s5, 0
	s_mov_b32 s10, -1
	s_cselect_b32 s11, -1, 0
.LBB233_180:
	v_max_num_f32_e32 v11, v11, v11
	s_and_not1_b32 vcc_lo, exec_lo, s11
	s_cbranch_vccz .LBB233_189
; %bb.181:
	s_and_not1_b32 vcc_lo, exec_lo, s10
	s_cbranch_vccnz .LBB233_183
.LBB233_182:
	v_max_num_f32_e64 v9, s6, s6
	s_delay_alu instid0(VALU_DEP_1) | instskip(NEXT) | instid1(VALU_DEP_1)
	v_max_num_f32_e32 v9, v11, v9
	v_bfe_u32 v11, v9, 16, 1
	s_delay_alu instid0(VALU_DEP_1) | instskip(NEXT) | instid1(VALU_DEP_1)
	v_add3_u32 v9, v9, v11, 0x7fff
	v_lshrrev_b32_e32 v9, 16, v9
.LBB233_183:
	s_or_b32 exec_lo, exec_lo, s3
.LBB233_184:
	s_delay_alu instid0(SALU_CYCLE_1) | instskip(SKIP_2) | instid1(VALU_DEP_1)
	s_or_b32 exec_lo, exec_lo, s1
	v_or_b32_e32 v11, 0x500, v0
	s_mov_b32 s1, exec_lo
	v_cmpx_gt_i32_e64 s4, v11
	s_cbranch_execz .LBB233_198
; %bb.185:
	s_wait_loadcnt 0x0
	v_lshlrev_b32_e32 v11, 16, v6
	s_mov_b32 s3, exec_lo
	s_delay_alu instid0(VALU_DEP_1)
	v_cmpx_o_f32_e32 v11, v11
	s_cbranch_execz .LBB233_197
; %bb.186:
	s_cmp_lt_i32 s5, 1
	s_mov_b32 s10, 0
	s_cbranch_scc1 .LBB233_190
; %bb.187:
	s_cmp_eq_u32 s5, 1
	s_cbranch_scc0 .LBB233_191
; %bb.188:
	v_max_num_f32_e64 v6, s6, s6
	v_max_num_f32_e32 v12, v11, v11
	s_mov_b32 s11, 0
	s_delay_alu instid0(VALU_DEP_1) | instskip(NEXT) | instid1(VALU_DEP_1)
	v_min_num_f32_e32 v6, v12, v6
	v_bfe_u32 v12, v6, 16, 1
	s_delay_alu instid0(VALU_DEP_1) | instskip(NEXT) | instid1(VALU_DEP_1)
	v_add3_u32 v6, v6, v12, 0x7fff
	v_lshrrev_b32_e32 v6, 16, v6
	s_branch .LBB233_192
.LBB233_189:
	v_max_num_f32_e64 v9, s6, s6
	v_max_num_f32_e64 v12, s7, s7
	s_delay_alu instid0(VALU_DEP_1) | instskip(NEXT) | instid1(VALU_DEP_1)
	v_maxmin_num_f32 v9, v11, v9, v12
	v_bfe_u32 v12, v9, 16, 1
	s_delay_alu instid0(VALU_DEP_1) | instskip(NEXT) | instid1(VALU_DEP_1)
	v_add3_u32 v9, v9, v12, 0x7fff
	v_lshrrev_b32_e32 v9, 16, v9
	s_cbranch_execz .LBB233_182
	s_branch .LBB233_183
.LBB233_190:
	s_mov_b32 s11, 0
                                        ; implicit-def: $vgpr6
	s_cbranch_execnz .LBB233_193
	s_branch .LBB233_194
.LBB233_191:
	s_mov_b32 s11, -1
                                        ; implicit-def: $vgpr6
.LBB233_192:
	s_branch .LBB233_194
.LBB233_193:
	s_cmp_lg_u32 s5, 0
	s_mov_b32 s10, -1
	s_cselect_b32 s11, -1, 0
.LBB233_194:
	v_max_num_f32_e32 v11, v11, v11
	s_and_not1_b32 vcc_lo, exec_lo, s11
	s_cbranch_vccz .LBB233_203
; %bb.195:
	s_and_not1_b32 vcc_lo, exec_lo, s10
	s_cbranch_vccnz .LBB233_197
.LBB233_196:
	v_max_num_f32_e64 v6, s6, s6
	s_delay_alu instid0(VALU_DEP_1) | instskip(NEXT) | instid1(VALU_DEP_1)
	v_max_num_f32_e32 v6, v11, v6
	v_bfe_u32 v11, v6, 16, 1
	s_delay_alu instid0(VALU_DEP_1) | instskip(NEXT) | instid1(VALU_DEP_1)
	v_add3_u32 v6, v6, v11, 0x7fff
	v_lshrrev_b32_e32 v6, 16, v6
.LBB233_197:
	s_or_b32 exec_lo, exec_lo, s3
.LBB233_198:
	s_delay_alu instid0(SALU_CYCLE_1) | instskip(SKIP_2) | instid1(VALU_DEP_1)
	s_or_b32 exec_lo, exec_lo, s1
	v_or_b32_e32 v11, 0x600, v0
	s_mov_b32 s1, exec_lo
	v_cmpx_gt_i32_e64 s4, v11
	s_cbranch_execz .LBB233_212
; %bb.199:
	s_wait_loadcnt 0x0
	v_lshlrev_b32_e32 v11, 16, v10
	s_mov_b32 s3, exec_lo
	s_delay_alu instid0(VALU_DEP_1)
	v_cmpx_o_f32_e32 v11, v11
	s_cbranch_execz .LBB233_211
; %bb.200:
	s_cmp_lt_i32 s5, 1
	s_mov_b32 s10, 0
	s_cbranch_scc1 .LBB233_204
; %bb.201:
	s_cmp_eq_u32 s5, 1
	s_cbranch_scc0 .LBB233_205
; %bb.202:
	v_max_num_f32_e64 v10, s6, s6
	v_max_num_f32_e32 v12, v11, v11
	s_mov_b32 s11, 0
	s_delay_alu instid0(VALU_DEP_1) | instskip(NEXT) | instid1(VALU_DEP_1)
	v_min_num_f32_e32 v10, v12, v10
	v_bfe_u32 v12, v10, 16, 1
	s_delay_alu instid0(VALU_DEP_1) | instskip(NEXT) | instid1(VALU_DEP_1)
	v_add3_u32 v10, v10, v12, 0x7fff
	v_lshrrev_b32_e32 v10, 16, v10
	s_branch .LBB233_206
.LBB233_203:
	v_max_num_f32_e64 v6, s6, s6
	v_max_num_f32_e64 v12, s7, s7
	s_delay_alu instid0(VALU_DEP_1) | instskip(NEXT) | instid1(VALU_DEP_1)
	v_maxmin_num_f32 v6, v11, v6, v12
	v_bfe_u32 v12, v6, 16, 1
	s_delay_alu instid0(VALU_DEP_1) | instskip(NEXT) | instid1(VALU_DEP_1)
	v_add3_u32 v6, v6, v12, 0x7fff
	v_lshrrev_b32_e32 v6, 16, v6
	s_cbranch_execz .LBB233_196
	s_branch .LBB233_197
.LBB233_204:
	s_mov_b32 s11, 0
                                        ; implicit-def: $vgpr10
	s_cbranch_execnz .LBB233_207
	s_branch .LBB233_208
.LBB233_205:
	s_mov_b32 s11, -1
                                        ; implicit-def: $vgpr10
.LBB233_206:
	s_branch .LBB233_208
.LBB233_207:
	s_cmp_lg_u32 s5, 0
	s_mov_b32 s10, -1
	s_cselect_b32 s11, -1, 0
.LBB233_208:
	v_max_num_f32_e32 v11, v11, v11
	s_and_not1_b32 vcc_lo, exec_lo, s11
	s_cbranch_vccz .LBB233_226
; %bb.209:
	s_and_not1_b32 vcc_lo, exec_lo, s10
	s_cbranch_vccnz .LBB233_211
.LBB233_210:
	v_max_num_f32_e64 v10, s6, s6
	s_delay_alu instid0(VALU_DEP_1) | instskip(NEXT) | instid1(VALU_DEP_1)
	v_max_num_f32_e32 v10, v11, v10
	v_bfe_u32 v11, v10, 16, 1
	s_delay_alu instid0(VALU_DEP_1) | instskip(NEXT) | instid1(VALU_DEP_1)
	v_add3_u32 v10, v10, v11, 0x7fff
	v_lshrrev_b32_e32 v10, 16, v10
.LBB233_211:
	s_or_b32 exec_lo, exec_lo, s3
.LBB233_212:
	s_delay_alu instid0(SALU_CYCLE_1) | instskip(SKIP_2) | instid1(VALU_DEP_1)
	s_or_b32 exec_lo, exec_lo, s1
	v_or_b32_e32 v11, 0x700, v0
	s_mov_b32 s1, exec_lo
	v_cmpx_gt_i32_e64 s4, v11
	s_cbranch_execnz .LBB233_222
; %bb.213:
	s_or_b32 exec_lo, exec_lo, s1
	s_and_saveexec_b32 s1, s0
	s_delay_alu instid0(SALU_CYCLE_1)
	s_xor_b32 s0, exec_lo, s1
	s_cbranch_execnz .LBB233_235
.LBB233_214:
	s_or_b32 exec_lo, exec_lo, s0
	s_delay_alu instid0(SALU_CYCLE_1)
	s_mov_b32 s0, exec_lo
	v_cmpx_gt_i32_e64 s4, v0
	s_cbranch_execnz .LBB233_236
.LBB233_215:
	s_or_b32 exec_lo, exec_lo, s0
	s_delay_alu instid0(SALU_CYCLE_1)
	s_mov_b32 s0, exec_lo
	v_cmpx_gt_i32_e64 s4, v0
	s_cbranch_execnz .LBB233_237
.LBB233_216:
	s_or_b32 exec_lo, exec_lo, s0
	s_delay_alu instid0(SALU_CYCLE_1)
	s_mov_b32 s0, exec_lo
	v_cmpx_gt_i32_e64 s4, v0
	s_cbranch_execnz .LBB233_238
.LBB233_217:
	s_or_b32 exec_lo, exec_lo, s0
	s_delay_alu instid0(SALU_CYCLE_1)
	s_mov_b32 s0, exec_lo
	v_cmpx_gt_i32_e64 s4, v0
	s_cbranch_execnz .LBB233_239
.LBB233_218:
	s_or_b32 exec_lo, exec_lo, s0
	s_delay_alu instid0(SALU_CYCLE_1)
	s_mov_b32 s0, exec_lo
	v_cmpx_gt_i32_e64 s4, v0
	s_cbranch_execnz .LBB233_240
.LBB233_219:
	s_or_b32 exec_lo, exec_lo, s0
	s_delay_alu instid0(SALU_CYCLE_1)
	s_mov_b32 s0, exec_lo
	v_cmpx_gt_i32_e64 s4, v0
	s_cbranch_execnz .LBB233_241
.LBB233_220:
	s_or_b32 exec_lo, exec_lo, s0
	s_delay_alu instid0(SALU_CYCLE_1)
	s_mov_b32 s0, exec_lo
	v_cmpx_gt_i32_e64 s4, v0
	s_cbranch_execz .LBB233_242
.LBB233_221:
	v_add_nc_u32_e32 v0, s2, v0
	s_wait_loadcnt 0x0
	global_store_b16 v0, v8, s[8:9] scale_offset
	s_endpgm
.LBB233_222:
	s_wait_loadcnt 0x0
	v_lshlrev_b32_e32 v11, 16, v8
	s_mov_b32 s3, exec_lo
	s_delay_alu instid0(VALU_DEP_1)
	v_cmpx_o_f32_e32 v11, v11
	s_cbranch_execz .LBB233_234
; %bb.223:
	s_cmp_lt_i32 s5, 1
	s_mov_b32 s10, 0
	s_cbranch_scc1 .LBB233_227
; %bb.224:
	s_cmp_eq_u32 s5, 1
	s_cbranch_scc0 .LBB233_228
; %bb.225:
	v_max_num_f32_e64 v8, s6, s6
	v_max_num_f32_e32 v12, v11, v11
	s_mov_b32 s11, 0
	s_delay_alu instid0(VALU_DEP_1) | instskip(NEXT) | instid1(VALU_DEP_1)
	v_min_num_f32_e32 v8, v12, v8
	v_bfe_u32 v12, v8, 16, 1
	s_delay_alu instid0(VALU_DEP_1) | instskip(NEXT) | instid1(VALU_DEP_1)
	v_add3_u32 v8, v8, v12, 0x7fff
	v_lshrrev_b32_e32 v8, 16, v8
	s_branch .LBB233_229
.LBB233_226:
	v_max_num_f32_e64 v10, s6, s6
	v_max_num_f32_e64 v12, s7, s7
	s_delay_alu instid0(VALU_DEP_1) | instskip(NEXT) | instid1(VALU_DEP_1)
	v_maxmin_num_f32 v10, v11, v10, v12
	v_bfe_u32 v12, v10, 16, 1
	s_delay_alu instid0(VALU_DEP_1) | instskip(NEXT) | instid1(VALU_DEP_1)
	v_add3_u32 v10, v10, v12, 0x7fff
	v_lshrrev_b32_e32 v10, 16, v10
	s_cbranch_execz .LBB233_210
	s_branch .LBB233_211
.LBB233_227:
	s_mov_b32 s11, 0
                                        ; implicit-def: $vgpr8
	s_cbranch_execnz .LBB233_230
	s_branch .LBB233_231
.LBB233_228:
	s_mov_b32 s11, -1
                                        ; implicit-def: $vgpr8
.LBB233_229:
	s_branch .LBB233_231
.LBB233_230:
	s_cmp_lg_u32 s5, 0
	s_mov_b32 s10, -1
	s_cselect_b32 s11, -1, 0
.LBB233_231:
	v_max_num_f32_e64 v12, s6, s6
	v_max_num_f32_e32 v11, v11, v11
	s_and_not1_b32 vcc_lo, exec_lo, s11
	s_cbranch_vccz .LBB233_243
; %bb.232:
	s_and_not1_b32 vcc_lo, exec_lo, s10
	s_cbranch_vccnz .LBB233_234
.LBB233_233:
	v_max_num_f32_e32 v8, v11, v12
	s_delay_alu instid0(VALU_DEP_1) | instskip(NEXT) | instid1(VALU_DEP_1)
	v_bfe_u32 v11, v8, 16, 1
	v_add3_u32 v8, v8, v11, 0x7fff
	s_delay_alu instid0(VALU_DEP_1)
	v_lshrrev_b32_e32 v8, 16, v8
.LBB233_234:
	s_or_b32 exec_lo, exec_lo, s3
	s_delay_alu instid0(SALU_CYCLE_1) | instskip(SKIP_1) | instid1(SALU_CYCLE_1)
	s_or_b32 exec_lo, exec_lo, s1
	s_and_saveexec_b32 s1, s0
	s_xor_b32 s0, exec_lo, s1
	s_cbranch_execz .LBB233_214
.LBB233_235:
	v_mov_b32_e32 v0, v2
	s_wait_loadcnt 0x0
	global_store_b16 v1, v5, s[8:9] scale_offset
	s_wait_xcnt 0x0
	s_or_b32 exec_lo, exec_lo, s0
	s_delay_alu instid0(SALU_CYCLE_1)
	s_mov_b32 s0, exec_lo
	v_cmpx_gt_i32_e64 s4, v0
	s_cbranch_execz .LBB233_215
.LBB233_236:
	v_add_nc_u32_e32 v1, s2, v0
	v_add_nc_u32_e32 v0, 0x100, v0
	s_wait_loadcnt 0x0
	global_store_b16 v1, v3, s[8:9] scale_offset
	s_wait_xcnt 0x0
	s_or_b32 exec_lo, exec_lo, s0
	s_delay_alu instid0(SALU_CYCLE_1)
	s_mov_b32 s0, exec_lo
	v_cmpx_gt_i32_e64 s4, v0
	s_cbranch_execz .LBB233_216
.LBB233_237:
	v_add_nc_u32_e32 v1, s2, v0
	v_add_nc_u32_e32 v0, 0x100, v0
	s_wait_loadcnt 0x0
	global_store_b16 v1, v7, s[8:9] scale_offset
	s_wait_xcnt 0x0
	s_or_b32 exec_lo, exec_lo, s0
	s_delay_alu instid0(SALU_CYCLE_1)
	s_mov_b32 s0, exec_lo
	v_cmpx_gt_i32_e64 s4, v0
	s_cbranch_execz .LBB233_217
.LBB233_238:
	v_add_nc_u32_e32 v1, s2, v0
	v_add_nc_u32_e32 v0, 0x100, v0
	s_wait_loadcnt 0x0
	global_store_b16 v1, v4, s[8:9] scale_offset
	s_wait_xcnt 0x0
	s_or_b32 exec_lo, exec_lo, s0
	s_delay_alu instid0(SALU_CYCLE_1)
	s_mov_b32 s0, exec_lo
	v_cmpx_gt_i32_e64 s4, v0
	s_cbranch_execz .LBB233_218
.LBB233_239:
	v_add_nc_u32_e32 v1, s2, v0
	v_add_nc_u32_e32 v0, 0x100, v0
	s_wait_loadcnt 0x0
	global_store_b16 v1, v9, s[8:9] scale_offset
	s_wait_xcnt 0x0
	s_or_b32 exec_lo, exec_lo, s0
	s_delay_alu instid0(SALU_CYCLE_1)
	s_mov_b32 s0, exec_lo
	v_cmpx_gt_i32_e64 s4, v0
	s_cbranch_execz .LBB233_219
.LBB233_240:
	v_add_nc_u32_e32 v1, s2, v0
	v_add_nc_u32_e32 v0, 0x100, v0
	s_wait_loadcnt 0x0
	global_store_b16 v1, v6, s[8:9] scale_offset
	s_wait_xcnt 0x0
	s_or_b32 exec_lo, exec_lo, s0
	s_delay_alu instid0(SALU_CYCLE_1)
	s_mov_b32 s0, exec_lo
	v_cmpx_gt_i32_e64 s4, v0
	s_cbranch_execz .LBB233_220
.LBB233_241:
	v_add_nc_u32_e32 v1, s2, v0
	v_add_nc_u32_e32 v0, 0x100, v0
	s_wait_loadcnt 0x0
	global_store_b16 v1, v10, s[8:9] scale_offset
	s_wait_xcnt 0x0
	s_or_b32 exec_lo, exec_lo, s0
	s_delay_alu instid0(SALU_CYCLE_1)
	s_mov_b32 s0, exec_lo
	v_cmpx_gt_i32_e64 s4, v0
	s_cbranch_execnz .LBB233_221
.LBB233_242:
	s_endpgm
.LBB233_243:
	v_max_num_f32_e64 v8, s7, s7
	s_delay_alu instid0(VALU_DEP_1) | instskip(NEXT) | instid1(VALU_DEP_1)
	v_maxmin_num_f32 v8, v11, v12, v8
	v_bfe_u32 v13, v8, 16, 1
	s_delay_alu instid0(VALU_DEP_1) | instskip(NEXT) | instid1(VALU_DEP_1)
	v_add3_u32 v8, v8, v13, 0x7fff
	v_lshrrev_b32_e32 v8, 16, v8
	s_cbranch_execz .LBB233_233
	s_branch .LBB233_234
	.section	.rodata,"a",@progbits
	.p2align	6, 0x0
	.amdhsa_kernel _ZN2at6native29vectorized_elementwise_kernelILi8EZZZNS0_12_GLOBAL__N_119launch_clamp_scalarERNS_18TensorIteratorBaseEN3c106ScalarES6_NS0_6detail11ClampLimitsEENKUlvE_clEvENKUlvE7_clEvEUlNS5_8BFloat16EE_St5arrayIPcLm2EEEEviT0_T1_
		.amdhsa_group_segment_fixed_size 0
		.amdhsa_private_segment_fixed_size 0
		.amdhsa_kernarg_size 32
		.amdhsa_user_sgpr_count 2
		.amdhsa_user_sgpr_dispatch_ptr 0
		.amdhsa_user_sgpr_queue_ptr 0
		.amdhsa_user_sgpr_kernarg_segment_ptr 1
		.amdhsa_user_sgpr_dispatch_id 0
		.amdhsa_user_sgpr_kernarg_preload_length 0
		.amdhsa_user_sgpr_kernarg_preload_offset 0
		.amdhsa_user_sgpr_private_segment_size 0
		.amdhsa_wavefront_size32 1
		.amdhsa_uses_dynamic_stack 0
		.amdhsa_enable_private_segment 0
		.amdhsa_system_sgpr_workgroup_id_x 1
		.amdhsa_system_sgpr_workgroup_id_y 0
		.amdhsa_system_sgpr_workgroup_id_z 0
		.amdhsa_system_sgpr_workgroup_info 0
		.amdhsa_system_vgpr_workitem_id 0
		.amdhsa_next_free_vgpr 14
		.amdhsa_next_free_sgpr 14
		.amdhsa_named_barrier_count 0
		.amdhsa_reserve_vcc 1
		.amdhsa_float_round_mode_32 0
		.amdhsa_float_round_mode_16_64 0
		.amdhsa_float_denorm_mode_32 3
		.amdhsa_float_denorm_mode_16_64 3
		.amdhsa_fp16_overflow 0
		.amdhsa_memory_ordered 1
		.amdhsa_forward_progress 1
		.amdhsa_inst_pref_size 46
		.amdhsa_round_robin_scheduling 0
		.amdhsa_exception_fp_ieee_invalid_op 0
		.amdhsa_exception_fp_denorm_src 0
		.amdhsa_exception_fp_ieee_div_zero 0
		.amdhsa_exception_fp_ieee_overflow 0
		.amdhsa_exception_fp_ieee_underflow 0
		.amdhsa_exception_fp_ieee_inexact 0
		.amdhsa_exception_int_div_zero 0
	.end_amdhsa_kernel
	.section	.text._ZN2at6native29vectorized_elementwise_kernelILi8EZZZNS0_12_GLOBAL__N_119launch_clamp_scalarERNS_18TensorIteratorBaseEN3c106ScalarES6_NS0_6detail11ClampLimitsEENKUlvE_clEvENKUlvE7_clEvEUlNS5_8BFloat16EE_St5arrayIPcLm2EEEEviT0_T1_,"axG",@progbits,_ZN2at6native29vectorized_elementwise_kernelILi8EZZZNS0_12_GLOBAL__N_119launch_clamp_scalarERNS_18TensorIteratorBaseEN3c106ScalarES6_NS0_6detail11ClampLimitsEENKUlvE_clEvENKUlvE7_clEvEUlNS5_8BFloat16EE_St5arrayIPcLm2EEEEviT0_T1_,comdat
.Lfunc_end233:
	.size	_ZN2at6native29vectorized_elementwise_kernelILi8EZZZNS0_12_GLOBAL__N_119launch_clamp_scalarERNS_18TensorIteratorBaseEN3c106ScalarES6_NS0_6detail11ClampLimitsEENKUlvE_clEvENKUlvE7_clEvEUlNS5_8BFloat16EE_St5arrayIPcLm2EEEEviT0_T1_, .Lfunc_end233-_ZN2at6native29vectorized_elementwise_kernelILi8EZZZNS0_12_GLOBAL__N_119launch_clamp_scalarERNS_18TensorIteratorBaseEN3c106ScalarES6_NS0_6detail11ClampLimitsEENKUlvE_clEvENKUlvE7_clEvEUlNS5_8BFloat16EE_St5arrayIPcLm2EEEEviT0_T1_
                                        ; -- End function
	.set _ZN2at6native29vectorized_elementwise_kernelILi8EZZZNS0_12_GLOBAL__N_119launch_clamp_scalarERNS_18TensorIteratorBaseEN3c106ScalarES6_NS0_6detail11ClampLimitsEENKUlvE_clEvENKUlvE7_clEvEUlNS5_8BFloat16EE_St5arrayIPcLm2EEEEviT0_T1_.num_vgpr, 14
	.set _ZN2at6native29vectorized_elementwise_kernelILi8EZZZNS0_12_GLOBAL__N_119launch_clamp_scalarERNS_18TensorIteratorBaseEN3c106ScalarES6_NS0_6detail11ClampLimitsEENKUlvE_clEvENKUlvE7_clEvEUlNS5_8BFloat16EE_St5arrayIPcLm2EEEEviT0_T1_.num_agpr, 0
	.set _ZN2at6native29vectorized_elementwise_kernelILi8EZZZNS0_12_GLOBAL__N_119launch_clamp_scalarERNS_18TensorIteratorBaseEN3c106ScalarES6_NS0_6detail11ClampLimitsEENKUlvE_clEvENKUlvE7_clEvEUlNS5_8BFloat16EE_St5arrayIPcLm2EEEEviT0_T1_.numbered_sgpr, 14
	.set _ZN2at6native29vectorized_elementwise_kernelILi8EZZZNS0_12_GLOBAL__N_119launch_clamp_scalarERNS_18TensorIteratorBaseEN3c106ScalarES6_NS0_6detail11ClampLimitsEENKUlvE_clEvENKUlvE7_clEvEUlNS5_8BFloat16EE_St5arrayIPcLm2EEEEviT0_T1_.num_named_barrier, 0
	.set _ZN2at6native29vectorized_elementwise_kernelILi8EZZZNS0_12_GLOBAL__N_119launch_clamp_scalarERNS_18TensorIteratorBaseEN3c106ScalarES6_NS0_6detail11ClampLimitsEENKUlvE_clEvENKUlvE7_clEvEUlNS5_8BFloat16EE_St5arrayIPcLm2EEEEviT0_T1_.private_seg_size, 0
	.set _ZN2at6native29vectorized_elementwise_kernelILi8EZZZNS0_12_GLOBAL__N_119launch_clamp_scalarERNS_18TensorIteratorBaseEN3c106ScalarES6_NS0_6detail11ClampLimitsEENKUlvE_clEvENKUlvE7_clEvEUlNS5_8BFloat16EE_St5arrayIPcLm2EEEEviT0_T1_.uses_vcc, 1
	.set _ZN2at6native29vectorized_elementwise_kernelILi8EZZZNS0_12_GLOBAL__N_119launch_clamp_scalarERNS_18TensorIteratorBaseEN3c106ScalarES6_NS0_6detail11ClampLimitsEENKUlvE_clEvENKUlvE7_clEvEUlNS5_8BFloat16EE_St5arrayIPcLm2EEEEviT0_T1_.uses_flat_scratch, 0
	.set _ZN2at6native29vectorized_elementwise_kernelILi8EZZZNS0_12_GLOBAL__N_119launch_clamp_scalarERNS_18TensorIteratorBaseEN3c106ScalarES6_NS0_6detail11ClampLimitsEENKUlvE_clEvENKUlvE7_clEvEUlNS5_8BFloat16EE_St5arrayIPcLm2EEEEviT0_T1_.has_dyn_sized_stack, 0
	.set _ZN2at6native29vectorized_elementwise_kernelILi8EZZZNS0_12_GLOBAL__N_119launch_clamp_scalarERNS_18TensorIteratorBaseEN3c106ScalarES6_NS0_6detail11ClampLimitsEENKUlvE_clEvENKUlvE7_clEvEUlNS5_8BFloat16EE_St5arrayIPcLm2EEEEviT0_T1_.has_recursion, 0
	.set _ZN2at6native29vectorized_elementwise_kernelILi8EZZZNS0_12_GLOBAL__N_119launch_clamp_scalarERNS_18TensorIteratorBaseEN3c106ScalarES6_NS0_6detail11ClampLimitsEENKUlvE_clEvENKUlvE7_clEvEUlNS5_8BFloat16EE_St5arrayIPcLm2EEEEviT0_T1_.has_indirect_call, 0
	.section	.AMDGPU.csdata,"",@progbits
; Kernel info:
; codeLenInByte = 5788
; TotalNumSgprs: 16
; NumVgprs: 14
; ScratchSize: 0
; MemoryBound: 0
; FloatMode: 240
; IeeeMode: 1
; LDSByteSize: 0 bytes/workgroup (compile time only)
; SGPRBlocks: 0
; VGPRBlocks: 0
; NumSGPRsForWavesPerEU: 16
; NumVGPRsForWavesPerEU: 14
; NamedBarCnt: 0
; Occupancy: 16
; WaveLimiterHint : 0
; COMPUTE_PGM_RSRC2:SCRATCH_EN: 0
; COMPUTE_PGM_RSRC2:USER_SGPR: 2
; COMPUTE_PGM_RSRC2:TRAP_HANDLER: 0
; COMPUTE_PGM_RSRC2:TGID_X_EN: 1
; COMPUTE_PGM_RSRC2:TGID_Y_EN: 0
; COMPUTE_PGM_RSRC2:TGID_Z_EN: 0
; COMPUTE_PGM_RSRC2:TIDIG_COMP_CNT: 0
	.section	.text._ZN2at6native29vectorized_elementwise_kernelILi4EZZZNS0_12_GLOBAL__N_119launch_clamp_scalarERNS_18TensorIteratorBaseEN3c106ScalarES6_NS0_6detail11ClampLimitsEENKUlvE_clEvENKUlvE7_clEvEUlNS5_8BFloat16EE_St5arrayIPcLm2EEEEviT0_T1_,"axG",@progbits,_ZN2at6native29vectorized_elementwise_kernelILi4EZZZNS0_12_GLOBAL__N_119launch_clamp_scalarERNS_18TensorIteratorBaseEN3c106ScalarES6_NS0_6detail11ClampLimitsEENKUlvE_clEvENKUlvE7_clEvEUlNS5_8BFloat16EE_St5arrayIPcLm2EEEEviT0_T1_,comdat
	.globl	_ZN2at6native29vectorized_elementwise_kernelILi4EZZZNS0_12_GLOBAL__N_119launch_clamp_scalarERNS_18TensorIteratorBaseEN3c106ScalarES6_NS0_6detail11ClampLimitsEENKUlvE_clEvENKUlvE7_clEvEUlNS5_8BFloat16EE_St5arrayIPcLm2EEEEviT0_T1_ ; -- Begin function _ZN2at6native29vectorized_elementwise_kernelILi4EZZZNS0_12_GLOBAL__N_119launch_clamp_scalarERNS_18TensorIteratorBaseEN3c106ScalarES6_NS0_6detail11ClampLimitsEENKUlvE_clEvENKUlvE7_clEvEUlNS5_8BFloat16EE_St5arrayIPcLm2EEEEviT0_T1_
	.p2align	8
	.type	_ZN2at6native29vectorized_elementwise_kernelILi4EZZZNS0_12_GLOBAL__N_119launch_clamp_scalarERNS_18TensorIteratorBaseEN3c106ScalarES6_NS0_6detail11ClampLimitsEENKUlvE_clEvENKUlvE7_clEvEUlNS5_8BFloat16EE_St5arrayIPcLm2EEEEviT0_T1_,@function
_ZN2at6native29vectorized_elementwise_kernelILi4EZZZNS0_12_GLOBAL__N_119launch_clamp_scalarERNS_18TensorIteratorBaseEN3c106ScalarES6_NS0_6detail11ClampLimitsEENKUlvE_clEvENKUlvE7_clEvEUlNS5_8BFloat16EE_St5arrayIPcLm2EEEEviT0_T1_: ; @_ZN2at6native29vectorized_elementwise_kernelILi4EZZZNS0_12_GLOBAL__N_119launch_clamp_scalarERNS_18TensorIteratorBaseEN3c106ScalarES6_NS0_6detail11ClampLimitsEENKUlvE_clEvENKUlvE7_clEvEUlNS5_8BFloat16EE_St5arrayIPcLm2EEEEviT0_T1_
; %bb.0:
	s_load_b256 s[4:11], s[0:1], 0x0
	s_wait_xcnt 0x0
	s_bfe_u32 s0, ttmp6, 0x4000c
	s_and_b32 s1, ttmp6, 15
	s_add_co_i32 s0, s0, 1
	s_getreg_b32 s2, hwreg(HW_REG_IB_STS2, 6, 4)
	s_mul_i32 s0, ttmp9, s0
	s_delay_alu instid0(SALU_CYCLE_1) | instskip(SKIP_2) | instid1(SALU_CYCLE_1)
	s_add_co_i32 s1, s1, s0
	s_cmp_eq_u32 s2, 0
	s_cselect_b32 s0, ttmp9, s1
	s_lshl_b32 s2, s0, 11
	s_mov_b32 s0, -1
	s_wait_kmcnt 0x0
	s_sub_co_i32 s4, s4, s2
	s_delay_alu instid0(SALU_CYCLE_1)
	s_cmp_gt_i32 s4, 0x7ff
	s_cbranch_scc0 .LBB234_97
; %bb.1:
	s_ashr_i32 s3, s2, 31
	s_delay_alu instid0(SALU_CYCLE_1)
	s_lshl_b64 s[0:1], s[2:3], 1
	s_mov_b32 s3, exec_lo
	s_add_nc_u64 s[12:13], s[10:11], s[0:1]
	s_clause 0x1
	global_load_b64 v[2:3], v0, s[12:13] scale_offset
	global_load_b64 v[4:5], v0, s[12:13] offset:2048 scale_offset
	s_wait_loadcnt 0x1
	v_dual_mov_b32 v1, v2 :: v_dual_lshlrev_b32 v6, 16, v2
	s_wait_xcnt 0x0
	s_delay_alu instid0(VALU_DEP_1)
	v_cmpx_o_f32_e32 v6, v6
	s_cbranch_execz .LBB234_12
; %bb.2:
	s_cmp_lt_i32 s5, 1
	s_mov_b32 s12, 0
	s_cbranch_scc1 .LBB234_5
; %bb.3:
	s_cmp_eq_u32 s5, 1
	s_cbranch_scc0 .LBB234_6
; %bb.4:
	v_max_num_f32_e64 v1, s6, s6
	v_max_num_f32_e32 v7, v6, v6
	s_mov_b32 s13, 0
	s_delay_alu instid0(VALU_DEP_1) | instskip(NEXT) | instid1(VALU_DEP_1)
	v_min_num_f32_e32 v1, v7, v1
	v_bfe_u32 v7, v1, 16, 1
	s_delay_alu instid0(VALU_DEP_1) | instskip(NEXT) | instid1(VALU_DEP_1)
	v_add3_u32 v1, v1, v7, 0x7fff
	v_lshrrev_b32_e32 v1, 16, v1
	s_branch .LBB234_7
.LBB234_5:
	s_mov_b32 s13, 0
                                        ; implicit-def: $vgpr1
	s_cbranch_execnz .LBB234_8
	s_branch .LBB234_9
.LBB234_6:
	s_mov_b32 s13, -1
                                        ; implicit-def: $vgpr1
.LBB234_7:
	s_branch .LBB234_9
.LBB234_8:
	s_cmp_lg_u32 s5, 0
	s_mov_b32 s12, -1
	s_cselect_b32 s13, -1, 0
.LBB234_9:
	v_max_num_f32_e32 v6, v6, v6
	s_and_not1_b32 vcc_lo, exec_lo, s13
	s_cbranch_vccz .LBB234_16
; %bb.10:
	s_and_not1_b32 vcc_lo, exec_lo, s12
	s_cbranch_vccnz .LBB234_12
.LBB234_11:
	v_max_num_f32_e64 v1, s6, s6
	s_delay_alu instid0(VALU_DEP_1) | instskip(NEXT) | instid1(VALU_DEP_1)
	v_max_num_f32_e32 v1, v6, v1
	v_bfe_u32 v6, v1, 16, 1
	s_delay_alu instid0(VALU_DEP_1) | instskip(NEXT) | instid1(VALU_DEP_1)
	v_add3_u32 v1, v1, v6, 0x7fff
	v_lshrrev_b32_e32 v1, 16, v1
.LBB234_12:
	s_or_b32 exec_lo, exec_lo, s3
	v_and_b32_e32 v6, 0xffff0000, v2
	s_mov_b32 s3, exec_lo
	s_delay_alu instid0(VALU_DEP_1)
	v_cmpx_o_f32_e32 v6, v6
	s_cbranch_execz .LBB234_24
; %bb.13:
	s_cmp_lt_i32 s5, 1
	s_mov_b32 s12, 0
	s_cbranch_scc1 .LBB234_17
; %bb.14:
	s_cmp_eq_u32 s5, 1
	s_cbranch_scc0 .LBB234_18
; %bb.15:
	v_max_num_f32_e64 v2, s6, s6
	v_max_num_f32_e32 v7, v6, v6
	s_mov_b32 s13, 0
	s_delay_alu instid0(VALU_DEP_1) | instskip(NEXT) | instid1(VALU_DEP_1)
	v_min_num_f32_e32 v2, v7, v2
	v_bfe_u32 v7, v2, 16, 1
	s_delay_alu instid0(VALU_DEP_1)
	v_add3_u32 v2, v2, v7, 0x7fff
	s_branch .LBB234_19
.LBB234_16:
	v_max_num_f32_e64 v1, s6, s6
	v_max_num_f32_e64 v7, s7, s7
	s_delay_alu instid0(VALU_DEP_1) | instskip(NEXT) | instid1(VALU_DEP_1)
	v_maxmin_num_f32 v1, v6, v1, v7
	v_bfe_u32 v7, v1, 16, 1
	s_delay_alu instid0(VALU_DEP_1) | instskip(NEXT) | instid1(VALU_DEP_1)
	v_add3_u32 v1, v1, v7, 0x7fff
	v_lshrrev_b32_e32 v1, 16, v1
	s_cbranch_execz .LBB234_11
	s_branch .LBB234_12
.LBB234_17:
	s_mov_b32 s13, 0
	s_cbranch_execnz .LBB234_20
	s_branch .LBB234_21
.LBB234_18:
	s_mov_b32 s13, -1
.LBB234_19:
	s_branch .LBB234_21
.LBB234_20:
	s_cmp_lg_u32 s5, 0
	s_mov_b32 s12, -1
	s_cselect_b32 s13, -1, 0
.LBB234_21:
	v_max_num_f32_e32 v6, v6, v6
	s_and_not1_b32 vcc_lo, exec_lo, s13
	s_cbranch_vccz .LBB234_28
; %bb.22:
	s_and_not1_b32 vcc_lo, exec_lo, s12
	s_cbranch_vccnz .LBB234_24
.LBB234_23:
	v_max_num_f32_e64 v2, s6, s6
	s_delay_alu instid0(VALU_DEP_1) | instskip(NEXT) | instid1(VALU_DEP_1)
	v_max_num_f32_e32 v2, v6, v2
	v_bfe_u32 v6, v2, 16, 1
	s_delay_alu instid0(VALU_DEP_1)
	v_add3_u32 v2, v2, v6, 0x7fff
.LBB234_24:
	s_or_b32 exec_lo, exec_lo, s3
	v_dual_mov_b32 v6, v3 :: v_dual_lshlrev_b32 v7, 16, v3
	s_mov_b32 s3, exec_lo
	s_delay_alu instid0(VALU_DEP_1)
	v_cmpx_o_f32_e32 v7, v7
	s_cbranch_execz .LBB234_36
; %bb.25:
	s_cmp_lt_i32 s5, 1
	s_mov_b32 s12, 0
	s_cbranch_scc1 .LBB234_29
; %bb.26:
	s_cmp_eq_u32 s5, 1
	s_cbranch_scc0 .LBB234_30
; %bb.27:
	v_max_num_f32_e64 v6, s6, s6
	v_max_num_f32_e32 v8, v7, v7
	s_mov_b32 s13, 0
	s_delay_alu instid0(VALU_DEP_1) | instskip(NEXT) | instid1(VALU_DEP_1)
	v_min_num_f32_e32 v6, v8, v6
	v_bfe_u32 v8, v6, 16, 1
	s_delay_alu instid0(VALU_DEP_1) | instskip(NEXT) | instid1(VALU_DEP_1)
	v_add3_u32 v6, v6, v8, 0x7fff
	v_lshrrev_b32_e32 v6, 16, v6
	s_branch .LBB234_31
.LBB234_28:
	v_max_num_f32_e64 v2, s6, s6
	v_max_num_f32_e64 v7, s7, s7
	s_delay_alu instid0(VALU_DEP_1) | instskip(NEXT) | instid1(VALU_DEP_1)
	v_maxmin_num_f32 v2, v6, v2, v7
	v_bfe_u32 v7, v2, 16, 1
	s_delay_alu instid0(VALU_DEP_1)
	v_add3_u32 v2, v2, v7, 0x7fff
	s_cbranch_execz .LBB234_23
	s_branch .LBB234_24
.LBB234_29:
	s_mov_b32 s13, 0
                                        ; implicit-def: $vgpr6
	s_cbranch_execnz .LBB234_32
	s_branch .LBB234_33
.LBB234_30:
	s_mov_b32 s13, -1
                                        ; implicit-def: $vgpr6
.LBB234_31:
	s_branch .LBB234_33
.LBB234_32:
	s_cmp_lg_u32 s5, 0
	s_mov_b32 s12, -1
	s_cselect_b32 s13, -1, 0
.LBB234_33:
	v_max_num_f32_e32 v7, v7, v7
	s_and_not1_b32 vcc_lo, exec_lo, s13
	s_cbranch_vccz .LBB234_40
; %bb.34:
	s_and_not1_b32 vcc_lo, exec_lo, s12
	s_cbranch_vccnz .LBB234_36
.LBB234_35:
	v_max_num_f32_e64 v6, s6, s6
	s_delay_alu instid0(VALU_DEP_1) | instskip(NEXT) | instid1(VALU_DEP_1)
	v_max_num_f32_e32 v6, v7, v6
	v_bfe_u32 v7, v6, 16, 1
	s_delay_alu instid0(VALU_DEP_1) | instskip(NEXT) | instid1(VALU_DEP_1)
	v_add3_u32 v6, v6, v7, 0x7fff
	v_lshrrev_b32_e32 v6, 16, v6
.LBB234_36:
	s_or_b32 exec_lo, exec_lo, s3
	v_and_b32_e32 v7, 0xffff0000, v3
	s_mov_b32 s3, exec_lo
	s_delay_alu instid0(VALU_DEP_1)
	v_cmpx_o_f32_e32 v7, v7
	s_cbranch_execz .LBB234_48
; %bb.37:
	s_cmp_lt_i32 s5, 1
	s_mov_b32 s12, 0
	s_cbranch_scc1 .LBB234_41
; %bb.38:
	s_cmp_eq_u32 s5, 1
	s_cbranch_scc0 .LBB234_42
; %bb.39:
	v_max_num_f32_e64 v3, s6, s6
	v_max_num_f32_e32 v8, v7, v7
	s_mov_b32 s13, 0
	s_delay_alu instid0(VALU_DEP_1) | instskip(NEXT) | instid1(VALU_DEP_1)
	v_min_num_f32_e32 v3, v8, v3
	v_bfe_u32 v8, v3, 16, 1
	s_delay_alu instid0(VALU_DEP_1)
	v_add3_u32 v3, v3, v8, 0x7fff
	s_branch .LBB234_43
.LBB234_40:
	v_max_num_f32_e64 v6, s6, s6
	v_max_num_f32_e64 v8, s7, s7
	s_delay_alu instid0(VALU_DEP_1) | instskip(NEXT) | instid1(VALU_DEP_1)
	v_maxmin_num_f32 v6, v7, v6, v8
	v_bfe_u32 v8, v6, 16, 1
	s_delay_alu instid0(VALU_DEP_1) | instskip(NEXT) | instid1(VALU_DEP_1)
	v_add3_u32 v6, v6, v8, 0x7fff
	v_lshrrev_b32_e32 v6, 16, v6
	s_cbranch_execz .LBB234_35
	s_branch .LBB234_36
.LBB234_41:
	s_mov_b32 s13, 0
	s_cbranch_execnz .LBB234_44
	s_branch .LBB234_45
.LBB234_42:
	s_mov_b32 s13, -1
.LBB234_43:
	s_branch .LBB234_45
.LBB234_44:
	s_cmp_lg_u32 s5, 0
	s_mov_b32 s12, -1
	s_cselect_b32 s13, -1, 0
.LBB234_45:
	v_max_num_f32_e32 v7, v7, v7
	s_and_not1_b32 vcc_lo, exec_lo, s13
	s_cbranch_vccz .LBB234_52
; %bb.46:
	s_and_not1_b32 vcc_lo, exec_lo, s12
	s_cbranch_vccnz .LBB234_48
.LBB234_47:
	v_max_num_f32_e64 v3, s6, s6
	s_delay_alu instid0(VALU_DEP_1) | instskip(NEXT) | instid1(VALU_DEP_1)
	v_max_num_f32_e32 v3, v7, v3
	v_bfe_u32 v7, v3, 16, 1
	s_delay_alu instid0(VALU_DEP_1)
	v_add3_u32 v3, v3, v7, 0x7fff
.LBB234_48:
	s_or_b32 exec_lo, exec_lo, s3
	s_wait_loadcnt 0x0
	v_dual_mov_b32 v7, v4 :: v_dual_lshlrev_b32 v8, 16, v4
	s_mov_b32 s3, exec_lo
	s_delay_alu instid0(VALU_DEP_1)
	v_cmpx_o_f32_e32 v8, v8
	s_cbranch_execz .LBB234_60
; %bb.49:
	s_cmp_lt_i32 s5, 1
	s_mov_b32 s12, 0
	s_cbranch_scc1 .LBB234_53
; %bb.50:
	s_cmp_eq_u32 s5, 1
	s_cbranch_scc0 .LBB234_54
; %bb.51:
	v_max_num_f32_e64 v7, s6, s6
	v_max_num_f32_e32 v9, v8, v8
	s_mov_b32 s13, 0
	s_delay_alu instid0(VALU_DEP_1) | instskip(NEXT) | instid1(VALU_DEP_1)
	v_min_num_f32_e32 v7, v9, v7
	v_bfe_u32 v9, v7, 16, 1
	s_delay_alu instid0(VALU_DEP_1) | instskip(NEXT) | instid1(VALU_DEP_1)
	v_add3_u32 v7, v7, v9, 0x7fff
	v_lshrrev_b32_e32 v7, 16, v7
	s_branch .LBB234_55
.LBB234_52:
	v_max_num_f32_e64 v3, s6, s6
	v_max_num_f32_e64 v8, s7, s7
	s_delay_alu instid0(VALU_DEP_1) | instskip(NEXT) | instid1(VALU_DEP_1)
	v_maxmin_num_f32 v3, v7, v3, v8
	v_bfe_u32 v8, v3, 16, 1
	s_delay_alu instid0(VALU_DEP_1)
	v_add3_u32 v3, v3, v8, 0x7fff
	s_cbranch_execz .LBB234_47
	s_branch .LBB234_48
.LBB234_53:
	s_mov_b32 s13, 0
                                        ; implicit-def: $vgpr7
	s_cbranch_execnz .LBB234_56
	s_branch .LBB234_57
.LBB234_54:
	s_mov_b32 s13, -1
                                        ; implicit-def: $vgpr7
.LBB234_55:
	s_branch .LBB234_57
.LBB234_56:
	s_cmp_lg_u32 s5, 0
	s_mov_b32 s12, -1
	s_cselect_b32 s13, -1, 0
.LBB234_57:
	v_max_num_f32_e32 v8, v8, v8
	s_and_not1_b32 vcc_lo, exec_lo, s13
	s_cbranch_vccz .LBB234_64
; %bb.58:
	s_and_not1_b32 vcc_lo, exec_lo, s12
	s_cbranch_vccnz .LBB234_60
.LBB234_59:
	v_max_num_f32_e64 v7, s6, s6
	s_delay_alu instid0(VALU_DEP_1) | instskip(NEXT) | instid1(VALU_DEP_1)
	v_max_num_f32_e32 v7, v8, v7
	v_bfe_u32 v8, v7, 16, 1
	s_delay_alu instid0(VALU_DEP_1) | instskip(NEXT) | instid1(VALU_DEP_1)
	v_add3_u32 v7, v7, v8, 0x7fff
	v_lshrrev_b32_e32 v7, 16, v7
.LBB234_60:
	s_or_b32 exec_lo, exec_lo, s3
	v_and_b32_e32 v8, 0xffff0000, v4
	s_mov_b32 s3, exec_lo
	s_delay_alu instid0(VALU_DEP_1)
	v_cmpx_o_f32_e32 v8, v8
	s_cbranch_execz .LBB234_72
; %bb.61:
	s_cmp_lt_i32 s5, 1
	s_mov_b32 s12, 0
	s_cbranch_scc1 .LBB234_65
; %bb.62:
	s_cmp_eq_u32 s5, 1
	s_cbranch_scc0 .LBB234_66
; %bb.63:
	v_max_num_f32_e64 v4, s6, s6
	v_max_num_f32_e32 v9, v8, v8
	s_mov_b32 s13, 0
	s_delay_alu instid0(VALU_DEP_1) | instskip(NEXT) | instid1(VALU_DEP_1)
	v_min_num_f32_e32 v4, v9, v4
	v_bfe_u32 v9, v4, 16, 1
	s_delay_alu instid0(VALU_DEP_1)
	v_add3_u32 v4, v4, v9, 0x7fff
	s_branch .LBB234_67
.LBB234_64:
	v_max_num_f32_e64 v7, s6, s6
	v_max_num_f32_e64 v9, s7, s7
	s_delay_alu instid0(VALU_DEP_1) | instskip(NEXT) | instid1(VALU_DEP_1)
	v_maxmin_num_f32 v7, v8, v7, v9
	v_bfe_u32 v9, v7, 16, 1
	s_delay_alu instid0(VALU_DEP_1) | instskip(NEXT) | instid1(VALU_DEP_1)
	v_add3_u32 v7, v7, v9, 0x7fff
	v_lshrrev_b32_e32 v7, 16, v7
	s_cbranch_execz .LBB234_59
	s_branch .LBB234_60
.LBB234_65:
	s_mov_b32 s13, 0
	s_cbranch_execnz .LBB234_68
	s_branch .LBB234_69
.LBB234_66:
	s_mov_b32 s13, -1
.LBB234_67:
	s_branch .LBB234_69
.LBB234_68:
	s_cmp_lg_u32 s5, 0
	s_mov_b32 s12, -1
	s_cselect_b32 s13, -1, 0
.LBB234_69:
	v_max_num_f32_e32 v8, v8, v8
	s_and_not1_b32 vcc_lo, exec_lo, s13
	s_cbranch_vccz .LBB234_76
; %bb.70:
	s_and_not1_b32 vcc_lo, exec_lo, s12
	s_cbranch_vccnz .LBB234_72
.LBB234_71:
	v_max_num_f32_e64 v4, s6, s6
	s_delay_alu instid0(VALU_DEP_1) | instskip(NEXT) | instid1(VALU_DEP_1)
	v_max_num_f32_e32 v4, v8, v4
	v_bfe_u32 v8, v4, 16, 1
	s_delay_alu instid0(VALU_DEP_1)
	v_add3_u32 v4, v4, v8, 0x7fff
.LBB234_72:
	s_or_b32 exec_lo, exec_lo, s3
	v_dual_mov_b32 v8, v5 :: v_dual_lshlrev_b32 v9, 16, v5
	s_mov_b32 s3, exec_lo
	s_delay_alu instid0(VALU_DEP_1)
	v_cmpx_o_f32_e32 v9, v9
	s_cbranch_execz .LBB234_84
; %bb.73:
	s_cmp_lt_i32 s5, 1
	s_mov_b32 s12, 0
	s_cbranch_scc1 .LBB234_77
; %bb.74:
	s_cmp_eq_u32 s5, 1
	s_cbranch_scc0 .LBB234_78
; %bb.75:
	v_max_num_f32_e64 v8, s6, s6
	v_max_num_f32_e32 v10, v9, v9
	s_mov_b32 s13, 0
	s_delay_alu instid0(VALU_DEP_1) | instskip(NEXT) | instid1(VALU_DEP_1)
	v_min_num_f32_e32 v8, v10, v8
	v_bfe_u32 v10, v8, 16, 1
	s_delay_alu instid0(VALU_DEP_1) | instskip(NEXT) | instid1(VALU_DEP_1)
	v_add3_u32 v8, v8, v10, 0x7fff
	v_lshrrev_b32_e32 v8, 16, v8
	s_branch .LBB234_79
.LBB234_76:
	v_max_num_f32_e64 v4, s6, s6
	v_max_num_f32_e64 v9, s7, s7
	s_delay_alu instid0(VALU_DEP_1) | instskip(NEXT) | instid1(VALU_DEP_1)
	v_maxmin_num_f32 v4, v8, v4, v9
	v_bfe_u32 v9, v4, 16, 1
	s_delay_alu instid0(VALU_DEP_1)
	v_add3_u32 v4, v4, v9, 0x7fff
	s_cbranch_execz .LBB234_71
	s_branch .LBB234_72
.LBB234_77:
	s_mov_b32 s13, 0
                                        ; implicit-def: $vgpr8
	s_cbranch_execnz .LBB234_80
	s_branch .LBB234_81
.LBB234_78:
	s_mov_b32 s13, -1
                                        ; implicit-def: $vgpr8
.LBB234_79:
	s_branch .LBB234_81
.LBB234_80:
	s_cmp_lg_u32 s5, 0
	s_mov_b32 s12, -1
	s_cselect_b32 s13, -1, 0
.LBB234_81:
	v_max_num_f32_e32 v9, v9, v9
	s_and_not1_b32 vcc_lo, exec_lo, s13
	s_cbranch_vccz .LBB234_88
; %bb.82:
	s_and_not1_b32 vcc_lo, exec_lo, s12
	s_cbranch_vccnz .LBB234_84
.LBB234_83:
	v_max_num_f32_e64 v8, s6, s6
	s_delay_alu instid0(VALU_DEP_1) | instskip(NEXT) | instid1(VALU_DEP_1)
	v_max_num_f32_e32 v8, v9, v8
	v_bfe_u32 v9, v8, 16, 1
	s_delay_alu instid0(VALU_DEP_1) | instskip(NEXT) | instid1(VALU_DEP_1)
	v_add3_u32 v8, v8, v9, 0x7fff
	v_lshrrev_b32_e32 v8, 16, v8
.LBB234_84:
	s_or_b32 exec_lo, exec_lo, s3
	v_and_b32_e32 v9, 0xffff0000, v5
	s_mov_b32 s3, exec_lo
	s_delay_alu instid0(VALU_DEP_1)
	v_cmpx_o_f32_e32 v9, v9
	s_cbranch_execz .LBB234_96
; %bb.85:
	s_cmp_lt_i32 s5, 1
	s_mov_b32 s12, 0
	s_cbranch_scc1 .LBB234_89
; %bb.86:
	s_cmp_eq_u32 s5, 1
	s_cbranch_scc0 .LBB234_90
; %bb.87:
	v_max_num_f32_e64 v5, s6, s6
	v_max_num_f32_e32 v10, v9, v9
	s_mov_b32 s13, 0
	s_delay_alu instid0(VALU_DEP_1) | instskip(NEXT) | instid1(VALU_DEP_1)
	v_min_num_f32_e32 v5, v10, v5
	v_bfe_u32 v10, v5, 16, 1
	s_delay_alu instid0(VALU_DEP_1)
	v_add3_u32 v5, v5, v10, 0x7fff
	s_branch .LBB234_91
.LBB234_88:
	v_max_num_f32_e64 v8, s6, s6
	v_max_num_f32_e64 v10, s7, s7
	s_delay_alu instid0(VALU_DEP_1) | instskip(NEXT) | instid1(VALU_DEP_1)
	v_maxmin_num_f32 v8, v9, v8, v10
	v_bfe_u32 v10, v8, 16, 1
	s_delay_alu instid0(VALU_DEP_1) | instskip(NEXT) | instid1(VALU_DEP_1)
	v_add3_u32 v8, v8, v10, 0x7fff
	v_lshrrev_b32_e32 v8, 16, v8
	s_cbranch_execz .LBB234_83
	s_branch .LBB234_84
.LBB234_89:
	s_mov_b32 s13, 0
	s_cbranch_execnz .LBB234_92
	s_branch .LBB234_93
.LBB234_90:
	s_mov_b32 s13, -1
.LBB234_91:
	s_branch .LBB234_93
.LBB234_92:
	s_cmp_lg_u32 s5, 0
	s_mov_b32 s12, -1
	s_cselect_b32 s13, -1, 0
.LBB234_93:
	v_max_num_f32_e32 v9, v9, v9
	s_and_not1_b32 vcc_lo, exec_lo, s13
	s_cbranch_vccz .LBB234_120
; %bb.94:
	s_and_not1_b32 vcc_lo, exec_lo, s12
	s_cbranch_vccnz .LBB234_96
.LBB234_95:
	v_max_num_f32_e64 v5, s6, s6
	s_delay_alu instid0(VALU_DEP_1) | instskip(NEXT) | instid1(VALU_DEP_1)
	v_max_num_f32_e32 v5, v9, v5
	v_bfe_u32 v9, v5, 16, 1
	s_delay_alu instid0(VALU_DEP_1)
	v_add3_u32 v5, v5, v9, 0x7fff
.LBB234_96:
	s_or_b32 exec_lo, exec_lo, s3
	v_and_b32_e32 v6, 0xffff, v6
	v_and_b32_e32 v3, 0xffff0000, v3
	;; [unrolled: 1-line block ×4, first 2 shown]
	v_bfi_b32 v2, 0xffff0000, v2, v1
	v_bfi_b32 v4, 0xffff0000, v4, v7
	v_or_b32_e32 v3, v3, v6
	s_add_nc_u64 s[12:13], s[8:9], s[0:1]
	v_or_b32_e32 v5, v5, v8
	s_mov_b32 s0, 0
	s_clause 0x1
	global_store_b64 v0, v[2:3], s[12:13] scale_offset
	global_store_b64 v0, v[4:5], s[12:13] offset:2048 scale_offset
.LBB234_97:
	s_and_b32 vcc_lo, exec_lo, s0
	s_cbranch_vccz .LBB234_242
; %bb.98:
	v_cmp_gt_i32_e64 s0, s4, v0
	s_wait_xcnt 0x1
	v_dual_mov_b32 v3, 0 :: v_dual_bitop2_b32 v1, s2, v0 bitop3:0x54
	v_or_b32_e32 v2, 0x100, v0
	s_wait_xcnt 0x0
	v_dual_mov_b32 v5, 0 :: v_dual_mov_b32 v11, v0
	s_and_saveexec_b32 s1, s0
	s_cbranch_execz .LBB234_100
; %bb.99:
	global_load_u16 v5, v1, s[10:11] scale_offset
	v_or_b32_e32 v11, 0x100, v0
.LBB234_100:
	s_wait_xcnt 0x0
	s_or_b32 exec_lo, exec_lo, s1
	s_delay_alu instid0(SALU_CYCLE_1) | instskip(NEXT) | instid1(VALU_DEP_1)
	s_mov_b32 s1, exec_lo
	v_cmpx_gt_i32_e64 s4, v11
	s_cbranch_execz .LBB234_102
; %bb.101:
	v_add_nc_u32_e32 v3, s2, v11
	v_add_nc_u32_e32 v11, 0x100, v11
	global_load_u16 v3, v3, s[10:11] scale_offset
.LBB234_102:
	s_wait_xcnt 0x0
	s_or_b32 exec_lo, exec_lo, s1
	v_dual_mov_b32 v4, 0 :: v_dual_mov_b32 v7, 0
	s_mov_b32 s1, exec_lo
	v_cmpx_gt_i32_e64 s4, v11
	s_cbranch_execz .LBB234_104
; %bb.103:
	v_add_nc_u32_e32 v6, s2, v11
	v_add_nc_u32_e32 v11, 0x100, v11
	global_load_u16 v7, v6, s[10:11] scale_offset
.LBB234_104:
	s_wait_xcnt 0x0
	s_or_b32 exec_lo, exec_lo, s1
	s_delay_alu instid0(SALU_CYCLE_1)
	s_mov_b32 s1, exec_lo
	v_cmpx_gt_i32_e64 s4, v11
	s_cbranch_execz .LBB234_106
; %bb.105:
	v_add_nc_u32_e32 v4, s2, v11
	v_add_nc_u32_e32 v11, 0x100, v11
	global_load_u16 v4, v4, s[10:11] scale_offset
.LBB234_106:
	s_wait_xcnt 0x0
	s_or_b32 exec_lo, exec_lo, s1
	v_dual_mov_b32 v6, 0 :: v_dual_mov_b32 v9, 0
	s_mov_b32 s1, exec_lo
	v_cmpx_gt_i32_e64 s4, v11
	s_cbranch_execz .LBB234_108
; %bb.107:
	v_add_nc_u32_e32 v8, s2, v11
	v_add_nc_u32_e32 v11, 0x100, v11
	global_load_u16 v9, v8, s[10:11] scale_offset
.LBB234_108:
	s_wait_xcnt 0x0
	s_or_b32 exec_lo, exec_lo, s1
	s_delay_alu instid0(SALU_CYCLE_1)
	s_mov_b32 s1, exec_lo
	v_cmpx_gt_i32_e64 s4, v11
	s_cbranch_execz .LBB234_110
; %bb.109:
	v_add_nc_u32_e32 v6, s2, v11
	v_add_nc_u32_e32 v11, 0x100, v11
	global_load_u16 v6, v6, s[10:11] scale_offset
.LBB234_110:
	s_wait_xcnt 0x0
	s_or_b32 exec_lo, exec_lo, s1
	v_dual_mov_b32 v8, 0 :: v_dual_mov_b32 v10, 0
	s_mov_b32 s1, exec_lo
	v_cmpx_gt_i32_e64 s4, v11
	s_cbranch_execnz .LBB234_114
; %bb.111:
	s_or_b32 exec_lo, exec_lo, s1
	s_delay_alu instid0(SALU_CYCLE_1)
	s_mov_b32 s1, exec_lo
	v_cmpx_gt_i32_e64 s4, v11
	s_cbranch_execnz .LBB234_115
.LBB234_112:
	s_or_b32 exec_lo, exec_lo, s1
	s_and_saveexec_b32 s1, s0
	s_cbranch_execnz .LBB234_116
.LBB234_113:
	s_or_b32 exec_lo, exec_lo, s1
	s_delay_alu instid0(SALU_CYCLE_1)
	s_mov_b32 s1, exec_lo
	v_cmpx_gt_i32_e64 s4, v2
	s_cbranch_execnz .LBB234_129
	s_branch .LBB234_142
.LBB234_114:
	v_add_nc_u32_e32 v10, s2, v11
	v_add_nc_u32_e32 v11, 0x100, v11
	global_load_u16 v10, v10, s[10:11] scale_offset
	s_wait_xcnt 0x0
	s_or_b32 exec_lo, exec_lo, s1
	s_delay_alu instid0(SALU_CYCLE_1)
	s_mov_b32 s1, exec_lo
	v_cmpx_gt_i32_e64 s4, v11
	s_cbranch_execz .LBB234_112
.LBB234_115:
	v_add_nc_u32_e32 v8, s2, v11
	global_load_u16 v8, v8, s[10:11] scale_offset
	s_wait_xcnt 0x0
	s_or_b32 exec_lo, exec_lo, s1
	s_and_saveexec_b32 s1, s0
	s_cbranch_execz .LBB234_113
.LBB234_116:
	s_wait_loadcnt 0x0
	v_lshlrev_b32_e32 v11, 16, v5
	s_mov_b32 s3, exec_lo
	s_delay_alu instid0(VALU_DEP_1)
	v_cmpx_o_f32_e32 v11, v11
	s_cbranch_execz .LBB234_128
; %bb.117:
	s_cmp_lt_i32 s5, 1
	s_mov_b32 s10, 0
	s_cbranch_scc1 .LBB234_121
; %bb.118:
	s_cmp_eq_u32 s5, 1
	s_cbranch_scc0 .LBB234_122
; %bb.119:
	v_max_num_f32_e64 v5, s6, s6
	v_max_num_f32_e32 v12, v11, v11
	s_mov_b32 s11, 0
	s_delay_alu instid0(VALU_DEP_1) | instskip(NEXT) | instid1(VALU_DEP_1)
	v_min_num_f32_e32 v5, v12, v5
	v_bfe_u32 v12, v5, 16, 1
	s_delay_alu instid0(VALU_DEP_1) | instskip(NEXT) | instid1(VALU_DEP_1)
	v_add3_u32 v5, v5, v12, 0x7fff
	v_lshrrev_b32_e32 v5, 16, v5
	s_branch .LBB234_123
.LBB234_120:
	v_max_num_f32_e64 v5, s6, s6
	v_max_num_f32_e64 v10, s7, s7
	s_delay_alu instid0(VALU_DEP_1) | instskip(NEXT) | instid1(VALU_DEP_1)
	v_maxmin_num_f32 v5, v9, v5, v10
	v_bfe_u32 v10, v5, 16, 1
	s_delay_alu instid0(VALU_DEP_1)
	v_add3_u32 v5, v5, v10, 0x7fff
	s_cbranch_execz .LBB234_95
	s_branch .LBB234_96
.LBB234_121:
	s_mov_b32 s11, 0
                                        ; implicit-def: $vgpr5
	s_cbranch_execnz .LBB234_124
	s_branch .LBB234_125
.LBB234_122:
	s_mov_b32 s11, -1
                                        ; implicit-def: $vgpr5
.LBB234_123:
	s_branch .LBB234_125
.LBB234_124:
	s_cmp_lg_u32 s5, 0
	s_mov_b32 s10, -1
	s_cselect_b32 s11, -1, 0
.LBB234_125:
	v_max_num_f32_e32 v11, v11, v11
	s_and_not1_b32 vcc_lo, exec_lo, s11
	s_cbranch_vccz .LBB234_133
; %bb.126:
	s_and_not1_b32 vcc_lo, exec_lo, s10
	s_cbranch_vccnz .LBB234_128
.LBB234_127:
	v_max_num_f32_e64 v5, s6, s6
	s_delay_alu instid0(VALU_DEP_1) | instskip(NEXT) | instid1(VALU_DEP_1)
	v_max_num_f32_e32 v5, v11, v5
	v_bfe_u32 v11, v5, 16, 1
	s_delay_alu instid0(VALU_DEP_1) | instskip(NEXT) | instid1(VALU_DEP_1)
	v_add3_u32 v5, v5, v11, 0x7fff
	v_lshrrev_b32_e32 v5, 16, v5
.LBB234_128:
	s_or_b32 exec_lo, exec_lo, s3
	s_delay_alu instid0(SALU_CYCLE_1) | instskip(NEXT) | instid1(SALU_CYCLE_1)
	s_or_b32 exec_lo, exec_lo, s1
	s_mov_b32 s1, exec_lo
	v_cmpx_gt_i32_e64 s4, v2
	s_cbranch_execz .LBB234_142
.LBB234_129:
	s_wait_loadcnt 0x0
	v_lshlrev_b32_e32 v11, 16, v3
	s_mov_b32 s3, exec_lo
	s_delay_alu instid0(VALU_DEP_1)
	v_cmpx_o_f32_e32 v11, v11
	s_cbranch_execz .LBB234_141
; %bb.130:
	s_cmp_lt_i32 s5, 1
	s_mov_b32 s10, 0
	s_cbranch_scc1 .LBB234_134
; %bb.131:
	s_cmp_eq_u32 s5, 1
	s_cbranch_scc0 .LBB234_135
; %bb.132:
	v_max_num_f32_e64 v3, s6, s6
	v_max_num_f32_e32 v12, v11, v11
	s_mov_b32 s11, 0
	s_delay_alu instid0(VALU_DEP_1) | instskip(NEXT) | instid1(VALU_DEP_1)
	v_min_num_f32_e32 v3, v12, v3
	v_bfe_u32 v12, v3, 16, 1
	s_delay_alu instid0(VALU_DEP_1) | instskip(NEXT) | instid1(VALU_DEP_1)
	v_add3_u32 v3, v3, v12, 0x7fff
	v_lshrrev_b32_e32 v3, 16, v3
	s_branch .LBB234_136
.LBB234_133:
	v_max_num_f32_e64 v5, s6, s6
	v_max_num_f32_e64 v12, s7, s7
	s_delay_alu instid0(VALU_DEP_1) | instskip(NEXT) | instid1(VALU_DEP_1)
	v_maxmin_num_f32 v5, v11, v5, v12
	v_bfe_u32 v12, v5, 16, 1
	s_delay_alu instid0(VALU_DEP_1) | instskip(NEXT) | instid1(VALU_DEP_1)
	v_add3_u32 v5, v5, v12, 0x7fff
	v_lshrrev_b32_e32 v5, 16, v5
	s_cbranch_execz .LBB234_127
	s_branch .LBB234_128
.LBB234_134:
	s_mov_b32 s11, 0
                                        ; implicit-def: $vgpr3
	s_cbranch_execnz .LBB234_137
	s_branch .LBB234_138
.LBB234_135:
	s_mov_b32 s11, -1
                                        ; implicit-def: $vgpr3
.LBB234_136:
	s_branch .LBB234_138
.LBB234_137:
	s_cmp_lg_u32 s5, 0
	s_mov_b32 s10, -1
	s_cselect_b32 s11, -1, 0
.LBB234_138:
	v_max_num_f32_e32 v11, v11, v11
	s_and_not1_b32 vcc_lo, exec_lo, s11
	s_cbranch_vccz .LBB234_147
; %bb.139:
	s_and_not1_b32 vcc_lo, exec_lo, s10
	s_cbranch_vccnz .LBB234_141
.LBB234_140:
	v_max_num_f32_e64 v3, s6, s6
	s_delay_alu instid0(VALU_DEP_1) | instskip(NEXT) | instid1(VALU_DEP_1)
	v_max_num_f32_e32 v3, v11, v3
	v_bfe_u32 v11, v3, 16, 1
	s_delay_alu instid0(VALU_DEP_1) | instskip(NEXT) | instid1(VALU_DEP_1)
	v_add3_u32 v3, v3, v11, 0x7fff
	v_lshrrev_b32_e32 v3, 16, v3
.LBB234_141:
	s_or_b32 exec_lo, exec_lo, s3
.LBB234_142:
	s_delay_alu instid0(SALU_CYCLE_1) | instskip(SKIP_2) | instid1(VALU_DEP_1)
	s_or_b32 exec_lo, exec_lo, s1
	v_or_b32_e32 v11, 0x200, v0
	s_mov_b32 s1, exec_lo
	v_cmpx_gt_i32_e64 s4, v11
	s_cbranch_execz .LBB234_156
; %bb.143:
	s_wait_loadcnt 0x0
	v_lshlrev_b32_e32 v11, 16, v7
	s_mov_b32 s3, exec_lo
	s_delay_alu instid0(VALU_DEP_1)
	v_cmpx_o_f32_e32 v11, v11
	s_cbranch_execz .LBB234_155
; %bb.144:
	s_cmp_lt_i32 s5, 1
	s_mov_b32 s10, 0
	s_cbranch_scc1 .LBB234_148
; %bb.145:
	s_cmp_eq_u32 s5, 1
	s_cbranch_scc0 .LBB234_149
; %bb.146:
	v_max_num_f32_e64 v7, s6, s6
	v_max_num_f32_e32 v12, v11, v11
	s_mov_b32 s11, 0
	s_delay_alu instid0(VALU_DEP_1) | instskip(NEXT) | instid1(VALU_DEP_1)
	v_min_num_f32_e32 v7, v12, v7
	v_bfe_u32 v12, v7, 16, 1
	s_delay_alu instid0(VALU_DEP_1) | instskip(NEXT) | instid1(VALU_DEP_1)
	v_add3_u32 v7, v7, v12, 0x7fff
	v_lshrrev_b32_e32 v7, 16, v7
	s_branch .LBB234_150
.LBB234_147:
	v_max_num_f32_e64 v3, s6, s6
	v_max_num_f32_e64 v12, s7, s7
	s_delay_alu instid0(VALU_DEP_1) | instskip(NEXT) | instid1(VALU_DEP_1)
	v_maxmin_num_f32 v3, v11, v3, v12
	v_bfe_u32 v12, v3, 16, 1
	s_delay_alu instid0(VALU_DEP_1) | instskip(NEXT) | instid1(VALU_DEP_1)
	v_add3_u32 v3, v3, v12, 0x7fff
	v_lshrrev_b32_e32 v3, 16, v3
	s_cbranch_execz .LBB234_140
	s_branch .LBB234_141
.LBB234_148:
	s_mov_b32 s11, 0
                                        ; implicit-def: $vgpr7
	s_cbranch_execnz .LBB234_151
	s_branch .LBB234_152
.LBB234_149:
	s_mov_b32 s11, -1
                                        ; implicit-def: $vgpr7
.LBB234_150:
	s_branch .LBB234_152
.LBB234_151:
	s_cmp_lg_u32 s5, 0
	s_mov_b32 s10, -1
	s_cselect_b32 s11, -1, 0
.LBB234_152:
	v_max_num_f32_e32 v11, v11, v11
	s_and_not1_b32 vcc_lo, exec_lo, s11
	s_cbranch_vccz .LBB234_161
; %bb.153:
	s_and_not1_b32 vcc_lo, exec_lo, s10
	s_cbranch_vccnz .LBB234_155
.LBB234_154:
	v_max_num_f32_e64 v7, s6, s6
	s_delay_alu instid0(VALU_DEP_1) | instskip(NEXT) | instid1(VALU_DEP_1)
	v_max_num_f32_e32 v7, v11, v7
	v_bfe_u32 v11, v7, 16, 1
	s_delay_alu instid0(VALU_DEP_1) | instskip(NEXT) | instid1(VALU_DEP_1)
	v_add3_u32 v7, v7, v11, 0x7fff
	v_lshrrev_b32_e32 v7, 16, v7
.LBB234_155:
	s_or_b32 exec_lo, exec_lo, s3
.LBB234_156:
	s_delay_alu instid0(SALU_CYCLE_1) | instskip(SKIP_2) | instid1(VALU_DEP_1)
	s_or_b32 exec_lo, exec_lo, s1
	v_or_b32_e32 v11, 0x300, v0
	s_mov_b32 s1, exec_lo
	v_cmpx_gt_i32_e64 s4, v11
	s_cbranch_execz .LBB234_170
; %bb.157:
	s_wait_loadcnt 0x0
	v_lshlrev_b32_e32 v11, 16, v4
	s_mov_b32 s3, exec_lo
	s_delay_alu instid0(VALU_DEP_1)
	v_cmpx_o_f32_e32 v11, v11
	s_cbranch_execz .LBB234_169
; %bb.158:
	s_cmp_lt_i32 s5, 1
	s_mov_b32 s10, 0
	s_cbranch_scc1 .LBB234_162
; %bb.159:
	s_cmp_eq_u32 s5, 1
	s_cbranch_scc0 .LBB234_163
; %bb.160:
	v_max_num_f32_e64 v4, s6, s6
	v_max_num_f32_e32 v12, v11, v11
	s_mov_b32 s11, 0
	s_delay_alu instid0(VALU_DEP_1) | instskip(NEXT) | instid1(VALU_DEP_1)
	v_min_num_f32_e32 v4, v12, v4
	v_bfe_u32 v12, v4, 16, 1
	s_delay_alu instid0(VALU_DEP_1) | instskip(NEXT) | instid1(VALU_DEP_1)
	v_add3_u32 v4, v4, v12, 0x7fff
	v_lshrrev_b32_e32 v4, 16, v4
	s_branch .LBB234_164
.LBB234_161:
	v_max_num_f32_e64 v7, s6, s6
	v_max_num_f32_e64 v12, s7, s7
	s_delay_alu instid0(VALU_DEP_1) | instskip(NEXT) | instid1(VALU_DEP_1)
	v_maxmin_num_f32 v7, v11, v7, v12
	v_bfe_u32 v12, v7, 16, 1
	s_delay_alu instid0(VALU_DEP_1) | instskip(NEXT) | instid1(VALU_DEP_1)
	v_add3_u32 v7, v7, v12, 0x7fff
	v_lshrrev_b32_e32 v7, 16, v7
	s_cbranch_execz .LBB234_154
	s_branch .LBB234_155
.LBB234_162:
	s_mov_b32 s11, 0
                                        ; implicit-def: $vgpr4
	s_cbranch_execnz .LBB234_165
	s_branch .LBB234_166
.LBB234_163:
	s_mov_b32 s11, -1
                                        ; implicit-def: $vgpr4
.LBB234_164:
	s_branch .LBB234_166
.LBB234_165:
	s_cmp_lg_u32 s5, 0
	s_mov_b32 s10, -1
	s_cselect_b32 s11, -1, 0
.LBB234_166:
	v_max_num_f32_e32 v11, v11, v11
	s_and_not1_b32 vcc_lo, exec_lo, s11
	s_cbranch_vccz .LBB234_175
; %bb.167:
	s_and_not1_b32 vcc_lo, exec_lo, s10
	s_cbranch_vccnz .LBB234_169
.LBB234_168:
	v_max_num_f32_e64 v4, s6, s6
	s_delay_alu instid0(VALU_DEP_1) | instskip(NEXT) | instid1(VALU_DEP_1)
	v_max_num_f32_e32 v4, v11, v4
	v_bfe_u32 v11, v4, 16, 1
	s_delay_alu instid0(VALU_DEP_1) | instskip(NEXT) | instid1(VALU_DEP_1)
	v_add3_u32 v4, v4, v11, 0x7fff
	v_lshrrev_b32_e32 v4, 16, v4
.LBB234_169:
	s_or_b32 exec_lo, exec_lo, s3
.LBB234_170:
	s_delay_alu instid0(SALU_CYCLE_1) | instskip(SKIP_2) | instid1(VALU_DEP_1)
	s_or_b32 exec_lo, exec_lo, s1
	v_or_b32_e32 v11, 0x400, v0
	s_mov_b32 s1, exec_lo
	v_cmpx_gt_i32_e64 s4, v11
	s_cbranch_execz .LBB234_184
; %bb.171:
	s_wait_loadcnt 0x0
	v_lshlrev_b32_e32 v11, 16, v9
	s_mov_b32 s3, exec_lo
	s_delay_alu instid0(VALU_DEP_1)
	v_cmpx_o_f32_e32 v11, v11
	s_cbranch_execz .LBB234_183
; %bb.172:
	s_cmp_lt_i32 s5, 1
	s_mov_b32 s10, 0
	s_cbranch_scc1 .LBB234_176
; %bb.173:
	s_cmp_eq_u32 s5, 1
	s_cbranch_scc0 .LBB234_177
; %bb.174:
	v_max_num_f32_e64 v9, s6, s6
	v_max_num_f32_e32 v12, v11, v11
	s_mov_b32 s11, 0
	s_delay_alu instid0(VALU_DEP_1) | instskip(NEXT) | instid1(VALU_DEP_1)
	v_min_num_f32_e32 v9, v12, v9
	v_bfe_u32 v12, v9, 16, 1
	s_delay_alu instid0(VALU_DEP_1) | instskip(NEXT) | instid1(VALU_DEP_1)
	v_add3_u32 v9, v9, v12, 0x7fff
	v_lshrrev_b32_e32 v9, 16, v9
	s_branch .LBB234_178
.LBB234_175:
	v_max_num_f32_e64 v4, s6, s6
	v_max_num_f32_e64 v12, s7, s7
	s_delay_alu instid0(VALU_DEP_1) | instskip(NEXT) | instid1(VALU_DEP_1)
	v_maxmin_num_f32 v4, v11, v4, v12
	v_bfe_u32 v12, v4, 16, 1
	s_delay_alu instid0(VALU_DEP_1) | instskip(NEXT) | instid1(VALU_DEP_1)
	v_add3_u32 v4, v4, v12, 0x7fff
	v_lshrrev_b32_e32 v4, 16, v4
	s_cbranch_execz .LBB234_168
	s_branch .LBB234_169
.LBB234_176:
	s_mov_b32 s11, 0
                                        ; implicit-def: $vgpr9
	s_cbranch_execnz .LBB234_179
	s_branch .LBB234_180
.LBB234_177:
	s_mov_b32 s11, -1
                                        ; implicit-def: $vgpr9
.LBB234_178:
	s_branch .LBB234_180
.LBB234_179:
	s_cmp_lg_u32 s5, 0
	s_mov_b32 s10, -1
	s_cselect_b32 s11, -1, 0
.LBB234_180:
	v_max_num_f32_e32 v11, v11, v11
	s_and_not1_b32 vcc_lo, exec_lo, s11
	s_cbranch_vccz .LBB234_189
; %bb.181:
	s_and_not1_b32 vcc_lo, exec_lo, s10
	s_cbranch_vccnz .LBB234_183
.LBB234_182:
	v_max_num_f32_e64 v9, s6, s6
	s_delay_alu instid0(VALU_DEP_1) | instskip(NEXT) | instid1(VALU_DEP_1)
	v_max_num_f32_e32 v9, v11, v9
	v_bfe_u32 v11, v9, 16, 1
	s_delay_alu instid0(VALU_DEP_1) | instskip(NEXT) | instid1(VALU_DEP_1)
	v_add3_u32 v9, v9, v11, 0x7fff
	v_lshrrev_b32_e32 v9, 16, v9
.LBB234_183:
	s_or_b32 exec_lo, exec_lo, s3
.LBB234_184:
	s_delay_alu instid0(SALU_CYCLE_1) | instskip(SKIP_2) | instid1(VALU_DEP_1)
	s_or_b32 exec_lo, exec_lo, s1
	v_or_b32_e32 v11, 0x500, v0
	s_mov_b32 s1, exec_lo
	v_cmpx_gt_i32_e64 s4, v11
	s_cbranch_execz .LBB234_198
; %bb.185:
	s_wait_loadcnt 0x0
	v_lshlrev_b32_e32 v11, 16, v6
	s_mov_b32 s3, exec_lo
	s_delay_alu instid0(VALU_DEP_1)
	v_cmpx_o_f32_e32 v11, v11
	s_cbranch_execz .LBB234_197
; %bb.186:
	s_cmp_lt_i32 s5, 1
	s_mov_b32 s10, 0
	s_cbranch_scc1 .LBB234_190
; %bb.187:
	s_cmp_eq_u32 s5, 1
	s_cbranch_scc0 .LBB234_191
; %bb.188:
	v_max_num_f32_e64 v6, s6, s6
	v_max_num_f32_e32 v12, v11, v11
	s_mov_b32 s11, 0
	s_delay_alu instid0(VALU_DEP_1) | instskip(NEXT) | instid1(VALU_DEP_1)
	v_min_num_f32_e32 v6, v12, v6
	v_bfe_u32 v12, v6, 16, 1
	s_delay_alu instid0(VALU_DEP_1) | instskip(NEXT) | instid1(VALU_DEP_1)
	v_add3_u32 v6, v6, v12, 0x7fff
	v_lshrrev_b32_e32 v6, 16, v6
	s_branch .LBB234_192
.LBB234_189:
	v_max_num_f32_e64 v9, s6, s6
	v_max_num_f32_e64 v12, s7, s7
	s_delay_alu instid0(VALU_DEP_1) | instskip(NEXT) | instid1(VALU_DEP_1)
	v_maxmin_num_f32 v9, v11, v9, v12
	v_bfe_u32 v12, v9, 16, 1
	s_delay_alu instid0(VALU_DEP_1) | instskip(NEXT) | instid1(VALU_DEP_1)
	v_add3_u32 v9, v9, v12, 0x7fff
	v_lshrrev_b32_e32 v9, 16, v9
	s_cbranch_execz .LBB234_182
	s_branch .LBB234_183
.LBB234_190:
	s_mov_b32 s11, 0
                                        ; implicit-def: $vgpr6
	s_cbranch_execnz .LBB234_193
	s_branch .LBB234_194
.LBB234_191:
	s_mov_b32 s11, -1
                                        ; implicit-def: $vgpr6
.LBB234_192:
	s_branch .LBB234_194
.LBB234_193:
	s_cmp_lg_u32 s5, 0
	s_mov_b32 s10, -1
	s_cselect_b32 s11, -1, 0
.LBB234_194:
	v_max_num_f32_e32 v11, v11, v11
	s_and_not1_b32 vcc_lo, exec_lo, s11
	s_cbranch_vccz .LBB234_203
; %bb.195:
	s_and_not1_b32 vcc_lo, exec_lo, s10
	s_cbranch_vccnz .LBB234_197
.LBB234_196:
	v_max_num_f32_e64 v6, s6, s6
	s_delay_alu instid0(VALU_DEP_1) | instskip(NEXT) | instid1(VALU_DEP_1)
	v_max_num_f32_e32 v6, v11, v6
	v_bfe_u32 v11, v6, 16, 1
	s_delay_alu instid0(VALU_DEP_1) | instskip(NEXT) | instid1(VALU_DEP_1)
	v_add3_u32 v6, v6, v11, 0x7fff
	v_lshrrev_b32_e32 v6, 16, v6
.LBB234_197:
	s_or_b32 exec_lo, exec_lo, s3
.LBB234_198:
	s_delay_alu instid0(SALU_CYCLE_1) | instskip(SKIP_2) | instid1(VALU_DEP_1)
	s_or_b32 exec_lo, exec_lo, s1
	v_or_b32_e32 v11, 0x600, v0
	s_mov_b32 s1, exec_lo
	v_cmpx_gt_i32_e64 s4, v11
	s_cbranch_execz .LBB234_212
; %bb.199:
	s_wait_loadcnt 0x0
	v_lshlrev_b32_e32 v11, 16, v10
	s_mov_b32 s3, exec_lo
	s_delay_alu instid0(VALU_DEP_1)
	v_cmpx_o_f32_e32 v11, v11
	s_cbranch_execz .LBB234_211
; %bb.200:
	s_cmp_lt_i32 s5, 1
	s_mov_b32 s10, 0
	s_cbranch_scc1 .LBB234_204
; %bb.201:
	s_cmp_eq_u32 s5, 1
	s_cbranch_scc0 .LBB234_205
; %bb.202:
	v_max_num_f32_e64 v10, s6, s6
	v_max_num_f32_e32 v12, v11, v11
	s_mov_b32 s11, 0
	s_delay_alu instid0(VALU_DEP_1) | instskip(NEXT) | instid1(VALU_DEP_1)
	v_min_num_f32_e32 v10, v12, v10
	v_bfe_u32 v12, v10, 16, 1
	s_delay_alu instid0(VALU_DEP_1) | instskip(NEXT) | instid1(VALU_DEP_1)
	v_add3_u32 v10, v10, v12, 0x7fff
	v_lshrrev_b32_e32 v10, 16, v10
	s_branch .LBB234_206
.LBB234_203:
	v_max_num_f32_e64 v6, s6, s6
	v_max_num_f32_e64 v12, s7, s7
	s_delay_alu instid0(VALU_DEP_1) | instskip(NEXT) | instid1(VALU_DEP_1)
	v_maxmin_num_f32 v6, v11, v6, v12
	v_bfe_u32 v12, v6, 16, 1
	s_delay_alu instid0(VALU_DEP_1) | instskip(NEXT) | instid1(VALU_DEP_1)
	v_add3_u32 v6, v6, v12, 0x7fff
	v_lshrrev_b32_e32 v6, 16, v6
	s_cbranch_execz .LBB234_196
	s_branch .LBB234_197
.LBB234_204:
	s_mov_b32 s11, 0
                                        ; implicit-def: $vgpr10
	s_cbranch_execnz .LBB234_207
	s_branch .LBB234_208
.LBB234_205:
	s_mov_b32 s11, -1
                                        ; implicit-def: $vgpr10
.LBB234_206:
	s_branch .LBB234_208
.LBB234_207:
	s_cmp_lg_u32 s5, 0
	s_mov_b32 s10, -1
	s_cselect_b32 s11, -1, 0
.LBB234_208:
	v_max_num_f32_e32 v11, v11, v11
	s_and_not1_b32 vcc_lo, exec_lo, s11
	s_cbranch_vccz .LBB234_226
; %bb.209:
	s_and_not1_b32 vcc_lo, exec_lo, s10
	s_cbranch_vccnz .LBB234_211
.LBB234_210:
	v_max_num_f32_e64 v10, s6, s6
	s_delay_alu instid0(VALU_DEP_1) | instskip(NEXT) | instid1(VALU_DEP_1)
	v_max_num_f32_e32 v10, v11, v10
	v_bfe_u32 v11, v10, 16, 1
	s_delay_alu instid0(VALU_DEP_1) | instskip(NEXT) | instid1(VALU_DEP_1)
	v_add3_u32 v10, v10, v11, 0x7fff
	v_lshrrev_b32_e32 v10, 16, v10
.LBB234_211:
	s_or_b32 exec_lo, exec_lo, s3
.LBB234_212:
	s_delay_alu instid0(SALU_CYCLE_1) | instskip(SKIP_2) | instid1(VALU_DEP_1)
	s_or_b32 exec_lo, exec_lo, s1
	v_or_b32_e32 v11, 0x700, v0
	s_mov_b32 s1, exec_lo
	v_cmpx_gt_i32_e64 s4, v11
	s_cbranch_execnz .LBB234_222
; %bb.213:
	s_or_b32 exec_lo, exec_lo, s1
	s_and_saveexec_b32 s1, s0
	s_delay_alu instid0(SALU_CYCLE_1)
	s_xor_b32 s0, exec_lo, s1
	s_cbranch_execnz .LBB234_235
.LBB234_214:
	s_or_b32 exec_lo, exec_lo, s0
	s_delay_alu instid0(SALU_CYCLE_1)
	s_mov_b32 s0, exec_lo
	v_cmpx_gt_i32_e64 s4, v0
	s_cbranch_execnz .LBB234_236
.LBB234_215:
	s_or_b32 exec_lo, exec_lo, s0
	s_delay_alu instid0(SALU_CYCLE_1)
	s_mov_b32 s0, exec_lo
	v_cmpx_gt_i32_e64 s4, v0
	s_cbranch_execnz .LBB234_237
.LBB234_216:
	s_or_b32 exec_lo, exec_lo, s0
	s_delay_alu instid0(SALU_CYCLE_1)
	s_mov_b32 s0, exec_lo
	v_cmpx_gt_i32_e64 s4, v0
	s_cbranch_execnz .LBB234_238
.LBB234_217:
	s_or_b32 exec_lo, exec_lo, s0
	s_delay_alu instid0(SALU_CYCLE_1)
	s_mov_b32 s0, exec_lo
	v_cmpx_gt_i32_e64 s4, v0
	s_cbranch_execnz .LBB234_239
.LBB234_218:
	s_or_b32 exec_lo, exec_lo, s0
	s_delay_alu instid0(SALU_CYCLE_1)
	s_mov_b32 s0, exec_lo
	v_cmpx_gt_i32_e64 s4, v0
	s_cbranch_execnz .LBB234_240
.LBB234_219:
	s_or_b32 exec_lo, exec_lo, s0
	s_delay_alu instid0(SALU_CYCLE_1)
	s_mov_b32 s0, exec_lo
	v_cmpx_gt_i32_e64 s4, v0
	s_cbranch_execnz .LBB234_241
.LBB234_220:
	s_or_b32 exec_lo, exec_lo, s0
	s_delay_alu instid0(SALU_CYCLE_1)
	s_mov_b32 s0, exec_lo
	v_cmpx_gt_i32_e64 s4, v0
	s_cbranch_execz .LBB234_242
.LBB234_221:
	v_add_nc_u32_e32 v0, s2, v0
	s_wait_loadcnt 0x0
	global_store_b16 v0, v8, s[8:9] scale_offset
	s_endpgm
.LBB234_222:
	s_wait_loadcnt 0x0
	v_lshlrev_b32_e32 v11, 16, v8
	s_mov_b32 s3, exec_lo
	s_delay_alu instid0(VALU_DEP_1)
	v_cmpx_o_f32_e32 v11, v11
	s_cbranch_execz .LBB234_234
; %bb.223:
	s_cmp_lt_i32 s5, 1
	s_mov_b32 s10, 0
	s_cbranch_scc1 .LBB234_227
; %bb.224:
	s_cmp_eq_u32 s5, 1
	s_cbranch_scc0 .LBB234_228
; %bb.225:
	v_max_num_f32_e64 v8, s6, s6
	v_max_num_f32_e32 v12, v11, v11
	s_mov_b32 s11, 0
	s_delay_alu instid0(VALU_DEP_1) | instskip(NEXT) | instid1(VALU_DEP_1)
	v_min_num_f32_e32 v8, v12, v8
	v_bfe_u32 v12, v8, 16, 1
	s_delay_alu instid0(VALU_DEP_1) | instskip(NEXT) | instid1(VALU_DEP_1)
	v_add3_u32 v8, v8, v12, 0x7fff
	v_lshrrev_b32_e32 v8, 16, v8
	s_branch .LBB234_229
.LBB234_226:
	v_max_num_f32_e64 v10, s6, s6
	v_max_num_f32_e64 v12, s7, s7
	s_delay_alu instid0(VALU_DEP_1) | instskip(NEXT) | instid1(VALU_DEP_1)
	v_maxmin_num_f32 v10, v11, v10, v12
	v_bfe_u32 v12, v10, 16, 1
	s_delay_alu instid0(VALU_DEP_1) | instskip(NEXT) | instid1(VALU_DEP_1)
	v_add3_u32 v10, v10, v12, 0x7fff
	v_lshrrev_b32_e32 v10, 16, v10
	s_cbranch_execz .LBB234_210
	s_branch .LBB234_211
.LBB234_227:
	s_mov_b32 s11, 0
                                        ; implicit-def: $vgpr8
	s_cbranch_execnz .LBB234_230
	s_branch .LBB234_231
.LBB234_228:
	s_mov_b32 s11, -1
                                        ; implicit-def: $vgpr8
.LBB234_229:
	s_branch .LBB234_231
.LBB234_230:
	s_cmp_lg_u32 s5, 0
	s_mov_b32 s10, -1
	s_cselect_b32 s11, -1, 0
.LBB234_231:
	v_max_num_f32_e64 v12, s6, s6
	v_max_num_f32_e32 v11, v11, v11
	s_and_not1_b32 vcc_lo, exec_lo, s11
	s_cbranch_vccz .LBB234_243
; %bb.232:
	s_and_not1_b32 vcc_lo, exec_lo, s10
	s_cbranch_vccnz .LBB234_234
.LBB234_233:
	v_max_num_f32_e32 v8, v11, v12
	s_delay_alu instid0(VALU_DEP_1) | instskip(NEXT) | instid1(VALU_DEP_1)
	v_bfe_u32 v11, v8, 16, 1
	v_add3_u32 v8, v8, v11, 0x7fff
	s_delay_alu instid0(VALU_DEP_1)
	v_lshrrev_b32_e32 v8, 16, v8
.LBB234_234:
	s_or_b32 exec_lo, exec_lo, s3
	s_delay_alu instid0(SALU_CYCLE_1) | instskip(SKIP_1) | instid1(SALU_CYCLE_1)
	s_or_b32 exec_lo, exec_lo, s1
	s_and_saveexec_b32 s1, s0
	s_xor_b32 s0, exec_lo, s1
	s_cbranch_execz .LBB234_214
.LBB234_235:
	v_mov_b32_e32 v0, v2
	s_wait_loadcnt 0x0
	global_store_b16 v1, v5, s[8:9] scale_offset
	s_wait_xcnt 0x0
	s_or_b32 exec_lo, exec_lo, s0
	s_delay_alu instid0(SALU_CYCLE_1)
	s_mov_b32 s0, exec_lo
	v_cmpx_gt_i32_e64 s4, v0
	s_cbranch_execz .LBB234_215
.LBB234_236:
	v_add_nc_u32_e32 v1, s2, v0
	v_add_nc_u32_e32 v0, 0x100, v0
	s_wait_loadcnt 0x0
	global_store_b16 v1, v3, s[8:9] scale_offset
	s_wait_xcnt 0x0
	s_or_b32 exec_lo, exec_lo, s0
	s_delay_alu instid0(SALU_CYCLE_1)
	s_mov_b32 s0, exec_lo
	v_cmpx_gt_i32_e64 s4, v0
	s_cbranch_execz .LBB234_216
.LBB234_237:
	v_add_nc_u32_e32 v1, s2, v0
	v_add_nc_u32_e32 v0, 0x100, v0
	s_wait_loadcnt 0x0
	global_store_b16 v1, v7, s[8:9] scale_offset
	s_wait_xcnt 0x0
	s_or_b32 exec_lo, exec_lo, s0
	s_delay_alu instid0(SALU_CYCLE_1)
	s_mov_b32 s0, exec_lo
	v_cmpx_gt_i32_e64 s4, v0
	s_cbranch_execz .LBB234_217
.LBB234_238:
	v_add_nc_u32_e32 v1, s2, v0
	v_add_nc_u32_e32 v0, 0x100, v0
	s_wait_loadcnt 0x0
	global_store_b16 v1, v4, s[8:9] scale_offset
	s_wait_xcnt 0x0
	s_or_b32 exec_lo, exec_lo, s0
	s_delay_alu instid0(SALU_CYCLE_1)
	s_mov_b32 s0, exec_lo
	v_cmpx_gt_i32_e64 s4, v0
	s_cbranch_execz .LBB234_218
.LBB234_239:
	v_add_nc_u32_e32 v1, s2, v0
	v_add_nc_u32_e32 v0, 0x100, v0
	s_wait_loadcnt 0x0
	global_store_b16 v1, v9, s[8:9] scale_offset
	s_wait_xcnt 0x0
	s_or_b32 exec_lo, exec_lo, s0
	s_delay_alu instid0(SALU_CYCLE_1)
	s_mov_b32 s0, exec_lo
	v_cmpx_gt_i32_e64 s4, v0
	s_cbranch_execz .LBB234_219
.LBB234_240:
	v_add_nc_u32_e32 v1, s2, v0
	v_add_nc_u32_e32 v0, 0x100, v0
	s_wait_loadcnt 0x0
	global_store_b16 v1, v6, s[8:9] scale_offset
	s_wait_xcnt 0x0
	s_or_b32 exec_lo, exec_lo, s0
	s_delay_alu instid0(SALU_CYCLE_1)
	s_mov_b32 s0, exec_lo
	v_cmpx_gt_i32_e64 s4, v0
	s_cbranch_execz .LBB234_220
.LBB234_241:
	v_add_nc_u32_e32 v1, s2, v0
	v_add_nc_u32_e32 v0, 0x100, v0
	s_wait_loadcnt 0x0
	global_store_b16 v1, v10, s[8:9] scale_offset
	s_wait_xcnt 0x0
	s_or_b32 exec_lo, exec_lo, s0
	s_delay_alu instid0(SALU_CYCLE_1)
	s_mov_b32 s0, exec_lo
	v_cmpx_gt_i32_e64 s4, v0
	s_cbranch_execnz .LBB234_221
.LBB234_242:
	s_endpgm
.LBB234_243:
	v_max_num_f32_e64 v8, s7, s7
	s_delay_alu instid0(VALU_DEP_1) | instskip(NEXT) | instid1(VALU_DEP_1)
	v_maxmin_num_f32 v8, v11, v12, v8
	v_bfe_u32 v13, v8, 16, 1
	s_delay_alu instid0(VALU_DEP_1) | instskip(NEXT) | instid1(VALU_DEP_1)
	v_add3_u32 v8, v8, v13, 0x7fff
	v_lshrrev_b32_e32 v8, 16, v8
	s_cbranch_execz .LBB234_233
	s_branch .LBB234_234
	.section	.rodata,"a",@progbits
	.p2align	6, 0x0
	.amdhsa_kernel _ZN2at6native29vectorized_elementwise_kernelILi4EZZZNS0_12_GLOBAL__N_119launch_clamp_scalarERNS_18TensorIteratorBaseEN3c106ScalarES6_NS0_6detail11ClampLimitsEENKUlvE_clEvENKUlvE7_clEvEUlNS5_8BFloat16EE_St5arrayIPcLm2EEEEviT0_T1_
		.amdhsa_group_segment_fixed_size 0
		.amdhsa_private_segment_fixed_size 0
		.amdhsa_kernarg_size 32
		.amdhsa_user_sgpr_count 2
		.amdhsa_user_sgpr_dispatch_ptr 0
		.amdhsa_user_sgpr_queue_ptr 0
		.amdhsa_user_sgpr_kernarg_segment_ptr 1
		.amdhsa_user_sgpr_dispatch_id 0
		.amdhsa_user_sgpr_kernarg_preload_length 0
		.amdhsa_user_sgpr_kernarg_preload_offset 0
		.amdhsa_user_sgpr_private_segment_size 0
		.amdhsa_wavefront_size32 1
		.amdhsa_uses_dynamic_stack 0
		.amdhsa_enable_private_segment 0
		.amdhsa_system_sgpr_workgroup_id_x 1
		.amdhsa_system_sgpr_workgroup_id_y 0
		.amdhsa_system_sgpr_workgroup_id_z 0
		.amdhsa_system_sgpr_workgroup_info 0
		.amdhsa_system_vgpr_workitem_id 0
		.amdhsa_next_free_vgpr 14
		.amdhsa_next_free_sgpr 14
		.amdhsa_named_barrier_count 0
		.amdhsa_reserve_vcc 1
		.amdhsa_float_round_mode_32 0
		.amdhsa_float_round_mode_16_64 0
		.amdhsa_float_denorm_mode_32 3
		.amdhsa_float_denorm_mode_16_64 3
		.amdhsa_fp16_overflow 0
		.amdhsa_memory_ordered 1
		.amdhsa_forward_progress 1
		.amdhsa_inst_pref_size 46
		.amdhsa_round_robin_scheduling 0
		.amdhsa_exception_fp_ieee_invalid_op 0
		.amdhsa_exception_fp_denorm_src 0
		.amdhsa_exception_fp_ieee_div_zero 0
		.amdhsa_exception_fp_ieee_overflow 0
		.amdhsa_exception_fp_ieee_underflow 0
		.amdhsa_exception_fp_ieee_inexact 0
		.amdhsa_exception_int_div_zero 0
	.end_amdhsa_kernel
	.section	.text._ZN2at6native29vectorized_elementwise_kernelILi4EZZZNS0_12_GLOBAL__N_119launch_clamp_scalarERNS_18TensorIteratorBaseEN3c106ScalarES6_NS0_6detail11ClampLimitsEENKUlvE_clEvENKUlvE7_clEvEUlNS5_8BFloat16EE_St5arrayIPcLm2EEEEviT0_T1_,"axG",@progbits,_ZN2at6native29vectorized_elementwise_kernelILi4EZZZNS0_12_GLOBAL__N_119launch_clamp_scalarERNS_18TensorIteratorBaseEN3c106ScalarES6_NS0_6detail11ClampLimitsEENKUlvE_clEvENKUlvE7_clEvEUlNS5_8BFloat16EE_St5arrayIPcLm2EEEEviT0_T1_,comdat
.Lfunc_end234:
	.size	_ZN2at6native29vectorized_elementwise_kernelILi4EZZZNS0_12_GLOBAL__N_119launch_clamp_scalarERNS_18TensorIteratorBaseEN3c106ScalarES6_NS0_6detail11ClampLimitsEENKUlvE_clEvENKUlvE7_clEvEUlNS5_8BFloat16EE_St5arrayIPcLm2EEEEviT0_T1_, .Lfunc_end234-_ZN2at6native29vectorized_elementwise_kernelILi4EZZZNS0_12_GLOBAL__N_119launch_clamp_scalarERNS_18TensorIteratorBaseEN3c106ScalarES6_NS0_6detail11ClampLimitsEENKUlvE_clEvENKUlvE7_clEvEUlNS5_8BFloat16EE_St5arrayIPcLm2EEEEviT0_T1_
                                        ; -- End function
	.set _ZN2at6native29vectorized_elementwise_kernelILi4EZZZNS0_12_GLOBAL__N_119launch_clamp_scalarERNS_18TensorIteratorBaseEN3c106ScalarES6_NS0_6detail11ClampLimitsEENKUlvE_clEvENKUlvE7_clEvEUlNS5_8BFloat16EE_St5arrayIPcLm2EEEEviT0_T1_.num_vgpr, 14
	.set _ZN2at6native29vectorized_elementwise_kernelILi4EZZZNS0_12_GLOBAL__N_119launch_clamp_scalarERNS_18TensorIteratorBaseEN3c106ScalarES6_NS0_6detail11ClampLimitsEENKUlvE_clEvENKUlvE7_clEvEUlNS5_8BFloat16EE_St5arrayIPcLm2EEEEviT0_T1_.num_agpr, 0
	.set _ZN2at6native29vectorized_elementwise_kernelILi4EZZZNS0_12_GLOBAL__N_119launch_clamp_scalarERNS_18TensorIteratorBaseEN3c106ScalarES6_NS0_6detail11ClampLimitsEENKUlvE_clEvENKUlvE7_clEvEUlNS5_8BFloat16EE_St5arrayIPcLm2EEEEviT0_T1_.numbered_sgpr, 14
	.set _ZN2at6native29vectorized_elementwise_kernelILi4EZZZNS0_12_GLOBAL__N_119launch_clamp_scalarERNS_18TensorIteratorBaseEN3c106ScalarES6_NS0_6detail11ClampLimitsEENKUlvE_clEvENKUlvE7_clEvEUlNS5_8BFloat16EE_St5arrayIPcLm2EEEEviT0_T1_.num_named_barrier, 0
	.set _ZN2at6native29vectorized_elementwise_kernelILi4EZZZNS0_12_GLOBAL__N_119launch_clamp_scalarERNS_18TensorIteratorBaseEN3c106ScalarES6_NS0_6detail11ClampLimitsEENKUlvE_clEvENKUlvE7_clEvEUlNS5_8BFloat16EE_St5arrayIPcLm2EEEEviT0_T1_.private_seg_size, 0
	.set _ZN2at6native29vectorized_elementwise_kernelILi4EZZZNS0_12_GLOBAL__N_119launch_clamp_scalarERNS_18TensorIteratorBaseEN3c106ScalarES6_NS0_6detail11ClampLimitsEENKUlvE_clEvENKUlvE7_clEvEUlNS5_8BFloat16EE_St5arrayIPcLm2EEEEviT0_T1_.uses_vcc, 1
	.set _ZN2at6native29vectorized_elementwise_kernelILi4EZZZNS0_12_GLOBAL__N_119launch_clamp_scalarERNS_18TensorIteratorBaseEN3c106ScalarES6_NS0_6detail11ClampLimitsEENKUlvE_clEvENKUlvE7_clEvEUlNS5_8BFloat16EE_St5arrayIPcLm2EEEEviT0_T1_.uses_flat_scratch, 0
	.set _ZN2at6native29vectorized_elementwise_kernelILi4EZZZNS0_12_GLOBAL__N_119launch_clamp_scalarERNS_18TensorIteratorBaseEN3c106ScalarES6_NS0_6detail11ClampLimitsEENKUlvE_clEvENKUlvE7_clEvEUlNS5_8BFloat16EE_St5arrayIPcLm2EEEEviT0_T1_.has_dyn_sized_stack, 0
	.set _ZN2at6native29vectorized_elementwise_kernelILi4EZZZNS0_12_GLOBAL__N_119launch_clamp_scalarERNS_18TensorIteratorBaseEN3c106ScalarES6_NS0_6detail11ClampLimitsEENKUlvE_clEvENKUlvE7_clEvEUlNS5_8BFloat16EE_St5arrayIPcLm2EEEEviT0_T1_.has_recursion, 0
	.set _ZN2at6native29vectorized_elementwise_kernelILi4EZZZNS0_12_GLOBAL__N_119launch_clamp_scalarERNS_18TensorIteratorBaseEN3c106ScalarES6_NS0_6detail11ClampLimitsEENKUlvE_clEvENKUlvE7_clEvEUlNS5_8BFloat16EE_St5arrayIPcLm2EEEEviT0_T1_.has_indirect_call, 0
	.section	.AMDGPU.csdata,"",@progbits
; Kernel info:
; codeLenInByte = 5780
; TotalNumSgprs: 16
; NumVgprs: 14
; ScratchSize: 0
; MemoryBound: 0
; FloatMode: 240
; IeeeMode: 1
; LDSByteSize: 0 bytes/workgroup (compile time only)
; SGPRBlocks: 0
; VGPRBlocks: 0
; NumSGPRsForWavesPerEU: 16
; NumVGPRsForWavesPerEU: 14
; NamedBarCnt: 0
; Occupancy: 16
; WaveLimiterHint : 1
; COMPUTE_PGM_RSRC2:SCRATCH_EN: 0
; COMPUTE_PGM_RSRC2:USER_SGPR: 2
; COMPUTE_PGM_RSRC2:TRAP_HANDLER: 0
; COMPUTE_PGM_RSRC2:TGID_X_EN: 1
; COMPUTE_PGM_RSRC2:TGID_Y_EN: 0
; COMPUTE_PGM_RSRC2:TGID_Z_EN: 0
; COMPUTE_PGM_RSRC2:TIDIG_COMP_CNT: 0
	.section	.text._ZN2at6native29vectorized_elementwise_kernelILi2EZZZNS0_12_GLOBAL__N_119launch_clamp_scalarERNS_18TensorIteratorBaseEN3c106ScalarES6_NS0_6detail11ClampLimitsEENKUlvE_clEvENKUlvE7_clEvEUlNS5_8BFloat16EE_St5arrayIPcLm2EEEEviT0_T1_,"axG",@progbits,_ZN2at6native29vectorized_elementwise_kernelILi2EZZZNS0_12_GLOBAL__N_119launch_clamp_scalarERNS_18TensorIteratorBaseEN3c106ScalarES6_NS0_6detail11ClampLimitsEENKUlvE_clEvENKUlvE7_clEvEUlNS5_8BFloat16EE_St5arrayIPcLm2EEEEviT0_T1_,comdat
	.globl	_ZN2at6native29vectorized_elementwise_kernelILi2EZZZNS0_12_GLOBAL__N_119launch_clamp_scalarERNS_18TensorIteratorBaseEN3c106ScalarES6_NS0_6detail11ClampLimitsEENKUlvE_clEvENKUlvE7_clEvEUlNS5_8BFloat16EE_St5arrayIPcLm2EEEEviT0_T1_ ; -- Begin function _ZN2at6native29vectorized_elementwise_kernelILi2EZZZNS0_12_GLOBAL__N_119launch_clamp_scalarERNS_18TensorIteratorBaseEN3c106ScalarES6_NS0_6detail11ClampLimitsEENKUlvE_clEvENKUlvE7_clEvEUlNS5_8BFloat16EE_St5arrayIPcLm2EEEEviT0_T1_
	.p2align	8
	.type	_ZN2at6native29vectorized_elementwise_kernelILi2EZZZNS0_12_GLOBAL__N_119launch_clamp_scalarERNS_18TensorIteratorBaseEN3c106ScalarES6_NS0_6detail11ClampLimitsEENKUlvE_clEvENKUlvE7_clEvEUlNS5_8BFloat16EE_St5arrayIPcLm2EEEEviT0_T1_,@function
_ZN2at6native29vectorized_elementwise_kernelILi2EZZZNS0_12_GLOBAL__N_119launch_clamp_scalarERNS_18TensorIteratorBaseEN3c106ScalarES6_NS0_6detail11ClampLimitsEENKUlvE_clEvENKUlvE7_clEvEUlNS5_8BFloat16EE_St5arrayIPcLm2EEEEviT0_T1_: ; @_ZN2at6native29vectorized_elementwise_kernelILi2EZZZNS0_12_GLOBAL__N_119launch_clamp_scalarERNS_18TensorIteratorBaseEN3c106ScalarES6_NS0_6detail11ClampLimitsEENKUlvE_clEvENKUlvE7_clEvEUlNS5_8BFloat16EE_St5arrayIPcLm2EEEEviT0_T1_
; %bb.0:
	s_load_b256 s[4:11], s[0:1], 0x0
	s_wait_xcnt 0x0
	s_bfe_u32 s0, ttmp6, 0x4000c
	s_and_b32 s1, ttmp6, 15
	s_add_co_i32 s0, s0, 1
	s_getreg_b32 s2, hwreg(HW_REG_IB_STS2, 6, 4)
	s_mul_i32 s0, ttmp9, s0
	s_delay_alu instid0(SALU_CYCLE_1) | instskip(SKIP_2) | instid1(SALU_CYCLE_1)
	s_add_co_i32 s1, s1, s0
	s_cmp_eq_u32 s2, 0
	s_cselect_b32 s0, ttmp9, s1
	s_lshl_b32 s2, s0, 11
	s_mov_b32 s0, -1
	s_wait_kmcnt 0x0
	s_sub_co_i32 s4, s4, s2
	s_delay_alu instid0(SALU_CYCLE_1)
	s_cmp_gt_i32 s4, 0x7ff
	s_cbranch_scc0 .LBB235_97
; %bb.1:
	s_ashr_i32 s3, s2, 31
	s_delay_alu instid0(SALU_CYCLE_1)
	s_lshl_b64 s[0:1], s[2:3], 1
	s_mov_b32 s3, exec_lo
	s_add_nc_u64 s[12:13], s[10:11], s[0:1]
	s_clause 0x3
	global_load_b32 v1, v0, s[12:13] scale_offset
	global_load_b32 v2, v0, s[12:13] offset:1024 scale_offset
	global_load_b32 v4, v0, s[12:13] offset:2048 scale_offset
	;; [unrolled: 1-line block ×3, first 2 shown]
	s_wait_loadcnt 0x3
	v_dual_mov_b32 v5, v1 :: v_dual_lshlrev_b32 v6, 16, v1
	s_wait_xcnt 0x0
	s_delay_alu instid0(VALU_DEP_1)
	v_cmpx_o_f32_e32 v6, v6
	s_cbranch_execz .LBB235_12
; %bb.2:
	s_cmp_lt_i32 s5, 1
	s_mov_b32 s12, 0
	s_cbranch_scc1 .LBB235_5
; %bb.3:
	s_cmp_eq_u32 s5, 1
	s_cbranch_scc0 .LBB235_6
; %bb.4:
	v_max_num_f32_e64 v5, s6, s6
	v_max_num_f32_e32 v7, v6, v6
	s_mov_b32 s13, 0
	s_delay_alu instid0(VALU_DEP_1) | instskip(NEXT) | instid1(VALU_DEP_1)
	v_min_num_f32_e32 v5, v7, v5
	v_bfe_u32 v7, v5, 16, 1
	s_delay_alu instid0(VALU_DEP_1) | instskip(NEXT) | instid1(VALU_DEP_1)
	v_add3_u32 v5, v5, v7, 0x7fff
	v_lshrrev_b32_e32 v5, 16, v5
	s_branch .LBB235_7
.LBB235_5:
	s_mov_b32 s13, 0
                                        ; implicit-def: $vgpr5
	s_cbranch_execnz .LBB235_8
	s_branch .LBB235_9
.LBB235_6:
	s_mov_b32 s13, -1
                                        ; implicit-def: $vgpr5
.LBB235_7:
	s_branch .LBB235_9
.LBB235_8:
	s_cmp_lg_u32 s5, 0
	s_mov_b32 s12, -1
	s_cselect_b32 s13, -1, 0
.LBB235_9:
	v_max_num_f32_e32 v6, v6, v6
	s_and_not1_b32 vcc_lo, exec_lo, s13
	s_cbranch_vccz .LBB235_16
; %bb.10:
	s_and_not1_b32 vcc_lo, exec_lo, s12
	s_cbranch_vccnz .LBB235_12
.LBB235_11:
	v_max_num_f32_e64 v5, s6, s6
	s_delay_alu instid0(VALU_DEP_1) | instskip(NEXT) | instid1(VALU_DEP_1)
	v_max_num_f32_e32 v5, v6, v5
	v_bfe_u32 v6, v5, 16, 1
	s_delay_alu instid0(VALU_DEP_1) | instskip(NEXT) | instid1(VALU_DEP_1)
	v_add3_u32 v5, v5, v6, 0x7fff
	v_lshrrev_b32_e32 v5, 16, v5
.LBB235_12:
	s_or_b32 exec_lo, exec_lo, s3
	v_and_b32_e32 v6, 0xffff0000, v1
	s_mov_b32 s3, exec_lo
	s_delay_alu instid0(VALU_DEP_1)
	v_cmpx_o_f32_e32 v6, v6
	s_cbranch_execz .LBB235_24
; %bb.13:
	s_cmp_lt_i32 s5, 1
	s_mov_b32 s12, 0
	s_cbranch_scc1 .LBB235_17
; %bb.14:
	s_cmp_eq_u32 s5, 1
	s_cbranch_scc0 .LBB235_18
; %bb.15:
	v_max_num_f32_e64 v1, s6, s6
	v_max_num_f32_e32 v7, v6, v6
	s_mov_b32 s13, 0
	s_delay_alu instid0(VALU_DEP_1) | instskip(NEXT) | instid1(VALU_DEP_1)
	v_min_num_f32_e32 v1, v7, v1
	v_bfe_u32 v7, v1, 16, 1
	s_delay_alu instid0(VALU_DEP_1)
	v_add3_u32 v1, v1, v7, 0x7fff
	s_branch .LBB235_19
.LBB235_16:
	v_max_num_f32_e64 v5, s6, s6
	v_max_num_f32_e64 v7, s7, s7
	s_delay_alu instid0(VALU_DEP_1) | instskip(NEXT) | instid1(VALU_DEP_1)
	v_maxmin_num_f32 v5, v6, v5, v7
	v_bfe_u32 v7, v5, 16, 1
	s_delay_alu instid0(VALU_DEP_1) | instskip(NEXT) | instid1(VALU_DEP_1)
	v_add3_u32 v5, v5, v7, 0x7fff
	v_lshrrev_b32_e32 v5, 16, v5
	s_cbranch_execz .LBB235_11
	s_branch .LBB235_12
.LBB235_17:
	s_mov_b32 s13, 0
                                        ; implicit-def: $vgpr1
	s_cbranch_execnz .LBB235_20
	s_branch .LBB235_21
.LBB235_18:
	s_mov_b32 s13, -1
                                        ; implicit-def: $vgpr1
.LBB235_19:
	s_branch .LBB235_21
.LBB235_20:
	s_cmp_lg_u32 s5, 0
	s_mov_b32 s12, -1
	s_cselect_b32 s13, -1, 0
.LBB235_21:
	v_max_num_f32_e32 v6, v6, v6
	s_and_not1_b32 vcc_lo, exec_lo, s13
	s_cbranch_vccz .LBB235_28
; %bb.22:
	s_and_not1_b32 vcc_lo, exec_lo, s12
	s_cbranch_vccnz .LBB235_24
.LBB235_23:
	v_max_num_f32_e64 v1, s6, s6
	s_delay_alu instid0(VALU_DEP_1) | instskip(NEXT) | instid1(VALU_DEP_1)
	v_max_num_f32_e32 v1, v6, v1
	v_bfe_u32 v6, v1, 16, 1
	s_delay_alu instid0(VALU_DEP_1)
	v_add3_u32 v1, v1, v6, 0x7fff
.LBB235_24:
	s_or_b32 exec_lo, exec_lo, s3
	s_wait_loadcnt 0x2
	v_dual_mov_b32 v6, v2 :: v_dual_lshlrev_b32 v7, 16, v2
	s_mov_b32 s3, exec_lo
	s_delay_alu instid0(VALU_DEP_1)
	v_cmpx_o_f32_e32 v7, v7
	s_cbranch_execz .LBB235_36
; %bb.25:
	s_cmp_lt_i32 s5, 1
	s_mov_b32 s12, 0
	s_cbranch_scc1 .LBB235_29
; %bb.26:
	s_cmp_eq_u32 s5, 1
	s_cbranch_scc0 .LBB235_30
; %bb.27:
	v_max_num_f32_e64 v6, s6, s6
	v_max_num_f32_e32 v8, v7, v7
	s_mov_b32 s13, 0
	s_delay_alu instid0(VALU_DEP_1) | instskip(NEXT) | instid1(VALU_DEP_1)
	v_min_num_f32_e32 v6, v8, v6
	v_bfe_u32 v8, v6, 16, 1
	s_delay_alu instid0(VALU_DEP_1) | instskip(NEXT) | instid1(VALU_DEP_1)
	v_add3_u32 v6, v6, v8, 0x7fff
	v_lshrrev_b32_e32 v6, 16, v6
	s_branch .LBB235_31
.LBB235_28:
	v_max_num_f32_e64 v1, s6, s6
	v_max_num_f32_e64 v7, s7, s7
	s_delay_alu instid0(VALU_DEP_1) | instskip(NEXT) | instid1(VALU_DEP_1)
	v_maxmin_num_f32 v1, v6, v1, v7
	v_bfe_u32 v7, v1, 16, 1
	s_delay_alu instid0(VALU_DEP_1)
	v_add3_u32 v1, v1, v7, 0x7fff
	s_cbranch_execz .LBB235_23
	s_branch .LBB235_24
.LBB235_29:
	s_mov_b32 s13, 0
                                        ; implicit-def: $vgpr6
	s_cbranch_execnz .LBB235_32
	s_branch .LBB235_33
.LBB235_30:
	s_mov_b32 s13, -1
                                        ; implicit-def: $vgpr6
.LBB235_31:
	s_branch .LBB235_33
.LBB235_32:
	s_cmp_lg_u32 s5, 0
	s_mov_b32 s12, -1
	s_cselect_b32 s13, -1, 0
.LBB235_33:
	v_max_num_f32_e32 v7, v7, v7
	s_and_not1_b32 vcc_lo, exec_lo, s13
	s_cbranch_vccz .LBB235_40
; %bb.34:
	s_and_not1_b32 vcc_lo, exec_lo, s12
	s_cbranch_vccnz .LBB235_36
.LBB235_35:
	v_max_num_f32_e64 v6, s6, s6
	s_delay_alu instid0(VALU_DEP_1) | instskip(NEXT) | instid1(VALU_DEP_1)
	v_max_num_f32_e32 v6, v7, v6
	v_bfe_u32 v7, v6, 16, 1
	s_delay_alu instid0(VALU_DEP_1) | instskip(NEXT) | instid1(VALU_DEP_1)
	v_add3_u32 v6, v6, v7, 0x7fff
	v_lshrrev_b32_e32 v6, 16, v6
.LBB235_36:
	s_or_b32 exec_lo, exec_lo, s3
	v_and_b32_e32 v7, 0xffff0000, v2
	s_mov_b32 s3, exec_lo
	s_delay_alu instid0(VALU_DEP_1)
	v_cmpx_o_f32_e32 v7, v7
	s_cbranch_execz .LBB235_48
; %bb.37:
	s_cmp_lt_i32 s5, 1
	s_mov_b32 s12, 0
	s_cbranch_scc1 .LBB235_41
; %bb.38:
	s_cmp_eq_u32 s5, 1
	s_cbranch_scc0 .LBB235_42
; %bb.39:
	v_max_num_f32_e64 v2, s6, s6
	v_max_num_f32_e32 v8, v7, v7
	s_mov_b32 s13, 0
	s_delay_alu instid0(VALU_DEP_1) | instskip(NEXT) | instid1(VALU_DEP_1)
	v_min_num_f32_e32 v2, v8, v2
	v_bfe_u32 v8, v2, 16, 1
	s_delay_alu instid0(VALU_DEP_1)
	v_add3_u32 v2, v2, v8, 0x7fff
	s_branch .LBB235_43
.LBB235_40:
	v_max_num_f32_e64 v6, s6, s6
	v_max_num_f32_e64 v8, s7, s7
	s_delay_alu instid0(VALU_DEP_1) | instskip(NEXT) | instid1(VALU_DEP_1)
	v_maxmin_num_f32 v6, v7, v6, v8
	v_bfe_u32 v8, v6, 16, 1
	s_delay_alu instid0(VALU_DEP_1) | instskip(NEXT) | instid1(VALU_DEP_1)
	v_add3_u32 v6, v6, v8, 0x7fff
	v_lshrrev_b32_e32 v6, 16, v6
	s_cbranch_execz .LBB235_35
	s_branch .LBB235_36
.LBB235_41:
	s_mov_b32 s13, 0
                                        ; implicit-def: $vgpr2
	s_cbranch_execnz .LBB235_44
	s_branch .LBB235_45
.LBB235_42:
	s_mov_b32 s13, -1
                                        ; implicit-def: $vgpr2
.LBB235_43:
	s_branch .LBB235_45
.LBB235_44:
	s_cmp_lg_u32 s5, 0
	s_mov_b32 s12, -1
	s_cselect_b32 s13, -1, 0
.LBB235_45:
	v_max_num_f32_e32 v7, v7, v7
	s_and_not1_b32 vcc_lo, exec_lo, s13
	s_cbranch_vccz .LBB235_52
; %bb.46:
	s_and_not1_b32 vcc_lo, exec_lo, s12
	s_cbranch_vccnz .LBB235_48
.LBB235_47:
	v_max_num_f32_e64 v2, s6, s6
	s_delay_alu instid0(VALU_DEP_1) | instskip(NEXT) | instid1(VALU_DEP_1)
	v_max_num_f32_e32 v2, v7, v2
	v_bfe_u32 v7, v2, 16, 1
	s_delay_alu instid0(VALU_DEP_1)
	v_add3_u32 v2, v2, v7, 0x7fff
.LBB235_48:
	s_or_b32 exec_lo, exec_lo, s3
	s_wait_loadcnt 0x1
	v_dual_mov_b32 v7, v4 :: v_dual_lshlrev_b32 v8, 16, v4
	s_mov_b32 s3, exec_lo
	s_delay_alu instid0(VALU_DEP_1)
	v_cmpx_o_f32_e32 v8, v8
	s_cbranch_execz .LBB235_60
; %bb.49:
	s_cmp_lt_i32 s5, 1
	s_mov_b32 s12, 0
	s_cbranch_scc1 .LBB235_53
; %bb.50:
	s_cmp_eq_u32 s5, 1
	s_cbranch_scc0 .LBB235_54
; %bb.51:
	v_max_num_f32_e64 v7, s6, s6
	v_max_num_f32_e32 v9, v8, v8
	s_mov_b32 s13, 0
	s_delay_alu instid0(VALU_DEP_1) | instskip(NEXT) | instid1(VALU_DEP_1)
	v_min_num_f32_e32 v7, v9, v7
	v_bfe_u32 v9, v7, 16, 1
	s_delay_alu instid0(VALU_DEP_1) | instskip(NEXT) | instid1(VALU_DEP_1)
	v_add3_u32 v7, v7, v9, 0x7fff
	v_lshrrev_b32_e32 v7, 16, v7
	s_branch .LBB235_55
.LBB235_52:
	v_max_num_f32_e64 v2, s6, s6
	v_max_num_f32_e64 v8, s7, s7
	s_delay_alu instid0(VALU_DEP_1) | instskip(NEXT) | instid1(VALU_DEP_1)
	v_maxmin_num_f32 v2, v7, v2, v8
	v_bfe_u32 v8, v2, 16, 1
	s_delay_alu instid0(VALU_DEP_1)
	v_add3_u32 v2, v2, v8, 0x7fff
	s_cbranch_execz .LBB235_47
	s_branch .LBB235_48
.LBB235_53:
	s_mov_b32 s13, 0
                                        ; implicit-def: $vgpr7
	s_cbranch_execnz .LBB235_56
	s_branch .LBB235_57
.LBB235_54:
	s_mov_b32 s13, -1
                                        ; implicit-def: $vgpr7
.LBB235_55:
	s_branch .LBB235_57
.LBB235_56:
	s_cmp_lg_u32 s5, 0
	s_mov_b32 s12, -1
	s_cselect_b32 s13, -1, 0
.LBB235_57:
	v_max_num_f32_e32 v8, v8, v8
	s_and_not1_b32 vcc_lo, exec_lo, s13
	s_cbranch_vccz .LBB235_64
; %bb.58:
	s_and_not1_b32 vcc_lo, exec_lo, s12
	s_cbranch_vccnz .LBB235_60
.LBB235_59:
	v_max_num_f32_e64 v7, s6, s6
	s_delay_alu instid0(VALU_DEP_1) | instskip(NEXT) | instid1(VALU_DEP_1)
	v_max_num_f32_e32 v7, v8, v7
	v_bfe_u32 v8, v7, 16, 1
	s_delay_alu instid0(VALU_DEP_1) | instskip(NEXT) | instid1(VALU_DEP_1)
	v_add3_u32 v7, v7, v8, 0x7fff
	v_lshrrev_b32_e32 v7, 16, v7
.LBB235_60:
	s_or_b32 exec_lo, exec_lo, s3
	v_and_b32_e32 v8, 0xffff0000, v4
	s_mov_b32 s3, exec_lo
	s_delay_alu instid0(VALU_DEP_1)
	v_cmpx_o_f32_e32 v8, v8
	s_cbranch_execz .LBB235_72
; %bb.61:
	s_cmp_lt_i32 s5, 1
	s_mov_b32 s12, 0
	s_cbranch_scc1 .LBB235_65
; %bb.62:
	s_cmp_eq_u32 s5, 1
	s_cbranch_scc0 .LBB235_66
; %bb.63:
	v_max_num_f32_e64 v4, s6, s6
	v_max_num_f32_e32 v9, v8, v8
	s_mov_b32 s13, 0
	s_delay_alu instid0(VALU_DEP_1) | instskip(NEXT) | instid1(VALU_DEP_1)
	v_min_num_f32_e32 v4, v9, v4
	v_bfe_u32 v9, v4, 16, 1
	s_delay_alu instid0(VALU_DEP_1)
	v_add3_u32 v4, v4, v9, 0x7fff
	s_branch .LBB235_67
.LBB235_64:
	v_max_num_f32_e64 v7, s6, s6
	v_max_num_f32_e64 v9, s7, s7
	s_delay_alu instid0(VALU_DEP_1) | instskip(NEXT) | instid1(VALU_DEP_1)
	v_maxmin_num_f32 v7, v8, v7, v9
	v_bfe_u32 v9, v7, 16, 1
	s_delay_alu instid0(VALU_DEP_1) | instskip(NEXT) | instid1(VALU_DEP_1)
	v_add3_u32 v7, v7, v9, 0x7fff
	v_lshrrev_b32_e32 v7, 16, v7
	s_cbranch_execz .LBB235_59
	s_branch .LBB235_60
.LBB235_65:
	s_mov_b32 s13, 0
                                        ; implicit-def: $vgpr4
	s_cbranch_execnz .LBB235_68
	s_branch .LBB235_69
.LBB235_66:
	s_mov_b32 s13, -1
                                        ; implicit-def: $vgpr4
.LBB235_67:
	s_branch .LBB235_69
.LBB235_68:
	s_cmp_lg_u32 s5, 0
	s_mov_b32 s12, -1
	s_cselect_b32 s13, -1, 0
.LBB235_69:
	v_max_num_f32_e32 v8, v8, v8
	s_and_not1_b32 vcc_lo, exec_lo, s13
	s_cbranch_vccz .LBB235_76
; %bb.70:
	s_and_not1_b32 vcc_lo, exec_lo, s12
	s_cbranch_vccnz .LBB235_72
.LBB235_71:
	v_max_num_f32_e64 v4, s6, s6
	s_delay_alu instid0(VALU_DEP_1) | instskip(NEXT) | instid1(VALU_DEP_1)
	v_max_num_f32_e32 v4, v8, v4
	v_bfe_u32 v8, v4, 16, 1
	s_delay_alu instid0(VALU_DEP_1)
	v_add3_u32 v4, v4, v8, 0x7fff
.LBB235_72:
	s_or_b32 exec_lo, exec_lo, s3
	s_wait_loadcnt 0x0
	v_dual_mov_b32 v8, v3 :: v_dual_lshlrev_b32 v9, 16, v3
	s_mov_b32 s3, exec_lo
	s_delay_alu instid0(VALU_DEP_1)
	v_cmpx_o_f32_e32 v9, v9
	s_cbranch_execz .LBB235_84
; %bb.73:
	s_cmp_lt_i32 s5, 1
	s_mov_b32 s12, 0
	s_cbranch_scc1 .LBB235_77
; %bb.74:
	s_cmp_eq_u32 s5, 1
	s_cbranch_scc0 .LBB235_78
; %bb.75:
	v_max_num_f32_e64 v8, s6, s6
	v_max_num_f32_e32 v10, v9, v9
	s_mov_b32 s13, 0
	s_delay_alu instid0(VALU_DEP_1) | instskip(NEXT) | instid1(VALU_DEP_1)
	v_min_num_f32_e32 v8, v10, v8
	v_bfe_u32 v10, v8, 16, 1
	s_delay_alu instid0(VALU_DEP_1) | instskip(NEXT) | instid1(VALU_DEP_1)
	v_add3_u32 v8, v8, v10, 0x7fff
	v_lshrrev_b32_e32 v8, 16, v8
	s_branch .LBB235_79
.LBB235_76:
	v_max_num_f32_e64 v4, s6, s6
	v_max_num_f32_e64 v9, s7, s7
	s_delay_alu instid0(VALU_DEP_1) | instskip(NEXT) | instid1(VALU_DEP_1)
	v_maxmin_num_f32 v4, v8, v4, v9
	v_bfe_u32 v9, v4, 16, 1
	s_delay_alu instid0(VALU_DEP_1)
	v_add3_u32 v4, v4, v9, 0x7fff
	s_cbranch_execz .LBB235_71
	s_branch .LBB235_72
.LBB235_77:
	s_mov_b32 s13, 0
                                        ; implicit-def: $vgpr8
	s_cbranch_execnz .LBB235_80
	s_branch .LBB235_81
.LBB235_78:
	s_mov_b32 s13, -1
                                        ; implicit-def: $vgpr8
.LBB235_79:
	s_branch .LBB235_81
.LBB235_80:
	s_cmp_lg_u32 s5, 0
	s_mov_b32 s12, -1
	s_cselect_b32 s13, -1, 0
.LBB235_81:
	v_max_num_f32_e32 v9, v9, v9
	s_and_not1_b32 vcc_lo, exec_lo, s13
	s_cbranch_vccz .LBB235_88
; %bb.82:
	s_and_not1_b32 vcc_lo, exec_lo, s12
	s_cbranch_vccnz .LBB235_84
.LBB235_83:
	v_max_num_f32_e64 v8, s6, s6
	s_delay_alu instid0(VALU_DEP_1) | instskip(NEXT) | instid1(VALU_DEP_1)
	v_max_num_f32_e32 v8, v9, v8
	v_bfe_u32 v9, v8, 16, 1
	s_delay_alu instid0(VALU_DEP_1) | instskip(NEXT) | instid1(VALU_DEP_1)
	v_add3_u32 v8, v8, v9, 0x7fff
	v_lshrrev_b32_e32 v8, 16, v8
.LBB235_84:
	s_or_b32 exec_lo, exec_lo, s3
	v_and_b32_e32 v9, 0xffff0000, v3
	s_mov_b32 s3, exec_lo
	s_delay_alu instid0(VALU_DEP_1)
	v_cmpx_o_f32_e32 v9, v9
	s_cbranch_execz .LBB235_96
; %bb.85:
	s_cmp_lt_i32 s5, 1
	s_mov_b32 s12, 0
	s_cbranch_scc1 .LBB235_89
; %bb.86:
	s_cmp_eq_u32 s5, 1
	s_cbranch_scc0 .LBB235_90
; %bb.87:
	v_max_num_f32_e64 v3, s6, s6
	v_max_num_f32_e32 v10, v9, v9
	s_mov_b32 s13, 0
	s_delay_alu instid0(VALU_DEP_1) | instskip(NEXT) | instid1(VALU_DEP_1)
	v_min_num_f32_e32 v3, v10, v3
	v_bfe_u32 v10, v3, 16, 1
	s_delay_alu instid0(VALU_DEP_1)
	v_add3_u32 v3, v3, v10, 0x7fff
	s_branch .LBB235_91
.LBB235_88:
	v_max_num_f32_e64 v8, s6, s6
	v_max_num_f32_e64 v10, s7, s7
	s_delay_alu instid0(VALU_DEP_1) | instskip(NEXT) | instid1(VALU_DEP_1)
	v_maxmin_num_f32 v8, v9, v8, v10
	v_bfe_u32 v10, v8, 16, 1
	s_delay_alu instid0(VALU_DEP_1) | instskip(NEXT) | instid1(VALU_DEP_1)
	v_add3_u32 v8, v8, v10, 0x7fff
	v_lshrrev_b32_e32 v8, 16, v8
	s_cbranch_execz .LBB235_83
	s_branch .LBB235_84
.LBB235_89:
	s_mov_b32 s13, 0
                                        ; implicit-def: $vgpr3
	s_cbranch_execnz .LBB235_92
	s_branch .LBB235_93
.LBB235_90:
	s_mov_b32 s13, -1
                                        ; implicit-def: $vgpr3
.LBB235_91:
	s_branch .LBB235_93
.LBB235_92:
	s_cmp_lg_u32 s5, 0
	s_mov_b32 s12, -1
	s_cselect_b32 s13, -1, 0
.LBB235_93:
	v_max_num_f32_e32 v9, v9, v9
	s_and_not1_b32 vcc_lo, exec_lo, s13
	s_cbranch_vccz .LBB235_120
; %bb.94:
	s_and_not1_b32 vcc_lo, exec_lo, s12
	s_cbranch_vccnz .LBB235_96
.LBB235_95:
	v_max_num_f32_e64 v3, s6, s6
	s_delay_alu instid0(VALU_DEP_1) | instskip(NEXT) | instid1(VALU_DEP_1)
	v_max_num_f32_e32 v3, v9, v3
	v_bfe_u32 v9, v3, 16, 1
	s_delay_alu instid0(VALU_DEP_1)
	v_add3_u32 v3, v3, v9, 0x7fff
.LBB235_96:
	s_or_b32 exec_lo, exec_lo, s3
	v_bfi_b32 v1, 0xffff0000, v1, v5
	v_bfi_b32 v2, 0xffff0000, v2, v6
	;; [unrolled: 1-line block ×4, first 2 shown]
	s_add_nc_u64 s[12:13], s[8:9], s[0:1]
	s_mov_b32 s0, 0
	s_clause 0x3
	global_store_b32 v0, v1, s[12:13] scale_offset
	global_store_b32 v0, v2, s[12:13] offset:1024 scale_offset
	global_store_b32 v0, v4, s[12:13] offset:2048 scale_offset
	;; [unrolled: 1-line block ×3, first 2 shown]
.LBB235_97:
	s_and_b32 vcc_lo, exec_lo, s0
	s_cbranch_vccz .LBB235_242
; %bb.98:
	v_cmp_gt_i32_e64 s0, s4, v0
	s_wait_xcnt 0x0
	v_dual_mov_b32 v3, 0 :: v_dual_bitop2_b32 v1, s2, v0 bitop3:0x54
	v_or_b32_e32 v2, 0x100, v0
	v_dual_mov_b32 v5, 0 :: v_dual_mov_b32 v11, v0
	s_and_saveexec_b32 s1, s0
	s_cbranch_execz .LBB235_100
; %bb.99:
	global_load_u16 v5, v1, s[10:11] scale_offset
	v_or_b32_e32 v11, 0x100, v0
.LBB235_100:
	s_wait_xcnt 0x0
	s_or_b32 exec_lo, exec_lo, s1
	s_delay_alu instid0(SALU_CYCLE_1) | instskip(NEXT) | instid1(VALU_DEP_1)
	s_mov_b32 s1, exec_lo
	v_cmpx_gt_i32_e64 s4, v11
	s_cbranch_execz .LBB235_102
; %bb.101:
	v_add_nc_u32_e32 v3, s2, v11
	v_add_nc_u32_e32 v11, 0x100, v11
	global_load_u16 v3, v3, s[10:11] scale_offset
.LBB235_102:
	s_wait_xcnt 0x0
	s_or_b32 exec_lo, exec_lo, s1
	v_dual_mov_b32 v4, 0 :: v_dual_mov_b32 v7, 0
	s_mov_b32 s1, exec_lo
	v_cmpx_gt_i32_e64 s4, v11
	s_cbranch_execz .LBB235_104
; %bb.103:
	v_add_nc_u32_e32 v6, s2, v11
	v_add_nc_u32_e32 v11, 0x100, v11
	global_load_u16 v7, v6, s[10:11] scale_offset
.LBB235_104:
	s_wait_xcnt 0x0
	s_or_b32 exec_lo, exec_lo, s1
	s_delay_alu instid0(SALU_CYCLE_1)
	s_mov_b32 s1, exec_lo
	v_cmpx_gt_i32_e64 s4, v11
	s_cbranch_execz .LBB235_106
; %bb.105:
	v_add_nc_u32_e32 v4, s2, v11
	v_add_nc_u32_e32 v11, 0x100, v11
	global_load_u16 v4, v4, s[10:11] scale_offset
.LBB235_106:
	s_wait_xcnt 0x0
	s_or_b32 exec_lo, exec_lo, s1
	v_dual_mov_b32 v6, 0 :: v_dual_mov_b32 v9, 0
	s_mov_b32 s1, exec_lo
	v_cmpx_gt_i32_e64 s4, v11
	s_cbranch_execz .LBB235_108
; %bb.107:
	v_add_nc_u32_e32 v8, s2, v11
	v_add_nc_u32_e32 v11, 0x100, v11
	global_load_u16 v9, v8, s[10:11] scale_offset
.LBB235_108:
	s_wait_xcnt 0x0
	s_or_b32 exec_lo, exec_lo, s1
	s_delay_alu instid0(SALU_CYCLE_1)
	s_mov_b32 s1, exec_lo
	v_cmpx_gt_i32_e64 s4, v11
	s_cbranch_execz .LBB235_110
; %bb.109:
	v_add_nc_u32_e32 v6, s2, v11
	v_add_nc_u32_e32 v11, 0x100, v11
	global_load_u16 v6, v6, s[10:11] scale_offset
.LBB235_110:
	s_wait_xcnt 0x0
	s_or_b32 exec_lo, exec_lo, s1
	v_dual_mov_b32 v8, 0 :: v_dual_mov_b32 v10, 0
	s_mov_b32 s1, exec_lo
	v_cmpx_gt_i32_e64 s4, v11
	s_cbranch_execnz .LBB235_114
; %bb.111:
	s_or_b32 exec_lo, exec_lo, s1
	s_delay_alu instid0(SALU_CYCLE_1)
	s_mov_b32 s1, exec_lo
	v_cmpx_gt_i32_e64 s4, v11
	s_cbranch_execnz .LBB235_115
.LBB235_112:
	s_or_b32 exec_lo, exec_lo, s1
	s_and_saveexec_b32 s1, s0
	s_cbranch_execnz .LBB235_116
.LBB235_113:
	s_or_b32 exec_lo, exec_lo, s1
	s_delay_alu instid0(SALU_CYCLE_1)
	s_mov_b32 s1, exec_lo
	v_cmpx_gt_i32_e64 s4, v2
	s_cbranch_execnz .LBB235_129
	s_branch .LBB235_142
.LBB235_114:
	v_add_nc_u32_e32 v10, s2, v11
	v_add_nc_u32_e32 v11, 0x100, v11
	global_load_u16 v10, v10, s[10:11] scale_offset
	s_wait_xcnt 0x0
	s_or_b32 exec_lo, exec_lo, s1
	s_delay_alu instid0(SALU_CYCLE_1)
	s_mov_b32 s1, exec_lo
	v_cmpx_gt_i32_e64 s4, v11
	s_cbranch_execz .LBB235_112
.LBB235_115:
	v_add_nc_u32_e32 v8, s2, v11
	global_load_u16 v8, v8, s[10:11] scale_offset
	s_wait_xcnt 0x0
	s_or_b32 exec_lo, exec_lo, s1
	s_and_saveexec_b32 s1, s0
	s_cbranch_execz .LBB235_113
.LBB235_116:
	s_wait_loadcnt 0x0
	v_lshlrev_b32_e32 v11, 16, v5
	s_mov_b32 s3, exec_lo
	s_delay_alu instid0(VALU_DEP_1)
	v_cmpx_o_f32_e32 v11, v11
	s_cbranch_execz .LBB235_128
; %bb.117:
	s_cmp_lt_i32 s5, 1
	s_mov_b32 s10, 0
	s_cbranch_scc1 .LBB235_121
; %bb.118:
	s_cmp_eq_u32 s5, 1
	s_cbranch_scc0 .LBB235_122
; %bb.119:
	v_max_num_f32_e64 v5, s6, s6
	v_max_num_f32_e32 v12, v11, v11
	s_mov_b32 s11, 0
	s_delay_alu instid0(VALU_DEP_1) | instskip(NEXT) | instid1(VALU_DEP_1)
	v_min_num_f32_e32 v5, v12, v5
	v_bfe_u32 v12, v5, 16, 1
	s_delay_alu instid0(VALU_DEP_1) | instskip(NEXT) | instid1(VALU_DEP_1)
	v_add3_u32 v5, v5, v12, 0x7fff
	v_lshrrev_b32_e32 v5, 16, v5
	s_branch .LBB235_123
.LBB235_120:
	v_max_num_f32_e64 v3, s6, s6
	v_max_num_f32_e64 v10, s7, s7
	s_delay_alu instid0(VALU_DEP_1) | instskip(NEXT) | instid1(VALU_DEP_1)
	v_maxmin_num_f32 v3, v9, v3, v10
	v_bfe_u32 v10, v3, 16, 1
	s_delay_alu instid0(VALU_DEP_1)
	v_add3_u32 v3, v3, v10, 0x7fff
	s_cbranch_execz .LBB235_95
	s_branch .LBB235_96
.LBB235_121:
	s_mov_b32 s11, 0
                                        ; implicit-def: $vgpr5
	s_cbranch_execnz .LBB235_124
	s_branch .LBB235_125
.LBB235_122:
	s_mov_b32 s11, -1
                                        ; implicit-def: $vgpr5
.LBB235_123:
	s_branch .LBB235_125
.LBB235_124:
	s_cmp_lg_u32 s5, 0
	s_mov_b32 s10, -1
	s_cselect_b32 s11, -1, 0
.LBB235_125:
	v_max_num_f32_e32 v11, v11, v11
	s_and_not1_b32 vcc_lo, exec_lo, s11
	s_cbranch_vccz .LBB235_133
; %bb.126:
	s_and_not1_b32 vcc_lo, exec_lo, s10
	s_cbranch_vccnz .LBB235_128
.LBB235_127:
	v_max_num_f32_e64 v5, s6, s6
	s_delay_alu instid0(VALU_DEP_1) | instskip(NEXT) | instid1(VALU_DEP_1)
	v_max_num_f32_e32 v5, v11, v5
	v_bfe_u32 v11, v5, 16, 1
	s_delay_alu instid0(VALU_DEP_1) | instskip(NEXT) | instid1(VALU_DEP_1)
	v_add3_u32 v5, v5, v11, 0x7fff
	v_lshrrev_b32_e32 v5, 16, v5
.LBB235_128:
	s_or_b32 exec_lo, exec_lo, s3
	s_delay_alu instid0(SALU_CYCLE_1) | instskip(NEXT) | instid1(SALU_CYCLE_1)
	s_or_b32 exec_lo, exec_lo, s1
	s_mov_b32 s1, exec_lo
	v_cmpx_gt_i32_e64 s4, v2
	s_cbranch_execz .LBB235_142
.LBB235_129:
	s_wait_loadcnt 0x0
	v_lshlrev_b32_e32 v11, 16, v3
	s_mov_b32 s3, exec_lo
	s_delay_alu instid0(VALU_DEP_1)
	v_cmpx_o_f32_e32 v11, v11
	s_cbranch_execz .LBB235_141
; %bb.130:
	s_cmp_lt_i32 s5, 1
	s_mov_b32 s10, 0
	s_cbranch_scc1 .LBB235_134
; %bb.131:
	s_cmp_eq_u32 s5, 1
	s_cbranch_scc0 .LBB235_135
; %bb.132:
	v_max_num_f32_e64 v3, s6, s6
	v_max_num_f32_e32 v12, v11, v11
	s_mov_b32 s11, 0
	s_delay_alu instid0(VALU_DEP_1) | instskip(NEXT) | instid1(VALU_DEP_1)
	v_min_num_f32_e32 v3, v12, v3
	v_bfe_u32 v12, v3, 16, 1
	s_delay_alu instid0(VALU_DEP_1) | instskip(NEXT) | instid1(VALU_DEP_1)
	v_add3_u32 v3, v3, v12, 0x7fff
	v_lshrrev_b32_e32 v3, 16, v3
	s_branch .LBB235_136
.LBB235_133:
	v_max_num_f32_e64 v5, s6, s6
	v_max_num_f32_e64 v12, s7, s7
	s_delay_alu instid0(VALU_DEP_1) | instskip(NEXT) | instid1(VALU_DEP_1)
	v_maxmin_num_f32 v5, v11, v5, v12
	v_bfe_u32 v12, v5, 16, 1
	s_delay_alu instid0(VALU_DEP_1) | instskip(NEXT) | instid1(VALU_DEP_1)
	v_add3_u32 v5, v5, v12, 0x7fff
	v_lshrrev_b32_e32 v5, 16, v5
	s_cbranch_execz .LBB235_127
	s_branch .LBB235_128
.LBB235_134:
	s_mov_b32 s11, 0
                                        ; implicit-def: $vgpr3
	s_cbranch_execnz .LBB235_137
	s_branch .LBB235_138
.LBB235_135:
	s_mov_b32 s11, -1
                                        ; implicit-def: $vgpr3
.LBB235_136:
	s_branch .LBB235_138
.LBB235_137:
	s_cmp_lg_u32 s5, 0
	s_mov_b32 s10, -1
	s_cselect_b32 s11, -1, 0
.LBB235_138:
	v_max_num_f32_e32 v11, v11, v11
	s_and_not1_b32 vcc_lo, exec_lo, s11
	s_cbranch_vccz .LBB235_147
; %bb.139:
	s_and_not1_b32 vcc_lo, exec_lo, s10
	s_cbranch_vccnz .LBB235_141
.LBB235_140:
	v_max_num_f32_e64 v3, s6, s6
	s_delay_alu instid0(VALU_DEP_1) | instskip(NEXT) | instid1(VALU_DEP_1)
	v_max_num_f32_e32 v3, v11, v3
	v_bfe_u32 v11, v3, 16, 1
	s_delay_alu instid0(VALU_DEP_1) | instskip(NEXT) | instid1(VALU_DEP_1)
	v_add3_u32 v3, v3, v11, 0x7fff
	v_lshrrev_b32_e32 v3, 16, v3
.LBB235_141:
	s_or_b32 exec_lo, exec_lo, s3
.LBB235_142:
	s_delay_alu instid0(SALU_CYCLE_1) | instskip(SKIP_2) | instid1(VALU_DEP_1)
	s_or_b32 exec_lo, exec_lo, s1
	v_or_b32_e32 v11, 0x200, v0
	s_mov_b32 s1, exec_lo
	v_cmpx_gt_i32_e64 s4, v11
	s_cbranch_execz .LBB235_156
; %bb.143:
	s_wait_loadcnt 0x0
	v_lshlrev_b32_e32 v11, 16, v7
	s_mov_b32 s3, exec_lo
	s_delay_alu instid0(VALU_DEP_1)
	v_cmpx_o_f32_e32 v11, v11
	s_cbranch_execz .LBB235_155
; %bb.144:
	s_cmp_lt_i32 s5, 1
	s_mov_b32 s10, 0
	s_cbranch_scc1 .LBB235_148
; %bb.145:
	s_cmp_eq_u32 s5, 1
	s_cbranch_scc0 .LBB235_149
; %bb.146:
	v_max_num_f32_e64 v7, s6, s6
	v_max_num_f32_e32 v12, v11, v11
	s_mov_b32 s11, 0
	s_delay_alu instid0(VALU_DEP_1) | instskip(NEXT) | instid1(VALU_DEP_1)
	v_min_num_f32_e32 v7, v12, v7
	v_bfe_u32 v12, v7, 16, 1
	s_delay_alu instid0(VALU_DEP_1) | instskip(NEXT) | instid1(VALU_DEP_1)
	v_add3_u32 v7, v7, v12, 0x7fff
	v_lshrrev_b32_e32 v7, 16, v7
	s_branch .LBB235_150
.LBB235_147:
	v_max_num_f32_e64 v3, s6, s6
	v_max_num_f32_e64 v12, s7, s7
	s_delay_alu instid0(VALU_DEP_1) | instskip(NEXT) | instid1(VALU_DEP_1)
	v_maxmin_num_f32 v3, v11, v3, v12
	v_bfe_u32 v12, v3, 16, 1
	s_delay_alu instid0(VALU_DEP_1) | instskip(NEXT) | instid1(VALU_DEP_1)
	v_add3_u32 v3, v3, v12, 0x7fff
	v_lshrrev_b32_e32 v3, 16, v3
	s_cbranch_execz .LBB235_140
	s_branch .LBB235_141
.LBB235_148:
	s_mov_b32 s11, 0
                                        ; implicit-def: $vgpr7
	s_cbranch_execnz .LBB235_151
	s_branch .LBB235_152
.LBB235_149:
	s_mov_b32 s11, -1
                                        ; implicit-def: $vgpr7
.LBB235_150:
	s_branch .LBB235_152
.LBB235_151:
	s_cmp_lg_u32 s5, 0
	s_mov_b32 s10, -1
	s_cselect_b32 s11, -1, 0
.LBB235_152:
	v_max_num_f32_e32 v11, v11, v11
	s_and_not1_b32 vcc_lo, exec_lo, s11
	s_cbranch_vccz .LBB235_161
; %bb.153:
	s_and_not1_b32 vcc_lo, exec_lo, s10
	s_cbranch_vccnz .LBB235_155
.LBB235_154:
	v_max_num_f32_e64 v7, s6, s6
	s_delay_alu instid0(VALU_DEP_1) | instskip(NEXT) | instid1(VALU_DEP_1)
	v_max_num_f32_e32 v7, v11, v7
	v_bfe_u32 v11, v7, 16, 1
	s_delay_alu instid0(VALU_DEP_1) | instskip(NEXT) | instid1(VALU_DEP_1)
	v_add3_u32 v7, v7, v11, 0x7fff
	v_lshrrev_b32_e32 v7, 16, v7
.LBB235_155:
	s_or_b32 exec_lo, exec_lo, s3
.LBB235_156:
	s_delay_alu instid0(SALU_CYCLE_1) | instskip(SKIP_2) | instid1(VALU_DEP_1)
	s_or_b32 exec_lo, exec_lo, s1
	v_or_b32_e32 v11, 0x300, v0
	s_mov_b32 s1, exec_lo
	v_cmpx_gt_i32_e64 s4, v11
	s_cbranch_execz .LBB235_170
; %bb.157:
	s_wait_loadcnt 0x0
	v_lshlrev_b32_e32 v11, 16, v4
	s_mov_b32 s3, exec_lo
	s_delay_alu instid0(VALU_DEP_1)
	v_cmpx_o_f32_e32 v11, v11
	s_cbranch_execz .LBB235_169
; %bb.158:
	s_cmp_lt_i32 s5, 1
	s_mov_b32 s10, 0
	s_cbranch_scc1 .LBB235_162
; %bb.159:
	s_cmp_eq_u32 s5, 1
	s_cbranch_scc0 .LBB235_163
; %bb.160:
	v_max_num_f32_e64 v4, s6, s6
	v_max_num_f32_e32 v12, v11, v11
	s_mov_b32 s11, 0
	s_delay_alu instid0(VALU_DEP_1) | instskip(NEXT) | instid1(VALU_DEP_1)
	v_min_num_f32_e32 v4, v12, v4
	v_bfe_u32 v12, v4, 16, 1
	s_delay_alu instid0(VALU_DEP_1) | instskip(NEXT) | instid1(VALU_DEP_1)
	v_add3_u32 v4, v4, v12, 0x7fff
	v_lshrrev_b32_e32 v4, 16, v4
	s_branch .LBB235_164
.LBB235_161:
	v_max_num_f32_e64 v7, s6, s6
	v_max_num_f32_e64 v12, s7, s7
	s_delay_alu instid0(VALU_DEP_1) | instskip(NEXT) | instid1(VALU_DEP_1)
	v_maxmin_num_f32 v7, v11, v7, v12
	v_bfe_u32 v12, v7, 16, 1
	s_delay_alu instid0(VALU_DEP_1) | instskip(NEXT) | instid1(VALU_DEP_1)
	v_add3_u32 v7, v7, v12, 0x7fff
	v_lshrrev_b32_e32 v7, 16, v7
	s_cbranch_execz .LBB235_154
	s_branch .LBB235_155
.LBB235_162:
	s_mov_b32 s11, 0
                                        ; implicit-def: $vgpr4
	s_cbranch_execnz .LBB235_165
	s_branch .LBB235_166
.LBB235_163:
	s_mov_b32 s11, -1
                                        ; implicit-def: $vgpr4
.LBB235_164:
	s_branch .LBB235_166
.LBB235_165:
	s_cmp_lg_u32 s5, 0
	s_mov_b32 s10, -1
	s_cselect_b32 s11, -1, 0
.LBB235_166:
	v_max_num_f32_e32 v11, v11, v11
	s_and_not1_b32 vcc_lo, exec_lo, s11
	s_cbranch_vccz .LBB235_175
; %bb.167:
	s_and_not1_b32 vcc_lo, exec_lo, s10
	s_cbranch_vccnz .LBB235_169
.LBB235_168:
	v_max_num_f32_e64 v4, s6, s6
	s_delay_alu instid0(VALU_DEP_1) | instskip(NEXT) | instid1(VALU_DEP_1)
	v_max_num_f32_e32 v4, v11, v4
	v_bfe_u32 v11, v4, 16, 1
	s_delay_alu instid0(VALU_DEP_1) | instskip(NEXT) | instid1(VALU_DEP_1)
	v_add3_u32 v4, v4, v11, 0x7fff
	v_lshrrev_b32_e32 v4, 16, v4
.LBB235_169:
	s_or_b32 exec_lo, exec_lo, s3
.LBB235_170:
	s_delay_alu instid0(SALU_CYCLE_1) | instskip(SKIP_2) | instid1(VALU_DEP_1)
	s_or_b32 exec_lo, exec_lo, s1
	v_or_b32_e32 v11, 0x400, v0
	s_mov_b32 s1, exec_lo
	v_cmpx_gt_i32_e64 s4, v11
	s_cbranch_execz .LBB235_184
; %bb.171:
	s_wait_loadcnt 0x0
	v_lshlrev_b32_e32 v11, 16, v9
	s_mov_b32 s3, exec_lo
	s_delay_alu instid0(VALU_DEP_1)
	v_cmpx_o_f32_e32 v11, v11
	s_cbranch_execz .LBB235_183
; %bb.172:
	s_cmp_lt_i32 s5, 1
	s_mov_b32 s10, 0
	s_cbranch_scc1 .LBB235_176
; %bb.173:
	s_cmp_eq_u32 s5, 1
	s_cbranch_scc0 .LBB235_177
; %bb.174:
	v_max_num_f32_e64 v9, s6, s6
	v_max_num_f32_e32 v12, v11, v11
	s_mov_b32 s11, 0
	s_delay_alu instid0(VALU_DEP_1) | instskip(NEXT) | instid1(VALU_DEP_1)
	v_min_num_f32_e32 v9, v12, v9
	v_bfe_u32 v12, v9, 16, 1
	s_delay_alu instid0(VALU_DEP_1) | instskip(NEXT) | instid1(VALU_DEP_1)
	v_add3_u32 v9, v9, v12, 0x7fff
	v_lshrrev_b32_e32 v9, 16, v9
	s_branch .LBB235_178
.LBB235_175:
	v_max_num_f32_e64 v4, s6, s6
	v_max_num_f32_e64 v12, s7, s7
	s_delay_alu instid0(VALU_DEP_1) | instskip(NEXT) | instid1(VALU_DEP_1)
	v_maxmin_num_f32 v4, v11, v4, v12
	v_bfe_u32 v12, v4, 16, 1
	s_delay_alu instid0(VALU_DEP_1) | instskip(NEXT) | instid1(VALU_DEP_1)
	v_add3_u32 v4, v4, v12, 0x7fff
	v_lshrrev_b32_e32 v4, 16, v4
	s_cbranch_execz .LBB235_168
	s_branch .LBB235_169
.LBB235_176:
	s_mov_b32 s11, 0
                                        ; implicit-def: $vgpr9
	s_cbranch_execnz .LBB235_179
	s_branch .LBB235_180
.LBB235_177:
	s_mov_b32 s11, -1
                                        ; implicit-def: $vgpr9
.LBB235_178:
	s_branch .LBB235_180
.LBB235_179:
	s_cmp_lg_u32 s5, 0
	s_mov_b32 s10, -1
	s_cselect_b32 s11, -1, 0
.LBB235_180:
	v_max_num_f32_e32 v11, v11, v11
	s_and_not1_b32 vcc_lo, exec_lo, s11
	s_cbranch_vccz .LBB235_189
; %bb.181:
	s_and_not1_b32 vcc_lo, exec_lo, s10
	s_cbranch_vccnz .LBB235_183
.LBB235_182:
	v_max_num_f32_e64 v9, s6, s6
	s_delay_alu instid0(VALU_DEP_1) | instskip(NEXT) | instid1(VALU_DEP_1)
	v_max_num_f32_e32 v9, v11, v9
	v_bfe_u32 v11, v9, 16, 1
	s_delay_alu instid0(VALU_DEP_1) | instskip(NEXT) | instid1(VALU_DEP_1)
	v_add3_u32 v9, v9, v11, 0x7fff
	v_lshrrev_b32_e32 v9, 16, v9
.LBB235_183:
	s_or_b32 exec_lo, exec_lo, s3
.LBB235_184:
	s_delay_alu instid0(SALU_CYCLE_1) | instskip(SKIP_2) | instid1(VALU_DEP_1)
	s_or_b32 exec_lo, exec_lo, s1
	v_or_b32_e32 v11, 0x500, v0
	s_mov_b32 s1, exec_lo
	v_cmpx_gt_i32_e64 s4, v11
	s_cbranch_execz .LBB235_198
; %bb.185:
	s_wait_loadcnt 0x0
	v_lshlrev_b32_e32 v11, 16, v6
	s_mov_b32 s3, exec_lo
	s_delay_alu instid0(VALU_DEP_1)
	v_cmpx_o_f32_e32 v11, v11
	s_cbranch_execz .LBB235_197
; %bb.186:
	s_cmp_lt_i32 s5, 1
	s_mov_b32 s10, 0
	s_cbranch_scc1 .LBB235_190
; %bb.187:
	s_cmp_eq_u32 s5, 1
	s_cbranch_scc0 .LBB235_191
; %bb.188:
	v_max_num_f32_e64 v6, s6, s6
	v_max_num_f32_e32 v12, v11, v11
	s_mov_b32 s11, 0
	s_delay_alu instid0(VALU_DEP_1) | instskip(NEXT) | instid1(VALU_DEP_1)
	v_min_num_f32_e32 v6, v12, v6
	v_bfe_u32 v12, v6, 16, 1
	s_delay_alu instid0(VALU_DEP_1) | instskip(NEXT) | instid1(VALU_DEP_1)
	v_add3_u32 v6, v6, v12, 0x7fff
	v_lshrrev_b32_e32 v6, 16, v6
	s_branch .LBB235_192
.LBB235_189:
	v_max_num_f32_e64 v9, s6, s6
	v_max_num_f32_e64 v12, s7, s7
	s_delay_alu instid0(VALU_DEP_1) | instskip(NEXT) | instid1(VALU_DEP_1)
	v_maxmin_num_f32 v9, v11, v9, v12
	v_bfe_u32 v12, v9, 16, 1
	s_delay_alu instid0(VALU_DEP_1) | instskip(NEXT) | instid1(VALU_DEP_1)
	v_add3_u32 v9, v9, v12, 0x7fff
	v_lshrrev_b32_e32 v9, 16, v9
	s_cbranch_execz .LBB235_182
	s_branch .LBB235_183
.LBB235_190:
	s_mov_b32 s11, 0
                                        ; implicit-def: $vgpr6
	s_cbranch_execnz .LBB235_193
	s_branch .LBB235_194
.LBB235_191:
	s_mov_b32 s11, -1
                                        ; implicit-def: $vgpr6
.LBB235_192:
	s_branch .LBB235_194
.LBB235_193:
	s_cmp_lg_u32 s5, 0
	s_mov_b32 s10, -1
	s_cselect_b32 s11, -1, 0
.LBB235_194:
	v_max_num_f32_e32 v11, v11, v11
	s_and_not1_b32 vcc_lo, exec_lo, s11
	s_cbranch_vccz .LBB235_203
; %bb.195:
	s_and_not1_b32 vcc_lo, exec_lo, s10
	s_cbranch_vccnz .LBB235_197
.LBB235_196:
	v_max_num_f32_e64 v6, s6, s6
	s_delay_alu instid0(VALU_DEP_1) | instskip(NEXT) | instid1(VALU_DEP_1)
	v_max_num_f32_e32 v6, v11, v6
	v_bfe_u32 v11, v6, 16, 1
	s_delay_alu instid0(VALU_DEP_1) | instskip(NEXT) | instid1(VALU_DEP_1)
	v_add3_u32 v6, v6, v11, 0x7fff
	v_lshrrev_b32_e32 v6, 16, v6
.LBB235_197:
	s_or_b32 exec_lo, exec_lo, s3
.LBB235_198:
	s_delay_alu instid0(SALU_CYCLE_1) | instskip(SKIP_2) | instid1(VALU_DEP_1)
	s_or_b32 exec_lo, exec_lo, s1
	v_or_b32_e32 v11, 0x600, v0
	s_mov_b32 s1, exec_lo
	v_cmpx_gt_i32_e64 s4, v11
	s_cbranch_execz .LBB235_212
; %bb.199:
	s_wait_loadcnt 0x0
	v_lshlrev_b32_e32 v11, 16, v10
	s_mov_b32 s3, exec_lo
	s_delay_alu instid0(VALU_DEP_1)
	v_cmpx_o_f32_e32 v11, v11
	s_cbranch_execz .LBB235_211
; %bb.200:
	s_cmp_lt_i32 s5, 1
	s_mov_b32 s10, 0
	s_cbranch_scc1 .LBB235_204
; %bb.201:
	s_cmp_eq_u32 s5, 1
	s_cbranch_scc0 .LBB235_205
; %bb.202:
	v_max_num_f32_e64 v10, s6, s6
	v_max_num_f32_e32 v12, v11, v11
	s_mov_b32 s11, 0
	s_delay_alu instid0(VALU_DEP_1) | instskip(NEXT) | instid1(VALU_DEP_1)
	v_min_num_f32_e32 v10, v12, v10
	v_bfe_u32 v12, v10, 16, 1
	s_delay_alu instid0(VALU_DEP_1) | instskip(NEXT) | instid1(VALU_DEP_1)
	v_add3_u32 v10, v10, v12, 0x7fff
	v_lshrrev_b32_e32 v10, 16, v10
	s_branch .LBB235_206
.LBB235_203:
	v_max_num_f32_e64 v6, s6, s6
	v_max_num_f32_e64 v12, s7, s7
	s_delay_alu instid0(VALU_DEP_1) | instskip(NEXT) | instid1(VALU_DEP_1)
	v_maxmin_num_f32 v6, v11, v6, v12
	v_bfe_u32 v12, v6, 16, 1
	s_delay_alu instid0(VALU_DEP_1) | instskip(NEXT) | instid1(VALU_DEP_1)
	v_add3_u32 v6, v6, v12, 0x7fff
	v_lshrrev_b32_e32 v6, 16, v6
	s_cbranch_execz .LBB235_196
	s_branch .LBB235_197
.LBB235_204:
	s_mov_b32 s11, 0
                                        ; implicit-def: $vgpr10
	s_cbranch_execnz .LBB235_207
	s_branch .LBB235_208
.LBB235_205:
	s_mov_b32 s11, -1
                                        ; implicit-def: $vgpr10
.LBB235_206:
	s_branch .LBB235_208
.LBB235_207:
	s_cmp_lg_u32 s5, 0
	s_mov_b32 s10, -1
	s_cselect_b32 s11, -1, 0
.LBB235_208:
	v_max_num_f32_e32 v11, v11, v11
	s_and_not1_b32 vcc_lo, exec_lo, s11
	s_cbranch_vccz .LBB235_226
; %bb.209:
	s_and_not1_b32 vcc_lo, exec_lo, s10
	s_cbranch_vccnz .LBB235_211
.LBB235_210:
	v_max_num_f32_e64 v10, s6, s6
	s_delay_alu instid0(VALU_DEP_1) | instskip(NEXT) | instid1(VALU_DEP_1)
	v_max_num_f32_e32 v10, v11, v10
	v_bfe_u32 v11, v10, 16, 1
	s_delay_alu instid0(VALU_DEP_1) | instskip(NEXT) | instid1(VALU_DEP_1)
	v_add3_u32 v10, v10, v11, 0x7fff
	v_lshrrev_b32_e32 v10, 16, v10
.LBB235_211:
	s_or_b32 exec_lo, exec_lo, s3
.LBB235_212:
	s_delay_alu instid0(SALU_CYCLE_1) | instskip(SKIP_2) | instid1(VALU_DEP_1)
	s_or_b32 exec_lo, exec_lo, s1
	v_or_b32_e32 v11, 0x700, v0
	s_mov_b32 s1, exec_lo
	v_cmpx_gt_i32_e64 s4, v11
	s_cbranch_execnz .LBB235_222
; %bb.213:
	s_or_b32 exec_lo, exec_lo, s1
	s_and_saveexec_b32 s1, s0
	s_delay_alu instid0(SALU_CYCLE_1)
	s_xor_b32 s0, exec_lo, s1
	s_cbranch_execnz .LBB235_235
.LBB235_214:
	s_or_b32 exec_lo, exec_lo, s0
	s_delay_alu instid0(SALU_CYCLE_1)
	s_mov_b32 s0, exec_lo
	v_cmpx_gt_i32_e64 s4, v0
	s_cbranch_execnz .LBB235_236
.LBB235_215:
	s_or_b32 exec_lo, exec_lo, s0
	s_delay_alu instid0(SALU_CYCLE_1)
	s_mov_b32 s0, exec_lo
	v_cmpx_gt_i32_e64 s4, v0
	s_cbranch_execnz .LBB235_237
.LBB235_216:
	s_or_b32 exec_lo, exec_lo, s0
	s_delay_alu instid0(SALU_CYCLE_1)
	s_mov_b32 s0, exec_lo
	v_cmpx_gt_i32_e64 s4, v0
	s_cbranch_execnz .LBB235_238
.LBB235_217:
	s_or_b32 exec_lo, exec_lo, s0
	s_delay_alu instid0(SALU_CYCLE_1)
	s_mov_b32 s0, exec_lo
	v_cmpx_gt_i32_e64 s4, v0
	s_cbranch_execnz .LBB235_239
.LBB235_218:
	s_or_b32 exec_lo, exec_lo, s0
	s_delay_alu instid0(SALU_CYCLE_1)
	s_mov_b32 s0, exec_lo
	v_cmpx_gt_i32_e64 s4, v0
	s_cbranch_execnz .LBB235_240
.LBB235_219:
	s_or_b32 exec_lo, exec_lo, s0
	s_delay_alu instid0(SALU_CYCLE_1)
	s_mov_b32 s0, exec_lo
	v_cmpx_gt_i32_e64 s4, v0
	s_cbranch_execnz .LBB235_241
.LBB235_220:
	s_or_b32 exec_lo, exec_lo, s0
	s_delay_alu instid0(SALU_CYCLE_1)
	s_mov_b32 s0, exec_lo
	v_cmpx_gt_i32_e64 s4, v0
	s_cbranch_execz .LBB235_242
.LBB235_221:
	v_add_nc_u32_e32 v0, s2, v0
	s_wait_loadcnt 0x0
	global_store_b16 v0, v8, s[8:9] scale_offset
	s_endpgm
.LBB235_222:
	s_wait_loadcnt 0x0
	v_lshlrev_b32_e32 v11, 16, v8
	s_mov_b32 s3, exec_lo
	s_delay_alu instid0(VALU_DEP_1)
	v_cmpx_o_f32_e32 v11, v11
	s_cbranch_execz .LBB235_234
; %bb.223:
	s_cmp_lt_i32 s5, 1
	s_mov_b32 s10, 0
	s_cbranch_scc1 .LBB235_227
; %bb.224:
	s_cmp_eq_u32 s5, 1
	s_cbranch_scc0 .LBB235_228
; %bb.225:
	v_max_num_f32_e64 v8, s6, s6
	v_max_num_f32_e32 v12, v11, v11
	s_mov_b32 s11, 0
	s_delay_alu instid0(VALU_DEP_1) | instskip(NEXT) | instid1(VALU_DEP_1)
	v_min_num_f32_e32 v8, v12, v8
	v_bfe_u32 v12, v8, 16, 1
	s_delay_alu instid0(VALU_DEP_1) | instskip(NEXT) | instid1(VALU_DEP_1)
	v_add3_u32 v8, v8, v12, 0x7fff
	v_lshrrev_b32_e32 v8, 16, v8
	s_branch .LBB235_229
.LBB235_226:
	v_max_num_f32_e64 v10, s6, s6
	v_max_num_f32_e64 v12, s7, s7
	s_delay_alu instid0(VALU_DEP_1) | instskip(NEXT) | instid1(VALU_DEP_1)
	v_maxmin_num_f32 v10, v11, v10, v12
	v_bfe_u32 v12, v10, 16, 1
	s_delay_alu instid0(VALU_DEP_1) | instskip(NEXT) | instid1(VALU_DEP_1)
	v_add3_u32 v10, v10, v12, 0x7fff
	v_lshrrev_b32_e32 v10, 16, v10
	s_cbranch_execz .LBB235_210
	s_branch .LBB235_211
.LBB235_227:
	s_mov_b32 s11, 0
                                        ; implicit-def: $vgpr8
	s_cbranch_execnz .LBB235_230
	s_branch .LBB235_231
.LBB235_228:
	s_mov_b32 s11, -1
                                        ; implicit-def: $vgpr8
.LBB235_229:
	s_branch .LBB235_231
.LBB235_230:
	s_cmp_lg_u32 s5, 0
	s_mov_b32 s10, -1
	s_cselect_b32 s11, -1, 0
.LBB235_231:
	v_max_num_f32_e64 v12, s6, s6
	v_max_num_f32_e32 v11, v11, v11
	s_and_not1_b32 vcc_lo, exec_lo, s11
	s_cbranch_vccz .LBB235_243
; %bb.232:
	s_and_not1_b32 vcc_lo, exec_lo, s10
	s_cbranch_vccnz .LBB235_234
.LBB235_233:
	v_max_num_f32_e32 v8, v11, v12
	s_delay_alu instid0(VALU_DEP_1) | instskip(NEXT) | instid1(VALU_DEP_1)
	v_bfe_u32 v11, v8, 16, 1
	v_add3_u32 v8, v8, v11, 0x7fff
	s_delay_alu instid0(VALU_DEP_1)
	v_lshrrev_b32_e32 v8, 16, v8
.LBB235_234:
	s_or_b32 exec_lo, exec_lo, s3
	s_delay_alu instid0(SALU_CYCLE_1) | instskip(SKIP_1) | instid1(SALU_CYCLE_1)
	s_or_b32 exec_lo, exec_lo, s1
	s_and_saveexec_b32 s1, s0
	s_xor_b32 s0, exec_lo, s1
	s_cbranch_execz .LBB235_214
.LBB235_235:
	v_mov_b32_e32 v0, v2
	s_wait_loadcnt 0x0
	global_store_b16 v1, v5, s[8:9] scale_offset
	s_wait_xcnt 0x0
	s_or_b32 exec_lo, exec_lo, s0
	s_delay_alu instid0(SALU_CYCLE_1)
	s_mov_b32 s0, exec_lo
	v_cmpx_gt_i32_e64 s4, v0
	s_cbranch_execz .LBB235_215
.LBB235_236:
	v_add_nc_u32_e32 v1, s2, v0
	v_add_nc_u32_e32 v0, 0x100, v0
	s_wait_loadcnt 0x0
	global_store_b16 v1, v3, s[8:9] scale_offset
	s_wait_xcnt 0x0
	s_or_b32 exec_lo, exec_lo, s0
	s_delay_alu instid0(SALU_CYCLE_1)
	s_mov_b32 s0, exec_lo
	v_cmpx_gt_i32_e64 s4, v0
	s_cbranch_execz .LBB235_216
.LBB235_237:
	v_add_nc_u32_e32 v1, s2, v0
	v_add_nc_u32_e32 v0, 0x100, v0
	s_wait_loadcnt 0x0
	global_store_b16 v1, v7, s[8:9] scale_offset
	s_wait_xcnt 0x0
	s_or_b32 exec_lo, exec_lo, s0
	s_delay_alu instid0(SALU_CYCLE_1)
	s_mov_b32 s0, exec_lo
	v_cmpx_gt_i32_e64 s4, v0
	s_cbranch_execz .LBB235_217
.LBB235_238:
	v_add_nc_u32_e32 v1, s2, v0
	v_add_nc_u32_e32 v0, 0x100, v0
	s_wait_loadcnt 0x0
	global_store_b16 v1, v4, s[8:9] scale_offset
	s_wait_xcnt 0x0
	s_or_b32 exec_lo, exec_lo, s0
	s_delay_alu instid0(SALU_CYCLE_1)
	s_mov_b32 s0, exec_lo
	v_cmpx_gt_i32_e64 s4, v0
	s_cbranch_execz .LBB235_218
.LBB235_239:
	v_add_nc_u32_e32 v1, s2, v0
	v_add_nc_u32_e32 v0, 0x100, v0
	s_wait_loadcnt 0x0
	global_store_b16 v1, v9, s[8:9] scale_offset
	s_wait_xcnt 0x0
	s_or_b32 exec_lo, exec_lo, s0
	s_delay_alu instid0(SALU_CYCLE_1)
	s_mov_b32 s0, exec_lo
	v_cmpx_gt_i32_e64 s4, v0
	s_cbranch_execz .LBB235_219
.LBB235_240:
	v_add_nc_u32_e32 v1, s2, v0
	v_add_nc_u32_e32 v0, 0x100, v0
	s_wait_loadcnt 0x0
	global_store_b16 v1, v6, s[8:9] scale_offset
	s_wait_xcnt 0x0
	s_or_b32 exec_lo, exec_lo, s0
	s_delay_alu instid0(SALU_CYCLE_1)
	s_mov_b32 s0, exec_lo
	v_cmpx_gt_i32_e64 s4, v0
	s_cbranch_execz .LBB235_220
.LBB235_241:
	v_add_nc_u32_e32 v1, s2, v0
	v_add_nc_u32_e32 v0, 0x100, v0
	s_wait_loadcnt 0x0
	global_store_b16 v1, v10, s[8:9] scale_offset
	s_wait_xcnt 0x0
	s_or_b32 exec_lo, exec_lo, s0
	s_delay_alu instid0(SALU_CYCLE_1)
	s_mov_b32 s0, exec_lo
	v_cmpx_gt_i32_e64 s4, v0
	s_cbranch_execnz .LBB235_221
.LBB235_242:
	s_endpgm
.LBB235_243:
	v_max_num_f32_e64 v8, s7, s7
	s_delay_alu instid0(VALU_DEP_1) | instskip(NEXT) | instid1(VALU_DEP_1)
	v_maxmin_num_f32 v8, v11, v12, v8
	v_bfe_u32 v13, v8, 16, 1
	s_delay_alu instid0(VALU_DEP_1) | instskip(NEXT) | instid1(VALU_DEP_1)
	v_add3_u32 v8, v8, v13, 0x7fff
	v_lshrrev_b32_e32 v8, 16, v8
	s_cbranch_execz .LBB235_233
	s_branch .LBB235_234
	.section	.rodata,"a",@progbits
	.p2align	6, 0x0
	.amdhsa_kernel _ZN2at6native29vectorized_elementwise_kernelILi2EZZZNS0_12_GLOBAL__N_119launch_clamp_scalarERNS_18TensorIteratorBaseEN3c106ScalarES6_NS0_6detail11ClampLimitsEENKUlvE_clEvENKUlvE7_clEvEUlNS5_8BFloat16EE_St5arrayIPcLm2EEEEviT0_T1_
		.amdhsa_group_segment_fixed_size 0
		.amdhsa_private_segment_fixed_size 0
		.amdhsa_kernarg_size 32
		.amdhsa_user_sgpr_count 2
		.amdhsa_user_sgpr_dispatch_ptr 0
		.amdhsa_user_sgpr_queue_ptr 0
		.amdhsa_user_sgpr_kernarg_segment_ptr 1
		.amdhsa_user_sgpr_dispatch_id 0
		.amdhsa_user_sgpr_kernarg_preload_length 0
		.amdhsa_user_sgpr_kernarg_preload_offset 0
		.amdhsa_user_sgpr_private_segment_size 0
		.amdhsa_wavefront_size32 1
		.amdhsa_uses_dynamic_stack 0
		.amdhsa_enable_private_segment 0
		.amdhsa_system_sgpr_workgroup_id_x 1
		.amdhsa_system_sgpr_workgroup_id_y 0
		.amdhsa_system_sgpr_workgroup_id_z 0
		.amdhsa_system_sgpr_workgroup_info 0
		.amdhsa_system_vgpr_workitem_id 0
		.amdhsa_next_free_vgpr 14
		.amdhsa_next_free_sgpr 14
		.amdhsa_named_barrier_count 0
		.amdhsa_reserve_vcc 1
		.amdhsa_float_round_mode_32 0
		.amdhsa_float_round_mode_16_64 0
		.amdhsa_float_denorm_mode_32 3
		.amdhsa_float_denorm_mode_16_64 3
		.amdhsa_fp16_overflow 0
		.amdhsa_memory_ordered 1
		.amdhsa_forward_progress 1
		.amdhsa_inst_pref_size 46
		.amdhsa_round_robin_scheduling 0
		.amdhsa_exception_fp_ieee_invalid_op 0
		.amdhsa_exception_fp_denorm_src 0
		.amdhsa_exception_fp_ieee_div_zero 0
		.amdhsa_exception_fp_ieee_overflow 0
		.amdhsa_exception_fp_ieee_underflow 0
		.amdhsa_exception_fp_ieee_inexact 0
		.amdhsa_exception_int_div_zero 0
	.end_amdhsa_kernel
	.section	.text._ZN2at6native29vectorized_elementwise_kernelILi2EZZZNS0_12_GLOBAL__N_119launch_clamp_scalarERNS_18TensorIteratorBaseEN3c106ScalarES6_NS0_6detail11ClampLimitsEENKUlvE_clEvENKUlvE7_clEvEUlNS5_8BFloat16EE_St5arrayIPcLm2EEEEviT0_T1_,"axG",@progbits,_ZN2at6native29vectorized_elementwise_kernelILi2EZZZNS0_12_GLOBAL__N_119launch_clamp_scalarERNS_18TensorIteratorBaseEN3c106ScalarES6_NS0_6detail11ClampLimitsEENKUlvE_clEvENKUlvE7_clEvEUlNS5_8BFloat16EE_St5arrayIPcLm2EEEEviT0_T1_,comdat
.Lfunc_end235:
	.size	_ZN2at6native29vectorized_elementwise_kernelILi2EZZZNS0_12_GLOBAL__N_119launch_clamp_scalarERNS_18TensorIteratorBaseEN3c106ScalarES6_NS0_6detail11ClampLimitsEENKUlvE_clEvENKUlvE7_clEvEUlNS5_8BFloat16EE_St5arrayIPcLm2EEEEviT0_T1_, .Lfunc_end235-_ZN2at6native29vectorized_elementwise_kernelILi2EZZZNS0_12_GLOBAL__N_119launch_clamp_scalarERNS_18TensorIteratorBaseEN3c106ScalarES6_NS0_6detail11ClampLimitsEENKUlvE_clEvENKUlvE7_clEvEUlNS5_8BFloat16EE_St5arrayIPcLm2EEEEviT0_T1_
                                        ; -- End function
	.set _ZN2at6native29vectorized_elementwise_kernelILi2EZZZNS0_12_GLOBAL__N_119launch_clamp_scalarERNS_18TensorIteratorBaseEN3c106ScalarES6_NS0_6detail11ClampLimitsEENKUlvE_clEvENKUlvE7_clEvEUlNS5_8BFloat16EE_St5arrayIPcLm2EEEEviT0_T1_.num_vgpr, 14
	.set _ZN2at6native29vectorized_elementwise_kernelILi2EZZZNS0_12_GLOBAL__N_119launch_clamp_scalarERNS_18TensorIteratorBaseEN3c106ScalarES6_NS0_6detail11ClampLimitsEENKUlvE_clEvENKUlvE7_clEvEUlNS5_8BFloat16EE_St5arrayIPcLm2EEEEviT0_T1_.num_agpr, 0
	.set _ZN2at6native29vectorized_elementwise_kernelILi2EZZZNS0_12_GLOBAL__N_119launch_clamp_scalarERNS_18TensorIteratorBaseEN3c106ScalarES6_NS0_6detail11ClampLimitsEENKUlvE_clEvENKUlvE7_clEvEUlNS5_8BFloat16EE_St5arrayIPcLm2EEEEviT0_T1_.numbered_sgpr, 14
	.set _ZN2at6native29vectorized_elementwise_kernelILi2EZZZNS0_12_GLOBAL__N_119launch_clamp_scalarERNS_18TensorIteratorBaseEN3c106ScalarES6_NS0_6detail11ClampLimitsEENKUlvE_clEvENKUlvE7_clEvEUlNS5_8BFloat16EE_St5arrayIPcLm2EEEEviT0_T1_.num_named_barrier, 0
	.set _ZN2at6native29vectorized_elementwise_kernelILi2EZZZNS0_12_GLOBAL__N_119launch_clamp_scalarERNS_18TensorIteratorBaseEN3c106ScalarES6_NS0_6detail11ClampLimitsEENKUlvE_clEvENKUlvE7_clEvEUlNS5_8BFloat16EE_St5arrayIPcLm2EEEEviT0_T1_.private_seg_size, 0
	.set _ZN2at6native29vectorized_elementwise_kernelILi2EZZZNS0_12_GLOBAL__N_119launch_clamp_scalarERNS_18TensorIteratorBaseEN3c106ScalarES6_NS0_6detail11ClampLimitsEENKUlvE_clEvENKUlvE7_clEvEUlNS5_8BFloat16EE_St5arrayIPcLm2EEEEviT0_T1_.uses_vcc, 1
	.set _ZN2at6native29vectorized_elementwise_kernelILi2EZZZNS0_12_GLOBAL__N_119launch_clamp_scalarERNS_18TensorIteratorBaseEN3c106ScalarES6_NS0_6detail11ClampLimitsEENKUlvE_clEvENKUlvE7_clEvEUlNS5_8BFloat16EE_St5arrayIPcLm2EEEEviT0_T1_.uses_flat_scratch, 0
	.set _ZN2at6native29vectorized_elementwise_kernelILi2EZZZNS0_12_GLOBAL__N_119launch_clamp_scalarERNS_18TensorIteratorBaseEN3c106ScalarES6_NS0_6detail11ClampLimitsEENKUlvE_clEvENKUlvE7_clEvEUlNS5_8BFloat16EE_St5arrayIPcLm2EEEEviT0_T1_.has_dyn_sized_stack, 0
	.set _ZN2at6native29vectorized_elementwise_kernelILi2EZZZNS0_12_GLOBAL__N_119launch_clamp_scalarERNS_18TensorIteratorBaseEN3c106ScalarES6_NS0_6detail11ClampLimitsEENKUlvE_clEvENKUlvE7_clEvEUlNS5_8BFloat16EE_St5arrayIPcLm2EEEEviT0_T1_.has_recursion, 0
	.set _ZN2at6native29vectorized_elementwise_kernelILi2EZZZNS0_12_GLOBAL__N_119launch_clamp_scalarERNS_18TensorIteratorBaseEN3c106ScalarES6_NS0_6detail11ClampLimitsEENKUlvE_clEvENKUlvE7_clEvEUlNS5_8BFloat16EE_St5arrayIPcLm2EEEEviT0_T1_.has_indirect_call, 0
	.section	.AMDGPU.csdata,"",@progbits
; Kernel info:
; codeLenInByte = 5816
; TotalNumSgprs: 16
; NumVgprs: 14
; ScratchSize: 0
; MemoryBound: 0
; FloatMode: 240
; IeeeMode: 1
; LDSByteSize: 0 bytes/workgroup (compile time only)
; SGPRBlocks: 0
; VGPRBlocks: 0
; NumSGPRsForWavesPerEU: 16
; NumVGPRsForWavesPerEU: 14
; NamedBarCnt: 0
; Occupancy: 16
; WaveLimiterHint : 1
; COMPUTE_PGM_RSRC2:SCRATCH_EN: 0
; COMPUTE_PGM_RSRC2:USER_SGPR: 2
; COMPUTE_PGM_RSRC2:TRAP_HANDLER: 0
; COMPUTE_PGM_RSRC2:TGID_X_EN: 1
; COMPUTE_PGM_RSRC2:TGID_Y_EN: 0
; COMPUTE_PGM_RSRC2:TGID_Z_EN: 0
; COMPUTE_PGM_RSRC2:TIDIG_COMP_CNT: 0
	.section	.text._ZN2at6native27unrolled_elementwise_kernelIZZZNS0_12_GLOBAL__N_119launch_clamp_scalarERNS_18TensorIteratorBaseEN3c106ScalarES6_NS0_6detail11ClampLimitsEENKUlvE_clEvENKUlvE7_clEvEUlNS5_8BFloat16EE_St5arrayIPcLm2EELi4E23TrivialOffsetCalculatorILi1EjESH_NS0_6memory15LoadWithoutCastENSI_16StoreWithoutCastEEEviT_T0_T2_T3_T4_T5_,"axG",@progbits,_ZN2at6native27unrolled_elementwise_kernelIZZZNS0_12_GLOBAL__N_119launch_clamp_scalarERNS_18TensorIteratorBaseEN3c106ScalarES6_NS0_6detail11ClampLimitsEENKUlvE_clEvENKUlvE7_clEvEUlNS5_8BFloat16EE_St5arrayIPcLm2EELi4E23TrivialOffsetCalculatorILi1EjESH_NS0_6memory15LoadWithoutCastENSI_16StoreWithoutCastEEEviT_T0_T2_T3_T4_T5_,comdat
	.globl	_ZN2at6native27unrolled_elementwise_kernelIZZZNS0_12_GLOBAL__N_119launch_clamp_scalarERNS_18TensorIteratorBaseEN3c106ScalarES6_NS0_6detail11ClampLimitsEENKUlvE_clEvENKUlvE7_clEvEUlNS5_8BFloat16EE_St5arrayIPcLm2EELi4E23TrivialOffsetCalculatorILi1EjESH_NS0_6memory15LoadWithoutCastENSI_16StoreWithoutCastEEEviT_T0_T2_T3_T4_T5_ ; -- Begin function _ZN2at6native27unrolled_elementwise_kernelIZZZNS0_12_GLOBAL__N_119launch_clamp_scalarERNS_18TensorIteratorBaseEN3c106ScalarES6_NS0_6detail11ClampLimitsEENKUlvE_clEvENKUlvE7_clEvEUlNS5_8BFloat16EE_St5arrayIPcLm2EELi4E23TrivialOffsetCalculatorILi1EjESH_NS0_6memory15LoadWithoutCastENSI_16StoreWithoutCastEEEviT_T0_T2_T3_T4_T5_
	.p2align	8
	.type	_ZN2at6native27unrolled_elementwise_kernelIZZZNS0_12_GLOBAL__N_119launch_clamp_scalarERNS_18TensorIteratorBaseEN3c106ScalarES6_NS0_6detail11ClampLimitsEENKUlvE_clEvENKUlvE7_clEvEUlNS5_8BFloat16EE_St5arrayIPcLm2EELi4E23TrivialOffsetCalculatorILi1EjESH_NS0_6memory15LoadWithoutCastENSI_16StoreWithoutCastEEEviT_T0_T2_T3_T4_T5_,@function
_ZN2at6native27unrolled_elementwise_kernelIZZZNS0_12_GLOBAL__N_119launch_clamp_scalarERNS_18TensorIteratorBaseEN3c106ScalarES6_NS0_6detail11ClampLimitsEENKUlvE_clEvENKUlvE7_clEvEUlNS5_8BFloat16EE_St5arrayIPcLm2EELi4E23TrivialOffsetCalculatorILi1EjESH_NS0_6memory15LoadWithoutCastENSI_16StoreWithoutCastEEEviT_T0_T2_T3_T4_T5_: ; @_ZN2at6native27unrolled_elementwise_kernelIZZZNS0_12_GLOBAL__N_119launch_clamp_scalarERNS_18TensorIteratorBaseEN3c106ScalarES6_NS0_6detail11ClampLimitsEENKUlvE_clEvENKUlvE7_clEvEUlNS5_8BFloat16EE_St5arrayIPcLm2EELi4E23TrivialOffsetCalculatorILi1EjESH_NS0_6memory15LoadWithoutCastENSI_16StoreWithoutCastEEEviT_T0_T2_T3_T4_T5_
; %bb.0:
	s_load_b256 s[4:11], s[0:1], 0x0
	s_wait_xcnt 0x0
	s_bfe_u32 s0, ttmp6, 0x4000c
	s_and_b32 s1, ttmp6, 15
	s_add_co_i32 s0, s0, 1
	s_getreg_b32 s2, hwreg(HW_REG_IB_STS2, 6, 4)
	s_mul_i32 s0, ttmp9, s0
	v_dual_mov_b32 v3, 0 :: v_dual_mov_b32 v5, 0
	s_add_co_i32 s1, s1, s0
	s_cmp_eq_u32 s2, 0
	v_or_b32_e32 v1, 0x100, v0
	s_cselect_b32 s0, ttmp9, s1
	v_mov_b32_e32 v7, v0
	s_lshl_b32 s1, s0, 10
	s_delay_alu instid0(SALU_CYCLE_1) | instskip(SKIP_2) | instid1(SALU_CYCLE_1)
	v_or_b32_e32 v2, s1, v0
	s_wait_kmcnt 0x0
	s_sub_co_i32 s2, s4, s1
	v_cmp_gt_i32_e64 s0, s2, v0
	s_and_saveexec_b32 s3, s0
	s_cbranch_execz .LBB236_2
; %bb.1:
	global_load_u16 v5, v2, s[10:11] scale_offset
	v_or_b32_e32 v7, 0x100, v0
.LBB236_2:
	s_wait_xcnt 0x0
	s_or_b32 exec_lo, exec_lo, s3
	s_delay_alu instid0(SALU_CYCLE_1) | instskip(NEXT) | instid1(VALU_DEP_1)
	s_mov_b32 s3, exec_lo
	v_cmpx_gt_i32_e64 s2, v7
	s_cbranch_execz .LBB236_4
; %bb.3:
	v_add_nc_u32_e32 v3, s1, v7
	v_add_nc_u32_e32 v7, 0x100, v7
	global_load_u16 v3, v3, s[10:11] scale_offset
.LBB236_4:
	s_wait_xcnt 0x0
	s_or_b32 exec_lo, exec_lo, s3
	v_dual_mov_b32 v4, 0 :: v_dual_mov_b32 v6, 0
	s_mov_b32 s3, exec_lo
	v_cmpx_gt_i32_e64 s2, v7
	s_cbranch_execnz .LBB236_8
; %bb.5:
	s_or_b32 exec_lo, exec_lo, s3
	s_delay_alu instid0(SALU_CYCLE_1)
	s_mov_b32 s3, exec_lo
	v_cmpx_gt_i32_e64 s2, v7
	s_cbranch_execnz .LBB236_9
.LBB236_6:
	s_or_b32 exec_lo, exec_lo, s3
	s_and_saveexec_b32 s3, s0
	s_cbranch_execnz .LBB236_10
.LBB236_7:
	s_or_b32 exec_lo, exec_lo, s3
	s_delay_alu instid0(SALU_CYCLE_1)
	s_mov_b32 s3, exec_lo
	v_cmpx_gt_i32_e64 s2, v1
	s_cbranch_execnz .LBB236_22
	s_branch .LBB236_35
.LBB236_8:
	v_add_nc_u32_e32 v6, s1, v7
	v_add_nc_u32_e32 v7, 0x100, v7
	global_load_u16 v6, v6, s[10:11] scale_offset
	s_wait_xcnt 0x0
	s_or_b32 exec_lo, exec_lo, s3
	s_delay_alu instid0(SALU_CYCLE_1)
	s_mov_b32 s3, exec_lo
	v_cmpx_gt_i32_e64 s2, v7
	s_cbranch_execz .LBB236_6
.LBB236_9:
	v_add_nc_u32_e32 v4, s1, v7
	global_load_u16 v4, v4, s[10:11] scale_offset
	s_wait_xcnt 0x0
	s_or_b32 exec_lo, exec_lo, s3
	s_and_saveexec_b32 s3, s0
	s_cbranch_execz .LBB236_7
.LBB236_10:
	s_wait_loadcnt 0x0
	v_lshlrev_b32_e32 v7, 16, v5
	s_mov_b32 s4, exec_lo
	s_delay_alu instid0(VALU_DEP_1)
	v_cmpx_o_f32_e32 v7, v7
	s_cbranch_execz .LBB236_21
; %bb.11:
	s_cmp_lt_i32 s5, 1
	s_mov_b32 s10, 0
	s_cbranch_scc1 .LBB236_14
; %bb.12:
	s_cmp_eq_u32 s5, 1
	s_cbranch_scc0 .LBB236_15
; %bb.13:
	v_max_num_f32_e64 v5, s6, s6
	v_max_num_f32_e32 v8, v7, v7
	s_mov_b32 s11, 0
	s_delay_alu instid0(VALU_DEP_1) | instskip(NEXT) | instid1(VALU_DEP_1)
	v_min_num_f32_e32 v5, v8, v5
	v_bfe_u32 v8, v5, 16, 1
	s_delay_alu instid0(VALU_DEP_1) | instskip(NEXT) | instid1(VALU_DEP_1)
	v_add3_u32 v5, v5, v8, 0x7fff
	v_lshrrev_b32_e32 v5, 16, v5
	s_branch .LBB236_16
.LBB236_14:
	s_mov_b32 s11, 0
                                        ; implicit-def: $vgpr5
	s_cbranch_execnz .LBB236_17
	s_branch .LBB236_18
.LBB236_15:
	s_mov_b32 s11, -1
                                        ; implicit-def: $vgpr5
.LBB236_16:
	s_branch .LBB236_18
.LBB236_17:
	s_cmp_lg_u32 s5, 0
	s_mov_b32 s10, -1
	s_cselect_b32 s11, -1, 0
.LBB236_18:
	v_max_num_f32_e32 v7, v7, v7
	s_and_not1_b32 vcc_lo, exec_lo, s11
	s_cbranch_vccz .LBB236_26
; %bb.19:
	s_and_not1_b32 vcc_lo, exec_lo, s10
	s_cbranch_vccnz .LBB236_21
.LBB236_20:
	v_max_num_f32_e64 v5, s6, s6
	s_delay_alu instid0(VALU_DEP_1) | instskip(NEXT) | instid1(VALU_DEP_1)
	v_max_num_f32_e32 v5, v7, v5
	v_bfe_u32 v7, v5, 16, 1
	s_delay_alu instid0(VALU_DEP_1) | instskip(NEXT) | instid1(VALU_DEP_1)
	v_add3_u32 v5, v5, v7, 0x7fff
	v_lshrrev_b32_e32 v5, 16, v5
.LBB236_21:
	s_or_b32 exec_lo, exec_lo, s4
	s_delay_alu instid0(SALU_CYCLE_1) | instskip(NEXT) | instid1(SALU_CYCLE_1)
	s_or_b32 exec_lo, exec_lo, s3
	s_mov_b32 s3, exec_lo
	v_cmpx_gt_i32_e64 s2, v1
	s_cbranch_execz .LBB236_35
.LBB236_22:
	s_wait_loadcnt 0x0
	v_lshlrev_b32_e32 v7, 16, v3
	s_mov_b32 s4, exec_lo
	s_delay_alu instid0(VALU_DEP_1)
	v_cmpx_o_f32_e32 v7, v7
	s_cbranch_execz .LBB236_34
; %bb.23:
	s_cmp_lt_i32 s5, 1
	s_mov_b32 s10, 0
	s_cbranch_scc1 .LBB236_27
; %bb.24:
	s_cmp_eq_u32 s5, 1
	s_cbranch_scc0 .LBB236_28
; %bb.25:
	v_max_num_f32_e64 v3, s6, s6
	v_max_num_f32_e32 v8, v7, v7
	s_mov_b32 s11, 0
	s_delay_alu instid0(VALU_DEP_1) | instskip(NEXT) | instid1(VALU_DEP_1)
	v_min_num_f32_e32 v3, v8, v3
	v_bfe_u32 v8, v3, 16, 1
	s_delay_alu instid0(VALU_DEP_1) | instskip(NEXT) | instid1(VALU_DEP_1)
	v_add3_u32 v3, v3, v8, 0x7fff
	v_lshrrev_b32_e32 v3, 16, v3
	s_branch .LBB236_29
.LBB236_26:
	v_max_num_f32_e64 v5, s6, s6
	v_max_num_f32_e64 v8, s7, s7
	s_delay_alu instid0(VALU_DEP_1) | instskip(NEXT) | instid1(VALU_DEP_1)
	v_maxmin_num_f32 v5, v7, v5, v8
	v_bfe_u32 v8, v5, 16, 1
	s_delay_alu instid0(VALU_DEP_1) | instskip(NEXT) | instid1(VALU_DEP_1)
	v_add3_u32 v5, v5, v8, 0x7fff
	v_lshrrev_b32_e32 v5, 16, v5
	s_cbranch_execz .LBB236_20
	s_branch .LBB236_21
.LBB236_27:
	s_mov_b32 s11, 0
                                        ; implicit-def: $vgpr3
	s_cbranch_execnz .LBB236_30
	s_branch .LBB236_31
.LBB236_28:
	s_mov_b32 s11, -1
                                        ; implicit-def: $vgpr3
.LBB236_29:
	s_branch .LBB236_31
.LBB236_30:
	s_cmp_lg_u32 s5, 0
	s_mov_b32 s10, -1
	s_cselect_b32 s11, -1, 0
.LBB236_31:
	v_max_num_f32_e32 v7, v7, v7
	s_and_not1_b32 vcc_lo, exec_lo, s11
	s_cbranch_vccz .LBB236_40
; %bb.32:
	s_and_not1_b32 vcc_lo, exec_lo, s10
	s_cbranch_vccnz .LBB236_34
.LBB236_33:
	v_max_num_f32_e64 v3, s6, s6
	s_delay_alu instid0(VALU_DEP_1) | instskip(NEXT) | instid1(VALU_DEP_1)
	v_max_num_f32_e32 v3, v7, v3
	v_bfe_u32 v7, v3, 16, 1
	s_delay_alu instid0(VALU_DEP_1) | instskip(NEXT) | instid1(VALU_DEP_1)
	v_add3_u32 v3, v3, v7, 0x7fff
	v_lshrrev_b32_e32 v3, 16, v3
.LBB236_34:
	s_or_b32 exec_lo, exec_lo, s4
.LBB236_35:
	s_delay_alu instid0(SALU_CYCLE_1) | instskip(SKIP_2) | instid1(VALU_DEP_1)
	s_or_b32 exec_lo, exec_lo, s3
	v_or_b32_e32 v7, 0x200, v0
	s_mov_b32 s3, exec_lo
	v_cmpx_gt_i32_e64 s2, v7
	s_cbranch_execz .LBB236_49
; %bb.36:
	s_wait_loadcnt 0x0
	v_lshlrev_b32_e32 v7, 16, v6
	s_mov_b32 s4, exec_lo
	s_delay_alu instid0(VALU_DEP_1)
	v_cmpx_o_f32_e32 v7, v7
	s_cbranch_execz .LBB236_48
; %bb.37:
	s_cmp_lt_i32 s5, 1
	s_mov_b32 s10, 0
	s_cbranch_scc1 .LBB236_41
; %bb.38:
	s_cmp_eq_u32 s5, 1
	s_cbranch_scc0 .LBB236_42
; %bb.39:
	v_max_num_f32_e64 v6, s6, s6
	v_max_num_f32_e32 v8, v7, v7
	s_mov_b32 s11, 0
	s_delay_alu instid0(VALU_DEP_1) | instskip(NEXT) | instid1(VALU_DEP_1)
	v_min_num_f32_e32 v6, v8, v6
	v_bfe_u32 v8, v6, 16, 1
	s_delay_alu instid0(VALU_DEP_1) | instskip(NEXT) | instid1(VALU_DEP_1)
	v_add3_u32 v6, v6, v8, 0x7fff
	v_lshrrev_b32_e32 v6, 16, v6
	s_branch .LBB236_43
.LBB236_40:
	v_max_num_f32_e64 v3, s6, s6
	v_max_num_f32_e64 v8, s7, s7
	s_delay_alu instid0(VALU_DEP_1) | instskip(NEXT) | instid1(VALU_DEP_1)
	v_maxmin_num_f32 v3, v7, v3, v8
	v_bfe_u32 v8, v3, 16, 1
	s_delay_alu instid0(VALU_DEP_1) | instskip(NEXT) | instid1(VALU_DEP_1)
	v_add3_u32 v3, v3, v8, 0x7fff
	v_lshrrev_b32_e32 v3, 16, v3
	s_cbranch_execz .LBB236_33
	s_branch .LBB236_34
.LBB236_41:
	s_mov_b32 s11, 0
                                        ; implicit-def: $vgpr6
	s_cbranch_execnz .LBB236_44
	s_branch .LBB236_45
.LBB236_42:
	s_mov_b32 s11, -1
                                        ; implicit-def: $vgpr6
.LBB236_43:
	s_branch .LBB236_45
.LBB236_44:
	s_cmp_lg_u32 s5, 0
	s_mov_b32 s10, -1
	s_cselect_b32 s11, -1, 0
.LBB236_45:
	v_max_num_f32_e32 v7, v7, v7
	s_and_not1_b32 vcc_lo, exec_lo, s11
	s_cbranch_vccz .LBB236_59
; %bb.46:
	s_and_not1_b32 vcc_lo, exec_lo, s10
	s_cbranch_vccnz .LBB236_48
.LBB236_47:
	v_max_num_f32_e64 v6, s6, s6
	s_delay_alu instid0(VALU_DEP_1) | instskip(NEXT) | instid1(VALU_DEP_1)
	v_max_num_f32_e32 v6, v7, v6
	v_bfe_u32 v7, v6, 16, 1
	s_delay_alu instid0(VALU_DEP_1) | instskip(NEXT) | instid1(VALU_DEP_1)
	v_add3_u32 v6, v6, v7, 0x7fff
	v_lshrrev_b32_e32 v6, 16, v6
.LBB236_48:
	s_or_b32 exec_lo, exec_lo, s4
.LBB236_49:
	s_delay_alu instid0(SALU_CYCLE_1) | instskip(SKIP_2) | instid1(VALU_DEP_1)
	s_or_b32 exec_lo, exec_lo, s3
	v_or_b32_e32 v7, 0x300, v0
	s_mov_b32 s3, exec_lo
	v_cmpx_gt_i32_e64 s2, v7
	s_cbranch_execnz .LBB236_55
; %bb.50:
	s_or_b32 exec_lo, exec_lo, s3
	s_and_saveexec_b32 s3, s0
	s_delay_alu instid0(SALU_CYCLE_1)
	s_xor_b32 s0, exec_lo, s3
	s_cbranch_execnz .LBB236_68
.LBB236_51:
	s_or_b32 exec_lo, exec_lo, s0
	s_delay_alu instid0(SALU_CYCLE_1)
	s_mov_b32 s0, exec_lo
	v_cmpx_gt_i32_e64 s2, v0
	s_cbranch_execnz .LBB236_69
.LBB236_52:
	s_or_b32 exec_lo, exec_lo, s0
	s_delay_alu instid0(SALU_CYCLE_1)
	s_mov_b32 s0, exec_lo
	v_cmpx_gt_i32_e64 s2, v0
	s_cbranch_execnz .LBB236_70
.LBB236_53:
	s_or_b32 exec_lo, exec_lo, s0
	s_delay_alu instid0(SALU_CYCLE_1)
	s_mov_b32 s0, exec_lo
	v_cmpx_gt_i32_e64 s2, v0
	s_cbranch_execnz .LBB236_71
.LBB236_54:
	s_endpgm
.LBB236_55:
	s_wait_loadcnt 0x0
	v_lshlrev_b32_e32 v7, 16, v4
	s_mov_b32 s4, exec_lo
	s_delay_alu instid0(VALU_DEP_1)
	v_cmpx_o_f32_e32 v7, v7
	s_cbranch_execz .LBB236_67
; %bb.56:
	s_cmp_lt_i32 s5, 1
	s_mov_b32 s10, 0
	s_cbranch_scc1 .LBB236_60
; %bb.57:
	s_cmp_eq_u32 s5, 1
	s_cbranch_scc0 .LBB236_61
; %bb.58:
	v_max_num_f32_e64 v4, s6, s6
	v_max_num_f32_e32 v8, v7, v7
	s_mov_b32 s11, 0
	s_delay_alu instid0(VALU_DEP_1) | instskip(NEXT) | instid1(VALU_DEP_1)
	v_min_num_f32_e32 v4, v8, v4
	v_bfe_u32 v8, v4, 16, 1
	s_delay_alu instid0(VALU_DEP_1) | instskip(NEXT) | instid1(VALU_DEP_1)
	v_add3_u32 v4, v4, v8, 0x7fff
	v_lshrrev_b32_e32 v4, 16, v4
	s_branch .LBB236_62
.LBB236_59:
	v_max_num_f32_e64 v6, s6, s6
	v_max_num_f32_e64 v8, s7, s7
	s_delay_alu instid0(VALU_DEP_1) | instskip(NEXT) | instid1(VALU_DEP_1)
	v_maxmin_num_f32 v6, v7, v6, v8
	v_bfe_u32 v8, v6, 16, 1
	s_delay_alu instid0(VALU_DEP_1) | instskip(NEXT) | instid1(VALU_DEP_1)
	v_add3_u32 v6, v6, v8, 0x7fff
	v_lshrrev_b32_e32 v6, 16, v6
	s_cbranch_execz .LBB236_47
	s_branch .LBB236_48
.LBB236_60:
	s_mov_b32 s11, 0
                                        ; implicit-def: $vgpr4
	s_cbranch_execnz .LBB236_63
	s_branch .LBB236_64
.LBB236_61:
	s_mov_b32 s11, -1
                                        ; implicit-def: $vgpr4
.LBB236_62:
	s_branch .LBB236_64
.LBB236_63:
	s_cmp_lg_u32 s5, 0
	s_mov_b32 s10, -1
	s_cselect_b32 s11, -1, 0
.LBB236_64:
	v_max_num_f32_e64 v8, s6, s6
	v_max_num_f32_e32 v7, v7, v7
	s_and_not1_b32 vcc_lo, exec_lo, s11
	s_cbranch_vccz .LBB236_72
; %bb.65:
	s_and_not1_b32 vcc_lo, exec_lo, s10
	s_cbranch_vccnz .LBB236_67
.LBB236_66:
	v_max_num_f32_e32 v4, v7, v8
	s_delay_alu instid0(VALU_DEP_1) | instskip(NEXT) | instid1(VALU_DEP_1)
	v_bfe_u32 v7, v4, 16, 1
	v_add3_u32 v4, v4, v7, 0x7fff
	s_delay_alu instid0(VALU_DEP_1)
	v_lshrrev_b32_e32 v4, 16, v4
.LBB236_67:
	s_or_b32 exec_lo, exec_lo, s4
	s_delay_alu instid0(SALU_CYCLE_1) | instskip(SKIP_1) | instid1(SALU_CYCLE_1)
	s_or_b32 exec_lo, exec_lo, s3
	s_and_saveexec_b32 s3, s0
	s_xor_b32 s0, exec_lo, s3
	s_cbranch_execz .LBB236_51
.LBB236_68:
	v_mov_b32_e32 v0, v1
	s_wait_loadcnt 0x0
	global_store_b16 v2, v5, s[8:9] scale_offset
	s_wait_xcnt 0x0
	s_or_b32 exec_lo, exec_lo, s0
	s_delay_alu instid0(SALU_CYCLE_1)
	s_mov_b32 s0, exec_lo
	v_cmpx_gt_i32_e64 s2, v0
	s_cbranch_execz .LBB236_52
.LBB236_69:
	v_add_nc_u32_e32 v1, 0x100, v0
	s_delay_alu instid0(VALU_DEP_1) | instskip(SKIP_4) | instid1(SALU_CYCLE_1)
	v_dual_add_nc_u32 v2, s1, v0 :: v_dual_mov_b32 v0, v1
	s_wait_loadcnt 0x0
	global_store_b16 v2, v3, s[8:9] scale_offset
	s_wait_xcnt 0x0
	s_or_b32 exec_lo, exec_lo, s0
	s_mov_b32 s0, exec_lo
	v_cmpx_gt_i32_e64 s2, v0
	s_cbranch_execz .LBB236_53
.LBB236_70:
	v_add_nc_u32_e32 v1, 0x100, v0
	s_delay_alu instid0(VALU_DEP_1) | instskip(SKIP_4) | instid1(SALU_CYCLE_1)
	v_dual_add_nc_u32 v2, s1, v0 :: v_dual_mov_b32 v0, v1
	s_wait_loadcnt 0x0
	global_store_b16 v2, v6, s[8:9] scale_offset
	s_wait_xcnt 0x0
	s_or_b32 exec_lo, exec_lo, s0
	s_mov_b32 s0, exec_lo
	v_cmpx_gt_i32_e64 s2, v0
	s_cbranch_execz .LBB236_54
.LBB236_71:
	v_add_nc_u32_e32 v0, s1, v0
	s_wait_loadcnt 0x0
	global_store_b16 v0, v4, s[8:9] scale_offset
	s_endpgm
.LBB236_72:
	v_max_num_f32_e64 v4, s7, s7
	s_delay_alu instid0(VALU_DEP_1) | instskip(NEXT) | instid1(VALU_DEP_1)
	v_maxmin_num_f32 v4, v7, v8, v4
	v_bfe_u32 v9, v4, 16, 1
	s_delay_alu instid0(VALU_DEP_1) | instskip(NEXT) | instid1(VALU_DEP_1)
	v_add3_u32 v4, v4, v9, 0x7fff
	v_lshrrev_b32_e32 v4, 16, v4
	s_cbranch_execz .LBB236_66
	s_branch .LBB236_67
	.section	.rodata,"a",@progbits
	.p2align	6, 0x0
	.amdhsa_kernel _ZN2at6native27unrolled_elementwise_kernelIZZZNS0_12_GLOBAL__N_119launch_clamp_scalarERNS_18TensorIteratorBaseEN3c106ScalarES6_NS0_6detail11ClampLimitsEENKUlvE_clEvENKUlvE7_clEvEUlNS5_8BFloat16EE_St5arrayIPcLm2EELi4E23TrivialOffsetCalculatorILi1EjESH_NS0_6memory15LoadWithoutCastENSI_16StoreWithoutCastEEEviT_T0_T2_T3_T4_T5_
		.amdhsa_group_segment_fixed_size 0
		.amdhsa_private_segment_fixed_size 0
		.amdhsa_kernarg_size 36
		.amdhsa_user_sgpr_count 2
		.amdhsa_user_sgpr_dispatch_ptr 0
		.amdhsa_user_sgpr_queue_ptr 0
		.amdhsa_user_sgpr_kernarg_segment_ptr 1
		.amdhsa_user_sgpr_dispatch_id 0
		.amdhsa_user_sgpr_kernarg_preload_length 0
		.amdhsa_user_sgpr_kernarg_preload_offset 0
		.amdhsa_user_sgpr_private_segment_size 0
		.amdhsa_wavefront_size32 1
		.amdhsa_uses_dynamic_stack 0
		.amdhsa_enable_private_segment 0
		.amdhsa_system_sgpr_workgroup_id_x 1
		.amdhsa_system_sgpr_workgroup_id_y 0
		.amdhsa_system_sgpr_workgroup_id_z 0
		.amdhsa_system_sgpr_workgroup_info 0
		.amdhsa_system_vgpr_workitem_id 0
		.amdhsa_next_free_vgpr 10
		.amdhsa_next_free_sgpr 12
		.amdhsa_named_barrier_count 0
		.amdhsa_reserve_vcc 1
		.amdhsa_float_round_mode_32 0
		.amdhsa_float_round_mode_16_64 0
		.amdhsa_float_denorm_mode_32 3
		.amdhsa_float_denorm_mode_16_64 3
		.amdhsa_fp16_overflow 0
		.amdhsa_memory_ordered 1
		.amdhsa_forward_progress 1
		.amdhsa_inst_pref_size 15
		.amdhsa_round_robin_scheduling 0
		.amdhsa_exception_fp_ieee_invalid_op 0
		.amdhsa_exception_fp_denorm_src 0
		.amdhsa_exception_fp_ieee_div_zero 0
		.amdhsa_exception_fp_ieee_overflow 0
		.amdhsa_exception_fp_ieee_underflow 0
		.amdhsa_exception_fp_ieee_inexact 0
		.amdhsa_exception_int_div_zero 0
	.end_amdhsa_kernel
	.section	.text._ZN2at6native27unrolled_elementwise_kernelIZZZNS0_12_GLOBAL__N_119launch_clamp_scalarERNS_18TensorIteratorBaseEN3c106ScalarES6_NS0_6detail11ClampLimitsEENKUlvE_clEvENKUlvE7_clEvEUlNS5_8BFloat16EE_St5arrayIPcLm2EELi4E23TrivialOffsetCalculatorILi1EjESH_NS0_6memory15LoadWithoutCastENSI_16StoreWithoutCastEEEviT_T0_T2_T3_T4_T5_,"axG",@progbits,_ZN2at6native27unrolled_elementwise_kernelIZZZNS0_12_GLOBAL__N_119launch_clamp_scalarERNS_18TensorIteratorBaseEN3c106ScalarES6_NS0_6detail11ClampLimitsEENKUlvE_clEvENKUlvE7_clEvEUlNS5_8BFloat16EE_St5arrayIPcLm2EELi4E23TrivialOffsetCalculatorILi1EjESH_NS0_6memory15LoadWithoutCastENSI_16StoreWithoutCastEEEviT_T0_T2_T3_T4_T5_,comdat
.Lfunc_end236:
	.size	_ZN2at6native27unrolled_elementwise_kernelIZZZNS0_12_GLOBAL__N_119launch_clamp_scalarERNS_18TensorIteratorBaseEN3c106ScalarES6_NS0_6detail11ClampLimitsEENKUlvE_clEvENKUlvE7_clEvEUlNS5_8BFloat16EE_St5arrayIPcLm2EELi4E23TrivialOffsetCalculatorILi1EjESH_NS0_6memory15LoadWithoutCastENSI_16StoreWithoutCastEEEviT_T0_T2_T3_T4_T5_, .Lfunc_end236-_ZN2at6native27unrolled_elementwise_kernelIZZZNS0_12_GLOBAL__N_119launch_clamp_scalarERNS_18TensorIteratorBaseEN3c106ScalarES6_NS0_6detail11ClampLimitsEENKUlvE_clEvENKUlvE7_clEvEUlNS5_8BFloat16EE_St5arrayIPcLm2EELi4E23TrivialOffsetCalculatorILi1EjESH_NS0_6memory15LoadWithoutCastENSI_16StoreWithoutCastEEEviT_T0_T2_T3_T4_T5_
                                        ; -- End function
	.set _ZN2at6native27unrolled_elementwise_kernelIZZZNS0_12_GLOBAL__N_119launch_clamp_scalarERNS_18TensorIteratorBaseEN3c106ScalarES6_NS0_6detail11ClampLimitsEENKUlvE_clEvENKUlvE7_clEvEUlNS5_8BFloat16EE_St5arrayIPcLm2EELi4E23TrivialOffsetCalculatorILi1EjESH_NS0_6memory15LoadWithoutCastENSI_16StoreWithoutCastEEEviT_T0_T2_T3_T4_T5_.num_vgpr, 10
	.set _ZN2at6native27unrolled_elementwise_kernelIZZZNS0_12_GLOBAL__N_119launch_clamp_scalarERNS_18TensorIteratorBaseEN3c106ScalarES6_NS0_6detail11ClampLimitsEENKUlvE_clEvENKUlvE7_clEvEUlNS5_8BFloat16EE_St5arrayIPcLm2EELi4E23TrivialOffsetCalculatorILi1EjESH_NS0_6memory15LoadWithoutCastENSI_16StoreWithoutCastEEEviT_T0_T2_T3_T4_T5_.num_agpr, 0
	.set _ZN2at6native27unrolled_elementwise_kernelIZZZNS0_12_GLOBAL__N_119launch_clamp_scalarERNS_18TensorIteratorBaseEN3c106ScalarES6_NS0_6detail11ClampLimitsEENKUlvE_clEvENKUlvE7_clEvEUlNS5_8BFloat16EE_St5arrayIPcLm2EELi4E23TrivialOffsetCalculatorILi1EjESH_NS0_6memory15LoadWithoutCastENSI_16StoreWithoutCastEEEviT_T0_T2_T3_T4_T5_.numbered_sgpr, 12
	.set _ZN2at6native27unrolled_elementwise_kernelIZZZNS0_12_GLOBAL__N_119launch_clamp_scalarERNS_18TensorIteratorBaseEN3c106ScalarES6_NS0_6detail11ClampLimitsEENKUlvE_clEvENKUlvE7_clEvEUlNS5_8BFloat16EE_St5arrayIPcLm2EELi4E23TrivialOffsetCalculatorILi1EjESH_NS0_6memory15LoadWithoutCastENSI_16StoreWithoutCastEEEviT_T0_T2_T3_T4_T5_.num_named_barrier, 0
	.set _ZN2at6native27unrolled_elementwise_kernelIZZZNS0_12_GLOBAL__N_119launch_clamp_scalarERNS_18TensorIteratorBaseEN3c106ScalarES6_NS0_6detail11ClampLimitsEENKUlvE_clEvENKUlvE7_clEvEUlNS5_8BFloat16EE_St5arrayIPcLm2EELi4E23TrivialOffsetCalculatorILi1EjESH_NS0_6memory15LoadWithoutCastENSI_16StoreWithoutCastEEEviT_T0_T2_T3_T4_T5_.private_seg_size, 0
	.set _ZN2at6native27unrolled_elementwise_kernelIZZZNS0_12_GLOBAL__N_119launch_clamp_scalarERNS_18TensorIteratorBaseEN3c106ScalarES6_NS0_6detail11ClampLimitsEENKUlvE_clEvENKUlvE7_clEvEUlNS5_8BFloat16EE_St5arrayIPcLm2EELi4E23TrivialOffsetCalculatorILi1EjESH_NS0_6memory15LoadWithoutCastENSI_16StoreWithoutCastEEEviT_T0_T2_T3_T4_T5_.uses_vcc, 1
	.set _ZN2at6native27unrolled_elementwise_kernelIZZZNS0_12_GLOBAL__N_119launch_clamp_scalarERNS_18TensorIteratorBaseEN3c106ScalarES6_NS0_6detail11ClampLimitsEENKUlvE_clEvENKUlvE7_clEvEUlNS5_8BFloat16EE_St5arrayIPcLm2EELi4E23TrivialOffsetCalculatorILi1EjESH_NS0_6memory15LoadWithoutCastENSI_16StoreWithoutCastEEEviT_T0_T2_T3_T4_T5_.uses_flat_scratch, 0
	.set _ZN2at6native27unrolled_elementwise_kernelIZZZNS0_12_GLOBAL__N_119launch_clamp_scalarERNS_18TensorIteratorBaseEN3c106ScalarES6_NS0_6detail11ClampLimitsEENKUlvE_clEvENKUlvE7_clEvEUlNS5_8BFloat16EE_St5arrayIPcLm2EELi4E23TrivialOffsetCalculatorILi1EjESH_NS0_6memory15LoadWithoutCastENSI_16StoreWithoutCastEEEviT_T0_T2_T3_T4_T5_.has_dyn_sized_stack, 0
	.set _ZN2at6native27unrolled_elementwise_kernelIZZZNS0_12_GLOBAL__N_119launch_clamp_scalarERNS_18TensorIteratorBaseEN3c106ScalarES6_NS0_6detail11ClampLimitsEENKUlvE_clEvENKUlvE7_clEvEUlNS5_8BFloat16EE_St5arrayIPcLm2EELi4E23TrivialOffsetCalculatorILi1EjESH_NS0_6memory15LoadWithoutCastENSI_16StoreWithoutCastEEEviT_T0_T2_T3_T4_T5_.has_recursion, 0
	.set _ZN2at6native27unrolled_elementwise_kernelIZZZNS0_12_GLOBAL__N_119launch_clamp_scalarERNS_18TensorIteratorBaseEN3c106ScalarES6_NS0_6detail11ClampLimitsEENKUlvE_clEvENKUlvE7_clEvEUlNS5_8BFloat16EE_St5arrayIPcLm2EELi4E23TrivialOffsetCalculatorILi1EjESH_NS0_6memory15LoadWithoutCastENSI_16StoreWithoutCastEEEviT_T0_T2_T3_T4_T5_.has_indirect_call, 0
	.section	.AMDGPU.csdata,"",@progbits
; Kernel info:
; codeLenInByte = 1816
; TotalNumSgprs: 14
; NumVgprs: 10
; ScratchSize: 0
; MemoryBound: 0
; FloatMode: 240
; IeeeMode: 1
; LDSByteSize: 0 bytes/workgroup (compile time only)
; SGPRBlocks: 0
; VGPRBlocks: 0
; NumSGPRsForWavesPerEU: 14
; NumVGPRsForWavesPerEU: 10
; NamedBarCnt: 0
; Occupancy: 16
; WaveLimiterHint : 0
; COMPUTE_PGM_RSRC2:SCRATCH_EN: 0
; COMPUTE_PGM_RSRC2:USER_SGPR: 2
; COMPUTE_PGM_RSRC2:TRAP_HANDLER: 0
; COMPUTE_PGM_RSRC2:TGID_X_EN: 1
; COMPUTE_PGM_RSRC2:TGID_Y_EN: 0
; COMPUTE_PGM_RSRC2:TGID_Z_EN: 0
; COMPUTE_PGM_RSRC2:TIDIG_COMP_CNT: 0
	.section	.text._ZN2at6native32elementwise_kernel_manual_unrollILi128ELi8EZNS0_22gpu_kernel_impl_nocastIZZZNS0_12_GLOBAL__N_119launch_clamp_scalarERNS_18TensorIteratorBaseEN3c106ScalarES7_NS0_6detail11ClampLimitsEENKUlvE_clEvENKUlvE7_clEvEUlNS6_8BFloat16EE_EEvS5_RKT_EUlibE_EEviT1_,"axG",@progbits,_ZN2at6native32elementwise_kernel_manual_unrollILi128ELi8EZNS0_22gpu_kernel_impl_nocastIZZZNS0_12_GLOBAL__N_119launch_clamp_scalarERNS_18TensorIteratorBaseEN3c106ScalarES7_NS0_6detail11ClampLimitsEENKUlvE_clEvENKUlvE7_clEvEUlNS6_8BFloat16EE_EEvS5_RKT_EUlibE_EEviT1_,comdat
	.globl	_ZN2at6native32elementwise_kernel_manual_unrollILi128ELi8EZNS0_22gpu_kernel_impl_nocastIZZZNS0_12_GLOBAL__N_119launch_clamp_scalarERNS_18TensorIteratorBaseEN3c106ScalarES7_NS0_6detail11ClampLimitsEENKUlvE_clEvENKUlvE7_clEvEUlNS6_8BFloat16EE_EEvS5_RKT_EUlibE_EEviT1_ ; -- Begin function _ZN2at6native32elementwise_kernel_manual_unrollILi128ELi8EZNS0_22gpu_kernel_impl_nocastIZZZNS0_12_GLOBAL__N_119launch_clamp_scalarERNS_18TensorIteratorBaseEN3c106ScalarES7_NS0_6detail11ClampLimitsEENKUlvE_clEvENKUlvE7_clEvEUlNS6_8BFloat16EE_EEvS5_RKT_EUlibE_EEviT1_
	.p2align	8
	.type	_ZN2at6native32elementwise_kernel_manual_unrollILi128ELi8EZNS0_22gpu_kernel_impl_nocastIZZZNS0_12_GLOBAL__N_119launch_clamp_scalarERNS_18TensorIteratorBaseEN3c106ScalarES7_NS0_6detail11ClampLimitsEENKUlvE_clEvENKUlvE7_clEvEUlNS6_8BFloat16EE_EEvS5_RKT_EUlibE_EEviT1_,@function
_ZN2at6native32elementwise_kernel_manual_unrollILi128ELi8EZNS0_22gpu_kernel_impl_nocastIZZZNS0_12_GLOBAL__N_119launch_clamp_scalarERNS_18TensorIteratorBaseEN3c106ScalarES7_NS0_6detail11ClampLimitsEENKUlvE_clEvENKUlvE7_clEvEUlNS6_8BFloat16EE_EEvS5_RKT_EUlibE_EEviT1_: ; @_ZN2at6native32elementwise_kernel_manual_unrollILi128ELi8EZNS0_22gpu_kernel_impl_nocastIZZZNS0_12_GLOBAL__N_119launch_clamp_scalarERNS_18TensorIteratorBaseEN3c106ScalarES7_NS0_6detail11ClampLimitsEENKUlvE_clEvENKUlvE7_clEvEUlNS6_8BFloat16EE_EEvS5_RKT_EUlibE_EEviT1_
; %bb.0:
	s_clause 0x1
	s_load_b32 s15, s[0:1], 0x8
	s_load_b32 s37, s[0:1], 0x0
	s_bfe_u32 s2, ttmp6, 0x4000c
	s_and_b32 s3, ttmp6, 15
	s_add_co_i32 s2, s2, 1
	s_getreg_b32 s4, hwreg(HW_REG_IB_STS2, 6, 4)
	s_mul_i32 s2, ttmp9, s2
	s_add_nc_u64 s[16:17], s[0:1], 8
	s_add_co_i32 s3, s3, s2
	s_cmp_eq_u32 s4, 0
	s_mov_b32 s21, 0
	s_cselect_b32 s2, ttmp9, s3
	s_wait_xcnt 0x0
	s_mov_b32 s0, exec_lo
	v_lshl_or_b32 v0, s2, 10, v0
	s_delay_alu instid0(VALU_DEP_1) | instskip(SKIP_2) | instid1(SALU_CYCLE_1)
	v_or_b32_e32 v16, 0x380, v0
	s_wait_kmcnt 0x0
	s_add_co_i32 s33, s15, -1
	s_cmp_gt_u32 s33, 1
	s_cselect_b32 s34, -1, 0
	v_cmpx_le_i32_e64 s37, v16
	s_xor_b32 s35, exec_lo, s0
	s_cbranch_execz .LBB237_7
; %bb.1:
	s_clause 0x4
	s_load_b128 s[4:7], s[16:17], 0x4
	s_load_b64 s[18:19], s[16:17], 0x14
	s_load_b128 s[8:11], s[16:17], 0xc4
	s_load_b128 s[0:3], s[16:17], 0x148
	s_load_b96 s[12:14], s[16:17], 0x158
	s_cmp_lg_u32 s15, 0
	s_add_nc_u64 s[24:25], s[16:17], 0xc4
	s_cselect_b32 s39, -1, 0
	s_min_u32 s38, s33, 15
	s_cmp_gt_u32 s15, 1
	s_mov_b32 s23, s21
	s_cselect_b32 s36, -1, 0
	s_wait_kmcnt 0x0
	s_mov_b32 s20, s5
	s_mov_b32 s22, s18
	s_mov_b32 s5, exec_lo
	v_cmpx_gt_i32_e64 s37, v0
	s_cbranch_execz .LBB237_14
; %bb.2:
	s_and_not1_b32 vcc_lo, exec_lo, s34
	s_cbranch_vccnz .LBB237_21
; %bb.3:
	s_and_not1_b32 vcc_lo, exec_lo, s39
	s_cbranch_vccnz .LBB237_217
; %bb.4:
	s_add_co_i32 s18, s38, 1
	s_cmp_eq_u32 s33, 2
	s_cbranch_scc1 .LBB237_219
; %bb.5:
	v_dual_mov_b32 v2, 0 :: v_dual_mov_b32 v3, 0
	v_mov_b32_e32 v1, v0
	s_and_b32 s26, s18, 28
	s_mov_b32 s27, 0
	s_mov_b64 s[28:29], s[16:17]
	s_mov_b64 s[30:31], s[24:25]
.LBB237_6:                              ; =>This Inner Loop Header: Depth=1
	s_clause 0x1
	s_load_b256 s[40:47], s[28:29], 0x4
	s_load_b128 s[56:59], s[28:29], 0x24
	s_load_b256 s[48:55], s[30:31], 0x0
	s_add_co_i32 s27, s27, 4
	s_wait_xcnt 0x0
	s_add_nc_u64 s[28:29], s[28:29], 48
	s_cmp_lg_u32 s26, s27
	s_add_nc_u64 s[30:31], s[30:31], 32
	s_wait_kmcnt 0x0
	v_mul_hi_u32 v4, s41, v1
	s_delay_alu instid0(VALU_DEP_1) | instskip(NEXT) | instid1(VALU_DEP_1)
	v_add_nc_u32_e32 v4, v1, v4
	v_lshrrev_b32_e32 v4, s42, v4
	s_delay_alu instid0(VALU_DEP_1) | instskip(NEXT) | instid1(VALU_DEP_1)
	v_mul_hi_u32 v5, s44, v4
	v_add_nc_u32_e32 v5, v4, v5
	s_delay_alu instid0(VALU_DEP_1) | instskip(NEXT) | instid1(VALU_DEP_1)
	v_lshrrev_b32_e32 v5, s45, v5
	v_mul_hi_u32 v6, s47, v5
	s_delay_alu instid0(VALU_DEP_1) | instskip(SKIP_1) | instid1(VALU_DEP_1)
	v_add_nc_u32_e32 v6, v5, v6
	v_mul_lo_u32 v7, v4, s40
	v_sub_nc_u32_e32 v1, v1, v7
	v_mul_lo_u32 v7, v5, s43
	s_delay_alu instid0(VALU_DEP_4) | instskip(NEXT) | instid1(VALU_DEP_3)
	v_lshrrev_b32_e32 v6, s56, v6
	v_mad_u32 v3, v1, s49, v3
	v_mad_u32 v1, v1, s48, v2
	s_delay_alu instid0(VALU_DEP_4) | instskip(NEXT) | instid1(VALU_DEP_4)
	v_sub_nc_u32_e32 v2, v4, v7
	v_mul_hi_u32 v8, s58, v6
	v_mul_lo_u32 v4, v6, s46
	s_delay_alu instid0(VALU_DEP_3) | instskip(SKIP_1) | instid1(VALU_DEP_4)
	v_mad_u32 v3, v2, s51, v3
	v_mad_u32 v2, v2, s50, v1
	v_add_nc_u32_e32 v7, v6, v8
	s_delay_alu instid0(VALU_DEP_1) | instskip(NEXT) | instid1(VALU_DEP_1)
	v_dual_sub_nc_u32 v4, v5, v4 :: v_dual_lshrrev_b32 v1, s59, v7
	v_mad_u32 v3, v4, s53, v3
	s_delay_alu instid0(VALU_DEP_4) | instskip(NEXT) | instid1(VALU_DEP_3)
	v_mad_u32 v2, v4, s52, v2
	v_mul_lo_u32 v5, v1, s57
	s_delay_alu instid0(VALU_DEP_1) | instskip(NEXT) | instid1(VALU_DEP_1)
	v_sub_nc_u32_e32 v4, v6, v5
	v_mad_u32 v3, v4, s55, v3
	s_delay_alu instid0(VALU_DEP_4)
	v_mad_u32 v2, v4, s54, v2
	s_cbranch_scc1 .LBB237_6
	s_branch .LBB237_220
.LBB237_7:
	s_and_not1_saveexec_b32 s0, s35
	s_cbranch_execz .LBB237_393
.LBB237_8:
	v_cndmask_b32_e64 v14, 0, 1, s34
	s_and_not1_b32 vcc_lo, exec_lo, s34
	s_cbranch_vccnz .LBB237_20
; %bb.9:
	s_cmp_lg_u32 s15, 0
	s_mov_b32 s6, 0
	s_cbranch_scc0 .LBB237_23
; %bb.10:
	s_min_u32 s1, s33, 15
	s_delay_alu instid0(SALU_CYCLE_1)
	s_add_co_i32 s1, s1, 1
	s_cmp_eq_u32 s33, 2
	s_cbranch_scc1 .LBB237_24
; %bb.11:
	v_dual_mov_b32 v2, 0 :: v_dual_mov_b32 v3, 0
	v_mov_b32_e32 v1, v0
	s_and_b32 s0, s1, 28
	s_add_nc_u64 s[2:3], s[16:17], 0xc4
	s_mov_b32 s7, 0
	s_mov_b64 s[4:5], s[16:17]
.LBB237_12:                             ; =>This Inner Loop Header: Depth=1
	s_clause 0x1
	s_load_b256 s[20:27], s[4:5], 0x4
	s_load_b128 s[8:11], s[4:5], 0x24
	s_load_b256 s[36:43], s[2:3], 0x0
	s_add_co_i32 s7, s7, 4
	s_wait_xcnt 0x0
	s_add_nc_u64 s[4:5], s[4:5], 48
	s_cmp_lg_u32 s0, s7
	s_add_nc_u64 s[2:3], s[2:3], 32
	s_wait_kmcnt 0x0
	v_mul_hi_u32 v4, s21, v1
	s_delay_alu instid0(VALU_DEP_1) | instskip(NEXT) | instid1(VALU_DEP_1)
	v_add_nc_u32_e32 v4, v1, v4
	v_lshrrev_b32_e32 v4, s22, v4
	s_delay_alu instid0(VALU_DEP_1) | instskip(NEXT) | instid1(VALU_DEP_1)
	v_mul_hi_u32 v5, s24, v4
	v_add_nc_u32_e32 v5, v4, v5
	s_delay_alu instid0(VALU_DEP_1) | instskip(NEXT) | instid1(VALU_DEP_1)
	v_lshrrev_b32_e32 v5, s25, v5
	v_mul_hi_u32 v6, s27, v5
	s_delay_alu instid0(VALU_DEP_1) | instskip(SKIP_1) | instid1(VALU_DEP_1)
	v_add_nc_u32_e32 v6, v5, v6
	v_mul_lo_u32 v7, v4, s20
	v_sub_nc_u32_e32 v1, v1, v7
	v_mul_lo_u32 v7, v5, s23
	s_delay_alu instid0(VALU_DEP_4) | instskip(NEXT) | instid1(VALU_DEP_3)
	v_lshrrev_b32_e32 v6, s8, v6
	v_mad_u32 v3, v1, s37, v3
	v_mad_u32 v1, v1, s36, v2
	s_delay_alu instid0(VALU_DEP_4) | instskip(NEXT) | instid1(VALU_DEP_4)
	v_sub_nc_u32_e32 v2, v4, v7
	v_mul_hi_u32 v8, s10, v6
	v_mul_lo_u32 v4, v6, s26
	s_delay_alu instid0(VALU_DEP_3) | instskip(SKIP_1) | instid1(VALU_DEP_4)
	v_mad_u32 v3, v2, s39, v3
	v_mad_u32 v2, v2, s38, v1
	v_add_nc_u32_e32 v7, v6, v8
	s_delay_alu instid0(VALU_DEP_1) | instskip(NEXT) | instid1(VALU_DEP_1)
	v_dual_sub_nc_u32 v4, v5, v4 :: v_dual_lshrrev_b32 v1, s11, v7
	v_mad_u32 v3, v4, s41, v3
	s_delay_alu instid0(VALU_DEP_4) | instskip(NEXT) | instid1(VALU_DEP_3)
	v_mad_u32 v2, v4, s40, v2
	v_mul_lo_u32 v5, v1, s9
	s_delay_alu instid0(VALU_DEP_1) | instskip(NEXT) | instid1(VALU_DEP_1)
	v_sub_nc_u32_e32 v4, v6, v5
	v_mad_u32 v3, v4, s43, v3
	s_delay_alu instid0(VALU_DEP_4)
	v_mad_u32 v2, v4, s42, v2
	s_cbranch_scc1 .LBB237_12
; %bb.13:
	s_and_b32 s4, s1, 3
	s_mov_b32 s1, 0
	s_cmp_eq_u32 s4, 0
	s_cbranch_scc0 .LBB237_25
	s_branch .LBB237_27
.LBB237_14:
	s_or_b32 exec_lo, exec_lo, s5
	s_delay_alu instid0(SALU_CYCLE_1)
	s_mov_b32 s5, exec_lo
	v_cmpx_gt_i32_e64 s37, v0
	s_cbranch_execz .LBB237_251
.LBB237_15:
	s_and_not1_b32 vcc_lo, exec_lo, s34
	s_cbranch_vccnz .LBB237_22
; %bb.16:
	s_and_not1_b32 vcc_lo, exec_lo, s39
	s_cbranch_vccnz .LBB237_218
; %bb.17:
	s_add_co_i32 s18, s38, 1
	s_cmp_eq_u32 s33, 2
	s_cbranch_scc1 .LBB237_231
; %bb.18:
	v_dual_mov_b32 v2, 0 :: v_dual_mov_b32 v3, 0
	v_mov_b32_e32 v1, v0
	s_and_b32 s26, s18, 28
	s_mov_b32 s27, 0
	s_mov_b64 s[28:29], s[16:17]
	s_mov_b64 s[30:31], s[24:25]
.LBB237_19:                             ; =>This Inner Loop Header: Depth=1
	s_clause 0x1
	s_load_b256 s[40:47], s[28:29], 0x4
	s_load_b128 s[56:59], s[28:29], 0x24
	s_load_b256 s[48:55], s[30:31], 0x0
	s_add_co_i32 s27, s27, 4
	s_wait_xcnt 0x0
	s_add_nc_u64 s[28:29], s[28:29], 48
	s_cmp_eq_u32 s26, s27
	s_add_nc_u64 s[30:31], s[30:31], 32
	s_wait_kmcnt 0x0
	v_mul_hi_u32 v4, s41, v1
	s_delay_alu instid0(VALU_DEP_1) | instskip(NEXT) | instid1(VALU_DEP_1)
	v_add_nc_u32_e32 v4, v1, v4
	v_lshrrev_b32_e32 v4, s42, v4
	s_delay_alu instid0(VALU_DEP_1) | instskip(NEXT) | instid1(VALU_DEP_1)
	v_mul_hi_u32 v5, s44, v4
	v_add_nc_u32_e32 v5, v4, v5
	s_delay_alu instid0(VALU_DEP_1) | instskip(NEXT) | instid1(VALU_DEP_1)
	v_lshrrev_b32_e32 v5, s45, v5
	v_mul_hi_u32 v6, s47, v5
	s_delay_alu instid0(VALU_DEP_1) | instskip(SKIP_1) | instid1(VALU_DEP_1)
	v_add_nc_u32_e32 v6, v5, v6
	v_mul_lo_u32 v7, v4, s40
	v_sub_nc_u32_e32 v1, v1, v7
	v_mul_lo_u32 v7, v5, s43
	s_delay_alu instid0(VALU_DEP_4) | instskip(NEXT) | instid1(VALU_DEP_3)
	v_lshrrev_b32_e32 v6, s56, v6
	v_mad_u32 v3, v1, s49, v3
	v_mad_u32 v1, v1, s48, v2
	s_delay_alu instid0(VALU_DEP_4) | instskip(NEXT) | instid1(VALU_DEP_4)
	v_sub_nc_u32_e32 v2, v4, v7
	v_mul_hi_u32 v8, s58, v6
	v_mul_lo_u32 v4, v6, s46
	s_delay_alu instid0(VALU_DEP_3) | instskip(SKIP_1) | instid1(VALU_DEP_4)
	v_mad_u32 v3, v2, s51, v3
	v_mad_u32 v2, v2, s50, v1
	v_add_nc_u32_e32 v7, v6, v8
	s_delay_alu instid0(VALU_DEP_1) | instskip(NEXT) | instid1(VALU_DEP_1)
	v_dual_sub_nc_u32 v4, v5, v4 :: v_dual_lshrrev_b32 v1, s59, v7
	v_mad_u32 v3, v4, s53, v3
	s_delay_alu instid0(VALU_DEP_4) | instskip(NEXT) | instid1(VALU_DEP_3)
	v_mad_u32 v2, v4, s52, v2
	v_mul_lo_u32 v5, v1, s57
	s_delay_alu instid0(VALU_DEP_1) | instskip(NEXT) | instid1(VALU_DEP_1)
	v_sub_nc_u32_e32 v4, v6, v5
	v_mad_u32 v3, v4, s55, v3
	s_delay_alu instid0(VALU_DEP_4)
	v_mad_u32 v2, v4, s54, v2
	s_cbranch_scc0 .LBB237_19
	s_branch .LBB237_232
.LBB237_20:
	s_mov_b32 s6, -1
                                        ; implicit-def: $vgpr3
	s_branch .LBB237_27
.LBB237_21:
                                        ; implicit-def: $vgpr3
	s_branch .LBB237_224
.LBB237_22:
                                        ; implicit-def: $vgpr3
	s_branch .LBB237_236
.LBB237_23:
	v_dual_mov_b32 v3, 0 :: v_dual_mov_b32 v2, 0
	s_branch .LBB237_27
.LBB237_24:
	v_mov_b64_e32 v[2:3], 0
	v_mov_b32_e32 v1, v0
	s_mov_b32 s0, 0
	s_and_b32 s4, s1, 3
	s_mov_b32 s1, 0
	s_cmp_eq_u32 s4, 0
	s_cbranch_scc1 .LBB237_27
.LBB237_25:
	s_lshl_b32 s2, s0, 3
	s_mov_b32 s3, s1
	s_mul_u64 s[8:9], s[0:1], 12
	s_add_nc_u64 s[2:3], s[16:17], s[2:3]
	s_delay_alu instid0(SALU_CYCLE_1)
	s_add_nc_u64 s[0:1], s[2:3], 0xc4
	s_add_nc_u64 s[2:3], s[16:17], s[8:9]
.LBB237_26:                             ; =>This Inner Loop Header: Depth=1
	s_load_b96 s[8:10], s[2:3], 0x4
	s_add_co_i32 s4, s4, -1
	s_wait_xcnt 0x0
	s_add_nc_u64 s[2:3], s[2:3], 12
	s_cmp_lg_u32 s4, 0
	s_wait_kmcnt 0x0
	v_mul_hi_u32 v4, s9, v1
	s_delay_alu instid0(VALU_DEP_1) | instskip(NEXT) | instid1(VALU_DEP_1)
	v_add_nc_u32_e32 v4, v1, v4
	v_lshrrev_b32_e32 v4, s10, v4
	s_load_b64 s[10:11], s[0:1], 0x0
	s_wait_xcnt 0x0
	s_add_nc_u64 s[0:1], s[0:1], 8
	s_delay_alu instid0(VALU_DEP_1) | instskip(NEXT) | instid1(VALU_DEP_1)
	v_mul_lo_u32 v5, v4, s8
	v_sub_nc_u32_e32 v1, v1, v5
	s_wait_kmcnt 0x0
	s_delay_alu instid0(VALU_DEP_1)
	v_mad_u32 v3, v1, s11, v3
	v_mad_u32 v2, v1, s10, v2
	v_mov_b32_e32 v1, v4
	s_cbranch_scc1 .LBB237_26
.LBB237_27:
	s_and_not1_b32 vcc_lo, exec_lo, s6
	s_cbranch_vccnz .LBB237_30
; %bb.28:
	s_clause 0x1
	s_load_b96 s[0:2], s[16:17], 0x4
	s_load_b64 s[4:5], s[16:17], 0xc4
	s_cmp_lt_u32 s15, 2
	s_wait_kmcnt 0x0
	v_mul_hi_u32 v1, s1, v0
	s_delay_alu instid0(VALU_DEP_1) | instskip(NEXT) | instid1(VALU_DEP_1)
	v_add_nc_u32_e32 v1, v0, v1
	v_lshrrev_b32_e32 v1, s2, v1
	s_delay_alu instid0(VALU_DEP_1) | instskip(NEXT) | instid1(VALU_DEP_1)
	v_mul_lo_u32 v2, v1, s0
	v_sub_nc_u32_e32 v2, v0, v2
	s_delay_alu instid0(VALU_DEP_1)
	v_mul_lo_u32 v3, v2, s5
	v_mul_lo_u32 v2, v2, s4
	s_cbranch_scc1 .LBB237_30
; %bb.29:
	s_clause 0x1
	s_load_b96 s[0:2], s[16:17], 0x10
	s_load_b64 s[4:5], s[16:17], 0xcc
	s_wait_kmcnt 0x0
	v_mul_hi_u32 v4, s1, v1
	s_delay_alu instid0(VALU_DEP_1) | instskip(NEXT) | instid1(VALU_DEP_1)
	v_add_nc_u32_e32 v4, v1, v4
	v_lshrrev_b32_e32 v4, s2, v4
	s_delay_alu instid0(VALU_DEP_1) | instskip(NEXT) | instid1(VALU_DEP_1)
	v_mul_lo_u32 v4, v4, s0
	v_sub_nc_u32_e32 v1, v1, v4
	s_delay_alu instid0(VALU_DEP_1)
	v_mad_u32 v2, v1, s4, v2
	v_mad_u32 v3, v1, s5, v3
.LBB237_30:
	v_cmp_ne_u32_e32 vcc_lo, 1, v14
	v_add_nc_u32_e32 v1, 0x80, v0
	s_cbranch_vccnz .LBB237_36
; %bb.31:
	s_cmp_lg_u32 s15, 0
	s_mov_b32 s6, 0
	s_cbranch_scc0 .LBB237_37
; %bb.32:
	s_min_u32 s1, s33, 15
	s_delay_alu instid0(SALU_CYCLE_1)
	s_add_co_i32 s1, s1, 1
	s_cmp_eq_u32 s33, 2
	s_cbranch_scc1 .LBB237_38
; %bb.33:
	v_dual_mov_b32 v4, 0 :: v_dual_mov_b32 v5, 0
	v_mov_b32_e32 v6, v1
	s_and_b32 s0, s1, 28
	s_add_nc_u64 s[2:3], s[16:17], 0xc4
	s_mov_b32 s7, 0
	s_mov_b64 s[4:5], s[16:17]
.LBB237_34:                             ; =>This Inner Loop Header: Depth=1
	s_clause 0x1
	s_load_b256 s[20:27], s[4:5], 0x4
	s_load_b128 s[8:11], s[4:5], 0x24
	s_load_b256 s[36:43], s[2:3], 0x0
	s_add_co_i32 s7, s7, 4
	s_wait_xcnt 0x0
	s_add_nc_u64 s[4:5], s[4:5], 48
	s_cmp_lg_u32 s0, s7
	s_add_nc_u64 s[2:3], s[2:3], 32
	s_wait_kmcnt 0x0
	v_mul_hi_u32 v7, s21, v6
	s_delay_alu instid0(VALU_DEP_1) | instskip(NEXT) | instid1(VALU_DEP_1)
	v_add_nc_u32_e32 v7, v6, v7
	v_lshrrev_b32_e32 v7, s22, v7
	s_delay_alu instid0(VALU_DEP_1) | instskip(NEXT) | instid1(VALU_DEP_1)
	v_mul_hi_u32 v8, s24, v7
	v_add_nc_u32_e32 v8, v7, v8
	s_delay_alu instid0(VALU_DEP_1) | instskip(NEXT) | instid1(VALU_DEP_1)
	v_lshrrev_b32_e32 v8, s25, v8
	v_mul_hi_u32 v9, s27, v8
	s_delay_alu instid0(VALU_DEP_1) | instskip(SKIP_1) | instid1(VALU_DEP_1)
	v_add_nc_u32_e32 v9, v8, v9
	v_mul_lo_u32 v10, v7, s20
	v_sub_nc_u32_e32 v6, v6, v10
	v_mul_lo_u32 v10, v8, s23
	s_delay_alu instid0(VALU_DEP_4) | instskip(NEXT) | instid1(VALU_DEP_3)
	v_lshrrev_b32_e32 v9, s8, v9
	v_mad_u32 v5, v6, s37, v5
	v_mad_u32 v4, v6, s36, v4
	s_delay_alu instid0(VALU_DEP_4) | instskip(NEXT) | instid1(VALU_DEP_4)
	v_sub_nc_u32_e32 v6, v7, v10
	v_mul_hi_u32 v11, s10, v9
	v_mul_lo_u32 v7, v9, s26
	s_delay_alu instid0(VALU_DEP_3) | instskip(SKIP_1) | instid1(VALU_DEP_4)
	v_mad_u32 v5, v6, s39, v5
	v_mad_u32 v4, v6, s38, v4
	v_add_nc_u32_e32 v10, v9, v11
	s_delay_alu instid0(VALU_DEP_1) | instskip(NEXT) | instid1(VALU_DEP_1)
	v_dual_sub_nc_u32 v7, v8, v7 :: v_dual_lshrrev_b32 v6, s11, v10
	v_mad_u32 v5, v7, s41, v5
	s_delay_alu instid0(VALU_DEP_4) | instskip(NEXT) | instid1(VALU_DEP_3)
	v_mad_u32 v4, v7, s40, v4
	v_mul_lo_u32 v8, v6, s9
	s_delay_alu instid0(VALU_DEP_1) | instskip(NEXT) | instid1(VALU_DEP_1)
	v_sub_nc_u32_e32 v7, v9, v8
	v_mad_u32 v5, v7, s43, v5
	s_delay_alu instid0(VALU_DEP_4)
	v_mad_u32 v4, v7, s42, v4
	s_cbranch_scc1 .LBB237_34
; %bb.35:
	s_and_b32 s4, s1, 3
	s_mov_b32 s1, 0
	s_cmp_eq_u32 s4, 0
	s_cbranch_scc0 .LBB237_39
	s_branch .LBB237_41
.LBB237_36:
	s_mov_b32 s6, -1
                                        ; implicit-def: $vgpr5
	s_branch .LBB237_41
.LBB237_37:
	v_dual_mov_b32 v5, 0 :: v_dual_mov_b32 v4, 0
	s_branch .LBB237_41
.LBB237_38:
	v_mov_b64_e32 v[4:5], 0
	v_mov_b32_e32 v6, v1
	s_mov_b32 s0, 0
	s_and_b32 s4, s1, 3
	s_mov_b32 s1, 0
	s_cmp_eq_u32 s4, 0
	s_cbranch_scc1 .LBB237_41
.LBB237_39:
	s_lshl_b32 s2, s0, 3
	s_mov_b32 s3, s1
	s_mul_u64 s[8:9], s[0:1], 12
	s_add_nc_u64 s[2:3], s[16:17], s[2:3]
	s_delay_alu instid0(SALU_CYCLE_1)
	s_add_nc_u64 s[0:1], s[2:3], 0xc4
	s_add_nc_u64 s[2:3], s[16:17], s[8:9]
.LBB237_40:                             ; =>This Inner Loop Header: Depth=1
	s_load_b96 s[8:10], s[2:3], 0x4
	s_add_co_i32 s4, s4, -1
	s_wait_xcnt 0x0
	s_add_nc_u64 s[2:3], s[2:3], 12
	s_cmp_lg_u32 s4, 0
	s_wait_kmcnt 0x0
	v_mul_hi_u32 v7, s9, v6
	s_delay_alu instid0(VALU_DEP_1) | instskip(NEXT) | instid1(VALU_DEP_1)
	v_add_nc_u32_e32 v7, v6, v7
	v_lshrrev_b32_e32 v7, s10, v7
	s_load_b64 s[10:11], s[0:1], 0x0
	s_wait_xcnt 0x0
	s_add_nc_u64 s[0:1], s[0:1], 8
	s_delay_alu instid0(VALU_DEP_1) | instskip(NEXT) | instid1(VALU_DEP_1)
	v_mul_lo_u32 v8, v7, s8
	v_sub_nc_u32_e32 v6, v6, v8
	s_wait_kmcnt 0x0
	s_delay_alu instid0(VALU_DEP_1)
	v_mad_u32 v5, v6, s11, v5
	v_mad_u32 v4, v6, s10, v4
	v_mov_b32_e32 v6, v7
	s_cbranch_scc1 .LBB237_40
.LBB237_41:
	s_and_not1_b32 vcc_lo, exec_lo, s6
	s_cbranch_vccnz .LBB237_44
; %bb.42:
	s_clause 0x1
	s_load_b96 s[0:2], s[16:17], 0x4
	s_load_b64 s[4:5], s[16:17], 0xc4
	s_cmp_lt_u32 s15, 2
	s_wait_kmcnt 0x0
	v_mul_hi_u32 v4, s1, v1
	s_delay_alu instid0(VALU_DEP_1) | instskip(NEXT) | instid1(VALU_DEP_1)
	v_add_nc_u32_e32 v4, v1, v4
	v_lshrrev_b32_e32 v6, s2, v4
	s_delay_alu instid0(VALU_DEP_1) | instskip(NEXT) | instid1(VALU_DEP_1)
	v_mul_lo_u32 v4, v6, s0
	v_sub_nc_u32_e32 v1, v1, v4
	s_delay_alu instid0(VALU_DEP_1)
	v_mul_lo_u32 v5, v1, s5
	v_mul_lo_u32 v4, v1, s4
	s_cbranch_scc1 .LBB237_44
; %bb.43:
	s_clause 0x1
	s_load_b96 s[0:2], s[16:17], 0x10
	s_load_b64 s[4:5], s[16:17], 0xcc
	s_wait_kmcnt 0x0
	v_mul_hi_u32 v1, s1, v6
	s_delay_alu instid0(VALU_DEP_1) | instskip(NEXT) | instid1(VALU_DEP_1)
	v_add_nc_u32_e32 v1, v6, v1
	v_lshrrev_b32_e32 v1, s2, v1
	s_delay_alu instid0(VALU_DEP_1) | instskip(NEXT) | instid1(VALU_DEP_1)
	v_mul_lo_u32 v1, v1, s0
	v_sub_nc_u32_e32 v1, v6, v1
	s_delay_alu instid0(VALU_DEP_1)
	v_mad_u32 v4, v1, s4, v4
	v_mad_u32 v5, v1, s5, v5
.LBB237_44:
	v_cmp_ne_u32_e32 vcc_lo, 1, v14
	v_add_nc_u32_e32 v1, 0x100, v0
	s_cbranch_vccnz .LBB237_50
; %bb.45:
	s_cmp_lg_u32 s15, 0
	s_mov_b32 s6, 0
	s_cbranch_scc0 .LBB237_51
; %bb.46:
	s_min_u32 s1, s33, 15
	s_delay_alu instid0(SALU_CYCLE_1)
	s_add_co_i32 s1, s1, 1
	s_cmp_eq_u32 s33, 2
	s_cbranch_scc1 .LBB237_52
; %bb.47:
	v_dual_mov_b32 v6, 0 :: v_dual_mov_b32 v7, 0
	v_mov_b32_e32 v8, v1
	s_and_b32 s0, s1, 28
	s_add_nc_u64 s[2:3], s[16:17], 0xc4
	s_mov_b32 s7, 0
	s_mov_b64 s[4:5], s[16:17]
.LBB237_48:                             ; =>This Inner Loop Header: Depth=1
	s_clause 0x1
	s_load_b256 s[20:27], s[4:5], 0x4
	s_load_b128 s[8:11], s[4:5], 0x24
	s_load_b256 s[36:43], s[2:3], 0x0
	s_add_co_i32 s7, s7, 4
	s_wait_xcnt 0x0
	s_add_nc_u64 s[4:5], s[4:5], 48
	s_cmp_lg_u32 s0, s7
	s_add_nc_u64 s[2:3], s[2:3], 32
	s_wait_kmcnt 0x0
	v_mul_hi_u32 v9, s21, v8
	s_delay_alu instid0(VALU_DEP_1) | instskip(NEXT) | instid1(VALU_DEP_1)
	v_add_nc_u32_e32 v9, v8, v9
	v_lshrrev_b32_e32 v9, s22, v9
	s_delay_alu instid0(VALU_DEP_1) | instskip(NEXT) | instid1(VALU_DEP_1)
	v_mul_hi_u32 v10, s24, v9
	v_add_nc_u32_e32 v10, v9, v10
	s_delay_alu instid0(VALU_DEP_1) | instskip(NEXT) | instid1(VALU_DEP_1)
	v_lshrrev_b32_e32 v10, s25, v10
	v_mul_hi_u32 v11, s27, v10
	s_delay_alu instid0(VALU_DEP_1) | instskip(SKIP_1) | instid1(VALU_DEP_1)
	v_add_nc_u32_e32 v11, v10, v11
	v_mul_lo_u32 v12, v9, s20
	v_sub_nc_u32_e32 v8, v8, v12
	v_mul_lo_u32 v12, v10, s23
	s_delay_alu instid0(VALU_DEP_4) | instskip(NEXT) | instid1(VALU_DEP_3)
	v_lshrrev_b32_e32 v11, s8, v11
	v_mad_u32 v7, v8, s37, v7
	v_mad_u32 v6, v8, s36, v6
	s_delay_alu instid0(VALU_DEP_4) | instskip(NEXT) | instid1(VALU_DEP_4)
	v_sub_nc_u32_e32 v8, v9, v12
	v_mul_hi_u32 v13, s10, v11
	v_mul_lo_u32 v9, v11, s26
	s_delay_alu instid0(VALU_DEP_3) | instskip(SKIP_1) | instid1(VALU_DEP_4)
	v_mad_u32 v7, v8, s39, v7
	v_mad_u32 v6, v8, s38, v6
	v_add_nc_u32_e32 v12, v11, v13
	s_delay_alu instid0(VALU_DEP_1) | instskip(NEXT) | instid1(VALU_DEP_1)
	v_dual_sub_nc_u32 v9, v10, v9 :: v_dual_lshrrev_b32 v8, s11, v12
	v_mad_u32 v7, v9, s41, v7
	s_delay_alu instid0(VALU_DEP_4) | instskip(NEXT) | instid1(VALU_DEP_3)
	v_mad_u32 v6, v9, s40, v6
	v_mul_lo_u32 v10, v8, s9
	s_delay_alu instid0(VALU_DEP_1) | instskip(NEXT) | instid1(VALU_DEP_1)
	v_sub_nc_u32_e32 v9, v11, v10
	v_mad_u32 v7, v9, s43, v7
	s_delay_alu instid0(VALU_DEP_4)
	v_mad_u32 v6, v9, s42, v6
	s_cbranch_scc1 .LBB237_48
; %bb.49:
	s_and_b32 s4, s1, 3
	s_mov_b32 s1, 0
	s_cmp_eq_u32 s4, 0
	s_cbranch_scc0 .LBB237_53
	s_branch .LBB237_55
.LBB237_50:
	s_mov_b32 s6, -1
                                        ; implicit-def: $vgpr7
	s_branch .LBB237_55
.LBB237_51:
	v_dual_mov_b32 v7, 0 :: v_dual_mov_b32 v6, 0
	s_branch .LBB237_55
.LBB237_52:
	v_mov_b64_e32 v[6:7], 0
	v_mov_b32_e32 v8, v1
	s_mov_b32 s0, 0
	s_and_b32 s4, s1, 3
	s_mov_b32 s1, 0
	s_cmp_eq_u32 s4, 0
	s_cbranch_scc1 .LBB237_55
.LBB237_53:
	s_lshl_b32 s2, s0, 3
	s_mov_b32 s3, s1
	s_mul_u64 s[8:9], s[0:1], 12
	s_add_nc_u64 s[2:3], s[16:17], s[2:3]
	s_delay_alu instid0(SALU_CYCLE_1)
	s_add_nc_u64 s[0:1], s[2:3], 0xc4
	s_add_nc_u64 s[2:3], s[16:17], s[8:9]
.LBB237_54:                             ; =>This Inner Loop Header: Depth=1
	s_load_b96 s[8:10], s[2:3], 0x4
	s_add_co_i32 s4, s4, -1
	s_wait_xcnt 0x0
	s_add_nc_u64 s[2:3], s[2:3], 12
	s_cmp_lg_u32 s4, 0
	s_wait_kmcnt 0x0
	v_mul_hi_u32 v9, s9, v8
	s_delay_alu instid0(VALU_DEP_1) | instskip(NEXT) | instid1(VALU_DEP_1)
	v_add_nc_u32_e32 v9, v8, v9
	v_lshrrev_b32_e32 v9, s10, v9
	s_load_b64 s[10:11], s[0:1], 0x0
	s_wait_xcnt 0x0
	s_add_nc_u64 s[0:1], s[0:1], 8
	s_delay_alu instid0(VALU_DEP_1) | instskip(NEXT) | instid1(VALU_DEP_1)
	v_mul_lo_u32 v10, v9, s8
	v_sub_nc_u32_e32 v8, v8, v10
	s_wait_kmcnt 0x0
	s_delay_alu instid0(VALU_DEP_1)
	v_mad_u32 v7, v8, s11, v7
	v_mad_u32 v6, v8, s10, v6
	v_mov_b32_e32 v8, v9
	s_cbranch_scc1 .LBB237_54
.LBB237_55:
	s_and_not1_b32 vcc_lo, exec_lo, s6
	s_cbranch_vccnz .LBB237_58
; %bb.56:
	s_clause 0x1
	s_load_b96 s[0:2], s[16:17], 0x4
	s_load_b64 s[4:5], s[16:17], 0xc4
	s_cmp_lt_u32 s15, 2
	s_wait_kmcnt 0x0
	v_mul_hi_u32 v6, s1, v1
	s_delay_alu instid0(VALU_DEP_1) | instskip(NEXT) | instid1(VALU_DEP_1)
	v_add_nc_u32_e32 v6, v1, v6
	v_lshrrev_b32_e32 v8, s2, v6
	s_delay_alu instid0(VALU_DEP_1) | instskip(NEXT) | instid1(VALU_DEP_1)
	v_mul_lo_u32 v6, v8, s0
	v_sub_nc_u32_e32 v1, v1, v6
	s_delay_alu instid0(VALU_DEP_1)
	v_mul_lo_u32 v7, v1, s5
	v_mul_lo_u32 v6, v1, s4
	s_cbranch_scc1 .LBB237_58
; %bb.57:
	s_clause 0x1
	s_load_b96 s[0:2], s[16:17], 0x10
	s_load_b64 s[4:5], s[16:17], 0xcc
	s_wait_kmcnt 0x0
	v_mul_hi_u32 v1, s1, v8
	s_delay_alu instid0(VALU_DEP_1) | instskip(NEXT) | instid1(VALU_DEP_1)
	v_add_nc_u32_e32 v1, v8, v1
	v_lshrrev_b32_e32 v1, s2, v1
	s_delay_alu instid0(VALU_DEP_1) | instskip(NEXT) | instid1(VALU_DEP_1)
	v_mul_lo_u32 v1, v1, s0
	v_sub_nc_u32_e32 v1, v8, v1
	s_delay_alu instid0(VALU_DEP_1)
	v_mad_u32 v6, v1, s4, v6
	v_mad_u32 v7, v1, s5, v7
.LBB237_58:
	v_cmp_ne_u32_e32 vcc_lo, 1, v14
	v_add_nc_u32_e32 v1, 0x180, v0
	s_cbranch_vccnz .LBB237_64
; %bb.59:
	s_cmp_lg_u32 s15, 0
	s_mov_b32 s6, 0
	s_cbranch_scc0 .LBB237_65
; %bb.60:
	s_min_u32 s1, s33, 15
	s_delay_alu instid0(SALU_CYCLE_1)
	s_add_co_i32 s1, s1, 1
	s_cmp_eq_u32 s33, 2
	s_cbranch_scc1 .LBB237_66
; %bb.61:
	v_dual_mov_b32 v8, 0 :: v_dual_mov_b32 v9, 0
	v_mov_b32_e32 v10, v1
	s_and_b32 s0, s1, 28
	s_add_nc_u64 s[2:3], s[16:17], 0xc4
	s_mov_b32 s7, 0
	s_mov_b64 s[4:5], s[16:17]
.LBB237_62:                             ; =>This Inner Loop Header: Depth=1
	s_clause 0x1
	s_load_b256 s[20:27], s[4:5], 0x4
	s_load_b128 s[8:11], s[4:5], 0x24
	s_load_b256 s[36:43], s[2:3], 0x0
	s_add_co_i32 s7, s7, 4
	s_wait_xcnt 0x0
	s_add_nc_u64 s[4:5], s[4:5], 48
	s_cmp_lg_u32 s0, s7
	s_add_nc_u64 s[2:3], s[2:3], 32
	s_wait_kmcnt 0x0
	v_mul_hi_u32 v11, s21, v10
	s_delay_alu instid0(VALU_DEP_1) | instskip(NEXT) | instid1(VALU_DEP_1)
	v_add_nc_u32_e32 v11, v10, v11
	v_lshrrev_b32_e32 v11, s22, v11
	s_delay_alu instid0(VALU_DEP_1) | instskip(NEXT) | instid1(VALU_DEP_1)
	v_mul_hi_u32 v12, s24, v11
	v_add_nc_u32_e32 v12, v11, v12
	s_delay_alu instid0(VALU_DEP_1) | instskip(NEXT) | instid1(VALU_DEP_1)
	v_lshrrev_b32_e32 v12, s25, v12
	v_mul_hi_u32 v13, s27, v12
	s_delay_alu instid0(VALU_DEP_1) | instskip(SKIP_1) | instid1(VALU_DEP_1)
	v_add_nc_u32_e32 v13, v12, v13
	v_mul_lo_u32 v15, v11, s20
	v_sub_nc_u32_e32 v10, v10, v15
	v_mul_lo_u32 v15, v12, s23
	s_delay_alu instid0(VALU_DEP_4) | instskip(NEXT) | instid1(VALU_DEP_3)
	v_lshrrev_b32_e32 v13, s8, v13
	v_mad_u32 v9, v10, s37, v9
	v_mad_u32 v8, v10, s36, v8
	s_delay_alu instid0(VALU_DEP_4) | instskip(NEXT) | instid1(VALU_DEP_4)
	v_sub_nc_u32_e32 v10, v11, v15
	v_mul_hi_u32 v17, s10, v13
	v_mul_lo_u32 v11, v13, s26
	s_delay_alu instid0(VALU_DEP_3) | instskip(SKIP_1) | instid1(VALU_DEP_3)
	v_mad_u32 v9, v10, s39, v9
	v_mad_u32 v8, v10, s38, v8
	v_dual_add_nc_u32 v15, v13, v17 :: v_dual_sub_nc_u32 v11, v12, v11
	s_delay_alu instid0(VALU_DEP_1) | instskip(NEXT) | instid1(VALU_DEP_2)
	v_lshrrev_b32_e32 v10, s11, v15
	v_mad_u32 v9, v11, s41, v9
	s_delay_alu instid0(VALU_DEP_4) | instskip(NEXT) | instid1(VALU_DEP_3)
	v_mad_u32 v8, v11, s40, v8
	v_mul_lo_u32 v12, v10, s9
	s_delay_alu instid0(VALU_DEP_1) | instskip(NEXT) | instid1(VALU_DEP_1)
	v_sub_nc_u32_e32 v11, v13, v12
	v_mad_u32 v9, v11, s43, v9
	s_delay_alu instid0(VALU_DEP_4)
	v_mad_u32 v8, v11, s42, v8
	s_cbranch_scc1 .LBB237_62
; %bb.63:
	s_and_b32 s4, s1, 3
	s_mov_b32 s1, 0
	s_cmp_eq_u32 s4, 0
	s_cbranch_scc0 .LBB237_67
	s_branch .LBB237_69
.LBB237_64:
	s_mov_b32 s6, -1
                                        ; implicit-def: $vgpr9
	s_branch .LBB237_69
.LBB237_65:
	v_dual_mov_b32 v9, 0 :: v_dual_mov_b32 v8, 0
	s_branch .LBB237_69
.LBB237_66:
	v_mov_b64_e32 v[8:9], 0
	v_mov_b32_e32 v10, v1
	s_mov_b32 s0, 0
	s_and_b32 s4, s1, 3
	s_mov_b32 s1, 0
	s_cmp_eq_u32 s4, 0
	s_cbranch_scc1 .LBB237_69
.LBB237_67:
	s_lshl_b32 s2, s0, 3
	s_mov_b32 s3, s1
	s_mul_u64 s[8:9], s[0:1], 12
	s_add_nc_u64 s[2:3], s[16:17], s[2:3]
	s_delay_alu instid0(SALU_CYCLE_1)
	s_add_nc_u64 s[0:1], s[2:3], 0xc4
	s_add_nc_u64 s[2:3], s[16:17], s[8:9]
.LBB237_68:                             ; =>This Inner Loop Header: Depth=1
	s_load_b96 s[8:10], s[2:3], 0x4
	s_add_co_i32 s4, s4, -1
	s_wait_xcnt 0x0
	s_add_nc_u64 s[2:3], s[2:3], 12
	s_cmp_lg_u32 s4, 0
	s_wait_kmcnt 0x0
	v_mul_hi_u32 v11, s9, v10
	s_delay_alu instid0(VALU_DEP_1) | instskip(NEXT) | instid1(VALU_DEP_1)
	v_add_nc_u32_e32 v11, v10, v11
	v_lshrrev_b32_e32 v11, s10, v11
	s_load_b64 s[10:11], s[0:1], 0x0
	s_wait_xcnt 0x0
	s_add_nc_u64 s[0:1], s[0:1], 8
	s_delay_alu instid0(VALU_DEP_1) | instskip(NEXT) | instid1(VALU_DEP_1)
	v_mul_lo_u32 v12, v11, s8
	v_sub_nc_u32_e32 v10, v10, v12
	s_wait_kmcnt 0x0
	s_delay_alu instid0(VALU_DEP_1)
	v_mad_u32 v9, v10, s11, v9
	v_mad_u32 v8, v10, s10, v8
	v_mov_b32_e32 v10, v11
	s_cbranch_scc1 .LBB237_68
.LBB237_69:
	s_and_not1_b32 vcc_lo, exec_lo, s6
	s_cbranch_vccnz .LBB237_72
; %bb.70:
	s_clause 0x1
	s_load_b96 s[0:2], s[16:17], 0x4
	s_load_b64 s[4:5], s[16:17], 0xc4
	s_cmp_lt_u32 s15, 2
	s_wait_kmcnt 0x0
	v_mul_hi_u32 v8, s1, v1
	s_delay_alu instid0(VALU_DEP_1) | instskip(NEXT) | instid1(VALU_DEP_1)
	v_add_nc_u32_e32 v8, v1, v8
	v_lshrrev_b32_e32 v10, s2, v8
	s_delay_alu instid0(VALU_DEP_1) | instskip(NEXT) | instid1(VALU_DEP_1)
	v_mul_lo_u32 v8, v10, s0
	v_sub_nc_u32_e32 v1, v1, v8
	s_delay_alu instid0(VALU_DEP_1)
	v_mul_lo_u32 v9, v1, s5
	v_mul_lo_u32 v8, v1, s4
	s_cbranch_scc1 .LBB237_72
; %bb.71:
	s_clause 0x1
	s_load_b96 s[0:2], s[16:17], 0x10
	s_load_b64 s[4:5], s[16:17], 0xcc
	s_wait_kmcnt 0x0
	v_mul_hi_u32 v1, s1, v10
	s_delay_alu instid0(VALU_DEP_1) | instskip(NEXT) | instid1(VALU_DEP_1)
	v_add_nc_u32_e32 v1, v10, v1
	v_lshrrev_b32_e32 v1, s2, v1
	s_delay_alu instid0(VALU_DEP_1) | instskip(NEXT) | instid1(VALU_DEP_1)
	v_mul_lo_u32 v1, v1, s0
	v_sub_nc_u32_e32 v1, v10, v1
	s_delay_alu instid0(VALU_DEP_1)
	v_mad_u32 v8, v1, s4, v8
	v_mad_u32 v9, v1, s5, v9
.LBB237_72:
	v_cmp_ne_u32_e32 vcc_lo, 1, v14
	v_add_nc_u32_e32 v1, 0x200, v0
	s_cbranch_vccnz .LBB237_78
; %bb.73:
	s_cmp_lg_u32 s15, 0
	s_mov_b32 s6, 0
	s_cbranch_scc0 .LBB237_79
; %bb.74:
	s_min_u32 s1, s33, 15
	s_delay_alu instid0(SALU_CYCLE_1)
	s_add_co_i32 s1, s1, 1
	s_cmp_eq_u32 s33, 2
	s_cbranch_scc1 .LBB237_80
; %bb.75:
	v_dual_mov_b32 v10, 0 :: v_dual_mov_b32 v11, 0
	v_mov_b32_e32 v12, v1
	s_and_b32 s0, s1, 28
	s_add_nc_u64 s[2:3], s[16:17], 0xc4
	s_mov_b32 s7, 0
	s_mov_b64 s[4:5], s[16:17]
.LBB237_76:                             ; =>This Inner Loop Header: Depth=1
	s_clause 0x1
	s_load_b256 s[20:27], s[4:5], 0x4
	s_load_b128 s[8:11], s[4:5], 0x24
	s_load_b256 s[36:43], s[2:3], 0x0
	s_add_co_i32 s7, s7, 4
	s_wait_xcnt 0x0
	s_add_nc_u64 s[4:5], s[4:5], 48
	s_cmp_lg_u32 s0, s7
	s_add_nc_u64 s[2:3], s[2:3], 32
	s_wait_kmcnt 0x0
	v_mul_hi_u32 v13, s21, v12
	s_delay_alu instid0(VALU_DEP_1) | instskip(NEXT) | instid1(VALU_DEP_1)
	v_add_nc_u32_e32 v13, v12, v13
	v_lshrrev_b32_e32 v13, s22, v13
	s_delay_alu instid0(VALU_DEP_1) | instskip(NEXT) | instid1(VALU_DEP_1)
	v_mul_lo_u32 v18, v13, s20
	v_sub_nc_u32_e32 v12, v12, v18
	v_mul_hi_u32 v15, s24, v13
	s_delay_alu instid0(VALU_DEP_2) | instskip(SKIP_1) | instid1(VALU_DEP_3)
	v_mad_u32 v11, v12, s37, v11
	v_mad_u32 v10, v12, s36, v10
	v_add_nc_u32_e32 v15, v13, v15
	s_delay_alu instid0(VALU_DEP_1) | instskip(NEXT) | instid1(VALU_DEP_1)
	v_lshrrev_b32_e32 v15, s25, v15
	v_mul_hi_u32 v17, s27, v15
	v_mul_lo_u32 v18, v15, s23
	s_delay_alu instid0(VALU_DEP_1) | instskip(NEXT) | instid1(VALU_DEP_1)
	v_dual_add_nc_u32 v17, v15, v17 :: v_dual_sub_nc_u32 v12, v13, v18
	v_lshrrev_b32_e32 v17, s8, v17
	s_delay_alu instid0(VALU_DEP_2) | instskip(SKIP_1) | instid1(VALU_DEP_3)
	v_mad_u32 v11, v12, s39, v11
	v_mad_u32 v10, v12, s38, v10
	v_mul_hi_u32 v19, s10, v17
	v_mul_lo_u32 v13, v17, s26
	s_delay_alu instid0(VALU_DEP_1) | instskip(NEXT) | instid1(VALU_DEP_1)
	v_dual_add_nc_u32 v18, v17, v19 :: v_dual_sub_nc_u32 v13, v15, v13
	v_lshrrev_b32_e32 v12, s11, v18
	s_delay_alu instid0(VALU_DEP_2) | instskip(SKIP_1) | instid1(VALU_DEP_3)
	v_mad_u32 v11, v13, s41, v11
	v_mad_u32 v10, v13, s40, v10
	v_mul_lo_u32 v15, v12, s9
	s_delay_alu instid0(VALU_DEP_1) | instskip(NEXT) | instid1(VALU_DEP_1)
	v_sub_nc_u32_e32 v13, v17, v15
	v_mad_u32 v11, v13, s43, v11
	s_delay_alu instid0(VALU_DEP_4)
	v_mad_u32 v10, v13, s42, v10
	s_cbranch_scc1 .LBB237_76
; %bb.77:
	s_and_b32 s4, s1, 3
	s_mov_b32 s1, 0
	s_cmp_eq_u32 s4, 0
	s_cbranch_scc0 .LBB237_81
	s_branch .LBB237_83
.LBB237_78:
	s_mov_b32 s6, -1
                                        ; implicit-def: $vgpr11
	s_branch .LBB237_83
.LBB237_79:
	v_dual_mov_b32 v11, 0 :: v_dual_mov_b32 v10, 0
	s_branch .LBB237_83
.LBB237_80:
	v_mov_b64_e32 v[10:11], 0
	v_mov_b32_e32 v12, v1
	s_mov_b32 s0, 0
	s_and_b32 s4, s1, 3
	s_mov_b32 s1, 0
	s_cmp_eq_u32 s4, 0
	s_cbranch_scc1 .LBB237_83
.LBB237_81:
	s_lshl_b32 s2, s0, 3
	s_mov_b32 s3, s1
	s_mul_u64 s[8:9], s[0:1], 12
	s_add_nc_u64 s[2:3], s[16:17], s[2:3]
	s_delay_alu instid0(SALU_CYCLE_1)
	s_add_nc_u64 s[0:1], s[2:3], 0xc4
	s_add_nc_u64 s[2:3], s[16:17], s[8:9]
.LBB237_82:                             ; =>This Inner Loop Header: Depth=1
	s_load_b96 s[8:10], s[2:3], 0x4
	s_add_co_i32 s4, s4, -1
	s_wait_xcnt 0x0
	s_add_nc_u64 s[2:3], s[2:3], 12
	s_cmp_lg_u32 s4, 0
	s_wait_kmcnt 0x0
	v_mul_hi_u32 v13, s9, v12
	s_delay_alu instid0(VALU_DEP_1) | instskip(NEXT) | instid1(VALU_DEP_1)
	v_add_nc_u32_e32 v13, v12, v13
	v_lshrrev_b32_e32 v13, s10, v13
	s_load_b64 s[10:11], s[0:1], 0x0
	s_wait_xcnt 0x0
	s_add_nc_u64 s[0:1], s[0:1], 8
	s_delay_alu instid0(VALU_DEP_1) | instskip(NEXT) | instid1(VALU_DEP_1)
	v_mul_lo_u32 v15, v13, s8
	v_sub_nc_u32_e32 v12, v12, v15
	s_wait_kmcnt 0x0
	s_delay_alu instid0(VALU_DEP_1)
	v_mad_u32 v11, v12, s11, v11
	v_mad_u32 v10, v12, s10, v10
	v_mov_b32_e32 v12, v13
	s_cbranch_scc1 .LBB237_82
.LBB237_83:
	s_and_not1_b32 vcc_lo, exec_lo, s6
	s_cbranch_vccnz .LBB237_86
; %bb.84:
	s_clause 0x1
	s_load_b96 s[0:2], s[16:17], 0x4
	s_load_b64 s[4:5], s[16:17], 0xc4
	s_cmp_lt_u32 s15, 2
	s_wait_kmcnt 0x0
	v_mul_hi_u32 v10, s1, v1
	s_delay_alu instid0(VALU_DEP_1) | instskip(NEXT) | instid1(VALU_DEP_1)
	v_add_nc_u32_e32 v10, v1, v10
	v_lshrrev_b32_e32 v12, s2, v10
	s_delay_alu instid0(VALU_DEP_1) | instskip(NEXT) | instid1(VALU_DEP_1)
	v_mul_lo_u32 v10, v12, s0
	v_sub_nc_u32_e32 v1, v1, v10
	s_delay_alu instid0(VALU_DEP_1)
	v_mul_lo_u32 v11, v1, s5
	v_mul_lo_u32 v10, v1, s4
	s_cbranch_scc1 .LBB237_86
; %bb.85:
	s_clause 0x1
	s_load_b96 s[0:2], s[16:17], 0x10
	s_load_b64 s[4:5], s[16:17], 0xcc
	s_wait_kmcnt 0x0
	v_mul_hi_u32 v1, s1, v12
	s_delay_alu instid0(VALU_DEP_1) | instskip(NEXT) | instid1(VALU_DEP_1)
	v_add_nc_u32_e32 v1, v12, v1
	v_lshrrev_b32_e32 v1, s2, v1
	s_delay_alu instid0(VALU_DEP_1) | instskip(NEXT) | instid1(VALU_DEP_1)
	v_mul_lo_u32 v1, v1, s0
	v_sub_nc_u32_e32 v1, v12, v1
	s_delay_alu instid0(VALU_DEP_1)
	v_mad_u32 v10, v1, s4, v10
	v_mad_u32 v11, v1, s5, v11
.LBB237_86:
	v_cmp_ne_u32_e32 vcc_lo, 1, v14
	v_add_nc_u32_e32 v1, 0x280, v0
	s_cbranch_vccnz .LBB237_92
; %bb.87:
	s_cmp_lg_u32 s15, 0
	s_mov_b32 s6, 0
	s_cbranch_scc0 .LBB237_93
; %bb.88:
	s_min_u32 s1, s33, 15
	s_delay_alu instid0(SALU_CYCLE_1)
	s_add_co_i32 s1, s1, 1
	s_cmp_eq_u32 s33, 2
	s_cbranch_scc1 .LBB237_94
; %bb.89:
	v_dual_mov_b32 v12, 0 :: v_dual_mov_b32 v13, 0
	v_mov_b32_e32 v15, v1
	s_and_b32 s0, s1, 28
	s_add_nc_u64 s[2:3], s[16:17], 0xc4
	s_mov_b32 s7, 0
	s_mov_b64 s[4:5], s[16:17]
.LBB237_90:                             ; =>This Inner Loop Header: Depth=1
	s_clause 0x1
	s_load_b256 s[20:27], s[4:5], 0x4
	s_load_b128 s[8:11], s[4:5], 0x24
	s_load_b256 s[36:43], s[2:3], 0x0
	s_add_co_i32 s7, s7, 4
	s_wait_xcnt 0x0
	s_add_nc_u64 s[4:5], s[4:5], 48
	s_cmp_lg_u32 s0, s7
	s_add_nc_u64 s[2:3], s[2:3], 32
	s_wait_kmcnt 0x0
	v_mul_hi_u32 v17, s21, v15
	s_delay_alu instid0(VALU_DEP_1) | instskip(NEXT) | instid1(VALU_DEP_1)
	v_add_nc_u32_e32 v17, v15, v17
	v_lshrrev_b32_e32 v17, s22, v17
	s_delay_alu instid0(VALU_DEP_1) | instskip(NEXT) | instid1(VALU_DEP_1)
	v_mul_hi_u32 v18, s24, v17
	v_add_nc_u32_e32 v18, v17, v18
	s_delay_alu instid0(VALU_DEP_1) | instskip(NEXT) | instid1(VALU_DEP_1)
	v_lshrrev_b32_e32 v18, s25, v18
	v_mul_hi_u32 v19, s27, v18
	s_delay_alu instid0(VALU_DEP_1) | instskip(SKIP_1) | instid1(VALU_DEP_1)
	v_add_nc_u32_e32 v19, v18, v19
	v_mul_lo_u32 v20, v17, s20
	v_sub_nc_u32_e32 v15, v15, v20
	v_mul_lo_u32 v20, v18, s23
	s_delay_alu instid0(VALU_DEP_4) | instskip(NEXT) | instid1(VALU_DEP_3)
	v_lshrrev_b32_e32 v19, s8, v19
	v_mad_u32 v13, v15, s37, v13
	v_mad_u32 v12, v15, s36, v12
	s_delay_alu instid0(VALU_DEP_4) | instskip(NEXT) | instid1(VALU_DEP_4)
	v_sub_nc_u32_e32 v15, v17, v20
	v_mul_hi_u32 v21, s10, v19
	v_mul_lo_u32 v17, v19, s26
	s_delay_alu instid0(VALU_DEP_3) | instskip(SKIP_1) | instid1(VALU_DEP_4)
	v_mad_u32 v13, v15, s39, v13
	v_mad_u32 v12, v15, s38, v12
	v_add_nc_u32_e32 v20, v19, v21
	s_delay_alu instid0(VALU_DEP_1) | instskip(NEXT) | instid1(VALU_DEP_1)
	v_dual_sub_nc_u32 v17, v18, v17 :: v_dual_lshrrev_b32 v15, s11, v20
	v_mad_u32 v13, v17, s41, v13
	s_delay_alu instid0(VALU_DEP_4) | instskip(NEXT) | instid1(VALU_DEP_3)
	v_mad_u32 v12, v17, s40, v12
	v_mul_lo_u32 v18, v15, s9
	s_delay_alu instid0(VALU_DEP_1) | instskip(NEXT) | instid1(VALU_DEP_1)
	v_sub_nc_u32_e32 v17, v19, v18
	v_mad_u32 v13, v17, s43, v13
	s_delay_alu instid0(VALU_DEP_4)
	v_mad_u32 v12, v17, s42, v12
	s_cbranch_scc1 .LBB237_90
; %bb.91:
	s_and_b32 s4, s1, 3
	s_mov_b32 s1, 0
	s_cmp_eq_u32 s4, 0
	s_cbranch_scc0 .LBB237_95
	s_branch .LBB237_97
.LBB237_92:
	s_mov_b32 s6, -1
                                        ; implicit-def: $vgpr13
	s_branch .LBB237_97
.LBB237_93:
	v_dual_mov_b32 v13, 0 :: v_dual_mov_b32 v12, 0
	s_branch .LBB237_97
.LBB237_94:
	v_mov_b64_e32 v[12:13], 0
	v_mov_b32_e32 v15, v1
	s_mov_b32 s0, 0
	s_and_b32 s4, s1, 3
	s_mov_b32 s1, 0
	s_cmp_eq_u32 s4, 0
	s_cbranch_scc1 .LBB237_97
.LBB237_95:
	s_lshl_b32 s2, s0, 3
	s_mov_b32 s3, s1
	s_mul_u64 s[8:9], s[0:1], 12
	s_add_nc_u64 s[2:3], s[16:17], s[2:3]
	s_delay_alu instid0(SALU_CYCLE_1)
	s_add_nc_u64 s[0:1], s[2:3], 0xc4
	s_add_nc_u64 s[2:3], s[16:17], s[8:9]
.LBB237_96:                             ; =>This Inner Loop Header: Depth=1
	s_load_b96 s[8:10], s[2:3], 0x4
	s_add_co_i32 s4, s4, -1
	s_wait_xcnt 0x0
	s_add_nc_u64 s[2:3], s[2:3], 12
	s_cmp_lg_u32 s4, 0
	s_wait_kmcnt 0x0
	v_mul_hi_u32 v17, s9, v15
	s_delay_alu instid0(VALU_DEP_1) | instskip(NEXT) | instid1(VALU_DEP_1)
	v_add_nc_u32_e32 v17, v15, v17
	v_lshrrev_b32_e32 v17, s10, v17
	s_load_b64 s[10:11], s[0:1], 0x0
	s_wait_xcnt 0x0
	s_add_nc_u64 s[0:1], s[0:1], 8
	s_delay_alu instid0(VALU_DEP_1) | instskip(NEXT) | instid1(VALU_DEP_1)
	v_mul_lo_u32 v18, v17, s8
	v_sub_nc_u32_e32 v15, v15, v18
	s_wait_kmcnt 0x0
	s_delay_alu instid0(VALU_DEP_1)
	v_mad_u32 v13, v15, s11, v13
	v_mad_u32 v12, v15, s10, v12
	v_mov_b32_e32 v15, v17
	s_cbranch_scc1 .LBB237_96
.LBB237_97:
	s_and_not1_b32 vcc_lo, exec_lo, s6
	s_cbranch_vccnz .LBB237_100
; %bb.98:
	s_clause 0x1
	s_load_b96 s[0:2], s[16:17], 0x4
	s_load_b64 s[4:5], s[16:17], 0xc4
	s_cmp_lt_u32 s15, 2
	s_wait_kmcnt 0x0
	v_mul_hi_u32 v12, s1, v1
	s_delay_alu instid0(VALU_DEP_1) | instskip(NEXT) | instid1(VALU_DEP_1)
	v_add_nc_u32_e32 v12, v1, v12
	v_lshrrev_b32_e32 v15, s2, v12
	s_delay_alu instid0(VALU_DEP_1) | instskip(NEXT) | instid1(VALU_DEP_1)
	v_mul_lo_u32 v12, v15, s0
	v_sub_nc_u32_e32 v1, v1, v12
	s_delay_alu instid0(VALU_DEP_1)
	v_mul_lo_u32 v13, v1, s5
	v_mul_lo_u32 v12, v1, s4
	s_cbranch_scc1 .LBB237_100
; %bb.99:
	s_clause 0x1
	s_load_b96 s[0:2], s[16:17], 0x10
	s_load_b64 s[4:5], s[16:17], 0xcc
	s_wait_kmcnt 0x0
	v_mul_hi_u32 v1, s1, v15
	s_delay_alu instid0(VALU_DEP_1) | instskip(NEXT) | instid1(VALU_DEP_1)
	v_add_nc_u32_e32 v1, v15, v1
	v_lshrrev_b32_e32 v1, s2, v1
	s_delay_alu instid0(VALU_DEP_1) | instskip(NEXT) | instid1(VALU_DEP_1)
	v_mul_lo_u32 v1, v1, s0
	v_sub_nc_u32_e32 v1, v15, v1
	s_delay_alu instid0(VALU_DEP_1)
	v_mad_u32 v12, v1, s4, v12
	v_mad_u32 v13, v1, s5, v13
.LBB237_100:
	v_cmp_ne_u32_e32 vcc_lo, 1, v14
	v_add_nc_u32_e32 v15, 0x300, v0
	s_cbranch_vccnz .LBB237_106
; %bb.101:
	s_cmp_lg_u32 s15, 0
	s_mov_b32 s6, 0
	s_cbranch_scc0 .LBB237_107
; %bb.102:
	s_min_u32 s1, s33, 15
	s_delay_alu instid0(SALU_CYCLE_1)
	s_add_co_i32 s1, s1, 1
	s_cmp_eq_u32 s33, 2
	s_cbranch_scc1 .LBB237_108
; %bb.103:
	v_dual_mov_b32 v0, 0 :: v_dual_mov_b32 v1, 0
	v_mov_b32_e32 v17, v15
	s_and_b32 s0, s1, 28
	s_add_nc_u64 s[2:3], s[16:17], 0xc4
	s_mov_b32 s7, 0
	s_mov_b64 s[4:5], s[16:17]
.LBB237_104:                            ; =>This Inner Loop Header: Depth=1
	s_clause 0x1
	s_load_b256 s[20:27], s[4:5], 0x4
	s_load_b128 s[8:11], s[4:5], 0x24
	s_load_b256 s[36:43], s[2:3], 0x0
	s_add_co_i32 s7, s7, 4
	s_wait_xcnt 0x0
	s_add_nc_u64 s[4:5], s[4:5], 48
	s_cmp_lg_u32 s0, s7
	s_add_nc_u64 s[2:3], s[2:3], 32
	s_wait_kmcnt 0x0
	v_mul_hi_u32 v18, s21, v17
	s_delay_alu instid0(VALU_DEP_1) | instskip(NEXT) | instid1(VALU_DEP_1)
	v_add_nc_u32_e32 v18, v17, v18
	v_lshrrev_b32_e32 v18, s22, v18
	s_delay_alu instid0(VALU_DEP_1) | instskip(NEXT) | instid1(VALU_DEP_1)
	v_mul_hi_u32 v19, s24, v18
	v_add_nc_u32_e32 v19, v18, v19
	s_delay_alu instid0(VALU_DEP_1) | instskip(NEXT) | instid1(VALU_DEP_1)
	v_lshrrev_b32_e32 v19, s25, v19
	v_mul_hi_u32 v20, s27, v19
	s_delay_alu instid0(VALU_DEP_1) | instskip(SKIP_1) | instid1(VALU_DEP_1)
	v_add_nc_u32_e32 v20, v19, v20
	v_mul_lo_u32 v21, v18, s20
	v_sub_nc_u32_e32 v17, v17, v21
	v_mul_lo_u32 v21, v19, s23
	s_delay_alu instid0(VALU_DEP_4) | instskip(NEXT) | instid1(VALU_DEP_3)
	v_lshrrev_b32_e32 v20, s8, v20
	v_mad_u32 v1, v17, s37, v1
	v_mad_u32 v0, v17, s36, v0
	s_delay_alu instid0(VALU_DEP_4) | instskip(NEXT) | instid1(VALU_DEP_4)
	v_sub_nc_u32_e32 v17, v18, v21
	v_mul_hi_u32 v22, s10, v20
	v_mul_lo_u32 v18, v20, s26
	s_delay_alu instid0(VALU_DEP_3) | instskip(SKIP_1) | instid1(VALU_DEP_4)
	v_mad_u32 v1, v17, s39, v1
	v_mad_u32 v0, v17, s38, v0
	v_add_nc_u32_e32 v21, v20, v22
	s_delay_alu instid0(VALU_DEP_1) | instskip(NEXT) | instid1(VALU_DEP_1)
	v_dual_sub_nc_u32 v18, v19, v18 :: v_dual_lshrrev_b32 v17, s11, v21
	v_mad_u32 v1, v18, s41, v1
	s_delay_alu instid0(VALU_DEP_4) | instskip(NEXT) | instid1(VALU_DEP_3)
	v_mad_u32 v0, v18, s40, v0
	v_mul_lo_u32 v19, v17, s9
	s_delay_alu instid0(VALU_DEP_1) | instskip(NEXT) | instid1(VALU_DEP_1)
	v_sub_nc_u32_e32 v18, v20, v19
	v_mad_u32 v1, v18, s43, v1
	s_delay_alu instid0(VALU_DEP_4)
	v_mad_u32 v0, v18, s42, v0
	s_cbranch_scc1 .LBB237_104
; %bb.105:
	s_and_b32 s4, s1, 3
	s_mov_b32 s1, 0
	s_cmp_eq_u32 s4, 0
	s_cbranch_scc0 .LBB237_109
	s_branch .LBB237_111
.LBB237_106:
	s_mov_b32 s6, -1
                                        ; implicit-def: $vgpr1
	s_branch .LBB237_111
.LBB237_107:
	v_dual_mov_b32 v1, 0 :: v_dual_mov_b32 v0, 0
	s_branch .LBB237_111
.LBB237_108:
	v_mov_b64_e32 v[0:1], 0
	v_mov_b32_e32 v17, v15
	s_mov_b32 s0, 0
	s_and_b32 s4, s1, 3
	s_mov_b32 s1, 0
	s_cmp_eq_u32 s4, 0
	s_cbranch_scc1 .LBB237_111
.LBB237_109:
	s_lshl_b32 s2, s0, 3
	s_mov_b32 s3, s1
	s_mul_u64 s[8:9], s[0:1], 12
	s_add_nc_u64 s[2:3], s[16:17], s[2:3]
	s_delay_alu instid0(SALU_CYCLE_1)
	s_add_nc_u64 s[0:1], s[2:3], 0xc4
	s_add_nc_u64 s[2:3], s[16:17], s[8:9]
.LBB237_110:                            ; =>This Inner Loop Header: Depth=1
	s_load_b96 s[8:10], s[2:3], 0x4
	s_add_co_i32 s4, s4, -1
	s_wait_xcnt 0x0
	s_add_nc_u64 s[2:3], s[2:3], 12
	s_cmp_lg_u32 s4, 0
	s_wait_kmcnt 0x0
	v_mul_hi_u32 v18, s9, v17
	s_delay_alu instid0(VALU_DEP_1) | instskip(NEXT) | instid1(VALU_DEP_1)
	v_add_nc_u32_e32 v18, v17, v18
	v_lshrrev_b32_e32 v18, s10, v18
	s_load_b64 s[10:11], s[0:1], 0x0
	s_wait_xcnt 0x0
	s_add_nc_u64 s[0:1], s[0:1], 8
	s_delay_alu instid0(VALU_DEP_1) | instskip(NEXT) | instid1(VALU_DEP_1)
	v_mul_lo_u32 v19, v18, s8
	v_sub_nc_u32_e32 v17, v17, v19
	s_wait_kmcnt 0x0
	s_delay_alu instid0(VALU_DEP_1)
	v_mad_u32 v1, v17, s11, v1
	v_mad_u32 v0, v17, s10, v0
	v_mov_b32_e32 v17, v18
	s_cbranch_scc1 .LBB237_110
.LBB237_111:
	s_and_not1_b32 vcc_lo, exec_lo, s6
	s_cbranch_vccnz .LBB237_114
; %bb.112:
	s_clause 0x1
	s_load_b96 s[0:2], s[16:17], 0x4
	s_load_b64 s[4:5], s[16:17], 0xc4
	s_cmp_lt_u32 s15, 2
	s_wait_kmcnt 0x0
	v_mul_hi_u32 v0, s1, v15
	s_delay_alu instid0(VALU_DEP_1) | instskip(NEXT) | instid1(VALU_DEP_1)
	v_add_nc_u32_e32 v0, v15, v0
	v_lshrrev_b32_e32 v17, s2, v0
	s_delay_alu instid0(VALU_DEP_1) | instskip(NEXT) | instid1(VALU_DEP_1)
	v_mul_lo_u32 v0, v17, s0
	v_sub_nc_u32_e32 v0, v15, v0
	s_delay_alu instid0(VALU_DEP_1)
	v_mul_lo_u32 v1, v0, s5
	v_mul_lo_u32 v0, v0, s4
	s_cbranch_scc1 .LBB237_114
; %bb.113:
	s_clause 0x1
	s_load_b96 s[0:2], s[16:17], 0x10
	s_load_b64 s[4:5], s[16:17], 0xcc
	s_wait_kmcnt 0x0
	v_mul_hi_u32 v15, s1, v17
	s_delay_alu instid0(VALU_DEP_1) | instskip(NEXT) | instid1(VALU_DEP_1)
	v_add_nc_u32_e32 v15, v17, v15
	v_lshrrev_b32_e32 v15, s2, v15
	s_delay_alu instid0(VALU_DEP_1) | instskip(NEXT) | instid1(VALU_DEP_1)
	v_mul_lo_u32 v15, v15, s0
	v_sub_nc_u32_e32 v15, v17, v15
	s_delay_alu instid0(VALU_DEP_1)
	v_mad_u32 v0, v15, s4, v0
	v_mad_u32 v1, v15, s5, v1
.LBB237_114:
	v_cmp_ne_u32_e32 vcc_lo, 1, v14
	s_cbranch_vccnz .LBB237_120
; %bb.115:
	s_cmp_lg_u32 s15, 0
	s_mov_b32 s6, 0
	s_cbranch_scc0 .LBB237_121
; %bb.116:
	s_min_u32 s1, s33, 15
	s_delay_alu instid0(SALU_CYCLE_1)
	s_add_co_i32 s1, s1, 1
	s_cmp_eq_u32 s33, 2
	s_cbranch_scc1 .LBB237_122
; %bb.117:
	v_dual_mov_b32 v14, 0 :: v_dual_mov_b32 v15, 0
	v_mov_b32_e32 v17, v16
	s_and_b32 s0, s1, 28
	s_add_nc_u64 s[2:3], s[16:17], 0xc4
	s_mov_b32 s7, 0
	s_mov_b64 s[4:5], s[16:17]
.LBB237_118:                            ; =>This Inner Loop Header: Depth=1
	s_clause 0x1
	s_load_b256 s[20:27], s[4:5], 0x4
	s_load_b128 s[8:11], s[4:5], 0x24
	s_load_b256 s[36:43], s[2:3], 0x0
	s_add_co_i32 s7, s7, 4
	s_wait_xcnt 0x0
	s_add_nc_u64 s[4:5], s[4:5], 48
	s_cmp_lg_u32 s0, s7
	s_add_nc_u64 s[2:3], s[2:3], 32
	s_wait_kmcnt 0x0
	v_mul_hi_u32 v18, s21, v17
	s_delay_alu instid0(VALU_DEP_1) | instskip(NEXT) | instid1(VALU_DEP_1)
	v_add_nc_u32_e32 v18, v17, v18
	v_lshrrev_b32_e32 v18, s22, v18
	s_delay_alu instid0(VALU_DEP_1) | instskip(NEXT) | instid1(VALU_DEP_1)
	v_mul_hi_u32 v19, s24, v18
	v_add_nc_u32_e32 v19, v18, v19
	s_delay_alu instid0(VALU_DEP_1) | instskip(NEXT) | instid1(VALU_DEP_1)
	v_lshrrev_b32_e32 v19, s25, v19
	v_mul_hi_u32 v20, s27, v19
	s_delay_alu instid0(VALU_DEP_1) | instskip(SKIP_1) | instid1(VALU_DEP_1)
	v_add_nc_u32_e32 v20, v19, v20
	v_mul_lo_u32 v21, v18, s20
	v_sub_nc_u32_e32 v17, v17, v21
	v_mul_lo_u32 v21, v19, s23
	s_delay_alu instid0(VALU_DEP_4) | instskip(NEXT) | instid1(VALU_DEP_3)
	v_lshrrev_b32_e32 v20, s8, v20
	v_mad_u32 v15, v17, s37, v15
	v_mad_u32 v14, v17, s36, v14
	s_delay_alu instid0(VALU_DEP_4) | instskip(NEXT) | instid1(VALU_DEP_4)
	v_sub_nc_u32_e32 v17, v18, v21
	v_mul_hi_u32 v22, s10, v20
	v_mul_lo_u32 v18, v20, s26
	s_delay_alu instid0(VALU_DEP_3) | instskip(SKIP_1) | instid1(VALU_DEP_4)
	v_mad_u32 v15, v17, s39, v15
	v_mad_u32 v14, v17, s38, v14
	v_add_nc_u32_e32 v21, v20, v22
	s_delay_alu instid0(VALU_DEP_1) | instskip(NEXT) | instid1(VALU_DEP_1)
	v_dual_sub_nc_u32 v18, v19, v18 :: v_dual_lshrrev_b32 v17, s11, v21
	v_mad_u32 v15, v18, s41, v15
	s_delay_alu instid0(VALU_DEP_4) | instskip(NEXT) | instid1(VALU_DEP_3)
	v_mad_u32 v14, v18, s40, v14
	v_mul_lo_u32 v19, v17, s9
	s_delay_alu instid0(VALU_DEP_1) | instskip(NEXT) | instid1(VALU_DEP_1)
	v_sub_nc_u32_e32 v18, v20, v19
	v_mad_u32 v15, v18, s43, v15
	s_delay_alu instid0(VALU_DEP_4)
	v_mad_u32 v14, v18, s42, v14
	s_cbranch_scc1 .LBB237_118
; %bb.119:
	s_and_b32 s4, s1, 3
	s_mov_b32 s1, 0
	s_cmp_eq_u32 s4, 0
	s_cbranch_scc0 .LBB237_123
	s_branch .LBB237_125
.LBB237_120:
	s_mov_b32 s6, -1
                                        ; implicit-def: $vgpr15
	s_branch .LBB237_125
.LBB237_121:
	v_dual_mov_b32 v15, 0 :: v_dual_mov_b32 v14, 0
	s_branch .LBB237_125
.LBB237_122:
	v_mov_b64_e32 v[14:15], 0
	v_mov_b32_e32 v17, v16
	s_mov_b32 s0, 0
	s_and_b32 s4, s1, 3
	s_mov_b32 s1, 0
	s_cmp_eq_u32 s4, 0
	s_cbranch_scc1 .LBB237_125
.LBB237_123:
	s_lshl_b32 s2, s0, 3
	s_mov_b32 s3, s1
	s_mul_u64 s[8:9], s[0:1], 12
	s_add_nc_u64 s[2:3], s[16:17], s[2:3]
	s_delay_alu instid0(SALU_CYCLE_1)
	s_add_nc_u64 s[0:1], s[2:3], 0xc4
	s_add_nc_u64 s[2:3], s[16:17], s[8:9]
.LBB237_124:                            ; =>This Inner Loop Header: Depth=1
	s_load_b96 s[8:10], s[2:3], 0x4
	s_add_co_i32 s4, s4, -1
	s_wait_xcnt 0x0
	s_add_nc_u64 s[2:3], s[2:3], 12
	s_cmp_lg_u32 s4, 0
	s_wait_kmcnt 0x0
	v_mul_hi_u32 v18, s9, v17
	s_delay_alu instid0(VALU_DEP_1) | instskip(NEXT) | instid1(VALU_DEP_1)
	v_add_nc_u32_e32 v18, v17, v18
	v_lshrrev_b32_e32 v18, s10, v18
	s_load_b64 s[10:11], s[0:1], 0x0
	s_wait_xcnt 0x0
	s_add_nc_u64 s[0:1], s[0:1], 8
	s_delay_alu instid0(VALU_DEP_1) | instskip(NEXT) | instid1(VALU_DEP_1)
	v_mul_lo_u32 v19, v18, s8
	v_sub_nc_u32_e32 v17, v17, v19
	s_wait_kmcnt 0x0
	s_delay_alu instid0(VALU_DEP_1)
	v_mad_u32 v15, v17, s11, v15
	v_mad_u32 v14, v17, s10, v14
	v_mov_b32_e32 v17, v18
	s_cbranch_scc1 .LBB237_124
.LBB237_125:
	s_and_not1_b32 vcc_lo, exec_lo, s6
	s_cbranch_vccnz .LBB237_128
; %bb.126:
	s_clause 0x1
	s_load_b96 s[0:2], s[16:17], 0x4
	s_load_b64 s[4:5], s[16:17], 0xc4
	s_cmp_lt_u32 s15, 2
	s_wait_kmcnt 0x0
	v_mul_hi_u32 v14, s1, v16
	s_delay_alu instid0(VALU_DEP_1) | instskip(NEXT) | instid1(VALU_DEP_1)
	v_add_nc_u32_e32 v14, v16, v14
	v_lshrrev_b32_e32 v17, s2, v14
	s_delay_alu instid0(VALU_DEP_1) | instskip(NEXT) | instid1(VALU_DEP_1)
	v_mul_lo_u32 v14, v17, s0
	v_sub_nc_u32_e32 v14, v16, v14
	s_delay_alu instid0(VALU_DEP_1)
	v_mul_lo_u32 v15, v14, s5
	v_mul_lo_u32 v14, v14, s4
	s_cbranch_scc1 .LBB237_128
; %bb.127:
	s_clause 0x1
	s_load_b96 s[0:2], s[16:17], 0x10
	s_load_b64 s[4:5], s[16:17], 0xcc
	s_wait_kmcnt 0x0
	v_mul_hi_u32 v16, s1, v17
	s_delay_alu instid0(VALU_DEP_1) | instskip(NEXT) | instid1(VALU_DEP_1)
	v_add_nc_u32_e32 v16, v17, v16
	v_lshrrev_b32_e32 v16, s2, v16
	s_delay_alu instid0(VALU_DEP_1) | instskip(NEXT) | instid1(VALU_DEP_1)
	v_mul_lo_u32 v16, v16, s0
	v_sub_nc_u32_e32 v16, v17, v16
	s_delay_alu instid0(VALU_DEP_1)
	v_mad_u32 v14, v16, s4, v14
	v_mad_u32 v15, v16, s5, v15
.LBB237_128:
	s_load_b128 s[0:3], s[16:17], 0x148
	s_mov_b32 s6, exec_lo
	s_wait_kmcnt 0x0
	global_load_u16 v3, v3, s[2:3]
	s_wait_loadcnt 0x0
	v_lshlrev_b32_e32 v16, 16, v3
	s_wait_xcnt 0x0
	s_delay_alu instid0(VALU_DEP_1)
	v_cmpx_o_f32_e32 v16, v16
	s_cbranch_execz .LBB237_138
; %bb.129:
	s_load_b64 s[4:5], s[16:17], 0x158
	s_mov_b32 s7, 0
	s_wait_kmcnt 0x0
	s_cmp_lt_i32 s4, 1
	s_cbranch_scc1 .LBB237_132
; %bb.130:
	s_cmp_eq_u32 s4, 1
	s_cbranch_scc0 .LBB237_209
; %bb.131:
	v_max_num_f32_e64 v3, s5, s5
	v_max_num_f32_e32 v17, v16, v16
	s_mov_b32 s8, 0
	s_delay_alu instid0(VALU_DEP_1) | instskip(NEXT) | instid1(VALU_DEP_1)
	v_min_num_f32_e32 v3, v17, v3
	v_bfe_u32 v17, v3, 16, 1
	s_delay_alu instid0(VALU_DEP_1) | instskip(NEXT) | instid1(VALU_DEP_1)
	v_add3_u32 v3, v3, v17, 0x7fff
	v_lshrrev_b32_e32 v3, 16, v3
	s_branch .LBB237_134
.LBB237_132:
	s_mov_b32 s8, 0
                                        ; implicit-def: $vgpr3
	s_cbranch_execz .LBB237_134
; %bb.133:
	s_cmp_lg_u32 s4, 0
	s_mov_b32 s7, -1
	s_cselect_b32 s8, -1, 0
.LBB237_134:
	v_max_num_f32_e64 v17, s5, s5
	v_max_num_f32_e32 v16, v16, v16
	s_and_not1_b32 vcc_lo, exec_lo, s8
	s_cbranch_vccnz .LBB237_136
; %bb.135:
	s_load_b32 s4, s[16:17], 0x160
	s_wait_kmcnt 0x0
	v_max_num_f32_e64 v3, s4, s4
	s_delay_alu instid0(VALU_DEP_1) | instskip(NEXT) | instid1(VALU_DEP_1)
	v_maxmin_num_f32 v3, v16, v17, v3
	v_bfe_u32 v18, v3, 16, 1
	s_delay_alu instid0(VALU_DEP_1) | instskip(NEXT) | instid1(VALU_DEP_1)
	v_add3_u32 v3, v3, v18, 0x7fff
	v_lshrrev_b32_e32 v3, 16, v3
	s_cbranch_execz .LBB237_137
	s_branch .LBB237_138
.LBB237_136:
	s_and_not1_b32 vcc_lo, exec_lo, s7
	s_cbranch_vccnz .LBB237_138
.LBB237_137:
	v_max_num_f32_e32 v3, v16, v17
	s_delay_alu instid0(VALU_DEP_1) | instskip(NEXT) | instid1(VALU_DEP_1)
	v_bfe_u32 v16, v3, 16, 1
	v_add3_u32 v3, v3, v16, 0x7fff
	s_delay_alu instid0(VALU_DEP_1)
	v_lshrrev_b32_e32 v3, 16, v3
.LBB237_138:
	s_or_b32 exec_lo, exec_lo, s6
	global_load_u16 v5, v5, s[2:3]
	s_mov_b32 s6, exec_lo
	s_wait_loadcnt 0x0
	v_lshlrev_b32_e32 v16, 16, v5
	s_wait_xcnt 0x0
	s_delay_alu instid0(VALU_DEP_1)
	v_cmpx_o_f32_e32 v16, v16
	s_cbranch_execz .LBB237_148
; %bb.139:
	s_load_b64 s[4:5], s[16:17], 0x158
	s_mov_b32 s7, 0
	s_wait_kmcnt 0x0
	s_cmp_lt_i32 s4, 1
	s_cbranch_scc1 .LBB237_142
; %bb.140:
	s_cmp_eq_u32 s4, 1
	s_cbranch_scc0 .LBB237_210
; %bb.141:
	v_max_num_f32_e64 v5, s5, s5
	v_max_num_f32_e32 v17, v16, v16
	s_mov_b32 s8, 0
	s_delay_alu instid0(VALU_DEP_1) | instskip(NEXT) | instid1(VALU_DEP_1)
	v_min_num_f32_e32 v5, v17, v5
	v_bfe_u32 v17, v5, 16, 1
	s_delay_alu instid0(VALU_DEP_1) | instskip(NEXT) | instid1(VALU_DEP_1)
	v_add3_u32 v5, v5, v17, 0x7fff
	v_lshrrev_b32_e32 v5, 16, v5
	s_branch .LBB237_144
.LBB237_142:
	s_mov_b32 s8, 0
                                        ; implicit-def: $vgpr5
	s_cbranch_execz .LBB237_144
; %bb.143:
	s_cmp_lg_u32 s4, 0
	s_mov_b32 s7, -1
	s_cselect_b32 s8, -1, 0
.LBB237_144:
	v_max_num_f32_e64 v17, s5, s5
	v_max_num_f32_e32 v16, v16, v16
	s_and_not1_b32 vcc_lo, exec_lo, s8
	s_cbranch_vccnz .LBB237_146
; %bb.145:
	s_load_b32 s4, s[16:17], 0x160
	s_wait_kmcnt 0x0
	v_max_num_f32_e64 v5, s4, s4
	s_delay_alu instid0(VALU_DEP_1) | instskip(NEXT) | instid1(VALU_DEP_1)
	v_maxmin_num_f32 v5, v16, v17, v5
	v_bfe_u32 v18, v5, 16, 1
	s_delay_alu instid0(VALU_DEP_1) | instskip(NEXT) | instid1(VALU_DEP_1)
	v_add3_u32 v5, v5, v18, 0x7fff
	v_lshrrev_b32_e32 v5, 16, v5
	s_cbranch_execz .LBB237_147
	s_branch .LBB237_148
.LBB237_146:
	s_and_not1_b32 vcc_lo, exec_lo, s7
	s_cbranch_vccnz .LBB237_148
.LBB237_147:
	v_max_num_f32_e32 v5, v16, v17
	s_delay_alu instid0(VALU_DEP_1) | instskip(NEXT) | instid1(VALU_DEP_1)
	v_bfe_u32 v16, v5, 16, 1
	v_add3_u32 v5, v5, v16, 0x7fff
	s_delay_alu instid0(VALU_DEP_1)
	v_lshrrev_b32_e32 v5, 16, v5
.LBB237_148:
	s_or_b32 exec_lo, exec_lo, s6
	global_load_u16 v7, v7, s[2:3]
	s_mov_b32 s6, exec_lo
	s_wait_loadcnt 0x0
	v_lshlrev_b32_e32 v16, 16, v7
	s_wait_xcnt 0x0
	s_delay_alu instid0(VALU_DEP_1)
	v_cmpx_o_f32_e32 v16, v16
	s_cbranch_execz .LBB237_158
; %bb.149:
	s_load_b64 s[4:5], s[16:17], 0x158
	s_mov_b32 s7, 0
	s_wait_kmcnt 0x0
	s_cmp_lt_i32 s4, 1
	s_cbranch_scc1 .LBB237_152
; %bb.150:
	s_cmp_eq_u32 s4, 1
	s_cbranch_scc0 .LBB237_211
; %bb.151:
	v_max_num_f32_e64 v7, s5, s5
	v_max_num_f32_e32 v17, v16, v16
	s_mov_b32 s8, 0
	s_delay_alu instid0(VALU_DEP_1) | instskip(NEXT) | instid1(VALU_DEP_1)
	v_min_num_f32_e32 v7, v17, v7
	v_bfe_u32 v17, v7, 16, 1
	s_delay_alu instid0(VALU_DEP_1) | instskip(NEXT) | instid1(VALU_DEP_1)
	v_add3_u32 v7, v7, v17, 0x7fff
	v_lshrrev_b32_e32 v7, 16, v7
	s_branch .LBB237_154
.LBB237_152:
	s_mov_b32 s8, 0
                                        ; implicit-def: $vgpr7
	s_cbranch_execz .LBB237_154
; %bb.153:
	s_cmp_lg_u32 s4, 0
	s_mov_b32 s7, -1
	s_cselect_b32 s8, -1, 0
.LBB237_154:
	v_max_num_f32_e64 v17, s5, s5
	v_max_num_f32_e32 v16, v16, v16
	s_and_not1_b32 vcc_lo, exec_lo, s8
	s_cbranch_vccnz .LBB237_156
; %bb.155:
	s_load_b32 s4, s[16:17], 0x160
	s_wait_kmcnt 0x0
	v_max_num_f32_e64 v7, s4, s4
	s_delay_alu instid0(VALU_DEP_1) | instskip(NEXT) | instid1(VALU_DEP_1)
	v_maxmin_num_f32 v7, v16, v17, v7
	v_bfe_u32 v18, v7, 16, 1
	s_delay_alu instid0(VALU_DEP_1) | instskip(NEXT) | instid1(VALU_DEP_1)
	v_add3_u32 v7, v7, v18, 0x7fff
	v_lshrrev_b32_e32 v7, 16, v7
	s_cbranch_execz .LBB237_157
	s_branch .LBB237_158
.LBB237_156:
	s_and_not1_b32 vcc_lo, exec_lo, s7
	s_cbranch_vccnz .LBB237_158
.LBB237_157:
	v_max_num_f32_e32 v7, v16, v17
	s_delay_alu instid0(VALU_DEP_1) | instskip(NEXT) | instid1(VALU_DEP_1)
	v_bfe_u32 v16, v7, 16, 1
	v_add3_u32 v7, v7, v16, 0x7fff
	s_delay_alu instid0(VALU_DEP_1)
	v_lshrrev_b32_e32 v7, 16, v7
.LBB237_158:
	s_or_b32 exec_lo, exec_lo, s6
	global_load_u16 v9, v9, s[2:3]
	s_mov_b32 s6, exec_lo
	s_wait_loadcnt 0x0
	v_lshlrev_b32_e32 v16, 16, v9
	s_wait_xcnt 0x0
	s_delay_alu instid0(VALU_DEP_1)
	v_cmpx_o_f32_e32 v16, v16
	s_cbranch_execz .LBB237_168
; %bb.159:
	s_load_b64 s[4:5], s[16:17], 0x158
	s_mov_b32 s7, 0
	s_wait_kmcnt 0x0
	s_cmp_lt_i32 s4, 1
	s_cbranch_scc1 .LBB237_162
; %bb.160:
	s_cmp_eq_u32 s4, 1
	s_cbranch_scc0 .LBB237_212
; %bb.161:
	v_max_num_f32_e64 v9, s5, s5
	v_max_num_f32_e32 v17, v16, v16
	s_mov_b32 s8, 0
	s_delay_alu instid0(VALU_DEP_1) | instskip(NEXT) | instid1(VALU_DEP_1)
	v_min_num_f32_e32 v9, v17, v9
	v_bfe_u32 v17, v9, 16, 1
	s_delay_alu instid0(VALU_DEP_1) | instskip(NEXT) | instid1(VALU_DEP_1)
	v_add3_u32 v9, v9, v17, 0x7fff
	v_lshrrev_b32_e32 v9, 16, v9
	s_branch .LBB237_164
.LBB237_162:
	s_mov_b32 s8, 0
                                        ; implicit-def: $vgpr9
	s_cbranch_execz .LBB237_164
; %bb.163:
	s_cmp_lg_u32 s4, 0
	s_mov_b32 s7, -1
	s_cselect_b32 s8, -1, 0
.LBB237_164:
	v_max_num_f32_e64 v17, s5, s5
	v_max_num_f32_e32 v16, v16, v16
	s_and_not1_b32 vcc_lo, exec_lo, s8
	s_cbranch_vccnz .LBB237_166
; %bb.165:
	s_load_b32 s4, s[16:17], 0x160
	s_wait_kmcnt 0x0
	v_max_num_f32_e64 v9, s4, s4
	s_delay_alu instid0(VALU_DEP_1) | instskip(NEXT) | instid1(VALU_DEP_1)
	v_maxmin_num_f32 v9, v16, v17, v9
	v_bfe_u32 v18, v9, 16, 1
	s_delay_alu instid0(VALU_DEP_1) | instskip(NEXT) | instid1(VALU_DEP_1)
	v_add3_u32 v9, v9, v18, 0x7fff
	v_lshrrev_b32_e32 v9, 16, v9
	s_cbranch_execz .LBB237_167
	s_branch .LBB237_168
.LBB237_166:
	s_and_not1_b32 vcc_lo, exec_lo, s7
	s_cbranch_vccnz .LBB237_168
.LBB237_167:
	v_max_num_f32_e32 v9, v16, v17
	s_delay_alu instid0(VALU_DEP_1) | instskip(NEXT) | instid1(VALU_DEP_1)
	v_bfe_u32 v16, v9, 16, 1
	v_add3_u32 v9, v9, v16, 0x7fff
	s_delay_alu instid0(VALU_DEP_1)
	v_lshrrev_b32_e32 v9, 16, v9
.LBB237_168:
	s_or_b32 exec_lo, exec_lo, s6
	global_load_u16 v11, v11, s[2:3]
	s_mov_b32 s6, exec_lo
	s_wait_loadcnt 0x0
	v_lshlrev_b32_e32 v16, 16, v11
	s_wait_xcnt 0x0
	s_delay_alu instid0(VALU_DEP_1)
	v_cmpx_o_f32_e32 v16, v16
	s_cbranch_execz .LBB237_178
; %bb.169:
	s_load_b64 s[4:5], s[16:17], 0x158
	s_mov_b32 s7, 0
	s_wait_kmcnt 0x0
	s_cmp_lt_i32 s4, 1
	s_cbranch_scc1 .LBB237_172
; %bb.170:
	s_cmp_eq_u32 s4, 1
	s_cbranch_scc0 .LBB237_213
; %bb.171:
	v_max_num_f32_e64 v11, s5, s5
	v_max_num_f32_e32 v17, v16, v16
	s_mov_b32 s8, 0
	s_delay_alu instid0(VALU_DEP_1) | instskip(NEXT) | instid1(VALU_DEP_1)
	v_min_num_f32_e32 v11, v17, v11
	v_bfe_u32 v17, v11, 16, 1
	s_delay_alu instid0(VALU_DEP_1) | instskip(NEXT) | instid1(VALU_DEP_1)
	v_add3_u32 v11, v11, v17, 0x7fff
	v_lshrrev_b32_e32 v11, 16, v11
	s_branch .LBB237_174
.LBB237_172:
	s_mov_b32 s8, 0
                                        ; implicit-def: $vgpr11
	s_cbranch_execz .LBB237_174
; %bb.173:
	s_cmp_lg_u32 s4, 0
	s_mov_b32 s7, -1
	s_cselect_b32 s8, -1, 0
.LBB237_174:
	v_max_num_f32_e64 v17, s5, s5
	v_max_num_f32_e32 v16, v16, v16
	s_and_not1_b32 vcc_lo, exec_lo, s8
	s_cbranch_vccnz .LBB237_176
; %bb.175:
	s_load_b32 s4, s[16:17], 0x160
	s_wait_kmcnt 0x0
	v_max_num_f32_e64 v11, s4, s4
	s_delay_alu instid0(VALU_DEP_1) | instskip(NEXT) | instid1(VALU_DEP_1)
	v_maxmin_num_f32 v11, v16, v17, v11
	v_bfe_u32 v18, v11, 16, 1
	s_delay_alu instid0(VALU_DEP_1) | instskip(NEXT) | instid1(VALU_DEP_1)
	v_add3_u32 v11, v11, v18, 0x7fff
	v_lshrrev_b32_e32 v11, 16, v11
	s_cbranch_execz .LBB237_177
	s_branch .LBB237_178
.LBB237_176:
	s_and_not1_b32 vcc_lo, exec_lo, s7
	s_cbranch_vccnz .LBB237_178
.LBB237_177:
	v_max_num_f32_e32 v11, v16, v17
	s_delay_alu instid0(VALU_DEP_1) | instskip(NEXT) | instid1(VALU_DEP_1)
	v_bfe_u32 v16, v11, 16, 1
	v_add3_u32 v11, v11, v16, 0x7fff
	s_delay_alu instid0(VALU_DEP_1)
	v_lshrrev_b32_e32 v11, 16, v11
.LBB237_178:
	s_or_b32 exec_lo, exec_lo, s6
	global_load_u16 v13, v13, s[2:3]
	s_mov_b32 s6, exec_lo
	s_wait_loadcnt 0x0
	v_lshlrev_b32_e32 v16, 16, v13
	s_wait_xcnt 0x0
	s_delay_alu instid0(VALU_DEP_1)
	v_cmpx_o_f32_e32 v16, v16
	s_cbranch_execz .LBB237_188
; %bb.179:
	s_load_b64 s[4:5], s[16:17], 0x158
	s_mov_b32 s7, 0
	s_wait_kmcnt 0x0
	s_cmp_lt_i32 s4, 1
	s_cbranch_scc1 .LBB237_182
; %bb.180:
	s_cmp_eq_u32 s4, 1
	s_cbranch_scc0 .LBB237_214
; %bb.181:
	v_max_num_f32_e64 v13, s5, s5
	v_max_num_f32_e32 v17, v16, v16
	s_mov_b32 s8, 0
	s_delay_alu instid0(VALU_DEP_1) | instskip(NEXT) | instid1(VALU_DEP_1)
	v_min_num_f32_e32 v13, v17, v13
	v_bfe_u32 v17, v13, 16, 1
	s_delay_alu instid0(VALU_DEP_1) | instskip(NEXT) | instid1(VALU_DEP_1)
	v_add3_u32 v13, v13, v17, 0x7fff
	v_lshrrev_b32_e32 v13, 16, v13
	s_branch .LBB237_184
.LBB237_182:
	s_mov_b32 s8, 0
                                        ; implicit-def: $vgpr13
	s_cbranch_execz .LBB237_184
; %bb.183:
	s_cmp_lg_u32 s4, 0
	s_mov_b32 s7, -1
	s_cselect_b32 s8, -1, 0
.LBB237_184:
	v_max_num_f32_e64 v17, s5, s5
	v_max_num_f32_e32 v16, v16, v16
	s_and_not1_b32 vcc_lo, exec_lo, s8
	s_cbranch_vccnz .LBB237_186
; %bb.185:
	s_load_b32 s4, s[16:17], 0x160
	s_wait_kmcnt 0x0
	v_max_num_f32_e64 v13, s4, s4
	s_delay_alu instid0(VALU_DEP_1) | instskip(NEXT) | instid1(VALU_DEP_1)
	v_maxmin_num_f32 v13, v16, v17, v13
	v_bfe_u32 v18, v13, 16, 1
	s_delay_alu instid0(VALU_DEP_1) | instskip(NEXT) | instid1(VALU_DEP_1)
	v_add3_u32 v13, v13, v18, 0x7fff
	v_lshrrev_b32_e32 v13, 16, v13
	s_cbranch_execz .LBB237_187
	s_branch .LBB237_188
.LBB237_186:
	s_and_not1_b32 vcc_lo, exec_lo, s7
	s_cbranch_vccnz .LBB237_188
.LBB237_187:
	v_max_num_f32_e32 v13, v16, v17
	s_delay_alu instid0(VALU_DEP_1) | instskip(NEXT) | instid1(VALU_DEP_1)
	v_bfe_u32 v16, v13, 16, 1
	v_add3_u32 v13, v13, v16, 0x7fff
	s_delay_alu instid0(VALU_DEP_1)
	v_lshrrev_b32_e32 v13, 16, v13
.LBB237_188:
	s_or_b32 exec_lo, exec_lo, s6
	global_load_u16 v1, v1, s[2:3]
	s_mov_b32 s6, exec_lo
	s_wait_loadcnt 0x0
	v_lshlrev_b32_e32 v16, 16, v1
	s_wait_xcnt 0x0
	s_delay_alu instid0(VALU_DEP_1)
	v_cmpx_o_f32_e32 v16, v16
	s_cbranch_execz .LBB237_198
; %bb.189:
	s_load_b64 s[4:5], s[16:17], 0x158
	s_mov_b32 s7, 0
	s_wait_kmcnt 0x0
	s_cmp_lt_i32 s4, 1
	s_cbranch_scc1 .LBB237_192
; %bb.190:
	s_cmp_eq_u32 s4, 1
	s_cbranch_scc0 .LBB237_215
; %bb.191:
	v_max_num_f32_e64 v1, s5, s5
	v_max_num_f32_e32 v17, v16, v16
	s_mov_b32 s8, 0
	s_delay_alu instid0(VALU_DEP_1) | instskip(NEXT) | instid1(VALU_DEP_1)
	v_min_num_f32_e32 v1, v17, v1
	v_bfe_u32 v17, v1, 16, 1
	s_delay_alu instid0(VALU_DEP_1) | instskip(NEXT) | instid1(VALU_DEP_1)
	v_add3_u32 v1, v1, v17, 0x7fff
	v_lshrrev_b32_e32 v1, 16, v1
	s_branch .LBB237_194
.LBB237_192:
	s_mov_b32 s8, 0
                                        ; implicit-def: $vgpr1
	s_cbranch_execz .LBB237_194
; %bb.193:
	s_cmp_lg_u32 s4, 0
	s_mov_b32 s7, -1
	s_cselect_b32 s8, -1, 0
.LBB237_194:
	v_max_num_f32_e64 v17, s5, s5
	v_max_num_f32_e32 v16, v16, v16
	s_and_not1_b32 vcc_lo, exec_lo, s8
	s_cbranch_vccnz .LBB237_196
; %bb.195:
	s_load_b32 s4, s[16:17], 0x160
	s_wait_kmcnt 0x0
	v_max_num_f32_e64 v1, s4, s4
	s_delay_alu instid0(VALU_DEP_1) | instskip(NEXT) | instid1(VALU_DEP_1)
	v_maxmin_num_f32 v1, v16, v17, v1
	v_bfe_u32 v18, v1, 16, 1
	s_delay_alu instid0(VALU_DEP_1) | instskip(NEXT) | instid1(VALU_DEP_1)
	v_add3_u32 v1, v1, v18, 0x7fff
	v_lshrrev_b32_e32 v1, 16, v1
	s_cbranch_execz .LBB237_197
	s_branch .LBB237_198
.LBB237_196:
	s_and_not1_b32 vcc_lo, exec_lo, s7
	s_cbranch_vccnz .LBB237_198
.LBB237_197:
	v_max_num_f32_e32 v1, v16, v17
	s_delay_alu instid0(VALU_DEP_1) | instskip(NEXT) | instid1(VALU_DEP_1)
	v_bfe_u32 v16, v1, 16, 1
	v_add3_u32 v1, v1, v16, 0x7fff
	s_delay_alu instid0(VALU_DEP_1)
	v_lshrrev_b32_e32 v1, 16, v1
.LBB237_198:
	s_or_b32 exec_lo, exec_lo, s6
	global_load_u16 v15, v15, s[2:3]
	s_mov_b32 s4, exec_lo
	s_wait_loadcnt 0x0
	v_lshlrev_b32_e32 v16, 16, v15
	s_wait_xcnt 0x0
	s_delay_alu instid0(VALU_DEP_1)
	v_cmpx_o_f32_e32 v16, v16
	s_cbranch_execz .LBB237_208
; %bb.199:
	s_load_b64 s[2:3], s[16:17], 0x158
	s_mov_b32 s5, 0
	s_wait_kmcnt 0x0
	s_cmp_lt_i32 s2, 1
	s_cbranch_scc1 .LBB237_202
; %bb.200:
	s_cmp_eq_u32 s2, 1
	s_cbranch_scc0 .LBB237_216
; %bb.201:
	v_max_num_f32_e64 v15, s3, s3
	v_max_num_f32_e32 v17, v16, v16
	s_mov_b32 s6, 0
	s_delay_alu instid0(VALU_DEP_1) | instskip(NEXT) | instid1(VALU_DEP_1)
	v_min_num_f32_e32 v15, v17, v15
	v_bfe_u32 v17, v15, 16, 1
	s_delay_alu instid0(VALU_DEP_1) | instskip(NEXT) | instid1(VALU_DEP_1)
	v_add3_u32 v15, v15, v17, 0x7fff
	v_lshrrev_b32_e32 v15, 16, v15
	s_branch .LBB237_204
.LBB237_202:
	s_mov_b32 s6, 0
                                        ; implicit-def: $vgpr15
	s_cbranch_execz .LBB237_204
; %bb.203:
	s_cmp_lg_u32 s2, 0
	s_mov_b32 s5, -1
	s_cselect_b32 s6, -1, 0
.LBB237_204:
	v_max_num_f32_e64 v17, s3, s3
	v_max_num_f32_e32 v16, v16, v16
	s_and_not1_b32 vcc_lo, exec_lo, s6
	s_cbranch_vccnz .LBB237_206
; %bb.205:
	s_load_b32 s2, s[16:17], 0x160
	s_wait_kmcnt 0x0
	v_max_num_f32_e64 v15, s2, s2
	s_delay_alu instid0(VALU_DEP_1) | instskip(NEXT) | instid1(VALU_DEP_1)
	v_maxmin_num_f32 v15, v16, v17, v15
	v_bfe_u32 v18, v15, 16, 1
	s_delay_alu instid0(VALU_DEP_1) | instskip(NEXT) | instid1(VALU_DEP_1)
	v_add3_u32 v15, v15, v18, 0x7fff
	v_lshrrev_b32_e32 v15, 16, v15
	s_cbranch_execz .LBB237_207
	s_branch .LBB237_208
.LBB237_206:
	s_and_not1_b32 vcc_lo, exec_lo, s5
	s_cbranch_vccnz .LBB237_208
.LBB237_207:
	v_max_num_f32_e32 v15, v16, v17
	s_delay_alu instid0(VALU_DEP_1) | instskip(NEXT) | instid1(VALU_DEP_1)
	v_bfe_u32 v16, v15, 16, 1
	v_add3_u32 v15, v15, v16, 0x7fff
	s_delay_alu instid0(VALU_DEP_1)
	v_lshrrev_b32_e32 v15, 16, v15
.LBB237_208:
	s_or_b32 exec_lo, exec_lo, s4
	s_clause 0x7
	global_store_b16 v2, v3, s[0:1]
	global_store_b16 v4, v5, s[0:1]
	;; [unrolled: 1-line block ×8, first 2 shown]
	s_endpgm
.LBB237_209:
	s_mov_b32 s8, -1
                                        ; implicit-def: $vgpr3
	s_branch .LBB237_134
.LBB237_210:
	s_mov_b32 s8, -1
                                        ; implicit-def: $vgpr5
	s_branch .LBB237_144
.LBB237_211:
	s_mov_b32 s8, -1
                                        ; implicit-def: $vgpr7
	s_branch .LBB237_154
.LBB237_212:
	s_mov_b32 s8, -1
                                        ; implicit-def: $vgpr9
	s_branch .LBB237_164
.LBB237_213:
	s_mov_b32 s8, -1
                                        ; implicit-def: $vgpr11
	s_branch .LBB237_174
.LBB237_214:
	s_mov_b32 s8, -1
                                        ; implicit-def: $vgpr13
	s_branch .LBB237_184
.LBB237_215:
	s_mov_b32 s8, -1
                                        ; implicit-def: $vgpr1
	s_branch .LBB237_194
.LBB237_216:
	s_mov_b32 s6, -1
                                        ; implicit-def: $vgpr15
	s_branch .LBB237_204
.LBB237_217:
	v_dual_mov_b32 v3, 0 :: v_dual_mov_b32 v2, 0
	s_branch .LBB237_223
.LBB237_218:
	v_dual_mov_b32 v3, 0 :: v_dual_mov_b32 v2, 0
	s_branch .LBB237_235
.LBB237_219:
	v_mov_b64_e32 v[2:3], 0
	v_mov_b32_e32 v1, v0
	s_mov_b32 s26, 0
.LBB237_220:
	s_and_b32 s18, s18, 3
	s_mov_b32 s27, 0
	s_cmp_eq_u32 s18, 0
	s_cbranch_scc1 .LBB237_223
; %bb.221:
	s_lshl_b32 s28, s26, 3
	s_mov_b32 s29, s27
	s_mul_u64 s[30:31], s[26:27], 12
	s_add_nc_u64 s[28:29], s[16:17], s[28:29]
	s_delay_alu instid0(SALU_CYCLE_1)
	s_add_nc_u64 s[26:27], s[28:29], 0xc4
	s_add_nc_u64 s[28:29], s[16:17], s[30:31]
.LBB237_222:                            ; =>This Inner Loop Header: Depth=1
	s_load_b96 s[40:42], s[28:29], 0x4
	s_load_b64 s[30:31], s[26:27], 0x0
	s_add_co_i32 s18, s18, -1
	s_wait_xcnt 0x0
	s_add_nc_u64 s[28:29], s[28:29], 12
	s_cmp_lg_u32 s18, 0
	s_add_nc_u64 s[26:27], s[26:27], 8
	s_wait_kmcnt 0x0
	v_mul_hi_u32 v4, s41, v1
	s_delay_alu instid0(VALU_DEP_1) | instskip(NEXT) | instid1(VALU_DEP_1)
	v_add_nc_u32_e32 v4, v1, v4
	v_lshrrev_b32_e32 v4, s42, v4
	s_delay_alu instid0(VALU_DEP_1) | instskip(NEXT) | instid1(VALU_DEP_1)
	v_mul_lo_u32 v5, v4, s40
	v_sub_nc_u32_e32 v1, v1, v5
	s_delay_alu instid0(VALU_DEP_1)
	v_mad_u32 v3, v1, s31, v3
	v_mad_u32 v2, v1, s30, v2
	v_mov_b32_e32 v1, v4
	s_cbranch_scc1 .LBB237_222
.LBB237_223:
	s_cbranch_execnz .LBB237_226
.LBB237_224:
	v_mov_b32_e32 v1, 0
	s_and_not1_b32 vcc_lo, exec_lo, s36
	s_delay_alu instid0(VALU_DEP_1) | instskip(NEXT) | instid1(VALU_DEP_1)
	v_mul_u64_e32 v[2:3], s[20:21], v[0:1]
	v_add_nc_u32_e32 v2, v0, v3
	s_delay_alu instid0(VALU_DEP_1) | instskip(NEXT) | instid1(VALU_DEP_1)
	v_lshrrev_b32_e32 v4, s6, v2
	v_mul_lo_u32 v2, v4, s4
	s_delay_alu instid0(VALU_DEP_1) | instskip(NEXT) | instid1(VALU_DEP_1)
	v_sub_nc_u32_e32 v2, v0, v2
	v_mul_lo_u32 v3, v2, s9
	v_mul_lo_u32 v2, v2, s8
	s_cbranch_vccnz .LBB237_226
; %bb.225:
	v_mov_b32_e32 v5, v1
	s_delay_alu instid0(VALU_DEP_1) | instskip(NEXT) | instid1(VALU_DEP_1)
	v_mul_u64_e32 v[6:7], s[22:23], v[4:5]
	v_add_nc_u32_e32 v1, v4, v7
	s_delay_alu instid0(VALU_DEP_1) | instskip(NEXT) | instid1(VALU_DEP_1)
	v_lshrrev_b32_e32 v1, s19, v1
	v_mul_lo_u32 v1, v1, s7
	s_delay_alu instid0(VALU_DEP_1) | instskip(NEXT) | instid1(VALU_DEP_1)
	v_sub_nc_u32_e32 v1, v4, v1
	v_mad_u32 v2, v1, s10, v2
	v_mad_u32 v3, v1, s11, v3
.LBB237_226:
	global_load_u16 v3, v3, s[2:3]
	s_mov_b32 s18, exec_lo
	s_wait_loadcnt 0x0
	v_lshlrev_b32_e32 v1, 16, v3
	s_delay_alu instid0(VALU_DEP_1)
	v_cmpx_o_f32_e32 v1, v1
	s_cbranch_execz .LBB237_250
; %bb.227:
	s_cmp_lt_i32 s12, 1
	s_mov_b32 s26, 0
	s_cbranch_scc1 .LBB237_230
; %bb.228:
	s_cmp_eq_u32 s12, 1
	s_cbranch_scc0 .LBB237_243
; %bb.229:
	v_max_num_f32_e64 v3, s13, s13
	v_max_num_f32_e32 v4, v1, v1
	s_mov_b32 s27, 0
	s_delay_alu instid0(VALU_DEP_1) | instskip(NEXT) | instid1(VALU_DEP_1)
	v_min_num_f32_e32 v3, v4, v3
	v_bfe_u32 v4, v3, 16, 1
	s_delay_alu instid0(VALU_DEP_1) | instskip(NEXT) | instid1(VALU_DEP_1)
	v_add3_u32 v3, v3, v4, 0x7fff
	v_lshrrev_b32_e32 v3, 16, v3
	s_branch .LBB237_244
.LBB237_230:
	s_mov_b32 s27, 0
                                        ; implicit-def: $vgpr3
	s_cbranch_execnz .LBB237_245
	s_branch .LBB237_246
.LBB237_231:
	v_mov_b64_e32 v[2:3], 0
	v_mov_b32_e32 v1, v0
	s_mov_b32 s26, 0
.LBB237_232:
	s_and_b32 s18, s18, 3
	s_mov_b32 s27, 0
	s_cmp_eq_u32 s18, 0
	s_cbranch_scc1 .LBB237_235
; %bb.233:
	s_lshl_b32 s28, s26, 3
	s_mov_b32 s29, s27
	s_mul_u64 s[30:31], s[26:27], 12
	s_add_nc_u64 s[28:29], s[16:17], s[28:29]
	s_delay_alu instid0(SALU_CYCLE_1)
	s_add_nc_u64 s[26:27], s[28:29], 0xc4
	s_add_nc_u64 s[28:29], s[16:17], s[30:31]
.LBB237_234:                            ; =>This Inner Loop Header: Depth=1
	s_load_b96 s[40:42], s[28:29], 0x4
	s_load_b64 s[30:31], s[26:27], 0x0
	s_add_co_i32 s18, s18, -1
	s_wait_xcnt 0x0
	s_add_nc_u64 s[28:29], s[28:29], 12
	s_cmp_lg_u32 s18, 0
	s_add_nc_u64 s[26:27], s[26:27], 8
	s_wait_kmcnt 0x0
	v_mul_hi_u32 v4, s41, v1
	s_delay_alu instid0(VALU_DEP_1) | instskip(NEXT) | instid1(VALU_DEP_1)
	v_add_nc_u32_e32 v4, v1, v4
	v_lshrrev_b32_e32 v4, s42, v4
	s_delay_alu instid0(VALU_DEP_1) | instskip(NEXT) | instid1(VALU_DEP_1)
	v_mul_lo_u32 v5, v4, s40
	v_sub_nc_u32_e32 v1, v1, v5
	s_delay_alu instid0(VALU_DEP_1)
	v_mad_u32 v3, v1, s31, v3
	v_mad_u32 v2, v1, s30, v2
	v_mov_b32_e32 v1, v4
	s_cbranch_scc1 .LBB237_234
.LBB237_235:
	s_cbranch_execnz .LBB237_238
.LBB237_236:
	v_mov_b32_e32 v1, 0
	s_and_not1_b32 vcc_lo, exec_lo, s36
	s_delay_alu instid0(VALU_DEP_1) | instskip(NEXT) | instid1(VALU_DEP_1)
	v_mul_u64_e32 v[2:3], s[20:21], v[0:1]
	v_add_nc_u32_e32 v2, v0, v3
	s_delay_alu instid0(VALU_DEP_1) | instskip(NEXT) | instid1(VALU_DEP_1)
	v_lshrrev_b32_e32 v4, s6, v2
	v_mul_lo_u32 v2, v4, s4
	s_delay_alu instid0(VALU_DEP_1) | instskip(NEXT) | instid1(VALU_DEP_1)
	v_sub_nc_u32_e32 v2, v0, v2
	v_mul_lo_u32 v3, v2, s9
	v_mul_lo_u32 v2, v2, s8
	s_cbranch_vccnz .LBB237_238
; %bb.237:
	v_mov_b32_e32 v5, v1
	s_delay_alu instid0(VALU_DEP_1) | instskip(NEXT) | instid1(VALU_DEP_1)
	v_mul_u64_e32 v[6:7], s[22:23], v[4:5]
	v_add_nc_u32_e32 v1, v4, v7
	s_delay_alu instid0(VALU_DEP_1) | instskip(NEXT) | instid1(VALU_DEP_1)
	v_lshrrev_b32_e32 v1, s19, v1
	v_mul_lo_u32 v1, v1, s7
	s_delay_alu instid0(VALU_DEP_1) | instskip(NEXT) | instid1(VALU_DEP_1)
	v_sub_nc_u32_e32 v1, v4, v1
	v_mad_u32 v2, v1, s10, v2
	v_mad_u32 v3, v1, s11, v3
.LBB237_238:
	global_load_u16 v3, v3, s[2:3]
	s_mov_b32 s18, exec_lo
	s_wait_loadcnt 0x0
	v_lshlrev_b32_e32 v1, 16, v3
	s_wait_xcnt 0x0
	s_delay_alu instid0(VALU_DEP_1)
	v_cmpx_o_f32_e32 v1, v1
	s_cbranch_execz .LBB237_278
; %bb.239:
	s_cmp_lt_i32 s12, 1
	s_mov_b32 s26, 0
	s_cbranch_scc1 .LBB237_242
; %bb.240:
	s_cmp_eq_u32 s12, 1
	s_cbranch_scc0 .LBB237_271
; %bb.241:
	v_max_num_f32_e64 v3, s13, s13
	v_max_num_f32_e32 v4, v1, v1
	s_mov_b32 s27, 0
	s_delay_alu instid0(VALU_DEP_1) | instskip(NEXT) | instid1(VALU_DEP_1)
	v_min_num_f32_e32 v3, v4, v3
	v_bfe_u32 v4, v3, 16, 1
	s_delay_alu instid0(VALU_DEP_1) | instskip(NEXT) | instid1(VALU_DEP_1)
	v_add3_u32 v3, v3, v4, 0x7fff
	v_lshrrev_b32_e32 v3, 16, v3
	s_branch .LBB237_272
.LBB237_242:
	s_mov_b32 s27, 0
                                        ; implicit-def: $vgpr3
	s_cbranch_execnz .LBB237_273
	s_branch .LBB237_274
.LBB237_243:
	s_mov_b32 s27, -1
                                        ; implicit-def: $vgpr3
.LBB237_244:
	s_branch .LBB237_246
.LBB237_245:
	s_cmp_lg_u32 s12, 0
	s_mov_b32 s26, -1
	s_cselect_b32 s27, -1, 0
.LBB237_246:
	s_delay_alu instid0(SALU_CYCLE_1)
	s_and_not1_b32 vcc_lo, exec_lo, s27
	s_cbranch_vccnz .LBB237_248
; %bb.247:
	v_max_num_f32_e64 v3, s13, s13
	v_max_num_f32_e32 v4, v1, v1
	v_max_num_f32_e64 v5, s14, s14
	s_delay_alu instid0(VALU_DEP_1) | instskip(NEXT) | instid1(VALU_DEP_1)
	v_maxmin_num_f32 v3, v4, v3, v5
	v_bfe_u32 v4, v3, 16, 1
	s_delay_alu instid0(VALU_DEP_1) | instskip(NEXT) | instid1(VALU_DEP_1)
	v_add3_u32 v3, v3, v4, 0x7fff
	v_lshrrev_b32_e32 v3, 16, v3
	s_cbranch_execz .LBB237_249
	s_branch .LBB237_250
.LBB237_248:
	s_and_not1_b32 vcc_lo, exec_lo, s26
	s_cbranch_vccnz .LBB237_250
.LBB237_249:
	v_max_num_f32_e64 v3, s13, s13
	v_max_num_f32_e32 v1, v1, v1
	s_delay_alu instid0(VALU_DEP_1) | instskip(NEXT) | instid1(VALU_DEP_1)
	v_max_num_f32_e32 v1, v1, v3
	v_bfe_u32 v3, v1, 16, 1
	s_delay_alu instid0(VALU_DEP_1) | instskip(NEXT) | instid1(VALU_DEP_1)
	v_add3_u32 v1, v1, v3, 0x7fff
	v_lshrrev_b32_e32 v3, 16, v1
.LBB237_250:
	s_or_b32 exec_lo, exec_lo, s18
	v_add_nc_u32_e32 v0, 0x80, v0
	global_store_b16 v2, v3, s[0:1]
	s_wait_xcnt 0x0
	s_or_b32 exec_lo, exec_lo, s5
	s_delay_alu instid0(SALU_CYCLE_1)
	s_mov_b32 s5, exec_lo
	v_cmpx_gt_i32_e64 s37, v0
	s_cbranch_execnz .LBB237_15
.LBB237_251:
	s_or_b32 exec_lo, exec_lo, s5
	s_delay_alu instid0(SALU_CYCLE_1)
	s_mov_b32 s5, exec_lo
	v_cmpx_gt_i32_e64 s37, v0
	s_cbranch_execz .LBB237_279
.LBB237_252:
	s_and_not1_b32 vcc_lo, exec_lo, s34
	s_cbranch_vccnz .LBB237_257
; %bb.253:
	s_and_not1_b32 vcc_lo, exec_lo, s39
	s_cbranch_vccnz .LBB237_258
; %bb.254:
	s_add_co_i32 s18, s38, 1
	s_cmp_eq_u32 s33, 2
	s_cbranch_scc1 .LBB237_259
; %bb.255:
	v_dual_mov_b32 v2, 0 :: v_dual_mov_b32 v3, 0
	v_mov_b32_e32 v1, v0
	s_and_b32 s26, s18, 28
	s_mov_b32 s27, 0
	s_mov_b64 s[28:29], s[16:17]
	s_mov_b64 s[30:31], s[24:25]
.LBB237_256:                            ; =>This Inner Loop Header: Depth=1
	s_clause 0x1
	s_load_b256 s[40:47], s[28:29], 0x4
	s_load_b128 s[56:59], s[28:29], 0x24
	s_load_b256 s[48:55], s[30:31], 0x0
	s_add_co_i32 s27, s27, 4
	s_wait_xcnt 0x0
	s_add_nc_u64 s[28:29], s[28:29], 48
	s_cmp_eq_u32 s26, s27
	s_add_nc_u64 s[30:31], s[30:31], 32
	s_wait_kmcnt 0x0
	v_mul_hi_u32 v4, s41, v1
	s_delay_alu instid0(VALU_DEP_1) | instskip(NEXT) | instid1(VALU_DEP_1)
	v_add_nc_u32_e32 v4, v1, v4
	v_lshrrev_b32_e32 v4, s42, v4
	s_delay_alu instid0(VALU_DEP_1) | instskip(NEXT) | instid1(VALU_DEP_1)
	v_mul_hi_u32 v5, s44, v4
	v_add_nc_u32_e32 v5, v4, v5
	s_delay_alu instid0(VALU_DEP_1) | instskip(NEXT) | instid1(VALU_DEP_1)
	v_lshrrev_b32_e32 v5, s45, v5
	v_mul_hi_u32 v6, s47, v5
	s_delay_alu instid0(VALU_DEP_1) | instskip(SKIP_1) | instid1(VALU_DEP_1)
	v_add_nc_u32_e32 v6, v5, v6
	v_mul_lo_u32 v7, v4, s40
	v_sub_nc_u32_e32 v1, v1, v7
	v_mul_lo_u32 v7, v5, s43
	s_delay_alu instid0(VALU_DEP_4) | instskip(NEXT) | instid1(VALU_DEP_3)
	v_lshrrev_b32_e32 v6, s56, v6
	v_mad_u32 v3, v1, s49, v3
	v_mad_u32 v1, v1, s48, v2
	s_delay_alu instid0(VALU_DEP_4) | instskip(NEXT) | instid1(VALU_DEP_4)
	v_sub_nc_u32_e32 v2, v4, v7
	v_mul_hi_u32 v8, s58, v6
	v_mul_lo_u32 v4, v6, s46
	s_delay_alu instid0(VALU_DEP_3) | instskip(SKIP_1) | instid1(VALU_DEP_4)
	v_mad_u32 v3, v2, s51, v3
	v_mad_u32 v2, v2, s50, v1
	v_add_nc_u32_e32 v7, v6, v8
	s_delay_alu instid0(VALU_DEP_1) | instskip(NEXT) | instid1(VALU_DEP_1)
	v_dual_sub_nc_u32 v4, v5, v4 :: v_dual_lshrrev_b32 v1, s59, v7
	v_mad_u32 v3, v4, s53, v3
	s_delay_alu instid0(VALU_DEP_4) | instskip(NEXT) | instid1(VALU_DEP_3)
	v_mad_u32 v2, v4, s52, v2
	v_mul_lo_u32 v5, v1, s57
	s_delay_alu instid0(VALU_DEP_1) | instskip(NEXT) | instid1(VALU_DEP_1)
	v_sub_nc_u32_e32 v4, v6, v5
	v_mad_u32 v3, v4, s55, v3
	s_delay_alu instid0(VALU_DEP_4)
	v_mad_u32 v2, v4, s54, v2
	s_cbranch_scc0 .LBB237_256
	s_branch .LBB237_260
.LBB237_257:
                                        ; implicit-def: $vgpr3
	s_branch .LBB237_264
.LBB237_258:
	v_dual_mov_b32 v3, 0 :: v_dual_mov_b32 v2, 0
	s_branch .LBB237_263
.LBB237_259:
	v_mov_b64_e32 v[2:3], 0
	v_mov_b32_e32 v1, v0
	s_mov_b32 s26, 0
.LBB237_260:
	s_and_b32 s18, s18, 3
	s_mov_b32 s27, 0
	s_cmp_eq_u32 s18, 0
	s_cbranch_scc1 .LBB237_263
; %bb.261:
	s_lshl_b32 s28, s26, 3
	s_mov_b32 s29, s27
	s_mul_u64 s[30:31], s[26:27], 12
	s_add_nc_u64 s[28:29], s[16:17], s[28:29]
	s_delay_alu instid0(SALU_CYCLE_1)
	s_add_nc_u64 s[26:27], s[28:29], 0xc4
	s_add_nc_u64 s[28:29], s[16:17], s[30:31]
.LBB237_262:                            ; =>This Inner Loop Header: Depth=1
	s_load_b96 s[40:42], s[28:29], 0x4
	s_load_b64 s[30:31], s[26:27], 0x0
	s_add_co_i32 s18, s18, -1
	s_wait_xcnt 0x0
	s_add_nc_u64 s[28:29], s[28:29], 12
	s_cmp_lg_u32 s18, 0
	s_add_nc_u64 s[26:27], s[26:27], 8
	s_wait_kmcnt 0x0
	v_mul_hi_u32 v4, s41, v1
	s_delay_alu instid0(VALU_DEP_1) | instskip(NEXT) | instid1(VALU_DEP_1)
	v_add_nc_u32_e32 v4, v1, v4
	v_lshrrev_b32_e32 v4, s42, v4
	s_delay_alu instid0(VALU_DEP_1) | instskip(NEXT) | instid1(VALU_DEP_1)
	v_mul_lo_u32 v5, v4, s40
	v_sub_nc_u32_e32 v1, v1, v5
	s_delay_alu instid0(VALU_DEP_1)
	v_mad_u32 v3, v1, s31, v3
	v_mad_u32 v2, v1, s30, v2
	v_mov_b32_e32 v1, v4
	s_cbranch_scc1 .LBB237_262
.LBB237_263:
	s_cbranch_execnz .LBB237_266
.LBB237_264:
	v_mov_b32_e32 v1, 0
	s_and_not1_b32 vcc_lo, exec_lo, s36
	s_delay_alu instid0(VALU_DEP_1) | instskip(NEXT) | instid1(VALU_DEP_1)
	v_mul_u64_e32 v[2:3], s[20:21], v[0:1]
	v_add_nc_u32_e32 v2, v0, v3
	s_delay_alu instid0(VALU_DEP_1) | instskip(NEXT) | instid1(VALU_DEP_1)
	v_lshrrev_b32_e32 v4, s6, v2
	v_mul_lo_u32 v2, v4, s4
	s_delay_alu instid0(VALU_DEP_1) | instskip(NEXT) | instid1(VALU_DEP_1)
	v_sub_nc_u32_e32 v2, v0, v2
	v_mul_lo_u32 v3, v2, s9
	v_mul_lo_u32 v2, v2, s8
	s_cbranch_vccnz .LBB237_266
; %bb.265:
	v_mov_b32_e32 v5, v1
	s_delay_alu instid0(VALU_DEP_1) | instskip(NEXT) | instid1(VALU_DEP_1)
	v_mul_u64_e32 v[6:7], s[22:23], v[4:5]
	v_add_nc_u32_e32 v1, v4, v7
	s_delay_alu instid0(VALU_DEP_1) | instskip(NEXT) | instid1(VALU_DEP_1)
	v_lshrrev_b32_e32 v1, s19, v1
	v_mul_lo_u32 v1, v1, s7
	s_delay_alu instid0(VALU_DEP_1) | instskip(NEXT) | instid1(VALU_DEP_1)
	v_sub_nc_u32_e32 v1, v4, v1
	v_mad_u32 v2, v1, s10, v2
	v_mad_u32 v3, v1, s11, v3
.LBB237_266:
	global_load_u16 v3, v3, s[2:3]
	s_mov_b32 s18, exec_lo
	s_wait_loadcnt 0x0
	v_lshlrev_b32_e32 v1, 16, v3
	s_wait_xcnt 0x0
	s_delay_alu instid0(VALU_DEP_1)
	v_cmpx_o_f32_e32 v1, v1
	s_cbranch_execz .LBB237_306
; %bb.267:
	s_cmp_lt_i32 s12, 1
	s_mov_b32 s26, 0
	s_cbranch_scc1 .LBB237_270
; %bb.268:
	s_cmp_eq_u32 s12, 1
	s_cbranch_scc0 .LBB237_299
; %bb.269:
	v_max_num_f32_e64 v3, s13, s13
	v_max_num_f32_e32 v4, v1, v1
	s_mov_b32 s27, 0
	s_delay_alu instid0(VALU_DEP_1) | instskip(NEXT) | instid1(VALU_DEP_1)
	v_min_num_f32_e32 v3, v4, v3
	v_bfe_u32 v4, v3, 16, 1
	s_delay_alu instid0(VALU_DEP_1) | instskip(NEXT) | instid1(VALU_DEP_1)
	v_add3_u32 v3, v3, v4, 0x7fff
	v_lshrrev_b32_e32 v3, 16, v3
	s_branch .LBB237_300
.LBB237_270:
	s_mov_b32 s27, 0
                                        ; implicit-def: $vgpr3
	s_cbranch_execnz .LBB237_301
	s_branch .LBB237_302
.LBB237_271:
	s_mov_b32 s27, -1
                                        ; implicit-def: $vgpr3
.LBB237_272:
	s_branch .LBB237_274
.LBB237_273:
	s_cmp_lg_u32 s12, 0
	s_mov_b32 s26, -1
	s_cselect_b32 s27, -1, 0
.LBB237_274:
	s_delay_alu instid0(SALU_CYCLE_1)
	s_and_not1_b32 vcc_lo, exec_lo, s27
	s_cbranch_vccnz .LBB237_276
; %bb.275:
	v_max_num_f32_e64 v3, s13, s13
	v_max_num_f32_e32 v4, v1, v1
	v_max_num_f32_e64 v5, s14, s14
	s_delay_alu instid0(VALU_DEP_1) | instskip(NEXT) | instid1(VALU_DEP_1)
	v_maxmin_num_f32 v3, v4, v3, v5
	v_bfe_u32 v4, v3, 16, 1
	s_delay_alu instid0(VALU_DEP_1) | instskip(NEXT) | instid1(VALU_DEP_1)
	v_add3_u32 v3, v3, v4, 0x7fff
	v_lshrrev_b32_e32 v3, 16, v3
	s_cbranch_execz .LBB237_277
	s_branch .LBB237_278
.LBB237_276:
	s_and_not1_b32 vcc_lo, exec_lo, s26
	s_cbranch_vccnz .LBB237_278
.LBB237_277:
	v_max_num_f32_e64 v3, s13, s13
	v_max_num_f32_e32 v1, v1, v1
	s_delay_alu instid0(VALU_DEP_1) | instskip(NEXT) | instid1(VALU_DEP_1)
	v_max_num_f32_e32 v1, v1, v3
	v_bfe_u32 v3, v1, 16, 1
	s_delay_alu instid0(VALU_DEP_1) | instskip(NEXT) | instid1(VALU_DEP_1)
	v_add3_u32 v1, v1, v3, 0x7fff
	v_lshrrev_b32_e32 v3, 16, v1
.LBB237_278:
	s_or_b32 exec_lo, exec_lo, s18
	v_add_nc_u32_e32 v0, 0x80, v0
	global_store_b16 v2, v3, s[0:1]
	s_wait_xcnt 0x0
	s_or_b32 exec_lo, exec_lo, s5
	s_delay_alu instid0(SALU_CYCLE_1)
	s_mov_b32 s5, exec_lo
	v_cmpx_gt_i32_e64 s37, v0
	s_cbranch_execnz .LBB237_252
.LBB237_279:
	s_or_b32 exec_lo, exec_lo, s5
	s_delay_alu instid0(SALU_CYCLE_1)
	s_mov_b32 s5, exec_lo
	v_cmpx_gt_i32_e64 s37, v0
	s_cbranch_execz .LBB237_307
.LBB237_280:
	s_and_not1_b32 vcc_lo, exec_lo, s34
	s_cbranch_vccnz .LBB237_285
; %bb.281:
	s_and_not1_b32 vcc_lo, exec_lo, s39
	s_cbranch_vccnz .LBB237_286
; %bb.282:
	s_add_co_i32 s18, s38, 1
	s_cmp_eq_u32 s33, 2
	s_cbranch_scc1 .LBB237_287
; %bb.283:
	v_dual_mov_b32 v2, 0 :: v_dual_mov_b32 v3, 0
	v_mov_b32_e32 v1, v0
	s_and_b32 s26, s18, 28
	s_mov_b32 s27, 0
	s_mov_b64 s[28:29], s[16:17]
	s_mov_b64 s[30:31], s[24:25]
.LBB237_284:                            ; =>This Inner Loop Header: Depth=1
	s_clause 0x1
	s_load_b256 s[40:47], s[28:29], 0x4
	s_load_b128 s[56:59], s[28:29], 0x24
	s_load_b256 s[48:55], s[30:31], 0x0
	s_add_co_i32 s27, s27, 4
	s_wait_xcnt 0x0
	s_add_nc_u64 s[28:29], s[28:29], 48
	s_cmp_eq_u32 s26, s27
	s_add_nc_u64 s[30:31], s[30:31], 32
	s_wait_kmcnt 0x0
	v_mul_hi_u32 v4, s41, v1
	s_delay_alu instid0(VALU_DEP_1) | instskip(NEXT) | instid1(VALU_DEP_1)
	v_add_nc_u32_e32 v4, v1, v4
	v_lshrrev_b32_e32 v4, s42, v4
	s_delay_alu instid0(VALU_DEP_1) | instskip(NEXT) | instid1(VALU_DEP_1)
	v_mul_hi_u32 v5, s44, v4
	v_add_nc_u32_e32 v5, v4, v5
	s_delay_alu instid0(VALU_DEP_1) | instskip(NEXT) | instid1(VALU_DEP_1)
	v_lshrrev_b32_e32 v5, s45, v5
	v_mul_hi_u32 v6, s47, v5
	s_delay_alu instid0(VALU_DEP_1) | instskip(SKIP_1) | instid1(VALU_DEP_1)
	v_add_nc_u32_e32 v6, v5, v6
	v_mul_lo_u32 v7, v4, s40
	v_sub_nc_u32_e32 v1, v1, v7
	v_mul_lo_u32 v7, v5, s43
	s_delay_alu instid0(VALU_DEP_4) | instskip(NEXT) | instid1(VALU_DEP_3)
	v_lshrrev_b32_e32 v6, s56, v6
	v_mad_u32 v3, v1, s49, v3
	v_mad_u32 v1, v1, s48, v2
	s_delay_alu instid0(VALU_DEP_4) | instskip(NEXT) | instid1(VALU_DEP_4)
	v_sub_nc_u32_e32 v2, v4, v7
	v_mul_hi_u32 v8, s58, v6
	v_mul_lo_u32 v4, v6, s46
	s_delay_alu instid0(VALU_DEP_3) | instskip(SKIP_1) | instid1(VALU_DEP_4)
	v_mad_u32 v3, v2, s51, v3
	v_mad_u32 v2, v2, s50, v1
	v_add_nc_u32_e32 v7, v6, v8
	s_delay_alu instid0(VALU_DEP_1) | instskip(NEXT) | instid1(VALU_DEP_1)
	v_dual_sub_nc_u32 v4, v5, v4 :: v_dual_lshrrev_b32 v1, s59, v7
	v_mad_u32 v3, v4, s53, v3
	s_delay_alu instid0(VALU_DEP_4) | instskip(NEXT) | instid1(VALU_DEP_3)
	v_mad_u32 v2, v4, s52, v2
	v_mul_lo_u32 v5, v1, s57
	s_delay_alu instid0(VALU_DEP_1) | instskip(NEXT) | instid1(VALU_DEP_1)
	v_sub_nc_u32_e32 v4, v6, v5
	v_mad_u32 v3, v4, s55, v3
	s_delay_alu instid0(VALU_DEP_4)
	v_mad_u32 v2, v4, s54, v2
	s_cbranch_scc0 .LBB237_284
	s_branch .LBB237_288
.LBB237_285:
                                        ; implicit-def: $vgpr3
	s_branch .LBB237_292
.LBB237_286:
	v_dual_mov_b32 v3, 0 :: v_dual_mov_b32 v2, 0
	s_branch .LBB237_291
.LBB237_287:
	v_mov_b64_e32 v[2:3], 0
	v_mov_b32_e32 v1, v0
	s_mov_b32 s26, 0
.LBB237_288:
	s_and_b32 s18, s18, 3
	s_mov_b32 s27, 0
	s_cmp_eq_u32 s18, 0
	s_cbranch_scc1 .LBB237_291
; %bb.289:
	s_lshl_b32 s28, s26, 3
	s_mov_b32 s29, s27
	s_mul_u64 s[30:31], s[26:27], 12
	s_add_nc_u64 s[28:29], s[16:17], s[28:29]
	s_delay_alu instid0(SALU_CYCLE_1)
	s_add_nc_u64 s[26:27], s[28:29], 0xc4
	s_add_nc_u64 s[28:29], s[16:17], s[30:31]
.LBB237_290:                            ; =>This Inner Loop Header: Depth=1
	s_load_b96 s[40:42], s[28:29], 0x4
	s_load_b64 s[30:31], s[26:27], 0x0
	s_add_co_i32 s18, s18, -1
	s_wait_xcnt 0x0
	s_add_nc_u64 s[28:29], s[28:29], 12
	s_cmp_lg_u32 s18, 0
	s_add_nc_u64 s[26:27], s[26:27], 8
	s_wait_kmcnt 0x0
	v_mul_hi_u32 v4, s41, v1
	s_delay_alu instid0(VALU_DEP_1) | instskip(NEXT) | instid1(VALU_DEP_1)
	v_add_nc_u32_e32 v4, v1, v4
	v_lshrrev_b32_e32 v4, s42, v4
	s_delay_alu instid0(VALU_DEP_1) | instskip(NEXT) | instid1(VALU_DEP_1)
	v_mul_lo_u32 v5, v4, s40
	v_sub_nc_u32_e32 v1, v1, v5
	s_delay_alu instid0(VALU_DEP_1)
	v_mad_u32 v3, v1, s31, v3
	v_mad_u32 v2, v1, s30, v2
	v_mov_b32_e32 v1, v4
	s_cbranch_scc1 .LBB237_290
.LBB237_291:
	s_cbranch_execnz .LBB237_294
.LBB237_292:
	v_mov_b32_e32 v1, 0
	s_and_not1_b32 vcc_lo, exec_lo, s36
	s_delay_alu instid0(VALU_DEP_1) | instskip(NEXT) | instid1(VALU_DEP_1)
	v_mul_u64_e32 v[2:3], s[20:21], v[0:1]
	v_add_nc_u32_e32 v2, v0, v3
	s_delay_alu instid0(VALU_DEP_1) | instskip(NEXT) | instid1(VALU_DEP_1)
	v_lshrrev_b32_e32 v4, s6, v2
	v_mul_lo_u32 v2, v4, s4
	s_delay_alu instid0(VALU_DEP_1) | instskip(NEXT) | instid1(VALU_DEP_1)
	v_sub_nc_u32_e32 v2, v0, v2
	v_mul_lo_u32 v3, v2, s9
	v_mul_lo_u32 v2, v2, s8
	s_cbranch_vccnz .LBB237_294
; %bb.293:
	v_mov_b32_e32 v5, v1
	s_delay_alu instid0(VALU_DEP_1) | instskip(NEXT) | instid1(VALU_DEP_1)
	v_mul_u64_e32 v[6:7], s[22:23], v[4:5]
	v_add_nc_u32_e32 v1, v4, v7
	s_delay_alu instid0(VALU_DEP_1) | instskip(NEXT) | instid1(VALU_DEP_1)
	v_lshrrev_b32_e32 v1, s19, v1
	v_mul_lo_u32 v1, v1, s7
	s_delay_alu instid0(VALU_DEP_1) | instskip(NEXT) | instid1(VALU_DEP_1)
	v_sub_nc_u32_e32 v1, v4, v1
	v_mad_u32 v2, v1, s10, v2
	v_mad_u32 v3, v1, s11, v3
.LBB237_294:
	global_load_u16 v3, v3, s[2:3]
	s_mov_b32 s18, exec_lo
	s_wait_loadcnt 0x0
	v_lshlrev_b32_e32 v1, 16, v3
	s_wait_xcnt 0x0
	s_delay_alu instid0(VALU_DEP_1)
	v_cmpx_o_f32_e32 v1, v1
	s_cbranch_execz .LBB237_334
; %bb.295:
	s_cmp_lt_i32 s12, 1
	s_mov_b32 s26, 0
	s_cbranch_scc1 .LBB237_298
; %bb.296:
	s_cmp_eq_u32 s12, 1
	s_cbranch_scc0 .LBB237_327
; %bb.297:
	v_max_num_f32_e64 v3, s13, s13
	v_max_num_f32_e32 v4, v1, v1
	s_mov_b32 s27, 0
	s_delay_alu instid0(VALU_DEP_1) | instskip(NEXT) | instid1(VALU_DEP_1)
	v_min_num_f32_e32 v3, v4, v3
	v_bfe_u32 v4, v3, 16, 1
	s_delay_alu instid0(VALU_DEP_1) | instskip(NEXT) | instid1(VALU_DEP_1)
	v_add3_u32 v3, v3, v4, 0x7fff
	v_lshrrev_b32_e32 v3, 16, v3
	s_branch .LBB237_328
.LBB237_298:
	s_mov_b32 s27, 0
                                        ; implicit-def: $vgpr3
	s_cbranch_execnz .LBB237_329
	s_branch .LBB237_330
.LBB237_299:
	s_mov_b32 s27, -1
                                        ; implicit-def: $vgpr3
.LBB237_300:
	s_branch .LBB237_302
.LBB237_301:
	s_cmp_lg_u32 s12, 0
	s_mov_b32 s26, -1
	s_cselect_b32 s27, -1, 0
.LBB237_302:
	s_delay_alu instid0(SALU_CYCLE_1)
	s_and_not1_b32 vcc_lo, exec_lo, s27
	s_cbranch_vccnz .LBB237_304
; %bb.303:
	v_max_num_f32_e64 v3, s13, s13
	v_max_num_f32_e32 v4, v1, v1
	v_max_num_f32_e64 v5, s14, s14
	s_delay_alu instid0(VALU_DEP_1) | instskip(NEXT) | instid1(VALU_DEP_1)
	v_maxmin_num_f32 v3, v4, v3, v5
	v_bfe_u32 v4, v3, 16, 1
	s_delay_alu instid0(VALU_DEP_1) | instskip(NEXT) | instid1(VALU_DEP_1)
	v_add3_u32 v3, v3, v4, 0x7fff
	v_lshrrev_b32_e32 v3, 16, v3
	s_cbranch_execz .LBB237_305
	s_branch .LBB237_306
.LBB237_304:
	s_and_not1_b32 vcc_lo, exec_lo, s26
	s_cbranch_vccnz .LBB237_306
.LBB237_305:
	v_max_num_f32_e64 v3, s13, s13
	v_max_num_f32_e32 v1, v1, v1
	s_delay_alu instid0(VALU_DEP_1) | instskip(NEXT) | instid1(VALU_DEP_1)
	v_max_num_f32_e32 v1, v1, v3
	v_bfe_u32 v3, v1, 16, 1
	s_delay_alu instid0(VALU_DEP_1) | instskip(NEXT) | instid1(VALU_DEP_1)
	v_add3_u32 v1, v1, v3, 0x7fff
	v_lshrrev_b32_e32 v3, 16, v1
.LBB237_306:
	s_or_b32 exec_lo, exec_lo, s18
	v_add_nc_u32_e32 v0, 0x80, v0
	global_store_b16 v2, v3, s[0:1]
	s_wait_xcnt 0x0
	s_or_b32 exec_lo, exec_lo, s5
	s_delay_alu instid0(SALU_CYCLE_1)
	s_mov_b32 s5, exec_lo
	v_cmpx_gt_i32_e64 s37, v0
	s_cbranch_execnz .LBB237_280
.LBB237_307:
	s_or_b32 exec_lo, exec_lo, s5
	s_delay_alu instid0(SALU_CYCLE_1)
	s_mov_b32 s5, exec_lo
	v_cmpx_gt_i32_e64 s37, v0
	s_cbranch_execz .LBB237_335
.LBB237_308:
	s_and_not1_b32 vcc_lo, exec_lo, s34
	s_cbranch_vccnz .LBB237_313
; %bb.309:
	s_and_not1_b32 vcc_lo, exec_lo, s39
	s_cbranch_vccnz .LBB237_314
; %bb.310:
	s_add_co_i32 s18, s38, 1
	s_cmp_eq_u32 s33, 2
	s_cbranch_scc1 .LBB237_315
; %bb.311:
	v_dual_mov_b32 v2, 0 :: v_dual_mov_b32 v3, 0
	v_mov_b32_e32 v1, v0
	s_and_b32 s26, s18, 28
	s_mov_b32 s27, 0
	s_mov_b64 s[28:29], s[16:17]
	s_mov_b64 s[30:31], s[24:25]
.LBB237_312:                            ; =>This Inner Loop Header: Depth=1
	s_clause 0x1
	s_load_b256 s[40:47], s[28:29], 0x4
	s_load_b128 s[56:59], s[28:29], 0x24
	s_load_b256 s[48:55], s[30:31], 0x0
	s_add_co_i32 s27, s27, 4
	s_wait_xcnt 0x0
	s_add_nc_u64 s[28:29], s[28:29], 48
	s_cmp_eq_u32 s26, s27
	s_add_nc_u64 s[30:31], s[30:31], 32
	s_wait_kmcnt 0x0
	v_mul_hi_u32 v4, s41, v1
	s_delay_alu instid0(VALU_DEP_1) | instskip(NEXT) | instid1(VALU_DEP_1)
	v_add_nc_u32_e32 v4, v1, v4
	v_lshrrev_b32_e32 v4, s42, v4
	s_delay_alu instid0(VALU_DEP_1) | instskip(NEXT) | instid1(VALU_DEP_1)
	v_mul_hi_u32 v5, s44, v4
	v_add_nc_u32_e32 v5, v4, v5
	s_delay_alu instid0(VALU_DEP_1) | instskip(NEXT) | instid1(VALU_DEP_1)
	v_lshrrev_b32_e32 v5, s45, v5
	v_mul_hi_u32 v6, s47, v5
	s_delay_alu instid0(VALU_DEP_1) | instskip(SKIP_1) | instid1(VALU_DEP_1)
	v_add_nc_u32_e32 v6, v5, v6
	v_mul_lo_u32 v7, v4, s40
	v_sub_nc_u32_e32 v1, v1, v7
	v_mul_lo_u32 v7, v5, s43
	s_delay_alu instid0(VALU_DEP_4) | instskip(NEXT) | instid1(VALU_DEP_3)
	v_lshrrev_b32_e32 v6, s56, v6
	v_mad_u32 v3, v1, s49, v3
	v_mad_u32 v1, v1, s48, v2
	s_delay_alu instid0(VALU_DEP_4) | instskip(NEXT) | instid1(VALU_DEP_4)
	v_sub_nc_u32_e32 v2, v4, v7
	v_mul_hi_u32 v8, s58, v6
	v_mul_lo_u32 v4, v6, s46
	s_delay_alu instid0(VALU_DEP_3) | instskip(SKIP_1) | instid1(VALU_DEP_4)
	v_mad_u32 v3, v2, s51, v3
	v_mad_u32 v2, v2, s50, v1
	v_add_nc_u32_e32 v7, v6, v8
	s_delay_alu instid0(VALU_DEP_1) | instskip(NEXT) | instid1(VALU_DEP_1)
	v_dual_sub_nc_u32 v4, v5, v4 :: v_dual_lshrrev_b32 v1, s59, v7
	v_mad_u32 v3, v4, s53, v3
	s_delay_alu instid0(VALU_DEP_4) | instskip(NEXT) | instid1(VALU_DEP_3)
	v_mad_u32 v2, v4, s52, v2
	v_mul_lo_u32 v5, v1, s57
	s_delay_alu instid0(VALU_DEP_1) | instskip(NEXT) | instid1(VALU_DEP_1)
	v_sub_nc_u32_e32 v4, v6, v5
	v_mad_u32 v3, v4, s55, v3
	s_delay_alu instid0(VALU_DEP_4)
	v_mad_u32 v2, v4, s54, v2
	s_cbranch_scc0 .LBB237_312
	s_branch .LBB237_316
.LBB237_313:
                                        ; implicit-def: $vgpr3
	s_branch .LBB237_320
.LBB237_314:
	v_dual_mov_b32 v3, 0 :: v_dual_mov_b32 v2, 0
	s_branch .LBB237_319
.LBB237_315:
	v_mov_b64_e32 v[2:3], 0
	v_mov_b32_e32 v1, v0
	s_mov_b32 s26, 0
.LBB237_316:
	s_and_b32 s18, s18, 3
	s_mov_b32 s27, 0
	s_cmp_eq_u32 s18, 0
	s_cbranch_scc1 .LBB237_319
; %bb.317:
	s_lshl_b32 s28, s26, 3
	s_mov_b32 s29, s27
	s_mul_u64 s[30:31], s[26:27], 12
	s_add_nc_u64 s[28:29], s[16:17], s[28:29]
	s_delay_alu instid0(SALU_CYCLE_1)
	s_add_nc_u64 s[26:27], s[28:29], 0xc4
	s_add_nc_u64 s[28:29], s[16:17], s[30:31]
.LBB237_318:                            ; =>This Inner Loop Header: Depth=1
	s_load_b96 s[40:42], s[28:29], 0x4
	s_load_b64 s[30:31], s[26:27], 0x0
	s_add_co_i32 s18, s18, -1
	s_wait_xcnt 0x0
	s_add_nc_u64 s[28:29], s[28:29], 12
	s_cmp_lg_u32 s18, 0
	s_add_nc_u64 s[26:27], s[26:27], 8
	s_wait_kmcnt 0x0
	v_mul_hi_u32 v4, s41, v1
	s_delay_alu instid0(VALU_DEP_1) | instskip(NEXT) | instid1(VALU_DEP_1)
	v_add_nc_u32_e32 v4, v1, v4
	v_lshrrev_b32_e32 v4, s42, v4
	s_delay_alu instid0(VALU_DEP_1) | instskip(NEXT) | instid1(VALU_DEP_1)
	v_mul_lo_u32 v5, v4, s40
	v_sub_nc_u32_e32 v1, v1, v5
	s_delay_alu instid0(VALU_DEP_1)
	v_mad_u32 v3, v1, s31, v3
	v_mad_u32 v2, v1, s30, v2
	v_mov_b32_e32 v1, v4
	s_cbranch_scc1 .LBB237_318
.LBB237_319:
	s_cbranch_execnz .LBB237_322
.LBB237_320:
	v_mov_b32_e32 v1, 0
	s_and_not1_b32 vcc_lo, exec_lo, s36
	s_delay_alu instid0(VALU_DEP_1) | instskip(NEXT) | instid1(VALU_DEP_1)
	v_mul_u64_e32 v[2:3], s[20:21], v[0:1]
	v_add_nc_u32_e32 v2, v0, v3
	s_delay_alu instid0(VALU_DEP_1) | instskip(NEXT) | instid1(VALU_DEP_1)
	v_lshrrev_b32_e32 v4, s6, v2
	v_mul_lo_u32 v2, v4, s4
	s_delay_alu instid0(VALU_DEP_1) | instskip(NEXT) | instid1(VALU_DEP_1)
	v_sub_nc_u32_e32 v2, v0, v2
	v_mul_lo_u32 v3, v2, s9
	v_mul_lo_u32 v2, v2, s8
	s_cbranch_vccnz .LBB237_322
; %bb.321:
	v_mov_b32_e32 v5, v1
	s_delay_alu instid0(VALU_DEP_1) | instskip(NEXT) | instid1(VALU_DEP_1)
	v_mul_u64_e32 v[6:7], s[22:23], v[4:5]
	v_add_nc_u32_e32 v1, v4, v7
	s_delay_alu instid0(VALU_DEP_1) | instskip(NEXT) | instid1(VALU_DEP_1)
	v_lshrrev_b32_e32 v1, s19, v1
	v_mul_lo_u32 v1, v1, s7
	s_delay_alu instid0(VALU_DEP_1) | instskip(NEXT) | instid1(VALU_DEP_1)
	v_sub_nc_u32_e32 v1, v4, v1
	v_mad_u32 v2, v1, s10, v2
	v_mad_u32 v3, v1, s11, v3
.LBB237_322:
	global_load_u16 v3, v3, s[2:3]
	s_mov_b32 s18, exec_lo
	s_wait_loadcnt 0x0
	v_lshlrev_b32_e32 v1, 16, v3
	s_wait_xcnt 0x0
	s_delay_alu instid0(VALU_DEP_1)
	v_cmpx_o_f32_e32 v1, v1
	s_cbranch_execz .LBB237_362
; %bb.323:
	s_cmp_lt_i32 s12, 1
	s_mov_b32 s26, 0
	s_cbranch_scc1 .LBB237_326
; %bb.324:
	s_cmp_eq_u32 s12, 1
	s_cbranch_scc0 .LBB237_355
; %bb.325:
	v_max_num_f32_e64 v3, s13, s13
	v_max_num_f32_e32 v4, v1, v1
	s_mov_b32 s27, 0
	s_delay_alu instid0(VALU_DEP_1) | instskip(NEXT) | instid1(VALU_DEP_1)
	v_min_num_f32_e32 v3, v4, v3
	v_bfe_u32 v4, v3, 16, 1
	s_delay_alu instid0(VALU_DEP_1) | instskip(NEXT) | instid1(VALU_DEP_1)
	v_add3_u32 v3, v3, v4, 0x7fff
	v_lshrrev_b32_e32 v3, 16, v3
	s_branch .LBB237_356
.LBB237_326:
	s_mov_b32 s27, 0
                                        ; implicit-def: $vgpr3
	s_cbranch_execnz .LBB237_357
	s_branch .LBB237_358
.LBB237_327:
	s_mov_b32 s27, -1
                                        ; implicit-def: $vgpr3
.LBB237_328:
	s_branch .LBB237_330
.LBB237_329:
	s_cmp_lg_u32 s12, 0
	s_mov_b32 s26, -1
	s_cselect_b32 s27, -1, 0
.LBB237_330:
	s_delay_alu instid0(SALU_CYCLE_1)
	s_and_not1_b32 vcc_lo, exec_lo, s27
	s_cbranch_vccnz .LBB237_332
; %bb.331:
	v_max_num_f32_e64 v3, s13, s13
	v_max_num_f32_e32 v4, v1, v1
	v_max_num_f32_e64 v5, s14, s14
	s_delay_alu instid0(VALU_DEP_1) | instskip(NEXT) | instid1(VALU_DEP_1)
	v_maxmin_num_f32 v3, v4, v3, v5
	v_bfe_u32 v4, v3, 16, 1
	s_delay_alu instid0(VALU_DEP_1) | instskip(NEXT) | instid1(VALU_DEP_1)
	v_add3_u32 v3, v3, v4, 0x7fff
	v_lshrrev_b32_e32 v3, 16, v3
	s_cbranch_execz .LBB237_333
	s_branch .LBB237_334
.LBB237_332:
	s_and_not1_b32 vcc_lo, exec_lo, s26
	s_cbranch_vccnz .LBB237_334
.LBB237_333:
	v_max_num_f32_e64 v3, s13, s13
	v_max_num_f32_e32 v1, v1, v1
	s_delay_alu instid0(VALU_DEP_1) | instskip(NEXT) | instid1(VALU_DEP_1)
	v_max_num_f32_e32 v1, v1, v3
	v_bfe_u32 v3, v1, 16, 1
	s_delay_alu instid0(VALU_DEP_1) | instskip(NEXT) | instid1(VALU_DEP_1)
	v_add3_u32 v1, v1, v3, 0x7fff
	v_lshrrev_b32_e32 v3, 16, v1
.LBB237_334:
	s_or_b32 exec_lo, exec_lo, s18
	v_add_nc_u32_e32 v0, 0x80, v0
	global_store_b16 v2, v3, s[0:1]
	s_wait_xcnt 0x0
	s_or_b32 exec_lo, exec_lo, s5
	s_delay_alu instid0(SALU_CYCLE_1)
	s_mov_b32 s5, exec_lo
	v_cmpx_gt_i32_e64 s37, v0
	s_cbranch_execnz .LBB237_308
.LBB237_335:
	s_or_b32 exec_lo, exec_lo, s5
	s_delay_alu instid0(SALU_CYCLE_1)
	s_mov_b32 s5, exec_lo
	v_cmpx_gt_i32_e64 s37, v0
	s_cbranch_execz .LBB237_363
.LBB237_336:
	s_and_not1_b32 vcc_lo, exec_lo, s34
	s_cbranch_vccnz .LBB237_341
; %bb.337:
	s_and_not1_b32 vcc_lo, exec_lo, s39
	s_cbranch_vccnz .LBB237_342
; %bb.338:
	s_add_co_i32 s18, s38, 1
	s_cmp_eq_u32 s33, 2
	s_cbranch_scc1 .LBB237_343
; %bb.339:
	v_dual_mov_b32 v2, 0 :: v_dual_mov_b32 v3, 0
	v_mov_b32_e32 v1, v0
	s_and_b32 s26, s18, 28
	s_mov_b32 s27, 0
	s_mov_b64 s[28:29], s[16:17]
	s_mov_b64 s[30:31], s[24:25]
.LBB237_340:                            ; =>This Inner Loop Header: Depth=1
	s_clause 0x1
	s_load_b256 s[40:47], s[28:29], 0x4
	s_load_b128 s[56:59], s[28:29], 0x24
	s_load_b256 s[48:55], s[30:31], 0x0
	s_add_co_i32 s27, s27, 4
	s_wait_xcnt 0x0
	s_add_nc_u64 s[28:29], s[28:29], 48
	s_cmp_eq_u32 s26, s27
	s_add_nc_u64 s[30:31], s[30:31], 32
	s_wait_kmcnt 0x0
	v_mul_hi_u32 v4, s41, v1
	s_delay_alu instid0(VALU_DEP_1) | instskip(NEXT) | instid1(VALU_DEP_1)
	v_add_nc_u32_e32 v4, v1, v4
	v_lshrrev_b32_e32 v4, s42, v4
	s_delay_alu instid0(VALU_DEP_1) | instskip(NEXT) | instid1(VALU_DEP_1)
	v_mul_hi_u32 v5, s44, v4
	v_add_nc_u32_e32 v5, v4, v5
	s_delay_alu instid0(VALU_DEP_1) | instskip(NEXT) | instid1(VALU_DEP_1)
	v_lshrrev_b32_e32 v5, s45, v5
	v_mul_hi_u32 v6, s47, v5
	s_delay_alu instid0(VALU_DEP_1) | instskip(SKIP_1) | instid1(VALU_DEP_1)
	v_add_nc_u32_e32 v6, v5, v6
	v_mul_lo_u32 v7, v4, s40
	v_sub_nc_u32_e32 v1, v1, v7
	v_mul_lo_u32 v7, v5, s43
	s_delay_alu instid0(VALU_DEP_4) | instskip(NEXT) | instid1(VALU_DEP_3)
	v_lshrrev_b32_e32 v6, s56, v6
	v_mad_u32 v3, v1, s49, v3
	v_mad_u32 v1, v1, s48, v2
	s_delay_alu instid0(VALU_DEP_4) | instskip(NEXT) | instid1(VALU_DEP_4)
	v_sub_nc_u32_e32 v2, v4, v7
	v_mul_hi_u32 v8, s58, v6
	v_mul_lo_u32 v4, v6, s46
	s_delay_alu instid0(VALU_DEP_3) | instskip(SKIP_1) | instid1(VALU_DEP_4)
	v_mad_u32 v3, v2, s51, v3
	v_mad_u32 v2, v2, s50, v1
	v_add_nc_u32_e32 v7, v6, v8
	s_delay_alu instid0(VALU_DEP_1) | instskip(NEXT) | instid1(VALU_DEP_1)
	v_dual_sub_nc_u32 v4, v5, v4 :: v_dual_lshrrev_b32 v1, s59, v7
	v_mad_u32 v3, v4, s53, v3
	s_delay_alu instid0(VALU_DEP_4) | instskip(NEXT) | instid1(VALU_DEP_3)
	v_mad_u32 v2, v4, s52, v2
	v_mul_lo_u32 v5, v1, s57
	s_delay_alu instid0(VALU_DEP_1) | instskip(NEXT) | instid1(VALU_DEP_1)
	v_sub_nc_u32_e32 v4, v6, v5
	v_mad_u32 v3, v4, s55, v3
	s_delay_alu instid0(VALU_DEP_4)
	v_mad_u32 v2, v4, s54, v2
	s_cbranch_scc0 .LBB237_340
	s_branch .LBB237_344
.LBB237_341:
                                        ; implicit-def: $vgpr3
	s_branch .LBB237_348
.LBB237_342:
	v_dual_mov_b32 v3, 0 :: v_dual_mov_b32 v2, 0
	s_branch .LBB237_347
.LBB237_343:
	v_mov_b64_e32 v[2:3], 0
	v_mov_b32_e32 v1, v0
	s_mov_b32 s26, 0
.LBB237_344:
	s_and_b32 s18, s18, 3
	s_mov_b32 s27, 0
	s_cmp_eq_u32 s18, 0
	s_cbranch_scc1 .LBB237_347
; %bb.345:
	s_lshl_b32 s28, s26, 3
	s_mov_b32 s29, s27
	s_mul_u64 s[30:31], s[26:27], 12
	s_add_nc_u64 s[28:29], s[16:17], s[28:29]
	s_delay_alu instid0(SALU_CYCLE_1)
	s_add_nc_u64 s[26:27], s[28:29], 0xc4
	s_add_nc_u64 s[28:29], s[16:17], s[30:31]
.LBB237_346:                            ; =>This Inner Loop Header: Depth=1
	s_load_b96 s[40:42], s[28:29], 0x4
	s_load_b64 s[30:31], s[26:27], 0x0
	s_add_co_i32 s18, s18, -1
	s_wait_xcnt 0x0
	s_add_nc_u64 s[28:29], s[28:29], 12
	s_cmp_lg_u32 s18, 0
	s_add_nc_u64 s[26:27], s[26:27], 8
	s_wait_kmcnt 0x0
	v_mul_hi_u32 v4, s41, v1
	s_delay_alu instid0(VALU_DEP_1) | instskip(NEXT) | instid1(VALU_DEP_1)
	v_add_nc_u32_e32 v4, v1, v4
	v_lshrrev_b32_e32 v4, s42, v4
	s_delay_alu instid0(VALU_DEP_1) | instskip(NEXT) | instid1(VALU_DEP_1)
	v_mul_lo_u32 v5, v4, s40
	v_sub_nc_u32_e32 v1, v1, v5
	s_delay_alu instid0(VALU_DEP_1)
	v_mad_u32 v3, v1, s31, v3
	v_mad_u32 v2, v1, s30, v2
	v_mov_b32_e32 v1, v4
	s_cbranch_scc1 .LBB237_346
.LBB237_347:
	s_cbranch_execnz .LBB237_350
.LBB237_348:
	v_mov_b32_e32 v1, 0
	s_and_not1_b32 vcc_lo, exec_lo, s36
	s_delay_alu instid0(VALU_DEP_1) | instskip(NEXT) | instid1(VALU_DEP_1)
	v_mul_u64_e32 v[2:3], s[20:21], v[0:1]
	v_add_nc_u32_e32 v2, v0, v3
	s_delay_alu instid0(VALU_DEP_1) | instskip(NEXT) | instid1(VALU_DEP_1)
	v_lshrrev_b32_e32 v4, s6, v2
	v_mul_lo_u32 v2, v4, s4
	s_delay_alu instid0(VALU_DEP_1) | instskip(NEXT) | instid1(VALU_DEP_1)
	v_sub_nc_u32_e32 v2, v0, v2
	v_mul_lo_u32 v3, v2, s9
	v_mul_lo_u32 v2, v2, s8
	s_cbranch_vccnz .LBB237_350
; %bb.349:
	v_mov_b32_e32 v5, v1
	s_delay_alu instid0(VALU_DEP_1) | instskip(NEXT) | instid1(VALU_DEP_1)
	v_mul_u64_e32 v[6:7], s[22:23], v[4:5]
	v_add_nc_u32_e32 v1, v4, v7
	s_delay_alu instid0(VALU_DEP_1) | instskip(NEXT) | instid1(VALU_DEP_1)
	v_lshrrev_b32_e32 v1, s19, v1
	v_mul_lo_u32 v1, v1, s7
	s_delay_alu instid0(VALU_DEP_1) | instskip(NEXT) | instid1(VALU_DEP_1)
	v_sub_nc_u32_e32 v1, v4, v1
	v_mad_u32 v2, v1, s10, v2
	v_mad_u32 v3, v1, s11, v3
.LBB237_350:
	global_load_u16 v3, v3, s[2:3]
	s_mov_b32 s18, exec_lo
	s_wait_loadcnt 0x0
	v_lshlrev_b32_e32 v1, 16, v3
	s_wait_xcnt 0x0
	s_delay_alu instid0(VALU_DEP_1)
	v_cmpx_o_f32_e32 v1, v1
	s_cbranch_execz .LBB237_390
; %bb.351:
	s_cmp_lt_i32 s12, 1
	s_mov_b32 s26, 0
	s_cbranch_scc1 .LBB237_354
; %bb.352:
	s_cmp_eq_u32 s12, 1
	s_cbranch_scc0 .LBB237_383
; %bb.353:
	v_max_num_f32_e64 v3, s13, s13
	v_max_num_f32_e32 v4, v1, v1
	s_mov_b32 s27, 0
	s_delay_alu instid0(VALU_DEP_1) | instskip(NEXT) | instid1(VALU_DEP_1)
	v_min_num_f32_e32 v3, v4, v3
	v_bfe_u32 v4, v3, 16, 1
	s_delay_alu instid0(VALU_DEP_1) | instskip(NEXT) | instid1(VALU_DEP_1)
	v_add3_u32 v3, v3, v4, 0x7fff
	v_lshrrev_b32_e32 v3, 16, v3
	s_branch .LBB237_384
.LBB237_354:
	s_mov_b32 s27, 0
                                        ; implicit-def: $vgpr3
	s_cbranch_execnz .LBB237_385
	s_branch .LBB237_386
.LBB237_355:
	s_mov_b32 s27, -1
                                        ; implicit-def: $vgpr3
.LBB237_356:
	s_branch .LBB237_358
.LBB237_357:
	s_cmp_lg_u32 s12, 0
	s_mov_b32 s26, -1
	s_cselect_b32 s27, -1, 0
.LBB237_358:
	s_delay_alu instid0(SALU_CYCLE_1)
	s_and_not1_b32 vcc_lo, exec_lo, s27
	s_cbranch_vccnz .LBB237_360
; %bb.359:
	v_max_num_f32_e64 v3, s13, s13
	v_max_num_f32_e32 v4, v1, v1
	v_max_num_f32_e64 v5, s14, s14
	s_delay_alu instid0(VALU_DEP_1) | instskip(NEXT) | instid1(VALU_DEP_1)
	v_maxmin_num_f32 v3, v4, v3, v5
	v_bfe_u32 v4, v3, 16, 1
	s_delay_alu instid0(VALU_DEP_1) | instskip(NEXT) | instid1(VALU_DEP_1)
	v_add3_u32 v3, v3, v4, 0x7fff
	v_lshrrev_b32_e32 v3, 16, v3
	s_cbranch_execz .LBB237_361
	s_branch .LBB237_362
.LBB237_360:
	s_and_not1_b32 vcc_lo, exec_lo, s26
	s_cbranch_vccnz .LBB237_362
.LBB237_361:
	v_max_num_f32_e64 v3, s13, s13
	v_max_num_f32_e32 v1, v1, v1
	s_delay_alu instid0(VALU_DEP_1) | instskip(NEXT) | instid1(VALU_DEP_1)
	v_max_num_f32_e32 v1, v1, v3
	v_bfe_u32 v3, v1, 16, 1
	s_delay_alu instid0(VALU_DEP_1) | instskip(NEXT) | instid1(VALU_DEP_1)
	v_add3_u32 v1, v1, v3, 0x7fff
	v_lshrrev_b32_e32 v3, 16, v1
.LBB237_362:
	s_or_b32 exec_lo, exec_lo, s18
	v_add_nc_u32_e32 v0, 0x80, v0
	global_store_b16 v2, v3, s[0:1]
	s_wait_xcnt 0x0
	s_or_b32 exec_lo, exec_lo, s5
	s_delay_alu instid0(SALU_CYCLE_1)
	s_mov_b32 s5, exec_lo
	v_cmpx_gt_i32_e64 s37, v0
	s_cbranch_execnz .LBB237_336
.LBB237_363:
	s_or_b32 exec_lo, exec_lo, s5
	s_delay_alu instid0(SALU_CYCLE_1)
	s_mov_b32 s5, exec_lo
	v_cmpx_gt_i32_e64 s37, v0
	s_cbranch_execz .LBB237_391
.LBB237_364:
	s_and_not1_b32 vcc_lo, exec_lo, s34
	s_cbranch_vccnz .LBB237_369
; %bb.365:
	s_and_not1_b32 vcc_lo, exec_lo, s39
	s_cbranch_vccnz .LBB237_370
; %bb.366:
	s_add_co_i32 s18, s38, 1
	s_cmp_eq_u32 s33, 2
	s_cbranch_scc1 .LBB237_371
; %bb.367:
	v_dual_mov_b32 v2, 0 :: v_dual_mov_b32 v3, 0
	v_mov_b32_e32 v1, v0
	s_and_b32 s26, s18, 28
	s_mov_b32 s27, 0
	s_mov_b64 s[28:29], s[16:17]
	s_mov_b64 s[30:31], s[24:25]
.LBB237_368:                            ; =>This Inner Loop Header: Depth=1
	s_clause 0x1
	s_load_b256 s[40:47], s[28:29], 0x4
	s_load_b128 s[56:59], s[28:29], 0x24
	s_load_b256 s[48:55], s[30:31], 0x0
	s_add_co_i32 s27, s27, 4
	s_wait_xcnt 0x0
	s_add_nc_u64 s[28:29], s[28:29], 48
	s_cmp_eq_u32 s26, s27
	s_add_nc_u64 s[30:31], s[30:31], 32
	s_wait_kmcnt 0x0
	v_mul_hi_u32 v4, s41, v1
	s_delay_alu instid0(VALU_DEP_1) | instskip(NEXT) | instid1(VALU_DEP_1)
	v_add_nc_u32_e32 v4, v1, v4
	v_lshrrev_b32_e32 v4, s42, v4
	s_delay_alu instid0(VALU_DEP_1) | instskip(NEXT) | instid1(VALU_DEP_1)
	v_mul_hi_u32 v5, s44, v4
	v_add_nc_u32_e32 v5, v4, v5
	s_delay_alu instid0(VALU_DEP_1) | instskip(NEXT) | instid1(VALU_DEP_1)
	v_lshrrev_b32_e32 v5, s45, v5
	v_mul_hi_u32 v6, s47, v5
	s_delay_alu instid0(VALU_DEP_1) | instskip(SKIP_1) | instid1(VALU_DEP_1)
	v_add_nc_u32_e32 v6, v5, v6
	v_mul_lo_u32 v7, v4, s40
	v_sub_nc_u32_e32 v1, v1, v7
	v_mul_lo_u32 v7, v5, s43
	s_delay_alu instid0(VALU_DEP_4) | instskip(NEXT) | instid1(VALU_DEP_3)
	v_lshrrev_b32_e32 v6, s56, v6
	v_mad_u32 v3, v1, s49, v3
	v_mad_u32 v1, v1, s48, v2
	s_delay_alu instid0(VALU_DEP_4) | instskip(NEXT) | instid1(VALU_DEP_4)
	v_sub_nc_u32_e32 v2, v4, v7
	v_mul_hi_u32 v8, s58, v6
	v_mul_lo_u32 v4, v6, s46
	s_delay_alu instid0(VALU_DEP_3) | instskip(SKIP_1) | instid1(VALU_DEP_4)
	v_mad_u32 v3, v2, s51, v3
	v_mad_u32 v2, v2, s50, v1
	v_add_nc_u32_e32 v7, v6, v8
	s_delay_alu instid0(VALU_DEP_1) | instskip(NEXT) | instid1(VALU_DEP_1)
	v_dual_sub_nc_u32 v4, v5, v4 :: v_dual_lshrrev_b32 v1, s59, v7
	v_mad_u32 v3, v4, s53, v3
	s_delay_alu instid0(VALU_DEP_4) | instskip(NEXT) | instid1(VALU_DEP_3)
	v_mad_u32 v2, v4, s52, v2
	v_mul_lo_u32 v5, v1, s57
	s_delay_alu instid0(VALU_DEP_1) | instskip(NEXT) | instid1(VALU_DEP_1)
	v_sub_nc_u32_e32 v4, v6, v5
	v_mad_u32 v3, v4, s55, v3
	s_delay_alu instid0(VALU_DEP_4)
	v_mad_u32 v2, v4, s54, v2
	s_cbranch_scc0 .LBB237_368
	s_branch .LBB237_372
.LBB237_369:
                                        ; implicit-def: $vgpr3
	s_branch .LBB237_376
.LBB237_370:
	v_dual_mov_b32 v3, 0 :: v_dual_mov_b32 v2, 0
	s_branch .LBB237_375
.LBB237_371:
	v_mov_b64_e32 v[2:3], 0
	v_mov_b32_e32 v1, v0
	s_mov_b32 s26, 0
.LBB237_372:
	s_and_b32 s18, s18, 3
	s_mov_b32 s27, 0
	s_cmp_eq_u32 s18, 0
	s_cbranch_scc1 .LBB237_375
; %bb.373:
	s_lshl_b32 s28, s26, 3
	s_mov_b32 s29, s27
	s_mul_u64 s[30:31], s[26:27], 12
	s_add_nc_u64 s[28:29], s[16:17], s[28:29]
	s_delay_alu instid0(SALU_CYCLE_1)
	s_add_nc_u64 s[26:27], s[28:29], 0xc4
	s_add_nc_u64 s[28:29], s[16:17], s[30:31]
.LBB237_374:                            ; =>This Inner Loop Header: Depth=1
	s_load_b96 s[40:42], s[28:29], 0x4
	s_load_b64 s[30:31], s[26:27], 0x0
	s_add_co_i32 s18, s18, -1
	s_wait_xcnt 0x0
	s_add_nc_u64 s[28:29], s[28:29], 12
	s_cmp_lg_u32 s18, 0
	s_add_nc_u64 s[26:27], s[26:27], 8
	s_wait_kmcnt 0x0
	v_mul_hi_u32 v4, s41, v1
	s_delay_alu instid0(VALU_DEP_1) | instskip(NEXT) | instid1(VALU_DEP_1)
	v_add_nc_u32_e32 v4, v1, v4
	v_lshrrev_b32_e32 v4, s42, v4
	s_delay_alu instid0(VALU_DEP_1) | instskip(NEXT) | instid1(VALU_DEP_1)
	v_mul_lo_u32 v5, v4, s40
	v_sub_nc_u32_e32 v1, v1, v5
	s_delay_alu instid0(VALU_DEP_1)
	v_mad_u32 v3, v1, s31, v3
	v_mad_u32 v2, v1, s30, v2
	v_mov_b32_e32 v1, v4
	s_cbranch_scc1 .LBB237_374
.LBB237_375:
	s_cbranch_execnz .LBB237_378
.LBB237_376:
	v_mov_b32_e32 v1, 0
	s_and_not1_b32 vcc_lo, exec_lo, s36
	s_delay_alu instid0(VALU_DEP_1) | instskip(NEXT) | instid1(VALU_DEP_1)
	v_mul_u64_e32 v[2:3], s[20:21], v[0:1]
	v_add_nc_u32_e32 v2, v0, v3
	s_delay_alu instid0(VALU_DEP_1) | instskip(NEXT) | instid1(VALU_DEP_1)
	v_lshrrev_b32_e32 v4, s6, v2
	v_mul_lo_u32 v2, v4, s4
	s_delay_alu instid0(VALU_DEP_1) | instskip(NEXT) | instid1(VALU_DEP_1)
	v_sub_nc_u32_e32 v2, v0, v2
	v_mul_lo_u32 v3, v2, s9
	v_mul_lo_u32 v2, v2, s8
	s_cbranch_vccnz .LBB237_378
; %bb.377:
	v_mov_b32_e32 v5, v1
	s_delay_alu instid0(VALU_DEP_1) | instskip(NEXT) | instid1(VALU_DEP_1)
	v_mul_u64_e32 v[6:7], s[22:23], v[4:5]
	v_add_nc_u32_e32 v1, v4, v7
	s_delay_alu instid0(VALU_DEP_1) | instskip(NEXT) | instid1(VALU_DEP_1)
	v_lshrrev_b32_e32 v1, s19, v1
	v_mul_lo_u32 v1, v1, s7
	s_delay_alu instid0(VALU_DEP_1) | instskip(NEXT) | instid1(VALU_DEP_1)
	v_sub_nc_u32_e32 v1, v4, v1
	v_mad_u32 v2, v1, s10, v2
	v_mad_u32 v3, v1, s11, v3
.LBB237_378:
	global_load_u16 v3, v3, s[2:3]
	s_mov_b32 s18, exec_lo
	s_wait_loadcnt 0x0
	v_lshlrev_b32_e32 v1, 16, v3
	s_wait_xcnt 0x0
	s_delay_alu instid0(VALU_DEP_1)
	v_cmpx_o_f32_e32 v1, v1
	s_cbranch_execz .LBB237_401
; %bb.379:
	s_cmp_lt_i32 s12, 1
	s_mov_b32 s26, 0
	s_cbranch_scc1 .LBB237_382
; %bb.380:
	s_cmp_eq_u32 s12, 1
	s_cbranch_scc0 .LBB237_394
; %bb.381:
	v_max_num_f32_e64 v3, s13, s13
	v_max_num_f32_e32 v4, v1, v1
	s_mov_b32 s27, 0
	s_delay_alu instid0(VALU_DEP_1) | instskip(NEXT) | instid1(VALU_DEP_1)
	v_min_num_f32_e32 v3, v4, v3
	v_bfe_u32 v4, v3, 16, 1
	s_delay_alu instid0(VALU_DEP_1) | instskip(NEXT) | instid1(VALU_DEP_1)
	v_add3_u32 v3, v3, v4, 0x7fff
	v_lshrrev_b32_e32 v3, 16, v3
	s_branch .LBB237_395
.LBB237_382:
	s_mov_b32 s27, 0
                                        ; implicit-def: $vgpr3
	s_cbranch_execnz .LBB237_396
	s_branch .LBB237_397
.LBB237_383:
	s_mov_b32 s27, -1
                                        ; implicit-def: $vgpr3
.LBB237_384:
	s_branch .LBB237_386
.LBB237_385:
	s_cmp_lg_u32 s12, 0
	s_mov_b32 s26, -1
	s_cselect_b32 s27, -1, 0
.LBB237_386:
	s_delay_alu instid0(SALU_CYCLE_1)
	s_and_not1_b32 vcc_lo, exec_lo, s27
	s_cbranch_vccnz .LBB237_388
; %bb.387:
	v_max_num_f32_e64 v3, s13, s13
	v_max_num_f32_e32 v4, v1, v1
	v_max_num_f32_e64 v5, s14, s14
	s_delay_alu instid0(VALU_DEP_1) | instskip(NEXT) | instid1(VALU_DEP_1)
	v_maxmin_num_f32 v3, v4, v3, v5
	v_bfe_u32 v4, v3, 16, 1
	s_delay_alu instid0(VALU_DEP_1) | instskip(NEXT) | instid1(VALU_DEP_1)
	v_add3_u32 v3, v3, v4, 0x7fff
	v_lshrrev_b32_e32 v3, 16, v3
	s_cbranch_execz .LBB237_389
	s_branch .LBB237_390
.LBB237_388:
	s_and_not1_b32 vcc_lo, exec_lo, s26
	s_cbranch_vccnz .LBB237_390
.LBB237_389:
	v_max_num_f32_e64 v3, s13, s13
	v_max_num_f32_e32 v1, v1, v1
	s_delay_alu instid0(VALU_DEP_1) | instskip(NEXT) | instid1(VALU_DEP_1)
	v_max_num_f32_e32 v1, v1, v3
	v_bfe_u32 v3, v1, 16, 1
	s_delay_alu instid0(VALU_DEP_1) | instskip(NEXT) | instid1(VALU_DEP_1)
	v_add3_u32 v1, v1, v3, 0x7fff
	v_lshrrev_b32_e32 v3, 16, v1
.LBB237_390:
	s_or_b32 exec_lo, exec_lo, s18
	v_add_nc_u32_e32 v0, 0x80, v0
	global_store_b16 v2, v3, s[0:1]
	s_wait_xcnt 0x0
	s_or_b32 exec_lo, exec_lo, s5
	s_delay_alu instid0(SALU_CYCLE_1)
	s_mov_b32 s5, exec_lo
	v_cmpx_gt_i32_e64 s37, v0
	s_cbranch_execnz .LBB237_364
.LBB237_391:
	s_or_b32 exec_lo, exec_lo, s5
	s_delay_alu instid0(SALU_CYCLE_1)
	s_mov_b32 s5, exec_lo
	v_cmpx_gt_i32_e64 s37, v0
	s_cbranch_execnz .LBB237_402
.LBB237_392:
	s_or_b32 exec_lo, exec_lo, s5
                                        ; implicit-def: $vgpr16
                                        ; implicit-def: $vgpr0
	s_and_not1_saveexec_b32 s0, s35
	s_cbranch_execnz .LBB237_8
.LBB237_393:
	s_endpgm
.LBB237_394:
	s_mov_b32 s27, -1
                                        ; implicit-def: $vgpr3
.LBB237_395:
	s_branch .LBB237_397
.LBB237_396:
	s_cmp_lg_u32 s12, 0
	s_mov_b32 s26, -1
	s_cselect_b32 s27, -1, 0
.LBB237_397:
	s_delay_alu instid0(SALU_CYCLE_1)
	s_and_not1_b32 vcc_lo, exec_lo, s27
	s_cbranch_vccnz .LBB237_399
; %bb.398:
	v_max_num_f32_e64 v3, s13, s13
	v_max_num_f32_e32 v4, v1, v1
	v_max_num_f32_e64 v5, s14, s14
	s_delay_alu instid0(VALU_DEP_1) | instskip(NEXT) | instid1(VALU_DEP_1)
	v_maxmin_num_f32 v3, v4, v3, v5
	v_bfe_u32 v4, v3, 16, 1
	s_delay_alu instid0(VALU_DEP_1) | instskip(NEXT) | instid1(VALU_DEP_1)
	v_add3_u32 v3, v3, v4, 0x7fff
	v_lshrrev_b32_e32 v3, 16, v3
	s_cbranch_execz .LBB237_400
	s_branch .LBB237_401
.LBB237_399:
	s_and_not1_b32 vcc_lo, exec_lo, s26
	s_cbranch_vccnz .LBB237_401
.LBB237_400:
	v_max_num_f32_e64 v3, s13, s13
	v_max_num_f32_e32 v1, v1, v1
	s_delay_alu instid0(VALU_DEP_1) | instskip(NEXT) | instid1(VALU_DEP_1)
	v_max_num_f32_e32 v1, v1, v3
	v_bfe_u32 v3, v1, 16, 1
	s_delay_alu instid0(VALU_DEP_1) | instskip(NEXT) | instid1(VALU_DEP_1)
	v_add3_u32 v1, v1, v3, 0x7fff
	v_lshrrev_b32_e32 v3, 16, v1
.LBB237_401:
	s_or_b32 exec_lo, exec_lo, s18
	v_add_nc_u32_e32 v0, 0x80, v0
	global_store_b16 v2, v3, s[0:1]
	s_wait_xcnt 0x0
	s_or_b32 exec_lo, exec_lo, s5
	s_delay_alu instid0(SALU_CYCLE_1)
	s_mov_b32 s5, exec_lo
	v_cmpx_gt_i32_e64 s37, v0
	s_cbranch_execz .LBB237_392
.LBB237_402:
	s_and_not1_b32 vcc_lo, exec_lo, s34
	s_cbranch_vccnz .LBB237_407
; %bb.403:
	s_and_not1_b32 vcc_lo, exec_lo, s39
	s_cbranch_vccnz .LBB237_408
; %bb.404:
	s_add_co_i32 s38, s38, 1
	s_cmp_eq_u32 s33, 2
	s_cbranch_scc1 .LBB237_409
; %bb.405:
	v_dual_mov_b32 v2, 0 :: v_dual_mov_b32 v3, 0
	v_mov_b32_e32 v1, v0
	s_and_b32 s26, s38, 28
	s_mov_b32 s18, 0
	s_mov_b64 s[28:29], s[16:17]
.LBB237_406:                            ; =>This Inner Loop Header: Depth=1
	s_clause 0x1
	s_load_b256 s[40:47], s[28:29], 0x4
	s_load_b128 s[56:59], s[28:29], 0x24
	s_load_b256 s[48:55], s[24:25], 0x0
	s_add_co_i32 s18, s18, 4
	s_wait_xcnt 0x0
	s_add_nc_u64 s[28:29], s[28:29], 48
	s_cmp_eq_u32 s26, s18
	s_add_nc_u64 s[24:25], s[24:25], 32
	s_wait_kmcnt 0x0
	v_mul_hi_u32 v4, s41, v1
	s_delay_alu instid0(VALU_DEP_1) | instskip(NEXT) | instid1(VALU_DEP_1)
	v_add_nc_u32_e32 v4, v1, v4
	v_lshrrev_b32_e32 v4, s42, v4
	s_delay_alu instid0(VALU_DEP_1) | instskip(NEXT) | instid1(VALU_DEP_1)
	v_mul_hi_u32 v5, s44, v4
	v_add_nc_u32_e32 v5, v4, v5
	s_delay_alu instid0(VALU_DEP_1) | instskip(NEXT) | instid1(VALU_DEP_1)
	v_lshrrev_b32_e32 v5, s45, v5
	v_mul_hi_u32 v6, s47, v5
	s_delay_alu instid0(VALU_DEP_1) | instskip(SKIP_1) | instid1(VALU_DEP_1)
	v_add_nc_u32_e32 v6, v5, v6
	v_mul_lo_u32 v7, v4, s40
	v_sub_nc_u32_e32 v1, v1, v7
	v_mul_lo_u32 v7, v5, s43
	s_delay_alu instid0(VALU_DEP_4) | instskip(NEXT) | instid1(VALU_DEP_3)
	v_lshrrev_b32_e32 v6, s56, v6
	v_mad_u32 v3, v1, s49, v3
	v_mad_u32 v1, v1, s48, v2
	s_delay_alu instid0(VALU_DEP_4) | instskip(NEXT) | instid1(VALU_DEP_4)
	v_sub_nc_u32_e32 v2, v4, v7
	v_mul_hi_u32 v8, s58, v6
	v_mul_lo_u32 v4, v6, s46
	s_delay_alu instid0(VALU_DEP_3) | instskip(SKIP_1) | instid1(VALU_DEP_4)
	v_mad_u32 v3, v2, s51, v3
	v_mad_u32 v2, v2, s50, v1
	v_add_nc_u32_e32 v7, v6, v8
	s_delay_alu instid0(VALU_DEP_1) | instskip(NEXT) | instid1(VALU_DEP_1)
	v_dual_sub_nc_u32 v4, v5, v4 :: v_dual_lshrrev_b32 v1, s59, v7
	v_mad_u32 v3, v4, s53, v3
	s_delay_alu instid0(VALU_DEP_4) | instskip(NEXT) | instid1(VALU_DEP_3)
	v_mad_u32 v2, v4, s52, v2
	v_mul_lo_u32 v5, v1, s57
	s_delay_alu instid0(VALU_DEP_1) | instskip(NEXT) | instid1(VALU_DEP_1)
	v_sub_nc_u32_e32 v4, v6, v5
	v_mad_u32 v3, v4, s55, v3
	s_delay_alu instid0(VALU_DEP_4)
	v_mad_u32 v2, v4, s54, v2
	s_cbranch_scc0 .LBB237_406
	s_branch .LBB237_410
.LBB237_407:
                                        ; implicit-def: $vgpr3
	s_branch .LBB237_414
.LBB237_408:
	v_dual_mov_b32 v3, 0 :: v_dual_mov_b32 v2, 0
	s_branch .LBB237_413
.LBB237_409:
	v_mov_b64_e32 v[2:3], 0
	v_mov_b32_e32 v1, v0
	s_mov_b32 s26, 0
.LBB237_410:
	s_and_b32 s18, s38, 3
	s_mov_b32 s27, 0
	s_cmp_eq_u32 s18, 0
	s_cbranch_scc1 .LBB237_413
; %bb.411:
	s_lshl_b32 s24, s26, 3
	s_mov_b32 s25, s27
	s_mul_u64 s[26:27], s[26:27], 12
	s_add_nc_u64 s[24:25], s[16:17], s[24:25]
	s_add_nc_u64 s[26:27], s[16:17], s[26:27]
	;; [unrolled: 1-line block ×3, first 2 shown]
.LBB237_412:                            ; =>This Inner Loop Header: Depth=1
	s_load_b96 s[28:30], s[26:27], 0x4
	s_add_co_i32 s18, s18, -1
	s_wait_xcnt 0x0
	s_add_nc_u64 s[26:27], s[26:27], 12
	s_cmp_lg_u32 s18, 0
	s_wait_kmcnt 0x0
	v_mul_hi_u32 v4, s29, v1
	s_delay_alu instid0(VALU_DEP_1) | instskip(NEXT) | instid1(VALU_DEP_1)
	v_add_nc_u32_e32 v4, v1, v4
	v_lshrrev_b32_e32 v4, s30, v4
	s_load_b64 s[30:31], s[24:25], 0x0
	s_wait_xcnt 0x0
	s_add_nc_u64 s[24:25], s[24:25], 8
	s_delay_alu instid0(VALU_DEP_1) | instskip(NEXT) | instid1(VALU_DEP_1)
	v_mul_lo_u32 v5, v4, s28
	v_sub_nc_u32_e32 v1, v1, v5
	s_wait_kmcnt 0x0
	s_delay_alu instid0(VALU_DEP_1)
	v_mad_u32 v3, v1, s31, v3
	v_mad_u32 v2, v1, s30, v2
	v_mov_b32_e32 v1, v4
	s_cbranch_scc1 .LBB237_412
.LBB237_413:
	s_cbranch_execnz .LBB237_416
.LBB237_414:
	v_mov_b32_e32 v1, 0
	s_and_not1_b32 vcc_lo, exec_lo, s36
	s_delay_alu instid0(VALU_DEP_1) | instskip(NEXT) | instid1(VALU_DEP_1)
	v_mul_u64_e32 v[2:3], s[20:21], v[0:1]
	v_add_nc_u32_e32 v2, v0, v3
	s_delay_alu instid0(VALU_DEP_1) | instskip(NEXT) | instid1(VALU_DEP_1)
	v_lshrrev_b32_e32 v4, s6, v2
	v_mul_lo_u32 v2, v4, s4
	s_delay_alu instid0(VALU_DEP_1) | instskip(NEXT) | instid1(VALU_DEP_1)
	v_sub_nc_u32_e32 v0, v0, v2
	v_mul_lo_u32 v3, v0, s9
	v_mul_lo_u32 v2, v0, s8
	s_cbranch_vccnz .LBB237_416
; %bb.415:
	v_mov_b32_e32 v5, v1
	s_delay_alu instid0(VALU_DEP_1) | instskip(NEXT) | instid1(VALU_DEP_1)
	v_mul_u64_e32 v[0:1], s[22:23], v[4:5]
	v_add_nc_u32_e32 v0, v4, v1
	s_delay_alu instid0(VALU_DEP_1) | instskip(NEXT) | instid1(VALU_DEP_1)
	v_lshrrev_b32_e32 v0, s19, v0
	v_mul_lo_u32 v0, v0, s7
	s_delay_alu instid0(VALU_DEP_1) | instskip(NEXT) | instid1(VALU_DEP_1)
	v_sub_nc_u32_e32 v0, v4, v0
	v_mad_u32 v2, v0, s10, v2
	v_mad_u32 v3, v0, s11, v3
.LBB237_416:
	global_load_u16 v1, v3, s[2:3]
	s_wait_xcnt 0x0
	s_mov_b32 s2, exec_lo
	s_wait_loadcnt 0x0
	v_lshlrev_b32_e32 v0, 16, v1
	s_delay_alu instid0(VALU_DEP_1)
	v_cmpx_o_f32_e32 v0, v0
	s_cbranch_execz .LBB237_428
; %bb.417:
	s_cmp_lt_i32 s12, 1
	s_mov_b32 s3, 0
	s_cbranch_scc1 .LBB237_420
; %bb.418:
	s_cmp_eq_u32 s12, 1
	s_cbranch_scc0 .LBB237_421
; %bb.419:
	v_max_num_f32_e64 v1, s13, s13
	v_max_num_f32_e32 v3, v0, v0
	s_mov_b32 s4, 0
	s_delay_alu instid0(VALU_DEP_1) | instskip(NEXT) | instid1(VALU_DEP_1)
	v_min_num_f32_e32 v1, v3, v1
	v_bfe_u32 v3, v1, 16, 1
	s_delay_alu instid0(VALU_DEP_1) | instskip(NEXT) | instid1(VALU_DEP_1)
	v_add3_u32 v1, v1, v3, 0x7fff
	v_lshrrev_b32_e32 v1, 16, v1
	s_branch .LBB237_422
.LBB237_420:
	s_mov_b32 s4, 0
                                        ; implicit-def: $vgpr1
	s_cbranch_execnz .LBB237_423
	s_branch .LBB237_424
.LBB237_421:
	s_mov_b32 s4, -1
                                        ; implicit-def: $vgpr1
.LBB237_422:
	s_branch .LBB237_424
.LBB237_423:
	s_cmp_lg_u32 s12, 0
	s_mov_b32 s3, -1
	s_cselect_b32 s4, -1, 0
.LBB237_424:
	s_delay_alu instid0(SALU_CYCLE_1)
	s_and_not1_b32 vcc_lo, exec_lo, s4
	s_cbranch_vccnz .LBB237_426
; %bb.425:
	v_max_num_f32_e64 v1, s13, s13
	v_max_num_f32_e32 v3, v0, v0
	v_max_num_f32_e64 v4, s14, s14
	s_delay_alu instid0(VALU_DEP_1) | instskip(NEXT) | instid1(VALU_DEP_1)
	v_maxmin_num_f32 v1, v3, v1, v4
	v_bfe_u32 v3, v1, 16, 1
	s_delay_alu instid0(VALU_DEP_1) | instskip(NEXT) | instid1(VALU_DEP_1)
	v_add3_u32 v1, v1, v3, 0x7fff
	v_lshrrev_b32_e32 v1, 16, v1
	s_cbranch_execz .LBB237_427
	s_branch .LBB237_428
.LBB237_426:
	s_and_not1_b32 vcc_lo, exec_lo, s3
	s_cbranch_vccnz .LBB237_428
.LBB237_427:
	v_max_num_f32_e64 v1, s13, s13
	v_max_num_f32_e32 v0, v0, v0
	s_delay_alu instid0(VALU_DEP_1) | instskip(NEXT) | instid1(VALU_DEP_1)
	v_max_num_f32_e32 v0, v0, v1
	v_bfe_u32 v1, v0, 16, 1
	s_delay_alu instid0(VALU_DEP_1) | instskip(NEXT) | instid1(VALU_DEP_1)
	v_add3_u32 v0, v0, v1, 0x7fff
	v_lshrrev_b32_e32 v1, 16, v0
.LBB237_428:
	s_or_b32 exec_lo, exec_lo, s2
	global_store_b16 v2, v1, s[0:1]
	s_wait_xcnt 0x0
	s_or_b32 exec_lo, exec_lo, s5
                                        ; implicit-def: $vgpr16
                                        ; implicit-def: $vgpr0
	s_and_not1_saveexec_b32 s0, s35
	s_cbranch_execz .LBB237_393
	s_branch .LBB237_8
	.section	.rodata,"a",@progbits
	.p2align	6, 0x0
	.amdhsa_kernel _ZN2at6native32elementwise_kernel_manual_unrollILi128ELi8EZNS0_22gpu_kernel_impl_nocastIZZZNS0_12_GLOBAL__N_119launch_clamp_scalarERNS_18TensorIteratorBaseEN3c106ScalarES7_NS0_6detail11ClampLimitsEENKUlvE_clEvENKUlvE7_clEvEUlNS6_8BFloat16EE_EEvS5_RKT_EUlibE_EEviT1_
		.amdhsa_group_segment_fixed_size 0
		.amdhsa_private_segment_fixed_size 0
		.amdhsa_kernarg_size 368
		.amdhsa_user_sgpr_count 2
		.amdhsa_user_sgpr_dispatch_ptr 0
		.amdhsa_user_sgpr_queue_ptr 0
		.amdhsa_user_sgpr_kernarg_segment_ptr 1
		.amdhsa_user_sgpr_dispatch_id 0
		.amdhsa_user_sgpr_kernarg_preload_length 0
		.amdhsa_user_sgpr_kernarg_preload_offset 0
		.amdhsa_user_sgpr_private_segment_size 0
		.amdhsa_wavefront_size32 1
		.amdhsa_uses_dynamic_stack 0
		.amdhsa_enable_private_segment 0
		.amdhsa_system_sgpr_workgroup_id_x 1
		.amdhsa_system_sgpr_workgroup_id_y 0
		.amdhsa_system_sgpr_workgroup_id_z 0
		.amdhsa_system_sgpr_workgroup_info 0
		.amdhsa_system_vgpr_workitem_id 0
		.amdhsa_next_free_vgpr 23
		.amdhsa_next_free_sgpr 60
		.amdhsa_named_barrier_count 0
		.amdhsa_reserve_vcc 1
		.amdhsa_float_round_mode_32 0
		.amdhsa_float_round_mode_16_64 0
		.amdhsa_float_denorm_mode_32 3
		.amdhsa_float_denorm_mode_16_64 3
		.amdhsa_fp16_overflow 0
		.amdhsa_memory_ordered 1
		.amdhsa_forward_progress 1
		.amdhsa_inst_pref_size 131
		.amdhsa_round_robin_scheduling 0
		.amdhsa_exception_fp_ieee_invalid_op 0
		.amdhsa_exception_fp_denorm_src 0
		.amdhsa_exception_fp_ieee_div_zero 0
		.amdhsa_exception_fp_ieee_overflow 0
		.amdhsa_exception_fp_ieee_underflow 0
		.amdhsa_exception_fp_ieee_inexact 0
		.amdhsa_exception_int_div_zero 0
	.end_amdhsa_kernel
	.section	.text._ZN2at6native32elementwise_kernel_manual_unrollILi128ELi8EZNS0_22gpu_kernel_impl_nocastIZZZNS0_12_GLOBAL__N_119launch_clamp_scalarERNS_18TensorIteratorBaseEN3c106ScalarES7_NS0_6detail11ClampLimitsEENKUlvE_clEvENKUlvE7_clEvEUlNS6_8BFloat16EE_EEvS5_RKT_EUlibE_EEviT1_,"axG",@progbits,_ZN2at6native32elementwise_kernel_manual_unrollILi128ELi8EZNS0_22gpu_kernel_impl_nocastIZZZNS0_12_GLOBAL__N_119launch_clamp_scalarERNS_18TensorIteratorBaseEN3c106ScalarES7_NS0_6detail11ClampLimitsEENKUlvE_clEvENKUlvE7_clEvEUlNS6_8BFloat16EE_EEvS5_RKT_EUlibE_EEviT1_,comdat
.Lfunc_end237:
	.size	_ZN2at6native32elementwise_kernel_manual_unrollILi128ELi8EZNS0_22gpu_kernel_impl_nocastIZZZNS0_12_GLOBAL__N_119launch_clamp_scalarERNS_18TensorIteratorBaseEN3c106ScalarES7_NS0_6detail11ClampLimitsEENKUlvE_clEvENKUlvE7_clEvEUlNS6_8BFloat16EE_EEvS5_RKT_EUlibE_EEviT1_, .Lfunc_end237-_ZN2at6native32elementwise_kernel_manual_unrollILi128ELi8EZNS0_22gpu_kernel_impl_nocastIZZZNS0_12_GLOBAL__N_119launch_clamp_scalarERNS_18TensorIteratorBaseEN3c106ScalarES7_NS0_6detail11ClampLimitsEENKUlvE_clEvENKUlvE7_clEvEUlNS6_8BFloat16EE_EEvS5_RKT_EUlibE_EEviT1_
                                        ; -- End function
	.set _ZN2at6native32elementwise_kernel_manual_unrollILi128ELi8EZNS0_22gpu_kernel_impl_nocastIZZZNS0_12_GLOBAL__N_119launch_clamp_scalarERNS_18TensorIteratorBaseEN3c106ScalarES7_NS0_6detail11ClampLimitsEENKUlvE_clEvENKUlvE7_clEvEUlNS6_8BFloat16EE_EEvS5_RKT_EUlibE_EEviT1_.num_vgpr, 23
	.set _ZN2at6native32elementwise_kernel_manual_unrollILi128ELi8EZNS0_22gpu_kernel_impl_nocastIZZZNS0_12_GLOBAL__N_119launch_clamp_scalarERNS_18TensorIteratorBaseEN3c106ScalarES7_NS0_6detail11ClampLimitsEENKUlvE_clEvENKUlvE7_clEvEUlNS6_8BFloat16EE_EEvS5_RKT_EUlibE_EEviT1_.num_agpr, 0
	.set _ZN2at6native32elementwise_kernel_manual_unrollILi128ELi8EZNS0_22gpu_kernel_impl_nocastIZZZNS0_12_GLOBAL__N_119launch_clamp_scalarERNS_18TensorIteratorBaseEN3c106ScalarES7_NS0_6detail11ClampLimitsEENKUlvE_clEvENKUlvE7_clEvEUlNS6_8BFloat16EE_EEvS5_RKT_EUlibE_EEviT1_.numbered_sgpr, 60
	.set _ZN2at6native32elementwise_kernel_manual_unrollILi128ELi8EZNS0_22gpu_kernel_impl_nocastIZZZNS0_12_GLOBAL__N_119launch_clamp_scalarERNS_18TensorIteratorBaseEN3c106ScalarES7_NS0_6detail11ClampLimitsEENKUlvE_clEvENKUlvE7_clEvEUlNS6_8BFloat16EE_EEvS5_RKT_EUlibE_EEviT1_.num_named_barrier, 0
	.set _ZN2at6native32elementwise_kernel_manual_unrollILi128ELi8EZNS0_22gpu_kernel_impl_nocastIZZZNS0_12_GLOBAL__N_119launch_clamp_scalarERNS_18TensorIteratorBaseEN3c106ScalarES7_NS0_6detail11ClampLimitsEENKUlvE_clEvENKUlvE7_clEvEUlNS6_8BFloat16EE_EEvS5_RKT_EUlibE_EEviT1_.private_seg_size, 0
	.set _ZN2at6native32elementwise_kernel_manual_unrollILi128ELi8EZNS0_22gpu_kernel_impl_nocastIZZZNS0_12_GLOBAL__N_119launch_clamp_scalarERNS_18TensorIteratorBaseEN3c106ScalarES7_NS0_6detail11ClampLimitsEENKUlvE_clEvENKUlvE7_clEvEUlNS6_8BFloat16EE_EEvS5_RKT_EUlibE_EEviT1_.uses_vcc, 1
	.set _ZN2at6native32elementwise_kernel_manual_unrollILi128ELi8EZNS0_22gpu_kernel_impl_nocastIZZZNS0_12_GLOBAL__N_119launch_clamp_scalarERNS_18TensorIteratorBaseEN3c106ScalarES7_NS0_6detail11ClampLimitsEENKUlvE_clEvENKUlvE7_clEvEUlNS6_8BFloat16EE_EEvS5_RKT_EUlibE_EEviT1_.uses_flat_scratch, 0
	.set _ZN2at6native32elementwise_kernel_manual_unrollILi128ELi8EZNS0_22gpu_kernel_impl_nocastIZZZNS0_12_GLOBAL__N_119launch_clamp_scalarERNS_18TensorIteratorBaseEN3c106ScalarES7_NS0_6detail11ClampLimitsEENKUlvE_clEvENKUlvE7_clEvEUlNS6_8BFloat16EE_EEvS5_RKT_EUlibE_EEviT1_.has_dyn_sized_stack, 0
	.set _ZN2at6native32elementwise_kernel_manual_unrollILi128ELi8EZNS0_22gpu_kernel_impl_nocastIZZZNS0_12_GLOBAL__N_119launch_clamp_scalarERNS_18TensorIteratorBaseEN3c106ScalarES7_NS0_6detail11ClampLimitsEENKUlvE_clEvENKUlvE7_clEvEUlNS6_8BFloat16EE_EEvS5_RKT_EUlibE_EEviT1_.has_recursion, 0
	.set _ZN2at6native32elementwise_kernel_manual_unrollILi128ELi8EZNS0_22gpu_kernel_impl_nocastIZZZNS0_12_GLOBAL__N_119launch_clamp_scalarERNS_18TensorIteratorBaseEN3c106ScalarES7_NS0_6detail11ClampLimitsEENKUlvE_clEvENKUlvE7_clEvEUlNS6_8BFloat16EE_EEvS5_RKT_EUlibE_EEviT1_.has_indirect_call, 0
	.section	.AMDGPU.csdata,"",@progbits
; Kernel info:
; codeLenInByte = 16668
; TotalNumSgprs: 62
; NumVgprs: 23
; ScratchSize: 0
; MemoryBound: 0
; FloatMode: 240
; IeeeMode: 1
; LDSByteSize: 0 bytes/workgroup (compile time only)
; SGPRBlocks: 0
; VGPRBlocks: 1
; NumSGPRsForWavesPerEU: 62
; NumVGPRsForWavesPerEU: 23
; NamedBarCnt: 0
; Occupancy: 16
; WaveLimiterHint : 1
; COMPUTE_PGM_RSRC2:SCRATCH_EN: 0
; COMPUTE_PGM_RSRC2:USER_SGPR: 2
; COMPUTE_PGM_RSRC2:TRAP_HANDLER: 0
; COMPUTE_PGM_RSRC2:TGID_X_EN: 1
; COMPUTE_PGM_RSRC2:TGID_Y_EN: 0
; COMPUTE_PGM_RSRC2:TGID_Z_EN: 0
; COMPUTE_PGM_RSRC2:TIDIG_COMP_CNT: 0
	.section	.text._ZN2at6native32elementwise_kernel_manual_unrollILi128ELi4EZNS0_15gpu_kernel_implIZZZNS0_12_GLOBAL__N_119launch_clamp_scalarERNS_18TensorIteratorBaseEN3c106ScalarES7_NS0_6detail11ClampLimitsEENKUlvE_clEvENKUlvE7_clEvEUlNS6_8BFloat16EE_EEvS5_RKT_EUlibE_EEviT1_,"axG",@progbits,_ZN2at6native32elementwise_kernel_manual_unrollILi128ELi4EZNS0_15gpu_kernel_implIZZZNS0_12_GLOBAL__N_119launch_clamp_scalarERNS_18TensorIteratorBaseEN3c106ScalarES7_NS0_6detail11ClampLimitsEENKUlvE_clEvENKUlvE7_clEvEUlNS6_8BFloat16EE_EEvS5_RKT_EUlibE_EEviT1_,comdat
	.globl	_ZN2at6native32elementwise_kernel_manual_unrollILi128ELi4EZNS0_15gpu_kernel_implIZZZNS0_12_GLOBAL__N_119launch_clamp_scalarERNS_18TensorIteratorBaseEN3c106ScalarES7_NS0_6detail11ClampLimitsEENKUlvE_clEvENKUlvE7_clEvEUlNS6_8BFloat16EE_EEvS5_RKT_EUlibE_EEviT1_ ; -- Begin function _ZN2at6native32elementwise_kernel_manual_unrollILi128ELi4EZNS0_15gpu_kernel_implIZZZNS0_12_GLOBAL__N_119launch_clamp_scalarERNS_18TensorIteratorBaseEN3c106ScalarES7_NS0_6detail11ClampLimitsEENKUlvE_clEvENKUlvE7_clEvEUlNS6_8BFloat16EE_EEvS5_RKT_EUlibE_EEviT1_
	.p2align	8
	.type	_ZN2at6native32elementwise_kernel_manual_unrollILi128ELi4EZNS0_15gpu_kernel_implIZZZNS0_12_GLOBAL__N_119launch_clamp_scalarERNS_18TensorIteratorBaseEN3c106ScalarES7_NS0_6detail11ClampLimitsEENKUlvE_clEvENKUlvE7_clEvEUlNS6_8BFloat16EE_EEvS5_RKT_EUlibE_EEviT1_,@function
_ZN2at6native32elementwise_kernel_manual_unrollILi128ELi4EZNS0_15gpu_kernel_implIZZZNS0_12_GLOBAL__N_119launch_clamp_scalarERNS_18TensorIteratorBaseEN3c106ScalarES7_NS0_6detail11ClampLimitsEENKUlvE_clEvENKUlvE7_clEvEUlNS6_8BFloat16EE_EEvS5_RKT_EUlibE_EEviT1_: ; @_ZN2at6native32elementwise_kernel_manual_unrollILi128ELi4EZNS0_15gpu_kernel_implIZZZNS0_12_GLOBAL__N_119launch_clamp_scalarERNS_18TensorIteratorBaseEN3c106ScalarES7_NS0_6detail11ClampLimitsEENKUlvE_clEvENKUlvE7_clEvEUlNS6_8BFloat16EE_EEvS5_RKT_EUlibE_EEviT1_
; %bb.0:
	s_load_b64 s[2:3], s[0:1], 0x28
	s_bfe_u32 s4, ttmp6, 0x4000c
	s_load_b32 s15, s[0:1], 0x0
	s_add_co_i32 s12, s4, 1
	s_load_b256 s[4:11], s[0:1], 0x8
	s_and_b32 s13, ttmp6, 15
	s_wait_xcnt 0x0
	s_mul_i32 s0, ttmp9, s12
	s_getreg_b32 s14, hwreg(HW_REG_IB_STS2, 6, 4)
	s_add_co_i32 s13, s13, s0
	s_mov_b32 s1, 0
	s_wait_kmcnt 0x0
	s_bfe_u32 s12, s3, 0x80008
	s_cmp_eq_u32 s14, 0
	s_mov_b32 s14, 0
	s_cselect_b32 s0, ttmp9, s13
	s_delay_alu instid0(SALU_CYCLE_1) | instskip(SKIP_1) | instid1(VALU_DEP_1)
	v_lshl_or_b32 v4, s0, 9, v0
	s_mov_b32 s0, exec_lo
	v_or_b32_e32 v0, 0x180, v4
	s_delay_alu instid0(VALU_DEP_1)
	v_cmpx_le_i32_e64 s15, v0
	s_xor_b32 s13, exec_lo, s0
	s_cbranch_execz .LBB238_1080
; %bb.1:
	s_mov_b32 s20, -1
	s_mov_b32 s18, 0
	s_mov_b32 s16, 0
	s_mov_b32 s17, exec_lo
	v_cmpx_gt_i32_e64 s15, v4
	s_cbranch_execz .LBB238_264
; %bb.2:
	v_mul_lo_u32 v0, v4, s9
	s_and_b32 s0, 0xffff, s12
	s_delay_alu instid0(SALU_CYCLE_1) | instskip(NEXT) | instid1(VALU_DEP_1)
	s_cmp_lt_i32 s0, 11
	v_ashrrev_i32_e32 v1, 31, v0
	s_delay_alu instid0(VALU_DEP_1)
	v_add_nc_u64_e32 v[0:1], s[6:7], v[0:1]
	s_cbranch_scc1 .LBB238_9
; %bb.3:
	s_cmp_gt_i32 s0, 25
	s_cbranch_scc0 .LBB238_15
; %bb.4:
	s_cmp_gt_i32 s0, 28
	s_cbranch_scc0 .LBB238_16
	;; [unrolled: 3-line block ×4, first 2 shown]
; %bb.7:
	s_cmp_eq_u32 s0, 46
	s_mov_b32 s19, 0
	s_cbranch_scc0 .LBB238_39
; %bb.8:
	global_load_b32 v2, v[0:1], off
	s_mov_b32 s14, -1
	s_branch .LBB238_41
.LBB238_9:
                                        ; implicit-def: $vgpr2
	s_cbranch_execnz .LBB238_214
.LBB238_10:
	s_and_not1_b32 vcc_lo, exec_lo, s14
	s_cbranch_vccnz .LBB238_261
.LBB238_11:
	s_wait_loadcnt 0x0
	s_delay_alu instid0(VALU_DEP_1) | instskip(SKIP_1) | instid1(VALU_DEP_1)
	v_lshlrev_b32_e32 v0, 16, v2
	s_mov_b32 s0, exec_lo
	v_cmpx_o_f32_e32 v0, v0
	s_cbranch_execz .LBB238_26
; %bb.12:
	s_cmp_lt_i32 s10, 1
	s_mov_b32 s14, 0
	s_cbranch_scc1 .LBB238_17
; %bb.13:
	s_cmp_eq_u32 s10, 1
	s_cbranch_scc0 .LBB238_21
; %bb.14:
	v_max_num_f32_e64 v1, s11, s11
	v_max_num_f32_e32 v2, v0, v0
	s_mov_b32 s19, 0
	s_delay_alu instid0(VALU_DEP_1) | instskip(NEXT) | instid1(VALU_DEP_1)
	v_min_num_f32_e32 v1, v2, v1
	v_bfe_u32 v2, v1, 16, 1
	s_delay_alu instid0(VALU_DEP_1) | instskip(NEXT) | instid1(VALU_DEP_1)
	v_add3_u32 v1, v1, v2, 0x7fff
	v_lshrrev_b32_e32 v2, 16, v1
	s_branch .LBB238_22
.LBB238_15:
                                        ; implicit-def: $vgpr2
	s_cbranch_execnz .LBB238_179
	s_branch .LBB238_213
.LBB238_16:
	s_mov_b32 s19, -1
                                        ; implicit-def: $vgpr2
	s_branch .LBB238_160
.LBB238_17:
	s_mov_b32 s19, 0
                                        ; implicit-def: $vgpr2
	s_cbranch_execnz .LBB238_23
.LBB238_18:
	v_max_num_f32_e32 v0, v0, v0
	s_and_not1_b32 vcc_lo, exec_lo, s19
	s_cbranch_vccnz .LBB238_24
.LBB238_19:
	v_max_num_f32_e64 v1, s11, s11
	v_max_num_f32_e64 v2, s2, s2
	s_delay_alu instid0(VALU_DEP_1) | instskip(NEXT) | instid1(VALU_DEP_1)
	v_maxmin_num_f32 v1, v0, v1, v2
	v_bfe_u32 v2, v1, 16, 1
	s_delay_alu instid0(VALU_DEP_1) | instskip(NEXT) | instid1(VALU_DEP_1)
	v_add3_u32 v1, v1, v2, 0x7fff
	v_lshrrev_b32_e32 v2, 16, v1
	s_cbranch_execz .LBB238_25
	s_branch .LBB238_26
.LBB238_20:
	s_mov_b32 s19, -1
                                        ; implicit-def: $vgpr2
	s_branch .LBB238_155
.LBB238_21:
	s_mov_b32 s19, -1
                                        ; implicit-def: $vgpr2
.LBB238_22:
	s_branch .LBB238_18
.LBB238_23:
	s_cmp_lg_u32 s10, 0
	s_mov_b32 s14, -1
	s_cselect_b32 s19, -1, 0
	v_max_num_f32_e32 v0, v0, v0
	s_and_not1_b32 vcc_lo, exec_lo, s19
	s_cbranch_vccz .LBB238_19
.LBB238_24:
	s_and_not1_b32 vcc_lo, exec_lo, s14
	s_cbranch_vccnz .LBB238_26
.LBB238_25:
	v_max_num_f32_e64 v1, s11, s11
	s_delay_alu instid0(VALU_DEP_1) | instskip(NEXT) | instid1(VALU_DEP_1)
	v_max_num_f32_e32 v0, v0, v1
	v_bfe_u32 v1, v0, 16, 1
	s_delay_alu instid0(VALU_DEP_1) | instskip(NEXT) | instid1(VALU_DEP_1)
	v_add3_u32 v0, v0, v1, 0x7fff
	v_lshrrev_b32_e32 v2, 16, v0
.LBB238_26:
	s_or_b32 exec_lo, exec_lo, s0
	v_mul_lo_u32 v0, v4, s8
	s_and_b32 s14, s3, 0xff
	s_delay_alu instid0(SALU_CYCLE_1) | instskip(NEXT) | instid1(VALU_DEP_1)
	s_cmp_lt_i32 s14, 11
	v_ashrrev_i32_e32 v1, 31, v0
	s_delay_alu instid0(VALU_DEP_1)
	v_add_nc_u64_e32 v[0:1], s[4:5], v[0:1]
	s_cbranch_scc1 .LBB238_33
; %bb.27:
	s_and_b32 s19, 0xffff, s14
	s_delay_alu instid0(SALU_CYCLE_1)
	s_cmp_gt_i32 s19, 25
	s_cbranch_scc0 .LBB238_35
; %bb.28:
	s_cmp_gt_i32 s19, 28
	s_cbranch_scc0 .LBB238_36
; %bb.29:
	;; [unrolled: 3-line block ×4, first 2 shown]
	s_mov_b32 s21, 0
	s_mov_b32 s0, -1
	s_cmp_eq_u32 s19, 46
	s_mov_b32 s20, 0
	s_cbranch_scc0 .LBB238_45
; %bb.32:
	v_and_b32_e32 v3, 0xffff, v2
	s_mov_b32 s20, -1
	s_mov_b32 s0, 0
	global_store_b32 v[0:1], v3, off
	s_branch .LBB238_45
.LBB238_33:
	s_mov_b32 s0, 0
	s_mov_b32 s20, 0
	s_cbranch_execnz .LBB238_114
.LBB238_34:
	s_and_not1_b32 vcc_lo, exec_lo, s20
	s_cbranch_vccnz .LBB238_262
	s_branch .LBB238_152
.LBB238_35:
	s_mov_b32 s21, -1
	s_mov_b32 s0, 0
	s_mov_b32 s20, 0
	s_branch .LBB238_72
.LBB238_36:
	s_mov_b32 s21, -1
	s_mov_b32 s0, 0
	s_mov_b32 s20, 0
	s_branch .LBB238_55
.LBB238_37:
	s_mov_b32 s19, -1
	s_branch .LBB238_40
.LBB238_38:
	s_mov_b32 s21, -1
	s_mov_b32 s0, 0
	s_mov_b32 s20, 0
	s_branch .LBB238_51
.LBB238_39:
	s_mov_b32 s16, -1
.LBB238_40:
                                        ; implicit-def: $vgpr2
.LBB238_41:
	s_and_b32 vcc_lo, exec_lo, s19
	s_cbranch_vccz .LBB238_154
; %bb.42:
	s_cmp_eq_u32 s0, 44
	s_cbranch_scc0 .LBB238_153
; %bb.43:
	s_wait_loadcnt 0x0
	global_load_u8 v2, v[0:1], off
	s_mov_b32 s16, 0
	s_mov_b32 s14, -1
	s_wait_loadcnt 0x0
	v_lshlrev_b32_e32 v3, 23, v2
	v_cmp_ne_u32_e32 vcc_lo, 0xff, v2
	s_delay_alu instid0(VALU_DEP_2) | instskip(SKIP_1) | instid1(VALU_DEP_2)
	v_cndmask_b32_e32 v3, 0x7f800001, v3, vcc_lo
	v_cmp_ne_u32_e32 vcc_lo, 0, v2
	v_cndmask_b32_e32 v2, 0x400000, v3, vcc_lo
	s_delay_alu instid0(VALU_DEP_1) | instskip(NEXT) | instid1(VALU_DEP_1)
	v_add_nc_u32_e32 v3, 0x7fff, v2
	v_lshrrev_b32_e32 v3, 16, v3
	v_cmp_o_f32_e32 vcc_lo, v2, v2
	s_delay_alu instid0(VALU_DEP_2)
	v_cndmask_b32_e32 v2, 0x7fc0, v3, vcc_lo
	s_branch .LBB238_154
.LBB238_44:
	s_mov_b32 s21, -1
	s_mov_b32 s0, 0
	s_mov_b32 s20, 0
.LBB238_45:
	s_and_b32 vcc_lo, exec_lo, s21
	s_cbranch_vccz .LBB238_50
; %bb.46:
	s_cmp_eq_u32 s19, 44
	s_mov_b32 s0, -1
	s_cbranch_scc0 .LBB238_50
; %bb.47:
	s_wait_xcnt 0x0
	v_and_b32_e32 v3, 0xffff, v2
	v_mov_b32_e32 v5, 0xff
	s_mov_b32 s20, exec_lo
	s_delay_alu instid0(VALU_DEP_2) | instskip(NEXT) | instid1(VALU_DEP_1)
	v_bfe_u32 v6, v3, 7, 8
	v_cmpx_ne_u32_e32 0xff, v6
	s_cbranch_execz .LBB238_49
; %bb.48:
	v_dual_lshlrev_b32 v5, 16, v3 :: v_dual_bitop2_b32 v7, 64, v3 bitop3:0x40
	v_lshrrev_b32_e32 v3, 7, v3
	s_delay_alu instid0(VALU_DEP_2) | instskip(NEXT) | instid1(VALU_DEP_3)
	v_and_or_b32 v5, 0x3f0000, v5, v6
	v_cmp_ne_u32_e32 vcc_lo, 0, v7
	s_delay_alu instid0(VALU_DEP_2) | instskip(SKIP_1) | instid1(SALU_CYCLE_1)
	v_cmp_ne_u32_e64 s0, 0, v5
	s_and_b32 s0, vcc_lo, s0
	v_cndmask_b32_e64 v5, 0, 1, s0
	s_delay_alu instid0(VALU_DEP_1)
	v_add_nc_u32_e32 v5, v3, v5
.LBB238_49:
	s_or_b32 exec_lo, exec_lo, s20
	s_mov_b32 s20, -1
	s_mov_b32 s0, 0
	global_store_b8 v[0:1], v5, off
.LBB238_50:
	s_mov_b32 s21, 0
.LBB238_51:
	s_delay_alu instid0(SALU_CYCLE_1)
	s_and_b32 vcc_lo, exec_lo, s21
	s_cbranch_vccz .LBB238_54
; %bb.52:
	s_cmp_eq_u32 s19, 29
	s_mov_b32 s0, -1
	s_cbranch_scc0 .LBB238_54
; %bb.53:
	s_wait_xcnt 0x0
	v_lshlrev_b32_e32 v3, 16, v2
	s_mov_b32 s20, -1
	s_mov_b32 s0, 0
	s_mov_b32 s21, 0
	s_delay_alu instid0(VALU_DEP_1) | instskip(NEXT) | instid1(VALU_DEP_1)
	v_trunc_f32_e32 v3, v3
	v_mul_f32_e32 v5, 0x2f800000, v3
	s_delay_alu instid0(VALU_DEP_1) | instskip(NEXT) | instid1(VALU_DEP_1)
	v_floor_f32_e32 v5, v5
	v_fmamk_f32 v3, v5, 0xcf800000, v3
	v_cvt_u32_f32_e32 v7, v5
	s_delay_alu instid0(VALU_DEP_2)
	v_cvt_u32_f32_e32 v6, v3
	global_store_b64 v[0:1], v[6:7], off
	s_branch .LBB238_55
.LBB238_54:
	s_mov_b32 s21, 0
.LBB238_55:
	s_delay_alu instid0(SALU_CYCLE_1)
	s_and_b32 vcc_lo, exec_lo, s21
	s_cbranch_vccz .LBB238_71
; %bb.56:
	s_cmp_lt_i32 s19, 27
	s_mov_b32 s20, -1
	s_cbranch_scc1 .LBB238_62
; %bb.57:
	s_cmp_gt_i32 s19, 27
	s_cbranch_scc0 .LBB238_59
; %bb.58:
	s_wait_xcnt 0x0
	v_lshlrev_b32_e32 v3, 16, v2
	s_mov_b32 s20, 0
	s_delay_alu instid0(VALU_DEP_1)
	v_cvt_u32_f32_e32 v3, v3
	global_store_b32 v[0:1], v3, off
.LBB238_59:
	s_and_not1_b32 vcc_lo, exec_lo, s20
	s_cbranch_vccnz .LBB238_61
; %bb.60:
	s_wait_xcnt 0x0
	v_lshlrev_b32_e32 v3, 16, v2
	s_delay_alu instid0(VALU_DEP_1)
	v_cvt_u32_f32_e32 v3, v3
	global_store_b16 v[0:1], v3, off
.LBB238_61:
	s_mov_b32 s20, 0
.LBB238_62:
	s_delay_alu instid0(SALU_CYCLE_1)
	s_and_not1_b32 vcc_lo, exec_lo, s20
	s_cbranch_vccnz .LBB238_70
; %bb.63:
	s_wait_xcnt 0x0
	v_dual_mov_b32 v7, 0x80 :: v_dual_lshlrev_b32 v6, 16, v2
	s_mov_b32 s20, exec_lo
	s_delay_alu instid0(VALU_DEP_1) | instskip(NEXT) | instid1(VALU_DEP_1)
	v_and_b32_e32 v5, 0x7fffffff, v6
	v_cmpx_gt_u32_e32 0x43800000, v5
	s_cbranch_execz .LBB238_69
; %bb.64:
	v_and_b32_e32 v3, 0xffff, v2
	v_cmp_lt_u32_e32 vcc_lo, 0x3bffffff, v5
	s_mov_b32 s21, 0
                                        ; implicit-def: $vgpr5
	s_and_saveexec_b32 s22, vcc_lo
	s_delay_alu instid0(SALU_CYCLE_1)
	s_xor_b32 s22, exec_lo, s22
	s_cbranch_execz .LBB238_304
; %bb.65:
	v_bfe_u32 v5, v3, 4, 1
	s_mov_b32 s21, exec_lo
	s_delay_alu instid0(VALU_DEP_1) | instskip(NEXT) | instid1(VALU_DEP_1)
	v_add3_u32 v5, v6, v5, 0x487ffff
                                        ; implicit-def: $vgpr6
	v_lshrrev_b32_e32 v5, 20, v5
	s_and_not1_saveexec_b32 s22, s22
	s_cbranch_execnz .LBB238_305
.LBB238_66:
	s_or_b32 exec_lo, exec_lo, s22
	v_mov_b32_e32 v7, 0
	s_and_saveexec_b32 s22, s21
.LBB238_67:
	v_lshrrev_b32_e32 v3, 8, v3
	s_delay_alu instid0(VALU_DEP_1)
	v_and_or_b32 v7, 0x80, v3, v5
.LBB238_68:
	s_or_b32 exec_lo, exec_lo, s22
.LBB238_69:
	s_delay_alu instid0(SALU_CYCLE_1)
	s_or_b32 exec_lo, exec_lo, s20
	global_store_b8 v[0:1], v7, off
.LBB238_70:
	s_mov_b32 s20, -1
.LBB238_71:
	s_mov_b32 s21, 0
.LBB238_72:
	s_delay_alu instid0(SALU_CYCLE_1)
	s_and_b32 vcc_lo, exec_lo, s21
	s_cbranch_vccz .LBB238_113
; %bb.73:
	s_cmp_gt_i32 s19, 22
	s_mov_b32 s21, -1
	s_cbranch_scc0 .LBB238_105
; %bb.74:
	s_cmp_lt_i32 s19, 24
	s_mov_b32 s20, -1
	s_cbranch_scc1 .LBB238_94
; %bb.75:
	s_cmp_gt_i32 s19, 24
	s_cbranch_scc0 .LBB238_83
; %bb.76:
	s_wait_xcnt 0x0
	v_dual_mov_b32 v7, 0x80 :: v_dual_lshlrev_b32 v6, 16, v2
	s_mov_b32 s20, exec_lo
	s_delay_alu instid0(VALU_DEP_1) | instskip(NEXT) | instid1(VALU_DEP_1)
	v_and_b32_e32 v5, 0x7fffffff, v6
	v_cmpx_gt_u32_e32 0x47800000, v5
	s_cbranch_execz .LBB238_82
; %bb.77:
	v_and_b32_e32 v3, 0xffff, v2
	v_cmp_lt_u32_e32 vcc_lo, 0x37ffffff, v5
	s_mov_b32 s21, 0
                                        ; implicit-def: $vgpr5
	s_and_saveexec_b32 s22, vcc_lo
	s_delay_alu instid0(SALU_CYCLE_1)
	s_xor_b32 s22, exec_lo, s22
	s_cbranch_execz .LBB238_308
; %bb.78:
	v_bfe_u32 v5, v3, 5, 1
	s_mov_b32 s21, exec_lo
	s_delay_alu instid0(VALU_DEP_1) | instskip(NEXT) | instid1(VALU_DEP_1)
	v_add3_u32 v5, v6, v5, 0x88fffff
                                        ; implicit-def: $vgpr6
	v_lshrrev_b32_e32 v5, 21, v5
	s_and_not1_saveexec_b32 s22, s22
	s_cbranch_execnz .LBB238_309
.LBB238_79:
	s_or_b32 exec_lo, exec_lo, s22
	v_mov_b32_e32 v7, 0
	s_and_saveexec_b32 s22, s21
.LBB238_80:
	v_lshrrev_b32_e32 v3, 8, v3
	s_delay_alu instid0(VALU_DEP_1)
	v_and_or_b32 v7, 0x80, v3, v5
.LBB238_81:
	s_or_b32 exec_lo, exec_lo, s22
.LBB238_82:
	s_delay_alu instid0(SALU_CYCLE_1)
	s_or_b32 exec_lo, exec_lo, s20
	s_mov_b32 s20, 0
	global_store_b8 v[0:1], v7, off
.LBB238_83:
	s_and_b32 vcc_lo, exec_lo, s20
	s_cbranch_vccz .LBB238_93
; %bb.84:
	s_wait_xcnt 0x0
	v_lshlrev_b32_e32 v6, 16, v2
	v_and_b32_e32 v3, 0xffff, v2
	s_mov_b32 s20, exec_lo
                                        ; implicit-def: $vgpr5
	s_delay_alu instid0(VALU_DEP_2) | instskip(NEXT) | instid1(VALU_DEP_1)
	v_and_b32_e32 v7, 0x7fffffff, v6
	v_cmpx_gt_u32_e32 0x43f00000, v7
	s_xor_b32 s20, exec_lo, s20
	s_cbranch_execz .LBB238_90
; %bb.85:
	s_mov_b32 s21, exec_lo
                                        ; implicit-def: $vgpr5
	v_cmpx_lt_u32_e32 0x3c7fffff, v7
	s_xor_b32 s21, exec_lo, s21
; %bb.86:
	v_bfe_u32 v5, v3, 4, 1
	s_delay_alu instid0(VALU_DEP_1) | instskip(NEXT) | instid1(VALU_DEP_1)
	v_add3_u32 v5, v6, v5, 0x407ffff
	v_and_b32_e32 v6, 0xff00000, v5
	v_lshrrev_b32_e32 v5, 20, v5
	s_delay_alu instid0(VALU_DEP_2) | instskip(NEXT) | instid1(VALU_DEP_2)
	v_cmp_ne_u32_e32 vcc_lo, 0x7f00000, v6
                                        ; implicit-def: $vgpr6
	v_cndmask_b32_e32 v5, 0x7e, v5, vcc_lo
; %bb.87:
	s_and_not1_saveexec_b32 s21, s21
; %bb.88:
	v_add_f32_e64 v5, 0x46800000, |v6|
; %bb.89:
	s_or_b32 exec_lo, exec_lo, s21
                                        ; implicit-def: $vgpr7
.LBB238_90:
	s_and_not1_saveexec_b32 s20, s20
; %bb.91:
	v_mov_b32_e32 v5, 0x7f
	v_cmp_lt_u32_e32 vcc_lo, 0x7f800000, v7
	s_delay_alu instid0(VALU_DEP_2)
	v_cndmask_b32_e32 v5, 0x7e, v5, vcc_lo
; %bb.92:
	s_or_b32 exec_lo, exec_lo, s20
	v_lshrrev_b32_e32 v3, 8, v3
	s_delay_alu instid0(VALU_DEP_1)
	v_and_or_b32 v3, 0x80, v3, v5
	global_store_b8 v[0:1], v3, off
.LBB238_93:
	s_mov_b32 s20, 0
.LBB238_94:
	s_delay_alu instid0(SALU_CYCLE_1)
	s_and_not1_b32 vcc_lo, exec_lo, s20
	s_cbranch_vccnz .LBB238_104
; %bb.95:
	s_wait_xcnt 0x0
	v_lshlrev_b32_e32 v6, 16, v2
	v_and_b32_e32 v3, 0xffff, v2
	s_mov_b32 s20, exec_lo
                                        ; implicit-def: $vgpr5
	s_delay_alu instid0(VALU_DEP_2) | instskip(NEXT) | instid1(VALU_DEP_1)
	v_and_b32_e32 v7, 0x7fffffff, v6
	v_cmpx_gt_u32_e32 0x47800000, v7
	s_xor_b32 s20, exec_lo, s20
	s_cbranch_execz .LBB238_101
; %bb.96:
	s_mov_b32 s21, exec_lo
                                        ; implicit-def: $vgpr5
	v_cmpx_lt_u32_e32 0x387fffff, v7
	s_xor_b32 s21, exec_lo, s21
; %bb.97:
	v_bfe_u32 v5, v3, 5, 1
	s_delay_alu instid0(VALU_DEP_1) | instskip(NEXT) | instid1(VALU_DEP_1)
	v_add3_u32 v5, v6, v5, 0x80fffff
                                        ; implicit-def: $vgpr6
	v_lshrrev_b32_e32 v5, 21, v5
; %bb.98:
	s_and_not1_saveexec_b32 s21, s21
; %bb.99:
	v_add_f32_e64 v5, 0x43000000, |v6|
; %bb.100:
	s_or_b32 exec_lo, exec_lo, s21
                                        ; implicit-def: $vgpr7
.LBB238_101:
	s_and_not1_saveexec_b32 s20, s20
; %bb.102:
	v_mov_b32_e32 v5, 0x7f
	v_cmp_lt_u32_e32 vcc_lo, 0x7f800000, v7
	s_delay_alu instid0(VALU_DEP_2)
	v_cndmask_b32_e32 v5, 0x7c, v5, vcc_lo
; %bb.103:
	s_or_b32 exec_lo, exec_lo, s20
	v_lshrrev_b32_e32 v3, 8, v3
	s_delay_alu instid0(VALU_DEP_1)
	v_and_or_b32 v3, 0x80, v3, v5
	global_store_b8 v[0:1], v3, off
.LBB238_104:
	s_mov_b32 s21, 0
	s_mov_b32 s20, -1
.LBB238_105:
	s_and_not1_b32 vcc_lo, exec_lo, s21
	s_cbranch_vccnz .LBB238_113
; %bb.106:
	s_cmp_gt_i32 s19, 14
	s_mov_b32 s21, -1
	s_cbranch_scc0 .LBB238_110
; %bb.107:
	s_cmp_eq_u32 s19, 15
	s_mov_b32 s0, -1
	s_cbranch_scc0 .LBB238_109
; %bb.108:
	s_mov_b32 s20, -1
	s_mov_b32 s0, 0
	global_store_b16 v[0:1], v2, off
.LBB238_109:
	s_mov_b32 s21, 0
.LBB238_110:
	s_delay_alu instid0(SALU_CYCLE_1)
	s_and_b32 vcc_lo, exec_lo, s21
	s_cbranch_vccz .LBB238_113
; %bb.111:
	s_cmp_eq_u32 s19, 11
	s_mov_b32 s0, -1
	s_cbranch_scc0 .LBB238_113
; %bb.112:
	s_wait_xcnt 0x0
	v_and_b32_e32 v3, 0x7fff, v2
	s_mov_b32 s0, 0
	s_mov_b32 s20, -1
	s_delay_alu instid0(VALU_DEP_1)
	v_cmp_ne_u16_e32 vcc_lo, 0, v3
	v_cndmask_b32_e64 v3, 0, 1, vcc_lo
	global_store_b8 v[0:1], v3, off
.LBB238_113:
	s_branch .LBB238_34
.LBB238_114:
	s_and_b32 s14, 0xffff, s14
	s_mov_b32 s19, -1
	s_cmp_lt_i32 s14, 5
	s_cbranch_scc1 .LBB238_135
; %bb.115:
	s_cmp_lt_i32 s14, 8
	s_cbranch_scc1 .LBB238_125
; %bb.116:
	;; [unrolled: 3-line block ×3, first 2 shown]
	s_cmp_gt_i32 s14, 9
	s_cbranch_scc0 .LBB238_119
; %bb.118:
	s_wait_xcnt 0x0
	v_dual_mov_b32 v8, 0 :: v_dual_lshlrev_b32 v3, 16, v2
	s_mov_b32 s19, 0
	s_delay_alu instid0(VALU_DEP_1) | instskip(NEXT) | instid1(VALU_DEP_2)
	v_cvt_f64_f32_e32 v[6:7], v3
	v_mov_b32_e32 v9, v8
	global_store_b128 v[0:1], v[6:9], off
.LBB238_119:
	s_and_not1_b32 vcc_lo, exec_lo, s19
	s_cbranch_vccnz .LBB238_121
; %bb.120:
	s_wait_xcnt 0x0
	v_dual_mov_b32 v7, 0 :: v_dual_lshlrev_b32 v6, 16, v2
	global_store_b64 v[0:1], v[6:7], off
.LBB238_121:
	s_mov_b32 s19, 0
.LBB238_122:
	s_delay_alu instid0(SALU_CYCLE_1)
	s_and_not1_b32 vcc_lo, exec_lo, s19
	s_cbranch_vccnz .LBB238_124
; %bb.123:
	s_wait_xcnt 0x0
	v_lshlrev_b32_e32 v3, 16, v2
	s_delay_alu instid0(VALU_DEP_1) | instskip(NEXT) | instid1(VALU_DEP_1)
	v_cvt_f16_f32_e32 v3, v3
	v_and_b32_e32 v3, 0xffff, v3
	global_store_b32 v[0:1], v3, off
.LBB238_124:
	s_mov_b32 s19, 0
.LBB238_125:
	s_delay_alu instid0(SALU_CYCLE_1)
	s_and_not1_b32 vcc_lo, exec_lo, s19
	s_cbranch_vccnz .LBB238_134
; %bb.126:
	s_cmp_lt_i32 s14, 6
	s_mov_b32 s19, -1
	s_cbranch_scc1 .LBB238_132
; %bb.127:
	s_cmp_gt_i32 s14, 6
	s_cbranch_scc0 .LBB238_129
; %bb.128:
	s_wait_xcnt 0x0
	v_lshlrev_b32_e32 v3, 16, v2
	s_mov_b32 s19, 0
	s_delay_alu instid0(VALU_DEP_1)
	v_cvt_f64_f32_e32 v[6:7], v3
	global_store_b64 v[0:1], v[6:7], off
.LBB238_129:
	s_and_not1_b32 vcc_lo, exec_lo, s19
	s_cbranch_vccnz .LBB238_131
; %bb.130:
	s_wait_xcnt 0x0
	v_lshlrev_b32_e32 v3, 16, v2
	global_store_b32 v[0:1], v3, off
.LBB238_131:
	s_mov_b32 s19, 0
.LBB238_132:
	s_delay_alu instid0(SALU_CYCLE_1)
	s_and_not1_b32 vcc_lo, exec_lo, s19
	s_cbranch_vccnz .LBB238_134
; %bb.133:
	s_wait_xcnt 0x0
	v_lshlrev_b32_e32 v3, 16, v2
	s_delay_alu instid0(VALU_DEP_1)
	v_cvt_f16_f32_e32 v3, v3
	global_store_b16 v[0:1], v3, off
.LBB238_134:
	s_mov_b32 s19, 0
.LBB238_135:
	s_delay_alu instid0(SALU_CYCLE_1)
	s_and_not1_b32 vcc_lo, exec_lo, s19
	s_cbranch_vccnz .LBB238_151
; %bb.136:
	s_cmp_lt_i32 s14, 2
	s_mov_b32 s19, -1
	s_cbranch_scc1 .LBB238_146
; %bb.137:
	s_cmp_lt_i32 s14, 3
	s_cbranch_scc1 .LBB238_143
; %bb.138:
	s_cmp_gt_i32 s14, 3
	s_cbranch_scc0 .LBB238_140
; %bb.139:
	s_wait_xcnt 0x0
	v_lshlrev_b32_e32 v3, 16, v2
	s_mov_b32 s19, 0
	s_delay_alu instid0(VALU_DEP_1) | instskip(NEXT) | instid1(VALU_DEP_1)
	v_trunc_f32_e32 v3, v3
	v_mul_f32_e64 v5, 0x2f800000, |v3|
	v_ashrrev_i32_e32 v6, 31, v3
	s_delay_alu instid0(VALU_DEP_2) | instskip(NEXT) | instid1(VALU_DEP_1)
	v_floor_f32_e32 v5, v5
	v_fma_f32 v7, 0xcf800000, v5, |v3|
	v_cvt_u32_f32_e32 v3, v5
	s_delay_alu instid0(VALU_DEP_2) | instskip(NEXT) | instid1(VALU_DEP_2)
	v_cvt_u32_f32_e32 v5, v7
	v_dual_mov_b32 v7, v6 :: v_dual_bitop2_b32 v9, v3, v6 bitop3:0x14
	s_delay_alu instid0(VALU_DEP_2) | instskip(NEXT) | instid1(VALU_DEP_1)
	v_xor_b32_e32 v8, v5, v6
	v_sub_nc_u64_e32 v[6:7], v[8:9], v[6:7]
	global_store_b64 v[0:1], v[6:7], off
.LBB238_140:
	s_and_not1_b32 vcc_lo, exec_lo, s19
	s_cbranch_vccnz .LBB238_142
; %bb.141:
	s_wait_xcnt 0x0
	v_lshlrev_b32_e32 v3, 16, v2
	s_delay_alu instid0(VALU_DEP_1)
	v_cvt_i32_f32_e32 v3, v3
	global_store_b32 v[0:1], v3, off
.LBB238_142:
	s_mov_b32 s19, 0
.LBB238_143:
	s_delay_alu instid0(SALU_CYCLE_1)
	s_and_not1_b32 vcc_lo, exec_lo, s19
	s_cbranch_vccnz .LBB238_145
; %bb.144:
	s_wait_xcnt 0x0
	v_lshlrev_b32_e32 v3, 16, v2
	s_delay_alu instid0(VALU_DEP_1)
	v_cvt_i32_f32_e32 v3, v3
	global_store_b16 v[0:1], v3, off
.LBB238_145:
	s_mov_b32 s19, 0
.LBB238_146:
	s_delay_alu instid0(SALU_CYCLE_1)
	s_and_not1_b32 vcc_lo, exec_lo, s19
	s_cbranch_vccnz .LBB238_151
; %bb.147:
	s_wait_xcnt 0x0
	v_lshlrev_b32_e32 v2, 16, v2
	s_cmp_gt_i32 s14, 0
	s_mov_b32 s14, -1
	s_cbranch_scc0 .LBB238_149
; %bb.148:
	s_delay_alu instid0(VALU_DEP_1)
	v_cvt_i32_f32_e32 v3, v2
	s_mov_b32 s14, 0
	global_store_b8 v[0:1], v3, off
.LBB238_149:
	s_and_not1_b32 vcc_lo, exec_lo, s14
	s_cbranch_vccnz .LBB238_151
; %bb.150:
	v_trunc_f32_e32 v2, v2
	s_wait_xcnt 0x0
	s_delay_alu instid0(VALU_DEP_1) | instskip(NEXT) | instid1(VALU_DEP_1)
	v_mul_f32_e64 v3, 0x2f800000, |v2|
	v_floor_f32_e32 v3, v3
	s_delay_alu instid0(VALU_DEP_1) | instskip(SKIP_1) | instid1(VALU_DEP_2)
	v_fma_f32 v3, 0xcf800000, v3, |v2|
	v_ashrrev_i32_e32 v2, 31, v2
	v_cvt_u32_f32_e32 v3, v3
	s_delay_alu instid0(VALU_DEP_1) | instskip(NEXT) | instid1(VALU_DEP_1)
	v_xor_b32_e32 v3, v3, v2
	v_sub_nc_u32_e32 v2, v3, v2
	global_store_b8 v[0:1], v2, off
.LBB238_151:
.LBB238_152:
	v_add_nc_u32_e32 v4, 0x80, v4
	s_mov_b32 s19, -1
	s_branch .LBB238_263
.LBB238_153:
	s_mov_b32 s16, -1
                                        ; implicit-def: $vgpr2
.LBB238_154:
	s_mov_b32 s19, 0
.LBB238_155:
	s_delay_alu instid0(SALU_CYCLE_1)
	s_and_b32 vcc_lo, exec_lo, s19
	s_cbranch_vccz .LBB238_159
; %bb.156:
	s_cmp_eq_u32 s0, 29
	s_cbranch_scc0 .LBB238_158
; %bb.157:
	s_wait_loadcnt 0x0
	global_load_b64 v[2:3], v[0:1], off
	s_mov_b32 s14, -1
	s_mov_b32 s16, 0
	s_mov_b32 s19, 0
	s_wait_loadcnt 0x0
	v_clz_i32_u32_e32 v5, v3
	s_delay_alu instid0(VALU_DEP_1) | instskip(NEXT) | instid1(VALU_DEP_1)
	v_min_u32_e32 v5, 32, v5
	v_lshlrev_b64_e32 v[2:3], v5, v[2:3]
	s_delay_alu instid0(VALU_DEP_1) | instskip(NEXT) | instid1(VALU_DEP_1)
	v_min_u32_e32 v2, 1, v2
	v_dual_sub_nc_u32 v3, 32, v5 :: v_dual_bitop2_b32 v2, v3, v2 bitop3:0x54
	s_delay_alu instid0(VALU_DEP_1) | instskip(NEXT) | instid1(VALU_DEP_1)
	v_cvt_f32_u32_e32 v2, v2
	v_ldexp_f32 v2, v2, v3
	s_delay_alu instid0(VALU_DEP_1) | instskip(NEXT) | instid1(VALU_DEP_1)
	v_bfe_u32 v3, v2, 16, 1
	v_add3_u32 v2, v2, v3, 0x7fff
	s_delay_alu instid0(VALU_DEP_1)
	v_lshrrev_b32_e32 v2, 16, v2
	s_branch .LBB238_160
.LBB238_158:
	s_mov_b32 s16, -1
                                        ; implicit-def: $vgpr2
.LBB238_159:
	s_mov_b32 s19, 0
.LBB238_160:
	s_delay_alu instid0(SALU_CYCLE_1)
	s_and_b32 vcc_lo, exec_lo, s19
	s_cbranch_vccz .LBB238_178
; %bb.161:
	s_cmp_lt_i32 s0, 27
	s_cbranch_scc1 .LBB238_164
; %bb.162:
	s_cmp_gt_i32 s0, 27
	s_cbranch_scc0 .LBB238_165
; %bb.163:
	s_wait_loadcnt 0x0
	global_load_b32 v2, v[0:1], off
	s_mov_b32 s14, 0
	s_wait_loadcnt 0x0
	v_cvt_f32_u32_e32 v2, v2
	s_delay_alu instid0(VALU_DEP_1) | instskip(NEXT) | instid1(VALU_DEP_1)
	v_bfe_u32 v3, v2, 16, 1
	v_add3_u32 v2, v2, v3, 0x7fff
	s_delay_alu instid0(VALU_DEP_1)
	v_lshrrev_b32_e32 v2, 16, v2
	s_branch .LBB238_166
.LBB238_164:
	s_mov_b32 s14, -1
                                        ; implicit-def: $vgpr2
	s_branch .LBB238_169
.LBB238_165:
	s_mov_b32 s14, -1
                                        ; implicit-def: $vgpr2
.LBB238_166:
	s_delay_alu instid0(SALU_CYCLE_1)
	s_and_not1_b32 vcc_lo, exec_lo, s14
	s_cbranch_vccnz .LBB238_168
; %bb.167:
	s_wait_loadcnt 0x0
	global_load_u16 v2, v[0:1], off
	s_wait_loadcnt 0x0
	v_cvt_f32_u32_e32 v2, v2
	s_delay_alu instid0(VALU_DEP_1) | instskip(NEXT) | instid1(VALU_DEP_1)
	v_bfe_u32 v3, v2, 16, 1
	v_add3_u32 v2, v2, v3, 0x7fff
	s_delay_alu instid0(VALU_DEP_1)
	v_lshrrev_b32_e32 v2, 16, v2
.LBB238_168:
	s_mov_b32 s14, 0
.LBB238_169:
	s_delay_alu instid0(SALU_CYCLE_1)
	s_and_not1_b32 vcc_lo, exec_lo, s14
	s_cbranch_vccnz .LBB238_177
; %bb.170:
	s_wait_loadcnt 0x0
	global_load_u8 v2, v[0:1], off
	s_mov_b32 s14, 0
	s_mov_b32 s19, exec_lo
	s_wait_loadcnt 0x0
	v_cmpx_lt_i16_e32 0x7f, v2
	s_xor_b32 s19, exec_lo, s19
	s_cbranch_execz .LBB238_190
; %bb.171:
	s_mov_b32 s14, -1
	s_mov_b32 s20, exec_lo
	v_cmpx_eq_u16_e32 0x80, v2
; %bb.172:
	s_xor_b32 s14, exec_lo, -1
; %bb.173:
	s_or_b32 exec_lo, exec_lo, s20
	s_delay_alu instid0(SALU_CYCLE_1)
	s_and_b32 s14, s14, exec_lo
	s_or_saveexec_b32 s19, s19
	v_mov_b32_e32 v3, 0x7f800001
	s_xor_b32 exec_lo, exec_lo, s19
	s_cbranch_execnz .LBB238_191
.LBB238_174:
	s_or_b32 exec_lo, exec_lo, s19
	s_and_saveexec_b32 s19, s14
	s_cbranch_execz .LBB238_176
.LBB238_175:
	v_and_b32_e32 v3, 0xffff, v2
	s_delay_alu instid0(VALU_DEP_1) | instskip(SKIP_1) | instid1(VALU_DEP_2)
	v_and_b32_e32 v5, 7, v3
	v_bfe_u32 v8, v3, 3, 4
	v_clz_i32_u32_e32 v6, v5
	s_delay_alu instid0(VALU_DEP_2) | instskip(NEXT) | instid1(VALU_DEP_2)
	v_cmp_eq_u32_e32 vcc_lo, 0, v8
	v_min_u32_e32 v6, 32, v6
	s_delay_alu instid0(VALU_DEP_1) | instskip(NEXT) | instid1(VALU_DEP_1)
	v_subrev_nc_u32_e32 v7, 28, v6
	v_dual_lshlrev_b32 v3, v7, v3 :: v_dual_sub_nc_u32 v6, 29, v6
	s_delay_alu instid0(VALU_DEP_1) | instskip(NEXT) | instid1(VALU_DEP_1)
	v_dual_lshlrev_b32 v2, 24, v2 :: v_dual_bitop2_b32 v3, 7, v3 bitop3:0x40
	v_dual_cndmask_b32 v3, v5, v3 :: v_dual_cndmask_b32 v6, v8, v6
	s_delay_alu instid0(VALU_DEP_2) | instskip(NEXT) | instid1(VALU_DEP_2)
	v_and_b32_e32 v2, 0x80000000, v2
	v_lshlrev_b32_e32 v3, 20, v3
	s_delay_alu instid0(VALU_DEP_3) | instskip(NEXT) | instid1(VALU_DEP_1)
	v_lshl_add_u32 v5, v6, 23, 0x3b800000
	v_or3_b32 v3, v2, v5, v3
.LBB238_176:
	s_or_b32 exec_lo, exec_lo, s19
	s_delay_alu instid0(VALU_DEP_1) | instskip(SKIP_1) | instid1(VALU_DEP_2)
	v_bfe_u32 v2, v3, 16, 1
	v_cmp_o_f32_e32 vcc_lo, v3, v3
	v_add3_u32 v2, v3, v2, 0x7fff
	s_delay_alu instid0(VALU_DEP_1) | instskip(NEXT) | instid1(VALU_DEP_1)
	v_lshrrev_b32_e32 v2, 16, v2
	v_cndmask_b32_e32 v2, 0x7fc0, v2, vcc_lo
.LBB238_177:
	s_mov_b32 s14, -1
.LBB238_178:
	s_branch .LBB238_213
.LBB238_179:
	s_cmp_gt_i32 s0, 22
	s_cbranch_scc0 .LBB238_189
; %bb.180:
	s_cmp_lt_i32 s0, 24
	s_cbranch_scc1 .LBB238_192
; %bb.181:
	s_cmp_gt_i32 s0, 24
	s_cbranch_scc0 .LBB238_193
; %bb.182:
	s_wait_loadcnt 0x0
	global_load_u8 v2, v[0:1], off
	s_mov_b32 s14, 0
	s_mov_b32 s19, exec_lo
	s_wait_loadcnt 0x0
	v_cmpx_lt_i16_e32 0x7f, v2
	s_xor_b32 s19, exec_lo, s19
	s_cbranch_execz .LBB238_205
; %bb.183:
	s_mov_b32 s14, -1
	s_mov_b32 s20, exec_lo
	v_cmpx_eq_u16_e32 0x80, v2
; %bb.184:
	s_xor_b32 s14, exec_lo, -1
; %bb.185:
	s_or_b32 exec_lo, exec_lo, s20
	s_delay_alu instid0(SALU_CYCLE_1)
	s_and_b32 s14, s14, exec_lo
	s_or_saveexec_b32 s19, s19
	v_mov_b32_e32 v3, 0x7f800001
	s_xor_b32 exec_lo, exec_lo, s19
	s_cbranch_execnz .LBB238_206
.LBB238_186:
	s_or_b32 exec_lo, exec_lo, s19
	s_and_saveexec_b32 s19, s14
	s_cbranch_execz .LBB238_188
.LBB238_187:
	v_and_b32_e32 v3, 0xffff, v2
	s_delay_alu instid0(VALU_DEP_1) | instskip(SKIP_1) | instid1(VALU_DEP_2)
	v_and_b32_e32 v5, 3, v3
	v_bfe_u32 v8, v3, 2, 5
	v_clz_i32_u32_e32 v6, v5
	s_delay_alu instid0(VALU_DEP_2) | instskip(NEXT) | instid1(VALU_DEP_2)
	v_cmp_eq_u32_e32 vcc_lo, 0, v8
	v_min_u32_e32 v6, 32, v6
	s_delay_alu instid0(VALU_DEP_1) | instskip(NEXT) | instid1(VALU_DEP_1)
	v_subrev_nc_u32_e32 v7, 29, v6
	v_dual_lshlrev_b32 v3, v7, v3 :: v_dual_sub_nc_u32 v6, 30, v6
	s_delay_alu instid0(VALU_DEP_1) | instskip(NEXT) | instid1(VALU_DEP_1)
	v_dual_lshlrev_b32 v2, 24, v2 :: v_dual_bitop2_b32 v3, 3, v3 bitop3:0x40
	v_dual_cndmask_b32 v3, v5, v3 :: v_dual_cndmask_b32 v6, v8, v6
	s_delay_alu instid0(VALU_DEP_2) | instskip(NEXT) | instid1(VALU_DEP_2)
	v_and_b32_e32 v2, 0x80000000, v2
	v_lshlrev_b32_e32 v3, 21, v3
	s_delay_alu instid0(VALU_DEP_3) | instskip(NEXT) | instid1(VALU_DEP_1)
	v_lshl_add_u32 v5, v6, 23, 0x37800000
	v_or3_b32 v3, v2, v5, v3
.LBB238_188:
	s_or_b32 exec_lo, exec_lo, s19
	s_delay_alu instid0(VALU_DEP_1) | instskip(SKIP_2) | instid1(VALU_DEP_2)
	v_bfe_u32 v2, v3, 16, 1
	v_cmp_o_f32_e32 vcc_lo, v3, v3
	s_mov_b32 s14, 0
	v_add3_u32 v2, v3, v2, 0x7fff
	s_delay_alu instid0(VALU_DEP_1) | instskip(NEXT) | instid1(VALU_DEP_1)
	v_lshrrev_b32_e32 v2, 16, v2
	v_cndmask_b32_e32 v2, 0x7fc0, v2, vcc_lo
	s_branch .LBB238_194
.LBB238_189:
	s_mov_b32 s19, -1
                                        ; implicit-def: $vgpr2
	s_branch .LBB238_200
.LBB238_190:
	s_or_saveexec_b32 s19, s19
	v_mov_b32_e32 v3, 0x7f800001
	s_xor_b32 exec_lo, exec_lo, s19
	s_cbranch_execz .LBB238_174
.LBB238_191:
	v_cmp_ne_u16_e32 vcc_lo, 0, v2
	v_mov_b32_e32 v3, 0
	s_and_not1_b32 s14, s14, exec_lo
	s_and_b32 s20, vcc_lo, exec_lo
	s_delay_alu instid0(SALU_CYCLE_1)
	s_or_b32 s14, s14, s20
	s_or_b32 exec_lo, exec_lo, s19
	s_and_saveexec_b32 s19, s14
	s_cbranch_execnz .LBB238_175
	s_branch .LBB238_176
.LBB238_192:
	s_mov_b32 s14, -1
                                        ; implicit-def: $vgpr2
	s_branch .LBB238_197
.LBB238_193:
	s_mov_b32 s14, -1
                                        ; implicit-def: $vgpr2
.LBB238_194:
	s_delay_alu instid0(SALU_CYCLE_1)
	s_and_b32 vcc_lo, exec_lo, s14
	s_cbranch_vccz .LBB238_196
; %bb.195:
	s_wait_loadcnt 0x0
	global_load_u8 v2, v[0:1], off
	s_wait_loadcnt 0x0
	v_lshlrev_b32_e32 v2, 24, v2
	s_delay_alu instid0(VALU_DEP_1) | instskip(NEXT) | instid1(VALU_DEP_1)
	v_and_b32_e32 v3, 0x7f000000, v2
	v_clz_i32_u32_e32 v5, v3
	v_add_nc_u32_e32 v7, 0x1000000, v3
	v_cmp_ne_u32_e32 vcc_lo, 0, v3
	s_delay_alu instid0(VALU_DEP_3) | instskip(NEXT) | instid1(VALU_DEP_1)
	v_min_u32_e32 v5, 32, v5
	v_sub_nc_u32_e64 v5, v5, 4 clamp
	s_delay_alu instid0(VALU_DEP_1) | instskip(NEXT) | instid1(VALU_DEP_1)
	v_dual_lshlrev_b32 v6, v5, v3 :: v_dual_lshlrev_b32 v5, 23, v5
	v_lshrrev_b32_e32 v6, 4, v6
	s_delay_alu instid0(VALU_DEP_1) | instskip(NEXT) | instid1(VALU_DEP_1)
	v_dual_sub_nc_u32 v5, v6, v5 :: v_dual_ashrrev_i32 v6, 8, v7
	v_add_nc_u32_e32 v5, 0x3c000000, v5
	s_delay_alu instid0(VALU_DEP_1) | instskip(NEXT) | instid1(VALU_DEP_1)
	v_and_or_b32 v5, 0x7f800000, v6, v5
	v_cndmask_b32_e32 v3, 0, v5, vcc_lo
	s_delay_alu instid0(VALU_DEP_1) | instskip(SKIP_1) | instid1(VALU_DEP_2)
	v_and_or_b32 v2, 0x80000000, v2, v3
	v_bfe_u32 v3, v3, 16, 1
	v_cmp_o_f32_e32 vcc_lo, v2, v2
	s_delay_alu instid0(VALU_DEP_2) | instskip(NEXT) | instid1(VALU_DEP_1)
	v_add3_u32 v3, v2, v3, 0x7fff
	v_lshrrev_b32_e32 v3, 16, v3
	s_delay_alu instid0(VALU_DEP_1)
	v_cndmask_b32_e32 v2, 0x7fc0, v3, vcc_lo
.LBB238_196:
	s_mov_b32 s14, 0
.LBB238_197:
	s_delay_alu instid0(SALU_CYCLE_1)
	s_and_not1_b32 vcc_lo, exec_lo, s14
	s_cbranch_vccnz .LBB238_199
; %bb.198:
	s_wait_loadcnt 0x0
	global_load_u8 v2, v[0:1], off
	s_wait_loadcnt 0x0
	v_lshlrev_b32_e32 v3, 25, v2
	v_lshlrev_b16 v2, 8, v2
	s_delay_alu instid0(VALU_DEP_2) | instskip(NEXT) | instid1(VALU_DEP_2)
	v_cmp_gt_u32_e32 vcc_lo, 0x8000000, v3
	v_and_or_b32 v6, 0x7f00, v2, 0.5
	v_lshrrev_b32_e32 v5, 4, v3
	v_bfe_i32 v2, v2, 0, 16
	s_delay_alu instid0(VALU_DEP_3) | instskip(NEXT) | instid1(VALU_DEP_3)
	v_add_f32_e32 v6, -0.5, v6
	v_or_b32_e32 v5, 0x70000000, v5
	s_delay_alu instid0(VALU_DEP_1) | instskip(NEXT) | instid1(VALU_DEP_1)
	v_mul_f32_e32 v5, 0x7800000, v5
	v_cndmask_b32_e32 v3, v5, v6, vcc_lo
	s_delay_alu instid0(VALU_DEP_1) | instskip(SKIP_1) | instid1(VALU_DEP_2)
	v_and_or_b32 v2, 0x80000000, v2, v3
	v_bfe_u32 v3, v3, 16, 1
	v_cmp_o_f32_e32 vcc_lo, v2, v2
	s_delay_alu instid0(VALU_DEP_2) | instskip(NEXT) | instid1(VALU_DEP_1)
	v_add3_u32 v3, v2, v3, 0x7fff
	v_lshrrev_b32_e32 v3, 16, v3
	s_delay_alu instid0(VALU_DEP_1)
	v_cndmask_b32_e32 v2, 0x7fc0, v3, vcc_lo
.LBB238_199:
	s_mov_b32 s19, 0
	s_mov_b32 s14, -1
.LBB238_200:
	s_and_not1_b32 vcc_lo, exec_lo, s19
	s_cbranch_vccnz .LBB238_213
; %bb.201:
	s_cmp_gt_i32 s0, 14
	s_cbranch_scc0 .LBB238_204
; %bb.202:
	s_cmp_eq_u32 s0, 15
	s_cbranch_scc0 .LBB238_207
; %bb.203:
	s_wait_loadcnt 0x0
	global_load_u16 v2, v[0:1], off
	s_mov_b32 s14, -1
	s_mov_b32 s16, 0
	s_branch .LBB238_208
.LBB238_204:
	s_mov_b32 s19, -1
                                        ; implicit-def: $vgpr2
	s_branch .LBB238_209
.LBB238_205:
	s_or_saveexec_b32 s19, s19
	v_mov_b32_e32 v3, 0x7f800001
	s_xor_b32 exec_lo, exec_lo, s19
	s_cbranch_execz .LBB238_186
.LBB238_206:
	v_cmp_ne_u16_e32 vcc_lo, 0, v2
	v_mov_b32_e32 v3, 0
	s_and_not1_b32 s14, s14, exec_lo
	s_and_b32 s20, vcc_lo, exec_lo
	s_delay_alu instid0(SALU_CYCLE_1)
	s_or_b32 s14, s14, s20
	s_or_b32 exec_lo, exec_lo, s19
	s_and_saveexec_b32 s19, s14
	s_cbranch_execnz .LBB238_187
	s_branch .LBB238_188
.LBB238_207:
	s_mov_b32 s16, -1
                                        ; implicit-def: $vgpr2
.LBB238_208:
	s_mov_b32 s19, 0
.LBB238_209:
	s_delay_alu instid0(SALU_CYCLE_1)
	s_and_b32 vcc_lo, exec_lo, s19
	s_cbranch_vccz .LBB238_213
; %bb.210:
	s_cmp_eq_u32 s0, 11
	s_cbranch_scc0 .LBB238_212
; %bb.211:
	s_wait_loadcnt 0x0
	global_load_u8 v2, v[0:1], off
	s_mov_b32 s16, 0
	s_mov_b32 s14, -1
	s_wait_loadcnt 0x0
	v_cmp_ne_u16_e32 vcc_lo, 0, v2
	v_cndmask_b32_e64 v2, 0, 1.0, vcc_lo
	s_delay_alu instid0(VALU_DEP_1)
	v_lshrrev_b32_e32 v2, 16, v2
	s_branch .LBB238_213
.LBB238_212:
	s_mov_b32 s16, -1
                                        ; implicit-def: $vgpr2
.LBB238_213:
	s_branch .LBB238_10
.LBB238_214:
	s_cmp_lt_i32 s0, 5
	s_cbranch_scc1 .LBB238_219
; %bb.215:
	s_cmp_lt_i32 s0, 8
	s_cbranch_scc1 .LBB238_220
; %bb.216:
	;; [unrolled: 3-line block ×3, first 2 shown]
	s_cmp_gt_i32 s0, 9
	s_cbranch_scc0 .LBB238_222
; %bb.218:
	s_wait_loadcnt 0x0
	global_load_b64 v[2:3], v[0:1], off
	s_mov_b32 s14, 0
	s_wait_loadcnt 0x0
	v_cvt_f32_f64_e32 v2, v[2:3]
	s_delay_alu instid0(VALU_DEP_1) | instskip(SKIP_1) | instid1(VALU_DEP_2)
	v_bfe_u32 v3, v2, 16, 1
	v_cmp_o_f32_e32 vcc_lo, v2, v2
	v_add3_u32 v3, v2, v3, 0x7fff
	s_delay_alu instid0(VALU_DEP_1) | instskip(NEXT) | instid1(VALU_DEP_1)
	v_lshrrev_b32_e32 v3, 16, v3
	v_cndmask_b32_e32 v2, 0x7fc0, v3, vcc_lo
	s_branch .LBB238_223
.LBB238_219:
                                        ; implicit-def: $vgpr2
	s_branch .LBB238_241
.LBB238_220:
	s_mov_b32 s14, -1
                                        ; implicit-def: $vgpr2
	s_branch .LBB238_229
.LBB238_221:
	s_mov_b32 s14, -1
                                        ; implicit-def: $vgpr2
	s_branch .LBB238_226
.LBB238_222:
	s_mov_b32 s14, -1
                                        ; implicit-def: $vgpr2
.LBB238_223:
	s_delay_alu instid0(SALU_CYCLE_1)
	s_and_not1_b32 vcc_lo, exec_lo, s14
	s_cbranch_vccnz .LBB238_225
; %bb.224:
	s_wait_loadcnt 0x0
	global_load_b32 v2, v[0:1], off
	s_wait_loadcnt 0x0
	v_bfe_u32 v3, v2, 16, 1
	v_cmp_o_f32_e32 vcc_lo, v2, v2
	s_delay_alu instid0(VALU_DEP_2) | instskip(NEXT) | instid1(VALU_DEP_1)
	v_add3_u32 v3, v2, v3, 0x7fff
	v_lshrrev_b32_e32 v3, 16, v3
	s_delay_alu instid0(VALU_DEP_1)
	v_cndmask_b32_e32 v2, 0x7fc0, v3, vcc_lo
.LBB238_225:
	s_mov_b32 s14, 0
.LBB238_226:
	s_delay_alu instid0(SALU_CYCLE_1)
	s_and_not1_b32 vcc_lo, exec_lo, s14
	s_cbranch_vccnz .LBB238_228
; %bb.227:
	s_wait_loadcnt 0x0
	global_load_b32 v2, v[0:1], off
	s_wait_loadcnt 0x0
	v_cvt_f32_f16_e32 v3, v2
	v_cmp_o_f16_e32 vcc_lo, v2, v2
	s_delay_alu instid0(VALU_DEP_2) | instskip(NEXT) | instid1(VALU_DEP_1)
	v_bfe_u32 v5, v3, 16, 1
	v_add3_u32 v3, v3, v5, 0x7fff
	s_delay_alu instid0(VALU_DEP_1) | instskip(NEXT) | instid1(VALU_DEP_1)
	v_lshrrev_b32_e32 v3, 16, v3
	v_cndmask_b32_e32 v2, 0x7fc0, v3, vcc_lo
.LBB238_228:
	s_mov_b32 s14, 0
.LBB238_229:
	s_delay_alu instid0(SALU_CYCLE_1)
	s_and_not1_b32 vcc_lo, exec_lo, s14
	s_cbranch_vccnz .LBB238_240
; %bb.230:
	s_cmp_lt_i32 s0, 6
	s_cbranch_scc1 .LBB238_233
; %bb.231:
	s_cmp_gt_i32 s0, 6
	s_cbranch_scc0 .LBB238_234
; %bb.232:
	s_wait_loadcnt 0x0
	global_load_b64 v[2:3], v[0:1], off
	s_mov_b32 s14, 0
	s_wait_loadcnt 0x0
	v_cvt_f32_f64_e32 v2, v[2:3]
	s_delay_alu instid0(VALU_DEP_1) | instskip(SKIP_1) | instid1(VALU_DEP_2)
	v_bfe_u32 v3, v2, 16, 1
	v_cmp_o_f32_e32 vcc_lo, v2, v2
	v_add3_u32 v3, v2, v3, 0x7fff
	s_delay_alu instid0(VALU_DEP_1) | instskip(NEXT) | instid1(VALU_DEP_1)
	v_lshrrev_b32_e32 v3, 16, v3
	v_cndmask_b32_e32 v2, 0x7fc0, v3, vcc_lo
	s_branch .LBB238_235
.LBB238_233:
	s_mov_b32 s14, -1
                                        ; implicit-def: $vgpr2
	s_branch .LBB238_238
.LBB238_234:
	s_mov_b32 s14, -1
                                        ; implicit-def: $vgpr2
.LBB238_235:
	s_delay_alu instid0(SALU_CYCLE_1)
	s_and_not1_b32 vcc_lo, exec_lo, s14
	s_cbranch_vccnz .LBB238_237
; %bb.236:
	s_wait_loadcnt 0x0
	global_load_b32 v2, v[0:1], off
	s_wait_loadcnt 0x0
	v_bfe_u32 v3, v2, 16, 1
	v_cmp_o_f32_e32 vcc_lo, v2, v2
	s_delay_alu instid0(VALU_DEP_2) | instskip(NEXT) | instid1(VALU_DEP_1)
	v_add3_u32 v3, v2, v3, 0x7fff
	v_lshrrev_b32_e32 v3, 16, v3
	s_delay_alu instid0(VALU_DEP_1)
	v_cndmask_b32_e32 v2, 0x7fc0, v3, vcc_lo
.LBB238_237:
	s_mov_b32 s14, 0
.LBB238_238:
	s_delay_alu instid0(SALU_CYCLE_1)
	s_and_not1_b32 vcc_lo, exec_lo, s14
	s_cbranch_vccnz .LBB238_240
; %bb.239:
	s_wait_loadcnt 0x0
	global_load_u16 v2, v[0:1], off
	s_wait_loadcnt 0x0
	v_cvt_f32_f16_e32 v3, v2
	v_cmp_o_f16_e32 vcc_lo, v2, v2
	s_delay_alu instid0(VALU_DEP_2) | instskip(NEXT) | instid1(VALU_DEP_1)
	v_bfe_u32 v5, v3, 16, 1
	v_add3_u32 v3, v3, v5, 0x7fff
	s_delay_alu instid0(VALU_DEP_1) | instskip(NEXT) | instid1(VALU_DEP_1)
	v_lshrrev_b32_e32 v3, 16, v3
	v_cndmask_b32_e32 v2, 0x7fc0, v3, vcc_lo
.LBB238_240:
	s_cbranch_execnz .LBB238_260
.LBB238_241:
	s_cmp_lt_i32 s0, 2
	s_cbranch_scc1 .LBB238_245
; %bb.242:
	s_cmp_lt_i32 s0, 3
	s_cbranch_scc1 .LBB238_246
; %bb.243:
	s_cmp_gt_i32 s0, 3
	s_cbranch_scc0 .LBB238_247
; %bb.244:
	s_wait_loadcnt 0x0
	global_load_b64 v[2:3], v[0:1], off
	s_mov_b32 s14, 0
	s_wait_loadcnt 0x0
	v_xor_b32_e32 v5, v2, v3
	v_cls_i32_e32 v6, v3
	s_delay_alu instid0(VALU_DEP_2) | instskip(NEXT) | instid1(VALU_DEP_1)
	v_ashrrev_i32_e32 v5, 31, v5
	v_add_nc_u32_e32 v5, 32, v5
	s_delay_alu instid0(VALU_DEP_1) | instskip(NEXT) | instid1(VALU_DEP_1)
	v_add_min_u32_e64 v5, v6, -1, v5
	v_lshlrev_b64_e32 v[2:3], v5, v[2:3]
	s_delay_alu instid0(VALU_DEP_1) | instskip(NEXT) | instid1(VALU_DEP_1)
	v_min_u32_e32 v2, 1, v2
	v_dual_sub_nc_u32 v3, 32, v5 :: v_dual_bitop2_b32 v2, v3, v2 bitop3:0x54
	s_delay_alu instid0(VALU_DEP_1) | instskip(NEXT) | instid1(VALU_DEP_1)
	v_cvt_f32_i32_e32 v2, v2
	v_ldexp_f32 v2, v2, v3
	s_delay_alu instid0(VALU_DEP_1) | instskip(NEXT) | instid1(VALU_DEP_1)
	v_bfe_u32 v3, v2, 16, 1
	v_add3_u32 v2, v2, v3, 0x7fff
	s_delay_alu instid0(VALU_DEP_1)
	v_lshrrev_b32_e32 v2, 16, v2
	s_branch .LBB238_248
.LBB238_245:
	s_mov_b32 s14, -1
                                        ; implicit-def: $vgpr2
	s_branch .LBB238_254
.LBB238_246:
	s_mov_b32 s14, -1
                                        ; implicit-def: $vgpr2
	s_branch .LBB238_251
.LBB238_247:
	s_mov_b32 s14, -1
                                        ; implicit-def: $vgpr2
.LBB238_248:
	s_delay_alu instid0(SALU_CYCLE_1)
	s_and_not1_b32 vcc_lo, exec_lo, s14
	s_cbranch_vccnz .LBB238_250
; %bb.249:
	s_wait_loadcnt 0x0
	global_load_b32 v2, v[0:1], off
	s_wait_loadcnt 0x0
	v_cvt_f32_i32_e32 v2, v2
	s_delay_alu instid0(VALU_DEP_1) | instskip(NEXT) | instid1(VALU_DEP_1)
	v_bfe_u32 v3, v2, 16, 1
	v_add3_u32 v2, v2, v3, 0x7fff
	s_delay_alu instid0(VALU_DEP_1)
	v_lshrrev_b32_e32 v2, 16, v2
.LBB238_250:
	s_mov_b32 s14, 0
.LBB238_251:
	s_delay_alu instid0(SALU_CYCLE_1)
	s_and_not1_b32 vcc_lo, exec_lo, s14
	s_cbranch_vccnz .LBB238_253
; %bb.252:
	s_wait_loadcnt 0x0
	global_load_i16 v2, v[0:1], off
	s_wait_loadcnt 0x0
	v_cvt_f32_i32_e32 v2, v2
	s_delay_alu instid0(VALU_DEP_1) | instskip(NEXT) | instid1(VALU_DEP_1)
	v_bfe_u32 v3, v2, 16, 1
	v_add3_u32 v2, v2, v3, 0x7fff
	s_delay_alu instid0(VALU_DEP_1)
	v_lshrrev_b32_e32 v2, 16, v2
.LBB238_253:
	s_mov_b32 s14, 0
.LBB238_254:
	s_delay_alu instid0(SALU_CYCLE_1)
	s_and_not1_b32 vcc_lo, exec_lo, s14
	s_cbranch_vccnz .LBB238_260
; %bb.255:
	s_cmp_gt_i32 s0, 0
	s_mov_b32 s0, 0
	s_cbranch_scc0 .LBB238_257
; %bb.256:
	s_wait_loadcnt 0x0
	global_load_i8 v2, v[0:1], off
	s_wait_loadcnt 0x0
	v_cvt_f32_i32_e32 v2, v2
	s_delay_alu instid0(VALU_DEP_1) | instskip(NEXT) | instid1(VALU_DEP_1)
	v_bfe_u32 v3, v2, 16, 1
	v_add3_u32 v2, v2, v3, 0x7fff
	s_delay_alu instid0(VALU_DEP_1)
	v_lshrrev_b32_e32 v2, 16, v2
	s_branch .LBB238_258
.LBB238_257:
	s_mov_b32 s0, -1
                                        ; implicit-def: $vgpr2
.LBB238_258:
	s_delay_alu instid0(SALU_CYCLE_1)
	s_and_not1_b32 vcc_lo, exec_lo, s0
	s_cbranch_vccnz .LBB238_260
; %bb.259:
	global_load_u8 v0, v[0:1], off
	s_wait_loadcnt 0x0
	v_cvt_f32_ubyte0_e32 v0, v0
	s_delay_alu instid0(VALU_DEP_1) | instskip(NEXT) | instid1(VALU_DEP_1)
	v_bfe_u32 v1, v0, 16, 1
	v_add3_u32 v0, v0, v1, 0x7fff
	s_delay_alu instid0(VALU_DEP_1)
	v_lshrrev_b32_e32 v2, 16, v0
.LBB238_260:
	s_branch .LBB238_11
.LBB238_261:
	s_mov_b32 s0, 0
.LBB238_262:
	s_mov_b32 s19, 0
                                        ; implicit-def: $vgpr4
.LBB238_263:
	s_and_b32 s14, s0, exec_lo
	s_and_b32 s16, s16, exec_lo
	s_or_not1_b32 s20, s19, exec_lo
.LBB238_264:
	s_wait_xcnt 0x0
	s_or_b32 exec_lo, exec_lo, s17
	s_mov_b32 s19, 0
	s_mov_b32 s0, 0
                                        ; implicit-def: $vgpr0_vgpr1
                                        ; implicit-def: $vgpr5
	s_and_saveexec_b32 s17, s20
	s_cbranch_execz .LBB238_273
; %bb.265:
	s_mov_b32 s0, -1
	s_mov_b32 s18, s16
	s_mov_b32 s19, s14
	s_mov_b32 s20, exec_lo
	v_cmpx_gt_i32_e64 s15, v4
	s_cbranch_execz .LBB238_540
; %bb.266:
	v_mul_lo_u32 v0, v4, s9
	s_and_b32 s0, 0xffff, s12
	s_delay_alu instid0(SALU_CYCLE_1) | instskip(NEXT) | instid1(VALU_DEP_1)
	s_cmp_lt_i32 s0, 11
	v_ashrrev_i32_e32 v1, 31, v0
	s_delay_alu instid0(VALU_DEP_1)
	v_add_nc_u64_e32 v[0:1], s[6:7], v[0:1]
	s_cbranch_scc1 .LBB238_276
; %bb.267:
	s_cmp_gt_i32 s0, 25
	s_cbranch_scc0 .LBB238_282
; %bb.268:
	s_cmp_gt_i32 s0, 28
	s_cbranch_scc0 .LBB238_283
	;; [unrolled: 3-line block ×4, first 2 shown]
; %bb.271:
	s_cmp_eq_u32 s0, 46
	s_mov_b32 s21, 0
	s_cbranch_scc0 .LBB238_310
; %bb.272:
	s_wait_loadcnt 0x0
	global_load_b32 v2, v[0:1], off
	s_mov_b32 s19, -1
	s_mov_b32 s18, 0
	s_branch .LBB238_312
.LBB238_273:
	s_or_b32 exec_lo, exec_lo, s17
	s_mov_b32 s15, 0
	s_and_saveexec_b32 s17, s16
	s_cbranch_execnz .LBB238_901
.LBB238_274:
	s_or_b32 exec_lo, exec_lo, s17
	s_and_saveexec_b32 s16, s18
	s_delay_alu instid0(SALU_CYCLE_1)
	s_xor_b32 s16, exec_lo, s16
	s_cbranch_execz .LBB238_902
.LBB238_275:
	s_wait_loadcnt 0x0
	global_load_u8 v2, v[0:1], off
	s_or_b32 s0, s0, exec_lo
	s_wait_loadcnt 0x0
	v_cmp_ne_u16_e32 vcc_lo, 0, v2
	v_cndmask_b32_e64 v2, 0, 1.0, vcc_lo
	s_delay_alu instid0(VALU_DEP_1)
	v_lshrrev_b32_e32 v5, 16, v2
	s_wait_xcnt 0x0
	s_or_b32 exec_lo, exec_lo, s16
	s_and_saveexec_b32 s16, s19
	s_cbranch_execz .LBB238_948
	s_branch .LBB238_903
.LBB238_276:
	s_mov_b32 s19, 0
	s_mov_b32 s18, s16
                                        ; implicit-def: $vgpr2
	s_cbranch_execnz .LBB238_489
.LBB238_277:
	s_and_not1_b32 vcc_lo, exec_lo, s19
	s_cbranch_vccnz .LBB238_537
.LBB238_278:
	s_wait_loadcnt 0x0
	s_delay_alu instid0(VALU_DEP_1) | instskip(SKIP_1) | instid1(VALU_DEP_1)
	v_lshlrev_b32_e32 v0, 16, v2
	s_mov_b32 s0, exec_lo
	v_cmpx_o_f32_e32 v0, v0
	s_cbranch_execz .LBB238_292
; %bb.279:
	s_cmp_lt_i32 s10, 1
	s_mov_b32 s19, 0
	s_cbranch_scc1 .LBB238_284
; %bb.280:
	s_cmp_eq_u32 s10, 1
	s_cbranch_scc0 .LBB238_286
; %bb.281:
	v_max_num_f32_e64 v1, s11, s11
	v_max_num_f32_e32 v2, v0, v0
	s_mov_b32 s21, 0
	s_delay_alu instid0(VALU_DEP_1) | instskip(NEXT) | instid1(VALU_DEP_1)
	v_min_num_f32_e32 v1, v2, v1
	v_bfe_u32 v2, v1, 16, 1
	s_delay_alu instid0(VALU_DEP_1) | instskip(NEXT) | instid1(VALU_DEP_1)
	v_add3_u32 v1, v1, v2, 0x7fff
	v_lshrrev_b32_e32 v2, 16, v1
	s_branch .LBB238_287
.LBB238_282:
	s_mov_b32 s21, -1
	s_mov_b32 s19, 0
	s_mov_b32 s18, s16
                                        ; implicit-def: $vgpr2
	s_branch .LBB238_453
.LBB238_283:
	s_mov_b32 s21, -1
	s_mov_b32 s19, 0
	s_mov_b32 s18, s16
                                        ; implicit-def: $vgpr2
	s_branch .LBB238_434
.LBB238_284:
	s_mov_b32 s22, -1
	s_mov_b32 s21, 0
                                        ; implicit-def: $vgpr2
	s_branch .LBB238_288
.LBB238_285:
	s_mov_b32 s21, -1
	s_mov_b32 s19, 0
	s_mov_b32 s18, s16
                                        ; implicit-def: $vgpr2
	s_branch .LBB238_429
.LBB238_286:
	s_mov_b32 s21, -1
                                        ; implicit-def: $vgpr2
.LBB238_287:
	s_mov_b32 s22, 0
.LBB238_288:
	s_delay_alu instid0(SALU_CYCLE_1)
	s_and_b32 vcc_lo, exec_lo, s22
	s_cbranch_vccz .LBB238_299
; %bb.289:
	s_cmp_lg_u32 s10, 0
	s_mov_b32 s19, -1
	s_cselect_b32 s21, -1, 0
	v_max_num_f32_e32 v0, v0, v0
	s_and_not1_b32 vcc_lo, exec_lo, s21
	s_cbranch_vccz .LBB238_300
.LBB238_290:
	s_and_not1_b32 vcc_lo, exec_lo, s19
	s_cbranch_vccnz .LBB238_292
.LBB238_291:
	v_max_num_f32_e64 v1, s11, s11
	s_delay_alu instid0(VALU_DEP_1) | instskip(NEXT) | instid1(VALU_DEP_1)
	v_max_num_f32_e32 v0, v0, v1
	v_bfe_u32 v1, v0, 16, 1
	s_delay_alu instid0(VALU_DEP_1) | instskip(NEXT) | instid1(VALU_DEP_1)
	v_add3_u32 v0, v0, v1, 0x7fff
	v_lshrrev_b32_e32 v2, 16, v0
.LBB238_292:
	s_or_b32 exec_lo, exec_lo, s0
	v_mul_lo_u32 v0, v4, s8
	s_and_b32 s19, s3, 0xff
	s_delay_alu instid0(SALU_CYCLE_1) | instskip(NEXT) | instid1(VALU_DEP_1)
	s_cmp_lt_i32 s19, 11
	v_ashrrev_i32_e32 v1, 31, v0
	s_delay_alu instid0(VALU_DEP_1)
	v_add_nc_u64_e32 v[0:1], s[4:5], v[0:1]
	s_cbranch_scc1 .LBB238_301
; %bb.293:
	s_and_b32 s21, 0xffff, s19
	s_delay_alu instid0(SALU_CYCLE_1)
	s_cmp_gt_i32 s21, 25
	s_cbranch_scc0 .LBB238_302
; %bb.294:
	s_cmp_gt_i32 s21, 28
	s_cbranch_scc0 .LBB238_303
; %bb.295:
	;; [unrolled: 3-line block ×4, first 2 shown]
	s_mov_b32 s23, 0
	s_mov_b32 s0, -1
	s_cmp_eq_u32 s21, 46
	s_mov_b32 s22, 0
	s_cbranch_scc0 .LBB238_316
; %bb.298:
	v_and_b32_e32 v3, 0xffff, v2
	s_mov_b32 s22, -1
	s_mov_b32 s0, 0
	global_store_b32 v[0:1], v3, off
	s_branch .LBB238_316
.LBB238_299:
	v_max_num_f32_e32 v0, v0, v0
	s_and_not1_b32 vcc_lo, exec_lo, s21
	s_cbranch_vccnz .LBB238_290
.LBB238_300:
	v_max_num_f32_e64 v1, s11, s11
	v_max_num_f32_e64 v2, s2, s2
	s_delay_alu instid0(VALU_DEP_1) | instskip(NEXT) | instid1(VALU_DEP_1)
	v_maxmin_num_f32 v1, v0, v1, v2
	v_bfe_u32 v2, v1, 16, 1
	s_delay_alu instid0(VALU_DEP_1) | instskip(NEXT) | instid1(VALU_DEP_1)
	v_add3_u32 v1, v1, v2, 0x7fff
	v_lshrrev_b32_e32 v2, 16, v1
	s_cbranch_execz .LBB238_291
	s_branch .LBB238_292
.LBB238_301:
	s_mov_b32 s21, -1
	s_mov_b32 s22, 0
	s_mov_b32 s0, s14
	s_branch .LBB238_385
.LBB238_302:
	s_mov_b32 s23, -1
	s_mov_b32 s22, 0
	s_mov_b32 s0, s14
	s_branch .LBB238_343
.LBB238_303:
	s_mov_b32 s23, -1
	s_mov_b32 s22, 0
	s_mov_b32 s0, s14
	s_branch .LBB238_326
.LBB238_304:
	s_and_not1_saveexec_b32 s22, s22
	s_cbranch_execz .LBB238_66
.LBB238_305:
	v_add_f32_e64 v5, 0x46000000, |v6|
	s_and_not1_b32 s21, s21, exec_lo
	s_delay_alu instid0(VALU_DEP_1) | instskip(NEXT) | instid1(VALU_DEP_1)
	v_and_b32_e32 v5, 0xff, v5
	v_cmp_ne_u32_e32 vcc_lo, 0, v5
	s_and_b32 s23, vcc_lo, exec_lo
	s_delay_alu instid0(SALU_CYCLE_1)
	s_or_b32 s21, s21, s23
	s_or_b32 exec_lo, exec_lo, s22
	v_mov_b32_e32 v7, 0
	s_and_saveexec_b32 s22, s21
	s_cbranch_execnz .LBB238_67
	s_branch .LBB238_68
.LBB238_306:
	s_mov_b32 s21, -1
	s_mov_b32 s19, 0
	s_mov_b32 s18, s16
	s_branch .LBB238_311
.LBB238_307:
	s_mov_b32 s23, -1
	s_mov_b32 s22, 0
	s_mov_b32 s0, s14
	s_branch .LBB238_322
.LBB238_308:
	s_and_not1_saveexec_b32 s22, s22
	s_cbranch_execz .LBB238_79
.LBB238_309:
	v_add_f32_e64 v5, 0x42800000, |v6|
	s_and_not1_b32 s21, s21, exec_lo
	s_delay_alu instid0(VALU_DEP_1) | instskip(NEXT) | instid1(VALU_DEP_1)
	v_and_b32_e32 v5, 0xff, v5
	v_cmp_ne_u32_e32 vcc_lo, 0, v5
	s_and_b32 s23, vcc_lo, exec_lo
	s_delay_alu instid0(SALU_CYCLE_1)
	s_or_b32 s21, s21, s23
	s_or_b32 exec_lo, exec_lo, s22
	v_mov_b32_e32 v7, 0
	s_and_saveexec_b32 s22, s21
	s_cbranch_execnz .LBB238_80
	s_branch .LBB238_81
.LBB238_310:
	s_mov_b32 s18, -1
	s_mov_b32 s19, 0
.LBB238_311:
                                        ; implicit-def: $vgpr2
.LBB238_312:
	s_and_b32 vcc_lo, exec_lo, s21
	s_cbranch_vccz .LBB238_428
; %bb.313:
	s_cmp_eq_u32 s0, 44
	s_cbranch_scc0 .LBB238_427
; %bb.314:
	s_wait_loadcnt 0x0
	global_load_u8 v2, v[0:1], off
	s_mov_b32 s18, 0
	s_mov_b32 s19, -1
	s_wait_loadcnt 0x0
	v_lshlrev_b32_e32 v3, 23, v2
	v_cmp_ne_u32_e32 vcc_lo, 0xff, v2
	s_delay_alu instid0(VALU_DEP_2) | instskip(SKIP_1) | instid1(VALU_DEP_2)
	v_cndmask_b32_e32 v3, 0x7f800001, v3, vcc_lo
	v_cmp_ne_u32_e32 vcc_lo, 0, v2
	v_cndmask_b32_e32 v2, 0x400000, v3, vcc_lo
	s_delay_alu instid0(VALU_DEP_1) | instskip(NEXT) | instid1(VALU_DEP_1)
	v_add_nc_u32_e32 v3, 0x7fff, v2
	v_lshrrev_b32_e32 v3, 16, v3
	v_cmp_o_f32_e32 vcc_lo, v2, v2
	s_delay_alu instid0(VALU_DEP_2)
	v_cndmask_b32_e32 v2, 0x7fc0, v3, vcc_lo
	s_branch .LBB238_428
.LBB238_315:
	s_mov_b32 s23, -1
	s_mov_b32 s22, 0
	s_mov_b32 s0, s14
.LBB238_316:
	s_and_b32 vcc_lo, exec_lo, s23
	s_cbranch_vccz .LBB238_321
; %bb.317:
	s_cmp_eq_u32 s21, 44
	s_mov_b32 s0, -1
	s_cbranch_scc0 .LBB238_321
; %bb.318:
	s_wait_xcnt 0x0
	v_and_b32_e32 v3, 0xffff, v2
	v_mov_b32_e32 v5, 0xff
	s_mov_b32 s22, exec_lo
	s_delay_alu instid0(VALU_DEP_2) | instskip(NEXT) | instid1(VALU_DEP_1)
	v_bfe_u32 v6, v3, 7, 8
	v_cmpx_ne_u32_e32 0xff, v6
	s_cbranch_execz .LBB238_320
; %bb.319:
	v_dual_lshlrev_b32 v5, 16, v3 :: v_dual_bitop2_b32 v7, 64, v3 bitop3:0x40
	v_lshrrev_b32_e32 v3, 7, v3
	s_delay_alu instid0(VALU_DEP_2) | instskip(NEXT) | instid1(VALU_DEP_3)
	v_and_or_b32 v5, 0x3f0000, v5, v6
	v_cmp_ne_u32_e32 vcc_lo, 0, v7
	s_delay_alu instid0(VALU_DEP_2) | instskip(SKIP_1) | instid1(SALU_CYCLE_1)
	v_cmp_ne_u32_e64 s0, 0, v5
	s_and_b32 s0, vcc_lo, s0
	v_cndmask_b32_e64 v5, 0, 1, s0
	s_delay_alu instid0(VALU_DEP_1)
	v_add_nc_u32_e32 v5, v3, v5
.LBB238_320:
	s_or_b32 exec_lo, exec_lo, s22
	s_mov_b32 s22, -1
	s_mov_b32 s0, 0
	global_store_b8 v[0:1], v5, off
.LBB238_321:
	s_mov_b32 s23, 0
.LBB238_322:
	s_delay_alu instid0(SALU_CYCLE_1)
	s_and_b32 vcc_lo, exec_lo, s23
	s_cbranch_vccz .LBB238_325
; %bb.323:
	s_cmp_eq_u32 s21, 29
	s_mov_b32 s0, -1
	s_cbranch_scc0 .LBB238_325
; %bb.324:
	s_wait_xcnt 0x0
	v_lshlrev_b32_e32 v3, 16, v2
	s_mov_b32 s22, -1
	s_mov_b32 s0, 0
	s_mov_b32 s23, 0
	s_delay_alu instid0(VALU_DEP_1) | instskip(NEXT) | instid1(VALU_DEP_1)
	v_trunc_f32_e32 v3, v3
	v_mul_f32_e32 v5, 0x2f800000, v3
	s_delay_alu instid0(VALU_DEP_1) | instskip(NEXT) | instid1(VALU_DEP_1)
	v_floor_f32_e32 v5, v5
	v_fmamk_f32 v3, v5, 0xcf800000, v3
	v_cvt_u32_f32_e32 v7, v5
	s_delay_alu instid0(VALU_DEP_2)
	v_cvt_u32_f32_e32 v6, v3
	global_store_b64 v[0:1], v[6:7], off
	s_branch .LBB238_326
.LBB238_325:
	s_mov_b32 s23, 0
.LBB238_326:
	s_delay_alu instid0(SALU_CYCLE_1)
	s_and_b32 vcc_lo, exec_lo, s23
	s_cbranch_vccz .LBB238_342
; %bb.327:
	s_cmp_lt_i32 s21, 27
	s_mov_b32 s22, -1
	s_cbranch_scc1 .LBB238_333
; %bb.328:
	s_cmp_gt_i32 s21, 27
	s_cbranch_scc0 .LBB238_330
; %bb.329:
	s_wait_xcnt 0x0
	v_lshlrev_b32_e32 v3, 16, v2
	s_mov_b32 s22, 0
	s_delay_alu instid0(VALU_DEP_1)
	v_cvt_u32_f32_e32 v3, v3
	global_store_b32 v[0:1], v3, off
.LBB238_330:
	s_and_not1_b32 vcc_lo, exec_lo, s22
	s_cbranch_vccnz .LBB238_332
; %bb.331:
	s_wait_xcnt 0x0
	v_lshlrev_b32_e32 v3, 16, v2
	s_delay_alu instid0(VALU_DEP_1)
	v_cvt_u32_f32_e32 v3, v3
	global_store_b16 v[0:1], v3, off
.LBB238_332:
	s_mov_b32 s22, 0
.LBB238_333:
	s_delay_alu instid0(SALU_CYCLE_1)
	s_and_not1_b32 vcc_lo, exec_lo, s22
	s_cbranch_vccnz .LBB238_341
; %bb.334:
	s_wait_xcnt 0x0
	v_dual_mov_b32 v7, 0x80 :: v_dual_lshlrev_b32 v6, 16, v2
	s_mov_b32 s22, exec_lo
	s_delay_alu instid0(VALU_DEP_1) | instskip(NEXT) | instid1(VALU_DEP_1)
	v_and_b32_e32 v5, 0x7fffffff, v6
	v_cmpx_gt_u32_e32 0x43800000, v5
	s_cbranch_execz .LBB238_340
; %bb.335:
	v_and_b32_e32 v3, 0xffff, v2
	v_cmp_lt_u32_e32 vcc_lo, 0x3bffffff, v5
	s_mov_b32 s23, 0
                                        ; implicit-def: $vgpr5
	s_and_saveexec_b32 s24, vcc_lo
	s_delay_alu instid0(SALU_CYCLE_1)
	s_xor_b32 s24, exec_lo, s24
	s_cbranch_execz .LBB238_553
; %bb.336:
	v_bfe_u32 v5, v3, 4, 1
	s_mov_b32 s23, exec_lo
	s_delay_alu instid0(VALU_DEP_1) | instskip(NEXT) | instid1(VALU_DEP_1)
	v_add3_u32 v5, v6, v5, 0x487ffff
                                        ; implicit-def: $vgpr6
	v_lshrrev_b32_e32 v5, 20, v5
	s_and_not1_saveexec_b32 s24, s24
	s_cbranch_execnz .LBB238_554
.LBB238_337:
	s_or_b32 exec_lo, exec_lo, s24
	v_mov_b32_e32 v7, 0
	s_and_saveexec_b32 s24, s23
.LBB238_338:
	v_lshrrev_b32_e32 v3, 8, v3
	s_delay_alu instid0(VALU_DEP_1)
	v_and_or_b32 v7, 0x80, v3, v5
.LBB238_339:
	s_or_b32 exec_lo, exec_lo, s24
.LBB238_340:
	s_delay_alu instid0(SALU_CYCLE_1)
	s_or_b32 exec_lo, exec_lo, s22
	global_store_b8 v[0:1], v7, off
.LBB238_341:
	s_mov_b32 s22, -1
.LBB238_342:
	s_mov_b32 s23, 0
.LBB238_343:
	s_delay_alu instid0(SALU_CYCLE_1)
	s_and_b32 vcc_lo, exec_lo, s23
	s_cbranch_vccz .LBB238_384
; %bb.344:
	s_cmp_gt_i32 s21, 22
	s_mov_b32 s23, -1
	s_cbranch_scc0 .LBB238_376
; %bb.345:
	s_cmp_lt_i32 s21, 24
	s_mov_b32 s22, -1
	s_cbranch_scc1 .LBB238_365
; %bb.346:
	s_cmp_gt_i32 s21, 24
	s_cbranch_scc0 .LBB238_354
; %bb.347:
	s_wait_xcnt 0x0
	v_dual_mov_b32 v7, 0x80 :: v_dual_lshlrev_b32 v6, 16, v2
	s_mov_b32 s22, exec_lo
	s_delay_alu instid0(VALU_DEP_1) | instskip(NEXT) | instid1(VALU_DEP_1)
	v_and_b32_e32 v5, 0x7fffffff, v6
	v_cmpx_gt_u32_e32 0x47800000, v5
	s_cbranch_execz .LBB238_353
; %bb.348:
	v_and_b32_e32 v3, 0xffff, v2
	v_cmp_lt_u32_e32 vcc_lo, 0x37ffffff, v5
	s_mov_b32 s23, 0
                                        ; implicit-def: $vgpr5
	s_and_saveexec_b32 s24, vcc_lo
	s_delay_alu instid0(SALU_CYCLE_1)
	s_xor_b32 s24, exec_lo, s24
	s_cbranch_execz .LBB238_556
; %bb.349:
	v_bfe_u32 v5, v3, 5, 1
	s_mov_b32 s23, exec_lo
	s_delay_alu instid0(VALU_DEP_1) | instskip(NEXT) | instid1(VALU_DEP_1)
	v_add3_u32 v5, v6, v5, 0x88fffff
                                        ; implicit-def: $vgpr6
	v_lshrrev_b32_e32 v5, 21, v5
	s_and_not1_saveexec_b32 s24, s24
	s_cbranch_execnz .LBB238_557
.LBB238_350:
	s_or_b32 exec_lo, exec_lo, s24
	v_mov_b32_e32 v7, 0
	s_and_saveexec_b32 s24, s23
.LBB238_351:
	v_lshrrev_b32_e32 v3, 8, v3
	s_delay_alu instid0(VALU_DEP_1)
	v_and_or_b32 v7, 0x80, v3, v5
.LBB238_352:
	s_or_b32 exec_lo, exec_lo, s24
.LBB238_353:
	s_delay_alu instid0(SALU_CYCLE_1)
	s_or_b32 exec_lo, exec_lo, s22
	s_mov_b32 s22, 0
	global_store_b8 v[0:1], v7, off
.LBB238_354:
	s_and_b32 vcc_lo, exec_lo, s22
	s_cbranch_vccz .LBB238_364
; %bb.355:
	s_wait_xcnt 0x0
	v_lshlrev_b32_e32 v6, 16, v2
	v_and_b32_e32 v3, 0xffff, v2
	s_mov_b32 s22, exec_lo
                                        ; implicit-def: $vgpr5
	s_delay_alu instid0(VALU_DEP_2) | instskip(NEXT) | instid1(VALU_DEP_1)
	v_and_b32_e32 v7, 0x7fffffff, v6
	v_cmpx_gt_u32_e32 0x43f00000, v7
	s_xor_b32 s22, exec_lo, s22
	s_cbranch_execz .LBB238_361
; %bb.356:
	s_mov_b32 s23, exec_lo
                                        ; implicit-def: $vgpr5
	v_cmpx_lt_u32_e32 0x3c7fffff, v7
	s_xor_b32 s23, exec_lo, s23
; %bb.357:
	v_bfe_u32 v5, v3, 4, 1
	s_delay_alu instid0(VALU_DEP_1) | instskip(NEXT) | instid1(VALU_DEP_1)
	v_add3_u32 v5, v6, v5, 0x407ffff
	v_and_b32_e32 v6, 0xff00000, v5
	v_lshrrev_b32_e32 v5, 20, v5
	s_delay_alu instid0(VALU_DEP_2) | instskip(NEXT) | instid1(VALU_DEP_2)
	v_cmp_ne_u32_e32 vcc_lo, 0x7f00000, v6
                                        ; implicit-def: $vgpr6
	v_cndmask_b32_e32 v5, 0x7e, v5, vcc_lo
; %bb.358:
	s_and_not1_saveexec_b32 s23, s23
; %bb.359:
	v_add_f32_e64 v5, 0x46800000, |v6|
; %bb.360:
	s_or_b32 exec_lo, exec_lo, s23
                                        ; implicit-def: $vgpr7
.LBB238_361:
	s_and_not1_saveexec_b32 s22, s22
; %bb.362:
	v_mov_b32_e32 v5, 0x7f
	v_cmp_lt_u32_e32 vcc_lo, 0x7f800000, v7
	s_delay_alu instid0(VALU_DEP_2)
	v_cndmask_b32_e32 v5, 0x7e, v5, vcc_lo
; %bb.363:
	s_or_b32 exec_lo, exec_lo, s22
	v_lshrrev_b32_e32 v3, 8, v3
	s_delay_alu instid0(VALU_DEP_1)
	v_and_or_b32 v3, 0x80, v3, v5
	global_store_b8 v[0:1], v3, off
.LBB238_364:
	s_mov_b32 s22, 0
.LBB238_365:
	s_delay_alu instid0(SALU_CYCLE_1)
	s_and_not1_b32 vcc_lo, exec_lo, s22
	s_cbranch_vccnz .LBB238_375
; %bb.366:
	s_wait_xcnt 0x0
	v_lshlrev_b32_e32 v6, 16, v2
	v_and_b32_e32 v3, 0xffff, v2
	s_mov_b32 s22, exec_lo
                                        ; implicit-def: $vgpr5
	s_delay_alu instid0(VALU_DEP_2) | instskip(NEXT) | instid1(VALU_DEP_1)
	v_and_b32_e32 v7, 0x7fffffff, v6
	v_cmpx_gt_u32_e32 0x47800000, v7
	s_xor_b32 s22, exec_lo, s22
	s_cbranch_execz .LBB238_372
; %bb.367:
	s_mov_b32 s23, exec_lo
                                        ; implicit-def: $vgpr5
	v_cmpx_lt_u32_e32 0x387fffff, v7
	s_xor_b32 s23, exec_lo, s23
; %bb.368:
	v_bfe_u32 v5, v3, 5, 1
	s_delay_alu instid0(VALU_DEP_1) | instskip(NEXT) | instid1(VALU_DEP_1)
	v_add3_u32 v5, v6, v5, 0x80fffff
                                        ; implicit-def: $vgpr6
	v_lshrrev_b32_e32 v5, 21, v5
; %bb.369:
	s_and_not1_saveexec_b32 s23, s23
; %bb.370:
	v_add_f32_e64 v5, 0x43000000, |v6|
; %bb.371:
	s_or_b32 exec_lo, exec_lo, s23
                                        ; implicit-def: $vgpr7
.LBB238_372:
	s_and_not1_saveexec_b32 s22, s22
; %bb.373:
	v_mov_b32_e32 v5, 0x7f
	v_cmp_lt_u32_e32 vcc_lo, 0x7f800000, v7
	s_delay_alu instid0(VALU_DEP_2)
	v_cndmask_b32_e32 v5, 0x7c, v5, vcc_lo
; %bb.374:
	s_or_b32 exec_lo, exec_lo, s22
	v_lshrrev_b32_e32 v3, 8, v3
	s_delay_alu instid0(VALU_DEP_1)
	v_and_or_b32 v3, 0x80, v3, v5
	global_store_b8 v[0:1], v3, off
.LBB238_375:
	s_mov_b32 s23, 0
	s_mov_b32 s22, -1
.LBB238_376:
	s_and_not1_b32 vcc_lo, exec_lo, s23
	s_cbranch_vccnz .LBB238_384
; %bb.377:
	s_cmp_gt_i32 s21, 14
	s_mov_b32 s23, -1
	s_cbranch_scc0 .LBB238_381
; %bb.378:
	s_cmp_eq_u32 s21, 15
	s_mov_b32 s0, -1
	s_cbranch_scc0 .LBB238_380
; %bb.379:
	s_mov_b32 s22, -1
	s_mov_b32 s0, 0
	global_store_b16 v[0:1], v2, off
.LBB238_380:
	s_mov_b32 s23, 0
.LBB238_381:
	s_delay_alu instid0(SALU_CYCLE_1)
	s_and_b32 vcc_lo, exec_lo, s23
	s_cbranch_vccz .LBB238_384
; %bb.382:
	s_cmp_eq_u32 s21, 11
	s_mov_b32 s0, -1
	s_cbranch_scc0 .LBB238_384
; %bb.383:
	s_wait_xcnt 0x0
	v_and_b32_e32 v3, 0x7fff, v2
	s_mov_b32 s0, 0
	s_mov_b32 s22, -1
	s_delay_alu instid0(VALU_DEP_1)
	v_cmp_ne_u16_e32 vcc_lo, 0, v3
	v_cndmask_b32_e64 v3, 0, 1, vcc_lo
	global_store_b8 v[0:1], v3, off
.LBB238_384:
	s_mov_b32 s21, 0
.LBB238_385:
	s_delay_alu instid0(SALU_CYCLE_1)
	s_and_b32 vcc_lo, exec_lo, s21
	s_cbranch_vccz .LBB238_424
; %bb.386:
	s_and_b32 s19, 0xffff, s19
	s_mov_b32 s21, -1
	s_cmp_lt_i32 s19, 5
	s_cbranch_scc1 .LBB238_407
; %bb.387:
	s_cmp_lt_i32 s19, 8
	s_cbranch_scc1 .LBB238_397
; %bb.388:
	;; [unrolled: 3-line block ×3, first 2 shown]
	s_cmp_gt_i32 s19, 9
	s_cbranch_scc0 .LBB238_391
; %bb.390:
	s_wait_xcnt 0x0
	v_dual_mov_b32 v8, 0 :: v_dual_lshlrev_b32 v3, 16, v2
	s_mov_b32 s21, 0
	s_delay_alu instid0(VALU_DEP_1) | instskip(NEXT) | instid1(VALU_DEP_2)
	v_cvt_f64_f32_e32 v[6:7], v3
	v_mov_b32_e32 v9, v8
	global_store_b128 v[0:1], v[6:9], off
.LBB238_391:
	s_and_not1_b32 vcc_lo, exec_lo, s21
	s_cbranch_vccnz .LBB238_393
; %bb.392:
	s_wait_xcnt 0x0
	v_dual_mov_b32 v7, 0 :: v_dual_lshlrev_b32 v6, 16, v2
	global_store_b64 v[0:1], v[6:7], off
.LBB238_393:
	s_mov_b32 s21, 0
.LBB238_394:
	s_delay_alu instid0(SALU_CYCLE_1)
	s_and_not1_b32 vcc_lo, exec_lo, s21
	s_cbranch_vccnz .LBB238_396
; %bb.395:
	s_wait_xcnt 0x0
	v_lshlrev_b32_e32 v3, 16, v2
	s_delay_alu instid0(VALU_DEP_1) | instskip(NEXT) | instid1(VALU_DEP_1)
	v_cvt_f16_f32_e32 v3, v3
	v_and_b32_e32 v3, 0xffff, v3
	global_store_b32 v[0:1], v3, off
.LBB238_396:
	s_mov_b32 s21, 0
.LBB238_397:
	s_delay_alu instid0(SALU_CYCLE_1)
	s_and_not1_b32 vcc_lo, exec_lo, s21
	s_cbranch_vccnz .LBB238_406
; %bb.398:
	s_cmp_lt_i32 s19, 6
	s_mov_b32 s21, -1
	s_cbranch_scc1 .LBB238_404
; %bb.399:
	s_cmp_gt_i32 s19, 6
	s_cbranch_scc0 .LBB238_401
; %bb.400:
	s_wait_xcnt 0x0
	v_lshlrev_b32_e32 v3, 16, v2
	s_mov_b32 s21, 0
	s_delay_alu instid0(VALU_DEP_1)
	v_cvt_f64_f32_e32 v[6:7], v3
	global_store_b64 v[0:1], v[6:7], off
.LBB238_401:
	s_and_not1_b32 vcc_lo, exec_lo, s21
	s_cbranch_vccnz .LBB238_403
; %bb.402:
	s_wait_xcnt 0x0
	v_lshlrev_b32_e32 v3, 16, v2
	global_store_b32 v[0:1], v3, off
.LBB238_403:
	s_mov_b32 s21, 0
.LBB238_404:
	s_delay_alu instid0(SALU_CYCLE_1)
	s_and_not1_b32 vcc_lo, exec_lo, s21
	s_cbranch_vccnz .LBB238_406
; %bb.405:
	s_wait_xcnt 0x0
	v_lshlrev_b32_e32 v3, 16, v2
	s_delay_alu instid0(VALU_DEP_1)
	v_cvt_f16_f32_e32 v3, v3
	global_store_b16 v[0:1], v3, off
.LBB238_406:
	s_mov_b32 s21, 0
.LBB238_407:
	s_delay_alu instid0(SALU_CYCLE_1)
	s_and_not1_b32 vcc_lo, exec_lo, s21
	s_cbranch_vccnz .LBB238_423
; %bb.408:
	s_cmp_lt_i32 s19, 2
	s_mov_b32 s21, -1
	s_cbranch_scc1 .LBB238_418
; %bb.409:
	s_cmp_lt_i32 s19, 3
	s_cbranch_scc1 .LBB238_415
; %bb.410:
	s_cmp_gt_i32 s19, 3
	s_cbranch_scc0 .LBB238_412
; %bb.411:
	s_wait_xcnt 0x0
	v_lshlrev_b32_e32 v3, 16, v2
	s_mov_b32 s21, 0
	s_delay_alu instid0(VALU_DEP_1) | instskip(NEXT) | instid1(VALU_DEP_1)
	v_trunc_f32_e32 v3, v3
	v_mul_f32_e64 v5, 0x2f800000, |v3|
	v_ashrrev_i32_e32 v6, 31, v3
	s_delay_alu instid0(VALU_DEP_2) | instskip(NEXT) | instid1(VALU_DEP_1)
	v_floor_f32_e32 v5, v5
	v_fma_f32 v7, 0xcf800000, v5, |v3|
	v_cvt_u32_f32_e32 v3, v5
	s_delay_alu instid0(VALU_DEP_2) | instskip(NEXT) | instid1(VALU_DEP_2)
	v_cvt_u32_f32_e32 v5, v7
	v_dual_mov_b32 v7, v6 :: v_dual_bitop2_b32 v9, v3, v6 bitop3:0x14
	s_delay_alu instid0(VALU_DEP_2) | instskip(NEXT) | instid1(VALU_DEP_1)
	v_xor_b32_e32 v8, v5, v6
	v_sub_nc_u64_e32 v[6:7], v[8:9], v[6:7]
	global_store_b64 v[0:1], v[6:7], off
.LBB238_412:
	s_and_not1_b32 vcc_lo, exec_lo, s21
	s_cbranch_vccnz .LBB238_414
; %bb.413:
	s_wait_xcnt 0x0
	v_lshlrev_b32_e32 v3, 16, v2
	s_delay_alu instid0(VALU_DEP_1)
	v_cvt_i32_f32_e32 v3, v3
	global_store_b32 v[0:1], v3, off
.LBB238_414:
	s_mov_b32 s21, 0
.LBB238_415:
	s_delay_alu instid0(SALU_CYCLE_1)
	s_and_not1_b32 vcc_lo, exec_lo, s21
	s_cbranch_vccnz .LBB238_417
; %bb.416:
	s_wait_xcnt 0x0
	v_lshlrev_b32_e32 v3, 16, v2
	s_delay_alu instid0(VALU_DEP_1)
	v_cvt_i32_f32_e32 v3, v3
	global_store_b16 v[0:1], v3, off
.LBB238_417:
	s_mov_b32 s21, 0
.LBB238_418:
	s_delay_alu instid0(SALU_CYCLE_1)
	s_and_not1_b32 vcc_lo, exec_lo, s21
	s_cbranch_vccnz .LBB238_423
; %bb.419:
	s_wait_xcnt 0x0
	v_lshlrev_b32_e32 v2, 16, v2
	s_cmp_gt_i32 s19, 0
	s_mov_b32 s19, -1
	s_cbranch_scc0 .LBB238_421
; %bb.420:
	s_delay_alu instid0(VALU_DEP_1)
	v_cvt_i32_f32_e32 v3, v2
	s_mov_b32 s19, 0
	global_store_b8 v[0:1], v3, off
.LBB238_421:
	s_and_not1_b32 vcc_lo, exec_lo, s19
	s_cbranch_vccnz .LBB238_423
; %bb.422:
	v_trunc_f32_e32 v2, v2
	s_wait_xcnt 0x0
	s_delay_alu instid0(VALU_DEP_1) | instskip(NEXT) | instid1(VALU_DEP_1)
	v_mul_f32_e64 v3, 0x2f800000, |v2|
	v_floor_f32_e32 v3, v3
	s_delay_alu instid0(VALU_DEP_1) | instskip(SKIP_1) | instid1(VALU_DEP_2)
	v_fma_f32 v3, 0xcf800000, v3, |v2|
	v_ashrrev_i32_e32 v2, 31, v2
	v_cvt_u32_f32_e32 v3, v3
	s_delay_alu instid0(VALU_DEP_1) | instskip(NEXT) | instid1(VALU_DEP_1)
	v_xor_b32_e32 v3, v3, v2
	v_sub_nc_u32_e32 v2, v3, v2
	global_store_b8 v[0:1], v2, off
.LBB238_423:
	s_mov_b32 s22, -1
.LBB238_424:
	s_delay_alu instid0(SALU_CYCLE_1)
	s_and_not1_b32 vcc_lo, exec_lo, s22
	s_cbranch_vccnz .LBB238_426
; %bb.425:
	v_add_nc_u32_e32 v4, 0x80, v4
	s_mov_b32 s21, -1
	s_branch .LBB238_539
.LBB238_426:
	s_mov_b32 s21, 0
	s_branch .LBB238_538
.LBB238_427:
	s_mov_b32 s18, -1
                                        ; implicit-def: $vgpr2
.LBB238_428:
	s_mov_b32 s21, 0
.LBB238_429:
	s_delay_alu instid0(SALU_CYCLE_1)
	s_and_b32 vcc_lo, exec_lo, s21
	s_cbranch_vccz .LBB238_433
; %bb.430:
	s_cmp_eq_u32 s0, 29
	s_cbranch_scc0 .LBB238_432
; %bb.431:
	s_wait_loadcnt 0x0
	global_load_b64 v[2:3], v[0:1], off
	s_mov_b32 s19, -1
	s_mov_b32 s18, 0
	s_mov_b32 s21, 0
	s_wait_loadcnt 0x0
	v_clz_i32_u32_e32 v5, v3
	s_delay_alu instid0(VALU_DEP_1) | instskip(NEXT) | instid1(VALU_DEP_1)
	v_min_u32_e32 v5, 32, v5
	v_lshlrev_b64_e32 v[2:3], v5, v[2:3]
	s_delay_alu instid0(VALU_DEP_1) | instskip(NEXT) | instid1(VALU_DEP_1)
	v_min_u32_e32 v2, 1, v2
	v_dual_sub_nc_u32 v3, 32, v5 :: v_dual_bitop2_b32 v2, v3, v2 bitop3:0x54
	s_delay_alu instid0(VALU_DEP_1) | instskip(NEXT) | instid1(VALU_DEP_1)
	v_cvt_f32_u32_e32 v2, v2
	v_ldexp_f32 v2, v2, v3
	s_delay_alu instid0(VALU_DEP_1) | instskip(NEXT) | instid1(VALU_DEP_1)
	v_bfe_u32 v3, v2, 16, 1
	v_add3_u32 v2, v2, v3, 0x7fff
	s_delay_alu instid0(VALU_DEP_1)
	v_lshrrev_b32_e32 v2, 16, v2
	s_branch .LBB238_434
.LBB238_432:
	s_mov_b32 s18, -1
                                        ; implicit-def: $vgpr2
.LBB238_433:
	s_mov_b32 s21, 0
.LBB238_434:
	s_delay_alu instid0(SALU_CYCLE_1)
	s_and_b32 vcc_lo, exec_lo, s21
	s_cbranch_vccz .LBB238_452
; %bb.435:
	s_cmp_lt_i32 s0, 27
	s_cbranch_scc1 .LBB238_438
; %bb.436:
	s_cmp_gt_i32 s0, 27
	s_cbranch_scc0 .LBB238_439
; %bb.437:
	s_wait_loadcnt 0x0
	global_load_b32 v2, v[0:1], off
	s_mov_b32 s19, 0
	s_wait_loadcnt 0x0
	v_cvt_f32_u32_e32 v2, v2
	s_delay_alu instid0(VALU_DEP_1) | instskip(NEXT) | instid1(VALU_DEP_1)
	v_bfe_u32 v3, v2, 16, 1
	v_add3_u32 v2, v2, v3, 0x7fff
	s_delay_alu instid0(VALU_DEP_1)
	v_lshrrev_b32_e32 v2, 16, v2
	s_branch .LBB238_440
.LBB238_438:
	s_mov_b32 s19, -1
                                        ; implicit-def: $vgpr2
	s_branch .LBB238_443
.LBB238_439:
	s_mov_b32 s19, -1
                                        ; implicit-def: $vgpr2
.LBB238_440:
	s_delay_alu instid0(SALU_CYCLE_1)
	s_and_not1_b32 vcc_lo, exec_lo, s19
	s_cbranch_vccnz .LBB238_442
; %bb.441:
	s_wait_loadcnt 0x0
	global_load_u16 v2, v[0:1], off
	s_wait_loadcnt 0x0
	v_cvt_f32_u32_e32 v2, v2
	s_delay_alu instid0(VALU_DEP_1) | instskip(NEXT) | instid1(VALU_DEP_1)
	v_bfe_u32 v3, v2, 16, 1
	v_add3_u32 v2, v2, v3, 0x7fff
	s_delay_alu instid0(VALU_DEP_1)
	v_lshrrev_b32_e32 v2, 16, v2
.LBB238_442:
	s_mov_b32 s19, 0
.LBB238_443:
	s_delay_alu instid0(SALU_CYCLE_1)
	s_and_not1_b32 vcc_lo, exec_lo, s19
	s_cbranch_vccnz .LBB238_451
; %bb.444:
	s_wait_loadcnt 0x0
	global_load_u8 v2, v[0:1], off
	s_mov_b32 s19, 0
	s_mov_b32 s21, exec_lo
	s_wait_loadcnt 0x0
	v_cmpx_lt_i16_e32 0x7f, v2
	s_xor_b32 s21, exec_lo, s21
	s_cbranch_execz .LBB238_465
; %bb.445:
	s_mov_b32 s19, -1
	s_mov_b32 s22, exec_lo
	v_cmpx_eq_u16_e32 0x80, v2
; %bb.446:
	s_xor_b32 s19, exec_lo, -1
; %bb.447:
	s_or_b32 exec_lo, exec_lo, s22
	s_delay_alu instid0(SALU_CYCLE_1)
	s_and_b32 s19, s19, exec_lo
	s_or_saveexec_b32 s21, s21
	v_mov_b32_e32 v3, 0x7f800001
	s_xor_b32 exec_lo, exec_lo, s21
	s_cbranch_execnz .LBB238_466
.LBB238_448:
	s_or_b32 exec_lo, exec_lo, s21
	s_and_saveexec_b32 s21, s19
	s_cbranch_execz .LBB238_450
.LBB238_449:
	v_and_b32_e32 v3, 0xffff, v2
	s_delay_alu instid0(VALU_DEP_1) | instskip(SKIP_1) | instid1(VALU_DEP_2)
	v_and_b32_e32 v5, 7, v3
	v_bfe_u32 v8, v3, 3, 4
	v_clz_i32_u32_e32 v6, v5
	s_delay_alu instid0(VALU_DEP_2) | instskip(NEXT) | instid1(VALU_DEP_2)
	v_cmp_eq_u32_e32 vcc_lo, 0, v8
	v_min_u32_e32 v6, 32, v6
	s_delay_alu instid0(VALU_DEP_1) | instskip(NEXT) | instid1(VALU_DEP_1)
	v_subrev_nc_u32_e32 v7, 28, v6
	v_dual_lshlrev_b32 v3, v7, v3 :: v_dual_sub_nc_u32 v6, 29, v6
	s_delay_alu instid0(VALU_DEP_1) | instskip(NEXT) | instid1(VALU_DEP_1)
	v_dual_lshlrev_b32 v2, 24, v2 :: v_dual_bitop2_b32 v3, 7, v3 bitop3:0x40
	v_dual_cndmask_b32 v3, v5, v3 :: v_dual_cndmask_b32 v6, v8, v6
	s_delay_alu instid0(VALU_DEP_2) | instskip(NEXT) | instid1(VALU_DEP_2)
	v_and_b32_e32 v2, 0x80000000, v2
	v_lshlrev_b32_e32 v3, 20, v3
	s_delay_alu instid0(VALU_DEP_3) | instskip(NEXT) | instid1(VALU_DEP_1)
	v_lshl_add_u32 v5, v6, 23, 0x3b800000
	v_or3_b32 v3, v2, v5, v3
.LBB238_450:
	s_or_b32 exec_lo, exec_lo, s21
	s_delay_alu instid0(VALU_DEP_1) | instskip(SKIP_1) | instid1(VALU_DEP_2)
	v_bfe_u32 v2, v3, 16, 1
	v_cmp_o_f32_e32 vcc_lo, v3, v3
	v_add3_u32 v2, v3, v2, 0x7fff
	s_delay_alu instid0(VALU_DEP_1) | instskip(NEXT) | instid1(VALU_DEP_1)
	v_lshrrev_b32_e32 v2, 16, v2
	v_cndmask_b32_e32 v2, 0x7fc0, v2, vcc_lo
.LBB238_451:
	s_mov_b32 s19, -1
.LBB238_452:
	s_mov_b32 s21, 0
.LBB238_453:
	s_delay_alu instid0(SALU_CYCLE_1)
	s_and_b32 vcc_lo, exec_lo, s21
	s_cbranch_vccz .LBB238_488
; %bb.454:
	s_cmp_gt_i32 s0, 22
	s_cbranch_scc0 .LBB238_464
; %bb.455:
	s_cmp_lt_i32 s0, 24
	s_cbranch_scc1 .LBB238_467
; %bb.456:
	s_cmp_gt_i32 s0, 24
	s_cbranch_scc0 .LBB238_468
; %bb.457:
	s_wait_loadcnt 0x0
	global_load_u8 v2, v[0:1], off
	s_mov_b32 s19, 0
	s_mov_b32 s21, exec_lo
	s_wait_loadcnt 0x0
	v_cmpx_lt_i16_e32 0x7f, v2
	s_xor_b32 s21, exec_lo, s21
	s_cbranch_execz .LBB238_480
; %bb.458:
	s_mov_b32 s19, -1
	s_mov_b32 s22, exec_lo
	v_cmpx_eq_u16_e32 0x80, v2
; %bb.459:
	s_xor_b32 s19, exec_lo, -1
; %bb.460:
	s_or_b32 exec_lo, exec_lo, s22
	s_delay_alu instid0(SALU_CYCLE_1)
	s_and_b32 s19, s19, exec_lo
	s_or_saveexec_b32 s21, s21
	v_mov_b32_e32 v3, 0x7f800001
	s_xor_b32 exec_lo, exec_lo, s21
	s_cbranch_execnz .LBB238_481
.LBB238_461:
	s_or_b32 exec_lo, exec_lo, s21
	s_and_saveexec_b32 s21, s19
	s_cbranch_execz .LBB238_463
.LBB238_462:
	v_and_b32_e32 v3, 0xffff, v2
	s_delay_alu instid0(VALU_DEP_1) | instskip(SKIP_1) | instid1(VALU_DEP_2)
	v_and_b32_e32 v5, 3, v3
	v_bfe_u32 v8, v3, 2, 5
	v_clz_i32_u32_e32 v6, v5
	s_delay_alu instid0(VALU_DEP_2) | instskip(NEXT) | instid1(VALU_DEP_2)
	v_cmp_eq_u32_e32 vcc_lo, 0, v8
	v_min_u32_e32 v6, 32, v6
	s_delay_alu instid0(VALU_DEP_1) | instskip(NEXT) | instid1(VALU_DEP_1)
	v_subrev_nc_u32_e32 v7, 29, v6
	v_dual_lshlrev_b32 v3, v7, v3 :: v_dual_sub_nc_u32 v6, 30, v6
	s_delay_alu instid0(VALU_DEP_1) | instskip(NEXT) | instid1(VALU_DEP_1)
	v_dual_lshlrev_b32 v2, 24, v2 :: v_dual_bitop2_b32 v3, 3, v3 bitop3:0x40
	v_dual_cndmask_b32 v3, v5, v3 :: v_dual_cndmask_b32 v6, v8, v6
	s_delay_alu instid0(VALU_DEP_2) | instskip(NEXT) | instid1(VALU_DEP_2)
	v_and_b32_e32 v2, 0x80000000, v2
	v_lshlrev_b32_e32 v3, 21, v3
	s_delay_alu instid0(VALU_DEP_3) | instskip(NEXT) | instid1(VALU_DEP_1)
	v_lshl_add_u32 v5, v6, 23, 0x37800000
	v_or3_b32 v3, v2, v5, v3
.LBB238_463:
	s_or_b32 exec_lo, exec_lo, s21
	s_delay_alu instid0(VALU_DEP_1) | instskip(SKIP_2) | instid1(VALU_DEP_2)
	v_bfe_u32 v2, v3, 16, 1
	v_cmp_o_f32_e32 vcc_lo, v3, v3
	s_mov_b32 s19, 0
	v_add3_u32 v2, v3, v2, 0x7fff
	s_delay_alu instid0(VALU_DEP_1) | instskip(NEXT) | instid1(VALU_DEP_1)
	v_lshrrev_b32_e32 v2, 16, v2
	v_cndmask_b32_e32 v2, 0x7fc0, v2, vcc_lo
	s_branch .LBB238_469
.LBB238_464:
	s_mov_b32 s21, -1
                                        ; implicit-def: $vgpr2
	s_branch .LBB238_475
.LBB238_465:
	s_or_saveexec_b32 s21, s21
	v_mov_b32_e32 v3, 0x7f800001
	s_xor_b32 exec_lo, exec_lo, s21
	s_cbranch_execz .LBB238_448
.LBB238_466:
	v_cmp_ne_u16_e32 vcc_lo, 0, v2
	v_mov_b32_e32 v3, 0
	s_and_not1_b32 s19, s19, exec_lo
	s_and_b32 s22, vcc_lo, exec_lo
	s_delay_alu instid0(SALU_CYCLE_1)
	s_or_b32 s19, s19, s22
	s_or_b32 exec_lo, exec_lo, s21
	s_and_saveexec_b32 s21, s19
	s_cbranch_execnz .LBB238_449
	s_branch .LBB238_450
.LBB238_467:
	s_mov_b32 s19, -1
                                        ; implicit-def: $vgpr2
	s_branch .LBB238_472
.LBB238_468:
	s_mov_b32 s19, -1
                                        ; implicit-def: $vgpr2
.LBB238_469:
	s_delay_alu instid0(SALU_CYCLE_1)
	s_and_b32 vcc_lo, exec_lo, s19
	s_cbranch_vccz .LBB238_471
; %bb.470:
	s_wait_loadcnt 0x0
	global_load_u8 v2, v[0:1], off
	s_wait_loadcnt 0x0
	v_lshlrev_b32_e32 v2, 24, v2
	s_delay_alu instid0(VALU_DEP_1) | instskip(NEXT) | instid1(VALU_DEP_1)
	v_and_b32_e32 v3, 0x7f000000, v2
	v_clz_i32_u32_e32 v5, v3
	v_add_nc_u32_e32 v7, 0x1000000, v3
	v_cmp_ne_u32_e32 vcc_lo, 0, v3
	s_delay_alu instid0(VALU_DEP_3) | instskip(NEXT) | instid1(VALU_DEP_1)
	v_min_u32_e32 v5, 32, v5
	v_sub_nc_u32_e64 v5, v5, 4 clamp
	s_delay_alu instid0(VALU_DEP_1) | instskip(NEXT) | instid1(VALU_DEP_1)
	v_dual_lshlrev_b32 v6, v5, v3 :: v_dual_lshlrev_b32 v5, 23, v5
	v_lshrrev_b32_e32 v6, 4, v6
	s_delay_alu instid0(VALU_DEP_1) | instskip(NEXT) | instid1(VALU_DEP_1)
	v_dual_sub_nc_u32 v5, v6, v5 :: v_dual_ashrrev_i32 v6, 8, v7
	v_add_nc_u32_e32 v5, 0x3c000000, v5
	s_delay_alu instid0(VALU_DEP_1) | instskip(NEXT) | instid1(VALU_DEP_1)
	v_and_or_b32 v5, 0x7f800000, v6, v5
	v_cndmask_b32_e32 v3, 0, v5, vcc_lo
	s_delay_alu instid0(VALU_DEP_1) | instskip(SKIP_1) | instid1(VALU_DEP_2)
	v_and_or_b32 v2, 0x80000000, v2, v3
	v_bfe_u32 v3, v3, 16, 1
	v_cmp_o_f32_e32 vcc_lo, v2, v2
	s_delay_alu instid0(VALU_DEP_2) | instskip(NEXT) | instid1(VALU_DEP_1)
	v_add3_u32 v3, v2, v3, 0x7fff
	v_lshrrev_b32_e32 v3, 16, v3
	s_delay_alu instid0(VALU_DEP_1)
	v_cndmask_b32_e32 v2, 0x7fc0, v3, vcc_lo
.LBB238_471:
	s_mov_b32 s19, 0
.LBB238_472:
	s_delay_alu instid0(SALU_CYCLE_1)
	s_and_not1_b32 vcc_lo, exec_lo, s19
	s_cbranch_vccnz .LBB238_474
; %bb.473:
	s_wait_loadcnt 0x0
	global_load_u8 v2, v[0:1], off
	s_wait_loadcnt 0x0
	v_lshlrev_b32_e32 v3, 25, v2
	v_lshlrev_b16 v2, 8, v2
	s_delay_alu instid0(VALU_DEP_2) | instskip(NEXT) | instid1(VALU_DEP_2)
	v_cmp_gt_u32_e32 vcc_lo, 0x8000000, v3
	v_and_or_b32 v6, 0x7f00, v2, 0.5
	v_lshrrev_b32_e32 v5, 4, v3
	v_bfe_i32 v2, v2, 0, 16
	s_delay_alu instid0(VALU_DEP_3) | instskip(NEXT) | instid1(VALU_DEP_3)
	v_add_f32_e32 v6, -0.5, v6
	v_or_b32_e32 v5, 0x70000000, v5
	s_delay_alu instid0(VALU_DEP_1) | instskip(NEXT) | instid1(VALU_DEP_1)
	v_mul_f32_e32 v5, 0x7800000, v5
	v_cndmask_b32_e32 v3, v5, v6, vcc_lo
	s_delay_alu instid0(VALU_DEP_1) | instskip(SKIP_1) | instid1(VALU_DEP_2)
	v_and_or_b32 v2, 0x80000000, v2, v3
	v_bfe_u32 v3, v3, 16, 1
	v_cmp_o_f32_e32 vcc_lo, v2, v2
	s_delay_alu instid0(VALU_DEP_2) | instskip(NEXT) | instid1(VALU_DEP_1)
	v_add3_u32 v3, v2, v3, 0x7fff
	v_lshrrev_b32_e32 v3, 16, v3
	s_delay_alu instid0(VALU_DEP_1)
	v_cndmask_b32_e32 v2, 0x7fc0, v3, vcc_lo
.LBB238_474:
	s_mov_b32 s21, 0
	s_mov_b32 s19, -1
.LBB238_475:
	s_and_not1_b32 vcc_lo, exec_lo, s21
	s_cbranch_vccnz .LBB238_488
; %bb.476:
	s_cmp_gt_i32 s0, 14
	s_cbranch_scc0 .LBB238_479
; %bb.477:
	s_cmp_eq_u32 s0, 15
	s_cbranch_scc0 .LBB238_482
; %bb.478:
	s_wait_loadcnt 0x0
	global_load_u16 v2, v[0:1], off
	s_mov_b32 s19, -1
	s_mov_b32 s18, 0
	s_branch .LBB238_483
.LBB238_479:
	s_mov_b32 s21, -1
                                        ; implicit-def: $vgpr2
	s_branch .LBB238_484
.LBB238_480:
	s_or_saveexec_b32 s21, s21
	v_mov_b32_e32 v3, 0x7f800001
	s_xor_b32 exec_lo, exec_lo, s21
	s_cbranch_execz .LBB238_461
.LBB238_481:
	v_cmp_ne_u16_e32 vcc_lo, 0, v2
	v_mov_b32_e32 v3, 0
	s_and_not1_b32 s19, s19, exec_lo
	s_and_b32 s22, vcc_lo, exec_lo
	s_delay_alu instid0(SALU_CYCLE_1)
	s_or_b32 s19, s19, s22
	s_or_b32 exec_lo, exec_lo, s21
	s_and_saveexec_b32 s21, s19
	s_cbranch_execnz .LBB238_462
	s_branch .LBB238_463
.LBB238_482:
	s_mov_b32 s18, -1
                                        ; implicit-def: $vgpr2
.LBB238_483:
	s_mov_b32 s21, 0
.LBB238_484:
	s_delay_alu instid0(SALU_CYCLE_1)
	s_and_b32 vcc_lo, exec_lo, s21
	s_cbranch_vccz .LBB238_488
; %bb.485:
	s_cmp_eq_u32 s0, 11
	s_cbranch_scc0 .LBB238_487
; %bb.486:
	s_wait_loadcnt 0x0
	global_load_u8 v2, v[0:1], off
	s_mov_b32 s18, 0
	s_mov_b32 s19, -1
	s_wait_loadcnt 0x0
	v_cmp_ne_u16_e32 vcc_lo, 0, v2
	v_cndmask_b32_e64 v2, 0, 1.0, vcc_lo
	s_delay_alu instid0(VALU_DEP_1)
	v_lshrrev_b32_e32 v2, 16, v2
	s_branch .LBB238_488
.LBB238_487:
	s_mov_b32 s18, -1
                                        ; implicit-def: $vgpr2
.LBB238_488:
	s_branch .LBB238_277
.LBB238_489:
	s_cmp_lt_i32 s0, 5
	s_cbranch_scc1 .LBB238_494
; %bb.490:
	s_cmp_lt_i32 s0, 8
	s_cbranch_scc1 .LBB238_495
; %bb.491:
	;; [unrolled: 3-line block ×3, first 2 shown]
	s_cmp_gt_i32 s0, 9
	s_cbranch_scc0 .LBB238_497
; %bb.493:
	s_wait_loadcnt 0x0
	global_load_b64 v[2:3], v[0:1], off
	s_mov_b32 s19, 0
	s_wait_loadcnt 0x0
	v_cvt_f32_f64_e32 v2, v[2:3]
	s_delay_alu instid0(VALU_DEP_1) | instskip(SKIP_1) | instid1(VALU_DEP_2)
	v_bfe_u32 v3, v2, 16, 1
	v_cmp_o_f32_e32 vcc_lo, v2, v2
	v_add3_u32 v3, v2, v3, 0x7fff
	s_delay_alu instid0(VALU_DEP_1) | instskip(NEXT) | instid1(VALU_DEP_1)
	v_lshrrev_b32_e32 v3, 16, v3
	v_cndmask_b32_e32 v2, 0x7fc0, v3, vcc_lo
	s_branch .LBB238_498
.LBB238_494:
	s_mov_b32 s19, -1
                                        ; implicit-def: $vgpr2
	s_branch .LBB238_516
.LBB238_495:
	s_mov_b32 s19, -1
                                        ; implicit-def: $vgpr2
	s_branch .LBB238_504
.LBB238_496:
	s_mov_b32 s19, -1
                                        ; implicit-def: $vgpr2
	s_branch .LBB238_501
.LBB238_497:
	s_mov_b32 s19, -1
                                        ; implicit-def: $vgpr2
.LBB238_498:
	s_delay_alu instid0(SALU_CYCLE_1)
	s_and_not1_b32 vcc_lo, exec_lo, s19
	s_cbranch_vccnz .LBB238_500
; %bb.499:
	s_wait_loadcnt 0x0
	global_load_b32 v2, v[0:1], off
	s_wait_loadcnt 0x0
	v_bfe_u32 v3, v2, 16, 1
	v_cmp_o_f32_e32 vcc_lo, v2, v2
	s_delay_alu instid0(VALU_DEP_2) | instskip(NEXT) | instid1(VALU_DEP_1)
	v_add3_u32 v3, v2, v3, 0x7fff
	v_lshrrev_b32_e32 v3, 16, v3
	s_delay_alu instid0(VALU_DEP_1)
	v_cndmask_b32_e32 v2, 0x7fc0, v3, vcc_lo
.LBB238_500:
	s_mov_b32 s19, 0
.LBB238_501:
	s_delay_alu instid0(SALU_CYCLE_1)
	s_and_not1_b32 vcc_lo, exec_lo, s19
	s_cbranch_vccnz .LBB238_503
; %bb.502:
	s_wait_loadcnt 0x0
	global_load_b32 v2, v[0:1], off
	s_wait_loadcnt 0x0
	v_cvt_f32_f16_e32 v3, v2
	v_cmp_o_f16_e32 vcc_lo, v2, v2
	s_delay_alu instid0(VALU_DEP_2) | instskip(NEXT) | instid1(VALU_DEP_1)
	v_bfe_u32 v5, v3, 16, 1
	v_add3_u32 v3, v3, v5, 0x7fff
	s_delay_alu instid0(VALU_DEP_1) | instskip(NEXT) | instid1(VALU_DEP_1)
	v_lshrrev_b32_e32 v3, 16, v3
	v_cndmask_b32_e32 v2, 0x7fc0, v3, vcc_lo
.LBB238_503:
	s_mov_b32 s19, 0
.LBB238_504:
	s_delay_alu instid0(SALU_CYCLE_1)
	s_and_not1_b32 vcc_lo, exec_lo, s19
	s_cbranch_vccnz .LBB238_515
; %bb.505:
	s_cmp_lt_i32 s0, 6
	s_cbranch_scc1 .LBB238_508
; %bb.506:
	s_cmp_gt_i32 s0, 6
	s_cbranch_scc0 .LBB238_509
; %bb.507:
	s_wait_loadcnt 0x0
	global_load_b64 v[2:3], v[0:1], off
	s_mov_b32 s19, 0
	s_wait_loadcnt 0x0
	v_cvt_f32_f64_e32 v2, v[2:3]
	s_delay_alu instid0(VALU_DEP_1) | instskip(SKIP_1) | instid1(VALU_DEP_2)
	v_bfe_u32 v3, v2, 16, 1
	v_cmp_o_f32_e32 vcc_lo, v2, v2
	v_add3_u32 v3, v2, v3, 0x7fff
	s_delay_alu instid0(VALU_DEP_1) | instskip(NEXT) | instid1(VALU_DEP_1)
	v_lshrrev_b32_e32 v3, 16, v3
	v_cndmask_b32_e32 v2, 0x7fc0, v3, vcc_lo
	s_branch .LBB238_510
.LBB238_508:
	s_mov_b32 s19, -1
                                        ; implicit-def: $vgpr2
	s_branch .LBB238_513
.LBB238_509:
	s_mov_b32 s19, -1
                                        ; implicit-def: $vgpr2
.LBB238_510:
	s_delay_alu instid0(SALU_CYCLE_1)
	s_and_not1_b32 vcc_lo, exec_lo, s19
	s_cbranch_vccnz .LBB238_512
; %bb.511:
	s_wait_loadcnt 0x0
	global_load_b32 v2, v[0:1], off
	s_wait_loadcnt 0x0
	v_bfe_u32 v3, v2, 16, 1
	v_cmp_o_f32_e32 vcc_lo, v2, v2
	s_delay_alu instid0(VALU_DEP_2) | instskip(NEXT) | instid1(VALU_DEP_1)
	v_add3_u32 v3, v2, v3, 0x7fff
	v_lshrrev_b32_e32 v3, 16, v3
	s_delay_alu instid0(VALU_DEP_1)
	v_cndmask_b32_e32 v2, 0x7fc0, v3, vcc_lo
.LBB238_512:
	s_mov_b32 s19, 0
.LBB238_513:
	s_delay_alu instid0(SALU_CYCLE_1)
	s_and_not1_b32 vcc_lo, exec_lo, s19
	s_cbranch_vccnz .LBB238_515
; %bb.514:
	s_wait_loadcnt 0x0
	global_load_u16 v2, v[0:1], off
	s_wait_loadcnt 0x0
	v_cvt_f32_f16_e32 v3, v2
	v_cmp_o_f16_e32 vcc_lo, v2, v2
	s_delay_alu instid0(VALU_DEP_2) | instskip(NEXT) | instid1(VALU_DEP_1)
	v_bfe_u32 v5, v3, 16, 1
	v_add3_u32 v3, v3, v5, 0x7fff
	s_delay_alu instid0(VALU_DEP_1) | instskip(NEXT) | instid1(VALU_DEP_1)
	v_lshrrev_b32_e32 v3, 16, v3
	v_cndmask_b32_e32 v2, 0x7fc0, v3, vcc_lo
.LBB238_515:
	s_mov_b32 s19, 0
.LBB238_516:
	s_delay_alu instid0(SALU_CYCLE_1)
	s_and_not1_b32 vcc_lo, exec_lo, s19
	s_cbranch_vccnz .LBB238_536
; %bb.517:
	s_cmp_lt_i32 s0, 2
	s_cbranch_scc1 .LBB238_521
; %bb.518:
	s_cmp_lt_i32 s0, 3
	s_cbranch_scc1 .LBB238_522
; %bb.519:
	s_cmp_gt_i32 s0, 3
	s_cbranch_scc0 .LBB238_523
; %bb.520:
	s_wait_loadcnt 0x0
	global_load_b64 v[2:3], v[0:1], off
	s_mov_b32 s19, 0
	s_wait_loadcnt 0x0
	v_xor_b32_e32 v5, v2, v3
	v_cls_i32_e32 v6, v3
	s_delay_alu instid0(VALU_DEP_2) | instskip(NEXT) | instid1(VALU_DEP_1)
	v_ashrrev_i32_e32 v5, 31, v5
	v_add_nc_u32_e32 v5, 32, v5
	s_delay_alu instid0(VALU_DEP_1) | instskip(NEXT) | instid1(VALU_DEP_1)
	v_add_min_u32_e64 v5, v6, -1, v5
	v_lshlrev_b64_e32 v[2:3], v5, v[2:3]
	s_delay_alu instid0(VALU_DEP_1) | instskip(NEXT) | instid1(VALU_DEP_1)
	v_min_u32_e32 v2, 1, v2
	v_dual_sub_nc_u32 v3, 32, v5 :: v_dual_bitop2_b32 v2, v3, v2 bitop3:0x54
	s_delay_alu instid0(VALU_DEP_1) | instskip(NEXT) | instid1(VALU_DEP_1)
	v_cvt_f32_i32_e32 v2, v2
	v_ldexp_f32 v2, v2, v3
	s_delay_alu instid0(VALU_DEP_1) | instskip(NEXT) | instid1(VALU_DEP_1)
	v_bfe_u32 v3, v2, 16, 1
	v_add3_u32 v2, v2, v3, 0x7fff
	s_delay_alu instid0(VALU_DEP_1)
	v_lshrrev_b32_e32 v2, 16, v2
	s_branch .LBB238_524
.LBB238_521:
	s_mov_b32 s19, -1
                                        ; implicit-def: $vgpr2
	s_branch .LBB238_530
.LBB238_522:
	s_mov_b32 s19, -1
                                        ; implicit-def: $vgpr2
	s_branch .LBB238_527
.LBB238_523:
	s_mov_b32 s19, -1
                                        ; implicit-def: $vgpr2
.LBB238_524:
	s_delay_alu instid0(SALU_CYCLE_1)
	s_and_not1_b32 vcc_lo, exec_lo, s19
	s_cbranch_vccnz .LBB238_526
; %bb.525:
	s_wait_loadcnt 0x0
	global_load_b32 v2, v[0:1], off
	s_wait_loadcnt 0x0
	v_cvt_f32_i32_e32 v2, v2
	s_delay_alu instid0(VALU_DEP_1) | instskip(NEXT) | instid1(VALU_DEP_1)
	v_bfe_u32 v3, v2, 16, 1
	v_add3_u32 v2, v2, v3, 0x7fff
	s_delay_alu instid0(VALU_DEP_1)
	v_lshrrev_b32_e32 v2, 16, v2
.LBB238_526:
	s_mov_b32 s19, 0
.LBB238_527:
	s_delay_alu instid0(SALU_CYCLE_1)
	s_and_not1_b32 vcc_lo, exec_lo, s19
	s_cbranch_vccnz .LBB238_529
; %bb.528:
	s_wait_loadcnt 0x0
	global_load_i16 v2, v[0:1], off
	s_wait_loadcnt 0x0
	v_cvt_f32_i32_e32 v2, v2
	s_delay_alu instid0(VALU_DEP_1) | instskip(NEXT) | instid1(VALU_DEP_1)
	v_bfe_u32 v3, v2, 16, 1
	v_add3_u32 v2, v2, v3, 0x7fff
	s_delay_alu instid0(VALU_DEP_1)
	v_lshrrev_b32_e32 v2, 16, v2
.LBB238_529:
	s_mov_b32 s19, 0
.LBB238_530:
	s_delay_alu instid0(SALU_CYCLE_1)
	s_and_not1_b32 vcc_lo, exec_lo, s19
	s_cbranch_vccnz .LBB238_536
; %bb.531:
	s_cmp_gt_i32 s0, 0
	s_mov_b32 s0, 0
	s_cbranch_scc0 .LBB238_533
; %bb.532:
	s_wait_loadcnt 0x0
	global_load_i8 v2, v[0:1], off
	s_wait_loadcnt 0x0
	v_cvt_f32_i32_e32 v2, v2
	s_delay_alu instid0(VALU_DEP_1) | instskip(NEXT) | instid1(VALU_DEP_1)
	v_bfe_u32 v3, v2, 16, 1
	v_add3_u32 v2, v2, v3, 0x7fff
	s_delay_alu instid0(VALU_DEP_1)
	v_lshrrev_b32_e32 v2, 16, v2
	s_branch .LBB238_534
.LBB238_533:
	s_mov_b32 s0, -1
                                        ; implicit-def: $vgpr2
.LBB238_534:
	s_delay_alu instid0(SALU_CYCLE_1)
	s_and_not1_b32 vcc_lo, exec_lo, s0
	s_cbranch_vccnz .LBB238_536
; %bb.535:
	global_load_u8 v0, v[0:1], off
	s_wait_loadcnt 0x0
	v_cvt_f32_ubyte0_e32 v0, v0
	s_delay_alu instid0(VALU_DEP_1) | instskip(NEXT) | instid1(VALU_DEP_1)
	v_bfe_u32 v1, v0, 16, 1
	v_add3_u32 v0, v0, v1, 0x7fff
	s_delay_alu instid0(VALU_DEP_1)
	v_lshrrev_b32_e32 v2, 16, v0
.LBB238_536:
	s_branch .LBB238_278
.LBB238_537:
	s_mov_b32 s21, 0
	s_mov_b32 s0, s14
.LBB238_538:
                                        ; implicit-def: $vgpr4
.LBB238_539:
	s_and_not1_b32 s19, s14, exec_lo
	s_and_b32 s0, s0, exec_lo
	s_and_not1_b32 s22, s16, exec_lo
	s_and_b32 s18, s18, exec_lo
	s_or_b32 s19, s19, s0
	s_or_b32 s18, s22, s18
	s_or_not1_b32 s0, s21, exec_lo
.LBB238_540:
	s_wait_xcnt 0x0
	s_or_b32 exec_lo, exec_lo, s20
	s_mov_b32 s21, 0
	s_mov_b32 s22, 0
	;; [unrolled: 1-line block ×3, first 2 shown]
                                        ; implicit-def: $vgpr0_vgpr1
                                        ; implicit-def: $vgpr5
	s_and_saveexec_b32 s20, s0
	s_cbranch_execz .LBB238_900
; %bb.541:
	s_mov_b32 s23, -1
	s_mov_b32 s0, s18
	s_mov_b32 s22, s19
	s_mov_b32 s21, exec_lo
	v_cmpx_gt_i32_e64 s15, v4
	s_cbranch_execz .LBB238_814
; %bb.542:
	v_mul_lo_u32 v0, v4, s9
	s_and_b32 s0, 0xffff, s12
	s_delay_alu instid0(SALU_CYCLE_1) | instskip(NEXT) | instid1(VALU_DEP_1)
	s_cmp_lt_i32 s0, 11
	v_ashrrev_i32_e32 v1, 31, v0
	s_delay_alu instid0(VALU_DEP_1)
	v_add_nc_u64_e32 v[0:1], s[6:7], v[0:1]
	s_cbranch_scc1 .LBB238_549
; %bb.543:
	s_cmp_gt_i32 s0, 25
	s_cbranch_scc0 .LBB238_550
; %bb.544:
	s_cmp_gt_i32 s0, 28
	s_cbranch_scc0 .LBB238_551
; %bb.545:
	s_cmp_gt_i32 s0, 43
	s_cbranch_scc0 .LBB238_552
; %bb.546:
	s_cmp_gt_i32 s0, 45
	s_cbranch_scc0 .LBB238_555
; %bb.547:
	s_cmp_eq_u32 s0, 46
	s_mov_b32 s24, 0
	s_cbranch_scc0 .LBB238_558
; %bb.548:
	s_wait_loadcnt 0x0
	global_load_b32 v2, v[0:1], off
	s_mov_b32 s22, 0
	s_branch .LBB238_560
.LBB238_549:
	s_mov_b32 s24, -1
	s_mov_b32 s23, 0
	s_mov_b32 s22, s18
                                        ; implicit-def: $vgpr2
	s_branch .LBB238_625
.LBB238_550:
	s_mov_b32 s24, -1
	s_mov_b32 s23, 0
	s_mov_b32 s22, s18
                                        ; implicit-def: $vgpr2
	s_branch .LBB238_589
.LBB238_551:
	s_mov_b32 s24, -1
	s_mov_b32 s23, 0
	s_mov_b32 s22, s18
                                        ; implicit-def: $vgpr2
	s_branch .LBB238_570
.LBB238_552:
	s_mov_b32 s24, -1
	s_mov_b32 s23, 0
	s_mov_b32 s22, s18
                                        ; implicit-def: $vgpr2
	s_branch .LBB238_565
.LBB238_553:
	s_and_not1_saveexec_b32 s24, s24
	s_cbranch_execz .LBB238_337
.LBB238_554:
	v_add_f32_e64 v5, 0x46000000, |v6|
	s_and_not1_b32 s23, s23, exec_lo
	s_delay_alu instid0(VALU_DEP_1) | instskip(NEXT) | instid1(VALU_DEP_1)
	v_and_b32_e32 v5, 0xff, v5
	v_cmp_ne_u32_e32 vcc_lo, 0, v5
	s_and_b32 s25, vcc_lo, exec_lo
	s_delay_alu instid0(SALU_CYCLE_1)
	s_or_b32 s23, s23, s25
	s_or_b32 exec_lo, exec_lo, s24
	v_mov_b32_e32 v7, 0
	s_and_saveexec_b32 s24, s23
	s_cbranch_execnz .LBB238_338
	s_branch .LBB238_339
.LBB238_555:
	s_mov_b32 s24, -1
	s_mov_b32 s23, 0
	s_mov_b32 s22, s18
	s_branch .LBB238_559
.LBB238_556:
	s_and_not1_saveexec_b32 s24, s24
	s_cbranch_execz .LBB238_350
.LBB238_557:
	v_add_f32_e64 v5, 0x42800000, |v6|
	s_and_not1_b32 s23, s23, exec_lo
	s_delay_alu instid0(VALU_DEP_1) | instskip(NEXT) | instid1(VALU_DEP_1)
	v_and_b32_e32 v5, 0xff, v5
	v_cmp_ne_u32_e32 vcc_lo, 0, v5
	s_and_b32 s25, vcc_lo, exec_lo
	s_delay_alu instid0(SALU_CYCLE_1)
	s_or_b32 s23, s23, s25
	s_or_b32 exec_lo, exec_lo, s24
	v_mov_b32_e32 v7, 0
	s_and_saveexec_b32 s24, s23
	s_cbranch_execnz .LBB238_351
	s_branch .LBB238_352
.LBB238_558:
	s_mov_b32 s22, -1
	s_mov_b32 s23, 0
.LBB238_559:
                                        ; implicit-def: $vgpr2
.LBB238_560:
	s_and_b32 vcc_lo, exec_lo, s24
	s_cbranch_vccz .LBB238_564
; %bb.561:
	s_cmp_eq_u32 s0, 44
	s_cbranch_scc0 .LBB238_563
; %bb.562:
	s_wait_loadcnt 0x0
	global_load_u8 v2, v[0:1], off
	s_mov_b32 s22, 0
	s_mov_b32 s23, -1
	s_wait_loadcnt 0x0
	v_lshlrev_b32_e32 v3, 23, v2
	v_cmp_ne_u32_e32 vcc_lo, 0xff, v2
	s_delay_alu instid0(VALU_DEP_2) | instskip(SKIP_1) | instid1(VALU_DEP_2)
	v_cndmask_b32_e32 v3, 0x7f800001, v3, vcc_lo
	v_cmp_ne_u32_e32 vcc_lo, 0, v2
	v_cndmask_b32_e32 v2, 0x400000, v3, vcc_lo
	s_delay_alu instid0(VALU_DEP_1) | instskip(NEXT) | instid1(VALU_DEP_1)
	v_add_nc_u32_e32 v3, 0x7fff, v2
	v_lshrrev_b32_e32 v3, 16, v3
	v_cmp_o_f32_e32 vcc_lo, v2, v2
	s_delay_alu instid0(VALU_DEP_2)
	v_cndmask_b32_e32 v2, 0x7fc0, v3, vcc_lo
	s_branch .LBB238_564
.LBB238_563:
	s_mov_b32 s22, -1
                                        ; implicit-def: $vgpr2
.LBB238_564:
	s_mov_b32 s24, 0
.LBB238_565:
	s_delay_alu instid0(SALU_CYCLE_1)
	s_and_b32 vcc_lo, exec_lo, s24
	s_cbranch_vccz .LBB238_569
; %bb.566:
	s_cmp_eq_u32 s0, 29
	s_cbranch_scc0 .LBB238_568
; %bb.567:
	s_wait_loadcnt 0x0
	global_load_b64 v[2:3], v[0:1], off
	s_mov_b32 s23, -1
	s_mov_b32 s22, 0
	s_mov_b32 s24, 0
	s_wait_loadcnt 0x0
	v_clz_i32_u32_e32 v5, v3
	s_delay_alu instid0(VALU_DEP_1) | instskip(NEXT) | instid1(VALU_DEP_1)
	v_min_u32_e32 v5, 32, v5
	v_lshlrev_b64_e32 v[2:3], v5, v[2:3]
	s_delay_alu instid0(VALU_DEP_1) | instskip(NEXT) | instid1(VALU_DEP_1)
	v_min_u32_e32 v2, 1, v2
	v_dual_sub_nc_u32 v3, 32, v5 :: v_dual_bitop2_b32 v2, v3, v2 bitop3:0x54
	s_delay_alu instid0(VALU_DEP_1) | instskip(NEXT) | instid1(VALU_DEP_1)
	v_cvt_f32_u32_e32 v2, v2
	v_ldexp_f32 v2, v2, v3
	s_delay_alu instid0(VALU_DEP_1) | instskip(NEXT) | instid1(VALU_DEP_1)
	v_bfe_u32 v3, v2, 16, 1
	v_add3_u32 v2, v2, v3, 0x7fff
	s_delay_alu instid0(VALU_DEP_1)
	v_lshrrev_b32_e32 v2, 16, v2
	s_branch .LBB238_570
.LBB238_568:
	s_mov_b32 s22, -1
                                        ; implicit-def: $vgpr2
.LBB238_569:
	s_mov_b32 s24, 0
.LBB238_570:
	s_delay_alu instid0(SALU_CYCLE_1)
	s_and_b32 vcc_lo, exec_lo, s24
	s_cbranch_vccz .LBB238_588
; %bb.571:
	s_cmp_lt_i32 s0, 27
	s_cbranch_scc1 .LBB238_574
; %bb.572:
	s_cmp_gt_i32 s0, 27
	s_cbranch_scc0 .LBB238_575
; %bb.573:
	s_wait_loadcnt 0x0
	global_load_b32 v2, v[0:1], off
	s_mov_b32 s23, 0
	s_wait_loadcnt 0x0
	v_cvt_f32_u32_e32 v2, v2
	s_delay_alu instid0(VALU_DEP_1) | instskip(NEXT) | instid1(VALU_DEP_1)
	v_bfe_u32 v3, v2, 16, 1
	v_add3_u32 v2, v2, v3, 0x7fff
	s_delay_alu instid0(VALU_DEP_1)
	v_lshrrev_b32_e32 v2, 16, v2
	s_branch .LBB238_576
.LBB238_574:
	s_mov_b32 s23, -1
                                        ; implicit-def: $vgpr2
	s_branch .LBB238_579
.LBB238_575:
	s_mov_b32 s23, -1
                                        ; implicit-def: $vgpr2
.LBB238_576:
	s_delay_alu instid0(SALU_CYCLE_1)
	s_and_not1_b32 vcc_lo, exec_lo, s23
	s_cbranch_vccnz .LBB238_578
; %bb.577:
	s_wait_loadcnt 0x0
	global_load_u16 v2, v[0:1], off
	s_wait_loadcnt 0x0
	v_cvt_f32_u32_e32 v2, v2
	s_delay_alu instid0(VALU_DEP_1) | instskip(NEXT) | instid1(VALU_DEP_1)
	v_bfe_u32 v3, v2, 16, 1
	v_add3_u32 v2, v2, v3, 0x7fff
	s_delay_alu instid0(VALU_DEP_1)
	v_lshrrev_b32_e32 v2, 16, v2
.LBB238_578:
	s_mov_b32 s23, 0
.LBB238_579:
	s_delay_alu instid0(SALU_CYCLE_1)
	s_and_not1_b32 vcc_lo, exec_lo, s23
	s_cbranch_vccnz .LBB238_587
; %bb.580:
	s_wait_loadcnt 0x0
	global_load_u8 v2, v[0:1], off
	s_mov_b32 s23, 0
	s_mov_b32 s24, exec_lo
	s_wait_loadcnt 0x0
	v_cmpx_lt_i16_e32 0x7f, v2
	s_xor_b32 s24, exec_lo, s24
	s_cbranch_execz .LBB238_601
; %bb.581:
	s_mov_b32 s23, -1
	s_mov_b32 s25, exec_lo
	v_cmpx_eq_u16_e32 0x80, v2
; %bb.582:
	s_xor_b32 s23, exec_lo, -1
; %bb.583:
	s_or_b32 exec_lo, exec_lo, s25
	s_delay_alu instid0(SALU_CYCLE_1)
	s_and_b32 s23, s23, exec_lo
	s_or_saveexec_b32 s24, s24
	v_mov_b32_e32 v3, 0x7f800001
	s_xor_b32 exec_lo, exec_lo, s24
	s_cbranch_execnz .LBB238_602
.LBB238_584:
	s_or_b32 exec_lo, exec_lo, s24
	s_and_saveexec_b32 s24, s23
	s_cbranch_execz .LBB238_586
.LBB238_585:
	v_and_b32_e32 v3, 0xffff, v2
	s_delay_alu instid0(VALU_DEP_1) | instskip(SKIP_1) | instid1(VALU_DEP_2)
	v_and_b32_e32 v5, 7, v3
	v_bfe_u32 v8, v3, 3, 4
	v_clz_i32_u32_e32 v6, v5
	s_delay_alu instid0(VALU_DEP_2) | instskip(NEXT) | instid1(VALU_DEP_2)
	v_cmp_eq_u32_e32 vcc_lo, 0, v8
	v_min_u32_e32 v6, 32, v6
	s_delay_alu instid0(VALU_DEP_1) | instskip(NEXT) | instid1(VALU_DEP_1)
	v_subrev_nc_u32_e32 v7, 28, v6
	v_dual_lshlrev_b32 v3, v7, v3 :: v_dual_sub_nc_u32 v6, 29, v6
	s_delay_alu instid0(VALU_DEP_1) | instskip(NEXT) | instid1(VALU_DEP_1)
	v_dual_lshlrev_b32 v2, 24, v2 :: v_dual_bitop2_b32 v3, 7, v3 bitop3:0x40
	v_dual_cndmask_b32 v3, v5, v3 :: v_dual_cndmask_b32 v6, v8, v6
	s_delay_alu instid0(VALU_DEP_2) | instskip(NEXT) | instid1(VALU_DEP_2)
	v_and_b32_e32 v2, 0x80000000, v2
	v_lshlrev_b32_e32 v3, 20, v3
	s_delay_alu instid0(VALU_DEP_3) | instskip(NEXT) | instid1(VALU_DEP_1)
	v_lshl_add_u32 v5, v6, 23, 0x3b800000
	v_or3_b32 v3, v2, v5, v3
.LBB238_586:
	s_or_b32 exec_lo, exec_lo, s24
	s_delay_alu instid0(VALU_DEP_1) | instskip(SKIP_1) | instid1(VALU_DEP_2)
	v_bfe_u32 v2, v3, 16, 1
	v_cmp_o_f32_e32 vcc_lo, v3, v3
	v_add3_u32 v2, v3, v2, 0x7fff
	s_delay_alu instid0(VALU_DEP_1) | instskip(NEXT) | instid1(VALU_DEP_1)
	v_lshrrev_b32_e32 v2, 16, v2
	v_cndmask_b32_e32 v2, 0x7fc0, v2, vcc_lo
.LBB238_587:
	s_mov_b32 s23, -1
.LBB238_588:
	s_mov_b32 s24, 0
.LBB238_589:
	s_delay_alu instid0(SALU_CYCLE_1)
	s_and_b32 vcc_lo, exec_lo, s24
	s_cbranch_vccz .LBB238_624
; %bb.590:
	s_cmp_gt_i32 s0, 22
	s_cbranch_scc0 .LBB238_600
; %bb.591:
	s_cmp_lt_i32 s0, 24
	s_cbranch_scc1 .LBB238_603
; %bb.592:
	s_cmp_gt_i32 s0, 24
	s_cbranch_scc0 .LBB238_604
; %bb.593:
	s_wait_loadcnt 0x0
	global_load_u8 v2, v[0:1], off
	s_mov_b32 s23, 0
	s_mov_b32 s24, exec_lo
	s_wait_loadcnt 0x0
	v_cmpx_lt_i16_e32 0x7f, v2
	s_xor_b32 s24, exec_lo, s24
	s_cbranch_execz .LBB238_616
; %bb.594:
	s_mov_b32 s23, -1
	s_mov_b32 s25, exec_lo
	v_cmpx_eq_u16_e32 0x80, v2
; %bb.595:
	s_xor_b32 s23, exec_lo, -1
; %bb.596:
	s_or_b32 exec_lo, exec_lo, s25
	s_delay_alu instid0(SALU_CYCLE_1)
	s_and_b32 s23, s23, exec_lo
	s_or_saveexec_b32 s24, s24
	v_mov_b32_e32 v3, 0x7f800001
	s_xor_b32 exec_lo, exec_lo, s24
	s_cbranch_execnz .LBB238_617
.LBB238_597:
	s_or_b32 exec_lo, exec_lo, s24
	s_and_saveexec_b32 s24, s23
	s_cbranch_execz .LBB238_599
.LBB238_598:
	v_and_b32_e32 v3, 0xffff, v2
	s_delay_alu instid0(VALU_DEP_1) | instskip(SKIP_1) | instid1(VALU_DEP_2)
	v_and_b32_e32 v5, 3, v3
	v_bfe_u32 v8, v3, 2, 5
	v_clz_i32_u32_e32 v6, v5
	s_delay_alu instid0(VALU_DEP_2) | instskip(NEXT) | instid1(VALU_DEP_2)
	v_cmp_eq_u32_e32 vcc_lo, 0, v8
	v_min_u32_e32 v6, 32, v6
	s_delay_alu instid0(VALU_DEP_1) | instskip(NEXT) | instid1(VALU_DEP_1)
	v_subrev_nc_u32_e32 v7, 29, v6
	v_dual_lshlrev_b32 v3, v7, v3 :: v_dual_sub_nc_u32 v6, 30, v6
	s_delay_alu instid0(VALU_DEP_1) | instskip(NEXT) | instid1(VALU_DEP_1)
	v_dual_lshlrev_b32 v2, 24, v2 :: v_dual_bitop2_b32 v3, 3, v3 bitop3:0x40
	v_dual_cndmask_b32 v3, v5, v3 :: v_dual_cndmask_b32 v6, v8, v6
	s_delay_alu instid0(VALU_DEP_2) | instskip(NEXT) | instid1(VALU_DEP_2)
	v_and_b32_e32 v2, 0x80000000, v2
	v_lshlrev_b32_e32 v3, 21, v3
	s_delay_alu instid0(VALU_DEP_3) | instskip(NEXT) | instid1(VALU_DEP_1)
	v_lshl_add_u32 v5, v6, 23, 0x37800000
	v_or3_b32 v3, v2, v5, v3
.LBB238_599:
	s_or_b32 exec_lo, exec_lo, s24
	s_delay_alu instid0(VALU_DEP_1) | instskip(SKIP_2) | instid1(VALU_DEP_2)
	v_bfe_u32 v2, v3, 16, 1
	v_cmp_o_f32_e32 vcc_lo, v3, v3
	s_mov_b32 s23, 0
	v_add3_u32 v2, v3, v2, 0x7fff
	s_delay_alu instid0(VALU_DEP_1) | instskip(NEXT) | instid1(VALU_DEP_1)
	v_lshrrev_b32_e32 v2, 16, v2
	v_cndmask_b32_e32 v2, 0x7fc0, v2, vcc_lo
	s_branch .LBB238_605
.LBB238_600:
	s_mov_b32 s24, -1
                                        ; implicit-def: $vgpr2
	s_branch .LBB238_611
.LBB238_601:
	s_or_saveexec_b32 s24, s24
	v_mov_b32_e32 v3, 0x7f800001
	s_xor_b32 exec_lo, exec_lo, s24
	s_cbranch_execz .LBB238_584
.LBB238_602:
	v_cmp_ne_u16_e32 vcc_lo, 0, v2
	v_mov_b32_e32 v3, 0
	s_and_not1_b32 s23, s23, exec_lo
	s_and_b32 s25, vcc_lo, exec_lo
	s_delay_alu instid0(SALU_CYCLE_1)
	s_or_b32 s23, s23, s25
	s_or_b32 exec_lo, exec_lo, s24
	s_and_saveexec_b32 s24, s23
	s_cbranch_execnz .LBB238_585
	s_branch .LBB238_586
.LBB238_603:
	s_mov_b32 s23, -1
                                        ; implicit-def: $vgpr2
	s_branch .LBB238_608
.LBB238_604:
	s_mov_b32 s23, -1
                                        ; implicit-def: $vgpr2
.LBB238_605:
	s_delay_alu instid0(SALU_CYCLE_1)
	s_and_b32 vcc_lo, exec_lo, s23
	s_cbranch_vccz .LBB238_607
; %bb.606:
	s_wait_loadcnt 0x0
	global_load_u8 v2, v[0:1], off
	s_wait_loadcnt 0x0
	v_lshlrev_b32_e32 v2, 24, v2
	s_delay_alu instid0(VALU_DEP_1) | instskip(NEXT) | instid1(VALU_DEP_1)
	v_and_b32_e32 v3, 0x7f000000, v2
	v_clz_i32_u32_e32 v5, v3
	v_add_nc_u32_e32 v7, 0x1000000, v3
	v_cmp_ne_u32_e32 vcc_lo, 0, v3
	s_delay_alu instid0(VALU_DEP_3) | instskip(NEXT) | instid1(VALU_DEP_1)
	v_min_u32_e32 v5, 32, v5
	v_sub_nc_u32_e64 v5, v5, 4 clamp
	s_delay_alu instid0(VALU_DEP_1) | instskip(NEXT) | instid1(VALU_DEP_1)
	v_dual_lshlrev_b32 v6, v5, v3 :: v_dual_lshlrev_b32 v5, 23, v5
	v_lshrrev_b32_e32 v6, 4, v6
	s_delay_alu instid0(VALU_DEP_1) | instskip(NEXT) | instid1(VALU_DEP_1)
	v_dual_sub_nc_u32 v5, v6, v5 :: v_dual_ashrrev_i32 v6, 8, v7
	v_add_nc_u32_e32 v5, 0x3c000000, v5
	s_delay_alu instid0(VALU_DEP_1) | instskip(NEXT) | instid1(VALU_DEP_1)
	v_and_or_b32 v5, 0x7f800000, v6, v5
	v_cndmask_b32_e32 v3, 0, v5, vcc_lo
	s_delay_alu instid0(VALU_DEP_1) | instskip(SKIP_1) | instid1(VALU_DEP_2)
	v_and_or_b32 v2, 0x80000000, v2, v3
	v_bfe_u32 v3, v3, 16, 1
	v_cmp_o_f32_e32 vcc_lo, v2, v2
	s_delay_alu instid0(VALU_DEP_2) | instskip(NEXT) | instid1(VALU_DEP_1)
	v_add3_u32 v3, v2, v3, 0x7fff
	v_lshrrev_b32_e32 v3, 16, v3
	s_delay_alu instid0(VALU_DEP_1)
	v_cndmask_b32_e32 v2, 0x7fc0, v3, vcc_lo
.LBB238_607:
	s_mov_b32 s23, 0
.LBB238_608:
	s_delay_alu instid0(SALU_CYCLE_1)
	s_and_not1_b32 vcc_lo, exec_lo, s23
	s_cbranch_vccnz .LBB238_610
; %bb.609:
	s_wait_loadcnt 0x0
	global_load_u8 v2, v[0:1], off
	s_wait_loadcnt 0x0
	v_lshlrev_b32_e32 v3, 25, v2
	v_lshlrev_b16 v2, 8, v2
	s_delay_alu instid0(VALU_DEP_2) | instskip(NEXT) | instid1(VALU_DEP_2)
	v_cmp_gt_u32_e32 vcc_lo, 0x8000000, v3
	v_and_or_b32 v6, 0x7f00, v2, 0.5
	v_lshrrev_b32_e32 v5, 4, v3
	v_bfe_i32 v2, v2, 0, 16
	s_delay_alu instid0(VALU_DEP_3) | instskip(NEXT) | instid1(VALU_DEP_3)
	v_add_f32_e32 v6, -0.5, v6
	v_or_b32_e32 v5, 0x70000000, v5
	s_delay_alu instid0(VALU_DEP_1) | instskip(NEXT) | instid1(VALU_DEP_1)
	v_mul_f32_e32 v5, 0x7800000, v5
	v_cndmask_b32_e32 v3, v5, v6, vcc_lo
	s_delay_alu instid0(VALU_DEP_1) | instskip(SKIP_1) | instid1(VALU_DEP_2)
	v_and_or_b32 v2, 0x80000000, v2, v3
	v_bfe_u32 v3, v3, 16, 1
	v_cmp_o_f32_e32 vcc_lo, v2, v2
	s_delay_alu instid0(VALU_DEP_2) | instskip(NEXT) | instid1(VALU_DEP_1)
	v_add3_u32 v3, v2, v3, 0x7fff
	v_lshrrev_b32_e32 v3, 16, v3
	s_delay_alu instid0(VALU_DEP_1)
	v_cndmask_b32_e32 v2, 0x7fc0, v3, vcc_lo
.LBB238_610:
	s_mov_b32 s24, 0
	s_mov_b32 s23, -1
.LBB238_611:
	s_and_not1_b32 vcc_lo, exec_lo, s24
	s_cbranch_vccnz .LBB238_624
; %bb.612:
	s_cmp_gt_i32 s0, 14
	s_cbranch_scc0 .LBB238_615
; %bb.613:
	s_cmp_eq_u32 s0, 15
	s_cbranch_scc0 .LBB238_618
; %bb.614:
	s_wait_loadcnt 0x0
	global_load_u16 v2, v[0:1], off
	s_mov_b32 s23, -1
	s_mov_b32 s22, 0
	s_branch .LBB238_619
.LBB238_615:
	s_mov_b32 s24, -1
                                        ; implicit-def: $vgpr2
	s_branch .LBB238_620
.LBB238_616:
	s_or_saveexec_b32 s24, s24
	v_mov_b32_e32 v3, 0x7f800001
	s_xor_b32 exec_lo, exec_lo, s24
	s_cbranch_execz .LBB238_597
.LBB238_617:
	v_cmp_ne_u16_e32 vcc_lo, 0, v2
	v_mov_b32_e32 v3, 0
	s_and_not1_b32 s23, s23, exec_lo
	s_and_b32 s25, vcc_lo, exec_lo
	s_delay_alu instid0(SALU_CYCLE_1)
	s_or_b32 s23, s23, s25
	s_or_b32 exec_lo, exec_lo, s24
	s_and_saveexec_b32 s24, s23
	s_cbranch_execnz .LBB238_598
	s_branch .LBB238_599
.LBB238_618:
	s_mov_b32 s22, -1
                                        ; implicit-def: $vgpr2
.LBB238_619:
	s_mov_b32 s24, 0
.LBB238_620:
	s_delay_alu instid0(SALU_CYCLE_1)
	s_and_b32 vcc_lo, exec_lo, s24
	s_cbranch_vccz .LBB238_624
; %bb.621:
	s_cmp_eq_u32 s0, 11
	s_cbranch_scc0 .LBB238_623
; %bb.622:
	s_wait_loadcnt 0x0
	global_load_u8 v2, v[0:1], off
	s_mov_b32 s22, 0
	s_mov_b32 s23, -1
	s_wait_loadcnt 0x0
	v_cmp_ne_u16_e32 vcc_lo, 0, v2
	v_cndmask_b32_e64 v2, 0, 1.0, vcc_lo
	s_delay_alu instid0(VALU_DEP_1)
	v_lshrrev_b32_e32 v2, 16, v2
	s_branch .LBB238_624
.LBB238_623:
	s_mov_b32 s22, -1
                                        ; implicit-def: $vgpr2
.LBB238_624:
	s_mov_b32 s24, 0
.LBB238_625:
	s_delay_alu instid0(SALU_CYCLE_1)
	s_and_b32 vcc_lo, exec_lo, s24
	s_cbranch_vccz .LBB238_674
; %bb.626:
	s_cmp_lt_i32 s0, 5
	s_cbranch_scc1 .LBB238_631
; %bb.627:
	s_cmp_lt_i32 s0, 8
	s_cbranch_scc1 .LBB238_632
	;; [unrolled: 3-line block ×3, first 2 shown]
; %bb.629:
	s_cmp_gt_i32 s0, 9
	s_cbranch_scc0 .LBB238_634
; %bb.630:
	s_wait_loadcnt 0x0
	global_load_b64 v[2:3], v[0:1], off
	s_mov_b32 s23, 0
	s_wait_loadcnt 0x0
	v_cvt_f32_f64_e32 v2, v[2:3]
	s_delay_alu instid0(VALU_DEP_1) | instskip(SKIP_1) | instid1(VALU_DEP_2)
	v_bfe_u32 v3, v2, 16, 1
	v_cmp_o_f32_e32 vcc_lo, v2, v2
	v_add3_u32 v3, v2, v3, 0x7fff
	s_delay_alu instid0(VALU_DEP_1) | instskip(NEXT) | instid1(VALU_DEP_1)
	v_lshrrev_b32_e32 v3, 16, v3
	v_cndmask_b32_e32 v2, 0x7fc0, v3, vcc_lo
	s_branch .LBB238_635
.LBB238_631:
	s_mov_b32 s23, -1
                                        ; implicit-def: $vgpr2
	s_branch .LBB238_653
.LBB238_632:
	s_mov_b32 s23, -1
                                        ; implicit-def: $vgpr2
	s_branch .LBB238_641
.LBB238_633:
	s_mov_b32 s23, -1
                                        ; implicit-def: $vgpr2
	s_branch .LBB238_638
.LBB238_634:
	s_mov_b32 s23, -1
                                        ; implicit-def: $vgpr2
.LBB238_635:
	s_delay_alu instid0(SALU_CYCLE_1)
	s_and_not1_b32 vcc_lo, exec_lo, s23
	s_cbranch_vccnz .LBB238_637
; %bb.636:
	s_wait_loadcnt 0x0
	global_load_b32 v2, v[0:1], off
	s_wait_loadcnt 0x0
	v_bfe_u32 v3, v2, 16, 1
	v_cmp_o_f32_e32 vcc_lo, v2, v2
	s_delay_alu instid0(VALU_DEP_2) | instskip(NEXT) | instid1(VALU_DEP_1)
	v_add3_u32 v3, v2, v3, 0x7fff
	v_lshrrev_b32_e32 v3, 16, v3
	s_delay_alu instid0(VALU_DEP_1)
	v_cndmask_b32_e32 v2, 0x7fc0, v3, vcc_lo
.LBB238_637:
	s_mov_b32 s23, 0
.LBB238_638:
	s_delay_alu instid0(SALU_CYCLE_1)
	s_and_not1_b32 vcc_lo, exec_lo, s23
	s_cbranch_vccnz .LBB238_640
; %bb.639:
	s_wait_loadcnt 0x0
	global_load_b32 v2, v[0:1], off
	s_wait_loadcnt 0x0
	v_cvt_f32_f16_e32 v3, v2
	v_cmp_o_f16_e32 vcc_lo, v2, v2
	s_delay_alu instid0(VALU_DEP_2) | instskip(NEXT) | instid1(VALU_DEP_1)
	v_bfe_u32 v5, v3, 16, 1
	v_add3_u32 v3, v3, v5, 0x7fff
	s_delay_alu instid0(VALU_DEP_1) | instskip(NEXT) | instid1(VALU_DEP_1)
	v_lshrrev_b32_e32 v3, 16, v3
	v_cndmask_b32_e32 v2, 0x7fc0, v3, vcc_lo
.LBB238_640:
	s_mov_b32 s23, 0
.LBB238_641:
	s_delay_alu instid0(SALU_CYCLE_1)
	s_and_not1_b32 vcc_lo, exec_lo, s23
	s_cbranch_vccnz .LBB238_652
; %bb.642:
	s_cmp_lt_i32 s0, 6
	s_cbranch_scc1 .LBB238_645
; %bb.643:
	s_cmp_gt_i32 s0, 6
	s_cbranch_scc0 .LBB238_646
; %bb.644:
	s_wait_loadcnt 0x0
	global_load_b64 v[2:3], v[0:1], off
	s_mov_b32 s23, 0
	s_wait_loadcnt 0x0
	v_cvt_f32_f64_e32 v2, v[2:3]
	s_delay_alu instid0(VALU_DEP_1) | instskip(SKIP_1) | instid1(VALU_DEP_2)
	v_bfe_u32 v3, v2, 16, 1
	v_cmp_o_f32_e32 vcc_lo, v2, v2
	v_add3_u32 v3, v2, v3, 0x7fff
	s_delay_alu instid0(VALU_DEP_1) | instskip(NEXT) | instid1(VALU_DEP_1)
	v_lshrrev_b32_e32 v3, 16, v3
	v_cndmask_b32_e32 v2, 0x7fc0, v3, vcc_lo
	s_branch .LBB238_647
.LBB238_645:
	s_mov_b32 s23, -1
                                        ; implicit-def: $vgpr2
	s_branch .LBB238_650
.LBB238_646:
	s_mov_b32 s23, -1
                                        ; implicit-def: $vgpr2
.LBB238_647:
	s_delay_alu instid0(SALU_CYCLE_1)
	s_and_not1_b32 vcc_lo, exec_lo, s23
	s_cbranch_vccnz .LBB238_649
; %bb.648:
	s_wait_loadcnt 0x0
	global_load_b32 v2, v[0:1], off
	s_wait_loadcnt 0x0
	v_bfe_u32 v3, v2, 16, 1
	v_cmp_o_f32_e32 vcc_lo, v2, v2
	s_delay_alu instid0(VALU_DEP_2) | instskip(NEXT) | instid1(VALU_DEP_1)
	v_add3_u32 v3, v2, v3, 0x7fff
	v_lshrrev_b32_e32 v3, 16, v3
	s_delay_alu instid0(VALU_DEP_1)
	v_cndmask_b32_e32 v2, 0x7fc0, v3, vcc_lo
.LBB238_649:
	s_mov_b32 s23, 0
.LBB238_650:
	s_delay_alu instid0(SALU_CYCLE_1)
	s_and_not1_b32 vcc_lo, exec_lo, s23
	s_cbranch_vccnz .LBB238_652
; %bb.651:
	s_wait_loadcnt 0x0
	global_load_u16 v2, v[0:1], off
	s_wait_loadcnt 0x0
	v_cvt_f32_f16_e32 v3, v2
	v_cmp_o_f16_e32 vcc_lo, v2, v2
	s_delay_alu instid0(VALU_DEP_2) | instskip(NEXT) | instid1(VALU_DEP_1)
	v_bfe_u32 v5, v3, 16, 1
	v_add3_u32 v3, v3, v5, 0x7fff
	s_delay_alu instid0(VALU_DEP_1) | instskip(NEXT) | instid1(VALU_DEP_1)
	v_lshrrev_b32_e32 v3, 16, v3
	v_cndmask_b32_e32 v2, 0x7fc0, v3, vcc_lo
.LBB238_652:
	s_mov_b32 s23, 0
.LBB238_653:
	s_delay_alu instid0(SALU_CYCLE_1)
	s_and_not1_b32 vcc_lo, exec_lo, s23
	s_cbranch_vccnz .LBB238_673
; %bb.654:
	s_cmp_lt_i32 s0, 2
	s_cbranch_scc1 .LBB238_658
; %bb.655:
	s_cmp_lt_i32 s0, 3
	s_cbranch_scc1 .LBB238_659
; %bb.656:
	s_cmp_gt_i32 s0, 3
	s_cbranch_scc0 .LBB238_660
; %bb.657:
	s_wait_loadcnt 0x0
	global_load_b64 v[2:3], v[0:1], off
	s_mov_b32 s23, 0
	s_wait_loadcnt 0x0
	v_xor_b32_e32 v5, v2, v3
	v_cls_i32_e32 v6, v3
	s_delay_alu instid0(VALU_DEP_2) | instskip(NEXT) | instid1(VALU_DEP_1)
	v_ashrrev_i32_e32 v5, 31, v5
	v_add_nc_u32_e32 v5, 32, v5
	s_delay_alu instid0(VALU_DEP_1) | instskip(NEXT) | instid1(VALU_DEP_1)
	v_add_min_u32_e64 v5, v6, -1, v5
	v_lshlrev_b64_e32 v[2:3], v5, v[2:3]
	s_delay_alu instid0(VALU_DEP_1) | instskip(NEXT) | instid1(VALU_DEP_1)
	v_min_u32_e32 v2, 1, v2
	v_dual_sub_nc_u32 v3, 32, v5 :: v_dual_bitop2_b32 v2, v3, v2 bitop3:0x54
	s_delay_alu instid0(VALU_DEP_1) | instskip(NEXT) | instid1(VALU_DEP_1)
	v_cvt_f32_i32_e32 v2, v2
	v_ldexp_f32 v2, v2, v3
	s_delay_alu instid0(VALU_DEP_1) | instskip(NEXT) | instid1(VALU_DEP_1)
	v_bfe_u32 v3, v2, 16, 1
	v_add3_u32 v2, v2, v3, 0x7fff
	s_delay_alu instid0(VALU_DEP_1)
	v_lshrrev_b32_e32 v2, 16, v2
	s_branch .LBB238_661
.LBB238_658:
	s_mov_b32 s23, -1
                                        ; implicit-def: $vgpr2
	s_branch .LBB238_667
.LBB238_659:
	s_mov_b32 s23, -1
                                        ; implicit-def: $vgpr2
	s_branch .LBB238_664
.LBB238_660:
	s_mov_b32 s23, -1
                                        ; implicit-def: $vgpr2
.LBB238_661:
	s_delay_alu instid0(SALU_CYCLE_1)
	s_and_not1_b32 vcc_lo, exec_lo, s23
	s_cbranch_vccnz .LBB238_663
; %bb.662:
	s_wait_loadcnt 0x0
	global_load_b32 v2, v[0:1], off
	s_wait_loadcnt 0x0
	v_cvt_f32_i32_e32 v2, v2
	s_delay_alu instid0(VALU_DEP_1) | instskip(NEXT) | instid1(VALU_DEP_1)
	v_bfe_u32 v3, v2, 16, 1
	v_add3_u32 v2, v2, v3, 0x7fff
	s_delay_alu instid0(VALU_DEP_1)
	v_lshrrev_b32_e32 v2, 16, v2
.LBB238_663:
	s_mov_b32 s23, 0
.LBB238_664:
	s_delay_alu instid0(SALU_CYCLE_1)
	s_and_not1_b32 vcc_lo, exec_lo, s23
	s_cbranch_vccnz .LBB238_666
; %bb.665:
	s_wait_loadcnt 0x0
	global_load_i16 v2, v[0:1], off
	s_wait_loadcnt 0x0
	v_cvt_f32_i32_e32 v2, v2
	s_delay_alu instid0(VALU_DEP_1) | instskip(NEXT) | instid1(VALU_DEP_1)
	v_bfe_u32 v3, v2, 16, 1
	v_add3_u32 v2, v2, v3, 0x7fff
	s_delay_alu instid0(VALU_DEP_1)
	v_lshrrev_b32_e32 v2, 16, v2
.LBB238_666:
	s_mov_b32 s23, 0
.LBB238_667:
	s_delay_alu instid0(SALU_CYCLE_1)
	s_and_not1_b32 vcc_lo, exec_lo, s23
	s_cbranch_vccnz .LBB238_673
; %bb.668:
	s_cmp_gt_i32 s0, 0
	s_mov_b32 s0, 0
	s_cbranch_scc0 .LBB238_670
; %bb.669:
	s_wait_loadcnt 0x0
	global_load_i8 v2, v[0:1], off
	s_wait_loadcnt 0x0
	v_cvt_f32_i32_e32 v2, v2
	s_delay_alu instid0(VALU_DEP_1) | instskip(NEXT) | instid1(VALU_DEP_1)
	v_bfe_u32 v3, v2, 16, 1
	v_add3_u32 v2, v2, v3, 0x7fff
	s_delay_alu instid0(VALU_DEP_1)
	v_lshrrev_b32_e32 v2, 16, v2
	s_branch .LBB238_671
.LBB238_670:
	s_mov_b32 s0, -1
                                        ; implicit-def: $vgpr2
.LBB238_671:
	s_delay_alu instid0(SALU_CYCLE_1)
	s_and_not1_b32 vcc_lo, exec_lo, s0
	s_cbranch_vccnz .LBB238_673
; %bb.672:
	global_load_u8 v0, v[0:1], off
	s_wait_loadcnt 0x0
	v_cvt_f32_ubyte0_e32 v0, v0
	s_delay_alu instid0(VALU_DEP_1) | instskip(NEXT) | instid1(VALU_DEP_1)
	v_bfe_u32 v1, v0, 16, 1
	v_add3_u32 v0, v0, v1, 0x7fff
	s_delay_alu instid0(VALU_DEP_1)
	v_lshrrev_b32_e32 v2, 16, v0
.LBB238_673:
	s_mov_b32 s23, -1
.LBB238_674:
	s_delay_alu instid0(SALU_CYCLE_1)
	s_and_not1_b32 vcc_lo, exec_lo, s23
	s_cbranch_vccnz .LBB238_679
; %bb.675:
	s_wait_loadcnt 0x0
	v_lshlrev_b32_e32 v0, 16, v2
	s_mov_b32 s0, exec_lo
	s_delay_alu instid0(VALU_DEP_1)
	v_cmpx_o_f32_e32 v0, v0
	s_cbranch_execz .LBB238_687
; %bb.676:
	s_cmp_lt_i32 s10, 1
	s_mov_b32 s23, 0
	s_cbranch_scc1 .LBB238_680
; %bb.677:
	s_cmp_eq_u32 s10, 1
	s_cbranch_scc0 .LBB238_681
; %bb.678:
	v_max_num_f32_e64 v1, s11, s11
	v_max_num_f32_e32 v2, v0, v0
	s_mov_b32 s24, 0
	s_delay_alu instid0(VALU_DEP_1) | instskip(NEXT) | instid1(VALU_DEP_1)
	v_min_num_f32_e32 v1, v2, v1
	v_bfe_u32 v2, v1, 16, 1
	s_delay_alu instid0(VALU_DEP_1) | instskip(NEXT) | instid1(VALU_DEP_1)
	v_add3_u32 v1, v1, v2, 0x7fff
	v_lshrrev_b32_e32 v2, 16, v1
	s_branch .LBB238_682
.LBB238_679:
	s_mov_b32 s23, 0
	s_mov_b32 s0, s19
	s_branch .LBB238_812
.LBB238_680:
	s_mov_b32 s25, -1
	s_mov_b32 s24, 0
                                        ; implicit-def: $vgpr2
	s_branch .LBB238_683
.LBB238_681:
	s_mov_b32 s24, -1
                                        ; implicit-def: $vgpr2
.LBB238_682:
	s_mov_b32 s25, 0
.LBB238_683:
	s_delay_alu instid0(SALU_CYCLE_1)
	s_and_b32 vcc_lo, exec_lo, s25
	s_cbranch_vccz .LBB238_694
; %bb.684:
	s_cmp_lg_u32 s10, 0
	s_mov_b32 s23, -1
	s_cselect_b32 s24, -1, 0
	v_max_num_f32_e32 v0, v0, v0
	s_and_not1_b32 vcc_lo, exec_lo, s24
	s_cbranch_vccz .LBB238_695
.LBB238_685:
	s_and_not1_b32 vcc_lo, exec_lo, s23
	s_cbranch_vccnz .LBB238_687
.LBB238_686:
	v_max_num_f32_e64 v1, s11, s11
	s_delay_alu instid0(VALU_DEP_1) | instskip(NEXT) | instid1(VALU_DEP_1)
	v_max_num_f32_e32 v0, v0, v1
	v_bfe_u32 v1, v0, 16, 1
	s_delay_alu instid0(VALU_DEP_1) | instskip(NEXT) | instid1(VALU_DEP_1)
	v_add3_u32 v0, v0, v1, 0x7fff
	v_lshrrev_b32_e32 v2, 16, v0
.LBB238_687:
	s_or_b32 exec_lo, exec_lo, s0
	v_mul_lo_u32 v0, v4, s8
	s_and_b32 s23, s3, 0xff
	s_delay_alu instid0(SALU_CYCLE_1) | instskip(NEXT) | instid1(VALU_DEP_1)
	s_cmp_lt_i32 s23, 11
	v_ashrrev_i32_e32 v1, 31, v0
	s_delay_alu instid0(VALU_DEP_1)
	v_add_nc_u64_e32 v[0:1], s[4:5], v[0:1]
	s_cbranch_scc1 .LBB238_696
; %bb.688:
	s_and_b32 s24, 0xffff, s23
	s_delay_alu instid0(SALU_CYCLE_1)
	s_cmp_gt_i32 s24, 25
	s_cbranch_scc0 .LBB238_697
; %bb.689:
	s_cmp_gt_i32 s24, 28
	s_cbranch_scc0 .LBB238_698
; %bb.690:
	;; [unrolled: 3-line block ×4, first 2 shown]
	s_mov_b32 s26, 0
	s_mov_b32 s0, -1
	s_cmp_eq_u32 s24, 46
	s_mov_b32 s25, 0
	s_cbranch_scc0 .LBB238_701
; %bb.693:
	v_and_b32_e32 v3, 0xffff, v2
	s_mov_b32 s25, -1
	s_mov_b32 s0, 0
	global_store_b32 v[0:1], v3, off
	s_branch .LBB238_701
.LBB238_694:
	v_max_num_f32_e32 v0, v0, v0
	s_and_not1_b32 vcc_lo, exec_lo, s24
	s_cbranch_vccnz .LBB238_685
.LBB238_695:
	v_max_num_f32_e64 v1, s11, s11
	v_max_num_f32_e64 v2, s2, s2
	s_delay_alu instid0(VALU_DEP_1) | instskip(NEXT) | instid1(VALU_DEP_1)
	v_maxmin_num_f32 v1, v0, v1, v2
	v_bfe_u32 v2, v1, 16, 1
	s_delay_alu instid0(VALU_DEP_1) | instskip(NEXT) | instid1(VALU_DEP_1)
	v_add3_u32 v1, v1, v2, 0x7fff
	v_lshrrev_b32_e32 v2, 16, v1
	s_cbranch_execz .LBB238_686
	s_branch .LBB238_687
.LBB238_696:
	s_mov_b32 s24, -1
	s_mov_b32 s25, 0
	s_mov_b32 s0, s19
	s_branch .LBB238_770
.LBB238_697:
	s_mov_b32 s26, -1
	s_mov_b32 s25, 0
	s_mov_b32 s0, s19
	s_branch .LBB238_728
.LBB238_698:
	s_mov_b32 s26, -1
	s_mov_b32 s25, 0
	s_mov_b32 s0, s19
	s_branch .LBB238_711
.LBB238_699:
	s_mov_b32 s26, -1
	s_mov_b32 s25, 0
	s_mov_b32 s0, s19
	s_branch .LBB238_707
.LBB238_700:
	s_mov_b32 s26, -1
	s_mov_b32 s25, 0
	s_mov_b32 s0, s19
.LBB238_701:
	s_and_b32 vcc_lo, exec_lo, s26
	s_cbranch_vccz .LBB238_706
; %bb.702:
	s_cmp_eq_u32 s24, 44
	s_mov_b32 s0, -1
	s_cbranch_scc0 .LBB238_706
; %bb.703:
	s_wait_xcnt 0x0
	v_and_b32_e32 v3, 0xffff, v2
	v_mov_b32_e32 v5, 0xff
	s_mov_b32 s25, exec_lo
	s_delay_alu instid0(VALU_DEP_2) | instskip(NEXT) | instid1(VALU_DEP_1)
	v_bfe_u32 v6, v3, 7, 8
	v_cmpx_ne_u32_e32 0xff, v6
	s_cbranch_execz .LBB238_705
; %bb.704:
	v_dual_lshlrev_b32 v5, 16, v3 :: v_dual_bitop2_b32 v7, 64, v3 bitop3:0x40
	v_lshrrev_b32_e32 v3, 7, v3
	s_delay_alu instid0(VALU_DEP_2) | instskip(NEXT) | instid1(VALU_DEP_3)
	v_and_or_b32 v5, 0x3f0000, v5, v6
	v_cmp_ne_u32_e32 vcc_lo, 0, v7
	s_delay_alu instid0(VALU_DEP_2) | instskip(SKIP_1) | instid1(SALU_CYCLE_1)
	v_cmp_ne_u32_e64 s0, 0, v5
	s_and_b32 s0, vcc_lo, s0
	v_cndmask_b32_e64 v5, 0, 1, s0
	s_delay_alu instid0(VALU_DEP_1)
	v_add_nc_u32_e32 v5, v3, v5
.LBB238_705:
	s_or_b32 exec_lo, exec_lo, s25
	s_mov_b32 s25, -1
	s_mov_b32 s0, 0
	global_store_b8 v[0:1], v5, off
.LBB238_706:
	s_mov_b32 s26, 0
.LBB238_707:
	s_delay_alu instid0(SALU_CYCLE_1)
	s_and_b32 vcc_lo, exec_lo, s26
	s_cbranch_vccz .LBB238_710
; %bb.708:
	s_cmp_eq_u32 s24, 29
	s_mov_b32 s0, -1
	s_cbranch_scc0 .LBB238_710
; %bb.709:
	s_wait_xcnt 0x0
	v_lshlrev_b32_e32 v3, 16, v2
	s_mov_b32 s25, -1
	s_mov_b32 s0, 0
	s_mov_b32 s26, 0
	s_delay_alu instid0(VALU_DEP_1) | instskip(NEXT) | instid1(VALU_DEP_1)
	v_trunc_f32_e32 v3, v3
	v_mul_f32_e32 v5, 0x2f800000, v3
	s_delay_alu instid0(VALU_DEP_1) | instskip(NEXT) | instid1(VALU_DEP_1)
	v_floor_f32_e32 v5, v5
	v_fmamk_f32 v3, v5, 0xcf800000, v3
	v_cvt_u32_f32_e32 v7, v5
	s_delay_alu instid0(VALU_DEP_2)
	v_cvt_u32_f32_e32 v6, v3
	global_store_b64 v[0:1], v[6:7], off
	s_branch .LBB238_711
.LBB238_710:
	s_mov_b32 s26, 0
.LBB238_711:
	s_delay_alu instid0(SALU_CYCLE_1)
	s_and_b32 vcc_lo, exec_lo, s26
	s_cbranch_vccz .LBB238_727
; %bb.712:
	s_cmp_lt_i32 s24, 27
	s_mov_b32 s25, -1
	s_cbranch_scc1 .LBB238_718
; %bb.713:
	s_cmp_gt_i32 s24, 27
	s_cbranch_scc0 .LBB238_715
; %bb.714:
	s_wait_xcnt 0x0
	v_lshlrev_b32_e32 v3, 16, v2
	s_mov_b32 s25, 0
	s_delay_alu instid0(VALU_DEP_1)
	v_cvt_u32_f32_e32 v3, v3
	global_store_b32 v[0:1], v3, off
.LBB238_715:
	s_and_not1_b32 vcc_lo, exec_lo, s25
	s_cbranch_vccnz .LBB238_717
; %bb.716:
	s_wait_xcnt 0x0
	v_lshlrev_b32_e32 v3, 16, v2
	s_delay_alu instid0(VALU_DEP_1)
	v_cvt_u32_f32_e32 v3, v3
	global_store_b16 v[0:1], v3, off
.LBB238_717:
	s_mov_b32 s25, 0
.LBB238_718:
	s_delay_alu instid0(SALU_CYCLE_1)
	s_and_not1_b32 vcc_lo, exec_lo, s25
	s_cbranch_vccnz .LBB238_726
; %bb.719:
	s_wait_xcnt 0x0
	v_dual_mov_b32 v7, 0x80 :: v_dual_lshlrev_b32 v6, 16, v2
	s_mov_b32 s25, exec_lo
	s_delay_alu instid0(VALU_DEP_1) | instskip(NEXT) | instid1(VALU_DEP_1)
	v_and_b32_e32 v5, 0x7fffffff, v6
	v_cmpx_gt_u32_e32 0x43800000, v5
	s_cbranch_execz .LBB238_725
; %bb.720:
	v_and_b32_e32 v3, 0xffff, v2
	v_cmp_lt_u32_e32 vcc_lo, 0x3bffffff, v5
	s_mov_b32 s26, 0
                                        ; implicit-def: $vgpr5
	s_and_saveexec_b32 s27, vcc_lo
	s_delay_alu instid0(SALU_CYCLE_1)
	s_xor_b32 s27, exec_lo, s27
	s_cbranch_execz .LBB238_827
; %bb.721:
	v_bfe_u32 v5, v3, 4, 1
	s_mov_b32 s26, exec_lo
	s_delay_alu instid0(VALU_DEP_1) | instskip(NEXT) | instid1(VALU_DEP_1)
	v_add3_u32 v5, v6, v5, 0x487ffff
                                        ; implicit-def: $vgpr6
	v_lshrrev_b32_e32 v5, 20, v5
	s_and_not1_saveexec_b32 s27, s27
	s_cbranch_execnz .LBB238_828
.LBB238_722:
	s_or_b32 exec_lo, exec_lo, s27
	v_mov_b32_e32 v7, 0
	s_and_saveexec_b32 s27, s26
.LBB238_723:
	v_lshrrev_b32_e32 v3, 8, v3
	s_delay_alu instid0(VALU_DEP_1)
	v_and_or_b32 v7, 0x80, v3, v5
.LBB238_724:
	s_or_b32 exec_lo, exec_lo, s27
.LBB238_725:
	s_delay_alu instid0(SALU_CYCLE_1)
	s_or_b32 exec_lo, exec_lo, s25
	global_store_b8 v[0:1], v7, off
.LBB238_726:
	s_mov_b32 s25, -1
.LBB238_727:
	s_mov_b32 s26, 0
.LBB238_728:
	s_delay_alu instid0(SALU_CYCLE_1)
	s_and_b32 vcc_lo, exec_lo, s26
	s_cbranch_vccz .LBB238_769
; %bb.729:
	s_cmp_gt_i32 s24, 22
	s_mov_b32 s26, -1
	s_cbranch_scc0 .LBB238_761
; %bb.730:
	s_cmp_lt_i32 s24, 24
	s_mov_b32 s25, -1
	s_cbranch_scc1 .LBB238_750
; %bb.731:
	s_cmp_gt_i32 s24, 24
	s_cbranch_scc0 .LBB238_739
; %bb.732:
	s_wait_xcnt 0x0
	v_dual_mov_b32 v7, 0x80 :: v_dual_lshlrev_b32 v6, 16, v2
	s_mov_b32 s25, exec_lo
	s_delay_alu instid0(VALU_DEP_1) | instskip(NEXT) | instid1(VALU_DEP_1)
	v_and_b32_e32 v5, 0x7fffffff, v6
	v_cmpx_gt_u32_e32 0x47800000, v5
	s_cbranch_execz .LBB238_738
; %bb.733:
	v_and_b32_e32 v3, 0xffff, v2
	v_cmp_lt_u32_e32 vcc_lo, 0x37ffffff, v5
	s_mov_b32 s26, 0
                                        ; implicit-def: $vgpr5
	s_and_saveexec_b32 s27, vcc_lo
	s_delay_alu instid0(SALU_CYCLE_1)
	s_xor_b32 s27, exec_lo, s27
	s_cbranch_execz .LBB238_830
; %bb.734:
	v_bfe_u32 v5, v3, 5, 1
	s_mov_b32 s26, exec_lo
	s_delay_alu instid0(VALU_DEP_1) | instskip(NEXT) | instid1(VALU_DEP_1)
	v_add3_u32 v5, v6, v5, 0x88fffff
                                        ; implicit-def: $vgpr6
	v_lshrrev_b32_e32 v5, 21, v5
	s_and_not1_saveexec_b32 s27, s27
	s_cbranch_execnz .LBB238_831
.LBB238_735:
	s_or_b32 exec_lo, exec_lo, s27
	v_mov_b32_e32 v7, 0
	s_and_saveexec_b32 s27, s26
.LBB238_736:
	v_lshrrev_b32_e32 v3, 8, v3
	s_delay_alu instid0(VALU_DEP_1)
	v_and_or_b32 v7, 0x80, v3, v5
.LBB238_737:
	s_or_b32 exec_lo, exec_lo, s27
.LBB238_738:
	s_delay_alu instid0(SALU_CYCLE_1)
	s_or_b32 exec_lo, exec_lo, s25
	s_mov_b32 s25, 0
	global_store_b8 v[0:1], v7, off
.LBB238_739:
	s_and_b32 vcc_lo, exec_lo, s25
	s_cbranch_vccz .LBB238_749
; %bb.740:
	s_wait_xcnt 0x0
	v_lshlrev_b32_e32 v6, 16, v2
	v_and_b32_e32 v3, 0xffff, v2
	s_mov_b32 s25, exec_lo
                                        ; implicit-def: $vgpr5
	s_delay_alu instid0(VALU_DEP_2) | instskip(NEXT) | instid1(VALU_DEP_1)
	v_and_b32_e32 v7, 0x7fffffff, v6
	v_cmpx_gt_u32_e32 0x43f00000, v7
	s_xor_b32 s25, exec_lo, s25
	s_cbranch_execz .LBB238_746
; %bb.741:
	s_mov_b32 s26, exec_lo
                                        ; implicit-def: $vgpr5
	v_cmpx_lt_u32_e32 0x3c7fffff, v7
	s_xor_b32 s26, exec_lo, s26
; %bb.742:
	v_bfe_u32 v5, v3, 4, 1
	s_delay_alu instid0(VALU_DEP_1) | instskip(NEXT) | instid1(VALU_DEP_1)
	v_add3_u32 v5, v6, v5, 0x407ffff
	v_and_b32_e32 v6, 0xff00000, v5
	v_lshrrev_b32_e32 v5, 20, v5
	s_delay_alu instid0(VALU_DEP_2) | instskip(NEXT) | instid1(VALU_DEP_2)
	v_cmp_ne_u32_e32 vcc_lo, 0x7f00000, v6
                                        ; implicit-def: $vgpr6
	v_cndmask_b32_e32 v5, 0x7e, v5, vcc_lo
; %bb.743:
	s_and_not1_saveexec_b32 s26, s26
; %bb.744:
	v_add_f32_e64 v5, 0x46800000, |v6|
; %bb.745:
	s_or_b32 exec_lo, exec_lo, s26
                                        ; implicit-def: $vgpr7
.LBB238_746:
	s_and_not1_saveexec_b32 s25, s25
; %bb.747:
	v_mov_b32_e32 v5, 0x7f
	v_cmp_lt_u32_e32 vcc_lo, 0x7f800000, v7
	s_delay_alu instid0(VALU_DEP_2)
	v_cndmask_b32_e32 v5, 0x7e, v5, vcc_lo
; %bb.748:
	s_or_b32 exec_lo, exec_lo, s25
	v_lshrrev_b32_e32 v3, 8, v3
	s_delay_alu instid0(VALU_DEP_1)
	v_and_or_b32 v3, 0x80, v3, v5
	global_store_b8 v[0:1], v3, off
.LBB238_749:
	s_mov_b32 s25, 0
.LBB238_750:
	s_delay_alu instid0(SALU_CYCLE_1)
	s_and_not1_b32 vcc_lo, exec_lo, s25
	s_cbranch_vccnz .LBB238_760
; %bb.751:
	s_wait_xcnt 0x0
	v_lshlrev_b32_e32 v6, 16, v2
	v_and_b32_e32 v3, 0xffff, v2
	s_mov_b32 s25, exec_lo
                                        ; implicit-def: $vgpr5
	s_delay_alu instid0(VALU_DEP_2) | instskip(NEXT) | instid1(VALU_DEP_1)
	v_and_b32_e32 v7, 0x7fffffff, v6
	v_cmpx_gt_u32_e32 0x47800000, v7
	s_xor_b32 s25, exec_lo, s25
	s_cbranch_execz .LBB238_757
; %bb.752:
	s_mov_b32 s26, exec_lo
                                        ; implicit-def: $vgpr5
	v_cmpx_lt_u32_e32 0x387fffff, v7
	s_xor_b32 s26, exec_lo, s26
; %bb.753:
	v_bfe_u32 v5, v3, 5, 1
	s_delay_alu instid0(VALU_DEP_1) | instskip(NEXT) | instid1(VALU_DEP_1)
	v_add3_u32 v5, v6, v5, 0x80fffff
                                        ; implicit-def: $vgpr6
	v_lshrrev_b32_e32 v5, 21, v5
; %bb.754:
	s_and_not1_saveexec_b32 s26, s26
; %bb.755:
	v_add_f32_e64 v5, 0x43000000, |v6|
; %bb.756:
	s_or_b32 exec_lo, exec_lo, s26
                                        ; implicit-def: $vgpr7
.LBB238_757:
	s_and_not1_saveexec_b32 s25, s25
; %bb.758:
	v_mov_b32_e32 v5, 0x7f
	v_cmp_lt_u32_e32 vcc_lo, 0x7f800000, v7
	s_delay_alu instid0(VALU_DEP_2)
	v_cndmask_b32_e32 v5, 0x7c, v5, vcc_lo
; %bb.759:
	s_or_b32 exec_lo, exec_lo, s25
	v_lshrrev_b32_e32 v3, 8, v3
	s_delay_alu instid0(VALU_DEP_1)
	v_and_or_b32 v3, 0x80, v3, v5
	global_store_b8 v[0:1], v3, off
.LBB238_760:
	s_mov_b32 s26, 0
	s_mov_b32 s25, -1
.LBB238_761:
	s_and_not1_b32 vcc_lo, exec_lo, s26
	s_cbranch_vccnz .LBB238_769
; %bb.762:
	s_cmp_gt_i32 s24, 14
	s_mov_b32 s26, -1
	s_cbranch_scc0 .LBB238_766
; %bb.763:
	s_cmp_eq_u32 s24, 15
	s_mov_b32 s0, -1
	s_cbranch_scc0 .LBB238_765
; %bb.764:
	s_mov_b32 s25, -1
	s_mov_b32 s0, 0
	global_store_b16 v[0:1], v2, off
.LBB238_765:
	s_mov_b32 s26, 0
.LBB238_766:
	s_delay_alu instid0(SALU_CYCLE_1)
	s_and_b32 vcc_lo, exec_lo, s26
	s_cbranch_vccz .LBB238_769
; %bb.767:
	s_cmp_eq_u32 s24, 11
	s_mov_b32 s0, -1
	s_cbranch_scc0 .LBB238_769
; %bb.768:
	s_wait_xcnt 0x0
	v_and_b32_e32 v3, 0x7fff, v2
	s_mov_b32 s0, 0
	s_mov_b32 s25, -1
	s_delay_alu instid0(VALU_DEP_1)
	v_cmp_ne_u16_e32 vcc_lo, 0, v3
	v_cndmask_b32_e64 v3, 0, 1, vcc_lo
	global_store_b8 v[0:1], v3, off
.LBB238_769:
	s_mov_b32 s24, 0
.LBB238_770:
	s_delay_alu instid0(SALU_CYCLE_1)
	s_and_b32 vcc_lo, exec_lo, s24
	s_cbranch_vccz .LBB238_809
; %bb.771:
	s_and_b32 s23, 0xffff, s23
	s_mov_b32 s24, -1
	s_cmp_lt_i32 s23, 5
	s_cbranch_scc1 .LBB238_792
; %bb.772:
	s_cmp_lt_i32 s23, 8
	s_cbranch_scc1 .LBB238_782
; %bb.773:
	s_cmp_lt_i32 s23, 9
	s_cbranch_scc1 .LBB238_779
; %bb.774:
	s_cmp_gt_i32 s23, 9
	s_cbranch_scc0 .LBB238_776
; %bb.775:
	s_wait_xcnt 0x0
	v_dual_mov_b32 v8, 0 :: v_dual_lshlrev_b32 v3, 16, v2
	s_mov_b32 s24, 0
	s_delay_alu instid0(VALU_DEP_1) | instskip(NEXT) | instid1(VALU_DEP_2)
	v_cvt_f64_f32_e32 v[6:7], v3
	v_mov_b32_e32 v9, v8
	global_store_b128 v[0:1], v[6:9], off
.LBB238_776:
	s_and_not1_b32 vcc_lo, exec_lo, s24
	s_cbranch_vccnz .LBB238_778
; %bb.777:
	s_wait_xcnt 0x0
	v_dual_mov_b32 v7, 0 :: v_dual_lshlrev_b32 v6, 16, v2
	global_store_b64 v[0:1], v[6:7], off
.LBB238_778:
	s_mov_b32 s24, 0
.LBB238_779:
	s_delay_alu instid0(SALU_CYCLE_1)
	s_and_not1_b32 vcc_lo, exec_lo, s24
	s_cbranch_vccnz .LBB238_781
; %bb.780:
	s_wait_xcnt 0x0
	v_lshlrev_b32_e32 v3, 16, v2
	s_delay_alu instid0(VALU_DEP_1) | instskip(NEXT) | instid1(VALU_DEP_1)
	v_cvt_f16_f32_e32 v3, v3
	v_and_b32_e32 v3, 0xffff, v3
	global_store_b32 v[0:1], v3, off
.LBB238_781:
	s_mov_b32 s24, 0
.LBB238_782:
	s_delay_alu instid0(SALU_CYCLE_1)
	s_and_not1_b32 vcc_lo, exec_lo, s24
	s_cbranch_vccnz .LBB238_791
; %bb.783:
	s_cmp_lt_i32 s23, 6
	s_mov_b32 s24, -1
	s_cbranch_scc1 .LBB238_789
; %bb.784:
	s_cmp_gt_i32 s23, 6
	s_cbranch_scc0 .LBB238_786
; %bb.785:
	s_wait_xcnt 0x0
	v_lshlrev_b32_e32 v3, 16, v2
	s_mov_b32 s24, 0
	s_delay_alu instid0(VALU_DEP_1)
	v_cvt_f64_f32_e32 v[6:7], v3
	global_store_b64 v[0:1], v[6:7], off
.LBB238_786:
	s_and_not1_b32 vcc_lo, exec_lo, s24
	s_cbranch_vccnz .LBB238_788
; %bb.787:
	s_wait_xcnt 0x0
	v_lshlrev_b32_e32 v3, 16, v2
	global_store_b32 v[0:1], v3, off
.LBB238_788:
	s_mov_b32 s24, 0
.LBB238_789:
	s_delay_alu instid0(SALU_CYCLE_1)
	s_and_not1_b32 vcc_lo, exec_lo, s24
	s_cbranch_vccnz .LBB238_791
; %bb.790:
	s_wait_xcnt 0x0
	v_lshlrev_b32_e32 v3, 16, v2
	s_delay_alu instid0(VALU_DEP_1)
	v_cvt_f16_f32_e32 v3, v3
	global_store_b16 v[0:1], v3, off
.LBB238_791:
	s_mov_b32 s24, 0
.LBB238_792:
	s_delay_alu instid0(SALU_CYCLE_1)
	s_and_not1_b32 vcc_lo, exec_lo, s24
	s_cbranch_vccnz .LBB238_808
; %bb.793:
	s_cmp_lt_i32 s23, 2
	s_mov_b32 s24, -1
	s_cbranch_scc1 .LBB238_803
; %bb.794:
	s_cmp_lt_i32 s23, 3
	s_cbranch_scc1 .LBB238_800
; %bb.795:
	s_cmp_gt_i32 s23, 3
	s_cbranch_scc0 .LBB238_797
; %bb.796:
	s_wait_xcnt 0x0
	v_lshlrev_b32_e32 v3, 16, v2
	s_mov_b32 s24, 0
	s_delay_alu instid0(VALU_DEP_1) | instskip(NEXT) | instid1(VALU_DEP_1)
	v_trunc_f32_e32 v3, v3
	v_mul_f32_e64 v5, 0x2f800000, |v3|
	v_ashrrev_i32_e32 v6, 31, v3
	s_delay_alu instid0(VALU_DEP_2) | instskip(NEXT) | instid1(VALU_DEP_1)
	v_floor_f32_e32 v5, v5
	v_fma_f32 v7, 0xcf800000, v5, |v3|
	v_cvt_u32_f32_e32 v3, v5
	s_delay_alu instid0(VALU_DEP_2) | instskip(NEXT) | instid1(VALU_DEP_2)
	v_cvt_u32_f32_e32 v5, v7
	v_dual_mov_b32 v7, v6 :: v_dual_bitop2_b32 v9, v3, v6 bitop3:0x14
	s_delay_alu instid0(VALU_DEP_2) | instskip(NEXT) | instid1(VALU_DEP_1)
	v_xor_b32_e32 v8, v5, v6
	v_sub_nc_u64_e32 v[6:7], v[8:9], v[6:7]
	global_store_b64 v[0:1], v[6:7], off
.LBB238_797:
	s_and_not1_b32 vcc_lo, exec_lo, s24
	s_cbranch_vccnz .LBB238_799
; %bb.798:
	s_wait_xcnt 0x0
	v_lshlrev_b32_e32 v3, 16, v2
	s_delay_alu instid0(VALU_DEP_1)
	v_cvt_i32_f32_e32 v3, v3
	global_store_b32 v[0:1], v3, off
.LBB238_799:
	s_mov_b32 s24, 0
.LBB238_800:
	s_delay_alu instid0(SALU_CYCLE_1)
	s_and_not1_b32 vcc_lo, exec_lo, s24
	s_cbranch_vccnz .LBB238_802
; %bb.801:
	s_wait_xcnt 0x0
	v_lshlrev_b32_e32 v3, 16, v2
	s_delay_alu instid0(VALU_DEP_1)
	v_cvt_i32_f32_e32 v3, v3
	global_store_b16 v[0:1], v3, off
.LBB238_802:
	s_mov_b32 s24, 0
.LBB238_803:
	s_delay_alu instid0(SALU_CYCLE_1)
	s_and_not1_b32 vcc_lo, exec_lo, s24
	s_cbranch_vccnz .LBB238_808
; %bb.804:
	s_wait_xcnt 0x0
	v_lshlrev_b32_e32 v2, 16, v2
	s_cmp_gt_i32 s23, 0
	s_mov_b32 s23, -1
	s_cbranch_scc0 .LBB238_806
; %bb.805:
	s_delay_alu instid0(VALU_DEP_1)
	v_cvt_i32_f32_e32 v3, v2
	s_mov_b32 s23, 0
	global_store_b8 v[0:1], v3, off
.LBB238_806:
	s_and_not1_b32 vcc_lo, exec_lo, s23
	s_cbranch_vccnz .LBB238_808
; %bb.807:
	v_trunc_f32_e32 v2, v2
	s_wait_xcnt 0x0
	s_delay_alu instid0(VALU_DEP_1) | instskip(NEXT) | instid1(VALU_DEP_1)
	v_mul_f32_e64 v3, 0x2f800000, |v2|
	v_floor_f32_e32 v3, v3
	s_delay_alu instid0(VALU_DEP_1) | instskip(SKIP_1) | instid1(VALU_DEP_2)
	v_fma_f32 v3, 0xcf800000, v3, |v2|
	v_ashrrev_i32_e32 v2, 31, v2
	v_cvt_u32_f32_e32 v3, v3
	s_delay_alu instid0(VALU_DEP_1) | instskip(NEXT) | instid1(VALU_DEP_1)
	v_xor_b32_e32 v3, v3, v2
	v_sub_nc_u32_e32 v2, v3, v2
	global_store_b8 v[0:1], v2, off
.LBB238_808:
	s_mov_b32 s25, -1
.LBB238_809:
	s_delay_alu instid0(SALU_CYCLE_1)
	s_and_not1_b32 vcc_lo, exec_lo, s25
	s_cbranch_vccnz .LBB238_811
; %bb.810:
	v_add_nc_u32_e32 v4, 0x80, v4
	s_mov_b32 s23, -1
	s_branch .LBB238_813
.LBB238_811:
	s_mov_b32 s23, 0
.LBB238_812:
                                        ; implicit-def: $vgpr4
.LBB238_813:
	s_and_not1_b32 s24, s19, exec_lo
	s_and_b32 s0, s0, exec_lo
	s_and_not1_b32 s25, s18, exec_lo
	s_and_b32 s26, s22, exec_lo
	s_or_b32 s22, s24, s0
	s_or_b32 s0, s25, s26
	s_or_not1_b32 s23, s23, exec_lo
.LBB238_814:
	s_wait_xcnt 0x0
	s_or_b32 exec_lo, exec_lo, s21
	s_mov_b32 s24, 0
	s_mov_b32 s25, 0
	;; [unrolled: 1-line block ×3, first 2 shown]
                                        ; implicit-def: $vgpr0_vgpr1
                                        ; implicit-def: $vgpr5
	s_and_saveexec_b32 s21, s23
	s_cbranch_execz .LBB238_899
; %bb.815:
	v_cmp_gt_i32_e32 vcc_lo, s15, v4
	s_mov_b32 s23, 0
	s_mov_b32 s24, s0
	s_mov_b32 s27, 0
                                        ; implicit-def: $vgpr0_vgpr1
                                        ; implicit-def: $vgpr5
	s_and_saveexec_b32 s15, vcc_lo
	s_cbranch_execz .LBB238_898
; %bb.816:
	v_mul_lo_u32 v0, v4, s9
	s_and_b32 s23, 0xffff, s12
	s_delay_alu instid0(SALU_CYCLE_1) | instskip(NEXT) | instid1(VALU_DEP_1)
	s_cmp_lt_i32 s23, 11
	v_ashrrev_i32_e32 v1, 31, v0
	s_delay_alu instid0(VALU_DEP_1)
	v_add_nc_u64_e32 v[0:1], s[6:7], v[0:1]
	s_cbranch_scc1 .LBB238_823
; %bb.817:
	s_cmp_gt_i32 s23, 25
	s_cbranch_scc0 .LBB238_824
; %bb.818:
	s_cmp_gt_i32 s23, 28
	s_cbranch_scc0 .LBB238_825
	;; [unrolled: 3-line block ×4, first 2 shown]
; %bb.821:
	s_cmp_eq_u32 s23, 46
	s_cbranch_scc0 .LBB238_832
; %bb.822:
	global_load_b32 v5, v[0:1], off
	s_mov_b32 s24, 0
	s_mov_b32 s26, -1
	s_branch .LBB238_834
.LBB238_823:
	s_mov_b32 s23, -1
	s_mov_b32 s24, s0
                                        ; implicit-def: $vgpr5
	s_branch .LBB238_897
.LBB238_824:
	s_mov_b32 s27, -1
	s_mov_b32 s24, s0
                                        ; implicit-def: $vgpr5
	s_branch .LBB238_863
.LBB238_825:
	s_mov_b32 s27, -1
	s_mov_b32 s24, s0
                                        ; implicit-def: $vgpr5
	s_branch .LBB238_844
.LBB238_826:
	s_mov_b32 s27, -1
	s_mov_b32 s24, s0
                                        ; implicit-def: $vgpr5
	s_branch .LBB238_839
.LBB238_827:
	s_and_not1_saveexec_b32 s27, s27
	s_cbranch_execz .LBB238_722
.LBB238_828:
	v_add_f32_e64 v5, 0x46000000, |v6|
	s_and_not1_b32 s26, s26, exec_lo
	s_delay_alu instid0(VALU_DEP_1) | instskip(NEXT) | instid1(VALU_DEP_1)
	v_and_b32_e32 v5, 0xff, v5
	v_cmp_ne_u32_e32 vcc_lo, 0, v5
	s_and_b32 s28, vcc_lo, exec_lo
	s_delay_alu instid0(SALU_CYCLE_1)
	s_or_b32 s26, s26, s28
	s_or_b32 exec_lo, exec_lo, s27
	v_mov_b32_e32 v7, 0
	s_and_saveexec_b32 s27, s26
	s_cbranch_execnz .LBB238_723
	s_branch .LBB238_724
.LBB238_829:
	s_mov_b32 s27, -1
	s_mov_b32 s24, s0
	s_branch .LBB238_833
.LBB238_830:
	s_and_not1_saveexec_b32 s27, s27
	s_cbranch_execz .LBB238_735
.LBB238_831:
	v_add_f32_e64 v5, 0x42800000, |v6|
	s_and_not1_b32 s26, s26, exec_lo
	s_delay_alu instid0(VALU_DEP_1) | instskip(NEXT) | instid1(VALU_DEP_1)
	v_and_b32_e32 v5, 0xff, v5
	v_cmp_ne_u32_e32 vcc_lo, 0, v5
	s_and_b32 s28, vcc_lo, exec_lo
	s_delay_alu instid0(SALU_CYCLE_1)
	s_or_b32 s26, s26, s28
	s_or_b32 exec_lo, exec_lo, s27
	v_mov_b32_e32 v7, 0
	s_and_saveexec_b32 s27, s26
	s_cbranch_execnz .LBB238_736
	s_branch .LBB238_737
.LBB238_832:
	s_mov_b32 s24, -1
.LBB238_833:
                                        ; implicit-def: $vgpr5
.LBB238_834:
	s_and_b32 vcc_lo, exec_lo, s27
	s_cbranch_vccz .LBB238_838
; %bb.835:
	s_cmp_eq_u32 s23, 44
	s_cbranch_scc0 .LBB238_837
; %bb.836:
	s_wait_loadcnt 0x0
	global_load_u8 v2, v[0:1], off
	s_mov_b32 s24, 0
	s_mov_b32 s26, -1
	s_wait_loadcnt 0x0
	v_lshlrev_b32_e32 v3, 23, v2
	v_cmp_ne_u32_e32 vcc_lo, 0xff, v2
	s_delay_alu instid0(VALU_DEP_2) | instskip(SKIP_1) | instid1(VALU_DEP_2)
	v_cndmask_b32_e32 v3, 0x7f800001, v3, vcc_lo
	v_cmp_ne_u32_e32 vcc_lo, 0, v2
	v_cndmask_b32_e32 v2, 0x400000, v3, vcc_lo
	s_delay_alu instid0(VALU_DEP_1) | instskip(NEXT) | instid1(VALU_DEP_1)
	v_add_nc_u32_e32 v3, 0x7fff, v2
	v_lshrrev_b32_e32 v3, 16, v3
	v_cmp_o_f32_e32 vcc_lo, v2, v2
	s_delay_alu instid0(VALU_DEP_2)
	v_cndmask_b32_e32 v5, 0x7fc0, v3, vcc_lo
	s_branch .LBB238_838
.LBB238_837:
	s_mov_b32 s24, -1
                                        ; implicit-def: $vgpr5
.LBB238_838:
	s_mov_b32 s27, 0
.LBB238_839:
	s_delay_alu instid0(SALU_CYCLE_1)
	s_and_b32 vcc_lo, exec_lo, s27
	s_cbranch_vccz .LBB238_843
; %bb.840:
	s_cmp_eq_u32 s23, 29
	s_cbranch_scc0 .LBB238_842
; %bb.841:
	s_wait_loadcnt 0x0
	global_load_b64 v[2:3], v[0:1], off
	s_mov_b32 s24, 0
	s_mov_b32 s26, -1
	s_mov_b32 s27, 0
	s_wait_loadcnt 0x0
	v_clz_i32_u32_e32 v5, v3
	s_delay_alu instid0(VALU_DEP_1) | instskip(NEXT) | instid1(VALU_DEP_1)
	v_min_u32_e32 v5, 32, v5
	v_lshlrev_b64_e32 v[2:3], v5, v[2:3]
	s_delay_alu instid0(VALU_DEP_1) | instskip(NEXT) | instid1(VALU_DEP_1)
	v_min_u32_e32 v2, 1, v2
	v_dual_sub_nc_u32 v3, 32, v5 :: v_dual_bitop2_b32 v2, v3, v2 bitop3:0x54
	s_delay_alu instid0(VALU_DEP_1) | instskip(NEXT) | instid1(VALU_DEP_1)
	v_cvt_f32_u32_e32 v2, v2
	v_ldexp_f32 v2, v2, v3
	s_delay_alu instid0(VALU_DEP_1) | instskip(NEXT) | instid1(VALU_DEP_1)
	v_bfe_u32 v3, v2, 16, 1
	v_add3_u32 v2, v2, v3, 0x7fff
	s_delay_alu instid0(VALU_DEP_1)
	v_lshrrev_b32_e32 v5, 16, v2
	s_branch .LBB238_844
.LBB238_842:
	s_mov_b32 s24, -1
                                        ; implicit-def: $vgpr5
.LBB238_843:
	s_mov_b32 s27, 0
.LBB238_844:
	s_delay_alu instid0(SALU_CYCLE_1)
	s_and_b32 vcc_lo, exec_lo, s27
	s_cbranch_vccz .LBB238_862
; %bb.845:
	s_cmp_lt_i32 s23, 27
	s_cbranch_scc1 .LBB238_848
; %bb.846:
	s_cmp_gt_i32 s23, 27
	s_cbranch_scc0 .LBB238_849
; %bb.847:
	s_wait_loadcnt 0x0
	global_load_b32 v2, v[0:1], off
	s_mov_b32 s26, 0
	s_wait_loadcnt 0x0
	v_cvt_f32_u32_e32 v2, v2
	s_delay_alu instid0(VALU_DEP_1) | instskip(NEXT) | instid1(VALU_DEP_1)
	v_bfe_u32 v3, v2, 16, 1
	v_add3_u32 v2, v2, v3, 0x7fff
	s_delay_alu instid0(VALU_DEP_1)
	v_lshrrev_b32_e32 v5, 16, v2
	s_branch .LBB238_850
.LBB238_848:
	s_mov_b32 s26, -1
                                        ; implicit-def: $vgpr5
	s_branch .LBB238_853
.LBB238_849:
	s_mov_b32 s26, -1
                                        ; implicit-def: $vgpr5
.LBB238_850:
	s_delay_alu instid0(SALU_CYCLE_1)
	s_and_not1_b32 vcc_lo, exec_lo, s26
	s_cbranch_vccnz .LBB238_852
; %bb.851:
	s_wait_loadcnt 0x0
	global_load_u16 v2, v[0:1], off
	s_wait_loadcnt 0x0
	v_cvt_f32_u32_e32 v2, v2
	s_delay_alu instid0(VALU_DEP_1) | instskip(NEXT) | instid1(VALU_DEP_1)
	v_bfe_u32 v3, v2, 16, 1
	v_add3_u32 v2, v2, v3, 0x7fff
	s_delay_alu instid0(VALU_DEP_1)
	v_lshrrev_b32_e32 v5, 16, v2
.LBB238_852:
	s_mov_b32 s26, 0
.LBB238_853:
	s_delay_alu instid0(SALU_CYCLE_1)
	s_and_not1_b32 vcc_lo, exec_lo, s26
	s_cbranch_vccnz .LBB238_861
; %bb.854:
	s_wait_loadcnt 0x0
	global_load_u8 v2, v[0:1], off
	s_mov_b32 s26, 0
	s_mov_b32 s27, exec_lo
	s_wait_loadcnt 0x0
	v_cmpx_lt_i16_e32 0x7f, v2
	s_xor_b32 s27, exec_lo, s27
	s_cbranch_execz .LBB238_875
; %bb.855:
	s_mov_b32 s26, -1
	s_mov_b32 s28, exec_lo
	v_cmpx_eq_u16_e32 0x80, v2
; %bb.856:
	s_xor_b32 s26, exec_lo, -1
; %bb.857:
	s_or_b32 exec_lo, exec_lo, s28
	s_delay_alu instid0(SALU_CYCLE_1)
	s_and_b32 s26, s26, exec_lo
	s_or_saveexec_b32 s27, s27
	v_mov_b32_e32 v3, 0x7f800001
	s_xor_b32 exec_lo, exec_lo, s27
	s_cbranch_execnz .LBB238_876
.LBB238_858:
	s_or_b32 exec_lo, exec_lo, s27
	s_and_saveexec_b32 s27, s26
	s_cbranch_execz .LBB238_860
.LBB238_859:
	v_and_b32_e32 v3, 0xffff, v2
	s_delay_alu instid0(VALU_DEP_1) | instskip(SKIP_1) | instid1(VALU_DEP_2)
	v_and_b32_e32 v5, 7, v3
	v_bfe_u32 v8, v3, 3, 4
	v_clz_i32_u32_e32 v6, v5
	s_delay_alu instid0(VALU_DEP_2) | instskip(NEXT) | instid1(VALU_DEP_2)
	v_cmp_eq_u32_e32 vcc_lo, 0, v8
	v_min_u32_e32 v6, 32, v6
	s_delay_alu instid0(VALU_DEP_1) | instskip(NEXT) | instid1(VALU_DEP_1)
	v_subrev_nc_u32_e32 v7, 28, v6
	v_dual_lshlrev_b32 v3, v7, v3 :: v_dual_sub_nc_u32 v6, 29, v6
	s_delay_alu instid0(VALU_DEP_1) | instskip(NEXT) | instid1(VALU_DEP_1)
	v_dual_lshlrev_b32 v2, 24, v2 :: v_dual_bitop2_b32 v3, 7, v3 bitop3:0x40
	v_dual_cndmask_b32 v3, v5, v3 :: v_dual_cndmask_b32 v6, v8, v6
	s_delay_alu instid0(VALU_DEP_2) | instskip(NEXT) | instid1(VALU_DEP_2)
	v_and_b32_e32 v2, 0x80000000, v2
	v_lshlrev_b32_e32 v3, 20, v3
	s_delay_alu instid0(VALU_DEP_3) | instskip(NEXT) | instid1(VALU_DEP_1)
	v_lshl_add_u32 v5, v6, 23, 0x3b800000
	v_or3_b32 v3, v2, v5, v3
.LBB238_860:
	s_or_b32 exec_lo, exec_lo, s27
	s_delay_alu instid0(VALU_DEP_1) | instskip(SKIP_1) | instid1(VALU_DEP_2)
	v_bfe_u32 v2, v3, 16, 1
	v_cmp_o_f32_e32 vcc_lo, v3, v3
	v_add3_u32 v2, v3, v2, 0x7fff
	s_delay_alu instid0(VALU_DEP_1) | instskip(NEXT) | instid1(VALU_DEP_1)
	v_lshrrev_b32_e32 v2, 16, v2
	v_cndmask_b32_e32 v5, 0x7fc0, v2, vcc_lo
.LBB238_861:
	s_mov_b32 s26, -1
.LBB238_862:
	s_mov_b32 s27, 0
.LBB238_863:
	s_delay_alu instid0(SALU_CYCLE_1)
	s_and_b32 vcc_lo, exec_lo, s27
	s_cbranch_vccz .LBB238_896
; %bb.864:
	s_cmp_gt_i32 s23, 22
	s_cbranch_scc0 .LBB238_874
; %bb.865:
	s_cmp_lt_i32 s23, 24
	s_cbranch_scc1 .LBB238_877
; %bb.866:
	s_cmp_gt_i32 s23, 24
	s_cbranch_scc0 .LBB238_878
; %bb.867:
	s_wait_loadcnt 0x0
	global_load_u8 v2, v[0:1], off
	s_mov_b32 s26, exec_lo
	s_wait_loadcnt 0x0
	v_cmpx_lt_i16_e32 0x7f, v2
	s_xor_b32 s26, exec_lo, s26
	s_cbranch_execz .LBB238_890
; %bb.868:
	s_mov_b32 s25, -1
	s_mov_b32 s27, exec_lo
	v_cmpx_eq_u16_e32 0x80, v2
; %bb.869:
	s_xor_b32 s25, exec_lo, -1
; %bb.870:
	s_or_b32 exec_lo, exec_lo, s27
	s_delay_alu instid0(SALU_CYCLE_1)
	s_and_b32 s25, s25, exec_lo
	s_or_saveexec_b32 s26, s26
	v_mov_b32_e32 v3, 0x7f800001
	s_xor_b32 exec_lo, exec_lo, s26
	s_cbranch_execnz .LBB238_891
.LBB238_871:
	s_or_b32 exec_lo, exec_lo, s26
	s_and_saveexec_b32 s26, s25
	s_cbranch_execz .LBB238_873
.LBB238_872:
	v_and_b32_e32 v3, 0xffff, v2
	s_delay_alu instid0(VALU_DEP_1) | instskip(SKIP_1) | instid1(VALU_DEP_2)
	v_and_b32_e32 v5, 3, v3
	v_bfe_u32 v8, v3, 2, 5
	v_clz_i32_u32_e32 v6, v5
	s_delay_alu instid0(VALU_DEP_2) | instskip(NEXT) | instid1(VALU_DEP_2)
	v_cmp_eq_u32_e32 vcc_lo, 0, v8
	v_min_u32_e32 v6, 32, v6
	s_delay_alu instid0(VALU_DEP_1) | instskip(NEXT) | instid1(VALU_DEP_1)
	v_subrev_nc_u32_e32 v7, 29, v6
	v_dual_lshlrev_b32 v3, v7, v3 :: v_dual_sub_nc_u32 v6, 30, v6
	s_delay_alu instid0(VALU_DEP_1) | instskip(NEXT) | instid1(VALU_DEP_1)
	v_dual_lshlrev_b32 v2, 24, v2 :: v_dual_bitop2_b32 v3, 3, v3 bitop3:0x40
	v_dual_cndmask_b32 v3, v5, v3 :: v_dual_cndmask_b32 v6, v8, v6
	s_delay_alu instid0(VALU_DEP_2) | instskip(NEXT) | instid1(VALU_DEP_2)
	v_and_b32_e32 v2, 0x80000000, v2
	v_lshlrev_b32_e32 v3, 21, v3
	s_delay_alu instid0(VALU_DEP_3) | instskip(NEXT) | instid1(VALU_DEP_1)
	v_lshl_add_u32 v5, v6, 23, 0x37800000
	v_or3_b32 v3, v2, v5, v3
.LBB238_873:
	s_or_b32 exec_lo, exec_lo, s26
	s_delay_alu instid0(VALU_DEP_1) | instskip(SKIP_2) | instid1(VALU_DEP_2)
	v_bfe_u32 v2, v3, 16, 1
	v_cmp_o_f32_e32 vcc_lo, v3, v3
	s_mov_b32 s25, 0
	v_add3_u32 v2, v3, v2, 0x7fff
	s_delay_alu instid0(VALU_DEP_1) | instskip(NEXT) | instid1(VALU_DEP_1)
	v_lshrrev_b32_e32 v2, 16, v2
	v_cndmask_b32_e32 v5, 0x7fc0, v2, vcc_lo
	s_branch .LBB238_879
.LBB238_874:
	s_mov_b32 s25, -1
                                        ; implicit-def: $vgpr5
	s_branch .LBB238_885
.LBB238_875:
	s_or_saveexec_b32 s27, s27
	v_mov_b32_e32 v3, 0x7f800001
	s_xor_b32 exec_lo, exec_lo, s27
	s_cbranch_execz .LBB238_858
.LBB238_876:
	v_cmp_ne_u16_e32 vcc_lo, 0, v2
	v_mov_b32_e32 v3, 0
	s_and_not1_b32 s26, s26, exec_lo
	s_and_b32 s28, vcc_lo, exec_lo
	s_delay_alu instid0(SALU_CYCLE_1)
	s_or_b32 s26, s26, s28
	s_or_b32 exec_lo, exec_lo, s27
	s_and_saveexec_b32 s27, s26
	s_cbranch_execnz .LBB238_859
	s_branch .LBB238_860
.LBB238_877:
	s_mov_b32 s25, -1
                                        ; implicit-def: $vgpr5
	s_branch .LBB238_882
.LBB238_878:
	s_mov_b32 s25, -1
                                        ; implicit-def: $vgpr5
.LBB238_879:
	s_delay_alu instid0(SALU_CYCLE_1)
	s_and_b32 vcc_lo, exec_lo, s25
	s_cbranch_vccz .LBB238_881
; %bb.880:
	s_wait_loadcnt 0x0
	global_load_u8 v2, v[0:1], off
	s_wait_loadcnt 0x0
	v_lshlrev_b32_e32 v2, 24, v2
	s_delay_alu instid0(VALU_DEP_1) | instskip(NEXT) | instid1(VALU_DEP_1)
	v_and_b32_e32 v3, 0x7f000000, v2
	v_clz_i32_u32_e32 v5, v3
	v_add_nc_u32_e32 v7, 0x1000000, v3
	v_cmp_ne_u32_e32 vcc_lo, 0, v3
	s_delay_alu instid0(VALU_DEP_3) | instskip(NEXT) | instid1(VALU_DEP_1)
	v_min_u32_e32 v5, 32, v5
	v_sub_nc_u32_e64 v5, v5, 4 clamp
	s_delay_alu instid0(VALU_DEP_1) | instskip(NEXT) | instid1(VALU_DEP_1)
	v_dual_lshlrev_b32 v6, v5, v3 :: v_dual_lshlrev_b32 v5, 23, v5
	v_lshrrev_b32_e32 v6, 4, v6
	s_delay_alu instid0(VALU_DEP_1) | instskip(NEXT) | instid1(VALU_DEP_1)
	v_dual_sub_nc_u32 v5, v6, v5 :: v_dual_ashrrev_i32 v6, 8, v7
	v_add_nc_u32_e32 v5, 0x3c000000, v5
	s_delay_alu instid0(VALU_DEP_1) | instskip(NEXT) | instid1(VALU_DEP_1)
	v_and_or_b32 v5, 0x7f800000, v6, v5
	v_cndmask_b32_e32 v3, 0, v5, vcc_lo
	s_delay_alu instid0(VALU_DEP_1) | instskip(SKIP_1) | instid1(VALU_DEP_2)
	v_and_or_b32 v2, 0x80000000, v2, v3
	v_bfe_u32 v3, v3, 16, 1
	v_cmp_o_f32_e32 vcc_lo, v2, v2
	s_delay_alu instid0(VALU_DEP_2) | instskip(NEXT) | instid1(VALU_DEP_1)
	v_add3_u32 v3, v2, v3, 0x7fff
	v_lshrrev_b32_e32 v3, 16, v3
	s_delay_alu instid0(VALU_DEP_1)
	v_cndmask_b32_e32 v5, 0x7fc0, v3, vcc_lo
.LBB238_881:
	s_mov_b32 s25, 0
.LBB238_882:
	s_delay_alu instid0(SALU_CYCLE_1)
	s_and_not1_b32 vcc_lo, exec_lo, s25
	s_cbranch_vccnz .LBB238_884
; %bb.883:
	s_wait_loadcnt 0x0
	global_load_u8 v2, v[0:1], off
	s_wait_loadcnt 0x0
	v_lshlrev_b32_e32 v3, 25, v2
	v_lshlrev_b16 v2, 8, v2
	s_delay_alu instid0(VALU_DEP_2) | instskip(NEXT) | instid1(VALU_DEP_2)
	v_cmp_gt_u32_e32 vcc_lo, 0x8000000, v3
	v_and_or_b32 v6, 0x7f00, v2, 0.5
	v_lshrrev_b32_e32 v5, 4, v3
	v_bfe_i32 v2, v2, 0, 16
	s_delay_alu instid0(VALU_DEP_3) | instskip(NEXT) | instid1(VALU_DEP_3)
	v_add_f32_e32 v6, -0.5, v6
	v_or_b32_e32 v5, 0x70000000, v5
	s_delay_alu instid0(VALU_DEP_1) | instskip(NEXT) | instid1(VALU_DEP_1)
	v_mul_f32_e32 v5, 0x7800000, v5
	v_cndmask_b32_e32 v3, v5, v6, vcc_lo
	s_delay_alu instid0(VALU_DEP_1) | instskip(SKIP_1) | instid1(VALU_DEP_2)
	v_and_or_b32 v2, 0x80000000, v2, v3
	v_bfe_u32 v3, v3, 16, 1
	v_cmp_o_f32_e32 vcc_lo, v2, v2
	s_delay_alu instid0(VALU_DEP_2) | instskip(NEXT) | instid1(VALU_DEP_1)
	v_add3_u32 v3, v2, v3, 0x7fff
	v_lshrrev_b32_e32 v3, 16, v3
	s_delay_alu instid0(VALU_DEP_1)
	v_cndmask_b32_e32 v5, 0x7fc0, v3, vcc_lo
.LBB238_884:
	s_mov_b32 s25, 0
	s_mov_b32 s26, -1
.LBB238_885:
	s_and_not1_b32 vcc_lo, exec_lo, s25
	s_mov_b32 s25, 0
	s_cbranch_vccnz .LBB238_896
; %bb.886:
	s_cmp_gt_i32 s23, 14
	s_cbranch_scc0 .LBB238_889
; %bb.887:
	s_cmp_eq_u32 s23, 15
	s_cbranch_scc0 .LBB238_892
; %bb.888:
	s_wait_loadcnt 0x0
	global_load_u16 v5, v[0:1], off
	s_mov_b32 s24, 0
	s_mov_b32 s26, -1
	s_branch .LBB238_894
.LBB238_889:
	s_mov_b32 s25, -1
	s_branch .LBB238_893
.LBB238_890:
	s_or_saveexec_b32 s26, s26
	v_mov_b32_e32 v3, 0x7f800001
	s_xor_b32 exec_lo, exec_lo, s26
	s_cbranch_execz .LBB238_871
.LBB238_891:
	v_cmp_ne_u16_e32 vcc_lo, 0, v2
	v_mov_b32_e32 v3, 0
	s_and_not1_b32 s25, s25, exec_lo
	s_and_b32 s27, vcc_lo, exec_lo
	s_delay_alu instid0(SALU_CYCLE_1)
	s_or_b32 s25, s25, s27
	s_or_b32 exec_lo, exec_lo, s26
	s_and_saveexec_b32 s26, s25
	s_cbranch_execnz .LBB238_872
	s_branch .LBB238_873
.LBB238_892:
	s_mov_b32 s24, -1
.LBB238_893:
                                        ; implicit-def: $vgpr5
.LBB238_894:
	s_and_b32 vcc_lo, exec_lo, s25
	s_mov_b32 s25, 0
	s_cbranch_vccz .LBB238_896
; %bb.895:
	s_cmp_lg_u32 s23, 11
	s_mov_b32 s25, -1
	s_cselect_b32 s23, -1, 0
	s_and_not1_b32 s24, s24, exec_lo
	s_and_b32 s23, s23, exec_lo
	s_delay_alu instid0(SALU_CYCLE_1)
	s_or_b32 s24, s24, s23
.LBB238_896:
	s_mov_b32 s23, 0
.LBB238_897:
	s_and_not1_b32 s28, s0, exec_lo
	s_and_b32 s24, s24, exec_lo
	s_and_b32 s26, s26, exec_lo
	;; [unrolled: 1-line block ×4, first 2 shown]
	s_or_b32 s24, s28, s24
.LBB238_898:
	s_wait_xcnt 0x0
	s_or_b32 exec_lo, exec_lo, s15
	s_delay_alu instid0(SALU_CYCLE_1)
	s_and_not1_b32 s0, s0, exec_lo
	s_and_b32 s15, s24, exec_lo
	s_and_b32 s26, s26, exec_lo
	s_and_b32 s25, s27, exec_lo
	s_and_b32 s24, s23, exec_lo
	s_or_b32 s0, s0, s15
.LBB238_899:
	s_or_b32 exec_lo, exec_lo, s21
	s_delay_alu instid0(SALU_CYCLE_1)
	s_and_not1_b32 s15, s19, exec_lo
	s_and_b32 s19, s22, exec_lo
	s_and_b32 s0, s0, exec_lo
	s_or_b32 s19, s15, s19
	s_and_not1_b32 s15, s18, exec_lo
	s_and_b32 s23, s26, exec_lo
	s_and_b32 s22, s25, exec_lo
	;; [unrolled: 1-line block ×3, first 2 shown]
	s_or_b32 s18, s15, s0
.LBB238_900:
	s_or_b32 exec_lo, exec_lo, s20
	s_delay_alu instid0(SALU_CYCLE_1)
	s_and_not1_b32 s0, s14, exec_lo
	s_and_b32 s14, s19, exec_lo
	s_and_not1_b32 s15, s16, exec_lo
	s_and_b32 s16, s18, exec_lo
	s_or_b32 s14, s0, s14
	s_and_b32 s0, s23, exec_lo
	s_and_b32 s19, s22, exec_lo
	s_and_b32 s18, s21, exec_lo
	s_or_b32 s16, s15, s16
	s_or_b32 exec_lo, exec_lo, s17
	s_mov_b32 s15, 0
	s_and_saveexec_b32 s17, s16
	s_cbranch_execz .LBB238_274
.LBB238_901:
	s_mov_b32 s15, exec_lo
	s_and_not1_b32 s18, s18, exec_lo
	s_trap 2
	s_or_b32 exec_lo, exec_lo, s17
	s_and_saveexec_b32 s16, s18
	s_delay_alu instid0(SALU_CYCLE_1)
	s_xor_b32 s16, exec_lo, s16
	s_cbranch_execnz .LBB238_275
.LBB238_902:
	s_or_b32 exec_lo, exec_lo, s16
	s_and_saveexec_b32 s16, s19
	s_cbranch_execz .LBB238_948
.LBB238_903:
	s_sext_i32_i16 s17, s12
	s_delay_alu instid0(SALU_CYCLE_1)
	s_cmp_lt_i32 s17, 5
	s_cbranch_scc1 .LBB238_908
; %bb.904:
	s_cmp_lt_i32 s17, 8
	s_cbranch_scc1 .LBB238_909
; %bb.905:
	s_cmp_lt_i32 s17, 9
	s_cbranch_scc1 .LBB238_910
; %bb.906:
	s_cmp_gt_i32 s17, 9
	s_cbranch_scc0 .LBB238_911
; %bb.907:
	s_wait_loadcnt 0x0
	global_load_b64 v[2:3], v[0:1], off
	s_mov_b32 s17, 0
	s_wait_loadcnt 0x0
	v_cvt_f32_f64_e32 v2, v[2:3]
	s_delay_alu instid0(VALU_DEP_1) | instskip(SKIP_1) | instid1(VALU_DEP_2)
	v_bfe_u32 v3, v2, 16, 1
	v_cmp_o_f32_e32 vcc_lo, v2, v2
	v_add3_u32 v3, v2, v3, 0x7fff
	s_delay_alu instid0(VALU_DEP_1) | instskip(NEXT) | instid1(VALU_DEP_1)
	v_lshrrev_b32_e32 v3, 16, v3
	v_cndmask_b32_e32 v5, 0x7fc0, v3, vcc_lo
	s_branch .LBB238_912
.LBB238_908:
                                        ; implicit-def: $vgpr5
	s_branch .LBB238_929
.LBB238_909:
                                        ; implicit-def: $vgpr5
	s_branch .LBB238_918
.LBB238_910:
	s_mov_b32 s17, -1
                                        ; implicit-def: $vgpr5
	s_branch .LBB238_915
.LBB238_911:
	s_mov_b32 s17, -1
                                        ; implicit-def: $vgpr5
.LBB238_912:
	s_delay_alu instid0(SALU_CYCLE_1)
	s_and_not1_b32 vcc_lo, exec_lo, s17
	s_cbranch_vccnz .LBB238_914
; %bb.913:
	s_wait_loadcnt 0x0
	global_load_b32 v2, v[0:1], off
	s_wait_loadcnt 0x0
	v_bfe_u32 v3, v2, 16, 1
	v_cmp_o_f32_e32 vcc_lo, v2, v2
	s_delay_alu instid0(VALU_DEP_2) | instskip(NEXT) | instid1(VALU_DEP_1)
	v_add3_u32 v3, v2, v3, 0x7fff
	v_lshrrev_b32_e32 v3, 16, v3
	s_delay_alu instid0(VALU_DEP_1)
	v_cndmask_b32_e32 v5, 0x7fc0, v3, vcc_lo
.LBB238_914:
	s_mov_b32 s17, 0
.LBB238_915:
	s_delay_alu instid0(SALU_CYCLE_1)
	s_and_not1_b32 vcc_lo, exec_lo, s17
	s_cbranch_vccnz .LBB238_917
; %bb.916:
	s_wait_loadcnt 0x0
	global_load_b32 v2, v[0:1], off
	s_wait_loadcnt 0x0
	v_cvt_f32_f16_e32 v3, v2
	v_cmp_o_f16_e32 vcc_lo, v2, v2
	s_delay_alu instid0(VALU_DEP_2) | instskip(NEXT) | instid1(VALU_DEP_1)
	v_bfe_u32 v5, v3, 16, 1
	v_add3_u32 v3, v3, v5, 0x7fff
	s_delay_alu instid0(VALU_DEP_1) | instskip(NEXT) | instid1(VALU_DEP_1)
	v_lshrrev_b32_e32 v3, 16, v3
	v_cndmask_b32_e32 v5, 0x7fc0, v3, vcc_lo
.LBB238_917:
	s_cbranch_execnz .LBB238_928
.LBB238_918:
	s_sext_i32_i16 s17, s12
	s_delay_alu instid0(SALU_CYCLE_1)
	s_cmp_lt_i32 s17, 6
	s_cbranch_scc1 .LBB238_921
; %bb.919:
	s_cmp_gt_i32 s17, 6
	s_cbranch_scc0 .LBB238_922
; %bb.920:
	s_wait_loadcnt 0x0
	global_load_b64 v[2:3], v[0:1], off
	s_mov_b32 s17, 0
	s_wait_loadcnt 0x0
	v_cvt_f32_f64_e32 v2, v[2:3]
	s_delay_alu instid0(VALU_DEP_1) | instskip(SKIP_1) | instid1(VALU_DEP_2)
	v_bfe_u32 v3, v2, 16, 1
	v_cmp_o_f32_e32 vcc_lo, v2, v2
	v_add3_u32 v3, v2, v3, 0x7fff
	s_delay_alu instid0(VALU_DEP_1) | instskip(NEXT) | instid1(VALU_DEP_1)
	v_lshrrev_b32_e32 v3, 16, v3
	v_cndmask_b32_e32 v5, 0x7fc0, v3, vcc_lo
	s_branch .LBB238_923
.LBB238_921:
	s_mov_b32 s17, -1
                                        ; implicit-def: $vgpr5
	s_branch .LBB238_926
.LBB238_922:
	s_mov_b32 s17, -1
                                        ; implicit-def: $vgpr5
.LBB238_923:
	s_delay_alu instid0(SALU_CYCLE_1)
	s_and_not1_b32 vcc_lo, exec_lo, s17
	s_cbranch_vccnz .LBB238_925
; %bb.924:
	s_wait_loadcnt 0x0
	global_load_b32 v2, v[0:1], off
	s_wait_loadcnt 0x0
	v_bfe_u32 v3, v2, 16, 1
	v_cmp_o_f32_e32 vcc_lo, v2, v2
	s_delay_alu instid0(VALU_DEP_2) | instskip(NEXT) | instid1(VALU_DEP_1)
	v_add3_u32 v3, v2, v3, 0x7fff
	v_lshrrev_b32_e32 v3, 16, v3
	s_delay_alu instid0(VALU_DEP_1)
	v_cndmask_b32_e32 v5, 0x7fc0, v3, vcc_lo
.LBB238_925:
	s_mov_b32 s17, 0
.LBB238_926:
	s_delay_alu instid0(SALU_CYCLE_1)
	s_and_not1_b32 vcc_lo, exec_lo, s17
	s_cbranch_vccnz .LBB238_928
; %bb.927:
	s_wait_loadcnt 0x0
	global_load_u16 v2, v[0:1], off
	s_wait_loadcnt 0x0
	v_cvt_f32_f16_e32 v3, v2
	v_cmp_o_f16_e32 vcc_lo, v2, v2
	s_delay_alu instid0(VALU_DEP_2) | instskip(NEXT) | instid1(VALU_DEP_1)
	v_bfe_u32 v5, v3, 16, 1
	v_add3_u32 v3, v3, v5, 0x7fff
	s_delay_alu instid0(VALU_DEP_1) | instskip(NEXT) | instid1(VALU_DEP_1)
	v_lshrrev_b32_e32 v3, 16, v3
	v_cndmask_b32_e32 v5, 0x7fc0, v3, vcc_lo
.LBB238_928:
	s_cbranch_execnz .LBB238_947
.LBB238_929:
	s_sext_i32_i16 s17, s12
	s_delay_alu instid0(SALU_CYCLE_1)
	s_cmp_lt_i32 s17, 2
	s_cbranch_scc1 .LBB238_933
; %bb.930:
	s_cmp_lt_i32 s17, 3
	s_cbranch_scc1 .LBB238_934
; %bb.931:
	s_cmp_gt_i32 s17, 3
	s_cbranch_scc0 .LBB238_935
; %bb.932:
	s_wait_loadcnt 0x0
	global_load_b64 v[2:3], v[0:1], off
	s_mov_b32 s17, 0
	s_wait_loadcnt 0x0
	v_xor_b32_e32 v5, v2, v3
	v_cls_i32_e32 v6, v3
	s_delay_alu instid0(VALU_DEP_2) | instskip(NEXT) | instid1(VALU_DEP_1)
	v_ashrrev_i32_e32 v5, 31, v5
	v_add_nc_u32_e32 v5, 32, v5
	s_delay_alu instid0(VALU_DEP_1) | instskip(NEXT) | instid1(VALU_DEP_1)
	v_add_min_u32_e64 v5, v6, -1, v5
	v_lshlrev_b64_e32 v[2:3], v5, v[2:3]
	s_delay_alu instid0(VALU_DEP_1) | instskip(NEXT) | instid1(VALU_DEP_1)
	v_min_u32_e32 v2, 1, v2
	v_dual_sub_nc_u32 v3, 32, v5 :: v_dual_bitop2_b32 v2, v3, v2 bitop3:0x54
	s_delay_alu instid0(VALU_DEP_1) | instskip(NEXT) | instid1(VALU_DEP_1)
	v_cvt_f32_i32_e32 v2, v2
	v_ldexp_f32 v2, v2, v3
	s_delay_alu instid0(VALU_DEP_1) | instskip(NEXT) | instid1(VALU_DEP_1)
	v_bfe_u32 v3, v2, 16, 1
	v_add3_u32 v2, v2, v3, 0x7fff
	s_delay_alu instid0(VALU_DEP_1)
	v_lshrrev_b32_e32 v5, 16, v2
	s_branch .LBB238_936
.LBB238_933:
                                        ; implicit-def: $vgpr5
	s_branch .LBB238_942
.LBB238_934:
	s_mov_b32 s17, -1
                                        ; implicit-def: $vgpr5
	s_branch .LBB238_939
.LBB238_935:
	s_mov_b32 s17, -1
                                        ; implicit-def: $vgpr5
.LBB238_936:
	s_delay_alu instid0(SALU_CYCLE_1)
	s_and_not1_b32 vcc_lo, exec_lo, s17
	s_cbranch_vccnz .LBB238_938
; %bb.937:
	s_wait_loadcnt 0x0
	global_load_b32 v2, v[0:1], off
	s_wait_loadcnt 0x0
	v_cvt_f32_i32_e32 v2, v2
	s_delay_alu instid0(VALU_DEP_1) | instskip(NEXT) | instid1(VALU_DEP_1)
	v_bfe_u32 v3, v2, 16, 1
	v_add3_u32 v2, v2, v3, 0x7fff
	s_delay_alu instid0(VALU_DEP_1)
	v_lshrrev_b32_e32 v5, 16, v2
.LBB238_938:
	s_mov_b32 s17, 0
.LBB238_939:
	s_delay_alu instid0(SALU_CYCLE_1)
	s_and_not1_b32 vcc_lo, exec_lo, s17
	s_cbranch_vccnz .LBB238_941
; %bb.940:
	s_wait_loadcnt 0x0
	global_load_i16 v2, v[0:1], off
	s_wait_loadcnt 0x0
	v_cvt_f32_i32_e32 v2, v2
	s_delay_alu instid0(VALU_DEP_1) | instskip(NEXT) | instid1(VALU_DEP_1)
	v_bfe_u32 v3, v2, 16, 1
	v_add3_u32 v2, v2, v3, 0x7fff
	s_delay_alu instid0(VALU_DEP_1)
	v_lshrrev_b32_e32 v5, 16, v2
.LBB238_941:
	s_cbranch_execnz .LBB238_947
.LBB238_942:
	s_sext_i32_i16 s17, s12
	s_delay_alu instid0(SALU_CYCLE_1)
	s_cmp_gt_i32 s17, 0
	s_mov_b32 s17, 0
	s_cbranch_scc0 .LBB238_944
; %bb.943:
	s_wait_loadcnt 0x0
	global_load_i8 v2, v[0:1], off
	s_wait_loadcnt 0x0
	v_cvt_f32_i32_e32 v2, v2
	s_delay_alu instid0(VALU_DEP_1) | instskip(NEXT) | instid1(VALU_DEP_1)
	v_bfe_u32 v3, v2, 16, 1
	v_add3_u32 v2, v2, v3, 0x7fff
	s_delay_alu instid0(VALU_DEP_1)
	v_lshrrev_b32_e32 v5, 16, v2
	s_branch .LBB238_945
.LBB238_944:
	s_mov_b32 s17, -1
                                        ; implicit-def: $vgpr5
.LBB238_945:
	s_delay_alu instid0(SALU_CYCLE_1)
	s_and_not1_b32 vcc_lo, exec_lo, s17
	s_cbranch_vccnz .LBB238_947
; %bb.946:
	global_load_u8 v0, v[0:1], off
	s_wait_loadcnt 0x0
	v_cvt_f32_ubyte0_e32 v0, v0
	s_delay_alu instid0(VALU_DEP_1) | instskip(NEXT) | instid1(VALU_DEP_1)
	v_bfe_u32 v1, v0, 16, 1
	v_add3_u32 v0, v0, v1, 0x7fff
	s_delay_alu instid0(VALU_DEP_1)
	v_lshrrev_b32_e32 v5, 16, v0
.LBB238_947:
	s_or_b32 s0, s0, exec_lo
.LBB238_948:
	s_wait_xcnt 0x0
	s_or_b32 exec_lo, exec_lo, s16
	s_mov_b32 s19, 0
	s_mov_b32 s18, 0
                                        ; implicit-def: $sgpr16
                                        ; implicit-def: $vgpr0_vgpr1
	s_and_saveexec_b32 s17, s0
	s_cbranch_execz .LBB238_955
; %bb.949:
	s_wait_loadcnt 0x0
	v_lshlrev_b32_e32 v0, 16, v5
	s_mov_b32 s0, exec_lo
	s_delay_alu instid0(VALU_DEP_1)
	v_cmpx_o_f32_e32 v0, v0
	s_cbranch_execz .LBB238_963
; %bb.950:
	s_cmp_lt_i32 s10, 1
	s_mov_b32 s16, 0
	s_cbranch_scc1 .LBB238_958
; %bb.951:
	s_cmp_eq_u32 s10, 1
	s_cbranch_scc0 .LBB238_959
; %bb.952:
	v_max_num_f32_e64 v1, s11, s11
	v_max_num_f32_e32 v2, v0, v0
	s_delay_alu instid0(VALU_DEP_1) | instskip(NEXT) | instid1(VALU_DEP_1)
	v_min_num_f32_e32 v1, v2, v1
	v_bfe_u32 v2, v1, 16, 1
	s_delay_alu instid0(VALU_DEP_1) | instskip(NEXT) | instid1(VALU_DEP_1)
	v_add3_u32 v1, v1, v2, 0x7fff
	v_lshrrev_b32_e32 v5, 16, v1
	s_and_b32 vcc_lo, exec_lo, s19
	s_cbranch_vccnz .LBB238_960
.LBB238_953:
	v_max_num_f32_e32 v0, v0, v0
	s_and_not1_b32 vcc_lo, exec_lo, s18
	s_cbranch_vccnz .LBB238_961
.LBB238_954:
	v_max_num_f32_e64 v1, s11, s11
	v_max_num_f32_e64 v2, s2, s2
	s_delay_alu instid0(VALU_DEP_1) | instskip(NEXT) | instid1(VALU_DEP_1)
	v_maxmin_num_f32 v1, v0, v1, v2
	v_bfe_u32 v2, v1, 16, 1
	s_delay_alu instid0(VALU_DEP_1) | instskip(NEXT) | instid1(VALU_DEP_1)
	v_add3_u32 v1, v1, v2, 0x7fff
	v_lshrrev_b32_e32 v5, 16, v1
	s_cbranch_execz .LBB238_962
	s_branch .LBB238_963
.LBB238_955:
	s_or_b32 exec_lo, exec_lo, s17
	s_and_saveexec_b32 s0, s14
	s_cbranch_execnz .LBB238_1040
.LBB238_956:
	s_or_b32 exec_lo, exec_lo, s0
	s_and_saveexec_b32 s0, s19
	s_delay_alu instid0(SALU_CYCLE_1)
	s_xor_b32 s0, exec_lo, s0
	s_cbranch_execz .LBB238_1041
.LBB238_957:
	s_wait_loadcnt 0x0
	v_and_b32_e32 v2, 0x7fff, v5
	s_delay_alu instid0(VALU_DEP_1)
	v_cmp_ne_u16_e32 vcc_lo, 0, v2
	v_cndmask_b32_e64 v2, 0, 1, vcc_lo
	global_store_b8 v[0:1], v2, off
	s_wait_xcnt 0x0
	s_or_b32 exec_lo, exec_lo, s0
	s_and_saveexec_b32 s0, s18
	s_delay_alu instid0(SALU_CYCLE_1)
	s_xor_b32 s0, exec_lo, s0
	s_cbranch_execz .LBB238_1079
	s_branch .LBB238_1042
.LBB238_958:
                                        ; implicit-def: $vgpr5
	s_cbranch_execnz .LBB238_960
	s_branch .LBB238_953
.LBB238_959:
	s_mov_b32 s18, -1
                                        ; implicit-def: $vgpr5
	s_and_b32 vcc_lo, exec_lo, s19
	s_cbranch_vccz .LBB238_953
.LBB238_960:
	s_cmp_lg_u32 s10, 0
	s_mov_b32 s16, -1
	s_cselect_b32 s18, -1, 0
	v_max_num_f32_e32 v0, v0, v0
	s_and_not1_b32 vcc_lo, exec_lo, s18
	s_cbranch_vccz .LBB238_954
.LBB238_961:
	s_and_not1_b32 vcc_lo, exec_lo, s16
	s_cbranch_vccnz .LBB238_963
.LBB238_962:
	v_max_num_f32_e64 v1, s11, s11
	s_delay_alu instid0(VALU_DEP_1) | instskip(NEXT) | instid1(VALU_DEP_1)
	v_max_num_f32_e32 v0, v0, v1
	v_bfe_u32 v1, v0, 16, 1
	s_delay_alu instid0(VALU_DEP_1) | instskip(NEXT) | instid1(VALU_DEP_1)
	v_add3_u32 v0, v0, v1, 0x7fff
	v_lshrrev_b32_e32 v5, 16, v0
.LBB238_963:
	s_or_b32 exec_lo, exec_lo, s0
	v_mul_lo_u32 v0, v4, s8
	s_and_b32 s16, s3, 0xff
	s_delay_alu instid0(SALU_CYCLE_1) | instskip(NEXT) | instid1(VALU_DEP_1)
	s_cmp_lt_i32 s16, 11
	v_ashrrev_i32_e32 v1, 31, v0
	s_delay_alu instid0(VALU_DEP_1)
	v_add_nc_u64_e32 v[0:1], s[4:5], v[0:1]
	s_cbranch_scc1 .LBB238_970
; %bb.964:
	s_and_b32 s18, 0xffff, s16
	s_mov_b32 s19, -1
	s_cmp_gt_i32 s18, 25
	s_mov_b32 s0, s14
	s_cbranch_scc0 .LBB238_998
; %bb.965:
	s_cmp_gt_i32 s18, 28
	s_mov_b32 s0, s14
	s_cbranch_scc0 .LBB238_982
; %bb.966:
	;; [unrolled: 4-line block ×4, first 2 shown]
	s_cmp_eq_u32 s18, 46
	s_mov_b32 s0, -1
	s_cbranch_scc0 .LBB238_971
; %bb.969:
	v_and_b32_e32 v2, 0xffff, v5
	s_mov_b32 s0, 0
	s_mov_b32 s19, 0
	global_store_b32 v[0:1], v2, off
	s_branch .LBB238_972
.LBB238_970:
	s_mov_b32 s20, 0
	s_mov_b32 s19, -1
	s_mov_b32 s0, s14
	s_branch .LBB238_1039
.LBB238_971:
	s_mov_b32 s19, 0
.LBB238_972:
	s_delay_alu instid0(SALU_CYCLE_1)
	s_and_b32 vcc_lo, exec_lo, s19
	s_cbranch_vccz .LBB238_977
; %bb.973:
	s_cmp_eq_u32 s18, 44
	s_mov_b32 s0, -1
	s_cbranch_scc0 .LBB238_977
; %bb.974:
	s_wait_xcnt 0x0
	v_and_b32_e32 v2, 0xffff, v5
	v_mov_b32_e32 v3, 0xff
	s_mov_b32 s19, exec_lo
	s_delay_alu instid0(VALU_DEP_2) | instskip(NEXT) | instid1(VALU_DEP_1)
	v_bfe_u32 v4, v2, 7, 8
	v_cmpx_ne_u32_e32 0xff, v4
	s_cbranch_execz .LBB238_976
; %bb.975:
	v_dual_lshlrev_b32 v3, 16, v2 :: v_dual_bitop2_b32 v6, 64, v2 bitop3:0x40
	v_lshrrev_b32_e32 v2, 7, v2
	s_delay_alu instid0(VALU_DEP_2) | instskip(NEXT) | instid1(VALU_DEP_3)
	v_and_or_b32 v3, 0x3f0000, v3, v4
	v_cmp_ne_u32_e32 vcc_lo, 0, v6
	s_delay_alu instid0(VALU_DEP_2) | instskip(SKIP_1) | instid1(SALU_CYCLE_1)
	v_cmp_ne_u32_e64 s0, 0, v3
	s_and_b32 s0, vcc_lo, s0
	v_cndmask_b32_e64 v3, 0, 1, s0
	s_delay_alu instid0(VALU_DEP_1)
	v_add_nc_u32_e32 v3, v2, v3
.LBB238_976:
	s_or_b32 exec_lo, exec_lo, s19
	s_mov_b32 s0, 0
	global_store_b8 v[0:1], v3, off
.LBB238_977:
	s_mov_b32 s19, 0
.LBB238_978:
	s_delay_alu instid0(SALU_CYCLE_1)
	s_and_b32 vcc_lo, exec_lo, s19
	s_cbranch_vccz .LBB238_981
; %bb.979:
	s_cmp_eq_u32 s18, 29
	s_mov_b32 s0, -1
	s_cbranch_scc0 .LBB238_981
; %bb.980:
	s_wait_xcnt 0x0
	v_lshlrev_b32_e32 v2, 16, v5
	s_mov_b32 s0, 0
	s_mov_b32 s19, 0
	s_delay_alu instid0(VALU_DEP_1) | instskip(NEXT) | instid1(VALU_DEP_1)
	v_trunc_f32_e32 v2, v2
	v_mul_f32_e32 v3, 0x2f800000, v2
	s_delay_alu instid0(VALU_DEP_1) | instskip(NEXT) | instid1(VALU_DEP_1)
	v_floor_f32_e32 v3, v3
	v_fmamk_f32 v2, v3, 0xcf800000, v2
	v_cvt_u32_f32_e32 v3, v3
	s_delay_alu instid0(VALU_DEP_2)
	v_cvt_u32_f32_e32 v2, v2
	global_store_b64 v[0:1], v[2:3], off
	s_branch .LBB238_982
.LBB238_981:
	s_mov_b32 s19, 0
.LBB238_982:
	s_delay_alu instid0(SALU_CYCLE_1)
	s_and_b32 vcc_lo, exec_lo, s19
	s_cbranch_vccz .LBB238_997
; %bb.983:
	s_cmp_lt_i32 s18, 27
	s_mov_b32 s19, -1
	s_cbranch_scc1 .LBB238_989
; %bb.984:
	s_cmp_gt_i32 s18, 27
	s_cbranch_scc0 .LBB238_986
; %bb.985:
	s_wait_xcnt 0x0
	v_lshlrev_b32_e32 v2, 16, v5
	s_mov_b32 s19, 0
	s_delay_alu instid0(VALU_DEP_1)
	v_cvt_u32_f32_e32 v2, v2
	global_store_b32 v[0:1], v2, off
.LBB238_986:
	s_and_not1_b32 vcc_lo, exec_lo, s19
	s_cbranch_vccnz .LBB238_988
; %bb.987:
	s_wait_xcnt 0x0
	v_lshlrev_b32_e32 v2, 16, v5
	s_delay_alu instid0(VALU_DEP_1)
	v_cvt_u32_f32_e32 v2, v2
	global_store_b16 v[0:1], v2, off
.LBB238_988:
	s_mov_b32 s19, 0
.LBB238_989:
	s_delay_alu instid0(SALU_CYCLE_1)
	s_and_not1_b32 vcc_lo, exec_lo, s19
	s_cbranch_vccnz .LBB238_997
; %bb.990:
	v_lshlrev_b32_e32 v4, 16, v5
	v_mov_b32_e32 v6, 0x80
	s_mov_b32 s19, exec_lo
	s_wait_xcnt 0x0
	s_delay_alu instid0(VALU_DEP_2) | instskip(NEXT) | instid1(VALU_DEP_1)
	v_and_b32_e32 v3, 0x7fffffff, v4
	v_cmpx_gt_u32_e32 0x43800000, v3
	s_cbranch_execz .LBB238_996
; %bb.991:
	v_and_b32_e32 v2, 0xffff, v5
	v_cmp_lt_u32_e32 vcc_lo, 0x3bffffff, v3
	s_mov_b32 s20, 0
                                        ; implicit-def: $vgpr3
	s_and_saveexec_b32 s21, vcc_lo
	s_delay_alu instid0(SALU_CYCLE_1)
	s_xor_b32 s21, exec_lo, s21
	s_cbranch_execz .LBB238_1094
; %bb.992:
	v_bfe_u32 v3, v2, 4, 1
	s_mov_b32 s20, exec_lo
	s_delay_alu instid0(VALU_DEP_1) | instskip(NEXT) | instid1(VALU_DEP_1)
	v_add3_u32 v3, v4, v3, 0x487ffff
                                        ; implicit-def: $vgpr4
	v_lshrrev_b32_e32 v3, 20, v3
	s_and_not1_saveexec_b32 s21, s21
	s_cbranch_execnz .LBB238_1095
.LBB238_993:
	s_or_b32 exec_lo, exec_lo, s21
	v_mov_b32_e32 v6, 0
	s_and_saveexec_b32 s21, s20
.LBB238_994:
	v_lshrrev_b32_e32 v2, 8, v2
	s_delay_alu instid0(VALU_DEP_1)
	v_and_or_b32 v6, 0x80, v2, v3
.LBB238_995:
	s_or_b32 exec_lo, exec_lo, s21
.LBB238_996:
	s_delay_alu instid0(SALU_CYCLE_1)
	s_or_b32 exec_lo, exec_lo, s19
	global_store_b8 v[0:1], v6, off
.LBB238_997:
	s_mov_b32 s19, 0
.LBB238_998:
	s_delay_alu instid0(SALU_CYCLE_1)
	s_and_b32 vcc_lo, exec_lo, s19
	s_mov_b32 s19, 0
	s_cbranch_vccz .LBB238_1038
; %bb.999:
	s_cmp_gt_i32 s18, 22
	s_mov_b32 s20, -1
	s_cbranch_scc0 .LBB238_1031
; %bb.1000:
	s_cmp_lt_i32 s18, 24
	s_cbranch_scc1 .LBB238_1020
; %bb.1001:
	s_cmp_gt_i32 s18, 24
	s_cbranch_scc0 .LBB238_1009
; %bb.1002:
	v_lshlrev_b32_e32 v4, 16, v5
	s_wait_xcnt 0x0
	v_mov_b32_e32 v6, 0x80
	s_mov_b32 s20, exec_lo
	s_delay_alu instid0(VALU_DEP_2) | instskip(NEXT) | instid1(VALU_DEP_1)
	v_and_b32_e32 v3, 0x7fffffff, v4
	v_cmpx_gt_u32_e32 0x47800000, v3
	s_cbranch_execz .LBB238_1008
; %bb.1003:
	v_and_b32_e32 v2, 0xffff, v5
	v_cmp_lt_u32_e32 vcc_lo, 0x37ffffff, v3
	s_mov_b32 s21, 0
                                        ; implicit-def: $vgpr3
	s_and_saveexec_b32 s22, vcc_lo
	s_delay_alu instid0(SALU_CYCLE_1)
	s_xor_b32 s22, exec_lo, s22
	s_cbranch_execz .LBB238_1232
; %bb.1004:
	v_bfe_u32 v3, v2, 5, 1
	s_mov_b32 s21, exec_lo
	s_delay_alu instid0(VALU_DEP_1) | instskip(NEXT) | instid1(VALU_DEP_1)
	v_add3_u32 v3, v4, v3, 0x88fffff
                                        ; implicit-def: $vgpr4
	v_lshrrev_b32_e32 v3, 21, v3
	s_and_not1_saveexec_b32 s22, s22
	s_cbranch_execnz .LBB238_1233
.LBB238_1005:
	s_or_b32 exec_lo, exec_lo, s22
	v_mov_b32_e32 v6, 0
	s_and_saveexec_b32 s22, s21
.LBB238_1006:
	v_lshrrev_b32_e32 v2, 8, v2
	s_delay_alu instid0(VALU_DEP_1)
	v_and_or_b32 v6, 0x80, v2, v3
.LBB238_1007:
	s_or_b32 exec_lo, exec_lo, s22
.LBB238_1008:
	s_delay_alu instid0(SALU_CYCLE_1)
	s_or_b32 exec_lo, exec_lo, s20
	s_mov_b32 s20, 0
	global_store_b8 v[0:1], v6, off
.LBB238_1009:
	s_and_b32 vcc_lo, exec_lo, s20
	s_cbranch_vccz .LBB238_1019
; %bb.1010:
	v_lshlrev_b32_e32 v4, 16, v5
	s_wait_xcnt 0x0
	v_and_b32_e32 v2, 0xffff, v5
	s_mov_b32 s20, exec_lo
                                        ; implicit-def: $vgpr3
	s_delay_alu instid0(VALU_DEP_2) | instskip(NEXT) | instid1(VALU_DEP_1)
	v_and_b32_e32 v6, 0x7fffffff, v4
	v_cmpx_gt_u32_e32 0x43f00000, v6
	s_xor_b32 s20, exec_lo, s20
	s_cbranch_execz .LBB238_1016
; %bb.1011:
	s_mov_b32 s21, exec_lo
                                        ; implicit-def: $vgpr3
	v_cmpx_lt_u32_e32 0x3c7fffff, v6
	s_xor_b32 s21, exec_lo, s21
; %bb.1012:
	v_bfe_u32 v3, v2, 4, 1
	s_delay_alu instid0(VALU_DEP_1) | instskip(NEXT) | instid1(VALU_DEP_1)
	v_add3_u32 v3, v4, v3, 0x407ffff
	v_and_b32_e32 v4, 0xff00000, v3
	v_lshrrev_b32_e32 v3, 20, v3
	s_delay_alu instid0(VALU_DEP_2) | instskip(NEXT) | instid1(VALU_DEP_2)
	v_cmp_ne_u32_e32 vcc_lo, 0x7f00000, v4
                                        ; implicit-def: $vgpr4
	v_cndmask_b32_e32 v3, 0x7e, v3, vcc_lo
; %bb.1013:
	s_and_not1_saveexec_b32 s21, s21
; %bb.1014:
	v_add_f32_e64 v3, 0x46800000, |v4|
; %bb.1015:
	s_or_b32 exec_lo, exec_lo, s21
                                        ; implicit-def: $vgpr6
.LBB238_1016:
	s_and_not1_saveexec_b32 s20, s20
; %bb.1017:
	v_mov_b32_e32 v3, 0x7f
	v_cmp_lt_u32_e32 vcc_lo, 0x7f800000, v6
	s_delay_alu instid0(VALU_DEP_2)
	v_cndmask_b32_e32 v3, 0x7e, v3, vcc_lo
; %bb.1018:
	s_or_b32 exec_lo, exec_lo, s20
	v_lshrrev_b32_e32 v2, 8, v2
	s_delay_alu instid0(VALU_DEP_1)
	v_and_or_b32 v2, 0x80, v2, v3
	global_store_b8 v[0:1], v2, off
.LBB238_1019:
	s_mov_b32 s20, 0
.LBB238_1020:
	s_delay_alu instid0(SALU_CYCLE_1)
	s_and_not1_b32 vcc_lo, exec_lo, s20
	s_cbranch_vccnz .LBB238_1030
; %bb.1021:
	v_lshlrev_b32_e32 v4, 16, v5
	s_wait_xcnt 0x0
	v_and_b32_e32 v2, 0xffff, v5
	s_mov_b32 s20, exec_lo
                                        ; implicit-def: $vgpr3
	s_delay_alu instid0(VALU_DEP_2) | instskip(NEXT) | instid1(VALU_DEP_1)
	v_and_b32_e32 v6, 0x7fffffff, v4
	v_cmpx_gt_u32_e32 0x47800000, v6
	s_xor_b32 s20, exec_lo, s20
	s_cbranch_execz .LBB238_1027
; %bb.1022:
	s_mov_b32 s21, exec_lo
                                        ; implicit-def: $vgpr3
	v_cmpx_lt_u32_e32 0x387fffff, v6
	s_xor_b32 s21, exec_lo, s21
; %bb.1023:
	v_bfe_u32 v3, v2, 5, 1
	s_delay_alu instid0(VALU_DEP_1) | instskip(NEXT) | instid1(VALU_DEP_1)
	v_add3_u32 v3, v4, v3, 0x80fffff
                                        ; implicit-def: $vgpr4
	v_lshrrev_b32_e32 v3, 21, v3
; %bb.1024:
	s_and_not1_saveexec_b32 s21, s21
; %bb.1025:
	v_add_f32_e64 v3, 0x43000000, |v4|
; %bb.1026:
	s_or_b32 exec_lo, exec_lo, s21
                                        ; implicit-def: $vgpr6
.LBB238_1027:
	s_and_not1_saveexec_b32 s20, s20
; %bb.1028:
	v_mov_b32_e32 v3, 0x7f
	v_cmp_lt_u32_e32 vcc_lo, 0x7f800000, v6
	s_delay_alu instid0(VALU_DEP_2)
	v_cndmask_b32_e32 v3, 0x7c, v3, vcc_lo
; %bb.1029:
	s_or_b32 exec_lo, exec_lo, s20
	v_lshrrev_b32_e32 v2, 8, v2
	s_delay_alu instid0(VALU_DEP_1)
	v_and_or_b32 v2, 0x80, v2, v3
	global_store_b8 v[0:1], v2, off
.LBB238_1030:
	s_mov_b32 s20, 0
.LBB238_1031:
	s_delay_alu instid0(SALU_CYCLE_1)
	s_and_not1_b32 vcc_lo, exec_lo, s20
	s_mov_b32 s20, 0
	s_cbranch_vccnz .LBB238_1039
; %bb.1032:
	s_cmp_gt_i32 s18, 14
	s_mov_b32 s20, -1
	s_cbranch_scc0 .LBB238_1036
; %bb.1033:
	s_cmp_eq_u32 s18, 15
	s_mov_b32 s0, -1
	s_cbranch_scc0 .LBB238_1035
; %bb.1034:
	s_mov_b32 s0, 0
	global_store_b16 v[0:1], v5, off
.LBB238_1035:
	s_mov_b32 s20, 0
.LBB238_1036:
	s_delay_alu instid0(SALU_CYCLE_1)
	s_and_b32 vcc_lo, exec_lo, s20
	s_mov_b32 s20, 0
	s_cbranch_vccz .LBB238_1039
; %bb.1037:
	s_cmp_lg_u32 s18, 11
	s_mov_b32 s20, -1
	s_cselect_b32 s18, -1, 0
	s_and_not1_b32 s0, s0, exec_lo
	s_and_b32 s18, s18, exec_lo
	s_delay_alu instid0(SALU_CYCLE_1)
	s_or_b32 s0, s0, s18
	s_branch .LBB238_1039
.LBB238_1038:
	s_mov_b32 s20, 0
.LBB238_1039:
	s_and_not1_b32 s14, s14, exec_lo
	s_and_b32 s0, s0, exec_lo
	s_and_b32 s18, s19, exec_lo
	;; [unrolled: 1-line block ×3, first 2 shown]
	s_or_b32 s14, s14, s0
	s_wait_xcnt 0x0
	s_or_b32 exec_lo, exec_lo, s17
	s_and_saveexec_b32 s0, s14
	s_cbranch_execz .LBB238_956
.LBB238_1040:
	s_or_b32 s15, s15, exec_lo
	s_and_not1_b32 s19, s19, exec_lo
	s_trap 2
	s_or_b32 exec_lo, exec_lo, s0
	s_and_saveexec_b32 s0, s19
	s_delay_alu instid0(SALU_CYCLE_1)
	s_xor_b32 s0, exec_lo, s0
	s_cbranch_execnz .LBB238_957
.LBB238_1041:
	s_or_b32 exec_lo, exec_lo, s0
	s_and_saveexec_b32 s0, s18
	s_delay_alu instid0(SALU_CYCLE_1)
	s_xor_b32 s0, exec_lo, s0
	s_cbranch_execz .LBB238_1079
.LBB238_1042:
	s_sext_i32_i16 s17, s16
	s_mov_b32 s14, -1
	s_cmp_lt_i32 s17, 5
	s_cbranch_scc1 .LBB238_1063
; %bb.1043:
	s_cmp_lt_i32 s17, 8
	s_cbranch_scc1 .LBB238_1053
; %bb.1044:
	;; [unrolled: 3-line block ×3, first 2 shown]
	s_wait_loadcnt 0x0
	v_lshlrev_b32_e32 v2, 16, v5
	s_cmp_gt_i32 s17, 9
	s_cbranch_scc0 .LBB238_1047
; %bb.1046:
	s_delay_alu instid0(VALU_DEP_1) | instskip(SKIP_2) | instid1(VALU_DEP_1)
	v_cvt_f64_f32_e32 v[6:7], v2
	v_mov_b32_e32 v8, 0
	s_mov_b32 s14, 0
	v_mov_b32_e32 v9, v8
	global_store_b128 v[0:1], v[6:9], off
.LBB238_1047:
	s_and_not1_b32 vcc_lo, exec_lo, s14
	s_cbranch_vccnz .LBB238_1049
; %bb.1048:
	v_mov_b32_e32 v3, 0
	global_store_b64 v[0:1], v[2:3], off
.LBB238_1049:
	s_mov_b32 s14, 0
.LBB238_1050:
	s_delay_alu instid0(SALU_CYCLE_1)
	s_and_not1_b32 vcc_lo, exec_lo, s14
	s_cbranch_vccnz .LBB238_1052
; %bb.1051:
	s_wait_loadcnt 0x0
	v_lshlrev_b32_e32 v2, 16, v5
	s_delay_alu instid0(VALU_DEP_1) | instskip(NEXT) | instid1(VALU_DEP_1)
	v_cvt_f16_f32_e32 v2, v2
	v_and_b32_e32 v2, 0xffff, v2
	global_store_b32 v[0:1], v2, off
.LBB238_1052:
	s_mov_b32 s14, 0
.LBB238_1053:
	s_delay_alu instid0(SALU_CYCLE_1)
	s_and_not1_b32 vcc_lo, exec_lo, s14
	s_cbranch_vccnz .LBB238_1062
; %bb.1054:
	s_sext_i32_i16 s17, s16
	s_mov_b32 s14, -1
	s_cmp_lt_i32 s17, 6
	s_cbranch_scc1 .LBB238_1060
; %bb.1055:
	s_wait_loadcnt 0x0
	v_lshlrev_b32_e32 v2, 16, v5
	s_cmp_gt_i32 s17, 6
	s_cbranch_scc0 .LBB238_1057
; %bb.1056:
	s_delay_alu instid0(VALU_DEP_1)
	v_cvt_f64_f32_e32 v[6:7], v2
	s_mov_b32 s14, 0
	global_store_b64 v[0:1], v[6:7], off
.LBB238_1057:
	s_and_not1_b32 vcc_lo, exec_lo, s14
	s_cbranch_vccnz .LBB238_1059
; %bb.1058:
	global_store_b32 v[0:1], v2, off
.LBB238_1059:
	s_mov_b32 s14, 0
.LBB238_1060:
	s_delay_alu instid0(SALU_CYCLE_1)
	s_and_not1_b32 vcc_lo, exec_lo, s14
	s_cbranch_vccnz .LBB238_1062
; %bb.1061:
	s_wait_loadcnt 0x0
	v_lshlrev_b32_e32 v2, 16, v5
	s_delay_alu instid0(VALU_DEP_1)
	v_cvt_f16_f32_e32 v2, v2
	global_store_b16 v[0:1], v2, off
.LBB238_1062:
	s_mov_b32 s14, 0
.LBB238_1063:
	s_delay_alu instid0(SALU_CYCLE_1)
	s_and_not1_b32 vcc_lo, exec_lo, s14
	s_cbranch_vccnz .LBB238_1079
; %bb.1064:
	s_sext_i32_i16 s17, s16
	s_mov_b32 s14, -1
	s_cmp_lt_i32 s17, 2
	s_cbranch_scc1 .LBB238_1074
; %bb.1065:
	s_cmp_lt_i32 s17, 3
	s_cbranch_scc1 .LBB238_1071
; %bb.1066:
	s_wait_loadcnt 0x0
	v_lshlrev_b32_e32 v2, 16, v5
	s_cmp_gt_i32 s17, 3
	s_cbranch_scc0 .LBB238_1068
; %bb.1067:
	s_delay_alu instid0(VALU_DEP_1) | instskip(SKIP_1) | instid1(VALU_DEP_1)
	v_trunc_f32_e32 v3, v2
	s_mov_b32 s14, 0
	v_mul_f32_e64 v4, 0x2f800000, |v3|
	v_ashrrev_i32_e32 v6, 31, v3
	s_delay_alu instid0(VALU_DEP_2) | instskip(NEXT) | instid1(VALU_DEP_1)
	v_floor_f32_e32 v4, v4
	v_fma_f32 v7, 0xcf800000, v4, |v3|
	v_cvt_u32_f32_e32 v3, v4
	s_delay_alu instid0(VALU_DEP_2) | instskip(NEXT) | instid1(VALU_DEP_2)
	v_cvt_u32_f32_e32 v4, v7
	v_dual_mov_b32 v7, v6 :: v_dual_bitop2_b32 v9, v3, v6 bitop3:0x14
	s_delay_alu instid0(VALU_DEP_2) | instskip(NEXT) | instid1(VALU_DEP_1)
	v_xor_b32_e32 v8, v4, v6
	v_sub_nc_u64_e32 v[6:7], v[8:9], v[6:7]
	global_store_b64 v[0:1], v[6:7], off
.LBB238_1068:
	s_and_not1_b32 vcc_lo, exec_lo, s14
	s_cbranch_vccnz .LBB238_1070
; %bb.1069:
	v_cvt_i32_f32_e32 v2, v2
	global_store_b32 v[0:1], v2, off
.LBB238_1070:
	s_mov_b32 s14, 0
.LBB238_1071:
	s_delay_alu instid0(SALU_CYCLE_1)
	s_and_not1_b32 vcc_lo, exec_lo, s14
	s_cbranch_vccnz .LBB238_1073
; %bb.1072:
	s_wait_loadcnt 0x0
	v_lshlrev_b32_e32 v2, 16, v5
	s_delay_alu instid0(VALU_DEP_1)
	v_cvt_i32_f32_e32 v2, v2
	global_store_b16 v[0:1], v2, off
.LBB238_1073:
	s_mov_b32 s14, 0
.LBB238_1074:
	s_delay_alu instid0(SALU_CYCLE_1)
	s_and_not1_b32 vcc_lo, exec_lo, s14
	s_cbranch_vccnz .LBB238_1079
; %bb.1075:
	s_wait_loadcnt 0x0
	v_lshlrev_b32_e32 v2, 16, v5
	s_sext_i32_i16 s14, s16
	s_delay_alu instid0(SALU_CYCLE_1)
	s_cmp_gt_i32 s14, 0
	s_mov_b32 s14, -1
	s_cbranch_scc0 .LBB238_1077
; %bb.1076:
	v_cvt_i32_f32_e32 v3, v2
	s_mov_b32 s14, 0
	global_store_b8 v[0:1], v3, off
.LBB238_1077:
	s_and_not1_b32 vcc_lo, exec_lo, s14
	s_cbranch_vccnz .LBB238_1079
; %bb.1078:
	v_trunc_f32_e32 v2, v2
	s_wait_xcnt 0x0
	s_delay_alu instid0(VALU_DEP_1) | instskip(NEXT) | instid1(VALU_DEP_1)
	v_mul_f32_e64 v3, 0x2f800000, |v2|
	v_floor_f32_e32 v3, v3
	s_delay_alu instid0(VALU_DEP_1) | instskip(SKIP_1) | instid1(VALU_DEP_2)
	v_fma_f32 v3, 0xcf800000, v3, |v2|
	v_ashrrev_i32_e32 v2, 31, v2
	v_cvt_u32_f32_e32 v3, v3
	s_delay_alu instid0(VALU_DEP_1) | instskip(NEXT) | instid1(VALU_DEP_1)
	v_xor_b32_e32 v3, v3, v2
	v_sub_nc_u32_e32 v2, v3, v2
	global_store_b8 v[0:1], v2, off
.LBB238_1079:
	s_wait_xcnt 0x0
	s_or_b32 exec_lo, exec_lo, s0
	s_delay_alu instid0(SALU_CYCLE_1)
	s_and_b32 s14, s15, exec_lo
                                        ; implicit-def: $vgpr4
.LBB238_1080:
	s_or_saveexec_b32 s13, s13
	s_mov_b32 s0, 0
                                        ; implicit-def: $sgpr15
                                        ; implicit-def: $vgpr0_vgpr1
                                        ; implicit-def: $vgpr8
	s_xor_b32 exec_lo, exec_lo, s13
	s_cbranch_execz .LBB238_1640
; %bb.1081:
	v_mul_lo_u32 v0, s9, v4
	s_and_b32 s0, 0xffff, s12
	s_delay_alu instid0(SALU_CYCLE_1) | instskip(NEXT) | instid1(VALU_DEP_1)
	s_cmp_lt_i32 s0, 11
	v_ashrrev_i32_e32 v1, 31, v0
	s_wait_loadcnt 0x0
	s_delay_alu instid0(VALU_DEP_1)
	v_add_nc_u64_e32 v[2:3], s[6:7], v[0:1]
	s_cbranch_scc1 .LBB238_1088
; %bb.1082:
	s_cmp_gt_i32 s0, 25
	s_mov_b32 s12, 0
	s_cbranch_scc0 .LBB238_1090
; %bb.1083:
	s_cmp_gt_i32 s0, 28
	s_cbranch_scc0 .LBB238_1091
; %bb.1084:
	s_cmp_gt_i32 s0, 43
	;; [unrolled: 3-line block ×3, first 2 shown]
	s_cbranch_scc0 .LBB238_1093
; %bb.1086:
	s_cmp_eq_u32 s0, 46
	s_mov_b32 s16, 0
	s_cbranch_scc0 .LBB238_1096
; %bb.1087:
	global_load_b32 v5, v[2:3], off
	s_mov_b32 s15, -1
	s_branch .LBB238_1098
.LBB238_1088:
	s_mov_b32 s15, 0
	s_mov_b32 s1, s14
                                        ; implicit-def: $vgpr5
	s_cbranch_execnz .LBB238_1161
.LBB238_1089:
	s_and_not1_b32 vcc_lo, exec_lo, s15
	s_cbranch_vccz .LBB238_1206
	s_branch .LBB238_1638
.LBB238_1090:
	s_mov_b32 s15, 0
                                        ; implicit-def: $vgpr5
	s_cbranch_execnz .LBB238_1126
	s_branch .LBB238_1157
.LBB238_1091:
	s_mov_b32 s16, -1
	s_mov_b32 s15, 0
                                        ; implicit-def: $vgpr5
	s_branch .LBB238_1107
.LBB238_1092:
	s_mov_b32 s15, 0
                                        ; implicit-def: $vgpr5
	s_cbranch_execnz .LBB238_1103
	s_branch .LBB238_1106
.LBB238_1093:
	s_mov_b32 s16, -1
	s_branch .LBB238_1097
.LBB238_1094:
	s_and_not1_saveexec_b32 s21, s21
	s_cbranch_execz .LBB238_993
.LBB238_1095:
	v_add_f32_e64 v3, 0x46000000, |v4|
	s_and_not1_b32 s20, s20, exec_lo
	s_delay_alu instid0(VALU_DEP_1) | instskip(NEXT) | instid1(VALU_DEP_1)
	v_and_b32_e32 v3, 0xff, v3
	v_cmp_ne_u32_e32 vcc_lo, 0, v3
	s_and_b32 s22, vcc_lo, exec_lo
	s_delay_alu instid0(SALU_CYCLE_1)
	s_or_b32 s20, s20, s22
	s_or_b32 exec_lo, exec_lo, s21
	v_mov_b32_e32 v6, 0
	s_and_saveexec_b32 s21, s20
	s_cbranch_execnz .LBB238_994
	s_branch .LBB238_995
.LBB238_1096:
	s_mov_b32 s1, -1
.LBB238_1097:
	s_mov_b32 s15, 0
                                        ; implicit-def: $vgpr5
.LBB238_1098:
	s_and_b32 vcc_lo, exec_lo, s16
	s_cbranch_vccz .LBB238_1101
; %bb.1099:
	s_cmp_eq_u32 s0, 44
	s_cbranch_scc0 .LBB238_1102
; %bb.1100:
	global_load_u8 v1, v[2:3], off
	s_mov_b32 s1, 0
	s_mov_b32 s15, -1
	s_wait_loadcnt 0x0
	v_lshlrev_b32_e32 v5, 23, v1
	v_cmp_ne_u32_e32 vcc_lo, 0xff, v1
	s_delay_alu instid0(VALU_DEP_2) | instskip(SKIP_1) | instid1(VALU_DEP_2)
	v_cndmask_b32_e32 v5, 0x7f800001, v5, vcc_lo
	v_cmp_ne_u32_e32 vcc_lo, 0, v1
	v_cndmask_b32_e32 v1, 0x400000, v5, vcc_lo
	s_delay_alu instid0(VALU_DEP_1) | instskip(SKIP_1) | instid1(VALU_DEP_2)
	v_add_nc_u32_e32 v5, 0x7fff, v1
	v_cmp_o_f32_e32 vcc_lo, v1, v1
	v_lshrrev_b32_e32 v5, 16, v5
	s_delay_alu instid0(VALU_DEP_1)
	v_cndmask_b32_e32 v5, 0x7fc0, v5, vcc_lo
.LBB238_1101:
	s_branch .LBB238_1106
.LBB238_1102:
	s_mov_b32 s1, -1
                                        ; implicit-def: $vgpr5
	s_branch .LBB238_1106
.LBB238_1103:
	s_cmp_eq_u32 s0, 29
	s_cbranch_scc0 .LBB238_1105
; %bb.1104:
	global_load_b64 v[6:7], v[2:3], off
	s_mov_b32 s1, 0
	s_mov_b32 s15, -1
	s_mov_b32 s16, 0
	s_wait_loadcnt 0x0
	v_clz_i32_u32_e32 v1, v7
	s_delay_alu instid0(VALU_DEP_1) | instskip(NEXT) | instid1(VALU_DEP_1)
	v_min_u32_e32 v1, 32, v1
	v_lshlrev_b64_e32 v[6:7], v1, v[6:7]
	v_sub_nc_u32_e32 v1, 32, v1
	s_delay_alu instid0(VALU_DEP_2) | instskip(NEXT) | instid1(VALU_DEP_1)
	v_min_u32_e32 v5, 1, v6
	v_or_b32_e32 v5, v7, v5
	s_delay_alu instid0(VALU_DEP_1) | instskip(NEXT) | instid1(VALU_DEP_1)
	v_cvt_f32_u32_e32 v5, v5
	v_ldexp_f32 v1, v5, v1
	s_delay_alu instid0(VALU_DEP_1) | instskip(NEXT) | instid1(VALU_DEP_1)
	v_bfe_u32 v5, v1, 16, 1
	v_add3_u32 v1, v1, v5, 0x7fff
	s_delay_alu instid0(VALU_DEP_1)
	v_lshrrev_b32_e32 v5, 16, v1
	s_branch .LBB238_1107
.LBB238_1105:
	s_mov_b32 s1, -1
                                        ; implicit-def: $vgpr5
.LBB238_1106:
	s_mov_b32 s16, 0
.LBB238_1107:
	s_delay_alu instid0(SALU_CYCLE_1)
	s_and_b32 vcc_lo, exec_lo, s16
	s_cbranch_vccz .LBB238_1125
; %bb.1108:
	s_cmp_lt_i32 s0, 27
	s_cbranch_scc1 .LBB238_1111
; %bb.1109:
	s_cmp_gt_i32 s0, 27
	s_cbranch_scc0 .LBB238_1112
; %bb.1110:
	global_load_b32 v1, v[2:3], off
	s_mov_b32 s15, 0
	s_wait_loadcnt 0x0
	v_cvt_f32_u32_e32 v1, v1
	s_delay_alu instid0(VALU_DEP_1) | instskip(NEXT) | instid1(VALU_DEP_1)
	v_bfe_u32 v5, v1, 16, 1
	v_add3_u32 v1, v1, v5, 0x7fff
	s_delay_alu instid0(VALU_DEP_1)
	v_lshrrev_b32_e32 v5, 16, v1
	s_branch .LBB238_1113
.LBB238_1111:
	s_mov_b32 s15, -1
                                        ; implicit-def: $vgpr5
	s_branch .LBB238_1116
.LBB238_1112:
	s_mov_b32 s15, -1
                                        ; implicit-def: $vgpr5
.LBB238_1113:
	s_delay_alu instid0(SALU_CYCLE_1)
	s_and_not1_b32 vcc_lo, exec_lo, s15
	s_cbranch_vccnz .LBB238_1115
; %bb.1114:
	global_load_u16 v1, v[2:3], off
	s_wait_loadcnt 0x0
	v_cvt_f32_u32_e32 v1, v1
	s_delay_alu instid0(VALU_DEP_1) | instskip(NEXT) | instid1(VALU_DEP_1)
	v_bfe_u32 v5, v1, 16, 1
	v_add3_u32 v1, v1, v5, 0x7fff
	s_delay_alu instid0(VALU_DEP_1)
	v_lshrrev_b32_e32 v5, 16, v1
.LBB238_1115:
	s_mov_b32 s15, 0
.LBB238_1116:
	s_delay_alu instid0(SALU_CYCLE_1)
	s_and_not1_b32 vcc_lo, exec_lo, s15
	s_cbranch_vccnz .LBB238_1124
; %bb.1117:
	global_load_u8 v1, v[2:3], off
	s_mov_b32 s15, 0
	s_mov_b32 s16, exec_lo
	s_wait_loadcnt 0x0
	v_cmpx_lt_i16_e32 0x7f, v1
	s_xor_b32 s16, exec_lo, s16
	s_cbranch_execz .LBB238_1137
; %bb.1118:
	s_mov_b32 s15, -1
	s_mov_b32 s17, exec_lo
	v_cmpx_eq_u16_e32 0x80, v1
; %bb.1119:
	s_xor_b32 s15, exec_lo, -1
; %bb.1120:
	s_or_b32 exec_lo, exec_lo, s17
	s_delay_alu instid0(SALU_CYCLE_1)
	s_and_b32 s15, s15, exec_lo
	s_or_saveexec_b32 s16, s16
	v_mov_b32_e32 v5, 0x7f800001
	s_xor_b32 exec_lo, exec_lo, s16
	s_cbranch_execnz .LBB238_1138
.LBB238_1121:
	s_or_b32 exec_lo, exec_lo, s16
	s_and_saveexec_b32 s16, s15
	s_cbranch_execz .LBB238_1123
.LBB238_1122:
	v_and_b32_e32 v5, 0xffff, v1
	s_delay_alu instid0(VALU_DEP_1) | instskip(SKIP_1) | instid1(VALU_DEP_2)
	v_and_b32_e32 v6, 7, v5
	v_bfe_u32 v9, v5, 3, 4
	v_clz_i32_u32_e32 v7, v6
	s_delay_alu instid0(VALU_DEP_2) | instskip(NEXT) | instid1(VALU_DEP_2)
	v_cmp_eq_u32_e32 vcc_lo, 0, v9
	v_min_u32_e32 v7, 32, v7
	s_delay_alu instid0(VALU_DEP_1) | instskip(NEXT) | instid1(VALU_DEP_1)
	v_subrev_nc_u32_e32 v8, 28, v7
	v_dual_lshlrev_b32 v5, v8, v5 :: v_dual_sub_nc_u32 v7, 29, v7
	s_delay_alu instid0(VALU_DEP_1) | instskip(NEXT) | instid1(VALU_DEP_2)
	v_and_b32_e32 v5, 7, v5
	v_dual_lshlrev_b32 v1, 24, v1 :: v_dual_cndmask_b32 v7, v9, v7, vcc_lo
	s_delay_alu instid0(VALU_DEP_2) | instskip(NEXT) | instid1(VALU_DEP_2)
	v_cndmask_b32_e32 v5, v6, v5, vcc_lo
	v_and_b32_e32 v1, 0x80000000, v1
	s_delay_alu instid0(VALU_DEP_3) | instskip(NEXT) | instid1(VALU_DEP_3)
	v_lshl_add_u32 v6, v7, 23, 0x3b800000
	v_lshlrev_b32_e32 v5, 20, v5
	s_delay_alu instid0(VALU_DEP_1)
	v_or3_b32 v5, v1, v6, v5
.LBB238_1123:
	s_or_b32 exec_lo, exec_lo, s16
	s_delay_alu instid0(VALU_DEP_1) | instskip(SKIP_1) | instid1(VALU_DEP_2)
	v_bfe_u32 v1, v5, 16, 1
	v_cmp_o_f32_e32 vcc_lo, v5, v5
	v_add3_u32 v1, v5, v1, 0x7fff
	s_delay_alu instid0(VALU_DEP_1) | instskip(NEXT) | instid1(VALU_DEP_1)
	v_lshrrev_b32_e32 v1, 16, v1
	v_cndmask_b32_e32 v5, 0x7fc0, v1, vcc_lo
.LBB238_1124:
	s_mov_b32 s15, -1
.LBB238_1125:
	s_branch .LBB238_1157
.LBB238_1126:
	s_cmp_gt_i32 s0, 22
	s_cbranch_scc0 .LBB238_1136
; %bb.1127:
	s_cmp_lt_i32 s0, 24
	s_cbranch_scc1 .LBB238_1139
; %bb.1128:
	s_cmp_gt_i32 s0, 24
	s_cbranch_scc0 .LBB238_1140
; %bb.1129:
	global_load_u8 v1, v[2:3], off
	s_mov_b32 s15, exec_lo
	s_wait_loadcnt 0x0
	v_cmpx_lt_i16_e32 0x7f, v1
	s_xor_b32 s15, exec_lo, s15
	s_cbranch_execz .LBB238_1151
; %bb.1130:
	s_mov_b32 s12, -1
	s_mov_b32 s16, exec_lo
	v_cmpx_eq_u16_e32 0x80, v1
; %bb.1131:
	s_xor_b32 s12, exec_lo, -1
; %bb.1132:
	s_or_b32 exec_lo, exec_lo, s16
	s_delay_alu instid0(SALU_CYCLE_1)
	s_and_b32 s12, s12, exec_lo
	s_or_saveexec_b32 s15, s15
	v_mov_b32_e32 v5, 0x7f800001
	s_xor_b32 exec_lo, exec_lo, s15
	s_cbranch_execnz .LBB238_1152
.LBB238_1133:
	s_or_b32 exec_lo, exec_lo, s15
	s_and_saveexec_b32 s15, s12
	s_cbranch_execz .LBB238_1135
.LBB238_1134:
	v_and_b32_e32 v5, 0xffff, v1
	s_delay_alu instid0(VALU_DEP_1) | instskip(SKIP_1) | instid1(VALU_DEP_2)
	v_and_b32_e32 v6, 3, v5
	v_bfe_u32 v9, v5, 2, 5
	v_clz_i32_u32_e32 v7, v6
	s_delay_alu instid0(VALU_DEP_2) | instskip(NEXT) | instid1(VALU_DEP_2)
	v_cmp_eq_u32_e32 vcc_lo, 0, v9
	v_min_u32_e32 v7, 32, v7
	s_delay_alu instid0(VALU_DEP_1) | instskip(NEXT) | instid1(VALU_DEP_1)
	v_subrev_nc_u32_e32 v8, 29, v7
	v_dual_lshlrev_b32 v5, v8, v5 :: v_dual_sub_nc_u32 v7, 30, v7
	s_delay_alu instid0(VALU_DEP_1) | instskip(NEXT) | instid1(VALU_DEP_2)
	v_and_b32_e32 v5, 3, v5
	v_dual_lshlrev_b32 v1, 24, v1 :: v_dual_cndmask_b32 v7, v9, v7, vcc_lo
	s_delay_alu instid0(VALU_DEP_2) | instskip(NEXT) | instid1(VALU_DEP_2)
	v_cndmask_b32_e32 v5, v6, v5, vcc_lo
	v_and_b32_e32 v1, 0x80000000, v1
	s_delay_alu instid0(VALU_DEP_3) | instskip(NEXT) | instid1(VALU_DEP_3)
	v_lshl_add_u32 v6, v7, 23, 0x37800000
	v_lshlrev_b32_e32 v5, 21, v5
	s_delay_alu instid0(VALU_DEP_1)
	v_or3_b32 v5, v1, v6, v5
.LBB238_1135:
	s_or_b32 exec_lo, exec_lo, s15
	s_delay_alu instid0(VALU_DEP_1) | instskip(SKIP_2) | instid1(VALU_DEP_2)
	v_bfe_u32 v1, v5, 16, 1
	v_cmp_o_f32_e32 vcc_lo, v5, v5
	s_mov_b32 s12, 0
	v_add3_u32 v1, v5, v1, 0x7fff
	s_delay_alu instid0(VALU_DEP_1) | instskip(NEXT) | instid1(VALU_DEP_1)
	v_lshrrev_b32_e32 v1, 16, v1
	v_cndmask_b32_e32 v5, 0x7fc0, v1, vcc_lo
	s_branch .LBB238_1141
.LBB238_1136:
                                        ; implicit-def: $vgpr5
	s_mov_b32 s12, 0
	s_branch .LBB238_1147
.LBB238_1137:
	s_or_saveexec_b32 s16, s16
	v_mov_b32_e32 v5, 0x7f800001
	s_xor_b32 exec_lo, exec_lo, s16
	s_cbranch_execz .LBB238_1121
.LBB238_1138:
	v_cmp_ne_u16_e32 vcc_lo, 0, v1
	v_mov_b32_e32 v5, 0
	s_and_not1_b32 s15, s15, exec_lo
	s_and_b32 s17, vcc_lo, exec_lo
	s_delay_alu instid0(SALU_CYCLE_1)
	s_or_b32 s15, s15, s17
	s_or_b32 exec_lo, exec_lo, s16
	s_and_saveexec_b32 s16, s15
	s_cbranch_execnz .LBB238_1122
	s_branch .LBB238_1123
.LBB238_1139:
	s_mov_b32 s12, -1
                                        ; implicit-def: $vgpr5
	s_branch .LBB238_1144
.LBB238_1140:
	s_mov_b32 s12, -1
                                        ; implicit-def: $vgpr5
.LBB238_1141:
	s_delay_alu instid0(SALU_CYCLE_1)
	s_and_b32 vcc_lo, exec_lo, s12
	s_cbranch_vccz .LBB238_1143
; %bb.1142:
	global_load_u8 v1, v[2:3], off
	s_wait_loadcnt 0x0
	v_lshlrev_b32_e32 v1, 24, v1
	s_delay_alu instid0(VALU_DEP_1) | instskip(NEXT) | instid1(VALU_DEP_1)
	v_and_b32_e32 v5, 0x7f000000, v1
	v_clz_i32_u32_e32 v6, v5
	v_cmp_ne_u32_e32 vcc_lo, 0, v5
	v_add_nc_u32_e32 v8, 0x1000000, v5
	s_delay_alu instid0(VALU_DEP_3) | instskip(NEXT) | instid1(VALU_DEP_1)
	v_min_u32_e32 v6, 32, v6
	v_sub_nc_u32_e64 v6, v6, 4 clamp
	s_delay_alu instid0(VALU_DEP_1) | instskip(NEXT) | instid1(VALU_DEP_1)
	v_dual_lshlrev_b32 v7, v6, v5 :: v_dual_lshlrev_b32 v6, 23, v6
	v_lshrrev_b32_e32 v7, 4, v7
	s_delay_alu instid0(VALU_DEP_1) | instskip(NEXT) | instid1(VALU_DEP_1)
	v_dual_sub_nc_u32 v6, v7, v6 :: v_dual_ashrrev_i32 v7, 8, v8
	v_add_nc_u32_e32 v6, 0x3c000000, v6
	s_delay_alu instid0(VALU_DEP_1) | instskip(NEXT) | instid1(VALU_DEP_1)
	v_and_or_b32 v6, 0x7f800000, v7, v6
	v_cndmask_b32_e32 v5, 0, v6, vcc_lo
	s_delay_alu instid0(VALU_DEP_1) | instskip(SKIP_1) | instid1(VALU_DEP_2)
	v_and_or_b32 v1, 0x80000000, v1, v5
	v_bfe_u32 v5, v5, 16, 1
	v_cmp_o_f32_e32 vcc_lo, v1, v1
	s_delay_alu instid0(VALU_DEP_2) | instskip(NEXT) | instid1(VALU_DEP_1)
	v_add3_u32 v5, v1, v5, 0x7fff
	v_lshrrev_b32_e32 v5, 16, v5
	s_delay_alu instid0(VALU_DEP_1)
	v_cndmask_b32_e32 v5, 0x7fc0, v5, vcc_lo
.LBB238_1143:
	s_mov_b32 s12, 0
.LBB238_1144:
	s_delay_alu instid0(SALU_CYCLE_1)
	s_and_not1_b32 vcc_lo, exec_lo, s12
	s_cbranch_vccnz .LBB238_1146
; %bb.1145:
	global_load_u8 v1, v[2:3], off
	s_wait_loadcnt 0x0
	v_lshlrev_b32_e32 v5, 25, v1
	v_lshlrev_b16 v1, 8, v1
	s_delay_alu instid0(VALU_DEP_1) | instskip(SKIP_1) | instid1(VALU_DEP_2)
	v_and_or_b32 v7, 0x7f00, v1, 0.5
	v_bfe_i32 v1, v1, 0, 16
	v_dual_add_f32 v7, -0.5, v7 :: v_dual_lshrrev_b32 v6, 4, v5
	v_cmp_gt_u32_e32 vcc_lo, 0x8000000, v5
	s_delay_alu instid0(VALU_DEP_2) | instskip(NEXT) | instid1(VALU_DEP_1)
	v_or_b32_e32 v6, 0x70000000, v6
	v_mul_f32_e32 v6, 0x7800000, v6
	s_delay_alu instid0(VALU_DEP_1) | instskip(NEXT) | instid1(VALU_DEP_1)
	v_cndmask_b32_e32 v5, v6, v7, vcc_lo
	v_and_or_b32 v1, 0x80000000, v1, v5
	v_bfe_u32 v5, v5, 16, 1
	s_delay_alu instid0(VALU_DEP_2) | instskip(NEXT) | instid1(VALU_DEP_2)
	v_cmp_o_f32_e32 vcc_lo, v1, v1
	v_add3_u32 v5, v1, v5, 0x7fff
	s_delay_alu instid0(VALU_DEP_1) | instskip(NEXT) | instid1(VALU_DEP_1)
	v_lshrrev_b32_e32 v5, 16, v5
	v_cndmask_b32_e32 v5, 0x7fc0, v5, vcc_lo
.LBB238_1146:
	s_mov_b32 s15, -1
	s_mov_b32 s12, 0
	s_cbranch_execnz .LBB238_1157
.LBB238_1147:
	s_cmp_gt_i32 s0, 14
	s_cbranch_scc0 .LBB238_1150
; %bb.1148:
	s_cmp_eq_u32 s0, 15
	s_cbranch_scc0 .LBB238_1153
; %bb.1149:
	s_wait_loadcnt 0x0
	global_load_u16 v5, v[2:3], off
	s_mov_b32 s1, 0
	s_mov_b32 s15, -1
	s_branch .LBB238_1155
.LBB238_1150:
	s_mov_b32 s12, -1
	s_branch .LBB238_1154
.LBB238_1151:
	s_or_saveexec_b32 s15, s15
	v_mov_b32_e32 v5, 0x7f800001
	s_xor_b32 exec_lo, exec_lo, s15
	s_cbranch_execz .LBB238_1133
.LBB238_1152:
	v_cmp_ne_u16_e32 vcc_lo, 0, v1
	v_mov_b32_e32 v5, 0
	s_and_not1_b32 s12, s12, exec_lo
	s_and_b32 s16, vcc_lo, exec_lo
	s_delay_alu instid0(SALU_CYCLE_1)
	s_or_b32 s12, s12, s16
	s_or_b32 exec_lo, exec_lo, s15
	s_and_saveexec_b32 s15, s12
	s_cbranch_execnz .LBB238_1134
	s_branch .LBB238_1135
.LBB238_1153:
	s_mov_b32 s1, -1
.LBB238_1154:
                                        ; implicit-def: $vgpr5
.LBB238_1155:
	s_and_b32 vcc_lo, exec_lo, s12
	s_mov_b32 s12, 0
	s_cbranch_vccz .LBB238_1157
; %bb.1156:
	s_cmp_lg_u32 s0, 11
	s_mov_b32 s12, -1
	s_cselect_b32 s1, -1, 0
.LBB238_1157:
	s_delay_alu instid0(SALU_CYCLE_1)
	s_and_b32 vcc_lo, exec_lo, s1
	s_mov_b32 s1, s14
	s_cbranch_vccnz .LBB238_1230
; %bb.1158:
	s_and_not1_b32 vcc_lo, exec_lo, s12
	s_cbranch_vccnz .LBB238_1160
.LBB238_1159:
	global_load_u8 v1, v[2:3], off
	s_mov_b32 s15, -1
	s_wait_loadcnt 0x0
	v_cmp_ne_u16_e32 vcc_lo, 0, v1
	v_cndmask_b32_e64 v1, 0, 1.0, vcc_lo
	s_delay_alu instid0(VALU_DEP_1)
	v_lshrrev_b32_e32 v5, 16, v1
.LBB238_1160:
	s_branch .LBB238_1089
.LBB238_1161:
	s_cmp_lt_i32 s0, 5
	s_cbranch_scc1 .LBB238_1166
; %bb.1162:
	s_cmp_lt_i32 s0, 8
	s_cbranch_scc1 .LBB238_1167
; %bb.1163:
	;; [unrolled: 3-line block ×3, first 2 shown]
	s_cmp_gt_i32 s0, 9
	s_cbranch_scc0 .LBB238_1169
; %bb.1165:
	global_load_b64 v[6:7], v[2:3], off
	s_mov_b32 s12, 0
	s_wait_loadcnt 0x0
	v_cvt_f32_f64_e32 v1, v[6:7]
	s_delay_alu instid0(VALU_DEP_1) | instskip(SKIP_1) | instid1(VALU_DEP_2)
	v_bfe_u32 v5, v1, 16, 1
	v_cmp_o_f32_e32 vcc_lo, v1, v1
	v_add3_u32 v5, v1, v5, 0x7fff
	s_delay_alu instid0(VALU_DEP_1) | instskip(NEXT) | instid1(VALU_DEP_1)
	v_lshrrev_b32_e32 v5, 16, v5
	v_cndmask_b32_e32 v5, 0x7fc0, v5, vcc_lo
	s_branch .LBB238_1170
.LBB238_1166:
                                        ; implicit-def: $vgpr5
	s_branch .LBB238_1187
.LBB238_1167:
                                        ; implicit-def: $vgpr5
	s_branch .LBB238_1176
.LBB238_1168:
	s_mov_b32 s12, -1
                                        ; implicit-def: $vgpr5
	s_branch .LBB238_1173
.LBB238_1169:
	s_mov_b32 s12, -1
                                        ; implicit-def: $vgpr5
.LBB238_1170:
	s_delay_alu instid0(SALU_CYCLE_1)
	s_and_not1_b32 vcc_lo, exec_lo, s12
	s_cbranch_vccnz .LBB238_1172
; %bb.1171:
	global_load_b32 v1, v[2:3], off
	s_wait_loadcnt 0x0
	v_bfe_u32 v5, v1, 16, 1
	v_cmp_o_f32_e32 vcc_lo, v1, v1
	s_delay_alu instid0(VALU_DEP_2) | instskip(NEXT) | instid1(VALU_DEP_1)
	v_add3_u32 v5, v1, v5, 0x7fff
	v_lshrrev_b32_e32 v5, 16, v5
	s_delay_alu instid0(VALU_DEP_1)
	v_cndmask_b32_e32 v5, 0x7fc0, v5, vcc_lo
.LBB238_1172:
	s_mov_b32 s12, 0
.LBB238_1173:
	s_delay_alu instid0(SALU_CYCLE_1)
	s_and_not1_b32 vcc_lo, exec_lo, s12
	s_cbranch_vccnz .LBB238_1175
; %bb.1174:
	global_load_b32 v1, v[2:3], off
	s_wait_loadcnt 0x0
	v_cvt_f32_f16_e32 v5, v1
	v_cmp_o_f16_e32 vcc_lo, v1, v1
	s_delay_alu instid0(VALU_DEP_2) | instskip(NEXT) | instid1(VALU_DEP_1)
	v_bfe_u32 v6, v5, 16, 1
	v_add3_u32 v5, v5, v6, 0x7fff
	s_delay_alu instid0(VALU_DEP_1) | instskip(NEXT) | instid1(VALU_DEP_1)
	v_lshrrev_b32_e32 v5, 16, v5
	v_cndmask_b32_e32 v5, 0x7fc0, v5, vcc_lo
.LBB238_1175:
	s_cbranch_execnz .LBB238_1186
.LBB238_1176:
	s_cmp_lt_i32 s0, 6
	s_cbranch_scc1 .LBB238_1179
; %bb.1177:
	s_cmp_gt_i32 s0, 6
	s_cbranch_scc0 .LBB238_1180
; %bb.1178:
	global_load_b64 v[6:7], v[2:3], off
	s_mov_b32 s12, 0
	s_wait_loadcnt 0x0
	v_cvt_f32_f64_e32 v1, v[6:7]
	s_delay_alu instid0(VALU_DEP_1) | instskip(SKIP_1) | instid1(VALU_DEP_2)
	v_bfe_u32 v5, v1, 16, 1
	v_cmp_o_f32_e32 vcc_lo, v1, v1
	v_add3_u32 v5, v1, v5, 0x7fff
	s_delay_alu instid0(VALU_DEP_1) | instskip(NEXT) | instid1(VALU_DEP_1)
	v_lshrrev_b32_e32 v5, 16, v5
	v_cndmask_b32_e32 v5, 0x7fc0, v5, vcc_lo
	s_branch .LBB238_1181
.LBB238_1179:
	s_mov_b32 s12, -1
                                        ; implicit-def: $vgpr5
	s_branch .LBB238_1184
.LBB238_1180:
	s_mov_b32 s12, -1
                                        ; implicit-def: $vgpr5
.LBB238_1181:
	s_delay_alu instid0(SALU_CYCLE_1)
	s_and_not1_b32 vcc_lo, exec_lo, s12
	s_cbranch_vccnz .LBB238_1183
; %bb.1182:
	global_load_b32 v1, v[2:3], off
	s_wait_loadcnt 0x0
	v_bfe_u32 v5, v1, 16, 1
	v_cmp_o_f32_e32 vcc_lo, v1, v1
	s_delay_alu instid0(VALU_DEP_2) | instskip(NEXT) | instid1(VALU_DEP_1)
	v_add3_u32 v5, v1, v5, 0x7fff
	v_lshrrev_b32_e32 v5, 16, v5
	s_delay_alu instid0(VALU_DEP_1)
	v_cndmask_b32_e32 v5, 0x7fc0, v5, vcc_lo
.LBB238_1183:
	s_mov_b32 s12, 0
.LBB238_1184:
	s_delay_alu instid0(SALU_CYCLE_1)
	s_and_not1_b32 vcc_lo, exec_lo, s12
	s_cbranch_vccnz .LBB238_1186
; %bb.1185:
	global_load_u16 v1, v[2:3], off
	s_wait_loadcnt 0x0
	v_cvt_f32_f16_e32 v5, v1
	v_cmp_o_f16_e32 vcc_lo, v1, v1
	s_delay_alu instid0(VALU_DEP_2) | instskip(NEXT) | instid1(VALU_DEP_1)
	v_bfe_u32 v6, v5, 16, 1
	v_add3_u32 v5, v5, v6, 0x7fff
	s_delay_alu instid0(VALU_DEP_1) | instskip(NEXT) | instid1(VALU_DEP_1)
	v_lshrrev_b32_e32 v5, 16, v5
	v_cndmask_b32_e32 v5, 0x7fc0, v5, vcc_lo
.LBB238_1186:
	s_cbranch_execnz .LBB238_1205
.LBB238_1187:
	s_cmp_lt_i32 s0, 2
	s_cbranch_scc1 .LBB238_1191
; %bb.1188:
	s_cmp_lt_i32 s0, 3
	s_cbranch_scc1 .LBB238_1192
; %bb.1189:
	s_cmp_gt_i32 s0, 3
	s_cbranch_scc0 .LBB238_1193
; %bb.1190:
	global_load_b64 v[6:7], v[2:3], off
	s_mov_b32 s12, 0
	s_wait_loadcnt 0x0
	v_xor_b32_e32 v1, v6, v7
	v_cls_i32_e32 v5, v7
	s_delay_alu instid0(VALU_DEP_2) | instskip(NEXT) | instid1(VALU_DEP_1)
	v_ashrrev_i32_e32 v1, 31, v1
	v_add_nc_u32_e32 v1, 32, v1
	s_delay_alu instid0(VALU_DEP_1) | instskip(NEXT) | instid1(VALU_DEP_1)
	v_add_min_u32_e64 v1, v5, -1, v1
	v_lshlrev_b64_e32 v[6:7], v1, v[6:7]
	v_sub_nc_u32_e32 v1, 32, v1
	s_delay_alu instid0(VALU_DEP_2) | instskip(NEXT) | instid1(VALU_DEP_1)
	v_min_u32_e32 v5, 1, v6
	v_or_b32_e32 v5, v7, v5
	s_delay_alu instid0(VALU_DEP_1) | instskip(NEXT) | instid1(VALU_DEP_1)
	v_cvt_f32_i32_e32 v5, v5
	v_ldexp_f32 v1, v5, v1
	s_delay_alu instid0(VALU_DEP_1) | instskip(NEXT) | instid1(VALU_DEP_1)
	v_bfe_u32 v5, v1, 16, 1
	v_add3_u32 v1, v1, v5, 0x7fff
	s_delay_alu instid0(VALU_DEP_1)
	v_lshrrev_b32_e32 v5, 16, v1
	s_branch .LBB238_1194
.LBB238_1191:
                                        ; implicit-def: $vgpr5
	s_branch .LBB238_1200
.LBB238_1192:
	s_mov_b32 s12, -1
                                        ; implicit-def: $vgpr5
	s_branch .LBB238_1197
.LBB238_1193:
	s_mov_b32 s12, -1
                                        ; implicit-def: $vgpr5
.LBB238_1194:
	s_delay_alu instid0(SALU_CYCLE_1)
	s_and_not1_b32 vcc_lo, exec_lo, s12
	s_cbranch_vccnz .LBB238_1196
; %bb.1195:
	global_load_b32 v1, v[2:3], off
	s_wait_loadcnt 0x0
	v_cvt_f32_i32_e32 v1, v1
	s_delay_alu instid0(VALU_DEP_1) | instskip(NEXT) | instid1(VALU_DEP_1)
	v_bfe_u32 v5, v1, 16, 1
	v_add3_u32 v1, v1, v5, 0x7fff
	s_delay_alu instid0(VALU_DEP_1)
	v_lshrrev_b32_e32 v5, 16, v1
.LBB238_1196:
	s_mov_b32 s12, 0
.LBB238_1197:
	s_delay_alu instid0(SALU_CYCLE_1)
	s_and_not1_b32 vcc_lo, exec_lo, s12
	s_cbranch_vccnz .LBB238_1199
; %bb.1198:
	global_load_i16 v1, v[2:3], off
	s_wait_loadcnt 0x0
	v_cvt_f32_i32_e32 v1, v1
	s_delay_alu instid0(VALU_DEP_1) | instskip(NEXT) | instid1(VALU_DEP_1)
	v_bfe_u32 v5, v1, 16, 1
	v_add3_u32 v1, v1, v5, 0x7fff
	s_delay_alu instid0(VALU_DEP_1)
	v_lshrrev_b32_e32 v5, 16, v1
.LBB238_1199:
	s_cbranch_execnz .LBB238_1205
.LBB238_1200:
	s_cmp_gt_i32 s0, 0
	s_mov_b32 s12, 0
	s_cbranch_scc0 .LBB238_1202
; %bb.1201:
	global_load_i8 v1, v[2:3], off
	s_wait_loadcnt 0x0
	v_cvt_f32_i32_e32 v1, v1
	s_delay_alu instid0(VALU_DEP_1) | instskip(NEXT) | instid1(VALU_DEP_1)
	v_bfe_u32 v5, v1, 16, 1
	v_add3_u32 v1, v1, v5, 0x7fff
	s_delay_alu instid0(VALU_DEP_1)
	v_lshrrev_b32_e32 v5, 16, v1
	s_branch .LBB238_1203
.LBB238_1202:
	s_mov_b32 s12, -1
                                        ; implicit-def: $vgpr5
.LBB238_1203:
	s_delay_alu instid0(SALU_CYCLE_1)
	s_and_not1_b32 vcc_lo, exec_lo, s12
	s_cbranch_vccnz .LBB238_1205
; %bb.1204:
	global_load_u8 v1, v[2:3], off
	s_wait_loadcnt 0x0
	v_cvt_f32_ubyte0_e32 v1, v1
	s_wait_xcnt 0x0
	s_delay_alu instid0(VALU_DEP_1) | instskip(NEXT) | instid1(VALU_DEP_1)
	v_bfe_u32 v2, v1, 16, 1
	v_add3_u32 v1, v1, v2, 0x7fff
	s_delay_alu instid0(VALU_DEP_1)
	v_lshrrev_b32_e32 v5, 16, v1
.LBB238_1205:
.LBB238_1206:
	s_wait_loadcnt 0x0
	s_delay_alu instid0(VALU_DEP_1) | instskip(SKIP_2) | instid1(VALU_DEP_1)
	v_lshlrev_b32_e32 v1, 16, v5
	s_mov_b32 s12, exec_lo
	s_wait_xcnt 0x0
	v_cmpx_o_f32_e32 v1, v1
	s_cbranch_execz .LBB238_1218
; %bb.1207:
	s_cmp_lt_i32 s10, 1
	s_mov_b32 s15, 0
	s_cbranch_scc1 .LBB238_1210
; %bb.1208:
	s_cmp_eq_u32 s10, 1
	s_cbranch_scc0 .LBB238_1211
; %bb.1209:
	v_max_num_f32_e64 v2, s11, s11
	v_max_num_f32_e32 v3, v1, v1
	s_mov_b32 s16, 0
	s_delay_alu instid0(VALU_DEP_1) | instskip(NEXT) | instid1(VALU_DEP_1)
	v_min_num_f32_e32 v2, v3, v2
	v_bfe_u32 v3, v2, 16, 1
	s_delay_alu instid0(VALU_DEP_1) | instskip(NEXT) | instid1(VALU_DEP_1)
	v_add3_u32 v2, v2, v3, 0x7fff
	v_lshrrev_b32_e32 v5, 16, v2
	s_branch .LBB238_1212
.LBB238_1210:
	s_mov_b32 s16, 0
                                        ; implicit-def: $vgpr5
	s_cbranch_execnz .LBB238_1213
	s_branch .LBB238_1214
.LBB238_1211:
	s_mov_b32 s16, -1
                                        ; implicit-def: $vgpr5
.LBB238_1212:
	s_branch .LBB238_1214
.LBB238_1213:
	s_cmp_lg_u32 s10, 0
	s_mov_b32 s15, -1
	s_cselect_b32 s16, -1, 0
.LBB238_1214:
	v_max_num_f32_e32 v1, v1, v1
	s_and_not1_b32 vcc_lo, exec_lo, s16
	s_cbranch_vccnz .LBB238_1216
; %bb.1215:
	v_max_num_f32_e64 v2, s11, s11
	v_max_num_f32_e64 v3, s2, s2
	s_delay_alu instid0(VALU_DEP_1) | instskip(NEXT) | instid1(VALU_DEP_1)
	v_maxmin_num_f32 v2, v1, v2, v3
	v_bfe_u32 v3, v2, 16, 1
	s_delay_alu instid0(VALU_DEP_1) | instskip(NEXT) | instid1(VALU_DEP_1)
	v_add3_u32 v2, v2, v3, 0x7fff
	v_lshrrev_b32_e32 v5, 16, v2
	s_cbranch_execz .LBB238_1217
	s_branch .LBB238_1218
.LBB238_1216:
	s_and_not1_b32 vcc_lo, exec_lo, s15
	s_cbranch_vccnz .LBB238_1218
.LBB238_1217:
	v_max_num_f32_e64 v2, s11, s11
	s_delay_alu instid0(VALU_DEP_1) | instskip(NEXT) | instid1(VALU_DEP_1)
	v_max_num_f32_e32 v1, v1, v2
	v_bfe_u32 v2, v1, 16, 1
	s_delay_alu instid0(VALU_DEP_1) | instskip(NEXT) | instid1(VALU_DEP_1)
	v_add3_u32 v1, v1, v2, 0x7fff
	v_lshrrev_b32_e32 v5, 16, v1
.LBB238_1218:
	s_or_b32 exec_lo, exec_lo, s12
	s_lshl_b32 s9, s9, 7
	s_cmp_lt_i32 s0, 11
	v_add_nc_u32_e32 v0, s9, v0
	s_delay_alu instid0(VALU_DEP_1) | instskip(NEXT) | instid1(VALU_DEP_1)
	v_ashrrev_i32_e32 v1, 31, v0
	v_add_nc_u64_e32 v[2:3], s[6:7], v[0:1]
	s_cbranch_scc1 .LBB238_1225
; %bb.1219:
	s_cmp_gt_i32 s0, 25
	s_mov_b32 s15, 0
	s_cbranch_scc0 .LBB238_1227
; %bb.1220:
	s_cmp_gt_i32 s0, 28
	s_cbranch_scc0 .LBB238_1228
; %bb.1221:
	s_cmp_gt_i32 s0, 43
	;; [unrolled: 3-line block ×3, first 2 shown]
	s_cbranch_scc0 .LBB238_1231
; %bb.1223:
	s_cmp_eq_u32 s0, 46
	s_mov_b32 s17, 0
	s_cbranch_scc0 .LBB238_1234
; %bb.1224:
	global_load_b32 v6, v[2:3], off
	s_mov_b32 s12, 0
	s_mov_b32 s16, -1
	s_branch .LBB238_1236
.LBB238_1225:
	s_mov_b32 s16, 0
                                        ; implicit-def: $vgpr6
	s_cbranch_execnz .LBB238_1301
.LBB238_1226:
	s_and_not1_b32 vcc_lo, exec_lo, s16
	s_cbranch_vccnz .LBB238_1638
	s_branch .LBB238_1348
.LBB238_1227:
	s_mov_b32 s16, 0
	s_mov_b32 s12, 0
                                        ; implicit-def: $vgpr6
	s_cbranch_execnz .LBB238_1265
	s_branch .LBB238_1297
.LBB238_1228:
	s_mov_b32 s17, -1
	s_mov_b32 s16, 0
	s_mov_b32 s12, 0
                                        ; implicit-def: $vgpr6
	s_branch .LBB238_1246
.LBB238_1229:
	s_mov_b32 s17, -1
	s_mov_b32 s16, 0
	s_mov_b32 s12, 0
                                        ; implicit-def: $vgpr6
	s_branch .LBB238_1241
.LBB238_1230:
	s_or_b32 s1, s14, exec_lo
	s_trap 2
	s_cbranch_execz .LBB238_1159
	s_branch .LBB238_1160
.LBB238_1231:
	s_mov_b32 s17, -1
	s_mov_b32 s16, 0
	s_mov_b32 s12, 0
	s_branch .LBB238_1235
.LBB238_1232:
	s_and_not1_saveexec_b32 s22, s22
	s_cbranch_execz .LBB238_1005
.LBB238_1233:
	v_add_f32_e64 v3, 0x42800000, |v4|
	s_and_not1_b32 s21, s21, exec_lo
	s_delay_alu instid0(VALU_DEP_1) | instskip(NEXT) | instid1(VALU_DEP_1)
	v_and_b32_e32 v3, 0xff, v3
	v_cmp_ne_u32_e32 vcc_lo, 0, v3
	s_and_b32 s23, vcc_lo, exec_lo
	s_delay_alu instid0(SALU_CYCLE_1)
	s_or_b32 s21, s21, s23
	s_or_b32 exec_lo, exec_lo, s22
	v_mov_b32_e32 v6, 0
	s_and_saveexec_b32 s22, s21
	s_cbranch_execnz .LBB238_1006
	s_branch .LBB238_1007
.LBB238_1234:
	s_mov_b32 s12, -1
	s_mov_b32 s16, 0
.LBB238_1235:
                                        ; implicit-def: $vgpr6
.LBB238_1236:
	s_and_b32 vcc_lo, exec_lo, s17
	s_cbranch_vccz .LBB238_1240
; %bb.1237:
	s_cmp_eq_u32 s0, 44
	s_cbranch_scc0 .LBB238_1239
; %bb.1238:
	global_load_u8 v1, v[2:3], off
	s_mov_b32 s12, 0
	s_mov_b32 s16, -1
	s_wait_loadcnt 0x0
	v_lshlrev_b32_e32 v6, 23, v1
	v_cmp_ne_u32_e32 vcc_lo, 0xff, v1
	s_delay_alu instid0(VALU_DEP_2) | instskip(SKIP_1) | instid1(VALU_DEP_2)
	v_cndmask_b32_e32 v6, 0x7f800001, v6, vcc_lo
	v_cmp_ne_u32_e32 vcc_lo, 0, v1
	v_cndmask_b32_e32 v1, 0x400000, v6, vcc_lo
	s_delay_alu instid0(VALU_DEP_1) | instskip(NEXT) | instid1(VALU_DEP_1)
	v_add_nc_u32_e32 v6, 0x7fff, v1
	v_lshrrev_b32_e32 v6, 16, v6
	v_cmp_o_f32_e32 vcc_lo, v1, v1
	s_delay_alu instid0(VALU_DEP_2)
	v_cndmask_b32_e32 v6, 0x7fc0, v6, vcc_lo
	s_branch .LBB238_1240
.LBB238_1239:
	s_mov_b32 s12, -1
                                        ; implicit-def: $vgpr6
.LBB238_1240:
	s_mov_b32 s17, 0
.LBB238_1241:
	s_delay_alu instid0(SALU_CYCLE_1)
	s_and_b32 vcc_lo, exec_lo, s17
	s_cbranch_vccz .LBB238_1245
; %bb.1242:
	s_cmp_eq_u32 s0, 29
	s_cbranch_scc0 .LBB238_1244
; %bb.1243:
	s_wait_loadcnt 0x0
	global_load_b64 v[6:7], v[2:3], off
	s_mov_b32 s12, 0
	s_mov_b32 s16, -1
	s_mov_b32 s17, 0
	s_wait_loadcnt 0x0
	v_clz_i32_u32_e32 v1, v7
	s_delay_alu instid0(VALU_DEP_1) | instskip(NEXT) | instid1(VALU_DEP_1)
	v_min_u32_e32 v1, 32, v1
	v_lshlrev_b64_e32 v[6:7], v1, v[6:7]
	v_sub_nc_u32_e32 v1, 32, v1
	s_delay_alu instid0(VALU_DEP_2) | instskip(NEXT) | instid1(VALU_DEP_1)
	v_min_u32_e32 v6, 1, v6
	v_or_b32_e32 v6, v7, v6
	s_delay_alu instid0(VALU_DEP_1) | instskip(NEXT) | instid1(VALU_DEP_1)
	v_cvt_f32_u32_e32 v6, v6
	v_ldexp_f32 v1, v6, v1
	s_delay_alu instid0(VALU_DEP_1) | instskip(NEXT) | instid1(VALU_DEP_1)
	v_bfe_u32 v6, v1, 16, 1
	v_add3_u32 v1, v1, v6, 0x7fff
	s_delay_alu instid0(VALU_DEP_1)
	v_lshrrev_b32_e32 v6, 16, v1
	s_branch .LBB238_1246
.LBB238_1244:
	s_mov_b32 s12, -1
                                        ; implicit-def: $vgpr6
.LBB238_1245:
	s_mov_b32 s17, 0
.LBB238_1246:
	s_delay_alu instid0(SALU_CYCLE_1)
	s_and_b32 vcc_lo, exec_lo, s17
	s_cbranch_vccz .LBB238_1264
; %bb.1247:
	s_cmp_lt_i32 s0, 27
	s_cbranch_scc1 .LBB238_1250
; %bb.1248:
	s_cmp_gt_i32 s0, 27
	s_cbranch_scc0 .LBB238_1251
; %bb.1249:
	global_load_b32 v1, v[2:3], off
	s_mov_b32 s16, 0
	s_wait_loadcnt 0x0
	v_cvt_f32_u32_e32 v1, v1
	s_delay_alu instid0(VALU_DEP_1) | instskip(NEXT) | instid1(VALU_DEP_1)
	v_bfe_u32 v6, v1, 16, 1
	v_add3_u32 v1, v1, v6, 0x7fff
	s_delay_alu instid0(VALU_DEP_1)
	v_lshrrev_b32_e32 v6, 16, v1
	s_branch .LBB238_1252
.LBB238_1250:
	s_mov_b32 s16, -1
                                        ; implicit-def: $vgpr6
	s_branch .LBB238_1255
.LBB238_1251:
	s_mov_b32 s16, -1
                                        ; implicit-def: $vgpr6
.LBB238_1252:
	s_delay_alu instid0(SALU_CYCLE_1)
	s_and_not1_b32 vcc_lo, exec_lo, s16
	s_cbranch_vccnz .LBB238_1254
; %bb.1253:
	global_load_u16 v1, v[2:3], off
	s_wait_loadcnt 0x0
	v_cvt_f32_u32_e32 v1, v1
	s_delay_alu instid0(VALU_DEP_1) | instskip(NEXT) | instid1(VALU_DEP_1)
	v_bfe_u32 v6, v1, 16, 1
	v_add3_u32 v1, v1, v6, 0x7fff
	s_delay_alu instid0(VALU_DEP_1)
	v_lshrrev_b32_e32 v6, 16, v1
.LBB238_1254:
	s_mov_b32 s16, 0
.LBB238_1255:
	s_delay_alu instid0(SALU_CYCLE_1)
	s_and_not1_b32 vcc_lo, exec_lo, s16
	s_cbranch_vccnz .LBB238_1263
; %bb.1256:
	global_load_u8 v1, v[2:3], off
	s_mov_b32 s16, 0
	s_mov_b32 s17, exec_lo
	s_wait_loadcnt 0x0
	v_cmpx_lt_i16_e32 0x7f, v1
	s_xor_b32 s17, exec_lo, s17
	s_cbranch_execz .LBB238_1276
; %bb.1257:
	s_mov_b32 s16, -1
	s_mov_b32 s18, exec_lo
	v_cmpx_eq_u16_e32 0x80, v1
; %bb.1258:
	s_xor_b32 s16, exec_lo, -1
; %bb.1259:
	s_or_b32 exec_lo, exec_lo, s18
	s_delay_alu instid0(SALU_CYCLE_1)
	s_and_b32 s16, s16, exec_lo
	s_or_saveexec_b32 s17, s17
	v_mov_b32_e32 v6, 0x7f800001
	s_xor_b32 exec_lo, exec_lo, s17
	s_cbranch_execnz .LBB238_1277
.LBB238_1260:
	s_or_b32 exec_lo, exec_lo, s17
	s_and_saveexec_b32 s17, s16
	s_cbranch_execz .LBB238_1262
.LBB238_1261:
	v_and_b32_e32 v6, 0xffff, v1
	s_delay_alu instid0(VALU_DEP_1) | instskip(SKIP_1) | instid1(VALU_DEP_2)
	v_and_b32_e32 v7, 7, v6
	v_bfe_u32 v10, v6, 3, 4
	v_clz_i32_u32_e32 v8, v7
	s_delay_alu instid0(VALU_DEP_2) | instskip(NEXT) | instid1(VALU_DEP_2)
	v_cmp_eq_u32_e32 vcc_lo, 0, v10
	v_min_u32_e32 v8, 32, v8
	s_delay_alu instid0(VALU_DEP_1) | instskip(NEXT) | instid1(VALU_DEP_1)
	v_subrev_nc_u32_e32 v9, 28, v8
	v_dual_lshlrev_b32 v6, v9, v6 :: v_dual_sub_nc_u32 v8, 29, v8
	s_delay_alu instid0(VALU_DEP_1) | instskip(NEXT) | instid1(VALU_DEP_1)
	v_dual_lshlrev_b32 v1, 24, v1 :: v_dual_bitop2_b32 v6, 7, v6 bitop3:0x40
	v_dual_cndmask_b32 v8, v10, v8, vcc_lo :: v_dual_cndmask_b32 v6, v7, v6, vcc_lo
	s_delay_alu instid0(VALU_DEP_2) | instskip(NEXT) | instid1(VALU_DEP_2)
	v_and_b32_e32 v1, 0x80000000, v1
	v_lshl_add_u32 v7, v8, 23, 0x3b800000
	s_delay_alu instid0(VALU_DEP_3) | instskip(NEXT) | instid1(VALU_DEP_1)
	v_lshlrev_b32_e32 v6, 20, v6
	v_or3_b32 v6, v1, v7, v6
.LBB238_1262:
	s_or_b32 exec_lo, exec_lo, s17
	s_delay_alu instid0(VALU_DEP_1) | instskip(SKIP_1) | instid1(VALU_DEP_2)
	v_bfe_u32 v1, v6, 16, 1
	v_cmp_o_f32_e32 vcc_lo, v6, v6
	v_add3_u32 v1, v6, v1, 0x7fff
	s_delay_alu instid0(VALU_DEP_1) | instskip(NEXT) | instid1(VALU_DEP_1)
	v_lshrrev_b32_e32 v1, 16, v1
	v_cndmask_b32_e32 v6, 0x7fc0, v1, vcc_lo
.LBB238_1263:
	s_mov_b32 s16, -1
.LBB238_1264:
	s_branch .LBB238_1297
.LBB238_1265:
	s_cmp_gt_i32 s0, 22
	s_cbranch_scc0 .LBB238_1275
; %bb.1266:
	s_cmp_lt_i32 s0, 24
	s_cbranch_scc1 .LBB238_1278
; %bb.1267:
	s_cmp_gt_i32 s0, 24
	s_cbranch_scc0 .LBB238_1279
; %bb.1268:
	global_load_u8 v1, v[2:3], off
	s_mov_b32 s16, exec_lo
	s_wait_loadcnt 0x0
	v_cmpx_lt_i16_e32 0x7f, v1
	s_xor_b32 s16, exec_lo, s16
	s_cbranch_execz .LBB238_1291
; %bb.1269:
	s_mov_b32 s15, -1
	s_mov_b32 s17, exec_lo
	v_cmpx_eq_u16_e32 0x80, v1
; %bb.1270:
	s_xor_b32 s15, exec_lo, -1
; %bb.1271:
	s_or_b32 exec_lo, exec_lo, s17
	s_delay_alu instid0(SALU_CYCLE_1)
	s_and_b32 s15, s15, exec_lo
	s_or_saveexec_b32 s16, s16
	v_mov_b32_e32 v6, 0x7f800001
	s_xor_b32 exec_lo, exec_lo, s16
	s_cbranch_execnz .LBB238_1292
.LBB238_1272:
	s_or_b32 exec_lo, exec_lo, s16
	s_and_saveexec_b32 s16, s15
	s_cbranch_execz .LBB238_1274
.LBB238_1273:
	v_and_b32_e32 v6, 0xffff, v1
	s_delay_alu instid0(VALU_DEP_1) | instskip(SKIP_1) | instid1(VALU_DEP_2)
	v_and_b32_e32 v7, 3, v6
	v_bfe_u32 v10, v6, 2, 5
	v_clz_i32_u32_e32 v8, v7
	s_delay_alu instid0(VALU_DEP_2) | instskip(NEXT) | instid1(VALU_DEP_2)
	v_cmp_eq_u32_e32 vcc_lo, 0, v10
	v_min_u32_e32 v8, 32, v8
	s_delay_alu instid0(VALU_DEP_1) | instskip(NEXT) | instid1(VALU_DEP_1)
	v_subrev_nc_u32_e32 v9, 29, v8
	v_dual_lshlrev_b32 v6, v9, v6 :: v_dual_sub_nc_u32 v8, 30, v8
	s_delay_alu instid0(VALU_DEP_1) | instskip(NEXT) | instid1(VALU_DEP_1)
	v_dual_lshlrev_b32 v1, 24, v1 :: v_dual_bitop2_b32 v6, 3, v6 bitop3:0x40
	v_dual_cndmask_b32 v8, v10, v8, vcc_lo :: v_dual_cndmask_b32 v6, v7, v6, vcc_lo
	s_delay_alu instid0(VALU_DEP_2) | instskip(NEXT) | instid1(VALU_DEP_2)
	v_and_b32_e32 v1, 0x80000000, v1
	v_lshl_add_u32 v7, v8, 23, 0x37800000
	s_delay_alu instid0(VALU_DEP_3) | instskip(NEXT) | instid1(VALU_DEP_1)
	v_lshlrev_b32_e32 v6, 21, v6
	v_or3_b32 v6, v1, v7, v6
.LBB238_1274:
	s_or_b32 exec_lo, exec_lo, s16
	s_delay_alu instid0(VALU_DEP_1) | instskip(SKIP_2) | instid1(VALU_DEP_2)
	v_bfe_u32 v1, v6, 16, 1
	v_cmp_o_f32_e32 vcc_lo, v6, v6
	s_mov_b32 s15, 0
	v_add3_u32 v1, v6, v1, 0x7fff
	s_delay_alu instid0(VALU_DEP_1) | instskip(NEXT) | instid1(VALU_DEP_1)
	v_lshrrev_b32_e32 v1, 16, v1
	v_cndmask_b32_e32 v6, 0x7fc0, v1, vcc_lo
	s_branch .LBB238_1280
.LBB238_1275:
	s_mov_b32 s15, -1
                                        ; implicit-def: $vgpr6
	s_branch .LBB238_1286
.LBB238_1276:
	s_or_saveexec_b32 s17, s17
	v_mov_b32_e32 v6, 0x7f800001
	s_xor_b32 exec_lo, exec_lo, s17
	s_cbranch_execz .LBB238_1260
.LBB238_1277:
	v_cmp_ne_u16_e32 vcc_lo, 0, v1
	v_mov_b32_e32 v6, 0
	s_and_not1_b32 s16, s16, exec_lo
	s_and_b32 s18, vcc_lo, exec_lo
	s_delay_alu instid0(SALU_CYCLE_1)
	s_or_b32 s16, s16, s18
	s_or_b32 exec_lo, exec_lo, s17
	s_and_saveexec_b32 s17, s16
	s_cbranch_execnz .LBB238_1261
	s_branch .LBB238_1262
.LBB238_1278:
	s_mov_b32 s15, -1
                                        ; implicit-def: $vgpr6
	s_branch .LBB238_1283
.LBB238_1279:
	s_mov_b32 s15, -1
                                        ; implicit-def: $vgpr6
.LBB238_1280:
	s_delay_alu instid0(SALU_CYCLE_1)
	s_and_b32 vcc_lo, exec_lo, s15
	s_cbranch_vccz .LBB238_1282
; %bb.1281:
	global_load_u8 v1, v[2:3], off
	s_wait_loadcnt 0x0
	v_lshlrev_b32_e32 v1, 24, v1
	s_delay_alu instid0(VALU_DEP_1) | instskip(NEXT) | instid1(VALU_DEP_1)
	v_and_b32_e32 v6, 0x7f000000, v1
	v_clz_i32_u32_e32 v7, v6
	v_cmp_ne_u32_e32 vcc_lo, 0, v6
	v_add_nc_u32_e32 v9, 0x1000000, v6
	s_delay_alu instid0(VALU_DEP_3) | instskip(NEXT) | instid1(VALU_DEP_1)
	v_min_u32_e32 v7, 32, v7
	v_sub_nc_u32_e64 v7, v7, 4 clamp
	s_delay_alu instid0(VALU_DEP_1) | instskip(NEXT) | instid1(VALU_DEP_1)
	v_dual_lshlrev_b32 v8, v7, v6 :: v_dual_lshlrev_b32 v7, 23, v7
	v_lshrrev_b32_e32 v8, 4, v8
	s_delay_alu instid0(VALU_DEP_1) | instskip(NEXT) | instid1(VALU_DEP_1)
	v_dual_sub_nc_u32 v7, v8, v7 :: v_dual_ashrrev_i32 v8, 8, v9
	v_add_nc_u32_e32 v7, 0x3c000000, v7
	s_delay_alu instid0(VALU_DEP_1) | instskip(NEXT) | instid1(VALU_DEP_1)
	v_and_or_b32 v7, 0x7f800000, v8, v7
	v_cndmask_b32_e32 v6, 0, v7, vcc_lo
	s_delay_alu instid0(VALU_DEP_1) | instskip(SKIP_1) | instid1(VALU_DEP_2)
	v_and_or_b32 v1, 0x80000000, v1, v6
	v_bfe_u32 v6, v6, 16, 1
	v_cmp_o_f32_e32 vcc_lo, v1, v1
	s_delay_alu instid0(VALU_DEP_2) | instskip(NEXT) | instid1(VALU_DEP_1)
	v_add3_u32 v6, v1, v6, 0x7fff
	v_lshrrev_b32_e32 v6, 16, v6
	s_delay_alu instid0(VALU_DEP_1)
	v_cndmask_b32_e32 v6, 0x7fc0, v6, vcc_lo
.LBB238_1282:
	s_mov_b32 s15, 0
.LBB238_1283:
	s_delay_alu instid0(SALU_CYCLE_1)
	s_and_not1_b32 vcc_lo, exec_lo, s15
	s_cbranch_vccnz .LBB238_1285
; %bb.1284:
	global_load_u8 v1, v[2:3], off
	s_wait_loadcnt 0x0
	v_lshlrev_b32_e32 v6, 25, v1
	v_lshlrev_b16 v1, 8, v1
	s_delay_alu instid0(VALU_DEP_1) | instskip(SKIP_1) | instid1(VALU_DEP_2)
	v_and_or_b32 v8, 0x7f00, v1, 0.5
	v_bfe_i32 v1, v1, 0, 16
	v_dual_add_f32 v8, -0.5, v8 :: v_dual_lshrrev_b32 v7, 4, v6
	v_cmp_gt_u32_e32 vcc_lo, 0x8000000, v6
	s_delay_alu instid0(VALU_DEP_2) | instskip(NEXT) | instid1(VALU_DEP_1)
	v_or_b32_e32 v7, 0x70000000, v7
	v_mul_f32_e32 v7, 0x7800000, v7
	s_delay_alu instid0(VALU_DEP_1) | instskip(NEXT) | instid1(VALU_DEP_1)
	v_cndmask_b32_e32 v6, v7, v8, vcc_lo
	v_and_or_b32 v1, 0x80000000, v1, v6
	v_bfe_u32 v6, v6, 16, 1
	s_delay_alu instid0(VALU_DEP_2) | instskip(NEXT) | instid1(VALU_DEP_2)
	v_cmp_o_f32_e32 vcc_lo, v1, v1
	v_add3_u32 v6, v1, v6, 0x7fff
	s_delay_alu instid0(VALU_DEP_1) | instskip(NEXT) | instid1(VALU_DEP_1)
	v_lshrrev_b32_e32 v6, 16, v6
	v_cndmask_b32_e32 v6, 0x7fc0, v6, vcc_lo
.LBB238_1285:
	s_mov_b32 s15, 0
	s_mov_b32 s16, -1
.LBB238_1286:
	s_and_not1_b32 vcc_lo, exec_lo, s15
	s_mov_b32 s15, 0
	s_cbranch_vccnz .LBB238_1297
; %bb.1287:
	s_cmp_gt_i32 s0, 14
	s_cbranch_scc0 .LBB238_1290
; %bb.1288:
	s_cmp_eq_u32 s0, 15
	s_cbranch_scc0 .LBB238_1293
; %bb.1289:
	s_wait_loadcnt 0x0
	global_load_u16 v6, v[2:3], off
	s_mov_b32 s12, 0
	s_mov_b32 s16, -1
	s_branch .LBB238_1295
.LBB238_1290:
	s_mov_b32 s15, -1
	s_branch .LBB238_1294
.LBB238_1291:
	s_or_saveexec_b32 s16, s16
	v_mov_b32_e32 v6, 0x7f800001
	s_xor_b32 exec_lo, exec_lo, s16
	s_cbranch_execz .LBB238_1272
.LBB238_1292:
	v_cmp_ne_u16_e32 vcc_lo, 0, v1
	v_mov_b32_e32 v6, 0
	s_and_not1_b32 s15, s15, exec_lo
	s_and_b32 s17, vcc_lo, exec_lo
	s_delay_alu instid0(SALU_CYCLE_1)
	s_or_b32 s15, s15, s17
	s_or_b32 exec_lo, exec_lo, s16
	s_and_saveexec_b32 s16, s15
	s_cbranch_execnz .LBB238_1273
	s_branch .LBB238_1274
.LBB238_1293:
	s_mov_b32 s12, -1
.LBB238_1294:
                                        ; implicit-def: $vgpr6
.LBB238_1295:
	s_and_b32 vcc_lo, exec_lo, s15
	s_mov_b32 s15, 0
	s_cbranch_vccz .LBB238_1297
; %bb.1296:
	s_cmp_lg_u32 s0, 11
	s_mov_b32 s15, -1
	s_cselect_b32 s12, -1, 0
.LBB238_1297:
	s_delay_alu instid0(SALU_CYCLE_1)
	s_and_b32 vcc_lo, exec_lo, s12
	s_cbranch_vccnz .LBB238_1372
; %bb.1298:
	s_and_not1_b32 vcc_lo, exec_lo, s15
	s_cbranch_vccnz .LBB238_1300
.LBB238_1299:
	global_load_u8 v1, v[2:3], off
	s_mov_b32 s16, -1
	s_wait_loadcnt 0x0
	v_cmp_ne_u16_e32 vcc_lo, 0, v1
	v_cndmask_b32_e64 v1, 0, 1.0, vcc_lo
	s_delay_alu instid0(VALU_DEP_1)
	v_lshrrev_b32_e32 v6, 16, v1
.LBB238_1300:
	s_branch .LBB238_1226
.LBB238_1301:
	s_cmp_lt_i32 s0, 5
	s_cbranch_scc1 .LBB238_1306
; %bb.1302:
	s_cmp_lt_i32 s0, 8
	s_cbranch_scc1 .LBB238_1307
; %bb.1303:
	;; [unrolled: 3-line block ×3, first 2 shown]
	s_cmp_gt_i32 s0, 9
	s_cbranch_scc0 .LBB238_1309
; %bb.1305:
	s_wait_loadcnt 0x0
	global_load_b64 v[6:7], v[2:3], off
	s_mov_b32 s12, 0
	s_wait_loadcnt 0x0
	v_cvt_f32_f64_e32 v1, v[6:7]
	s_delay_alu instid0(VALU_DEP_1) | instskip(SKIP_1) | instid1(VALU_DEP_2)
	v_bfe_u32 v6, v1, 16, 1
	v_cmp_o_f32_e32 vcc_lo, v1, v1
	v_add3_u32 v6, v1, v6, 0x7fff
	s_delay_alu instid0(VALU_DEP_1) | instskip(NEXT) | instid1(VALU_DEP_1)
	v_lshrrev_b32_e32 v6, 16, v6
	v_cndmask_b32_e32 v6, 0x7fc0, v6, vcc_lo
	s_branch .LBB238_1310
.LBB238_1306:
                                        ; implicit-def: $vgpr6
	s_branch .LBB238_1328
.LBB238_1307:
	s_mov_b32 s12, -1
                                        ; implicit-def: $vgpr6
	s_branch .LBB238_1316
.LBB238_1308:
	s_mov_b32 s12, -1
                                        ; implicit-def: $vgpr6
	s_branch .LBB238_1313
.LBB238_1309:
	s_mov_b32 s12, -1
                                        ; implicit-def: $vgpr6
.LBB238_1310:
	s_delay_alu instid0(SALU_CYCLE_1)
	s_and_not1_b32 vcc_lo, exec_lo, s12
	s_cbranch_vccnz .LBB238_1312
; %bb.1311:
	global_load_b32 v1, v[2:3], off
	s_wait_loadcnt 0x0
	v_bfe_u32 v6, v1, 16, 1
	v_cmp_o_f32_e32 vcc_lo, v1, v1
	s_delay_alu instid0(VALU_DEP_2) | instskip(NEXT) | instid1(VALU_DEP_1)
	v_add3_u32 v6, v1, v6, 0x7fff
	v_lshrrev_b32_e32 v6, 16, v6
	s_delay_alu instid0(VALU_DEP_1)
	v_cndmask_b32_e32 v6, 0x7fc0, v6, vcc_lo
.LBB238_1312:
	s_mov_b32 s12, 0
.LBB238_1313:
	s_delay_alu instid0(SALU_CYCLE_1)
	s_and_not1_b32 vcc_lo, exec_lo, s12
	s_cbranch_vccnz .LBB238_1315
; %bb.1314:
	global_load_b32 v1, v[2:3], off
	s_wait_loadcnt 0x0
	v_cvt_f32_f16_e32 v6, v1
	v_cmp_o_f16_e32 vcc_lo, v1, v1
	s_delay_alu instid0(VALU_DEP_2) | instskip(NEXT) | instid1(VALU_DEP_1)
	v_bfe_u32 v7, v6, 16, 1
	v_add3_u32 v6, v6, v7, 0x7fff
	s_delay_alu instid0(VALU_DEP_1) | instskip(NEXT) | instid1(VALU_DEP_1)
	v_lshrrev_b32_e32 v6, 16, v6
	v_cndmask_b32_e32 v6, 0x7fc0, v6, vcc_lo
.LBB238_1315:
	s_mov_b32 s12, 0
.LBB238_1316:
	s_delay_alu instid0(SALU_CYCLE_1)
	s_and_not1_b32 vcc_lo, exec_lo, s12
	s_cbranch_vccnz .LBB238_1327
; %bb.1317:
	s_cmp_lt_i32 s0, 6
	s_cbranch_scc1 .LBB238_1320
; %bb.1318:
	s_cmp_gt_i32 s0, 6
	s_cbranch_scc0 .LBB238_1321
; %bb.1319:
	s_wait_loadcnt 0x0
	global_load_b64 v[6:7], v[2:3], off
	s_mov_b32 s12, 0
	s_wait_loadcnt 0x0
	v_cvt_f32_f64_e32 v1, v[6:7]
	s_delay_alu instid0(VALU_DEP_1) | instskip(SKIP_1) | instid1(VALU_DEP_2)
	v_bfe_u32 v6, v1, 16, 1
	v_cmp_o_f32_e32 vcc_lo, v1, v1
	v_add3_u32 v6, v1, v6, 0x7fff
	s_delay_alu instid0(VALU_DEP_1) | instskip(NEXT) | instid1(VALU_DEP_1)
	v_lshrrev_b32_e32 v6, 16, v6
	v_cndmask_b32_e32 v6, 0x7fc0, v6, vcc_lo
	s_branch .LBB238_1322
.LBB238_1320:
	s_mov_b32 s12, -1
                                        ; implicit-def: $vgpr6
	s_branch .LBB238_1325
.LBB238_1321:
	s_mov_b32 s12, -1
                                        ; implicit-def: $vgpr6
.LBB238_1322:
	s_delay_alu instid0(SALU_CYCLE_1)
	s_and_not1_b32 vcc_lo, exec_lo, s12
	s_cbranch_vccnz .LBB238_1324
; %bb.1323:
	global_load_b32 v1, v[2:3], off
	s_wait_loadcnt 0x0
	v_bfe_u32 v6, v1, 16, 1
	v_cmp_o_f32_e32 vcc_lo, v1, v1
	s_delay_alu instid0(VALU_DEP_2) | instskip(NEXT) | instid1(VALU_DEP_1)
	v_add3_u32 v6, v1, v6, 0x7fff
	v_lshrrev_b32_e32 v6, 16, v6
	s_delay_alu instid0(VALU_DEP_1)
	v_cndmask_b32_e32 v6, 0x7fc0, v6, vcc_lo
.LBB238_1324:
	s_mov_b32 s12, 0
.LBB238_1325:
	s_delay_alu instid0(SALU_CYCLE_1)
	s_and_not1_b32 vcc_lo, exec_lo, s12
	s_cbranch_vccnz .LBB238_1327
; %bb.1326:
	global_load_u16 v1, v[2:3], off
	s_wait_loadcnt 0x0
	v_cvt_f32_f16_e32 v6, v1
	v_cmp_o_f16_e32 vcc_lo, v1, v1
	s_delay_alu instid0(VALU_DEP_2) | instskip(NEXT) | instid1(VALU_DEP_1)
	v_bfe_u32 v7, v6, 16, 1
	v_add3_u32 v6, v6, v7, 0x7fff
	s_delay_alu instid0(VALU_DEP_1) | instskip(NEXT) | instid1(VALU_DEP_1)
	v_lshrrev_b32_e32 v6, 16, v6
	v_cndmask_b32_e32 v6, 0x7fc0, v6, vcc_lo
.LBB238_1327:
	s_cbranch_execnz .LBB238_1347
.LBB238_1328:
	s_cmp_lt_i32 s0, 2
	s_cbranch_scc1 .LBB238_1332
; %bb.1329:
	s_cmp_lt_i32 s0, 3
	s_cbranch_scc1 .LBB238_1333
; %bb.1330:
	s_cmp_gt_i32 s0, 3
	s_cbranch_scc0 .LBB238_1334
; %bb.1331:
	s_wait_loadcnt 0x0
	global_load_b64 v[6:7], v[2:3], off
	s_mov_b32 s12, 0
	s_wait_loadcnt 0x0
	v_xor_b32_e32 v1, v6, v7
	v_cls_i32_e32 v8, v7
	s_delay_alu instid0(VALU_DEP_2) | instskip(NEXT) | instid1(VALU_DEP_1)
	v_ashrrev_i32_e32 v1, 31, v1
	v_add_nc_u32_e32 v1, 32, v1
	s_delay_alu instid0(VALU_DEP_1) | instskip(NEXT) | instid1(VALU_DEP_1)
	v_add_min_u32_e64 v1, v8, -1, v1
	v_lshlrev_b64_e32 v[6:7], v1, v[6:7]
	v_sub_nc_u32_e32 v1, 32, v1
	s_delay_alu instid0(VALU_DEP_2) | instskip(NEXT) | instid1(VALU_DEP_1)
	v_min_u32_e32 v6, 1, v6
	v_or_b32_e32 v6, v7, v6
	s_delay_alu instid0(VALU_DEP_1) | instskip(NEXT) | instid1(VALU_DEP_1)
	v_cvt_f32_i32_e32 v6, v6
	v_ldexp_f32 v1, v6, v1
	s_delay_alu instid0(VALU_DEP_1) | instskip(NEXT) | instid1(VALU_DEP_1)
	v_bfe_u32 v6, v1, 16, 1
	v_add3_u32 v1, v1, v6, 0x7fff
	s_delay_alu instid0(VALU_DEP_1)
	v_lshrrev_b32_e32 v6, 16, v1
	s_branch .LBB238_1335
.LBB238_1332:
	s_mov_b32 s12, -1
                                        ; implicit-def: $vgpr6
	s_branch .LBB238_1341
.LBB238_1333:
	s_mov_b32 s12, -1
                                        ; implicit-def: $vgpr6
	s_branch .LBB238_1338
.LBB238_1334:
	s_mov_b32 s12, -1
                                        ; implicit-def: $vgpr6
.LBB238_1335:
	s_delay_alu instid0(SALU_CYCLE_1)
	s_and_not1_b32 vcc_lo, exec_lo, s12
	s_cbranch_vccnz .LBB238_1337
; %bb.1336:
	global_load_b32 v1, v[2:3], off
	s_wait_loadcnt 0x0
	v_cvt_f32_i32_e32 v1, v1
	s_delay_alu instid0(VALU_DEP_1) | instskip(NEXT) | instid1(VALU_DEP_1)
	v_bfe_u32 v6, v1, 16, 1
	v_add3_u32 v1, v1, v6, 0x7fff
	s_delay_alu instid0(VALU_DEP_1)
	v_lshrrev_b32_e32 v6, 16, v1
.LBB238_1337:
	s_mov_b32 s12, 0
.LBB238_1338:
	s_delay_alu instid0(SALU_CYCLE_1)
	s_and_not1_b32 vcc_lo, exec_lo, s12
	s_cbranch_vccnz .LBB238_1340
; %bb.1339:
	global_load_i16 v1, v[2:3], off
	s_wait_loadcnt 0x0
	v_cvt_f32_i32_e32 v1, v1
	s_delay_alu instid0(VALU_DEP_1) | instskip(NEXT) | instid1(VALU_DEP_1)
	v_bfe_u32 v6, v1, 16, 1
	v_add3_u32 v1, v1, v6, 0x7fff
	s_delay_alu instid0(VALU_DEP_1)
	v_lshrrev_b32_e32 v6, 16, v1
.LBB238_1340:
	s_mov_b32 s12, 0
.LBB238_1341:
	s_delay_alu instid0(SALU_CYCLE_1)
	s_and_not1_b32 vcc_lo, exec_lo, s12
	s_cbranch_vccnz .LBB238_1347
; %bb.1342:
	s_cmp_gt_i32 s0, 0
	s_mov_b32 s12, 0
	s_cbranch_scc0 .LBB238_1344
; %bb.1343:
	global_load_i8 v1, v[2:3], off
	s_wait_loadcnt 0x0
	v_cvt_f32_i32_e32 v1, v1
	s_delay_alu instid0(VALU_DEP_1) | instskip(NEXT) | instid1(VALU_DEP_1)
	v_bfe_u32 v6, v1, 16, 1
	v_add3_u32 v1, v1, v6, 0x7fff
	s_delay_alu instid0(VALU_DEP_1)
	v_lshrrev_b32_e32 v6, 16, v1
	s_branch .LBB238_1345
.LBB238_1344:
	s_mov_b32 s12, -1
                                        ; implicit-def: $vgpr6
.LBB238_1345:
	s_delay_alu instid0(SALU_CYCLE_1)
	s_and_not1_b32 vcc_lo, exec_lo, s12
	s_cbranch_vccnz .LBB238_1347
; %bb.1346:
	global_load_u8 v1, v[2:3], off
	s_wait_loadcnt 0x0
	v_cvt_f32_ubyte0_e32 v1, v1
	s_wait_xcnt 0x0
	s_delay_alu instid0(VALU_DEP_1) | instskip(NEXT) | instid1(VALU_DEP_1)
	v_bfe_u32 v2, v1, 16, 1
	v_add3_u32 v1, v1, v2, 0x7fff
	s_delay_alu instid0(VALU_DEP_1)
	v_lshrrev_b32_e32 v6, 16, v1
.LBB238_1347:
.LBB238_1348:
	s_wait_loadcnt 0x0
	s_delay_alu instid0(VALU_DEP_1) | instskip(SKIP_2) | instid1(VALU_DEP_1)
	v_lshlrev_b32_e32 v1, 16, v6
	s_mov_b32 s12, exec_lo
	s_wait_xcnt 0x0
	v_cmpx_o_f32_e32 v1, v1
	s_cbranch_execz .LBB238_1360
; %bb.1349:
	s_cmp_lt_i32 s10, 1
	s_mov_b32 s15, 0
	s_cbranch_scc1 .LBB238_1352
; %bb.1350:
	s_cmp_eq_u32 s10, 1
	s_cbranch_scc0 .LBB238_1355
; %bb.1351:
	v_max_num_f32_e64 v2, s11, s11
	v_max_num_f32_e32 v3, v1, v1
	s_mov_b32 s16, 0
	s_delay_alu instid0(VALU_DEP_1) | instskip(NEXT) | instid1(VALU_DEP_1)
	v_min_num_f32_e32 v2, v3, v2
	v_bfe_u32 v3, v2, 16, 1
	s_delay_alu instid0(VALU_DEP_1) | instskip(NEXT) | instid1(VALU_DEP_1)
	v_add3_u32 v2, v2, v3, 0x7fff
	v_lshrrev_b32_e32 v6, 16, v2
	s_branch .LBB238_1356
.LBB238_1352:
	s_mov_b32 s16, 0
                                        ; implicit-def: $vgpr6
	s_cbranch_execnz .LBB238_1357
.LBB238_1353:
	v_max_num_f32_e32 v1, v1, v1
	s_and_not1_b32 vcc_lo, exec_lo, s16
	s_cbranch_vccnz .LBB238_1358
.LBB238_1354:
	v_max_num_f32_e64 v2, s11, s11
	v_max_num_f32_e64 v3, s2, s2
	s_delay_alu instid0(VALU_DEP_1) | instskip(NEXT) | instid1(VALU_DEP_1)
	v_maxmin_num_f32 v2, v1, v2, v3
	v_bfe_u32 v3, v2, 16, 1
	s_delay_alu instid0(VALU_DEP_1) | instskip(NEXT) | instid1(VALU_DEP_1)
	v_add3_u32 v2, v2, v3, 0x7fff
	v_lshrrev_b32_e32 v6, 16, v2
	s_cbranch_execz .LBB238_1359
	s_branch .LBB238_1360
.LBB238_1355:
	s_mov_b32 s16, -1
                                        ; implicit-def: $vgpr6
.LBB238_1356:
	s_branch .LBB238_1353
.LBB238_1357:
	s_cmp_lg_u32 s10, 0
	s_mov_b32 s15, -1
	s_cselect_b32 s16, -1, 0
	v_max_num_f32_e32 v1, v1, v1
	s_and_not1_b32 vcc_lo, exec_lo, s16
	s_cbranch_vccz .LBB238_1354
.LBB238_1358:
	s_and_not1_b32 vcc_lo, exec_lo, s15
	s_cbranch_vccnz .LBB238_1360
.LBB238_1359:
	v_max_num_f32_e64 v2, s11, s11
	s_delay_alu instid0(VALU_DEP_1) | instskip(NEXT) | instid1(VALU_DEP_1)
	v_max_num_f32_e32 v1, v1, v2
	v_bfe_u32 v2, v1, 16, 1
	s_delay_alu instid0(VALU_DEP_1) | instskip(NEXT) | instid1(VALU_DEP_1)
	v_add3_u32 v1, v1, v2, 0x7fff
	v_lshrrev_b32_e32 v6, 16, v1
.LBB238_1360:
	s_or_b32 exec_lo, exec_lo, s12
	v_add_nc_u32_e32 v0, s9, v0
	s_cmp_lt_i32 s0, 11
	s_delay_alu instid0(VALU_DEP_1) | instskip(NEXT) | instid1(VALU_DEP_1)
	v_ashrrev_i32_e32 v1, 31, v0
	v_add_nc_u64_e32 v[2:3], s[6:7], v[0:1]
	s_cbranch_scc1 .LBB238_1367
; %bb.1361:
	s_cmp_gt_i32 s0, 25
	s_mov_b32 s15, 0
	s_cbranch_scc0 .LBB238_1369
; %bb.1362:
	s_cmp_gt_i32 s0, 28
	s_cbranch_scc0 .LBB238_1370
; %bb.1363:
	s_cmp_gt_i32 s0, 43
	;; [unrolled: 3-line block ×3, first 2 shown]
	s_cbranch_scc0 .LBB238_1373
; %bb.1365:
	s_cmp_eq_u32 s0, 46
	s_mov_b32 s17, 0
	s_cbranch_scc0 .LBB238_1374
; %bb.1366:
	global_load_b32 v7, v[2:3], off
	s_mov_b32 s12, 0
	s_mov_b32 s16, -1
	s_branch .LBB238_1376
.LBB238_1367:
	s_mov_b32 s16, 0
                                        ; implicit-def: $vgpr7
	s_cbranch_execnz .LBB238_1442
.LBB238_1368:
	s_and_not1_b32 vcc_lo, exec_lo, s16
	s_cbranch_vccnz .LBB238_1638
	s_branch .LBB238_1490
.LBB238_1369:
	s_mov_b32 s17, -1
	s_mov_b32 s16, 0
	s_mov_b32 s12, 0
                                        ; implicit-def: $vgpr7
	s_branch .LBB238_1405
.LBB238_1370:
	s_mov_b32 s17, -1
	s_mov_b32 s16, 0
	s_mov_b32 s12, 0
                                        ; implicit-def: $vgpr7
	s_branch .LBB238_1386
.LBB238_1371:
	s_mov_b32 s17, -1
	s_mov_b32 s16, 0
	s_mov_b32 s12, 0
                                        ; implicit-def: $vgpr7
	s_branch .LBB238_1381
.LBB238_1372:
	s_or_b32 s1, s1, exec_lo
	s_trap 2
	s_cbranch_execz .LBB238_1299
	s_branch .LBB238_1300
.LBB238_1373:
	s_mov_b32 s17, -1
	s_mov_b32 s16, 0
	s_mov_b32 s12, 0
	s_branch .LBB238_1375
.LBB238_1374:
	s_mov_b32 s12, -1
	s_mov_b32 s16, 0
.LBB238_1375:
                                        ; implicit-def: $vgpr7
.LBB238_1376:
	s_and_b32 vcc_lo, exec_lo, s17
	s_cbranch_vccz .LBB238_1380
; %bb.1377:
	s_cmp_eq_u32 s0, 44
	s_cbranch_scc0 .LBB238_1379
; %bb.1378:
	global_load_u8 v1, v[2:3], off
	s_mov_b32 s12, 0
	s_mov_b32 s16, -1
	s_wait_loadcnt 0x0
	v_lshlrev_b32_e32 v7, 23, v1
	v_cmp_ne_u32_e32 vcc_lo, 0xff, v1
	s_delay_alu instid0(VALU_DEP_2) | instskip(SKIP_1) | instid1(VALU_DEP_2)
	v_cndmask_b32_e32 v7, 0x7f800001, v7, vcc_lo
	v_cmp_ne_u32_e32 vcc_lo, 0, v1
	v_cndmask_b32_e32 v1, 0x400000, v7, vcc_lo
	s_delay_alu instid0(VALU_DEP_1) | instskip(SKIP_1) | instid1(VALU_DEP_2)
	v_add_nc_u32_e32 v7, 0x7fff, v1
	v_cmp_o_f32_e32 vcc_lo, v1, v1
	v_lshrrev_b32_e32 v7, 16, v7
	s_delay_alu instid0(VALU_DEP_1)
	v_cndmask_b32_e32 v7, 0x7fc0, v7, vcc_lo
	s_branch .LBB238_1380
.LBB238_1379:
	s_mov_b32 s12, -1
                                        ; implicit-def: $vgpr7
.LBB238_1380:
	s_mov_b32 s17, 0
.LBB238_1381:
	s_delay_alu instid0(SALU_CYCLE_1)
	s_and_b32 vcc_lo, exec_lo, s17
	s_cbranch_vccz .LBB238_1385
; %bb.1382:
	s_cmp_eq_u32 s0, 29
	s_cbranch_scc0 .LBB238_1384
; %bb.1383:
	global_load_b64 v[8:9], v[2:3], off
	s_mov_b32 s12, 0
	s_mov_b32 s16, -1
	s_mov_b32 s17, 0
	s_wait_loadcnt 0x0
	v_clz_i32_u32_e32 v1, v9
	s_delay_alu instid0(VALU_DEP_1) | instskip(NEXT) | instid1(VALU_DEP_1)
	v_min_u32_e32 v1, 32, v1
	v_lshlrev_b64_e32 v[8:9], v1, v[8:9]
	v_sub_nc_u32_e32 v1, 32, v1
	s_delay_alu instid0(VALU_DEP_2) | instskip(NEXT) | instid1(VALU_DEP_1)
	v_min_u32_e32 v7, 1, v8
	v_or_b32_e32 v7, v9, v7
	s_delay_alu instid0(VALU_DEP_1) | instskip(NEXT) | instid1(VALU_DEP_1)
	v_cvt_f32_u32_e32 v7, v7
	v_ldexp_f32 v1, v7, v1
	s_delay_alu instid0(VALU_DEP_1) | instskip(NEXT) | instid1(VALU_DEP_1)
	v_bfe_u32 v7, v1, 16, 1
	v_add3_u32 v1, v1, v7, 0x7fff
	s_delay_alu instid0(VALU_DEP_1)
	v_lshrrev_b32_e32 v7, 16, v1
	s_branch .LBB238_1386
.LBB238_1384:
	s_mov_b32 s12, -1
                                        ; implicit-def: $vgpr7
.LBB238_1385:
	s_mov_b32 s17, 0
.LBB238_1386:
	s_delay_alu instid0(SALU_CYCLE_1)
	s_and_b32 vcc_lo, exec_lo, s17
	s_cbranch_vccz .LBB238_1404
; %bb.1387:
	s_cmp_lt_i32 s0, 27
	s_cbranch_scc1 .LBB238_1390
; %bb.1388:
	s_cmp_gt_i32 s0, 27
	s_cbranch_scc0 .LBB238_1391
; %bb.1389:
	global_load_b32 v1, v[2:3], off
	s_mov_b32 s16, 0
	s_wait_loadcnt 0x0
	v_cvt_f32_u32_e32 v1, v1
	s_delay_alu instid0(VALU_DEP_1) | instskip(NEXT) | instid1(VALU_DEP_1)
	v_bfe_u32 v7, v1, 16, 1
	v_add3_u32 v1, v1, v7, 0x7fff
	s_delay_alu instid0(VALU_DEP_1)
	v_lshrrev_b32_e32 v7, 16, v1
	s_branch .LBB238_1392
.LBB238_1390:
	s_mov_b32 s16, -1
                                        ; implicit-def: $vgpr7
	s_branch .LBB238_1395
.LBB238_1391:
	s_mov_b32 s16, -1
                                        ; implicit-def: $vgpr7
.LBB238_1392:
	s_delay_alu instid0(SALU_CYCLE_1)
	s_and_not1_b32 vcc_lo, exec_lo, s16
	s_cbranch_vccnz .LBB238_1394
; %bb.1393:
	global_load_u16 v1, v[2:3], off
	s_wait_loadcnt 0x0
	v_cvt_f32_u32_e32 v1, v1
	s_delay_alu instid0(VALU_DEP_1) | instskip(NEXT) | instid1(VALU_DEP_1)
	v_bfe_u32 v7, v1, 16, 1
	v_add3_u32 v1, v1, v7, 0x7fff
	s_delay_alu instid0(VALU_DEP_1)
	v_lshrrev_b32_e32 v7, 16, v1
.LBB238_1394:
	s_mov_b32 s16, 0
.LBB238_1395:
	s_delay_alu instid0(SALU_CYCLE_1)
	s_and_not1_b32 vcc_lo, exec_lo, s16
	s_cbranch_vccnz .LBB238_1403
; %bb.1396:
	global_load_u8 v1, v[2:3], off
	s_mov_b32 s16, 0
	s_mov_b32 s17, exec_lo
	s_wait_loadcnt 0x0
	v_cmpx_lt_i16_e32 0x7f, v1
	s_xor_b32 s17, exec_lo, s17
	s_cbranch_execz .LBB238_1417
; %bb.1397:
	s_mov_b32 s16, -1
	s_mov_b32 s18, exec_lo
	v_cmpx_eq_u16_e32 0x80, v1
; %bb.1398:
	s_xor_b32 s16, exec_lo, -1
; %bb.1399:
	s_or_b32 exec_lo, exec_lo, s18
	s_delay_alu instid0(SALU_CYCLE_1)
	s_and_b32 s16, s16, exec_lo
	s_or_saveexec_b32 s17, s17
	v_mov_b32_e32 v7, 0x7f800001
	s_xor_b32 exec_lo, exec_lo, s17
	s_cbranch_execnz .LBB238_1418
.LBB238_1400:
	s_or_b32 exec_lo, exec_lo, s17
	s_and_saveexec_b32 s17, s16
	s_cbranch_execz .LBB238_1402
.LBB238_1401:
	v_and_b32_e32 v7, 0xffff, v1
	s_delay_alu instid0(VALU_DEP_1) | instskip(SKIP_1) | instid1(VALU_DEP_2)
	v_and_b32_e32 v8, 7, v7
	v_bfe_u32 v11, v7, 3, 4
	v_clz_i32_u32_e32 v9, v8
	s_delay_alu instid0(VALU_DEP_2) | instskip(NEXT) | instid1(VALU_DEP_2)
	v_cmp_eq_u32_e32 vcc_lo, 0, v11
	v_min_u32_e32 v9, 32, v9
	s_delay_alu instid0(VALU_DEP_1) | instskip(NEXT) | instid1(VALU_DEP_1)
	v_subrev_nc_u32_e32 v10, 28, v9
	v_dual_lshlrev_b32 v7, v10, v7 :: v_dual_sub_nc_u32 v9, 29, v9
	s_delay_alu instid0(VALU_DEP_1) | instskip(NEXT) | instid1(VALU_DEP_1)
	v_dual_lshlrev_b32 v1, 24, v1 :: v_dual_bitop2_b32 v7, 7, v7 bitop3:0x40
	v_dual_cndmask_b32 v7, v8, v7, vcc_lo :: v_dual_cndmask_b32 v9, v11, v9, vcc_lo
	s_delay_alu instid0(VALU_DEP_2) | instskip(NEXT) | instid1(VALU_DEP_2)
	v_and_b32_e32 v1, 0x80000000, v1
	v_lshlrev_b32_e32 v7, 20, v7
	s_delay_alu instid0(VALU_DEP_3) | instskip(NEXT) | instid1(VALU_DEP_1)
	v_lshl_add_u32 v8, v9, 23, 0x3b800000
	v_or3_b32 v7, v1, v8, v7
.LBB238_1402:
	s_or_b32 exec_lo, exec_lo, s17
	s_delay_alu instid0(VALU_DEP_1) | instskip(SKIP_1) | instid1(VALU_DEP_2)
	v_bfe_u32 v1, v7, 16, 1
	v_cmp_o_f32_e32 vcc_lo, v7, v7
	v_add3_u32 v1, v7, v1, 0x7fff
	s_delay_alu instid0(VALU_DEP_1) | instskip(NEXT) | instid1(VALU_DEP_1)
	v_lshrrev_b32_e32 v1, 16, v1
	v_cndmask_b32_e32 v7, 0x7fc0, v1, vcc_lo
.LBB238_1403:
	s_mov_b32 s16, -1
.LBB238_1404:
	s_mov_b32 s17, 0
.LBB238_1405:
	s_delay_alu instid0(SALU_CYCLE_1)
	s_and_b32 vcc_lo, exec_lo, s17
	s_cbranch_vccz .LBB238_1438
; %bb.1406:
	s_cmp_gt_i32 s0, 22
	s_cbranch_scc0 .LBB238_1416
; %bb.1407:
	s_cmp_lt_i32 s0, 24
	s_cbranch_scc1 .LBB238_1419
; %bb.1408:
	s_cmp_gt_i32 s0, 24
	s_cbranch_scc0 .LBB238_1420
; %bb.1409:
	global_load_u8 v1, v[2:3], off
	s_mov_b32 s16, exec_lo
	s_wait_loadcnt 0x0
	v_cmpx_lt_i16_e32 0x7f, v1
	s_xor_b32 s16, exec_lo, s16
	s_cbranch_execz .LBB238_1432
; %bb.1410:
	s_mov_b32 s15, -1
	s_mov_b32 s17, exec_lo
	v_cmpx_eq_u16_e32 0x80, v1
; %bb.1411:
	s_xor_b32 s15, exec_lo, -1
; %bb.1412:
	s_or_b32 exec_lo, exec_lo, s17
	s_delay_alu instid0(SALU_CYCLE_1)
	s_and_b32 s15, s15, exec_lo
	s_or_saveexec_b32 s16, s16
	v_mov_b32_e32 v7, 0x7f800001
	s_xor_b32 exec_lo, exec_lo, s16
	s_cbranch_execnz .LBB238_1433
.LBB238_1413:
	s_or_b32 exec_lo, exec_lo, s16
	s_and_saveexec_b32 s16, s15
	s_cbranch_execz .LBB238_1415
.LBB238_1414:
	v_and_b32_e32 v7, 0xffff, v1
	s_delay_alu instid0(VALU_DEP_1) | instskip(SKIP_1) | instid1(VALU_DEP_2)
	v_and_b32_e32 v8, 3, v7
	v_bfe_u32 v11, v7, 2, 5
	v_clz_i32_u32_e32 v9, v8
	s_delay_alu instid0(VALU_DEP_2) | instskip(NEXT) | instid1(VALU_DEP_2)
	v_cmp_eq_u32_e32 vcc_lo, 0, v11
	v_min_u32_e32 v9, 32, v9
	s_delay_alu instid0(VALU_DEP_1) | instskip(NEXT) | instid1(VALU_DEP_1)
	v_subrev_nc_u32_e32 v10, 29, v9
	v_dual_lshlrev_b32 v7, v10, v7 :: v_dual_sub_nc_u32 v9, 30, v9
	s_delay_alu instid0(VALU_DEP_1) | instskip(NEXT) | instid1(VALU_DEP_1)
	v_dual_lshlrev_b32 v1, 24, v1 :: v_dual_bitop2_b32 v7, 3, v7 bitop3:0x40
	v_dual_cndmask_b32 v7, v8, v7, vcc_lo :: v_dual_cndmask_b32 v9, v11, v9, vcc_lo
	s_delay_alu instid0(VALU_DEP_2) | instskip(NEXT) | instid1(VALU_DEP_2)
	v_and_b32_e32 v1, 0x80000000, v1
	v_lshlrev_b32_e32 v7, 21, v7
	s_delay_alu instid0(VALU_DEP_3) | instskip(NEXT) | instid1(VALU_DEP_1)
	v_lshl_add_u32 v8, v9, 23, 0x37800000
	v_or3_b32 v7, v1, v8, v7
.LBB238_1415:
	s_or_b32 exec_lo, exec_lo, s16
	s_delay_alu instid0(VALU_DEP_1) | instskip(SKIP_2) | instid1(VALU_DEP_2)
	v_bfe_u32 v1, v7, 16, 1
	v_cmp_o_f32_e32 vcc_lo, v7, v7
	s_mov_b32 s15, 0
	v_add3_u32 v1, v7, v1, 0x7fff
	s_delay_alu instid0(VALU_DEP_1) | instskip(NEXT) | instid1(VALU_DEP_1)
	v_lshrrev_b32_e32 v1, 16, v1
	v_cndmask_b32_e32 v7, 0x7fc0, v1, vcc_lo
	s_branch .LBB238_1421
.LBB238_1416:
	s_mov_b32 s15, -1
                                        ; implicit-def: $vgpr7
	s_branch .LBB238_1427
.LBB238_1417:
	s_or_saveexec_b32 s17, s17
	v_mov_b32_e32 v7, 0x7f800001
	s_xor_b32 exec_lo, exec_lo, s17
	s_cbranch_execz .LBB238_1400
.LBB238_1418:
	v_cmp_ne_u16_e32 vcc_lo, 0, v1
	v_mov_b32_e32 v7, 0
	s_and_not1_b32 s16, s16, exec_lo
	s_and_b32 s18, vcc_lo, exec_lo
	s_delay_alu instid0(SALU_CYCLE_1)
	s_or_b32 s16, s16, s18
	s_or_b32 exec_lo, exec_lo, s17
	s_and_saveexec_b32 s17, s16
	s_cbranch_execnz .LBB238_1401
	s_branch .LBB238_1402
.LBB238_1419:
	s_mov_b32 s15, -1
                                        ; implicit-def: $vgpr7
	s_branch .LBB238_1424
.LBB238_1420:
	s_mov_b32 s15, -1
                                        ; implicit-def: $vgpr7
.LBB238_1421:
	s_delay_alu instid0(SALU_CYCLE_1)
	s_and_b32 vcc_lo, exec_lo, s15
	s_cbranch_vccz .LBB238_1423
; %bb.1422:
	global_load_u8 v1, v[2:3], off
	s_wait_loadcnt 0x0
	v_lshlrev_b32_e32 v1, 24, v1
	s_delay_alu instid0(VALU_DEP_1) | instskip(NEXT) | instid1(VALU_DEP_1)
	v_and_b32_e32 v7, 0x7f000000, v1
	v_clz_i32_u32_e32 v8, v7
	v_cmp_ne_u32_e32 vcc_lo, 0, v7
	v_add_nc_u32_e32 v10, 0x1000000, v7
	s_delay_alu instid0(VALU_DEP_3) | instskip(NEXT) | instid1(VALU_DEP_1)
	v_min_u32_e32 v8, 32, v8
	v_sub_nc_u32_e64 v8, v8, 4 clamp
	s_delay_alu instid0(VALU_DEP_1) | instskip(NEXT) | instid1(VALU_DEP_1)
	v_dual_lshlrev_b32 v9, v8, v7 :: v_dual_lshlrev_b32 v8, 23, v8
	v_lshrrev_b32_e32 v9, 4, v9
	s_delay_alu instid0(VALU_DEP_1) | instskip(NEXT) | instid1(VALU_DEP_1)
	v_dual_sub_nc_u32 v8, v9, v8 :: v_dual_ashrrev_i32 v9, 8, v10
	v_add_nc_u32_e32 v8, 0x3c000000, v8
	s_delay_alu instid0(VALU_DEP_1) | instskip(NEXT) | instid1(VALU_DEP_1)
	v_and_or_b32 v8, 0x7f800000, v9, v8
	v_cndmask_b32_e32 v7, 0, v8, vcc_lo
	s_delay_alu instid0(VALU_DEP_1) | instskip(SKIP_1) | instid1(VALU_DEP_2)
	v_and_or_b32 v1, 0x80000000, v1, v7
	v_bfe_u32 v7, v7, 16, 1
	v_cmp_o_f32_e32 vcc_lo, v1, v1
	s_delay_alu instid0(VALU_DEP_2) | instskip(NEXT) | instid1(VALU_DEP_1)
	v_add3_u32 v7, v1, v7, 0x7fff
	v_lshrrev_b32_e32 v7, 16, v7
	s_delay_alu instid0(VALU_DEP_1)
	v_cndmask_b32_e32 v7, 0x7fc0, v7, vcc_lo
.LBB238_1423:
	s_mov_b32 s15, 0
.LBB238_1424:
	s_delay_alu instid0(SALU_CYCLE_1)
	s_and_not1_b32 vcc_lo, exec_lo, s15
	s_cbranch_vccnz .LBB238_1426
; %bb.1425:
	global_load_u8 v1, v[2:3], off
	s_wait_loadcnt 0x0
	v_lshlrev_b32_e32 v7, 25, v1
	v_lshlrev_b16 v1, 8, v1
	s_delay_alu instid0(VALU_DEP_1) | instskip(NEXT) | instid1(VALU_DEP_3)
	v_and_or_b32 v9, 0x7f00, v1, 0.5
	v_lshrrev_b32_e32 v8, 4, v7
	v_bfe_i32 v1, v1, 0, 16
	s_delay_alu instid0(VALU_DEP_3) | instskip(NEXT) | instid1(VALU_DEP_3)
	v_add_f32_e32 v9, -0.5, v9
	v_or_b32_e32 v8, 0x70000000, v8
	s_delay_alu instid0(VALU_DEP_1) | instskip(SKIP_1) | instid1(VALU_DEP_2)
	v_mul_f32_e32 v8, 0x7800000, v8
	v_cmp_gt_u32_e32 vcc_lo, 0x8000000, v7
	v_cndmask_b32_e32 v7, v8, v9, vcc_lo
	s_delay_alu instid0(VALU_DEP_1) | instskip(SKIP_1) | instid1(VALU_DEP_2)
	v_and_or_b32 v1, 0x80000000, v1, v7
	v_bfe_u32 v7, v7, 16, 1
	v_cmp_o_f32_e32 vcc_lo, v1, v1
	s_delay_alu instid0(VALU_DEP_2) | instskip(NEXT) | instid1(VALU_DEP_1)
	v_add3_u32 v7, v1, v7, 0x7fff
	v_lshrrev_b32_e32 v7, 16, v7
	s_delay_alu instid0(VALU_DEP_1)
	v_cndmask_b32_e32 v7, 0x7fc0, v7, vcc_lo
.LBB238_1426:
	s_mov_b32 s15, 0
	s_mov_b32 s16, -1
.LBB238_1427:
	s_and_not1_b32 vcc_lo, exec_lo, s15
	s_mov_b32 s15, 0
	s_cbranch_vccnz .LBB238_1438
; %bb.1428:
	s_cmp_gt_i32 s0, 14
	s_cbranch_scc0 .LBB238_1431
; %bb.1429:
	s_cmp_eq_u32 s0, 15
	s_cbranch_scc0 .LBB238_1434
; %bb.1430:
	s_wait_loadcnt 0x0
	global_load_u16 v7, v[2:3], off
	s_mov_b32 s12, 0
	s_mov_b32 s16, -1
	s_branch .LBB238_1436
.LBB238_1431:
	s_mov_b32 s15, -1
	s_branch .LBB238_1435
.LBB238_1432:
	s_or_saveexec_b32 s16, s16
	v_mov_b32_e32 v7, 0x7f800001
	s_xor_b32 exec_lo, exec_lo, s16
	s_cbranch_execz .LBB238_1413
.LBB238_1433:
	v_cmp_ne_u16_e32 vcc_lo, 0, v1
	v_mov_b32_e32 v7, 0
	s_and_not1_b32 s15, s15, exec_lo
	s_and_b32 s17, vcc_lo, exec_lo
	s_delay_alu instid0(SALU_CYCLE_1)
	s_or_b32 s15, s15, s17
	s_or_b32 exec_lo, exec_lo, s16
	s_and_saveexec_b32 s16, s15
	s_cbranch_execnz .LBB238_1414
	s_branch .LBB238_1415
.LBB238_1434:
	s_mov_b32 s12, -1
.LBB238_1435:
                                        ; implicit-def: $vgpr7
.LBB238_1436:
	s_and_b32 vcc_lo, exec_lo, s15
	s_mov_b32 s15, 0
	s_cbranch_vccz .LBB238_1438
; %bb.1437:
	s_cmp_lg_u32 s0, 11
	s_mov_b32 s15, -1
	s_cselect_b32 s12, -1, 0
.LBB238_1438:
	s_delay_alu instid0(SALU_CYCLE_1)
	s_and_b32 vcc_lo, exec_lo, s12
	s_cbranch_vccnz .LBB238_1514
; %bb.1439:
	s_and_not1_b32 vcc_lo, exec_lo, s15
	s_cbranch_vccnz .LBB238_1441
.LBB238_1440:
	global_load_u8 v1, v[2:3], off
	s_mov_b32 s16, -1
	s_wait_loadcnt 0x0
	v_cmp_ne_u16_e32 vcc_lo, 0, v1
	v_cndmask_b32_e64 v1, 0, 1.0, vcc_lo
	s_delay_alu instid0(VALU_DEP_1)
	v_lshrrev_b32_e32 v7, 16, v1
.LBB238_1441:
	s_branch .LBB238_1368
.LBB238_1442:
	s_cmp_lt_i32 s0, 5
	s_cbranch_scc1 .LBB238_1447
; %bb.1443:
	s_cmp_lt_i32 s0, 8
	s_cbranch_scc1 .LBB238_1448
; %bb.1444:
	;; [unrolled: 3-line block ×3, first 2 shown]
	s_cmp_gt_i32 s0, 9
	s_cbranch_scc0 .LBB238_1450
; %bb.1446:
	global_load_b64 v[8:9], v[2:3], off
	s_mov_b32 s12, 0
	s_wait_loadcnt 0x0
	v_cvt_f32_f64_e32 v1, v[8:9]
	s_delay_alu instid0(VALU_DEP_1) | instskip(SKIP_1) | instid1(VALU_DEP_2)
	v_bfe_u32 v7, v1, 16, 1
	v_cmp_o_f32_e32 vcc_lo, v1, v1
	v_add3_u32 v7, v1, v7, 0x7fff
	s_delay_alu instid0(VALU_DEP_1) | instskip(NEXT) | instid1(VALU_DEP_1)
	v_lshrrev_b32_e32 v7, 16, v7
	v_cndmask_b32_e32 v7, 0x7fc0, v7, vcc_lo
	s_branch .LBB238_1451
.LBB238_1447:
	s_mov_b32 s12, -1
                                        ; implicit-def: $vgpr7
	s_branch .LBB238_1469
.LBB238_1448:
	s_mov_b32 s12, -1
                                        ; implicit-def: $vgpr7
	s_branch .LBB238_1457
.LBB238_1449:
	s_mov_b32 s12, -1
                                        ; implicit-def: $vgpr7
	s_branch .LBB238_1454
.LBB238_1450:
	s_mov_b32 s12, -1
                                        ; implicit-def: $vgpr7
.LBB238_1451:
	s_delay_alu instid0(SALU_CYCLE_1)
	s_and_not1_b32 vcc_lo, exec_lo, s12
	s_cbranch_vccnz .LBB238_1453
; %bb.1452:
	global_load_b32 v1, v[2:3], off
	s_wait_loadcnt 0x0
	v_bfe_u32 v7, v1, 16, 1
	v_cmp_o_f32_e32 vcc_lo, v1, v1
	s_delay_alu instid0(VALU_DEP_2) | instskip(NEXT) | instid1(VALU_DEP_1)
	v_add3_u32 v7, v1, v7, 0x7fff
	v_lshrrev_b32_e32 v7, 16, v7
	s_delay_alu instid0(VALU_DEP_1)
	v_cndmask_b32_e32 v7, 0x7fc0, v7, vcc_lo
.LBB238_1453:
	s_mov_b32 s12, 0
.LBB238_1454:
	s_delay_alu instid0(SALU_CYCLE_1)
	s_and_not1_b32 vcc_lo, exec_lo, s12
	s_cbranch_vccnz .LBB238_1456
; %bb.1455:
	global_load_b32 v1, v[2:3], off
	s_wait_loadcnt 0x0
	v_cvt_f32_f16_e32 v7, v1
	v_cmp_o_f16_e32 vcc_lo, v1, v1
	s_delay_alu instid0(VALU_DEP_2) | instskip(NEXT) | instid1(VALU_DEP_1)
	v_bfe_u32 v8, v7, 16, 1
	v_add3_u32 v7, v7, v8, 0x7fff
	s_delay_alu instid0(VALU_DEP_1) | instskip(NEXT) | instid1(VALU_DEP_1)
	v_lshrrev_b32_e32 v7, 16, v7
	v_cndmask_b32_e32 v7, 0x7fc0, v7, vcc_lo
.LBB238_1456:
	s_mov_b32 s12, 0
.LBB238_1457:
	s_delay_alu instid0(SALU_CYCLE_1)
	s_and_not1_b32 vcc_lo, exec_lo, s12
	s_cbranch_vccnz .LBB238_1468
; %bb.1458:
	s_cmp_lt_i32 s0, 6
	s_cbranch_scc1 .LBB238_1461
; %bb.1459:
	s_cmp_gt_i32 s0, 6
	s_cbranch_scc0 .LBB238_1462
; %bb.1460:
	global_load_b64 v[8:9], v[2:3], off
	s_mov_b32 s12, 0
	s_wait_loadcnt 0x0
	v_cvt_f32_f64_e32 v1, v[8:9]
	s_delay_alu instid0(VALU_DEP_1) | instskip(SKIP_1) | instid1(VALU_DEP_2)
	v_bfe_u32 v7, v1, 16, 1
	v_cmp_o_f32_e32 vcc_lo, v1, v1
	v_add3_u32 v7, v1, v7, 0x7fff
	s_delay_alu instid0(VALU_DEP_1) | instskip(NEXT) | instid1(VALU_DEP_1)
	v_lshrrev_b32_e32 v7, 16, v7
	v_cndmask_b32_e32 v7, 0x7fc0, v7, vcc_lo
	s_branch .LBB238_1463
.LBB238_1461:
	s_mov_b32 s12, -1
                                        ; implicit-def: $vgpr7
	s_branch .LBB238_1466
.LBB238_1462:
	s_mov_b32 s12, -1
                                        ; implicit-def: $vgpr7
.LBB238_1463:
	s_delay_alu instid0(SALU_CYCLE_1)
	s_and_not1_b32 vcc_lo, exec_lo, s12
	s_cbranch_vccnz .LBB238_1465
; %bb.1464:
	global_load_b32 v1, v[2:3], off
	s_wait_loadcnt 0x0
	v_bfe_u32 v7, v1, 16, 1
	v_cmp_o_f32_e32 vcc_lo, v1, v1
	s_delay_alu instid0(VALU_DEP_2) | instskip(NEXT) | instid1(VALU_DEP_1)
	v_add3_u32 v7, v1, v7, 0x7fff
	v_lshrrev_b32_e32 v7, 16, v7
	s_delay_alu instid0(VALU_DEP_1)
	v_cndmask_b32_e32 v7, 0x7fc0, v7, vcc_lo
.LBB238_1465:
	s_mov_b32 s12, 0
.LBB238_1466:
	s_delay_alu instid0(SALU_CYCLE_1)
	s_and_not1_b32 vcc_lo, exec_lo, s12
	s_cbranch_vccnz .LBB238_1468
; %bb.1467:
	global_load_u16 v1, v[2:3], off
	s_wait_loadcnt 0x0
	v_cvt_f32_f16_e32 v7, v1
	v_cmp_o_f16_e32 vcc_lo, v1, v1
	s_delay_alu instid0(VALU_DEP_2) | instskip(NEXT) | instid1(VALU_DEP_1)
	v_bfe_u32 v8, v7, 16, 1
	v_add3_u32 v7, v7, v8, 0x7fff
	s_delay_alu instid0(VALU_DEP_1) | instskip(NEXT) | instid1(VALU_DEP_1)
	v_lshrrev_b32_e32 v7, 16, v7
	v_cndmask_b32_e32 v7, 0x7fc0, v7, vcc_lo
.LBB238_1468:
	s_mov_b32 s12, 0
.LBB238_1469:
	s_delay_alu instid0(SALU_CYCLE_1)
	s_and_not1_b32 vcc_lo, exec_lo, s12
	s_cbranch_vccnz .LBB238_1489
; %bb.1470:
	s_cmp_lt_i32 s0, 2
	s_cbranch_scc1 .LBB238_1474
; %bb.1471:
	s_cmp_lt_i32 s0, 3
	s_cbranch_scc1 .LBB238_1475
; %bb.1472:
	s_cmp_gt_i32 s0, 3
	s_cbranch_scc0 .LBB238_1476
; %bb.1473:
	global_load_b64 v[8:9], v[2:3], off
	s_mov_b32 s12, 0
	s_wait_loadcnt 0x0
	v_xor_b32_e32 v1, v8, v9
	v_cls_i32_e32 v7, v9
	s_delay_alu instid0(VALU_DEP_2) | instskip(NEXT) | instid1(VALU_DEP_1)
	v_ashrrev_i32_e32 v1, 31, v1
	v_add_nc_u32_e32 v1, 32, v1
	s_delay_alu instid0(VALU_DEP_1) | instskip(NEXT) | instid1(VALU_DEP_1)
	v_add_min_u32_e64 v1, v7, -1, v1
	v_lshlrev_b64_e32 v[8:9], v1, v[8:9]
	v_sub_nc_u32_e32 v1, 32, v1
	s_delay_alu instid0(VALU_DEP_2) | instskip(NEXT) | instid1(VALU_DEP_1)
	v_min_u32_e32 v7, 1, v8
	v_or_b32_e32 v7, v9, v7
	s_delay_alu instid0(VALU_DEP_1) | instskip(NEXT) | instid1(VALU_DEP_1)
	v_cvt_f32_i32_e32 v7, v7
	v_ldexp_f32 v1, v7, v1
	s_delay_alu instid0(VALU_DEP_1) | instskip(NEXT) | instid1(VALU_DEP_1)
	v_bfe_u32 v7, v1, 16, 1
	v_add3_u32 v1, v1, v7, 0x7fff
	s_delay_alu instid0(VALU_DEP_1)
	v_lshrrev_b32_e32 v7, 16, v1
	s_branch .LBB238_1477
.LBB238_1474:
	s_mov_b32 s12, -1
                                        ; implicit-def: $vgpr7
	s_branch .LBB238_1483
.LBB238_1475:
	s_mov_b32 s12, -1
                                        ; implicit-def: $vgpr7
	s_branch .LBB238_1480
.LBB238_1476:
	s_mov_b32 s12, -1
                                        ; implicit-def: $vgpr7
.LBB238_1477:
	s_delay_alu instid0(SALU_CYCLE_1)
	s_and_not1_b32 vcc_lo, exec_lo, s12
	s_cbranch_vccnz .LBB238_1479
; %bb.1478:
	global_load_b32 v1, v[2:3], off
	s_wait_loadcnt 0x0
	v_cvt_f32_i32_e32 v1, v1
	s_delay_alu instid0(VALU_DEP_1) | instskip(NEXT) | instid1(VALU_DEP_1)
	v_bfe_u32 v7, v1, 16, 1
	v_add3_u32 v1, v1, v7, 0x7fff
	s_delay_alu instid0(VALU_DEP_1)
	v_lshrrev_b32_e32 v7, 16, v1
.LBB238_1479:
	s_mov_b32 s12, 0
.LBB238_1480:
	s_delay_alu instid0(SALU_CYCLE_1)
	s_and_not1_b32 vcc_lo, exec_lo, s12
	s_cbranch_vccnz .LBB238_1482
; %bb.1481:
	global_load_i16 v1, v[2:3], off
	s_wait_loadcnt 0x0
	v_cvt_f32_i32_e32 v1, v1
	s_delay_alu instid0(VALU_DEP_1) | instskip(NEXT) | instid1(VALU_DEP_1)
	v_bfe_u32 v7, v1, 16, 1
	v_add3_u32 v1, v1, v7, 0x7fff
	s_delay_alu instid0(VALU_DEP_1)
	v_lshrrev_b32_e32 v7, 16, v1
.LBB238_1482:
	s_mov_b32 s12, 0
.LBB238_1483:
	s_delay_alu instid0(SALU_CYCLE_1)
	s_and_not1_b32 vcc_lo, exec_lo, s12
	s_cbranch_vccnz .LBB238_1489
; %bb.1484:
	s_cmp_gt_i32 s0, 0
	s_mov_b32 s12, 0
	s_cbranch_scc0 .LBB238_1486
; %bb.1485:
	global_load_i8 v1, v[2:3], off
	s_wait_loadcnt 0x0
	v_cvt_f32_i32_e32 v1, v1
	s_delay_alu instid0(VALU_DEP_1) | instskip(NEXT) | instid1(VALU_DEP_1)
	v_bfe_u32 v7, v1, 16, 1
	v_add3_u32 v1, v1, v7, 0x7fff
	s_delay_alu instid0(VALU_DEP_1)
	v_lshrrev_b32_e32 v7, 16, v1
	s_branch .LBB238_1487
.LBB238_1486:
	s_mov_b32 s12, -1
                                        ; implicit-def: $vgpr7
.LBB238_1487:
	s_delay_alu instid0(SALU_CYCLE_1)
	s_and_not1_b32 vcc_lo, exec_lo, s12
	s_cbranch_vccnz .LBB238_1489
; %bb.1488:
	global_load_u8 v1, v[2:3], off
	s_wait_loadcnt 0x0
	v_cvt_f32_ubyte0_e32 v1, v1
	s_wait_xcnt 0x0
	s_delay_alu instid0(VALU_DEP_1) | instskip(NEXT) | instid1(VALU_DEP_1)
	v_bfe_u32 v2, v1, 16, 1
	v_add3_u32 v1, v1, v2, 0x7fff
	s_delay_alu instid0(VALU_DEP_1)
	v_lshrrev_b32_e32 v7, 16, v1
.LBB238_1489:
.LBB238_1490:
	s_wait_loadcnt 0x0
	s_delay_alu instid0(VALU_DEP_1) | instskip(SKIP_2) | instid1(VALU_DEP_1)
	v_lshlrev_b32_e32 v1, 16, v7
	s_mov_b32 s12, exec_lo
	s_wait_xcnt 0x0
	v_cmpx_o_f32_e32 v1, v1
	s_cbranch_execz .LBB238_1501
; %bb.1491:
	s_cmp_lt_i32 s10, 1
	s_mov_b32 s15, 0
	s_cbranch_scc1 .LBB238_1494
; %bb.1492:
	s_cmp_eq_u32 s10, 1
	s_cbranch_scc0 .LBB238_1495
; %bb.1493:
	v_max_num_f32_e64 v2, s11, s11
	v_max_num_f32_e32 v3, v1, v1
	s_mov_b32 s16, 0
	s_delay_alu instid0(VALU_DEP_1) | instskip(NEXT) | instid1(VALU_DEP_1)
	v_min_num_f32_e32 v2, v3, v2
	v_bfe_u32 v3, v2, 16, 1
	s_delay_alu instid0(VALU_DEP_1) | instskip(NEXT) | instid1(VALU_DEP_1)
	v_add3_u32 v2, v2, v3, 0x7fff
	v_lshrrev_b32_e32 v7, 16, v2
	s_branch .LBB238_1496
.LBB238_1494:
	s_mov_b32 s17, -1
	s_mov_b32 s16, 0
                                        ; implicit-def: $vgpr7
	s_branch .LBB238_1497
.LBB238_1495:
	s_mov_b32 s16, -1
                                        ; implicit-def: $vgpr7
.LBB238_1496:
	s_mov_b32 s17, 0
.LBB238_1497:
	s_delay_alu instid0(SALU_CYCLE_1)
	s_and_b32 vcc_lo, exec_lo, s17
	s_cbranch_vccz .LBB238_1508
; %bb.1498:
	s_cmp_lg_u32 s10, 0
	s_mov_b32 s15, -1
	s_cselect_b32 s16, -1, 0
	v_max_num_f32_e32 v1, v1, v1
	s_and_not1_b32 vcc_lo, exec_lo, s16
	s_cbranch_vccz .LBB238_1509
.LBB238_1499:
	s_and_not1_b32 vcc_lo, exec_lo, s15
	s_cbranch_vccnz .LBB238_1501
.LBB238_1500:
	v_max_num_f32_e64 v2, s11, s11
	s_delay_alu instid0(VALU_DEP_1) | instskip(NEXT) | instid1(VALU_DEP_1)
	v_max_num_f32_e32 v1, v1, v2
	v_bfe_u32 v2, v1, 16, 1
	s_delay_alu instid0(VALU_DEP_1) | instskip(NEXT) | instid1(VALU_DEP_1)
	v_add3_u32 v1, v1, v2, 0x7fff
	v_lshrrev_b32_e32 v7, 16, v1
.LBB238_1501:
	s_or_b32 exec_lo, exec_lo, s12
	v_add_nc_u32_e32 v0, s9, v0
	s_cmp_lt_i32 s0, 11
	s_delay_alu instid0(VALU_DEP_1) | instskip(NEXT) | instid1(VALU_DEP_1)
	v_ashrrev_i32_e32 v1, 31, v0
	v_add_nc_u64_e32 v[0:1], s[6:7], v[0:1]
	s_cbranch_scc1 .LBB238_1510
; %bb.1502:
	s_cmp_gt_i32 s0, 25
	s_mov_b32 s7, 0
	s_cbranch_scc0 .LBB238_1511
; %bb.1503:
	s_cmp_gt_i32 s0, 28
	s_cbranch_scc0 .LBB238_1512
; %bb.1504:
	s_cmp_gt_i32 s0, 43
	;; [unrolled: 3-line block ×3, first 2 shown]
	s_cbranch_scc0 .LBB238_1515
; %bb.1506:
	s_cmp_eq_u32 s0, 46
	s_mov_b32 s12, 0
	s_cbranch_scc0 .LBB238_1516
; %bb.1507:
	global_load_b32 v8, v[0:1], off
	s_mov_b32 s6, 0
	s_mov_b32 s9, -1
	s_branch .LBB238_1518
.LBB238_1508:
	v_max_num_f32_e32 v1, v1, v1
	s_and_not1_b32 vcc_lo, exec_lo, s16
	s_cbranch_vccnz .LBB238_1499
.LBB238_1509:
	v_max_num_f32_e64 v2, s11, s11
	v_max_num_f32_e64 v3, s2, s2
	s_delay_alu instid0(VALU_DEP_1) | instskip(NEXT) | instid1(VALU_DEP_1)
	v_maxmin_num_f32 v2, v1, v2, v3
	v_bfe_u32 v3, v2, 16, 1
	s_delay_alu instid0(VALU_DEP_1) | instskip(NEXT) | instid1(VALU_DEP_1)
	v_add3_u32 v2, v2, v3, 0x7fff
	v_lshrrev_b32_e32 v7, 16, v2
	s_cbranch_execz .LBB238_1500
	s_branch .LBB238_1501
.LBB238_1510:
	s_mov_b32 s6, -1
	s_mov_b32 s9, 0
                                        ; implicit-def: $vgpr8
	s_branch .LBB238_1584
.LBB238_1511:
	s_mov_b32 s12, -1
	s_mov_b32 s9, 0
	s_mov_b32 s6, 0
                                        ; implicit-def: $vgpr8
	s_branch .LBB238_1547
.LBB238_1512:
	s_mov_b32 s12, -1
	s_mov_b32 s9, 0
	s_mov_b32 s6, 0
                                        ; implicit-def: $vgpr8
	s_branch .LBB238_1528
.LBB238_1513:
	s_mov_b32 s12, -1
	s_mov_b32 s9, 0
	s_mov_b32 s6, 0
                                        ; implicit-def: $vgpr8
	s_branch .LBB238_1523
.LBB238_1514:
	s_or_b32 s1, s1, exec_lo
	s_trap 2
	s_cbranch_execz .LBB238_1440
	s_branch .LBB238_1441
.LBB238_1515:
	s_mov_b32 s12, -1
	s_mov_b32 s9, 0
	s_mov_b32 s6, 0
	s_branch .LBB238_1517
.LBB238_1516:
	s_mov_b32 s6, -1
	s_mov_b32 s9, 0
.LBB238_1517:
                                        ; implicit-def: $vgpr8
.LBB238_1518:
	s_and_b32 vcc_lo, exec_lo, s12
	s_cbranch_vccz .LBB238_1522
; %bb.1519:
	s_cmp_eq_u32 s0, 44
	s_cbranch_scc0 .LBB238_1521
; %bb.1520:
	global_load_u8 v2, v[0:1], off
	s_mov_b32 s6, 0
	s_mov_b32 s9, -1
	s_wait_loadcnt 0x0
	v_lshlrev_b32_e32 v3, 23, v2
	v_cmp_ne_u32_e32 vcc_lo, 0xff, v2
	s_delay_alu instid0(VALU_DEP_2) | instskip(SKIP_1) | instid1(VALU_DEP_2)
	v_cndmask_b32_e32 v3, 0x7f800001, v3, vcc_lo
	v_cmp_ne_u32_e32 vcc_lo, 0, v2
	v_cndmask_b32_e32 v2, 0x400000, v3, vcc_lo
	s_delay_alu instid0(VALU_DEP_1) | instskip(NEXT) | instid1(VALU_DEP_1)
	v_add_nc_u32_e32 v3, 0x7fff, v2
	v_lshrrev_b32_e32 v3, 16, v3
	v_cmp_o_f32_e32 vcc_lo, v2, v2
	s_delay_alu instid0(VALU_DEP_2)
	v_cndmask_b32_e32 v8, 0x7fc0, v3, vcc_lo
	s_branch .LBB238_1522
.LBB238_1521:
	s_mov_b32 s6, -1
                                        ; implicit-def: $vgpr8
.LBB238_1522:
	s_mov_b32 s12, 0
.LBB238_1523:
	s_delay_alu instid0(SALU_CYCLE_1)
	s_and_b32 vcc_lo, exec_lo, s12
	s_cbranch_vccz .LBB238_1527
; %bb.1524:
	s_cmp_eq_u32 s0, 29
	s_cbranch_scc0 .LBB238_1526
; %bb.1525:
	global_load_b64 v[2:3], v[0:1], off
	s_mov_b32 s6, 0
	s_mov_b32 s9, -1
	s_mov_b32 s12, 0
	s_wait_loadcnt 0x0
	v_clz_i32_u32_e32 v8, v3
	s_delay_alu instid0(VALU_DEP_1) | instskip(NEXT) | instid1(VALU_DEP_1)
	v_min_u32_e32 v8, 32, v8
	v_lshlrev_b64_e32 v[2:3], v8, v[2:3]
	s_delay_alu instid0(VALU_DEP_1) | instskip(NEXT) | instid1(VALU_DEP_1)
	v_min_u32_e32 v2, 1, v2
	v_dual_sub_nc_u32 v3, 32, v8 :: v_dual_bitop2_b32 v2, v3, v2 bitop3:0x54
	s_delay_alu instid0(VALU_DEP_1) | instskip(NEXT) | instid1(VALU_DEP_1)
	v_cvt_f32_u32_e32 v2, v2
	v_ldexp_f32 v2, v2, v3
	s_delay_alu instid0(VALU_DEP_1) | instskip(NEXT) | instid1(VALU_DEP_1)
	v_bfe_u32 v3, v2, 16, 1
	v_add3_u32 v2, v2, v3, 0x7fff
	s_delay_alu instid0(VALU_DEP_1)
	v_lshrrev_b32_e32 v8, 16, v2
	s_branch .LBB238_1528
.LBB238_1526:
	s_mov_b32 s6, -1
                                        ; implicit-def: $vgpr8
.LBB238_1527:
	s_mov_b32 s12, 0
.LBB238_1528:
	s_delay_alu instid0(SALU_CYCLE_1)
	s_and_b32 vcc_lo, exec_lo, s12
	s_cbranch_vccz .LBB238_1546
; %bb.1529:
	s_cmp_lt_i32 s0, 27
	s_cbranch_scc1 .LBB238_1532
; %bb.1530:
	s_cmp_gt_i32 s0, 27
	s_cbranch_scc0 .LBB238_1533
; %bb.1531:
	global_load_b32 v2, v[0:1], off
	s_mov_b32 s9, 0
	s_wait_loadcnt 0x0
	v_cvt_f32_u32_e32 v2, v2
	s_delay_alu instid0(VALU_DEP_1) | instskip(NEXT) | instid1(VALU_DEP_1)
	v_bfe_u32 v3, v2, 16, 1
	v_add3_u32 v2, v2, v3, 0x7fff
	s_delay_alu instid0(VALU_DEP_1)
	v_lshrrev_b32_e32 v8, 16, v2
	s_branch .LBB238_1534
.LBB238_1532:
	s_mov_b32 s9, -1
                                        ; implicit-def: $vgpr8
	s_branch .LBB238_1537
.LBB238_1533:
	s_mov_b32 s9, -1
                                        ; implicit-def: $vgpr8
.LBB238_1534:
	s_delay_alu instid0(SALU_CYCLE_1)
	s_and_not1_b32 vcc_lo, exec_lo, s9
	s_cbranch_vccnz .LBB238_1536
; %bb.1535:
	global_load_u16 v2, v[0:1], off
	s_wait_loadcnt 0x0
	v_cvt_f32_u32_e32 v2, v2
	s_delay_alu instid0(VALU_DEP_1) | instskip(NEXT) | instid1(VALU_DEP_1)
	v_bfe_u32 v3, v2, 16, 1
	v_add3_u32 v2, v2, v3, 0x7fff
	s_delay_alu instid0(VALU_DEP_1)
	v_lshrrev_b32_e32 v8, 16, v2
.LBB238_1536:
	s_mov_b32 s9, 0
.LBB238_1537:
	s_delay_alu instid0(SALU_CYCLE_1)
	s_and_not1_b32 vcc_lo, exec_lo, s9
	s_cbranch_vccnz .LBB238_1545
; %bb.1538:
	global_load_u8 v2, v[0:1], off
	s_mov_b32 s9, 0
	s_mov_b32 s12, exec_lo
	s_wait_loadcnt 0x0
	v_cmpx_lt_i16_e32 0x7f, v2
	s_xor_b32 s12, exec_lo, s12
	s_cbranch_execz .LBB238_1559
; %bb.1539:
	s_mov_b32 s9, -1
	s_mov_b32 s15, exec_lo
	v_cmpx_eq_u16_e32 0x80, v2
; %bb.1540:
	s_xor_b32 s9, exec_lo, -1
; %bb.1541:
	s_or_b32 exec_lo, exec_lo, s15
	s_delay_alu instid0(SALU_CYCLE_1)
	s_and_b32 s9, s9, exec_lo
	s_or_saveexec_b32 s12, s12
	v_mov_b32_e32 v3, 0x7f800001
	s_xor_b32 exec_lo, exec_lo, s12
	s_cbranch_execnz .LBB238_1560
.LBB238_1542:
	s_or_b32 exec_lo, exec_lo, s12
	s_and_saveexec_b32 s12, s9
	s_cbranch_execz .LBB238_1544
.LBB238_1543:
	v_and_b32_e32 v3, 0xffff, v2
	s_delay_alu instid0(VALU_DEP_1) | instskip(SKIP_1) | instid1(VALU_DEP_2)
	v_and_b32_e32 v8, 7, v3
	v_bfe_u32 v11, v3, 3, 4
	v_clz_i32_u32_e32 v9, v8
	s_delay_alu instid0(VALU_DEP_2) | instskip(NEXT) | instid1(VALU_DEP_2)
	v_cmp_eq_u32_e32 vcc_lo, 0, v11
	v_min_u32_e32 v9, 32, v9
	s_delay_alu instid0(VALU_DEP_1) | instskip(NEXT) | instid1(VALU_DEP_1)
	v_subrev_nc_u32_e32 v10, 28, v9
	v_dual_lshlrev_b32 v3, v10, v3 :: v_dual_sub_nc_u32 v9, 29, v9
	s_delay_alu instid0(VALU_DEP_1) | instskip(NEXT) | instid1(VALU_DEP_1)
	v_dual_lshlrev_b32 v2, 24, v2 :: v_dual_bitop2_b32 v3, 7, v3 bitop3:0x40
	v_dual_cndmask_b32 v9, v11, v9, vcc_lo :: v_dual_cndmask_b32 v3, v8, v3, vcc_lo
	s_delay_alu instid0(VALU_DEP_2) | instskip(NEXT) | instid1(VALU_DEP_2)
	v_and_b32_e32 v2, 0x80000000, v2
	v_lshl_add_u32 v8, v9, 23, 0x3b800000
	s_delay_alu instid0(VALU_DEP_3) | instskip(NEXT) | instid1(VALU_DEP_1)
	v_lshlrev_b32_e32 v3, 20, v3
	v_or3_b32 v3, v2, v8, v3
.LBB238_1544:
	s_or_b32 exec_lo, exec_lo, s12
	s_delay_alu instid0(VALU_DEP_1) | instskip(SKIP_1) | instid1(VALU_DEP_2)
	v_bfe_u32 v2, v3, 16, 1
	v_cmp_o_f32_e32 vcc_lo, v3, v3
	v_add3_u32 v2, v3, v2, 0x7fff
	s_delay_alu instid0(VALU_DEP_1) | instskip(NEXT) | instid1(VALU_DEP_1)
	v_lshrrev_b32_e32 v2, 16, v2
	v_cndmask_b32_e32 v8, 0x7fc0, v2, vcc_lo
.LBB238_1545:
	s_mov_b32 s9, -1
.LBB238_1546:
	s_mov_b32 s12, 0
.LBB238_1547:
	s_delay_alu instid0(SALU_CYCLE_1)
	s_and_b32 vcc_lo, exec_lo, s12
	s_cbranch_vccz .LBB238_1580
; %bb.1548:
	s_cmp_gt_i32 s0, 22
	s_cbranch_scc0 .LBB238_1558
; %bb.1549:
	s_cmp_lt_i32 s0, 24
	s_cbranch_scc1 .LBB238_1561
; %bb.1550:
	s_cmp_gt_i32 s0, 24
	s_cbranch_scc0 .LBB238_1562
; %bb.1551:
	global_load_u8 v2, v[0:1], off
	s_mov_b32 s9, exec_lo
	s_wait_loadcnt 0x0
	v_cmpx_lt_i16_e32 0x7f, v2
	s_xor_b32 s9, exec_lo, s9
	s_cbranch_execz .LBB238_1574
; %bb.1552:
	s_mov_b32 s7, -1
	s_mov_b32 s12, exec_lo
	v_cmpx_eq_u16_e32 0x80, v2
; %bb.1553:
	s_xor_b32 s7, exec_lo, -1
; %bb.1554:
	s_or_b32 exec_lo, exec_lo, s12
	s_delay_alu instid0(SALU_CYCLE_1)
	s_and_b32 s7, s7, exec_lo
	s_or_saveexec_b32 s9, s9
	v_mov_b32_e32 v3, 0x7f800001
	s_xor_b32 exec_lo, exec_lo, s9
	s_cbranch_execnz .LBB238_1575
.LBB238_1555:
	s_or_b32 exec_lo, exec_lo, s9
	s_and_saveexec_b32 s9, s7
	s_cbranch_execz .LBB238_1557
.LBB238_1556:
	v_and_b32_e32 v3, 0xffff, v2
	s_delay_alu instid0(VALU_DEP_1) | instskip(SKIP_1) | instid1(VALU_DEP_2)
	v_and_b32_e32 v8, 3, v3
	v_bfe_u32 v11, v3, 2, 5
	v_clz_i32_u32_e32 v9, v8
	s_delay_alu instid0(VALU_DEP_2) | instskip(NEXT) | instid1(VALU_DEP_2)
	v_cmp_eq_u32_e32 vcc_lo, 0, v11
	v_min_u32_e32 v9, 32, v9
	s_delay_alu instid0(VALU_DEP_1) | instskip(NEXT) | instid1(VALU_DEP_1)
	v_subrev_nc_u32_e32 v10, 29, v9
	v_dual_lshlrev_b32 v3, v10, v3 :: v_dual_sub_nc_u32 v9, 30, v9
	s_delay_alu instid0(VALU_DEP_1) | instskip(NEXT) | instid1(VALU_DEP_1)
	v_dual_lshlrev_b32 v2, 24, v2 :: v_dual_bitop2_b32 v3, 3, v3 bitop3:0x40
	v_dual_cndmask_b32 v9, v11, v9, vcc_lo :: v_dual_cndmask_b32 v3, v8, v3, vcc_lo
	s_delay_alu instid0(VALU_DEP_2) | instskip(NEXT) | instid1(VALU_DEP_2)
	v_and_b32_e32 v2, 0x80000000, v2
	v_lshl_add_u32 v8, v9, 23, 0x37800000
	s_delay_alu instid0(VALU_DEP_3) | instskip(NEXT) | instid1(VALU_DEP_1)
	v_lshlrev_b32_e32 v3, 21, v3
	v_or3_b32 v3, v2, v8, v3
.LBB238_1557:
	s_or_b32 exec_lo, exec_lo, s9
	s_delay_alu instid0(VALU_DEP_1) | instskip(SKIP_2) | instid1(VALU_DEP_2)
	v_bfe_u32 v2, v3, 16, 1
	v_cmp_o_f32_e32 vcc_lo, v3, v3
	s_mov_b32 s7, 0
	v_add3_u32 v2, v3, v2, 0x7fff
	s_delay_alu instid0(VALU_DEP_1) | instskip(NEXT) | instid1(VALU_DEP_1)
	v_lshrrev_b32_e32 v2, 16, v2
	v_cndmask_b32_e32 v8, 0x7fc0, v2, vcc_lo
	s_branch .LBB238_1563
.LBB238_1558:
	s_mov_b32 s7, -1
                                        ; implicit-def: $vgpr8
	s_branch .LBB238_1569
.LBB238_1559:
	s_or_saveexec_b32 s12, s12
	v_mov_b32_e32 v3, 0x7f800001
	s_xor_b32 exec_lo, exec_lo, s12
	s_cbranch_execz .LBB238_1542
.LBB238_1560:
	v_cmp_ne_u16_e32 vcc_lo, 0, v2
	v_mov_b32_e32 v3, 0
	s_and_not1_b32 s9, s9, exec_lo
	s_and_b32 s15, vcc_lo, exec_lo
	s_delay_alu instid0(SALU_CYCLE_1)
	s_or_b32 s9, s9, s15
	s_or_b32 exec_lo, exec_lo, s12
	s_and_saveexec_b32 s12, s9
	s_cbranch_execnz .LBB238_1543
	s_branch .LBB238_1544
.LBB238_1561:
	s_mov_b32 s7, -1
                                        ; implicit-def: $vgpr8
	s_branch .LBB238_1566
.LBB238_1562:
	s_mov_b32 s7, -1
                                        ; implicit-def: $vgpr8
.LBB238_1563:
	s_delay_alu instid0(SALU_CYCLE_1)
	s_and_b32 vcc_lo, exec_lo, s7
	s_cbranch_vccz .LBB238_1565
; %bb.1564:
	global_load_u8 v2, v[0:1], off
	s_wait_loadcnt 0x0
	v_lshlrev_b32_e32 v2, 24, v2
	s_delay_alu instid0(VALU_DEP_1) | instskip(NEXT) | instid1(VALU_DEP_1)
	v_and_b32_e32 v3, 0x7f000000, v2
	v_clz_i32_u32_e32 v8, v3
	v_cmp_ne_u32_e32 vcc_lo, 0, v3
	v_add_nc_u32_e32 v10, 0x1000000, v3
	s_delay_alu instid0(VALU_DEP_3) | instskip(NEXT) | instid1(VALU_DEP_1)
	v_min_u32_e32 v8, 32, v8
	v_sub_nc_u32_e64 v8, v8, 4 clamp
	s_delay_alu instid0(VALU_DEP_1) | instskip(NEXT) | instid1(VALU_DEP_1)
	v_dual_lshlrev_b32 v9, v8, v3 :: v_dual_lshlrev_b32 v8, 23, v8
	v_lshrrev_b32_e32 v9, 4, v9
	s_delay_alu instid0(VALU_DEP_1) | instskip(NEXT) | instid1(VALU_DEP_1)
	v_dual_sub_nc_u32 v8, v9, v8 :: v_dual_ashrrev_i32 v9, 8, v10
	v_add_nc_u32_e32 v8, 0x3c000000, v8
	s_delay_alu instid0(VALU_DEP_1) | instskip(NEXT) | instid1(VALU_DEP_1)
	v_and_or_b32 v8, 0x7f800000, v9, v8
	v_cndmask_b32_e32 v3, 0, v8, vcc_lo
	s_delay_alu instid0(VALU_DEP_1) | instskip(SKIP_1) | instid1(VALU_DEP_2)
	v_and_or_b32 v2, 0x80000000, v2, v3
	v_bfe_u32 v3, v3, 16, 1
	v_cmp_o_f32_e32 vcc_lo, v2, v2
	s_delay_alu instid0(VALU_DEP_2) | instskip(NEXT) | instid1(VALU_DEP_1)
	v_add3_u32 v3, v2, v3, 0x7fff
	v_lshrrev_b32_e32 v3, 16, v3
	s_delay_alu instid0(VALU_DEP_1)
	v_cndmask_b32_e32 v8, 0x7fc0, v3, vcc_lo
.LBB238_1565:
	s_mov_b32 s7, 0
.LBB238_1566:
	s_delay_alu instid0(SALU_CYCLE_1)
	s_and_not1_b32 vcc_lo, exec_lo, s7
	s_cbranch_vccnz .LBB238_1568
; %bb.1567:
	global_load_u8 v2, v[0:1], off
	s_wait_loadcnt 0x0
	v_lshlrev_b32_e32 v3, 25, v2
	v_lshlrev_b16 v2, 8, v2
	s_delay_alu instid0(VALU_DEP_1) | instskip(SKIP_1) | instid1(VALU_DEP_2)
	v_and_or_b32 v9, 0x7f00, v2, 0.5
	v_bfe_i32 v2, v2, 0, 16
	v_dual_add_f32 v9, -0.5, v9 :: v_dual_lshrrev_b32 v8, 4, v3
	v_cmp_gt_u32_e32 vcc_lo, 0x8000000, v3
	s_delay_alu instid0(VALU_DEP_2) | instskip(NEXT) | instid1(VALU_DEP_1)
	v_or_b32_e32 v8, 0x70000000, v8
	v_mul_f32_e32 v8, 0x7800000, v8
	s_delay_alu instid0(VALU_DEP_1) | instskip(NEXT) | instid1(VALU_DEP_1)
	v_cndmask_b32_e32 v3, v8, v9, vcc_lo
	v_and_or_b32 v2, 0x80000000, v2, v3
	v_bfe_u32 v3, v3, 16, 1
	s_delay_alu instid0(VALU_DEP_2) | instskip(NEXT) | instid1(VALU_DEP_2)
	v_cmp_o_f32_e32 vcc_lo, v2, v2
	v_add3_u32 v3, v2, v3, 0x7fff
	s_delay_alu instid0(VALU_DEP_1) | instskip(NEXT) | instid1(VALU_DEP_1)
	v_lshrrev_b32_e32 v3, 16, v3
	v_cndmask_b32_e32 v8, 0x7fc0, v3, vcc_lo
.LBB238_1568:
	s_mov_b32 s7, 0
	s_mov_b32 s9, -1
.LBB238_1569:
	s_and_not1_b32 vcc_lo, exec_lo, s7
	s_mov_b32 s7, 0
	s_cbranch_vccnz .LBB238_1580
; %bb.1570:
	s_cmp_gt_i32 s0, 14
	s_cbranch_scc0 .LBB238_1573
; %bb.1571:
	s_cmp_eq_u32 s0, 15
	s_cbranch_scc0 .LBB238_1576
; %bb.1572:
	s_wait_loadcnt 0x0
	global_load_u16 v8, v[0:1], off
	s_mov_b32 s6, 0
	s_mov_b32 s9, -1
	s_branch .LBB238_1578
.LBB238_1573:
	s_mov_b32 s7, -1
	s_branch .LBB238_1577
.LBB238_1574:
	s_or_saveexec_b32 s9, s9
	v_mov_b32_e32 v3, 0x7f800001
	s_xor_b32 exec_lo, exec_lo, s9
	s_cbranch_execz .LBB238_1555
.LBB238_1575:
	v_cmp_ne_u16_e32 vcc_lo, 0, v2
	v_mov_b32_e32 v3, 0
	s_and_not1_b32 s7, s7, exec_lo
	s_and_b32 s12, vcc_lo, exec_lo
	s_delay_alu instid0(SALU_CYCLE_1)
	s_or_b32 s7, s7, s12
	s_or_b32 exec_lo, exec_lo, s9
	s_and_saveexec_b32 s9, s7
	s_cbranch_execnz .LBB238_1556
	s_branch .LBB238_1557
.LBB238_1576:
	s_mov_b32 s6, -1
.LBB238_1577:
                                        ; implicit-def: $vgpr8
.LBB238_1578:
	s_and_b32 vcc_lo, exec_lo, s7
	s_mov_b32 s7, 0
	s_cbranch_vccz .LBB238_1580
; %bb.1579:
	s_cmp_lg_u32 s0, 11
	s_mov_b32 s7, -1
	s_cselect_b32 s6, -1, 0
.LBB238_1580:
	s_delay_alu instid0(SALU_CYCLE_1)
	s_and_b32 vcc_lo, exec_lo, s6
	s_cbranch_vccnz .LBB238_2127
; %bb.1581:
	s_and_not1_b32 vcc_lo, exec_lo, s7
	s_cbranch_vccnz .LBB238_1583
.LBB238_1582:
	global_load_u8 v2, v[0:1], off
	s_mov_b32 s9, -1
	s_wait_loadcnt 0x0
	v_cmp_ne_u16_e32 vcc_lo, 0, v2
	v_cndmask_b32_e64 v2, 0, 1.0, vcc_lo
	s_delay_alu instid0(VALU_DEP_1)
	v_lshrrev_b32_e32 v8, 16, v2
.LBB238_1583:
	s_mov_b32 s6, 0
.LBB238_1584:
	s_delay_alu instid0(SALU_CYCLE_1)
	s_and_b32 vcc_lo, exec_lo, s6
	s_cbranch_vccz .LBB238_1633
; %bb.1585:
	s_cmp_lt_i32 s0, 5
	s_cbranch_scc1 .LBB238_1590
; %bb.1586:
	s_cmp_lt_i32 s0, 8
	s_cbranch_scc1 .LBB238_1591
	;; [unrolled: 3-line block ×3, first 2 shown]
; %bb.1588:
	s_cmp_gt_i32 s0, 9
	s_cbranch_scc0 .LBB238_1593
; %bb.1589:
	global_load_b64 v[2:3], v[0:1], off
	s_mov_b32 s6, 0
	s_wait_loadcnt 0x0
	v_cvt_f32_f64_e32 v2, v[2:3]
	s_delay_alu instid0(VALU_DEP_1) | instskip(SKIP_1) | instid1(VALU_DEP_2)
	v_bfe_u32 v3, v2, 16, 1
	v_cmp_o_f32_e32 vcc_lo, v2, v2
	v_add3_u32 v3, v2, v3, 0x7fff
	s_delay_alu instid0(VALU_DEP_1) | instskip(NEXT) | instid1(VALU_DEP_1)
	v_lshrrev_b32_e32 v3, 16, v3
	v_cndmask_b32_e32 v8, 0x7fc0, v3, vcc_lo
	s_branch .LBB238_1594
.LBB238_1590:
	s_mov_b32 s6, -1
                                        ; implicit-def: $vgpr8
	s_branch .LBB238_1612
.LBB238_1591:
	s_mov_b32 s6, -1
                                        ; implicit-def: $vgpr8
	s_branch .LBB238_1600
.LBB238_1592:
	s_mov_b32 s6, -1
                                        ; implicit-def: $vgpr8
	s_branch .LBB238_1597
.LBB238_1593:
	s_mov_b32 s6, -1
                                        ; implicit-def: $vgpr8
.LBB238_1594:
	s_delay_alu instid0(SALU_CYCLE_1)
	s_and_not1_b32 vcc_lo, exec_lo, s6
	s_cbranch_vccnz .LBB238_1596
; %bb.1595:
	global_load_b32 v2, v[0:1], off
	s_wait_loadcnt 0x0
	v_bfe_u32 v3, v2, 16, 1
	v_cmp_o_f32_e32 vcc_lo, v2, v2
	s_delay_alu instid0(VALU_DEP_2) | instskip(NEXT) | instid1(VALU_DEP_1)
	v_add3_u32 v3, v2, v3, 0x7fff
	v_lshrrev_b32_e32 v3, 16, v3
	s_delay_alu instid0(VALU_DEP_1)
	v_cndmask_b32_e32 v8, 0x7fc0, v3, vcc_lo
.LBB238_1596:
	s_mov_b32 s6, 0
.LBB238_1597:
	s_delay_alu instid0(SALU_CYCLE_1)
	s_and_not1_b32 vcc_lo, exec_lo, s6
	s_cbranch_vccnz .LBB238_1599
; %bb.1598:
	global_load_b32 v2, v[0:1], off
	s_wait_loadcnt 0x0
	v_cvt_f32_f16_e32 v3, v2
	v_cmp_o_f16_e32 vcc_lo, v2, v2
	s_delay_alu instid0(VALU_DEP_2) | instskip(NEXT) | instid1(VALU_DEP_1)
	v_bfe_u32 v8, v3, 16, 1
	v_add3_u32 v3, v3, v8, 0x7fff
	s_delay_alu instid0(VALU_DEP_1) | instskip(NEXT) | instid1(VALU_DEP_1)
	v_lshrrev_b32_e32 v3, 16, v3
	v_cndmask_b32_e32 v8, 0x7fc0, v3, vcc_lo
.LBB238_1599:
	s_mov_b32 s6, 0
.LBB238_1600:
	s_delay_alu instid0(SALU_CYCLE_1)
	s_and_not1_b32 vcc_lo, exec_lo, s6
	s_cbranch_vccnz .LBB238_1611
; %bb.1601:
	s_cmp_lt_i32 s0, 6
	s_cbranch_scc1 .LBB238_1604
; %bb.1602:
	s_cmp_gt_i32 s0, 6
	s_cbranch_scc0 .LBB238_1605
; %bb.1603:
	global_load_b64 v[2:3], v[0:1], off
	s_mov_b32 s6, 0
	s_wait_loadcnt 0x0
	v_cvt_f32_f64_e32 v2, v[2:3]
	s_delay_alu instid0(VALU_DEP_1) | instskip(SKIP_1) | instid1(VALU_DEP_2)
	v_bfe_u32 v3, v2, 16, 1
	v_cmp_o_f32_e32 vcc_lo, v2, v2
	v_add3_u32 v3, v2, v3, 0x7fff
	s_delay_alu instid0(VALU_DEP_1) | instskip(NEXT) | instid1(VALU_DEP_1)
	v_lshrrev_b32_e32 v3, 16, v3
	v_cndmask_b32_e32 v8, 0x7fc0, v3, vcc_lo
	s_branch .LBB238_1606
.LBB238_1604:
	s_mov_b32 s6, -1
                                        ; implicit-def: $vgpr8
	s_branch .LBB238_1609
.LBB238_1605:
	s_mov_b32 s6, -1
                                        ; implicit-def: $vgpr8
.LBB238_1606:
	s_delay_alu instid0(SALU_CYCLE_1)
	s_and_not1_b32 vcc_lo, exec_lo, s6
	s_cbranch_vccnz .LBB238_1608
; %bb.1607:
	global_load_b32 v2, v[0:1], off
	s_wait_loadcnt 0x0
	v_bfe_u32 v3, v2, 16, 1
	v_cmp_o_f32_e32 vcc_lo, v2, v2
	s_delay_alu instid0(VALU_DEP_2) | instskip(NEXT) | instid1(VALU_DEP_1)
	v_add3_u32 v3, v2, v3, 0x7fff
	v_lshrrev_b32_e32 v3, 16, v3
	s_delay_alu instid0(VALU_DEP_1)
	v_cndmask_b32_e32 v8, 0x7fc0, v3, vcc_lo
.LBB238_1608:
	s_mov_b32 s6, 0
.LBB238_1609:
	s_delay_alu instid0(SALU_CYCLE_1)
	s_and_not1_b32 vcc_lo, exec_lo, s6
	s_cbranch_vccnz .LBB238_1611
; %bb.1610:
	global_load_u16 v2, v[0:1], off
	s_wait_loadcnt 0x0
	v_cvt_f32_f16_e32 v3, v2
	v_cmp_o_f16_e32 vcc_lo, v2, v2
	s_delay_alu instid0(VALU_DEP_2) | instskip(NEXT) | instid1(VALU_DEP_1)
	v_bfe_u32 v8, v3, 16, 1
	v_add3_u32 v3, v3, v8, 0x7fff
	s_delay_alu instid0(VALU_DEP_1) | instskip(NEXT) | instid1(VALU_DEP_1)
	v_lshrrev_b32_e32 v3, 16, v3
	v_cndmask_b32_e32 v8, 0x7fc0, v3, vcc_lo
.LBB238_1611:
	s_mov_b32 s6, 0
.LBB238_1612:
	s_delay_alu instid0(SALU_CYCLE_1)
	s_and_not1_b32 vcc_lo, exec_lo, s6
	s_cbranch_vccnz .LBB238_1632
; %bb.1613:
	s_cmp_lt_i32 s0, 2
	s_cbranch_scc1 .LBB238_1617
; %bb.1614:
	s_cmp_lt_i32 s0, 3
	s_cbranch_scc1 .LBB238_1618
; %bb.1615:
	s_cmp_gt_i32 s0, 3
	s_cbranch_scc0 .LBB238_1619
; %bb.1616:
	global_load_b64 v[2:3], v[0:1], off
	s_mov_b32 s6, 0
	s_wait_loadcnt 0x0
	v_xor_b32_e32 v8, v2, v3
	v_cls_i32_e32 v9, v3
	s_delay_alu instid0(VALU_DEP_2) | instskip(NEXT) | instid1(VALU_DEP_1)
	v_ashrrev_i32_e32 v8, 31, v8
	v_add_nc_u32_e32 v8, 32, v8
	s_delay_alu instid0(VALU_DEP_1) | instskip(NEXT) | instid1(VALU_DEP_1)
	v_add_min_u32_e64 v8, v9, -1, v8
	v_lshlrev_b64_e32 v[2:3], v8, v[2:3]
	s_delay_alu instid0(VALU_DEP_1) | instskip(NEXT) | instid1(VALU_DEP_1)
	v_min_u32_e32 v2, 1, v2
	v_dual_sub_nc_u32 v3, 32, v8 :: v_dual_bitop2_b32 v2, v3, v2 bitop3:0x54
	s_delay_alu instid0(VALU_DEP_1) | instskip(NEXT) | instid1(VALU_DEP_1)
	v_cvt_f32_i32_e32 v2, v2
	v_ldexp_f32 v2, v2, v3
	s_delay_alu instid0(VALU_DEP_1) | instskip(NEXT) | instid1(VALU_DEP_1)
	v_bfe_u32 v3, v2, 16, 1
	v_add3_u32 v2, v2, v3, 0x7fff
	s_delay_alu instid0(VALU_DEP_1)
	v_lshrrev_b32_e32 v8, 16, v2
	s_branch .LBB238_1620
.LBB238_1617:
	s_mov_b32 s6, -1
                                        ; implicit-def: $vgpr8
	s_branch .LBB238_1626
.LBB238_1618:
	s_mov_b32 s6, -1
                                        ; implicit-def: $vgpr8
	s_branch .LBB238_1623
.LBB238_1619:
	s_mov_b32 s6, -1
                                        ; implicit-def: $vgpr8
.LBB238_1620:
	s_delay_alu instid0(SALU_CYCLE_1)
	s_and_not1_b32 vcc_lo, exec_lo, s6
	s_cbranch_vccnz .LBB238_1622
; %bb.1621:
	global_load_b32 v2, v[0:1], off
	s_wait_loadcnt 0x0
	v_cvt_f32_i32_e32 v2, v2
	s_delay_alu instid0(VALU_DEP_1) | instskip(NEXT) | instid1(VALU_DEP_1)
	v_bfe_u32 v3, v2, 16, 1
	v_add3_u32 v2, v2, v3, 0x7fff
	s_delay_alu instid0(VALU_DEP_1)
	v_lshrrev_b32_e32 v8, 16, v2
.LBB238_1622:
	s_mov_b32 s6, 0
.LBB238_1623:
	s_delay_alu instid0(SALU_CYCLE_1)
	s_and_not1_b32 vcc_lo, exec_lo, s6
	s_cbranch_vccnz .LBB238_1625
; %bb.1624:
	global_load_i16 v2, v[0:1], off
	s_wait_loadcnt 0x0
	v_cvt_f32_i32_e32 v2, v2
	s_delay_alu instid0(VALU_DEP_1) | instskip(NEXT) | instid1(VALU_DEP_1)
	v_bfe_u32 v3, v2, 16, 1
	v_add3_u32 v2, v2, v3, 0x7fff
	s_delay_alu instid0(VALU_DEP_1)
	v_lshrrev_b32_e32 v8, 16, v2
.LBB238_1625:
	s_mov_b32 s6, 0
.LBB238_1626:
	s_delay_alu instid0(SALU_CYCLE_1)
	s_and_not1_b32 vcc_lo, exec_lo, s6
	s_cbranch_vccnz .LBB238_1632
; %bb.1627:
	s_cmp_gt_i32 s0, 0
	s_mov_b32 s0, 0
	s_cbranch_scc0 .LBB238_1629
; %bb.1628:
	global_load_i8 v2, v[0:1], off
	s_wait_loadcnt 0x0
	v_cvt_f32_i32_e32 v2, v2
	s_delay_alu instid0(VALU_DEP_1) | instskip(NEXT) | instid1(VALU_DEP_1)
	v_bfe_u32 v3, v2, 16, 1
	v_add3_u32 v2, v2, v3, 0x7fff
	s_delay_alu instid0(VALU_DEP_1)
	v_lshrrev_b32_e32 v8, 16, v2
	s_branch .LBB238_1630
.LBB238_1629:
	s_mov_b32 s0, -1
                                        ; implicit-def: $vgpr8
.LBB238_1630:
	s_delay_alu instid0(SALU_CYCLE_1)
	s_and_not1_b32 vcc_lo, exec_lo, s0
	s_cbranch_vccnz .LBB238_1632
; %bb.1631:
	global_load_u8 v0, v[0:1], off
	s_wait_loadcnt 0x0
	v_cvt_f32_ubyte0_e32 v0, v0
	s_delay_alu instid0(VALU_DEP_1) | instskip(NEXT) | instid1(VALU_DEP_1)
	v_bfe_u32 v1, v0, 16, 1
	v_add3_u32 v0, v0, v1, 0x7fff
	s_delay_alu instid0(VALU_DEP_1)
	v_lshrrev_b32_e32 v8, 16, v0
.LBB238_1632:
	s_mov_b32 s9, -1
.LBB238_1633:
	s_delay_alu instid0(SALU_CYCLE_1)
	s_and_not1_b32 vcc_lo, exec_lo, s9
	s_cbranch_vccnz .LBB238_1638
; %bb.1634:
	s_wait_loadcnt 0x0
	v_lshlrev_b32_e32 v0, 16, v8
	s_mov_b32 s0, exec_lo
	s_delay_alu instid0(VALU_DEP_1)
	v_cmpx_o_f32_e32 v0, v0
	s_cbranch_execz .LBB238_1690
; %bb.1635:
	s_cmp_lt_i32 s10, 1
	s_mov_b32 s6, 0
	s_cbranch_scc1 .LBB238_1683
; %bb.1636:
	s_cmp_eq_u32 s10, 1
	s_cbranch_scc0 .LBB238_1684
; %bb.1637:
	v_max_num_f32_e64 v1, s11, s11
	v_max_num_f32_e32 v2, v0, v0
	s_mov_b32 s7, 0
	s_delay_alu instid0(VALU_DEP_1) | instskip(NEXT) | instid1(VALU_DEP_1)
	v_min_num_f32_e32 v1, v2, v1
	v_bfe_u32 v2, v1, 16, 1
	s_delay_alu instid0(VALU_DEP_1) | instskip(NEXT) | instid1(VALU_DEP_1)
	v_add3_u32 v1, v1, v2, 0x7fff
	v_lshrrev_b32_e32 v8, 16, v1
	s_branch .LBB238_1685
.LBB238_1638:
	s_mov_b32 s0, 0
	s_mov_b32 s3, 0
                                        ; implicit-def: $sgpr15
                                        ; implicit-def: $vgpr0_vgpr1
                                        ; implicit-def: $vgpr8
.LBB238_1639:
	s_and_not1_b32 s2, s14, exec_lo
	s_and_b32 s4, s1, exec_lo
	s_and_b32 s0, s0, exec_lo
	s_and_b32 s1, s3, exec_lo
	s_or_b32 s14, s2, s4
.LBB238_1640:
	s_wait_xcnt 0x0
	s_or_b32 exec_lo, exec_lo, s13
	s_and_saveexec_b32 s2, s14
	s_cbranch_execz .LBB238_1643
; %bb.1641:
	; divergent unreachable
	s_or_b32 exec_lo, exec_lo, s2
	s_and_saveexec_b32 s2, s1
	s_delay_alu instid0(SALU_CYCLE_1)
	s_xor_b32 s1, exec_lo, s2
	s_cbranch_execnz .LBB238_1644
.LBB238_1642:
	s_or_b32 exec_lo, exec_lo, s1
	s_and_saveexec_b32 s1, s0
	s_cbranch_execnz .LBB238_1645
	s_branch .LBB238_1682
.LBB238_1643:
	s_or_b32 exec_lo, exec_lo, s2
	s_and_saveexec_b32 s2, s1
	s_delay_alu instid0(SALU_CYCLE_1)
	s_xor_b32 s1, exec_lo, s2
	s_cbranch_execz .LBB238_1642
.LBB238_1644:
	s_wait_loadcnt 0x0
	v_and_b32_e32 v2, 0x7fff, v8
	s_delay_alu instid0(VALU_DEP_1)
	v_cmp_ne_u16_e32 vcc_lo, 0, v2
	v_cndmask_b32_e64 v2, 0, 1, vcc_lo
	global_store_b8 v[0:1], v2, off
	s_wait_xcnt 0x0
	s_or_b32 exec_lo, exec_lo, s1
	s_and_saveexec_b32 s1, s0
	s_cbranch_execz .LBB238_1682
.LBB238_1645:
	s_sext_i32_i16 s1, s15
	s_mov_b32 s0, -1
	s_cmp_lt_i32 s1, 5
	s_cbranch_scc1 .LBB238_1666
; %bb.1646:
	s_cmp_lt_i32 s1, 8
	s_cbranch_scc1 .LBB238_1656
; %bb.1647:
	s_cmp_lt_i32 s1, 9
	s_cbranch_scc1 .LBB238_1653
; %bb.1648:
	s_wait_loadcnt 0x0
	v_lshlrev_b32_e32 v2, 16, v8
	s_cmp_gt_i32 s1, 9
	s_cbranch_scc0 .LBB238_1650
; %bb.1649:
	s_delay_alu instid0(VALU_DEP_1) | instskip(SKIP_2) | instid1(VALU_DEP_1)
	v_cvt_f64_f32_e32 v[4:5], v2
	v_mov_b32_e32 v6, 0
	s_mov_b32 s0, 0
	v_mov_b32_e32 v7, v6
	global_store_b128 v[0:1], v[4:7], off
.LBB238_1650:
	s_and_not1_b32 vcc_lo, exec_lo, s0
	s_cbranch_vccnz .LBB238_1652
; %bb.1651:
	v_mov_b32_e32 v3, 0
	global_store_b64 v[0:1], v[2:3], off
.LBB238_1652:
	s_mov_b32 s0, 0
.LBB238_1653:
	s_delay_alu instid0(SALU_CYCLE_1)
	s_and_not1_b32 vcc_lo, exec_lo, s0
	s_cbranch_vccnz .LBB238_1655
; %bb.1654:
	s_wait_loadcnt 0x0
	v_lshlrev_b32_e32 v2, 16, v8
	s_delay_alu instid0(VALU_DEP_1) | instskip(NEXT) | instid1(VALU_DEP_1)
	v_cvt_f16_f32_e32 v2, v2
	v_and_b32_e32 v2, 0xffff, v2
	global_store_b32 v[0:1], v2, off
.LBB238_1655:
	s_mov_b32 s0, 0
.LBB238_1656:
	s_delay_alu instid0(SALU_CYCLE_1)
	s_and_not1_b32 vcc_lo, exec_lo, s0
	s_cbranch_vccnz .LBB238_1665
; %bb.1657:
	s_sext_i32_i16 s1, s15
	s_mov_b32 s0, -1
	s_cmp_lt_i32 s1, 6
	s_cbranch_scc1 .LBB238_1663
; %bb.1658:
	s_wait_loadcnt 0x0
	v_lshlrev_b32_e32 v2, 16, v8
	s_cmp_gt_i32 s1, 6
	s_cbranch_scc0 .LBB238_1660
; %bb.1659:
	s_delay_alu instid0(VALU_DEP_1)
	v_cvt_f64_f32_e32 v[4:5], v2
	s_mov_b32 s0, 0
	global_store_b64 v[0:1], v[4:5], off
.LBB238_1660:
	s_and_not1_b32 vcc_lo, exec_lo, s0
	s_cbranch_vccnz .LBB238_1662
; %bb.1661:
	global_store_b32 v[0:1], v2, off
.LBB238_1662:
	s_mov_b32 s0, 0
.LBB238_1663:
	s_delay_alu instid0(SALU_CYCLE_1)
	s_and_not1_b32 vcc_lo, exec_lo, s0
	s_cbranch_vccnz .LBB238_1665
; %bb.1664:
	s_wait_loadcnt 0x0
	v_lshlrev_b32_e32 v2, 16, v8
	s_delay_alu instid0(VALU_DEP_1)
	v_cvt_f16_f32_e32 v2, v2
	global_store_b16 v[0:1], v2, off
.LBB238_1665:
	s_mov_b32 s0, 0
.LBB238_1666:
	s_delay_alu instid0(SALU_CYCLE_1)
	s_and_not1_b32 vcc_lo, exec_lo, s0
	s_cbranch_vccnz .LBB238_1682
; %bb.1667:
	s_sext_i32_i16 s1, s15
	s_mov_b32 s0, -1
	s_cmp_lt_i32 s1, 2
	s_cbranch_scc1 .LBB238_1677
; %bb.1668:
	s_cmp_lt_i32 s1, 3
	s_cbranch_scc1 .LBB238_1674
; %bb.1669:
	s_wait_loadcnt 0x0
	v_lshlrev_b32_e32 v2, 16, v8
	s_cmp_gt_i32 s1, 3
	s_cbranch_scc0 .LBB238_1671
; %bb.1670:
	s_delay_alu instid0(VALU_DEP_1) | instskip(SKIP_1) | instid1(VALU_DEP_1)
	v_trunc_f32_e32 v3, v2
	s_mov_b32 s0, 0
	v_mul_f32_e64 v4, 0x2f800000, |v3|
	s_delay_alu instid0(VALU_DEP_1) | instskip(SKIP_1) | instid1(VALU_DEP_2)
	v_floor_f32_e32 v5, v4
	v_ashrrev_i32_e32 v4, 31, v3
	v_fma_f32 v6, 0xcf800000, v5, |v3|
	v_cvt_u32_f32_e32 v3, v5
	s_delay_alu instid0(VALU_DEP_3) | instskip(NEXT) | instid1(VALU_DEP_3)
	v_mov_b32_e32 v5, v4
	v_cvt_u32_f32_e32 v6, v6
	s_delay_alu instid0(VALU_DEP_3) | instskip(NEXT) | instid1(VALU_DEP_2)
	v_xor_b32_e32 v7, v3, v4
	v_xor_b32_e32 v6, v6, v4
	s_delay_alu instid0(VALU_DEP_1)
	v_sub_nc_u64_e32 v[4:5], v[6:7], v[4:5]
	global_store_b64 v[0:1], v[4:5], off
.LBB238_1671:
	s_and_not1_b32 vcc_lo, exec_lo, s0
	s_cbranch_vccnz .LBB238_1673
; %bb.1672:
	v_cvt_i32_f32_e32 v2, v2
	global_store_b32 v[0:1], v2, off
.LBB238_1673:
	s_mov_b32 s0, 0
.LBB238_1674:
	s_delay_alu instid0(SALU_CYCLE_1)
	s_and_not1_b32 vcc_lo, exec_lo, s0
	s_cbranch_vccnz .LBB238_1676
; %bb.1675:
	s_wait_loadcnt 0x0
	v_lshlrev_b32_e32 v2, 16, v8
	s_delay_alu instid0(VALU_DEP_1)
	v_cvt_i32_f32_e32 v2, v2
	global_store_b16 v[0:1], v2, off
.LBB238_1676:
	s_mov_b32 s0, 0
.LBB238_1677:
	s_delay_alu instid0(SALU_CYCLE_1)
	s_and_not1_b32 vcc_lo, exec_lo, s0
	s_cbranch_vccnz .LBB238_1682
; %bb.1678:
	s_wait_loadcnt 0x0
	v_lshlrev_b32_e32 v2, 16, v8
	s_sext_i32_i16 s0, s15
	s_delay_alu instid0(SALU_CYCLE_1)
	s_cmp_gt_i32 s0, 0
	s_mov_b32 s0, -1
	s_cbranch_scc0 .LBB238_1680
; %bb.1679:
	v_cvt_i32_f32_e32 v3, v2
	s_mov_b32 s0, 0
	global_store_b8 v[0:1], v3, off
.LBB238_1680:
	s_and_not1_b32 vcc_lo, exec_lo, s0
	s_cbranch_vccnz .LBB238_1682
; %bb.1681:
	v_trunc_f32_e32 v2, v2
	s_wait_xcnt 0x0
	s_delay_alu instid0(VALU_DEP_1) | instskip(NEXT) | instid1(VALU_DEP_1)
	v_mul_f32_e64 v3, 0x2f800000, |v2|
	v_floor_f32_e32 v3, v3
	s_delay_alu instid0(VALU_DEP_1) | instskip(SKIP_1) | instid1(VALU_DEP_2)
	v_fma_f32 v3, 0xcf800000, v3, |v2|
	v_ashrrev_i32_e32 v2, 31, v2
	v_cvt_u32_f32_e32 v3, v3
	s_delay_alu instid0(VALU_DEP_1) | instskip(NEXT) | instid1(VALU_DEP_1)
	v_xor_b32_e32 v3, v3, v2
	v_sub_nc_u32_e32 v2, v3, v2
	global_store_b8 v[0:1], v2, off
	s_endpgm
.LBB238_1682:
	s_endpgm
.LBB238_1683:
	s_mov_b32 s9, -1
	s_mov_b32 s7, 0
                                        ; implicit-def: $vgpr8
	s_branch .LBB238_1686
.LBB238_1684:
	s_mov_b32 s7, -1
                                        ; implicit-def: $vgpr8
.LBB238_1685:
	s_mov_b32 s9, 0
.LBB238_1686:
	s_delay_alu instid0(SALU_CYCLE_1)
	s_and_b32 vcc_lo, exec_lo, s9
	s_cbranch_vccz .LBB238_1768
; %bb.1687:
	s_cmp_lg_u32 s10, 0
	s_mov_b32 s6, -1
	s_cselect_b32 s7, -1, 0
	v_max_num_f32_e64 v1, s11, s11
	v_max_num_f32_e32 v0, v0, v0
	s_and_not1_b32 vcc_lo, exec_lo, s7
	s_cbranch_vccz .LBB238_1769
.LBB238_1688:
	s_and_not1_b32 vcc_lo, exec_lo, s6
	s_cbranch_vccnz .LBB238_1690
.LBB238_1689:
	v_max_num_f32_e32 v0, v0, v1
	s_delay_alu instid0(VALU_DEP_1) | instskip(NEXT) | instid1(VALU_DEP_1)
	v_bfe_u32 v1, v0, 16, 1
	v_add3_u32 v0, v0, v1, 0x7fff
	s_delay_alu instid0(VALU_DEP_1)
	v_lshrrev_b32_e32 v8, 16, v0
.LBB238_1690:
	s_or_b32 exec_lo, exec_lo, s0
	v_mul_lo_u32 v0, s8, v4
	s_and_b32 s15, s3, 0xff
	s_delay_alu instid0(SALU_CYCLE_1) | instskip(NEXT) | instid1(VALU_DEP_1)
	s_cmp_lt_i32 s15, 11
	v_ashrrev_i32_e32 v1, 31, v0
	s_delay_alu instid0(VALU_DEP_1)
	v_add_nc_u64_e32 v[2:3], s[4:5], v[0:1]
	s_cbranch_scc1 .LBB238_1770
; %bb.1691:
	s_and_b32 s2, 0xffff, s15
	s_mov_b32 s7, -1
	s_mov_b32 s3, 0
	s_cmp_gt_i32 s2, 25
	s_mov_b32 s6, 0
	s_mov_b32 s0, 0
	s_cbranch_scc0 .LBB238_1724
; %bb.1692:
	s_cmp_gt_i32 s2, 28
	s_cbranch_scc0 .LBB238_1707
; %bb.1693:
	s_cmp_gt_i32 s2, 43
	;; [unrolled: 3-line block ×3, first 2 shown]
	s_cbranch_scc0 .LBB238_1697
; %bb.1695:
	s_mov_b32 s0, -1
	s_mov_b32 s7, 0
	s_cmp_eq_u32 s2, 46
	s_cbranch_scc0 .LBB238_1697
; %bb.1696:
	v_and_b32_e32 v1, 0xffff, v5
	s_mov_b32 s0, 0
	s_mov_b32 s6, -1
	global_store_b32 v[2:3], v1, off
.LBB238_1697:
	s_and_b32 vcc_lo, exec_lo, s7
	s_cbranch_vccz .LBB238_1702
; %bb.1698:
	s_cmp_eq_u32 s2, 44
	s_mov_b32 s0, -1
	s_cbranch_scc0 .LBB238_1702
; %bb.1699:
	s_wait_xcnt 0x0
	v_and_b32_e32 v1, 0xffff, v5
	v_mov_b32_e32 v4, 0xff
	s_mov_b32 s6, exec_lo
	s_delay_alu instid0(VALU_DEP_2) | instskip(NEXT) | instid1(VALU_DEP_1)
	v_bfe_u32 v9, v1, 7, 8
	v_cmpx_ne_u32_e32 0xff, v9
	s_cbranch_execz .LBB238_1701
; %bb.1700:
	v_dual_lshlrev_b32 v4, 16, v1 :: v_dual_bitop2_b32 v10, 64, v1 bitop3:0x40
	v_lshrrev_b32_e32 v1, 7, v1
	s_delay_alu instid0(VALU_DEP_2) | instskip(NEXT) | instid1(VALU_DEP_3)
	v_and_or_b32 v4, 0x3f0000, v4, v9
	v_cmp_ne_u32_e32 vcc_lo, 0, v10
	s_delay_alu instid0(VALU_DEP_2) | instskip(SKIP_1) | instid1(SALU_CYCLE_1)
	v_cmp_ne_u32_e64 s0, 0, v4
	s_and_b32 s0, vcc_lo, s0
	v_cndmask_b32_e64 v4, 0, 1, s0
	s_delay_alu instid0(VALU_DEP_1)
	v_add_nc_u32_e32 v4, v1, v4
.LBB238_1701:
	s_or_b32 exec_lo, exec_lo, s6
	s_mov_b32 s0, 0
	s_mov_b32 s6, -1
	global_store_b8 v[2:3], v4, off
.LBB238_1702:
	s_mov_b32 s7, 0
.LBB238_1703:
	s_delay_alu instid0(SALU_CYCLE_1)
	s_and_b32 vcc_lo, exec_lo, s7
	s_cbranch_vccz .LBB238_1706
; %bb.1704:
	s_cmp_eq_u32 s2, 29
	s_mov_b32 s0, -1
	s_cbranch_scc0 .LBB238_1706
; %bb.1705:
	s_wait_xcnt 0x0
	v_lshlrev_b32_e32 v1, 16, v5
	s_mov_b32 s0, 0
	s_mov_b32 s6, -1
	s_delay_alu instid0(VALU_DEP_1) | instskip(NEXT) | instid1(VALU_DEP_1)
	v_trunc_f32_e32 v1, v1
	v_mul_f32_e32 v4, 0x2f800000, v1
	s_delay_alu instid0(VALU_DEP_1) | instskip(NEXT) | instid1(VALU_DEP_1)
	v_floor_f32_e32 v4, v4
	v_fmamk_f32 v1, v4, 0xcf800000, v1
	v_cvt_u32_f32_e32 v11, v4
	s_delay_alu instid0(VALU_DEP_2)
	v_cvt_u32_f32_e32 v10, v1
	global_store_b64 v[2:3], v[10:11], off
.LBB238_1706:
	s_mov_b32 s7, 0
.LBB238_1707:
	s_delay_alu instid0(SALU_CYCLE_1)
	s_and_b32 vcc_lo, exec_lo, s7
	s_cbranch_vccz .LBB238_1723
; %bb.1708:
	s_cmp_lt_i32 s2, 27
	s_mov_b32 s6, -1
	s_cbranch_scc1 .LBB238_1714
; %bb.1709:
	s_cmp_gt_i32 s2, 27
	s_cbranch_scc0 .LBB238_1711
; %bb.1710:
	s_wait_xcnt 0x0
	v_lshlrev_b32_e32 v1, 16, v5
	s_mov_b32 s6, 0
	s_delay_alu instid0(VALU_DEP_1)
	v_cvt_u32_f32_e32 v1, v1
	global_store_b32 v[2:3], v1, off
.LBB238_1711:
	s_and_not1_b32 vcc_lo, exec_lo, s6
	s_cbranch_vccnz .LBB238_1713
; %bb.1712:
	s_wait_xcnt 0x0
	v_lshlrev_b32_e32 v1, 16, v5
	s_delay_alu instid0(VALU_DEP_1)
	v_cvt_u32_f32_e32 v1, v1
	global_store_b16 v[2:3], v1, off
.LBB238_1713:
	s_mov_b32 s6, 0
.LBB238_1714:
	s_delay_alu instid0(SALU_CYCLE_1)
	s_and_not1_b32 vcc_lo, exec_lo, s6
	s_cbranch_vccnz .LBB238_1722
; %bb.1715:
	s_wait_xcnt 0x0
	v_dual_mov_b32 v10, 0x80 :: v_dual_lshlrev_b32 v9, 16, v5
	s_mov_b32 s6, exec_lo
	s_delay_alu instid0(VALU_DEP_1) | instskip(NEXT) | instid1(VALU_DEP_1)
	v_and_b32_e32 v4, 0x7fffffff, v9
	v_cmpx_gt_u32_e32 0x43800000, v4
	s_cbranch_execz .LBB238_1721
; %bb.1716:
	v_and_b32_e32 v1, 0xffff, v5
	v_cmp_lt_u32_e32 vcc_lo, 0x3bffffff, v4
	s_mov_b32 s7, 0
                                        ; implicit-def: $vgpr4
	s_and_saveexec_b32 s9, vcc_lo
	s_delay_alu instid0(SALU_CYCLE_1)
	s_xor_b32 s9, exec_lo, s9
	s_cbranch_execz .LBB238_2128
; %bb.1717:
	v_bfe_u32 v4, v1, 4, 1
	s_mov_b32 s7, exec_lo
	s_delay_alu instid0(VALU_DEP_1) | instskip(NEXT) | instid1(VALU_DEP_1)
	v_add3_u32 v4, v9, v4, 0x487ffff
                                        ; implicit-def: $vgpr9
	v_lshrrev_b32_e32 v4, 20, v4
	s_and_not1_saveexec_b32 s9, s9
	s_cbranch_execnz .LBB238_2129
.LBB238_1718:
	s_or_b32 exec_lo, exec_lo, s9
	v_mov_b32_e32 v10, 0
	s_and_saveexec_b32 s9, s7
.LBB238_1719:
	v_lshrrev_b32_e32 v1, 8, v1
	s_delay_alu instid0(VALU_DEP_1)
	v_and_or_b32 v10, 0x80, v1, v4
.LBB238_1720:
	s_or_b32 exec_lo, exec_lo, s9
.LBB238_1721:
	s_delay_alu instid0(SALU_CYCLE_1)
	s_or_b32 exec_lo, exec_lo, s6
	global_store_b8 v[2:3], v10, off
.LBB238_1722:
	s_mov_b32 s6, -1
.LBB238_1723:
	s_mov_b32 s7, 0
.LBB238_1724:
	s_delay_alu instid0(SALU_CYCLE_1)
	s_and_b32 vcc_lo, exec_lo, s7
	s_cbranch_vccz .LBB238_1764
; %bb.1725:
	s_cmp_gt_i32 s2, 22
	s_mov_b32 s3, -1
	s_cbranch_scc0 .LBB238_1757
; %bb.1726:
	s_cmp_lt_i32 s2, 24
	s_cbranch_scc1 .LBB238_1746
; %bb.1727:
	s_cmp_gt_i32 s2, 24
	s_cbranch_scc0 .LBB238_1735
; %bb.1728:
	s_wait_xcnt 0x0
	v_dual_mov_b32 v10, 0x80 :: v_dual_lshlrev_b32 v9, 16, v5
	s_mov_b32 s3, exec_lo
	s_delay_alu instid0(VALU_DEP_1) | instskip(NEXT) | instid1(VALU_DEP_1)
	v_and_b32_e32 v4, 0x7fffffff, v9
	v_cmpx_gt_u32_e32 0x47800000, v4
	s_cbranch_execz .LBB238_1734
; %bb.1729:
	v_and_b32_e32 v1, 0xffff, v5
	v_cmp_lt_u32_e32 vcc_lo, 0x37ffffff, v4
	s_mov_b32 s6, 0
                                        ; implicit-def: $vgpr4
	s_and_saveexec_b32 s7, vcc_lo
	s_delay_alu instid0(SALU_CYCLE_1)
	s_xor_b32 s7, exec_lo, s7
	s_cbranch_execz .LBB238_2131
; %bb.1730:
	v_bfe_u32 v4, v1, 5, 1
	s_mov_b32 s6, exec_lo
	s_delay_alu instid0(VALU_DEP_1) | instskip(NEXT) | instid1(VALU_DEP_1)
	v_add3_u32 v4, v9, v4, 0x88fffff
                                        ; implicit-def: $vgpr9
	v_lshrrev_b32_e32 v4, 21, v4
	s_and_not1_saveexec_b32 s7, s7
	s_cbranch_execnz .LBB238_2132
.LBB238_1731:
	s_or_b32 exec_lo, exec_lo, s7
	v_mov_b32_e32 v10, 0
	s_and_saveexec_b32 s7, s6
.LBB238_1732:
	v_lshrrev_b32_e32 v1, 8, v1
	s_delay_alu instid0(VALU_DEP_1)
	v_and_or_b32 v10, 0x80, v1, v4
.LBB238_1733:
	s_or_b32 exec_lo, exec_lo, s7
.LBB238_1734:
	s_delay_alu instid0(SALU_CYCLE_1)
	s_or_b32 exec_lo, exec_lo, s3
	s_mov_b32 s3, 0
	global_store_b8 v[2:3], v10, off
.LBB238_1735:
	s_and_b32 vcc_lo, exec_lo, s3
	s_cbranch_vccz .LBB238_1745
; %bb.1736:
	v_lshlrev_b32_e32 v9, 16, v5
	s_wait_xcnt 0x0
	v_and_b32_e32 v1, 0xffff, v5
	s_mov_b32 s3, exec_lo
                                        ; implicit-def: $vgpr4
	s_delay_alu instid0(VALU_DEP_2) | instskip(NEXT) | instid1(VALU_DEP_1)
	v_and_b32_e32 v10, 0x7fffffff, v9
	v_cmpx_gt_u32_e32 0x43f00000, v10
	s_xor_b32 s3, exec_lo, s3
	s_cbranch_execz .LBB238_1742
; %bb.1737:
	s_mov_b32 s6, exec_lo
                                        ; implicit-def: $vgpr4
	v_cmpx_lt_u32_e32 0x3c7fffff, v10
	s_xor_b32 s6, exec_lo, s6
; %bb.1738:
	v_bfe_u32 v4, v1, 4, 1
	s_delay_alu instid0(VALU_DEP_1) | instskip(NEXT) | instid1(VALU_DEP_1)
	v_add3_u32 v4, v9, v4, 0x407ffff
	v_and_b32_e32 v9, 0xff00000, v4
	v_lshrrev_b32_e32 v4, 20, v4
	s_delay_alu instid0(VALU_DEP_2) | instskip(NEXT) | instid1(VALU_DEP_2)
	v_cmp_ne_u32_e32 vcc_lo, 0x7f00000, v9
                                        ; implicit-def: $vgpr9
	v_cndmask_b32_e32 v4, 0x7e, v4, vcc_lo
; %bb.1739:
	s_and_not1_saveexec_b32 s6, s6
; %bb.1740:
	v_add_f32_e64 v4, 0x46800000, |v9|
; %bb.1741:
	s_or_b32 exec_lo, exec_lo, s6
                                        ; implicit-def: $vgpr10
.LBB238_1742:
	s_and_not1_saveexec_b32 s3, s3
; %bb.1743:
	v_mov_b32_e32 v4, 0x7f
	v_cmp_lt_u32_e32 vcc_lo, 0x7f800000, v10
	s_delay_alu instid0(VALU_DEP_2)
	v_cndmask_b32_e32 v4, 0x7e, v4, vcc_lo
; %bb.1744:
	s_or_b32 exec_lo, exec_lo, s3
	v_lshrrev_b32_e32 v1, 8, v1
	s_delay_alu instid0(VALU_DEP_1)
	v_and_or_b32 v1, 0x80, v1, v4
	global_store_b8 v[2:3], v1, off
.LBB238_1745:
	s_mov_b32 s3, 0
.LBB238_1746:
	s_delay_alu instid0(SALU_CYCLE_1)
	s_and_not1_b32 vcc_lo, exec_lo, s3
	s_cbranch_vccnz .LBB238_1756
; %bb.1747:
	v_lshlrev_b32_e32 v9, 16, v5
	s_wait_xcnt 0x0
	v_and_b32_e32 v1, 0xffff, v5
	s_mov_b32 s3, exec_lo
                                        ; implicit-def: $vgpr4
	s_delay_alu instid0(VALU_DEP_2) | instskip(NEXT) | instid1(VALU_DEP_1)
	v_and_b32_e32 v10, 0x7fffffff, v9
	v_cmpx_gt_u32_e32 0x47800000, v10
	s_xor_b32 s3, exec_lo, s3
	s_cbranch_execz .LBB238_1753
; %bb.1748:
	s_mov_b32 s6, exec_lo
                                        ; implicit-def: $vgpr4
	v_cmpx_lt_u32_e32 0x387fffff, v10
	s_xor_b32 s6, exec_lo, s6
; %bb.1749:
	v_bfe_u32 v4, v1, 5, 1
	s_delay_alu instid0(VALU_DEP_1) | instskip(NEXT) | instid1(VALU_DEP_1)
	v_add3_u32 v4, v9, v4, 0x80fffff
                                        ; implicit-def: $vgpr9
	v_lshrrev_b32_e32 v4, 21, v4
; %bb.1750:
	s_and_not1_saveexec_b32 s6, s6
; %bb.1751:
	v_add_f32_e64 v4, 0x43000000, |v9|
; %bb.1752:
	s_or_b32 exec_lo, exec_lo, s6
                                        ; implicit-def: $vgpr10
.LBB238_1753:
	s_and_not1_saveexec_b32 s3, s3
; %bb.1754:
	v_mov_b32_e32 v4, 0x7f
	v_cmp_lt_u32_e32 vcc_lo, 0x7f800000, v10
	s_delay_alu instid0(VALU_DEP_2)
	v_cndmask_b32_e32 v4, 0x7c, v4, vcc_lo
; %bb.1755:
	s_or_b32 exec_lo, exec_lo, s3
	v_lshrrev_b32_e32 v1, 8, v1
	s_delay_alu instid0(VALU_DEP_1)
	v_and_or_b32 v1, 0x80, v1, v4
	global_store_b8 v[2:3], v1, off
.LBB238_1756:
	s_mov_b32 s3, 0
	s_mov_b32 s6, -1
.LBB238_1757:
	s_and_not1_b32 vcc_lo, exec_lo, s3
	s_mov_b32 s3, 0
	s_cbranch_vccnz .LBB238_1764
; %bb.1758:
	s_cmp_gt_i32 s2, 14
	s_mov_b32 s3, -1
	s_cbranch_scc0 .LBB238_1762
; %bb.1759:
	s_cmp_eq_u32 s2, 15
	s_mov_b32 s0, -1
	s_cbranch_scc0 .LBB238_1761
; %bb.1760:
	s_mov_b32 s0, 0
	s_mov_b32 s6, -1
	global_store_b16 v[2:3], v5, off
.LBB238_1761:
	s_mov_b32 s3, 0
.LBB238_1762:
	s_delay_alu instid0(SALU_CYCLE_1)
	s_and_b32 vcc_lo, exec_lo, s3
	s_mov_b32 s3, 0
	s_cbranch_vccz .LBB238_1764
; %bb.1763:
	s_cmp_lg_u32 s2, 11
	s_mov_b32 s3, -1
	s_cselect_b32 s0, -1, 0
.LBB238_1764:
	s_delay_alu instid0(SALU_CYCLE_1)
	s_and_b32 vcc_lo, exec_lo, s0
	s_cbranch_vccnz .LBB238_2130
; %bb.1765:
	s_and_not1_b32 vcc_lo, exec_lo, s3
	s_cbranch_vccnz .LBB238_1767
.LBB238_1766:
	s_wait_xcnt 0x0
	v_and_b32_e32 v1, 0x7fff, v5
	s_mov_b32 s6, -1
	s_delay_alu instid0(VALU_DEP_1)
	v_cmp_ne_u16_e32 vcc_lo, 0, v1
	v_cndmask_b32_e64 v1, 0, 1, vcc_lo
	global_store_b8 v[2:3], v1, off
.LBB238_1767:
	s_mov_b32 s0, 0
	s_branch .LBB238_1771
.LBB238_1768:
	v_max_num_f32_e64 v1, s11, s11
	v_max_num_f32_e32 v0, v0, v0
	s_and_not1_b32 vcc_lo, exec_lo, s7
	s_cbranch_vccnz .LBB238_1688
.LBB238_1769:
	v_max_num_f32_e64 v2, s2, s2
	s_delay_alu instid0(VALU_DEP_1) | instskip(NEXT) | instid1(VALU_DEP_1)
	v_maxmin_num_f32 v2, v0, v1, v2
	v_bfe_u32 v3, v2, 16, 1
	s_delay_alu instid0(VALU_DEP_1) | instskip(NEXT) | instid1(VALU_DEP_1)
	v_add3_u32 v2, v2, v3, 0x7fff
	v_lshrrev_b32_e32 v8, 16, v2
	s_cbranch_execz .LBB238_1689
	s_branch .LBB238_1690
.LBB238_1770:
	s_mov_b32 s0, -1
	s_mov_b32 s6, 0
.LBB238_1771:
	s_and_b32 vcc_lo, exec_lo, s0
	s_cbranch_vccz .LBB238_1810
; %bb.1772:
	s_and_b32 s0, 0xffff, s15
	s_mov_b32 s2, -1
	s_cmp_lt_i32 s0, 5
	s_cbranch_scc1 .LBB238_1793
; %bb.1773:
	s_cmp_lt_i32 s0, 8
	s_cbranch_scc1 .LBB238_1783
; %bb.1774:
	;; [unrolled: 3-line block ×3, first 2 shown]
	s_cmp_gt_i32 s0, 9
	s_cbranch_scc0 .LBB238_1777
; %bb.1776:
	s_wait_xcnt 0x0
	v_dual_mov_b32 v12, 0 :: v_dual_lshlrev_b32 v1, 16, v5
	s_mov_b32 s2, 0
	s_delay_alu instid0(VALU_DEP_1) | instskip(NEXT) | instid1(VALU_DEP_2)
	v_cvt_f64_f32_e32 v[10:11], v1
	v_mov_b32_e32 v13, v12
	global_store_b128 v[2:3], v[10:13], off
.LBB238_1777:
	s_and_not1_b32 vcc_lo, exec_lo, s2
	s_cbranch_vccnz .LBB238_1779
; %bb.1778:
	s_wait_xcnt 0x0
	v_dual_mov_b32 v11, 0 :: v_dual_lshlrev_b32 v10, 16, v5
	global_store_b64 v[2:3], v[10:11], off
.LBB238_1779:
	s_mov_b32 s2, 0
.LBB238_1780:
	s_delay_alu instid0(SALU_CYCLE_1)
	s_and_not1_b32 vcc_lo, exec_lo, s2
	s_cbranch_vccnz .LBB238_1782
; %bb.1781:
	s_wait_xcnt 0x0
	v_lshlrev_b32_e32 v1, 16, v5
	s_delay_alu instid0(VALU_DEP_1) | instskip(NEXT) | instid1(VALU_DEP_1)
	v_cvt_f16_f32_e32 v1, v1
	v_and_b32_e32 v1, 0xffff, v1
	global_store_b32 v[2:3], v1, off
.LBB238_1782:
	s_mov_b32 s2, 0
.LBB238_1783:
	s_delay_alu instid0(SALU_CYCLE_1)
	s_and_not1_b32 vcc_lo, exec_lo, s2
	s_cbranch_vccnz .LBB238_1792
; %bb.1784:
	s_cmp_lt_i32 s0, 6
	s_mov_b32 s2, -1
	s_cbranch_scc1 .LBB238_1790
; %bb.1785:
	s_cmp_gt_i32 s0, 6
	s_cbranch_scc0 .LBB238_1787
; %bb.1786:
	s_wait_xcnt 0x0
	v_lshlrev_b32_e32 v1, 16, v5
	s_mov_b32 s2, 0
	s_delay_alu instid0(VALU_DEP_1)
	v_cvt_f64_f32_e32 v[10:11], v1
	global_store_b64 v[2:3], v[10:11], off
.LBB238_1787:
	s_and_not1_b32 vcc_lo, exec_lo, s2
	s_cbranch_vccnz .LBB238_1789
; %bb.1788:
	s_wait_xcnt 0x0
	v_lshlrev_b32_e32 v1, 16, v5
	global_store_b32 v[2:3], v1, off
.LBB238_1789:
	s_mov_b32 s2, 0
.LBB238_1790:
	s_delay_alu instid0(SALU_CYCLE_1)
	s_and_not1_b32 vcc_lo, exec_lo, s2
	s_cbranch_vccnz .LBB238_1792
; %bb.1791:
	s_wait_xcnt 0x0
	v_lshlrev_b32_e32 v1, 16, v5
	s_delay_alu instid0(VALU_DEP_1)
	v_cvt_f16_f32_e32 v1, v1
	global_store_b16 v[2:3], v1, off
.LBB238_1792:
	s_mov_b32 s2, 0
.LBB238_1793:
	s_delay_alu instid0(SALU_CYCLE_1)
	s_and_not1_b32 vcc_lo, exec_lo, s2
	s_cbranch_vccnz .LBB238_1809
; %bb.1794:
	s_cmp_lt_i32 s0, 2
	s_mov_b32 s2, -1
	s_cbranch_scc1 .LBB238_1804
; %bb.1795:
	s_cmp_lt_i32 s0, 3
	s_cbranch_scc1 .LBB238_1801
; %bb.1796:
	s_cmp_gt_i32 s0, 3
	s_cbranch_scc0 .LBB238_1798
; %bb.1797:
	s_wait_xcnt 0x0
	v_lshlrev_b32_e32 v1, 16, v5
	s_mov_b32 s2, 0
	s_delay_alu instid0(VALU_DEP_1) | instskip(NEXT) | instid1(VALU_DEP_1)
	v_trunc_f32_e32 v1, v1
	v_mul_f32_e64 v4, 0x2f800000, |v1|
	v_ashrrev_i32_e32 v10, 31, v1
	s_delay_alu instid0(VALU_DEP_2) | instskip(NEXT) | instid1(VALU_DEP_2)
	v_floor_f32_e32 v4, v4
	v_mov_b32_e32 v11, v10
	s_delay_alu instid0(VALU_DEP_2) | instskip(SKIP_1) | instid1(VALU_DEP_2)
	v_fma_f32 v9, 0xcf800000, v4, |v1|
	v_cvt_u32_f32_e32 v1, v4
	v_cvt_u32_f32_e32 v4, v9
	s_delay_alu instid0(VALU_DEP_2) | instskip(NEXT) | instid1(VALU_DEP_2)
	v_xor_b32_e32 v13, v1, v10
	v_xor_b32_e32 v12, v4, v10
	s_delay_alu instid0(VALU_DEP_1)
	v_sub_nc_u64_e32 v[10:11], v[12:13], v[10:11]
	global_store_b64 v[2:3], v[10:11], off
.LBB238_1798:
	s_and_not1_b32 vcc_lo, exec_lo, s2
	s_cbranch_vccnz .LBB238_1800
; %bb.1799:
	s_wait_xcnt 0x0
	v_lshlrev_b32_e32 v1, 16, v5
	s_delay_alu instid0(VALU_DEP_1)
	v_cvt_i32_f32_e32 v1, v1
	global_store_b32 v[2:3], v1, off
.LBB238_1800:
	s_mov_b32 s2, 0
.LBB238_1801:
	s_delay_alu instid0(SALU_CYCLE_1)
	s_and_not1_b32 vcc_lo, exec_lo, s2
	s_cbranch_vccnz .LBB238_1803
; %bb.1802:
	s_wait_xcnt 0x0
	v_lshlrev_b32_e32 v1, 16, v5
	s_delay_alu instid0(VALU_DEP_1)
	v_cvt_i32_f32_e32 v1, v1
	global_store_b16 v[2:3], v1, off
.LBB238_1803:
	s_mov_b32 s2, 0
.LBB238_1804:
	s_delay_alu instid0(SALU_CYCLE_1)
	s_and_not1_b32 vcc_lo, exec_lo, s2
	s_cbranch_vccnz .LBB238_1809
; %bb.1805:
	s_wait_xcnt 0x0
	v_lshlrev_b32_e32 v1, 16, v5
	s_cmp_gt_i32 s0, 0
	s_mov_b32 s0, -1
	s_cbranch_scc0 .LBB238_1807
; %bb.1806:
	s_delay_alu instid0(VALU_DEP_1)
	v_cvt_i32_f32_e32 v4, v1
	s_mov_b32 s0, 0
	global_store_b8 v[2:3], v4, off
.LBB238_1807:
	s_and_not1_b32 vcc_lo, exec_lo, s0
	s_cbranch_vccnz .LBB238_1809
; %bb.1808:
	v_trunc_f32_e32 v1, v1
	s_wait_xcnt 0x0
	s_delay_alu instid0(VALU_DEP_1) | instskip(NEXT) | instid1(VALU_DEP_1)
	v_mul_f32_e64 v4, 0x2f800000, |v1|
	v_floor_f32_e32 v4, v4
	s_delay_alu instid0(VALU_DEP_1) | instskip(SKIP_1) | instid1(VALU_DEP_2)
	v_fma_f32 v4, 0xcf800000, v4, |v1|
	v_ashrrev_i32_e32 v1, 31, v1
	v_cvt_u32_f32_e32 v4, v4
	s_delay_alu instid0(VALU_DEP_1) | instskip(NEXT) | instid1(VALU_DEP_1)
	v_xor_b32_e32 v4, v4, v1
	v_sub_nc_u32_e32 v1, v4, v1
	global_store_b8 v[2:3], v1, off
.LBB238_1809:
	s_mov_b32 s6, -1
.LBB238_1810:
	s_delay_alu instid0(SALU_CYCLE_1)
	s_and_not1_b32 vcc_lo, exec_lo, s6
	s_cbranch_vccnz .LBB238_2125
; %bb.1811:
	s_lshl_b32 s2, s8, 7
	s_cmp_lt_i32 s15, 11
	v_add_nc_u32_e32 v0, s2, v0
	s_wait_xcnt 0x0
	s_delay_alu instid0(VALU_DEP_1) | instskip(NEXT) | instid1(VALU_DEP_1)
	v_ashrrev_i32_e32 v1, 31, v0
	v_add_nc_u64_e32 v[2:3], s[4:5], v[0:1]
	s_cbranch_scc1 .LBB238_1889
; %bb.1812:
	s_and_b32 s3, 0xffff, s15
	s_mov_b32 s8, -1
	s_mov_b32 s6, 0
	s_cmp_gt_i32 s3, 25
	s_mov_b32 s7, 0
	s_mov_b32 s0, 0
	s_cbranch_scc0 .LBB238_1845
; %bb.1813:
	s_cmp_gt_i32 s3, 28
	s_cbranch_scc0 .LBB238_1828
; %bb.1814:
	s_cmp_gt_i32 s3, 43
	;; [unrolled: 3-line block ×3, first 2 shown]
	s_cbranch_scc0 .LBB238_1818
; %bb.1816:
	s_mov_b32 s0, -1
	s_mov_b32 s8, 0
	s_cmp_eq_u32 s3, 46
	s_cbranch_scc0 .LBB238_1818
; %bb.1817:
	v_and_b32_e32 v1, 0xffff, v6
	s_mov_b32 s0, 0
	s_mov_b32 s7, -1
	global_store_b32 v[2:3], v1, off
.LBB238_1818:
	s_and_b32 vcc_lo, exec_lo, s8
	s_cbranch_vccz .LBB238_1823
; %bb.1819:
	s_cmp_eq_u32 s3, 44
	s_mov_b32 s0, -1
	s_cbranch_scc0 .LBB238_1823
; %bb.1820:
	s_wait_xcnt 0x0
	v_and_b32_e32 v1, 0xffff, v6
	v_mov_b32_e32 v4, 0xff
	s_mov_b32 s7, exec_lo
	s_delay_alu instid0(VALU_DEP_2) | instskip(NEXT) | instid1(VALU_DEP_1)
	v_bfe_u32 v5, v1, 7, 8
	v_cmpx_ne_u32_e32 0xff, v5
	s_cbranch_execz .LBB238_1822
; %bb.1821:
	v_dual_lshlrev_b32 v4, 16, v1 :: v_dual_bitop2_b32 v9, 64, v1 bitop3:0x40
	v_lshrrev_b32_e32 v1, 7, v1
	s_delay_alu instid0(VALU_DEP_2) | instskip(NEXT) | instid1(VALU_DEP_3)
	v_and_or_b32 v4, 0x3f0000, v4, v5
	v_cmp_ne_u32_e32 vcc_lo, 0, v9
	s_delay_alu instid0(VALU_DEP_2) | instskip(SKIP_1) | instid1(SALU_CYCLE_1)
	v_cmp_ne_u32_e64 s0, 0, v4
	s_and_b32 s0, vcc_lo, s0
	v_cndmask_b32_e64 v4, 0, 1, s0
	s_delay_alu instid0(VALU_DEP_1)
	v_add_nc_u32_e32 v4, v1, v4
.LBB238_1822:
	s_or_b32 exec_lo, exec_lo, s7
	s_mov_b32 s0, 0
	s_mov_b32 s7, -1
	global_store_b8 v[2:3], v4, off
.LBB238_1823:
	s_mov_b32 s8, 0
.LBB238_1824:
	s_delay_alu instid0(SALU_CYCLE_1)
	s_and_b32 vcc_lo, exec_lo, s8
	s_cbranch_vccz .LBB238_1827
; %bb.1825:
	s_cmp_eq_u32 s3, 29
	s_mov_b32 s0, -1
	s_cbranch_scc0 .LBB238_1827
; %bb.1826:
	s_wait_xcnt 0x0
	v_lshlrev_b32_e32 v1, 16, v6
	s_mov_b32 s0, 0
	s_mov_b32 s7, -1
	s_delay_alu instid0(VALU_DEP_1) | instskip(NEXT) | instid1(VALU_DEP_1)
	v_trunc_f32_e32 v1, v1
	v_mul_f32_e32 v4, 0x2f800000, v1
	s_delay_alu instid0(VALU_DEP_1) | instskip(NEXT) | instid1(VALU_DEP_1)
	v_floor_f32_e32 v4, v4
	v_fmamk_f32 v1, v4, 0xcf800000, v1
	v_cvt_u32_f32_e32 v5, v4
	s_delay_alu instid0(VALU_DEP_2)
	v_cvt_u32_f32_e32 v4, v1
	global_store_b64 v[2:3], v[4:5], off
.LBB238_1827:
	s_mov_b32 s8, 0
.LBB238_1828:
	s_delay_alu instid0(SALU_CYCLE_1)
	s_and_b32 vcc_lo, exec_lo, s8
	s_cbranch_vccz .LBB238_1844
; %bb.1829:
	s_cmp_lt_i32 s3, 27
	s_mov_b32 s7, -1
	s_cbranch_scc1 .LBB238_1835
; %bb.1830:
	s_cmp_gt_i32 s3, 27
	s_cbranch_scc0 .LBB238_1832
; %bb.1831:
	s_wait_xcnt 0x0
	v_lshlrev_b32_e32 v1, 16, v6
	s_mov_b32 s7, 0
	s_delay_alu instid0(VALU_DEP_1)
	v_cvt_u32_f32_e32 v1, v1
	global_store_b32 v[2:3], v1, off
.LBB238_1832:
	s_and_not1_b32 vcc_lo, exec_lo, s7
	s_cbranch_vccnz .LBB238_1834
; %bb.1833:
	s_wait_xcnt 0x0
	v_lshlrev_b32_e32 v1, 16, v6
	s_delay_alu instid0(VALU_DEP_1)
	v_cvt_u32_f32_e32 v1, v1
	global_store_b16 v[2:3], v1, off
.LBB238_1834:
	s_mov_b32 s7, 0
.LBB238_1835:
	s_delay_alu instid0(SALU_CYCLE_1)
	s_and_not1_b32 vcc_lo, exec_lo, s7
	s_cbranch_vccnz .LBB238_1843
; %bb.1836:
	s_wait_xcnt 0x0
	v_lshlrev_b32_e32 v5, 16, v6
	v_mov_b32_e32 v9, 0x80
	s_mov_b32 s7, exec_lo
	s_delay_alu instid0(VALU_DEP_2) | instskip(NEXT) | instid1(VALU_DEP_1)
	v_and_b32_e32 v4, 0x7fffffff, v5
	v_cmpx_gt_u32_e32 0x43800000, v4
	s_cbranch_execz .LBB238_1842
; %bb.1837:
	v_and_b32_e32 v1, 0xffff, v6
	v_cmp_lt_u32_e32 vcc_lo, 0x3bffffff, v4
	s_mov_b32 s8, 0
                                        ; implicit-def: $vgpr4
	s_and_saveexec_b32 s9, vcc_lo
	s_delay_alu instid0(SALU_CYCLE_1)
	s_xor_b32 s9, exec_lo, s9
	s_cbranch_execz .LBB238_2133
; %bb.1838:
	v_bfe_u32 v4, v1, 4, 1
	s_mov_b32 s8, exec_lo
	s_delay_alu instid0(VALU_DEP_1) | instskip(NEXT) | instid1(VALU_DEP_1)
	v_add3_u32 v4, v5, v4, 0x487ffff
                                        ; implicit-def: $vgpr5
	v_lshrrev_b32_e32 v4, 20, v4
	s_and_not1_saveexec_b32 s9, s9
	s_cbranch_execnz .LBB238_2134
.LBB238_1839:
	s_or_b32 exec_lo, exec_lo, s9
	v_mov_b32_e32 v9, 0
	s_and_saveexec_b32 s9, s8
.LBB238_1840:
	v_lshrrev_b32_e32 v1, 8, v1
	s_delay_alu instid0(VALU_DEP_1)
	v_and_or_b32 v9, 0x80, v1, v4
.LBB238_1841:
	s_or_b32 exec_lo, exec_lo, s9
.LBB238_1842:
	s_delay_alu instid0(SALU_CYCLE_1)
	s_or_b32 exec_lo, exec_lo, s7
	global_store_b8 v[2:3], v9, off
.LBB238_1843:
	s_mov_b32 s7, -1
.LBB238_1844:
	s_mov_b32 s8, 0
.LBB238_1845:
	s_delay_alu instid0(SALU_CYCLE_1)
	s_and_b32 vcc_lo, exec_lo, s8
	s_cbranch_vccz .LBB238_1885
; %bb.1846:
	s_cmp_gt_i32 s3, 22
	s_mov_b32 s6, -1
	s_cbranch_scc0 .LBB238_1878
; %bb.1847:
	s_cmp_lt_i32 s3, 24
	s_cbranch_scc1 .LBB238_1867
; %bb.1848:
	s_cmp_gt_i32 s3, 24
	s_cbranch_scc0 .LBB238_1856
; %bb.1849:
	s_wait_xcnt 0x0
	v_lshlrev_b32_e32 v5, 16, v6
	v_mov_b32_e32 v9, 0x80
	s_mov_b32 s6, exec_lo
	s_delay_alu instid0(VALU_DEP_2) | instskip(NEXT) | instid1(VALU_DEP_1)
	v_and_b32_e32 v4, 0x7fffffff, v5
	v_cmpx_gt_u32_e32 0x47800000, v4
	s_cbranch_execz .LBB238_1855
; %bb.1850:
	v_and_b32_e32 v1, 0xffff, v6
	v_cmp_lt_u32_e32 vcc_lo, 0x37ffffff, v4
	s_mov_b32 s7, 0
                                        ; implicit-def: $vgpr4
	s_and_saveexec_b32 s8, vcc_lo
	s_delay_alu instid0(SALU_CYCLE_1)
	s_xor_b32 s8, exec_lo, s8
	s_cbranch_execz .LBB238_2136
; %bb.1851:
	v_bfe_u32 v4, v1, 5, 1
	s_mov_b32 s7, exec_lo
	s_delay_alu instid0(VALU_DEP_1) | instskip(NEXT) | instid1(VALU_DEP_1)
	v_add3_u32 v4, v5, v4, 0x88fffff
                                        ; implicit-def: $vgpr5
	v_lshrrev_b32_e32 v4, 21, v4
	s_and_not1_saveexec_b32 s8, s8
	s_cbranch_execnz .LBB238_2137
.LBB238_1852:
	s_or_b32 exec_lo, exec_lo, s8
	v_mov_b32_e32 v9, 0
	s_and_saveexec_b32 s8, s7
.LBB238_1853:
	v_lshrrev_b32_e32 v1, 8, v1
	s_delay_alu instid0(VALU_DEP_1)
	v_and_or_b32 v9, 0x80, v1, v4
.LBB238_1854:
	s_or_b32 exec_lo, exec_lo, s8
.LBB238_1855:
	s_delay_alu instid0(SALU_CYCLE_1)
	s_or_b32 exec_lo, exec_lo, s6
	s_mov_b32 s6, 0
	global_store_b8 v[2:3], v9, off
.LBB238_1856:
	s_and_b32 vcc_lo, exec_lo, s6
	s_cbranch_vccz .LBB238_1866
; %bb.1857:
	s_wait_xcnt 0x0
	v_lshlrev_b32_e32 v5, 16, v6
	v_and_b32_e32 v1, 0xffff, v6
	s_mov_b32 s6, exec_lo
                                        ; implicit-def: $vgpr4
	s_delay_alu instid0(VALU_DEP_2) | instskip(NEXT) | instid1(VALU_DEP_1)
	v_and_b32_e32 v9, 0x7fffffff, v5
	v_cmpx_gt_u32_e32 0x43f00000, v9
	s_xor_b32 s6, exec_lo, s6
	s_cbranch_execz .LBB238_1863
; %bb.1858:
	s_mov_b32 s7, exec_lo
                                        ; implicit-def: $vgpr4
	v_cmpx_lt_u32_e32 0x3c7fffff, v9
	s_xor_b32 s7, exec_lo, s7
; %bb.1859:
	v_bfe_u32 v4, v1, 4, 1
	s_delay_alu instid0(VALU_DEP_1) | instskip(NEXT) | instid1(VALU_DEP_1)
	v_add3_u32 v4, v5, v4, 0x407ffff
	v_and_b32_e32 v5, 0xff00000, v4
	v_lshrrev_b32_e32 v4, 20, v4
	s_delay_alu instid0(VALU_DEP_2) | instskip(NEXT) | instid1(VALU_DEP_2)
	v_cmp_ne_u32_e32 vcc_lo, 0x7f00000, v5
                                        ; implicit-def: $vgpr5
	v_cndmask_b32_e32 v4, 0x7e, v4, vcc_lo
; %bb.1860:
	s_and_not1_saveexec_b32 s7, s7
; %bb.1861:
	v_add_f32_e64 v4, 0x46800000, |v5|
; %bb.1862:
	s_or_b32 exec_lo, exec_lo, s7
                                        ; implicit-def: $vgpr9
.LBB238_1863:
	s_and_not1_saveexec_b32 s6, s6
; %bb.1864:
	v_mov_b32_e32 v4, 0x7f
	v_cmp_lt_u32_e32 vcc_lo, 0x7f800000, v9
	s_delay_alu instid0(VALU_DEP_2)
	v_cndmask_b32_e32 v4, 0x7e, v4, vcc_lo
; %bb.1865:
	s_or_b32 exec_lo, exec_lo, s6
	v_lshrrev_b32_e32 v1, 8, v1
	s_delay_alu instid0(VALU_DEP_1)
	v_and_or_b32 v1, 0x80, v1, v4
	global_store_b8 v[2:3], v1, off
.LBB238_1866:
	s_mov_b32 s6, 0
.LBB238_1867:
	s_delay_alu instid0(SALU_CYCLE_1)
	s_and_not1_b32 vcc_lo, exec_lo, s6
	s_cbranch_vccnz .LBB238_1877
; %bb.1868:
	s_wait_xcnt 0x0
	v_lshlrev_b32_e32 v5, 16, v6
	v_and_b32_e32 v1, 0xffff, v6
	s_mov_b32 s6, exec_lo
                                        ; implicit-def: $vgpr4
	s_delay_alu instid0(VALU_DEP_2) | instskip(NEXT) | instid1(VALU_DEP_1)
	v_and_b32_e32 v9, 0x7fffffff, v5
	v_cmpx_gt_u32_e32 0x47800000, v9
	s_xor_b32 s6, exec_lo, s6
	s_cbranch_execz .LBB238_1874
; %bb.1869:
	s_mov_b32 s7, exec_lo
                                        ; implicit-def: $vgpr4
	v_cmpx_lt_u32_e32 0x387fffff, v9
	s_xor_b32 s7, exec_lo, s7
; %bb.1870:
	v_bfe_u32 v4, v1, 5, 1
	s_delay_alu instid0(VALU_DEP_1) | instskip(NEXT) | instid1(VALU_DEP_1)
	v_add3_u32 v4, v5, v4, 0x80fffff
                                        ; implicit-def: $vgpr5
	v_lshrrev_b32_e32 v4, 21, v4
; %bb.1871:
	s_and_not1_saveexec_b32 s7, s7
; %bb.1872:
	v_add_f32_e64 v4, 0x43000000, |v5|
; %bb.1873:
	s_or_b32 exec_lo, exec_lo, s7
                                        ; implicit-def: $vgpr9
.LBB238_1874:
	s_and_not1_saveexec_b32 s6, s6
; %bb.1875:
	v_mov_b32_e32 v4, 0x7f
	v_cmp_lt_u32_e32 vcc_lo, 0x7f800000, v9
	s_delay_alu instid0(VALU_DEP_2)
	v_cndmask_b32_e32 v4, 0x7c, v4, vcc_lo
; %bb.1876:
	s_or_b32 exec_lo, exec_lo, s6
	v_lshrrev_b32_e32 v1, 8, v1
	s_delay_alu instid0(VALU_DEP_1)
	v_and_or_b32 v1, 0x80, v1, v4
	global_store_b8 v[2:3], v1, off
.LBB238_1877:
	s_mov_b32 s6, 0
	s_mov_b32 s7, -1
.LBB238_1878:
	s_and_not1_b32 vcc_lo, exec_lo, s6
	s_mov_b32 s6, 0
	s_cbranch_vccnz .LBB238_1885
; %bb.1879:
	s_cmp_gt_i32 s3, 14
	s_mov_b32 s6, -1
	s_cbranch_scc0 .LBB238_1883
; %bb.1880:
	s_cmp_eq_u32 s3, 15
	s_mov_b32 s0, -1
	s_cbranch_scc0 .LBB238_1882
; %bb.1881:
	s_mov_b32 s0, 0
	s_mov_b32 s7, -1
	global_store_b16 v[2:3], v6, off
.LBB238_1882:
	s_mov_b32 s6, 0
.LBB238_1883:
	s_delay_alu instid0(SALU_CYCLE_1)
	s_and_b32 vcc_lo, exec_lo, s6
	s_mov_b32 s6, 0
	s_cbranch_vccz .LBB238_1885
; %bb.1884:
	s_cmp_lg_u32 s3, 11
	s_mov_b32 s6, -1
	s_cselect_b32 s0, -1, 0
.LBB238_1885:
	s_delay_alu instid0(SALU_CYCLE_1)
	s_and_b32 vcc_lo, exec_lo, s0
	s_cbranch_vccnz .LBB238_2135
; %bb.1886:
	s_and_not1_b32 vcc_lo, exec_lo, s6
	s_cbranch_vccnz .LBB238_1888
.LBB238_1887:
	s_wait_xcnt 0x0
	v_and_b32_e32 v1, 0x7fff, v6
	s_mov_b32 s7, -1
	s_delay_alu instid0(VALU_DEP_1)
	v_cmp_ne_u16_e32 vcc_lo, 0, v1
	v_cndmask_b32_e64 v1, 0, 1, vcc_lo
	global_store_b8 v[2:3], v1, off
.LBB238_1888:
	s_mov_b32 s0, 0
	s_branch .LBB238_1890
.LBB238_1889:
	s_mov_b32 s0, -1
	s_mov_b32 s7, 0
.LBB238_1890:
	s_and_b32 vcc_lo, exec_lo, s0
	s_cbranch_vccz .LBB238_1929
; %bb.1891:
	s_and_b32 s0, 0xffff, s15
	s_mov_b32 s3, -1
	s_cmp_lt_i32 s0, 5
	s_cbranch_scc1 .LBB238_1912
; %bb.1892:
	s_cmp_lt_i32 s0, 8
	s_cbranch_scc1 .LBB238_1902
; %bb.1893:
	;; [unrolled: 3-line block ×3, first 2 shown]
	s_cmp_gt_i32 s0, 9
	s_cbranch_scc0 .LBB238_1896
; %bb.1895:
	s_wait_xcnt 0x0
	v_dual_mov_b32 v12, 0 :: v_dual_lshlrev_b32 v1, 16, v6
	s_mov_b32 s3, 0
	s_delay_alu instid0(VALU_DEP_1) | instskip(NEXT) | instid1(VALU_DEP_2)
	v_cvt_f64_f32_e32 v[10:11], v1
	v_mov_b32_e32 v13, v12
	global_store_b128 v[2:3], v[10:13], off
.LBB238_1896:
	s_and_not1_b32 vcc_lo, exec_lo, s3
	s_cbranch_vccnz .LBB238_1898
; %bb.1897:
	s_wait_xcnt 0x0
	v_dual_mov_b32 v5, 0 :: v_dual_lshlrev_b32 v4, 16, v6
	global_store_b64 v[2:3], v[4:5], off
.LBB238_1898:
	s_mov_b32 s3, 0
.LBB238_1899:
	s_delay_alu instid0(SALU_CYCLE_1)
	s_and_not1_b32 vcc_lo, exec_lo, s3
	s_cbranch_vccnz .LBB238_1901
; %bb.1900:
	s_wait_xcnt 0x0
	v_lshlrev_b32_e32 v1, 16, v6
	s_delay_alu instid0(VALU_DEP_1) | instskip(NEXT) | instid1(VALU_DEP_1)
	v_cvt_f16_f32_e32 v1, v1
	v_and_b32_e32 v1, 0xffff, v1
	global_store_b32 v[2:3], v1, off
.LBB238_1901:
	s_mov_b32 s3, 0
.LBB238_1902:
	s_delay_alu instid0(SALU_CYCLE_1)
	s_and_not1_b32 vcc_lo, exec_lo, s3
	s_cbranch_vccnz .LBB238_1911
; %bb.1903:
	s_cmp_lt_i32 s0, 6
	s_mov_b32 s3, -1
	s_cbranch_scc1 .LBB238_1909
; %bb.1904:
	s_cmp_gt_i32 s0, 6
	s_cbranch_scc0 .LBB238_1906
; %bb.1905:
	s_wait_xcnt 0x0
	v_lshlrev_b32_e32 v1, 16, v6
	s_mov_b32 s3, 0
	s_delay_alu instid0(VALU_DEP_1)
	v_cvt_f64_f32_e32 v[4:5], v1
	global_store_b64 v[2:3], v[4:5], off
.LBB238_1906:
	s_and_not1_b32 vcc_lo, exec_lo, s3
	s_cbranch_vccnz .LBB238_1908
; %bb.1907:
	s_wait_xcnt 0x0
	v_lshlrev_b32_e32 v1, 16, v6
	global_store_b32 v[2:3], v1, off
.LBB238_1908:
	s_mov_b32 s3, 0
.LBB238_1909:
	s_delay_alu instid0(SALU_CYCLE_1)
	s_and_not1_b32 vcc_lo, exec_lo, s3
	s_cbranch_vccnz .LBB238_1911
; %bb.1910:
	s_wait_xcnt 0x0
	v_lshlrev_b32_e32 v1, 16, v6
	s_delay_alu instid0(VALU_DEP_1)
	v_cvt_f16_f32_e32 v1, v1
	global_store_b16 v[2:3], v1, off
.LBB238_1911:
	s_mov_b32 s3, 0
.LBB238_1912:
	s_delay_alu instid0(SALU_CYCLE_1)
	s_and_not1_b32 vcc_lo, exec_lo, s3
	s_cbranch_vccnz .LBB238_1928
; %bb.1913:
	s_cmp_lt_i32 s0, 2
	s_mov_b32 s3, -1
	s_cbranch_scc1 .LBB238_1923
; %bb.1914:
	s_cmp_lt_i32 s0, 3
	s_cbranch_scc1 .LBB238_1920
; %bb.1915:
	s_cmp_gt_i32 s0, 3
	s_cbranch_scc0 .LBB238_1917
; %bb.1916:
	s_wait_xcnt 0x0
	v_lshlrev_b32_e32 v1, 16, v6
	s_mov_b32 s3, 0
	s_delay_alu instid0(VALU_DEP_1) | instskip(NEXT) | instid1(VALU_DEP_1)
	v_trunc_f32_e32 v1, v1
	v_mul_f32_e64 v4, 0x2f800000, |v1|
	s_delay_alu instid0(VALU_DEP_1) | instskip(SKIP_1) | instid1(VALU_DEP_2)
	v_floor_f32_e32 v5, v4
	v_ashrrev_i32_e32 v4, 31, v1
	v_fma_f32 v9, 0xcf800000, v5, |v1|
	v_cvt_u32_f32_e32 v1, v5
	s_delay_alu instid0(VALU_DEP_3) | instskip(NEXT) | instid1(VALU_DEP_3)
	v_mov_b32_e32 v5, v4
	v_cvt_u32_f32_e32 v9, v9
	s_delay_alu instid0(VALU_DEP_3) | instskip(NEXT) | instid1(VALU_DEP_2)
	v_xor_b32_e32 v11, v1, v4
	v_xor_b32_e32 v10, v9, v4
	s_delay_alu instid0(VALU_DEP_1)
	v_sub_nc_u64_e32 v[4:5], v[10:11], v[4:5]
	global_store_b64 v[2:3], v[4:5], off
.LBB238_1917:
	s_and_not1_b32 vcc_lo, exec_lo, s3
	s_cbranch_vccnz .LBB238_1919
; %bb.1918:
	s_wait_xcnt 0x0
	v_lshlrev_b32_e32 v1, 16, v6
	s_delay_alu instid0(VALU_DEP_1)
	v_cvt_i32_f32_e32 v1, v1
	global_store_b32 v[2:3], v1, off
.LBB238_1919:
	s_mov_b32 s3, 0
.LBB238_1920:
	s_delay_alu instid0(SALU_CYCLE_1)
	s_and_not1_b32 vcc_lo, exec_lo, s3
	s_cbranch_vccnz .LBB238_1922
; %bb.1921:
	s_wait_xcnt 0x0
	v_lshlrev_b32_e32 v1, 16, v6
	s_delay_alu instid0(VALU_DEP_1)
	v_cvt_i32_f32_e32 v1, v1
	global_store_b16 v[2:3], v1, off
.LBB238_1922:
	s_mov_b32 s3, 0
.LBB238_1923:
	s_delay_alu instid0(SALU_CYCLE_1)
	s_and_not1_b32 vcc_lo, exec_lo, s3
	s_cbranch_vccnz .LBB238_1928
; %bb.1924:
	s_wait_xcnt 0x0
	v_lshlrev_b32_e32 v1, 16, v6
	s_cmp_gt_i32 s0, 0
	s_mov_b32 s0, -1
	s_cbranch_scc0 .LBB238_1926
; %bb.1925:
	s_delay_alu instid0(VALU_DEP_1)
	v_cvt_i32_f32_e32 v4, v1
	s_mov_b32 s0, 0
	global_store_b8 v[2:3], v4, off
.LBB238_1926:
	s_and_not1_b32 vcc_lo, exec_lo, s0
	s_cbranch_vccnz .LBB238_1928
; %bb.1927:
	v_trunc_f32_e32 v1, v1
	s_wait_xcnt 0x0
	s_delay_alu instid0(VALU_DEP_1) | instskip(NEXT) | instid1(VALU_DEP_1)
	v_mul_f32_e64 v4, 0x2f800000, |v1|
	v_floor_f32_e32 v4, v4
	s_delay_alu instid0(VALU_DEP_1) | instskip(SKIP_1) | instid1(VALU_DEP_2)
	v_fma_f32 v4, 0xcf800000, v4, |v1|
	v_ashrrev_i32_e32 v1, 31, v1
	v_cvt_u32_f32_e32 v4, v4
	s_delay_alu instid0(VALU_DEP_1) | instskip(NEXT) | instid1(VALU_DEP_1)
	v_xor_b32_e32 v4, v4, v1
	v_sub_nc_u32_e32 v1, v4, v1
	global_store_b8 v[2:3], v1, off
.LBB238_1928:
	s_mov_b32 s7, -1
.LBB238_1929:
	s_delay_alu instid0(SALU_CYCLE_1)
	s_and_not1_b32 vcc_lo, exec_lo, s7
	s_cbranch_vccnz .LBB238_2125
; %bb.1930:
	v_add_nc_u32_e32 v0, s2, v0
	s_cmp_lt_i32 s15, 11
	s_wait_xcnt 0x0
	s_delay_alu instid0(VALU_DEP_1) | instskip(NEXT) | instid1(VALU_DEP_1)
	v_ashrrev_i32_e32 v1, 31, v0
	v_add_nc_u64_e32 v[2:3], s[4:5], v[0:1]
	s_cbranch_scc1 .LBB238_2008
; %bb.1931:
	s_and_b32 s3, 0xffff, s15
	s_mov_b32 s8, -1
	s_mov_b32 s6, 0
	s_cmp_gt_i32 s3, 25
	s_mov_b32 s7, 0
	s_mov_b32 s0, 0
	s_cbranch_scc0 .LBB238_1964
; %bb.1932:
	s_cmp_gt_i32 s3, 28
	s_cbranch_scc0 .LBB238_1947
; %bb.1933:
	s_cmp_gt_i32 s3, 43
	;; [unrolled: 3-line block ×3, first 2 shown]
	s_cbranch_scc0 .LBB238_1937
; %bb.1935:
	s_mov_b32 s0, -1
	s_mov_b32 s8, 0
	s_cmp_eq_u32 s3, 46
	s_cbranch_scc0 .LBB238_1937
; %bb.1936:
	v_and_b32_e32 v1, 0xffff, v7
	s_mov_b32 s0, 0
	s_mov_b32 s7, -1
	global_store_b32 v[2:3], v1, off
.LBB238_1937:
	s_and_b32 vcc_lo, exec_lo, s8
	s_cbranch_vccz .LBB238_1942
; %bb.1938:
	s_cmp_eq_u32 s3, 44
	s_mov_b32 s0, -1
	s_cbranch_scc0 .LBB238_1942
; %bb.1939:
	s_wait_xcnt 0x0
	v_and_b32_e32 v1, 0xffff, v7
	v_mov_b32_e32 v4, 0xff
	s_mov_b32 s7, exec_lo
	s_delay_alu instid0(VALU_DEP_2) | instskip(NEXT) | instid1(VALU_DEP_1)
	v_bfe_u32 v5, v1, 7, 8
	v_cmpx_ne_u32_e32 0xff, v5
	s_cbranch_execz .LBB238_1941
; %bb.1940:
	v_dual_lshlrev_b32 v4, 16, v1 :: v_dual_bitop2_b32 v6, 64, v1 bitop3:0x40
	v_lshrrev_b32_e32 v1, 7, v1
	s_delay_alu instid0(VALU_DEP_2) | instskip(NEXT) | instid1(VALU_DEP_3)
	v_and_or_b32 v4, 0x3f0000, v4, v5
	v_cmp_ne_u32_e32 vcc_lo, 0, v6
	s_delay_alu instid0(VALU_DEP_2) | instskip(SKIP_1) | instid1(SALU_CYCLE_1)
	v_cmp_ne_u32_e64 s0, 0, v4
	s_and_b32 s0, vcc_lo, s0
	v_cndmask_b32_e64 v4, 0, 1, s0
	s_delay_alu instid0(VALU_DEP_1)
	v_add_nc_u32_e32 v4, v1, v4
.LBB238_1941:
	s_or_b32 exec_lo, exec_lo, s7
	s_mov_b32 s0, 0
	s_mov_b32 s7, -1
	global_store_b8 v[2:3], v4, off
.LBB238_1942:
	s_mov_b32 s8, 0
.LBB238_1943:
	s_delay_alu instid0(SALU_CYCLE_1)
	s_and_b32 vcc_lo, exec_lo, s8
	s_cbranch_vccz .LBB238_1946
; %bb.1944:
	s_cmp_eq_u32 s3, 29
	s_mov_b32 s0, -1
	s_cbranch_scc0 .LBB238_1946
; %bb.1945:
	s_wait_xcnt 0x0
	v_lshlrev_b32_e32 v1, 16, v7
	s_mov_b32 s0, 0
	s_mov_b32 s7, -1
	s_delay_alu instid0(VALU_DEP_1) | instskip(NEXT) | instid1(VALU_DEP_1)
	v_trunc_f32_e32 v1, v1
	v_mul_f32_e32 v4, 0x2f800000, v1
	s_delay_alu instid0(VALU_DEP_1) | instskip(NEXT) | instid1(VALU_DEP_1)
	v_floor_f32_e32 v4, v4
	v_fmamk_f32 v1, v4, 0xcf800000, v1
	v_cvt_u32_f32_e32 v5, v4
	s_delay_alu instid0(VALU_DEP_2)
	v_cvt_u32_f32_e32 v4, v1
	global_store_b64 v[2:3], v[4:5], off
.LBB238_1946:
	s_mov_b32 s8, 0
.LBB238_1947:
	s_delay_alu instid0(SALU_CYCLE_1)
	s_and_b32 vcc_lo, exec_lo, s8
	s_cbranch_vccz .LBB238_1963
; %bb.1948:
	s_cmp_lt_i32 s3, 27
	s_mov_b32 s7, -1
	s_cbranch_scc1 .LBB238_1954
; %bb.1949:
	s_cmp_gt_i32 s3, 27
	s_cbranch_scc0 .LBB238_1951
; %bb.1950:
	s_wait_xcnt 0x0
	v_lshlrev_b32_e32 v1, 16, v7
	s_mov_b32 s7, 0
	s_delay_alu instid0(VALU_DEP_1)
	v_cvt_u32_f32_e32 v1, v1
	global_store_b32 v[2:3], v1, off
.LBB238_1951:
	s_and_not1_b32 vcc_lo, exec_lo, s7
	s_cbranch_vccnz .LBB238_1953
; %bb.1952:
	s_wait_xcnt 0x0
	v_lshlrev_b32_e32 v1, 16, v7
	s_delay_alu instid0(VALU_DEP_1)
	v_cvt_u32_f32_e32 v1, v1
	global_store_b16 v[2:3], v1, off
.LBB238_1953:
	s_mov_b32 s7, 0
.LBB238_1954:
	s_delay_alu instid0(SALU_CYCLE_1)
	s_and_not1_b32 vcc_lo, exec_lo, s7
	s_cbranch_vccnz .LBB238_1962
; %bb.1955:
	s_wait_xcnt 0x0
	v_dual_mov_b32 v6, 0x80 :: v_dual_lshlrev_b32 v5, 16, v7
	s_mov_b32 s7, exec_lo
	s_delay_alu instid0(VALU_DEP_1) | instskip(NEXT) | instid1(VALU_DEP_1)
	v_and_b32_e32 v4, 0x7fffffff, v5
	v_cmpx_gt_u32_e32 0x43800000, v4
	s_cbranch_execz .LBB238_1961
; %bb.1956:
	v_and_b32_e32 v1, 0xffff, v7
	v_cmp_lt_u32_e32 vcc_lo, 0x3bffffff, v4
	s_mov_b32 s8, 0
                                        ; implicit-def: $vgpr4
	s_and_saveexec_b32 s9, vcc_lo
	s_delay_alu instid0(SALU_CYCLE_1)
	s_xor_b32 s9, exec_lo, s9
	s_cbranch_execz .LBB238_2138
; %bb.1957:
	v_bfe_u32 v4, v1, 4, 1
	s_mov_b32 s8, exec_lo
	s_delay_alu instid0(VALU_DEP_1) | instskip(NEXT) | instid1(VALU_DEP_1)
	v_add3_u32 v4, v5, v4, 0x487ffff
                                        ; implicit-def: $vgpr5
	v_lshrrev_b32_e32 v4, 20, v4
	s_and_not1_saveexec_b32 s9, s9
	s_cbranch_execnz .LBB238_2139
.LBB238_1958:
	s_or_b32 exec_lo, exec_lo, s9
	v_mov_b32_e32 v6, 0
	s_and_saveexec_b32 s9, s8
.LBB238_1959:
	v_lshrrev_b32_e32 v1, 8, v1
	s_delay_alu instid0(VALU_DEP_1)
	v_and_or_b32 v6, 0x80, v1, v4
.LBB238_1960:
	s_or_b32 exec_lo, exec_lo, s9
.LBB238_1961:
	s_delay_alu instid0(SALU_CYCLE_1)
	s_or_b32 exec_lo, exec_lo, s7
	global_store_b8 v[2:3], v6, off
.LBB238_1962:
	s_mov_b32 s7, -1
.LBB238_1963:
	s_mov_b32 s8, 0
.LBB238_1964:
	s_delay_alu instid0(SALU_CYCLE_1)
	s_and_b32 vcc_lo, exec_lo, s8
	s_cbranch_vccz .LBB238_2004
; %bb.1965:
	s_cmp_gt_i32 s3, 22
	s_mov_b32 s6, -1
	s_cbranch_scc0 .LBB238_1997
; %bb.1966:
	s_cmp_lt_i32 s3, 24
	s_cbranch_scc1 .LBB238_1986
; %bb.1967:
	s_cmp_gt_i32 s3, 24
	s_cbranch_scc0 .LBB238_1975
; %bb.1968:
	s_wait_xcnt 0x0
	v_dual_mov_b32 v6, 0x80 :: v_dual_lshlrev_b32 v5, 16, v7
	s_mov_b32 s6, exec_lo
	s_delay_alu instid0(VALU_DEP_1) | instskip(NEXT) | instid1(VALU_DEP_1)
	v_and_b32_e32 v4, 0x7fffffff, v5
	v_cmpx_gt_u32_e32 0x47800000, v4
	s_cbranch_execz .LBB238_1974
; %bb.1969:
	v_and_b32_e32 v1, 0xffff, v7
	v_cmp_lt_u32_e32 vcc_lo, 0x37ffffff, v4
	s_mov_b32 s7, 0
                                        ; implicit-def: $vgpr4
	s_and_saveexec_b32 s8, vcc_lo
	s_delay_alu instid0(SALU_CYCLE_1)
	s_xor_b32 s8, exec_lo, s8
	s_cbranch_execz .LBB238_2141
; %bb.1970:
	v_bfe_u32 v4, v1, 5, 1
	s_mov_b32 s7, exec_lo
	s_delay_alu instid0(VALU_DEP_1) | instskip(NEXT) | instid1(VALU_DEP_1)
	v_add3_u32 v4, v5, v4, 0x88fffff
                                        ; implicit-def: $vgpr5
	v_lshrrev_b32_e32 v4, 21, v4
	s_and_not1_saveexec_b32 s8, s8
	s_cbranch_execnz .LBB238_2142
.LBB238_1971:
	s_or_b32 exec_lo, exec_lo, s8
	v_mov_b32_e32 v6, 0
	s_and_saveexec_b32 s8, s7
.LBB238_1972:
	v_lshrrev_b32_e32 v1, 8, v1
	s_delay_alu instid0(VALU_DEP_1)
	v_and_or_b32 v6, 0x80, v1, v4
.LBB238_1973:
	s_or_b32 exec_lo, exec_lo, s8
.LBB238_1974:
	s_delay_alu instid0(SALU_CYCLE_1)
	s_or_b32 exec_lo, exec_lo, s6
	s_mov_b32 s6, 0
	global_store_b8 v[2:3], v6, off
.LBB238_1975:
	s_and_b32 vcc_lo, exec_lo, s6
	s_cbranch_vccz .LBB238_1985
; %bb.1976:
	s_wait_xcnt 0x0
	v_lshlrev_b32_e32 v5, 16, v7
	v_and_b32_e32 v1, 0xffff, v7
	s_mov_b32 s6, exec_lo
                                        ; implicit-def: $vgpr4
	s_delay_alu instid0(VALU_DEP_2) | instskip(NEXT) | instid1(VALU_DEP_1)
	v_and_b32_e32 v6, 0x7fffffff, v5
	v_cmpx_gt_u32_e32 0x43f00000, v6
	s_xor_b32 s6, exec_lo, s6
	s_cbranch_execz .LBB238_1982
; %bb.1977:
	s_mov_b32 s7, exec_lo
                                        ; implicit-def: $vgpr4
	v_cmpx_lt_u32_e32 0x3c7fffff, v6
	s_xor_b32 s7, exec_lo, s7
; %bb.1978:
	v_bfe_u32 v4, v1, 4, 1
	s_delay_alu instid0(VALU_DEP_1) | instskip(NEXT) | instid1(VALU_DEP_1)
	v_add3_u32 v4, v5, v4, 0x407ffff
	v_and_b32_e32 v5, 0xff00000, v4
	v_lshrrev_b32_e32 v4, 20, v4
	s_delay_alu instid0(VALU_DEP_2) | instskip(NEXT) | instid1(VALU_DEP_2)
	v_cmp_ne_u32_e32 vcc_lo, 0x7f00000, v5
                                        ; implicit-def: $vgpr5
	v_cndmask_b32_e32 v4, 0x7e, v4, vcc_lo
; %bb.1979:
	s_and_not1_saveexec_b32 s7, s7
; %bb.1980:
	v_add_f32_e64 v4, 0x46800000, |v5|
; %bb.1981:
	s_or_b32 exec_lo, exec_lo, s7
                                        ; implicit-def: $vgpr6
.LBB238_1982:
	s_and_not1_saveexec_b32 s6, s6
; %bb.1983:
	v_mov_b32_e32 v4, 0x7f
	v_cmp_lt_u32_e32 vcc_lo, 0x7f800000, v6
	s_delay_alu instid0(VALU_DEP_2)
	v_cndmask_b32_e32 v4, 0x7e, v4, vcc_lo
; %bb.1984:
	s_or_b32 exec_lo, exec_lo, s6
	v_lshrrev_b32_e32 v1, 8, v1
	s_delay_alu instid0(VALU_DEP_1)
	v_and_or_b32 v1, 0x80, v1, v4
	global_store_b8 v[2:3], v1, off
.LBB238_1985:
	s_mov_b32 s6, 0
.LBB238_1986:
	s_delay_alu instid0(SALU_CYCLE_1)
	s_and_not1_b32 vcc_lo, exec_lo, s6
	s_cbranch_vccnz .LBB238_1996
; %bb.1987:
	s_wait_xcnt 0x0
	v_lshlrev_b32_e32 v5, 16, v7
	v_and_b32_e32 v1, 0xffff, v7
	s_mov_b32 s6, exec_lo
                                        ; implicit-def: $vgpr4
	s_delay_alu instid0(VALU_DEP_2) | instskip(NEXT) | instid1(VALU_DEP_1)
	v_and_b32_e32 v6, 0x7fffffff, v5
	v_cmpx_gt_u32_e32 0x47800000, v6
	s_xor_b32 s6, exec_lo, s6
	s_cbranch_execz .LBB238_1993
; %bb.1988:
	s_mov_b32 s7, exec_lo
                                        ; implicit-def: $vgpr4
	v_cmpx_lt_u32_e32 0x387fffff, v6
	s_xor_b32 s7, exec_lo, s7
; %bb.1989:
	v_bfe_u32 v4, v1, 5, 1
	s_delay_alu instid0(VALU_DEP_1) | instskip(NEXT) | instid1(VALU_DEP_1)
	v_add3_u32 v4, v5, v4, 0x80fffff
                                        ; implicit-def: $vgpr5
	v_lshrrev_b32_e32 v4, 21, v4
; %bb.1990:
	s_and_not1_saveexec_b32 s7, s7
; %bb.1991:
	v_add_f32_e64 v4, 0x43000000, |v5|
; %bb.1992:
	s_or_b32 exec_lo, exec_lo, s7
                                        ; implicit-def: $vgpr6
.LBB238_1993:
	s_and_not1_saveexec_b32 s6, s6
; %bb.1994:
	v_mov_b32_e32 v4, 0x7f
	v_cmp_lt_u32_e32 vcc_lo, 0x7f800000, v6
	s_delay_alu instid0(VALU_DEP_2)
	v_cndmask_b32_e32 v4, 0x7c, v4, vcc_lo
; %bb.1995:
	s_or_b32 exec_lo, exec_lo, s6
	v_lshrrev_b32_e32 v1, 8, v1
	s_delay_alu instid0(VALU_DEP_1)
	v_and_or_b32 v1, 0x80, v1, v4
	global_store_b8 v[2:3], v1, off
.LBB238_1996:
	s_mov_b32 s6, 0
	s_mov_b32 s7, -1
.LBB238_1997:
	s_and_not1_b32 vcc_lo, exec_lo, s6
	s_mov_b32 s6, 0
	s_cbranch_vccnz .LBB238_2004
; %bb.1998:
	s_cmp_gt_i32 s3, 14
	s_mov_b32 s6, -1
	s_cbranch_scc0 .LBB238_2002
; %bb.1999:
	s_cmp_eq_u32 s3, 15
	s_mov_b32 s0, -1
	s_cbranch_scc0 .LBB238_2001
; %bb.2000:
	s_mov_b32 s0, 0
	s_mov_b32 s7, -1
	global_store_b16 v[2:3], v7, off
.LBB238_2001:
	s_mov_b32 s6, 0
.LBB238_2002:
	s_delay_alu instid0(SALU_CYCLE_1)
	s_and_b32 vcc_lo, exec_lo, s6
	s_mov_b32 s6, 0
	s_cbranch_vccz .LBB238_2004
; %bb.2003:
	s_cmp_lg_u32 s3, 11
	s_mov_b32 s6, -1
	s_cselect_b32 s0, -1, 0
.LBB238_2004:
	s_delay_alu instid0(SALU_CYCLE_1)
	s_and_b32 vcc_lo, exec_lo, s0
	s_cbranch_vccnz .LBB238_2140
; %bb.2005:
	s_and_not1_b32 vcc_lo, exec_lo, s6
	s_cbranch_vccnz .LBB238_2007
.LBB238_2006:
	s_wait_xcnt 0x0
	v_and_b32_e32 v1, 0x7fff, v7
	s_mov_b32 s7, -1
	s_delay_alu instid0(VALU_DEP_1)
	v_cmp_ne_u16_e32 vcc_lo, 0, v1
	v_cndmask_b32_e64 v1, 0, 1, vcc_lo
	global_store_b8 v[2:3], v1, off
.LBB238_2007:
	s_mov_b32 s0, 0
	s_branch .LBB238_2009
.LBB238_2008:
	s_mov_b32 s0, -1
	s_mov_b32 s7, 0
.LBB238_2009:
	s_and_b32 vcc_lo, exec_lo, s0
	s_cbranch_vccz .LBB238_2048
; %bb.2010:
	s_and_b32 s0, 0xffff, s15
	s_mov_b32 s3, -1
	s_cmp_lt_i32 s0, 5
	s_cbranch_scc1 .LBB238_2031
; %bb.2011:
	s_cmp_lt_i32 s0, 8
	s_cbranch_scc1 .LBB238_2021
; %bb.2012:
	;; [unrolled: 3-line block ×3, first 2 shown]
	s_cmp_gt_i32 s0, 9
	s_cbranch_scc0 .LBB238_2015
; %bb.2014:
	s_wait_xcnt 0x0
	v_dual_mov_b32 v12, 0 :: v_dual_lshlrev_b32 v1, 16, v7
	s_mov_b32 s3, 0
	s_delay_alu instid0(VALU_DEP_1) | instskip(NEXT) | instid1(VALU_DEP_2)
	v_cvt_f64_f32_e32 v[10:11], v1
	v_mov_b32_e32 v13, v12
	global_store_b128 v[2:3], v[10:13], off
.LBB238_2015:
	s_and_not1_b32 vcc_lo, exec_lo, s3
	s_cbranch_vccnz .LBB238_2017
; %bb.2016:
	s_wait_xcnt 0x0
	v_dual_mov_b32 v5, 0 :: v_dual_lshlrev_b32 v4, 16, v7
	global_store_b64 v[2:3], v[4:5], off
.LBB238_2017:
	s_mov_b32 s3, 0
.LBB238_2018:
	s_delay_alu instid0(SALU_CYCLE_1)
	s_and_not1_b32 vcc_lo, exec_lo, s3
	s_cbranch_vccnz .LBB238_2020
; %bb.2019:
	s_wait_xcnt 0x0
	v_lshlrev_b32_e32 v1, 16, v7
	s_delay_alu instid0(VALU_DEP_1) | instskip(NEXT) | instid1(VALU_DEP_1)
	v_cvt_f16_f32_e32 v1, v1
	v_and_b32_e32 v1, 0xffff, v1
	global_store_b32 v[2:3], v1, off
.LBB238_2020:
	s_mov_b32 s3, 0
.LBB238_2021:
	s_delay_alu instid0(SALU_CYCLE_1)
	s_and_not1_b32 vcc_lo, exec_lo, s3
	s_cbranch_vccnz .LBB238_2030
; %bb.2022:
	s_cmp_lt_i32 s0, 6
	s_mov_b32 s3, -1
	s_cbranch_scc1 .LBB238_2028
; %bb.2023:
	s_cmp_gt_i32 s0, 6
	s_cbranch_scc0 .LBB238_2025
; %bb.2024:
	s_wait_xcnt 0x0
	v_lshlrev_b32_e32 v1, 16, v7
	s_mov_b32 s3, 0
	s_delay_alu instid0(VALU_DEP_1)
	v_cvt_f64_f32_e32 v[4:5], v1
	global_store_b64 v[2:3], v[4:5], off
.LBB238_2025:
	s_and_not1_b32 vcc_lo, exec_lo, s3
	s_cbranch_vccnz .LBB238_2027
; %bb.2026:
	s_wait_xcnt 0x0
	v_lshlrev_b32_e32 v1, 16, v7
	global_store_b32 v[2:3], v1, off
.LBB238_2027:
	s_mov_b32 s3, 0
.LBB238_2028:
	s_delay_alu instid0(SALU_CYCLE_1)
	s_and_not1_b32 vcc_lo, exec_lo, s3
	s_cbranch_vccnz .LBB238_2030
; %bb.2029:
	s_wait_xcnt 0x0
	v_lshlrev_b32_e32 v1, 16, v7
	s_delay_alu instid0(VALU_DEP_1)
	v_cvt_f16_f32_e32 v1, v1
	global_store_b16 v[2:3], v1, off
.LBB238_2030:
	s_mov_b32 s3, 0
.LBB238_2031:
	s_delay_alu instid0(SALU_CYCLE_1)
	s_and_not1_b32 vcc_lo, exec_lo, s3
	s_cbranch_vccnz .LBB238_2047
; %bb.2032:
	s_cmp_lt_i32 s0, 2
	s_mov_b32 s3, -1
	s_cbranch_scc1 .LBB238_2042
; %bb.2033:
	s_cmp_lt_i32 s0, 3
	s_cbranch_scc1 .LBB238_2039
; %bb.2034:
	s_cmp_gt_i32 s0, 3
	s_cbranch_scc0 .LBB238_2036
; %bb.2035:
	s_wait_xcnt 0x0
	v_lshlrev_b32_e32 v1, 16, v7
	s_mov_b32 s3, 0
	s_delay_alu instid0(VALU_DEP_1) | instskip(NEXT) | instid1(VALU_DEP_1)
	v_trunc_f32_e32 v1, v1
	v_mul_f32_e64 v4, 0x2f800000, |v1|
	s_delay_alu instid0(VALU_DEP_1) | instskip(SKIP_1) | instid1(VALU_DEP_2)
	v_floor_f32_e32 v5, v4
	v_ashrrev_i32_e32 v4, 31, v1
	v_fma_f32 v6, 0xcf800000, v5, |v1|
	v_cvt_u32_f32_e32 v1, v5
	s_delay_alu instid0(VALU_DEP_3) | instskip(NEXT) | instid1(VALU_DEP_3)
	v_mov_b32_e32 v5, v4
	v_cvt_u32_f32_e32 v6, v6
	s_delay_alu instid0(VALU_DEP_3) | instskip(NEXT) | instid1(VALU_DEP_2)
	v_xor_b32_e32 v11, v1, v4
	v_xor_b32_e32 v10, v6, v4
	s_delay_alu instid0(VALU_DEP_1)
	v_sub_nc_u64_e32 v[4:5], v[10:11], v[4:5]
	global_store_b64 v[2:3], v[4:5], off
.LBB238_2036:
	s_and_not1_b32 vcc_lo, exec_lo, s3
	s_cbranch_vccnz .LBB238_2038
; %bb.2037:
	s_wait_xcnt 0x0
	v_lshlrev_b32_e32 v1, 16, v7
	s_delay_alu instid0(VALU_DEP_1)
	v_cvt_i32_f32_e32 v1, v1
	global_store_b32 v[2:3], v1, off
.LBB238_2038:
	s_mov_b32 s3, 0
.LBB238_2039:
	s_delay_alu instid0(SALU_CYCLE_1)
	s_and_not1_b32 vcc_lo, exec_lo, s3
	s_cbranch_vccnz .LBB238_2041
; %bb.2040:
	s_wait_xcnt 0x0
	v_lshlrev_b32_e32 v1, 16, v7
	s_delay_alu instid0(VALU_DEP_1)
	v_cvt_i32_f32_e32 v1, v1
	global_store_b16 v[2:3], v1, off
.LBB238_2041:
	s_mov_b32 s3, 0
.LBB238_2042:
	s_delay_alu instid0(SALU_CYCLE_1)
	s_and_not1_b32 vcc_lo, exec_lo, s3
	s_cbranch_vccnz .LBB238_2047
; %bb.2043:
	s_wait_xcnt 0x0
	v_lshlrev_b32_e32 v1, 16, v7
	s_cmp_gt_i32 s0, 0
	s_mov_b32 s0, -1
	s_cbranch_scc0 .LBB238_2045
; %bb.2044:
	s_delay_alu instid0(VALU_DEP_1)
	v_cvt_i32_f32_e32 v4, v1
	s_mov_b32 s0, 0
	global_store_b8 v[2:3], v4, off
.LBB238_2045:
	s_and_not1_b32 vcc_lo, exec_lo, s0
	s_cbranch_vccnz .LBB238_2047
; %bb.2046:
	v_trunc_f32_e32 v1, v1
	s_wait_xcnt 0x0
	s_delay_alu instid0(VALU_DEP_1) | instskip(NEXT) | instid1(VALU_DEP_1)
	v_mul_f32_e64 v4, 0x2f800000, |v1|
	v_floor_f32_e32 v4, v4
	s_delay_alu instid0(VALU_DEP_1) | instskip(SKIP_1) | instid1(VALU_DEP_2)
	v_fma_f32 v4, 0xcf800000, v4, |v1|
	v_ashrrev_i32_e32 v1, 31, v1
	v_cvt_u32_f32_e32 v4, v4
	s_delay_alu instid0(VALU_DEP_1) | instskip(NEXT) | instid1(VALU_DEP_1)
	v_xor_b32_e32 v4, v4, v1
	v_sub_nc_u32_e32 v1, v4, v1
	global_store_b8 v[2:3], v1, off
.LBB238_2047:
	s_mov_b32 s7, -1
.LBB238_2048:
	s_delay_alu instid0(SALU_CYCLE_1)
	s_and_not1_b32 vcc_lo, exec_lo, s7
	s_cbranch_vccnz .LBB238_2125
; %bb.2049:
	v_add_nc_u32_e32 v0, s2, v0
	s_cmp_lt_i32 s15, 11
	s_wait_xcnt 0x0
	s_delay_alu instid0(VALU_DEP_1) | instskip(NEXT) | instid1(VALU_DEP_1)
	v_ashrrev_i32_e32 v1, 31, v0
	v_add_nc_u64_e32 v[0:1], s[4:5], v[0:1]
	s_cbranch_scc1 .LBB238_2126
; %bb.2050:
	s_and_b32 s2, 0xffff, s15
	s_mov_b32 s4, -1
	s_mov_b32 s3, 0
	s_cmp_gt_i32 s2, 25
	s_mov_b32 s0, 0
	s_cbranch_scc0 .LBB238_2083
; %bb.2051:
	s_cmp_gt_i32 s2, 28
	s_cbranch_scc0 .LBB238_2067
; %bb.2052:
	s_cmp_gt_i32 s2, 43
	;; [unrolled: 3-line block ×3, first 2 shown]
	s_cbranch_scc0 .LBB238_2057
; %bb.2054:
	s_cmp_eq_u32 s2, 46
	s_mov_b32 s0, -1
	s_cbranch_scc0 .LBB238_2056
; %bb.2055:
	v_and_b32_e32 v2, 0xffff, v8
	s_mov_b32 s0, 0
	global_store_b32 v[0:1], v2, off
.LBB238_2056:
	s_mov_b32 s4, 0
.LBB238_2057:
	s_delay_alu instid0(SALU_CYCLE_1)
	s_and_b32 vcc_lo, exec_lo, s4
	s_cbranch_vccz .LBB238_2062
; %bb.2058:
	s_cmp_eq_u32 s2, 44
	s_mov_b32 s0, -1
	s_cbranch_scc0 .LBB238_2062
; %bb.2059:
	s_wait_xcnt 0x0
	v_and_b32_e32 v2, 0xffff, v8
	v_mov_b32_e32 v3, 0xff
	s_mov_b32 s4, exec_lo
	s_delay_alu instid0(VALU_DEP_2) | instskip(NEXT) | instid1(VALU_DEP_1)
	v_bfe_u32 v4, v2, 7, 8
	v_cmpx_ne_u32_e32 0xff, v4
	s_cbranch_execz .LBB238_2061
; %bb.2060:
	v_dual_lshlrev_b32 v3, 16, v2 :: v_dual_bitop2_b32 v5, 64, v2 bitop3:0x40
	v_lshrrev_b32_e32 v2, 7, v2
	s_delay_alu instid0(VALU_DEP_2) | instskip(NEXT) | instid1(VALU_DEP_3)
	v_and_or_b32 v3, 0x3f0000, v3, v4
	v_cmp_ne_u32_e32 vcc_lo, 0, v5
	s_delay_alu instid0(VALU_DEP_2) | instskip(SKIP_1) | instid1(SALU_CYCLE_1)
	v_cmp_ne_u32_e64 s0, 0, v3
	s_and_b32 s0, vcc_lo, s0
	v_cndmask_b32_e64 v3, 0, 1, s0
	s_delay_alu instid0(VALU_DEP_1)
	v_add_nc_u32_e32 v3, v2, v3
.LBB238_2061:
	s_or_b32 exec_lo, exec_lo, s4
	s_mov_b32 s0, 0
	global_store_b8 v[0:1], v3, off
.LBB238_2062:
	s_mov_b32 s4, 0
.LBB238_2063:
	s_delay_alu instid0(SALU_CYCLE_1)
	s_and_b32 vcc_lo, exec_lo, s4
	s_cbranch_vccz .LBB238_2066
; %bb.2064:
	s_cmp_eq_u32 s2, 29
	s_mov_b32 s0, -1
	s_cbranch_scc0 .LBB238_2066
; %bb.2065:
	s_wait_xcnt 0x0
	v_lshlrev_b32_e32 v2, 16, v8
	s_mov_b32 s0, 0
	s_delay_alu instid0(VALU_DEP_1) | instskip(NEXT) | instid1(VALU_DEP_1)
	v_trunc_f32_e32 v2, v2
	v_mul_f32_e32 v3, 0x2f800000, v2
	s_delay_alu instid0(VALU_DEP_1) | instskip(NEXT) | instid1(VALU_DEP_1)
	v_floor_f32_e32 v3, v3
	v_fmamk_f32 v2, v3, 0xcf800000, v2
	v_cvt_u32_f32_e32 v3, v3
	s_delay_alu instid0(VALU_DEP_2)
	v_cvt_u32_f32_e32 v2, v2
	global_store_b64 v[0:1], v[2:3], off
.LBB238_2066:
	s_mov_b32 s4, 0
.LBB238_2067:
	s_delay_alu instid0(SALU_CYCLE_1)
	s_and_b32 vcc_lo, exec_lo, s4
	s_cbranch_vccz .LBB238_2082
; %bb.2068:
	s_cmp_lt_i32 s2, 27
	s_mov_b32 s4, -1
	s_cbranch_scc1 .LBB238_2074
; %bb.2069:
	s_cmp_gt_i32 s2, 27
	s_cbranch_scc0 .LBB238_2071
; %bb.2070:
	s_wait_xcnt 0x0
	v_lshlrev_b32_e32 v2, 16, v8
	s_mov_b32 s4, 0
	s_delay_alu instid0(VALU_DEP_1)
	v_cvt_u32_f32_e32 v2, v2
	global_store_b32 v[0:1], v2, off
.LBB238_2071:
	s_and_not1_b32 vcc_lo, exec_lo, s4
	s_cbranch_vccnz .LBB238_2073
; %bb.2072:
	s_wait_xcnt 0x0
	v_lshlrev_b32_e32 v2, 16, v8
	s_delay_alu instid0(VALU_DEP_1)
	v_cvt_u32_f32_e32 v2, v2
	global_store_b16 v[0:1], v2, off
.LBB238_2073:
	s_mov_b32 s4, 0
.LBB238_2074:
	s_delay_alu instid0(SALU_CYCLE_1)
	s_and_not1_b32 vcc_lo, exec_lo, s4
	s_cbranch_vccnz .LBB238_2082
; %bb.2075:
	v_dual_mov_b32 v5, 0x80 :: v_dual_lshlrev_b32 v4, 16, v8
	s_mov_b32 s4, exec_lo
	s_wait_xcnt 0x0
	s_delay_alu instid0(VALU_DEP_1) | instskip(NEXT) | instid1(VALU_DEP_1)
	v_and_b32_e32 v3, 0x7fffffff, v4
	v_cmpx_gt_u32_e32 0x43800000, v3
	s_cbranch_execz .LBB238_2081
; %bb.2076:
	v_and_b32_e32 v2, 0xffff, v8
	v_cmp_lt_u32_e32 vcc_lo, 0x3bffffff, v3
	s_mov_b32 s5, 0
                                        ; implicit-def: $vgpr3
	s_and_saveexec_b32 s6, vcc_lo
	s_delay_alu instid0(SALU_CYCLE_1)
	s_xor_b32 s6, exec_lo, s6
	s_cbranch_execz .LBB238_2143
; %bb.2077:
	v_bfe_u32 v3, v2, 4, 1
	s_mov_b32 s5, exec_lo
	s_delay_alu instid0(VALU_DEP_1) | instskip(NEXT) | instid1(VALU_DEP_1)
	v_add3_u32 v3, v4, v3, 0x487ffff
                                        ; implicit-def: $vgpr4
	v_lshrrev_b32_e32 v3, 20, v3
	s_and_not1_saveexec_b32 s6, s6
	s_cbranch_execnz .LBB238_2144
.LBB238_2078:
	s_or_b32 exec_lo, exec_lo, s6
	v_mov_b32_e32 v5, 0
	s_and_saveexec_b32 s6, s5
.LBB238_2079:
	v_lshrrev_b32_e32 v2, 8, v2
	s_delay_alu instid0(VALU_DEP_1)
	v_and_or_b32 v5, 0x80, v2, v3
.LBB238_2080:
	s_or_b32 exec_lo, exec_lo, s6
.LBB238_2081:
	s_delay_alu instid0(SALU_CYCLE_1)
	s_or_b32 exec_lo, exec_lo, s4
	global_store_b8 v[0:1], v5, off
.LBB238_2082:
	s_mov_b32 s4, 0
.LBB238_2083:
	s_delay_alu instid0(SALU_CYCLE_1)
	s_and_b32 vcc_lo, exec_lo, s4
	s_cbranch_vccz .LBB238_2123
; %bb.2084:
	s_cmp_gt_i32 s2, 22
	s_mov_b32 s3, -1
	s_cbranch_scc0 .LBB238_2116
; %bb.2085:
	s_cmp_lt_i32 s2, 24
	s_cbranch_scc1 .LBB238_2105
; %bb.2086:
	s_cmp_gt_i32 s2, 24
	s_cbranch_scc0 .LBB238_2094
; %bb.2087:
	s_wait_xcnt 0x0
	v_dual_mov_b32 v5, 0x80 :: v_dual_lshlrev_b32 v4, 16, v8
	s_mov_b32 s3, exec_lo
	s_delay_alu instid0(VALU_DEP_1) | instskip(NEXT) | instid1(VALU_DEP_1)
	v_and_b32_e32 v3, 0x7fffffff, v4
	v_cmpx_gt_u32_e32 0x47800000, v3
	s_cbranch_execz .LBB238_2093
; %bb.2088:
	v_and_b32_e32 v2, 0xffff, v8
	v_cmp_lt_u32_e32 vcc_lo, 0x37ffffff, v3
	s_mov_b32 s4, 0
                                        ; implicit-def: $vgpr3
	s_and_saveexec_b32 s5, vcc_lo
	s_delay_alu instid0(SALU_CYCLE_1)
	s_xor_b32 s5, exec_lo, s5
	s_cbranch_execz .LBB238_2146
; %bb.2089:
	v_bfe_u32 v3, v2, 5, 1
	s_mov_b32 s4, exec_lo
	s_delay_alu instid0(VALU_DEP_1) | instskip(NEXT) | instid1(VALU_DEP_1)
	v_add3_u32 v3, v4, v3, 0x88fffff
                                        ; implicit-def: $vgpr4
	v_lshrrev_b32_e32 v3, 21, v3
	s_and_not1_saveexec_b32 s5, s5
	s_cbranch_execnz .LBB238_2147
.LBB238_2090:
	s_or_b32 exec_lo, exec_lo, s5
	v_mov_b32_e32 v5, 0
	s_and_saveexec_b32 s5, s4
.LBB238_2091:
	v_lshrrev_b32_e32 v2, 8, v2
	s_delay_alu instid0(VALU_DEP_1)
	v_and_or_b32 v5, 0x80, v2, v3
.LBB238_2092:
	s_or_b32 exec_lo, exec_lo, s5
.LBB238_2093:
	s_delay_alu instid0(SALU_CYCLE_1)
	s_or_b32 exec_lo, exec_lo, s3
	s_mov_b32 s3, 0
	global_store_b8 v[0:1], v5, off
.LBB238_2094:
	s_and_b32 vcc_lo, exec_lo, s3
	s_cbranch_vccz .LBB238_2104
; %bb.2095:
	v_lshlrev_b32_e32 v4, 16, v8
	s_wait_xcnt 0x0
	v_and_b32_e32 v2, 0xffff, v8
	s_mov_b32 s3, exec_lo
                                        ; implicit-def: $vgpr3
	s_delay_alu instid0(VALU_DEP_2) | instskip(NEXT) | instid1(VALU_DEP_1)
	v_and_b32_e32 v5, 0x7fffffff, v4
	v_cmpx_gt_u32_e32 0x43f00000, v5
	s_xor_b32 s3, exec_lo, s3
	s_cbranch_execz .LBB238_2101
; %bb.2096:
	s_mov_b32 s4, exec_lo
                                        ; implicit-def: $vgpr3
	v_cmpx_lt_u32_e32 0x3c7fffff, v5
	s_xor_b32 s4, exec_lo, s4
; %bb.2097:
	v_bfe_u32 v3, v2, 4, 1
	s_delay_alu instid0(VALU_DEP_1) | instskip(NEXT) | instid1(VALU_DEP_1)
	v_add3_u32 v3, v4, v3, 0x407ffff
	v_and_b32_e32 v4, 0xff00000, v3
	v_lshrrev_b32_e32 v3, 20, v3
	s_delay_alu instid0(VALU_DEP_2) | instskip(NEXT) | instid1(VALU_DEP_2)
	v_cmp_ne_u32_e32 vcc_lo, 0x7f00000, v4
                                        ; implicit-def: $vgpr4
	v_cndmask_b32_e32 v3, 0x7e, v3, vcc_lo
; %bb.2098:
	s_and_not1_saveexec_b32 s4, s4
; %bb.2099:
	v_add_f32_e64 v3, 0x46800000, |v4|
; %bb.2100:
	s_or_b32 exec_lo, exec_lo, s4
                                        ; implicit-def: $vgpr5
.LBB238_2101:
	s_and_not1_saveexec_b32 s3, s3
; %bb.2102:
	v_mov_b32_e32 v3, 0x7f
	v_cmp_lt_u32_e32 vcc_lo, 0x7f800000, v5
	s_delay_alu instid0(VALU_DEP_2)
	v_cndmask_b32_e32 v3, 0x7e, v3, vcc_lo
; %bb.2103:
	s_or_b32 exec_lo, exec_lo, s3
	v_lshrrev_b32_e32 v2, 8, v2
	s_delay_alu instid0(VALU_DEP_1)
	v_and_or_b32 v2, 0x80, v2, v3
	global_store_b8 v[0:1], v2, off
.LBB238_2104:
	s_mov_b32 s3, 0
.LBB238_2105:
	s_delay_alu instid0(SALU_CYCLE_1)
	s_and_not1_b32 vcc_lo, exec_lo, s3
	s_cbranch_vccnz .LBB238_2115
; %bb.2106:
	v_lshlrev_b32_e32 v4, 16, v8
	s_wait_xcnt 0x0
	v_and_b32_e32 v2, 0xffff, v8
	s_mov_b32 s3, exec_lo
                                        ; implicit-def: $vgpr3
	s_delay_alu instid0(VALU_DEP_2) | instskip(NEXT) | instid1(VALU_DEP_1)
	v_and_b32_e32 v5, 0x7fffffff, v4
	v_cmpx_gt_u32_e32 0x47800000, v5
	s_xor_b32 s3, exec_lo, s3
	s_cbranch_execz .LBB238_2112
; %bb.2107:
	s_mov_b32 s4, exec_lo
                                        ; implicit-def: $vgpr3
	v_cmpx_lt_u32_e32 0x387fffff, v5
	s_xor_b32 s4, exec_lo, s4
; %bb.2108:
	v_bfe_u32 v3, v2, 5, 1
	s_delay_alu instid0(VALU_DEP_1) | instskip(NEXT) | instid1(VALU_DEP_1)
	v_add3_u32 v3, v4, v3, 0x80fffff
                                        ; implicit-def: $vgpr4
	v_lshrrev_b32_e32 v3, 21, v3
; %bb.2109:
	s_and_not1_saveexec_b32 s4, s4
; %bb.2110:
	v_add_f32_e64 v3, 0x43000000, |v4|
; %bb.2111:
	s_or_b32 exec_lo, exec_lo, s4
                                        ; implicit-def: $vgpr5
.LBB238_2112:
	s_and_not1_saveexec_b32 s3, s3
; %bb.2113:
	v_mov_b32_e32 v3, 0x7f
	v_cmp_lt_u32_e32 vcc_lo, 0x7f800000, v5
	s_delay_alu instid0(VALU_DEP_2)
	v_cndmask_b32_e32 v3, 0x7c, v3, vcc_lo
; %bb.2114:
	s_or_b32 exec_lo, exec_lo, s3
	v_lshrrev_b32_e32 v2, 8, v2
	s_delay_alu instid0(VALU_DEP_1)
	v_and_or_b32 v2, 0x80, v2, v3
	global_store_b8 v[0:1], v2, off
.LBB238_2115:
	s_mov_b32 s3, 0
.LBB238_2116:
	s_delay_alu instid0(SALU_CYCLE_1)
	s_and_not1_b32 vcc_lo, exec_lo, s3
	s_mov_b32 s3, 0
	s_cbranch_vccnz .LBB238_2123
; %bb.2117:
	s_cmp_gt_i32 s2, 14
	s_mov_b32 s3, -1
	s_cbranch_scc0 .LBB238_2121
; %bb.2118:
	s_cmp_eq_u32 s2, 15
	s_mov_b32 s0, -1
	s_cbranch_scc0 .LBB238_2120
; %bb.2119:
	s_mov_b32 s0, 0
	global_store_b16 v[0:1], v8, off
.LBB238_2120:
	s_mov_b32 s3, 0
.LBB238_2121:
	s_delay_alu instid0(SALU_CYCLE_1)
	s_and_b32 vcc_lo, exec_lo, s3
	s_mov_b32 s3, 0
	s_cbranch_vccz .LBB238_2123
; %bb.2122:
	s_cmp_lg_u32 s2, 11
	s_mov_b32 s3, -1
	s_cselect_b32 s0, -1, 0
.LBB238_2123:
	s_delay_alu instid0(SALU_CYCLE_1)
	s_and_b32 vcc_lo, exec_lo, s0
	s_cbranch_vccnz .LBB238_2145
.LBB238_2124:
	s_mov_b32 s0, 0
	s_branch .LBB238_1639
.LBB238_2125:
	s_mov_b32 s0, 0
	s_mov_b32 s3, 0
                                        ; implicit-def: $sgpr15
                                        ; implicit-def: $vgpr0_vgpr1
	s_branch .LBB238_1639
.LBB238_2126:
	s_mov_b32 s3, 0
	s_mov_b32 s0, -1
	s_branch .LBB238_1639
.LBB238_2127:
	s_or_b32 s1, s1, exec_lo
	s_trap 2
	s_cbranch_execz .LBB238_1582
	s_branch .LBB238_1583
.LBB238_2128:
	s_and_not1_saveexec_b32 s9, s9
	s_cbranch_execz .LBB238_1718
.LBB238_2129:
	v_add_f32_e64 v4, 0x46000000, |v9|
	s_and_not1_b32 s7, s7, exec_lo
	s_delay_alu instid0(VALU_DEP_1) | instskip(NEXT) | instid1(VALU_DEP_1)
	v_and_b32_e32 v4, 0xff, v4
	v_cmp_ne_u32_e32 vcc_lo, 0, v4
	s_and_b32 s10, vcc_lo, exec_lo
	s_delay_alu instid0(SALU_CYCLE_1)
	s_or_b32 s7, s7, s10
	s_or_b32 exec_lo, exec_lo, s9
	v_mov_b32_e32 v10, 0
	s_and_saveexec_b32 s9, s7
	s_cbranch_execnz .LBB238_1719
	s_branch .LBB238_1720
.LBB238_2130:
	s_or_b32 s1, s1, exec_lo
	s_trap 2
	s_cbranch_execz .LBB238_1766
	s_branch .LBB238_1767
.LBB238_2131:
	s_and_not1_saveexec_b32 s7, s7
	s_cbranch_execz .LBB238_1731
.LBB238_2132:
	v_add_f32_e64 v4, 0x42800000, |v9|
	s_and_not1_b32 s6, s6, exec_lo
	s_delay_alu instid0(VALU_DEP_1) | instskip(NEXT) | instid1(VALU_DEP_1)
	v_and_b32_e32 v4, 0xff, v4
	v_cmp_ne_u32_e32 vcc_lo, 0, v4
	s_and_b32 s9, vcc_lo, exec_lo
	s_delay_alu instid0(SALU_CYCLE_1)
	s_or_b32 s6, s6, s9
	s_or_b32 exec_lo, exec_lo, s7
	v_mov_b32_e32 v10, 0
	s_and_saveexec_b32 s7, s6
	s_cbranch_execnz .LBB238_1732
	s_branch .LBB238_1733
.LBB238_2133:
	s_and_not1_saveexec_b32 s9, s9
	s_cbranch_execz .LBB238_1839
.LBB238_2134:
	v_add_f32_e64 v4, 0x46000000, |v5|
	s_and_not1_b32 s8, s8, exec_lo
	s_delay_alu instid0(VALU_DEP_1) | instskip(NEXT) | instid1(VALU_DEP_1)
	v_and_b32_e32 v4, 0xff, v4
	v_cmp_ne_u32_e32 vcc_lo, 0, v4
	s_and_b32 s10, vcc_lo, exec_lo
	s_delay_alu instid0(SALU_CYCLE_1)
	s_or_b32 s8, s8, s10
	s_or_b32 exec_lo, exec_lo, s9
	v_mov_b32_e32 v9, 0
	s_and_saveexec_b32 s9, s8
	s_cbranch_execnz .LBB238_1840
	s_branch .LBB238_1841
.LBB238_2135:
	s_or_b32 s1, s1, exec_lo
	s_trap 2
	s_cbranch_execz .LBB238_1887
	s_branch .LBB238_1888
.LBB238_2136:
	s_and_not1_saveexec_b32 s8, s8
	s_cbranch_execz .LBB238_1852
.LBB238_2137:
	v_add_f32_e64 v4, 0x42800000, |v5|
	s_and_not1_b32 s7, s7, exec_lo
	s_delay_alu instid0(VALU_DEP_1) | instskip(NEXT) | instid1(VALU_DEP_1)
	v_and_b32_e32 v4, 0xff, v4
	v_cmp_ne_u32_e32 vcc_lo, 0, v4
	s_and_b32 s9, vcc_lo, exec_lo
	s_delay_alu instid0(SALU_CYCLE_1)
	s_or_b32 s7, s7, s9
	s_or_b32 exec_lo, exec_lo, s8
	v_mov_b32_e32 v9, 0
	s_and_saveexec_b32 s8, s7
	s_cbranch_execnz .LBB238_1853
	s_branch .LBB238_1854
.LBB238_2138:
	s_and_not1_saveexec_b32 s9, s9
	s_cbranch_execz .LBB238_1958
.LBB238_2139:
	v_add_f32_e64 v4, 0x46000000, |v5|
	s_and_not1_b32 s8, s8, exec_lo
	s_delay_alu instid0(VALU_DEP_1) | instskip(NEXT) | instid1(VALU_DEP_1)
	v_and_b32_e32 v4, 0xff, v4
	v_cmp_ne_u32_e32 vcc_lo, 0, v4
	s_and_b32 s10, vcc_lo, exec_lo
	s_delay_alu instid0(SALU_CYCLE_1)
	s_or_b32 s8, s8, s10
	s_or_b32 exec_lo, exec_lo, s9
	v_mov_b32_e32 v6, 0
	s_and_saveexec_b32 s9, s8
	s_cbranch_execnz .LBB238_1959
	s_branch .LBB238_1960
.LBB238_2140:
	s_or_b32 s1, s1, exec_lo
	s_trap 2
	s_cbranch_execz .LBB238_2006
	s_branch .LBB238_2007
.LBB238_2141:
	s_and_not1_saveexec_b32 s8, s8
	s_cbranch_execz .LBB238_1971
.LBB238_2142:
	v_add_f32_e64 v4, 0x42800000, |v5|
	s_and_not1_b32 s7, s7, exec_lo
	s_delay_alu instid0(VALU_DEP_1) | instskip(NEXT) | instid1(VALU_DEP_1)
	v_and_b32_e32 v4, 0xff, v4
	v_cmp_ne_u32_e32 vcc_lo, 0, v4
	s_and_b32 s9, vcc_lo, exec_lo
	s_delay_alu instid0(SALU_CYCLE_1)
	s_or_b32 s7, s7, s9
	s_or_b32 exec_lo, exec_lo, s8
	v_mov_b32_e32 v6, 0
	s_and_saveexec_b32 s8, s7
	s_cbranch_execnz .LBB238_1972
	s_branch .LBB238_1973
.LBB238_2143:
	s_and_not1_saveexec_b32 s6, s6
	s_cbranch_execz .LBB238_2078
.LBB238_2144:
	v_add_f32_e64 v3, 0x46000000, |v4|
	s_and_not1_b32 s5, s5, exec_lo
	s_delay_alu instid0(VALU_DEP_1) | instskip(NEXT) | instid1(VALU_DEP_1)
	v_and_b32_e32 v3, 0xff, v3
	v_cmp_ne_u32_e32 vcc_lo, 0, v3
	s_and_b32 s7, vcc_lo, exec_lo
	s_delay_alu instid0(SALU_CYCLE_1)
	s_or_b32 s5, s5, s7
	s_or_b32 exec_lo, exec_lo, s6
	v_mov_b32_e32 v5, 0
	s_and_saveexec_b32 s6, s5
	s_cbranch_execnz .LBB238_2079
	s_branch .LBB238_2080
.LBB238_2145:
	s_mov_b32 s3, 0
	s_or_b32 s1, s1, exec_lo
	s_trap 2
	s_branch .LBB238_2124
.LBB238_2146:
	s_and_not1_saveexec_b32 s5, s5
	s_cbranch_execz .LBB238_2090
.LBB238_2147:
	v_add_f32_e64 v3, 0x42800000, |v4|
	s_and_not1_b32 s4, s4, exec_lo
	s_delay_alu instid0(VALU_DEP_1) | instskip(NEXT) | instid1(VALU_DEP_1)
	v_and_b32_e32 v3, 0xff, v3
	v_cmp_ne_u32_e32 vcc_lo, 0, v3
	s_and_b32 s6, vcc_lo, exec_lo
	s_delay_alu instid0(SALU_CYCLE_1)
	s_or_b32 s4, s4, s6
	s_or_b32 exec_lo, exec_lo, s5
	v_mov_b32_e32 v5, 0
	s_and_saveexec_b32 s5, s4
	s_cbranch_execnz .LBB238_2091
	s_branch .LBB238_2092
	.section	.rodata,"a",@progbits
	.p2align	6, 0x0
	.amdhsa_kernel _ZN2at6native32elementwise_kernel_manual_unrollILi128ELi4EZNS0_15gpu_kernel_implIZZZNS0_12_GLOBAL__N_119launch_clamp_scalarERNS_18TensorIteratorBaseEN3c106ScalarES7_NS0_6detail11ClampLimitsEENKUlvE_clEvENKUlvE7_clEvEUlNS6_8BFloat16EE_EEvS5_RKT_EUlibE_EEviT1_
		.amdhsa_group_segment_fixed_size 0
		.amdhsa_private_segment_fixed_size 0
		.amdhsa_kernarg_size 48
		.amdhsa_user_sgpr_count 2
		.amdhsa_user_sgpr_dispatch_ptr 0
		.amdhsa_user_sgpr_queue_ptr 0
		.amdhsa_user_sgpr_kernarg_segment_ptr 1
		.amdhsa_user_sgpr_dispatch_id 0
		.amdhsa_user_sgpr_kernarg_preload_length 0
		.amdhsa_user_sgpr_kernarg_preload_offset 0
		.amdhsa_user_sgpr_private_segment_size 0
		.amdhsa_wavefront_size32 1
		.amdhsa_uses_dynamic_stack 0
		.amdhsa_enable_private_segment 0
		.amdhsa_system_sgpr_workgroup_id_x 1
		.amdhsa_system_sgpr_workgroup_id_y 0
		.amdhsa_system_sgpr_workgroup_id_z 0
		.amdhsa_system_sgpr_workgroup_info 0
		.amdhsa_system_vgpr_workitem_id 0
		.amdhsa_next_free_vgpr 14
		.amdhsa_next_free_sgpr 29
		.amdhsa_named_barrier_count 0
		.amdhsa_reserve_vcc 1
		.amdhsa_float_round_mode_32 0
		.amdhsa_float_round_mode_16_64 0
		.amdhsa_float_denorm_mode_32 3
		.amdhsa_float_denorm_mode_16_64 3
		.amdhsa_fp16_overflow 0
		.amdhsa_memory_ordered 1
		.amdhsa_forward_progress 1
		.amdhsa_inst_pref_size 255
		.amdhsa_round_robin_scheduling 0
		.amdhsa_exception_fp_ieee_invalid_op 0
		.amdhsa_exception_fp_denorm_src 0
		.amdhsa_exception_fp_ieee_div_zero 0
		.amdhsa_exception_fp_ieee_overflow 0
		.amdhsa_exception_fp_ieee_underflow 0
		.amdhsa_exception_fp_ieee_inexact 0
		.amdhsa_exception_int_div_zero 0
	.end_amdhsa_kernel
	.section	.text._ZN2at6native32elementwise_kernel_manual_unrollILi128ELi4EZNS0_15gpu_kernel_implIZZZNS0_12_GLOBAL__N_119launch_clamp_scalarERNS_18TensorIteratorBaseEN3c106ScalarES7_NS0_6detail11ClampLimitsEENKUlvE_clEvENKUlvE7_clEvEUlNS6_8BFloat16EE_EEvS5_RKT_EUlibE_EEviT1_,"axG",@progbits,_ZN2at6native32elementwise_kernel_manual_unrollILi128ELi4EZNS0_15gpu_kernel_implIZZZNS0_12_GLOBAL__N_119launch_clamp_scalarERNS_18TensorIteratorBaseEN3c106ScalarES7_NS0_6detail11ClampLimitsEENKUlvE_clEvENKUlvE7_clEvEUlNS6_8BFloat16EE_EEvS5_RKT_EUlibE_EEviT1_,comdat
.Lfunc_end238:
	.size	_ZN2at6native32elementwise_kernel_manual_unrollILi128ELi4EZNS0_15gpu_kernel_implIZZZNS0_12_GLOBAL__N_119launch_clamp_scalarERNS_18TensorIteratorBaseEN3c106ScalarES7_NS0_6detail11ClampLimitsEENKUlvE_clEvENKUlvE7_clEvEUlNS6_8BFloat16EE_EEvS5_RKT_EUlibE_EEviT1_, .Lfunc_end238-_ZN2at6native32elementwise_kernel_manual_unrollILi128ELi4EZNS0_15gpu_kernel_implIZZZNS0_12_GLOBAL__N_119launch_clamp_scalarERNS_18TensorIteratorBaseEN3c106ScalarES7_NS0_6detail11ClampLimitsEENKUlvE_clEvENKUlvE7_clEvEUlNS6_8BFloat16EE_EEvS5_RKT_EUlibE_EEviT1_
                                        ; -- End function
	.set _ZN2at6native32elementwise_kernel_manual_unrollILi128ELi4EZNS0_15gpu_kernel_implIZZZNS0_12_GLOBAL__N_119launch_clamp_scalarERNS_18TensorIteratorBaseEN3c106ScalarES7_NS0_6detail11ClampLimitsEENKUlvE_clEvENKUlvE7_clEvEUlNS6_8BFloat16EE_EEvS5_RKT_EUlibE_EEviT1_.num_vgpr, 14
	.set _ZN2at6native32elementwise_kernel_manual_unrollILi128ELi4EZNS0_15gpu_kernel_implIZZZNS0_12_GLOBAL__N_119launch_clamp_scalarERNS_18TensorIteratorBaseEN3c106ScalarES7_NS0_6detail11ClampLimitsEENKUlvE_clEvENKUlvE7_clEvEUlNS6_8BFloat16EE_EEvS5_RKT_EUlibE_EEviT1_.num_agpr, 0
	.set _ZN2at6native32elementwise_kernel_manual_unrollILi128ELi4EZNS0_15gpu_kernel_implIZZZNS0_12_GLOBAL__N_119launch_clamp_scalarERNS_18TensorIteratorBaseEN3c106ScalarES7_NS0_6detail11ClampLimitsEENKUlvE_clEvENKUlvE7_clEvEUlNS6_8BFloat16EE_EEvS5_RKT_EUlibE_EEviT1_.numbered_sgpr, 29
	.set _ZN2at6native32elementwise_kernel_manual_unrollILi128ELi4EZNS0_15gpu_kernel_implIZZZNS0_12_GLOBAL__N_119launch_clamp_scalarERNS_18TensorIteratorBaseEN3c106ScalarES7_NS0_6detail11ClampLimitsEENKUlvE_clEvENKUlvE7_clEvEUlNS6_8BFloat16EE_EEvS5_RKT_EUlibE_EEviT1_.num_named_barrier, 0
	.set _ZN2at6native32elementwise_kernel_manual_unrollILi128ELi4EZNS0_15gpu_kernel_implIZZZNS0_12_GLOBAL__N_119launch_clamp_scalarERNS_18TensorIteratorBaseEN3c106ScalarES7_NS0_6detail11ClampLimitsEENKUlvE_clEvENKUlvE7_clEvEUlNS6_8BFloat16EE_EEvS5_RKT_EUlibE_EEviT1_.private_seg_size, 0
	.set _ZN2at6native32elementwise_kernel_manual_unrollILi128ELi4EZNS0_15gpu_kernel_implIZZZNS0_12_GLOBAL__N_119launch_clamp_scalarERNS_18TensorIteratorBaseEN3c106ScalarES7_NS0_6detail11ClampLimitsEENKUlvE_clEvENKUlvE7_clEvEUlNS6_8BFloat16EE_EEvS5_RKT_EUlibE_EEviT1_.uses_vcc, 1
	.set _ZN2at6native32elementwise_kernel_manual_unrollILi128ELi4EZNS0_15gpu_kernel_implIZZZNS0_12_GLOBAL__N_119launch_clamp_scalarERNS_18TensorIteratorBaseEN3c106ScalarES7_NS0_6detail11ClampLimitsEENKUlvE_clEvENKUlvE7_clEvEUlNS6_8BFloat16EE_EEvS5_RKT_EUlibE_EEviT1_.uses_flat_scratch, 0
	.set _ZN2at6native32elementwise_kernel_manual_unrollILi128ELi4EZNS0_15gpu_kernel_implIZZZNS0_12_GLOBAL__N_119launch_clamp_scalarERNS_18TensorIteratorBaseEN3c106ScalarES7_NS0_6detail11ClampLimitsEENKUlvE_clEvENKUlvE7_clEvEUlNS6_8BFloat16EE_EEvS5_RKT_EUlibE_EEviT1_.has_dyn_sized_stack, 0
	.set _ZN2at6native32elementwise_kernel_manual_unrollILi128ELi4EZNS0_15gpu_kernel_implIZZZNS0_12_GLOBAL__N_119launch_clamp_scalarERNS_18TensorIteratorBaseEN3c106ScalarES7_NS0_6detail11ClampLimitsEENKUlvE_clEvENKUlvE7_clEvEUlNS6_8BFloat16EE_EEvS5_RKT_EUlibE_EEviT1_.has_recursion, 0
	.set _ZN2at6native32elementwise_kernel_manual_unrollILi128ELi4EZNS0_15gpu_kernel_implIZZZNS0_12_GLOBAL__N_119launch_clamp_scalarERNS_18TensorIteratorBaseEN3c106ScalarES7_NS0_6detail11ClampLimitsEENKUlvE_clEvENKUlvE7_clEvEUlNS6_8BFloat16EE_EEvS5_RKT_EUlibE_EEviT1_.has_indirect_call, 0
	.section	.AMDGPU.csdata,"",@progbits
; Kernel info:
; codeLenInByte = 45968
; TotalNumSgprs: 31
; NumVgprs: 14
; ScratchSize: 0
; MemoryBound: 0
; FloatMode: 240
; IeeeMode: 1
; LDSByteSize: 0 bytes/workgroup (compile time only)
; SGPRBlocks: 0
; VGPRBlocks: 0
; NumSGPRsForWavesPerEU: 31
; NumVGPRsForWavesPerEU: 14
; NamedBarCnt: 0
; Occupancy: 16
; WaveLimiterHint : 0
; COMPUTE_PGM_RSRC2:SCRATCH_EN: 0
; COMPUTE_PGM_RSRC2:USER_SGPR: 2
; COMPUTE_PGM_RSRC2:TRAP_HANDLER: 0
; COMPUTE_PGM_RSRC2:TGID_X_EN: 1
; COMPUTE_PGM_RSRC2:TGID_Y_EN: 0
; COMPUTE_PGM_RSRC2:TGID_Z_EN: 0
; COMPUTE_PGM_RSRC2:TIDIG_COMP_CNT: 0
	.section	.text._ZN2at6native32elementwise_kernel_manual_unrollILi128ELi4EZNS0_15gpu_kernel_implIZZZNS0_12_GLOBAL__N_119launch_clamp_scalarERNS_18TensorIteratorBaseEN3c106ScalarES7_NS0_6detail11ClampLimitsEENKUlvE_clEvENKUlvE7_clEvEUlNS6_8BFloat16EE_EEvS5_RKT_EUlibE0_EEviT1_,"axG",@progbits,_ZN2at6native32elementwise_kernel_manual_unrollILi128ELi4EZNS0_15gpu_kernel_implIZZZNS0_12_GLOBAL__N_119launch_clamp_scalarERNS_18TensorIteratorBaseEN3c106ScalarES7_NS0_6detail11ClampLimitsEENKUlvE_clEvENKUlvE7_clEvEUlNS6_8BFloat16EE_EEvS5_RKT_EUlibE0_EEviT1_,comdat
	.globl	_ZN2at6native32elementwise_kernel_manual_unrollILi128ELi4EZNS0_15gpu_kernel_implIZZZNS0_12_GLOBAL__N_119launch_clamp_scalarERNS_18TensorIteratorBaseEN3c106ScalarES7_NS0_6detail11ClampLimitsEENKUlvE_clEvENKUlvE7_clEvEUlNS6_8BFloat16EE_EEvS5_RKT_EUlibE0_EEviT1_ ; -- Begin function _ZN2at6native32elementwise_kernel_manual_unrollILi128ELi4EZNS0_15gpu_kernel_implIZZZNS0_12_GLOBAL__N_119launch_clamp_scalarERNS_18TensorIteratorBaseEN3c106ScalarES7_NS0_6detail11ClampLimitsEENKUlvE_clEvENKUlvE7_clEvEUlNS6_8BFloat16EE_EEvS5_RKT_EUlibE0_EEviT1_
	.p2align	8
	.type	_ZN2at6native32elementwise_kernel_manual_unrollILi128ELi4EZNS0_15gpu_kernel_implIZZZNS0_12_GLOBAL__N_119launch_clamp_scalarERNS_18TensorIteratorBaseEN3c106ScalarES7_NS0_6detail11ClampLimitsEENKUlvE_clEvENKUlvE7_clEvEUlNS6_8BFloat16EE_EEvS5_RKT_EUlibE0_EEviT1_,@function
_ZN2at6native32elementwise_kernel_manual_unrollILi128ELi4EZNS0_15gpu_kernel_implIZZZNS0_12_GLOBAL__N_119launch_clamp_scalarERNS_18TensorIteratorBaseEN3c106ScalarES7_NS0_6detail11ClampLimitsEENKUlvE_clEvENKUlvE7_clEvEUlNS6_8BFloat16EE_EEvS5_RKT_EUlibE0_EEviT1_: ; @_ZN2at6native32elementwise_kernel_manual_unrollILi128ELi4EZNS0_15gpu_kernel_implIZZZNS0_12_GLOBAL__N_119launch_clamp_scalarERNS_18TensorIteratorBaseEN3c106ScalarES7_NS0_6detail11ClampLimitsEENKUlvE_clEvENKUlvE7_clEvEUlNS6_8BFloat16EE_EEvS5_RKT_EUlibE0_EEviT1_
; %bb.0:
	s_clause 0x1
	s_load_b32 s33, s[0:1], 0x8
	s_load_b32 s39, s[0:1], 0x0
	s_bfe_u32 s2, ttmp6, 0x4000c
	s_and_b32 s3, ttmp6, 15
	s_add_co_i32 s2, s2, 1
	s_getreg_b32 s4, hwreg(HW_REG_IB_STS2, 6, 4)
	s_mul_i32 s2, ttmp9, s2
	s_mov_b32 s35, 0
	s_add_co_i32 s3, s3, s2
	s_cmp_eq_u32 s4, 0
	s_mov_b32 s27, -1
	s_cselect_b32 s2, ttmp9, s3
	s_mov_b32 s8, 0
	v_lshl_or_b32 v0, s2, 9, v0
	s_add_nc_u64 s[2:3], s[0:1], 8
	s_wait_xcnt 0x0
	s_mov_b32 s0, exec_lo
	s_delay_alu instid0(VALU_DEP_1) | instskip(SKIP_2) | instid1(SALU_CYCLE_1)
	v_or_b32_e32 v9, 0x180, v0
	s_wait_kmcnt 0x0
	s_add_co_i32 s34, s33, -1
	s_cmp_gt_u32 s34, 1
	s_cselect_b32 s36, -1, 0
	v_cmpx_le_i32_e64 s39, v9
	s_xor_b32 s37, exec_lo, s0
	s_cbranch_execz .LBB239_1145
; %bb.1:
	s_clause 0x3
	s_load_b128 s[12:15], s[2:3], 0x4
	s_load_b64 s[0:1], s[2:3], 0x14
	s_load_b256 s[4:11], s[2:3], 0x148
	s_load_b128 s[16:19], s[2:3], 0xc4
	s_cmp_lg_u32 s33, 0
	s_mov_b32 s21, 0
	s_cselect_b32 s41, -1, 0
	s_min_u32 s40, s34, 15
	s_cmp_gt_u32 s33, 1
	s_add_nc_u64 s[24:25], s[2:3], 0xc4
	s_mov_b32 s23, s21
	s_mov_b32 s43, s21
	s_cselect_b32 s38, -1, 0
	s_mov_b32 s42, s21
	s_mov_b32 s44, exec_lo
	s_wait_kmcnt 0x0
	s_mov_b32 s20, s13
	s_mov_b32 s22, s0
	s_bfe_u32 s13, s11, 0x80008
	v_cmpx_gt_i32_e64 s39, v0
	s_cbranch_execz .LBB239_279
; %bb.2:
	s_and_not1_b32 vcc_lo, exec_lo, s36
	s_cbranch_vccnz .LBB239_8
; %bb.3:
	s_and_not1_b32 vcc_lo, exec_lo, s41
	s_cbranch_vccnz .LBB239_9
; %bb.4:
	s_add_co_i32 s0, s40, 1
	s_cmp_eq_u32 s34, 2
	s_cbranch_scc1 .LBB239_10
; %bb.5:
	v_dual_mov_b32 v2, 0 :: v_dual_mov_b32 v4, 0
	v_mov_b32_e32 v1, v0
	s_and_b32 s26, s0, 28
	s_mov_b32 s27, 0
	s_mov_b64 s[28:29], s[2:3]
	s_mov_b64 s[30:31], s[24:25]
.LBB239_6:                              ; =>This Inner Loop Header: Depth=1
	s_clause 0x1
	s_load_b256 s[48:55], s[28:29], 0x4
	s_load_b128 s[64:67], s[28:29], 0x24
	s_load_b256 s[56:63], s[30:31], 0x0
	s_add_co_i32 s27, s27, 4
	s_wait_xcnt 0x0
	s_add_nc_u64 s[28:29], s[28:29], 48
	s_cmp_lg_u32 s26, s27
	s_add_nc_u64 s[30:31], s[30:31], 32
	s_wait_kmcnt 0x0
	v_mul_hi_u32 v3, s49, v1
	s_delay_alu instid0(VALU_DEP_1) | instskip(NEXT) | instid1(VALU_DEP_1)
	v_add_nc_u32_e32 v3, v1, v3
	v_lshrrev_b32_e32 v3, s50, v3
	s_delay_alu instid0(VALU_DEP_1) | instskip(NEXT) | instid1(VALU_DEP_1)
	v_mul_hi_u32 v5, s52, v3
	v_add_nc_u32_e32 v5, v3, v5
	s_delay_alu instid0(VALU_DEP_1) | instskip(NEXT) | instid1(VALU_DEP_1)
	v_lshrrev_b32_e32 v5, s53, v5
	v_mul_hi_u32 v6, s55, v5
	s_delay_alu instid0(VALU_DEP_1) | instskip(SKIP_1) | instid1(VALU_DEP_1)
	v_add_nc_u32_e32 v6, v5, v6
	v_mul_lo_u32 v7, v3, s48
	v_sub_nc_u32_e32 v1, v1, v7
	v_mul_lo_u32 v7, v5, s51
	s_delay_alu instid0(VALU_DEP_4) | instskip(NEXT) | instid1(VALU_DEP_3)
	v_lshrrev_b32_e32 v6, s64, v6
	v_mad_u32 v4, v1, s57, v4
	v_mad_u32 v1, v1, s56, v2
	s_delay_alu instid0(VALU_DEP_4) | instskip(NEXT) | instid1(VALU_DEP_4)
	v_sub_nc_u32_e32 v2, v3, v7
	v_mul_hi_u32 v8, s66, v6
	v_mul_lo_u32 v3, v6, s54
	s_delay_alu instid0(VALU_DEP_3) | instskip(SKIP_1) | instid1(VALU_DEP_3)
	v_mad_u32 v4, v2, s59, v4
	v_mad_u32 v2, v2, s58, v1
	v_dual_add_nc_u32 v7, v6, v8 :: v_dual_sub_nc_u32 v3, v5, v3
	s_delay_alu instid0(VALU_DEP_1) | instskip(NEXT) | instid1(VALU_DEP_2)
	v_lshrrev_b32_e32 v1, s67, v7
	v_mad_u32 v4, v3, s61, v4
	s_delay_alu instid0(VALU_DEP_4) | instskip(NEXT) | instid1(VALU_DEP_3)
	v_mad_u32 v2, v3, s60, v2
	v_mul_lo_u32 v5, v1, s65
	s_delay_alu instid0(VALU_DEP_1) | instskip(NEXT) | instid1(VALU_DEP_1)
	v_sub_nc_u32_e32 v3, v6, v5
	v_mad_u32 v4, v3, s63, v4
	s_delay_alu instid0(VALU_DEP_4)
	v_mad_u32 v2, v3, s62, v2
	s_cbranch_scc1 .LBB239_6
; %bb.7:
	s_delay_alu instid0(VALU_DEP_2)
	v_mov_b32_e32 v3, v4
	s_and_b32 s0, s0, 3
	s_mov_b32 s27, 0
	s_cmp_eq_u32 s0, 0
	s_cbranch_scc0 .LBB239_11
	s_branch .LBB239_14
.LBB239_8:
                                        ; implicit-def: $vgpr4
                                        ; implicit-def: $vgpr2
	s_branch .LBB239_15
.LBB239_9:
	v_dual_mov_b32 v4, 0 :: v_dual_mov_b32 v2, 0
	s_branch .LBB239_14
.LBB239_10:
	v_mov_b64_e32 v[2:3], 0
	v_mov_b32_e32 v1, v0
	s_mov_b32 s26, 0
                                        ; implicit-def: $vgpr4
	s_and_b32 s0, s0, 3
	s_mov_b32 s27, 0
	s_cmp_eq_u32 s0, 0
	s_cbranch_scc1 .LBB239_14
.LBB239_11:
	s_lshl_b32 s28, s26, 3
	s_mov_b32 s29, s27
	s_mul_u64 s[30:31], s[26:27], 12
	s_add_nc_u64 s[28:29], s[2:3], s[28:29]
	s_delay_alu instid0(SALU_CYCLE_1)
	s_add_nc_u64 s[26:27], s[28:29], 0xc4
	s_add_nc_u64 s[28:29], s[2:3], s[30:31]
.LBB239_12:                             ; =>This Inner Loop Header: Depth=1
	s_load_b96 s[48:50], s[28:29], 0x4
	s_load_b64 s[30:31], s[26:27], 0x0
	s_add_co_i32 s0, s0, -1
	s_wait_xcnt 0x0
	s_add_nc_u64 s[28:29], s[28:29], 12
	s_cmp_lg_u32 s0, 0
	s_add_nc_u64 s[26:27], s[26:27], 8
	s_wait_kmcnt 0x0
	v_mul_hi_u32 v4, s49, v1
	s_delay_alu instid0(VALU_DEP_1) | instskip(NEXT) | instid1(VALU_DEP_1)
	v_add_nc_u32_e32 v4, v1, v4
	v_lshrrev_b32_e32 v4, s50, v4
	s_delay_alu instid0(VALU_DEP_1) | instskip(NEXT) | instid1(VALU_DEP_1)
	v_mul_lo_u32 v5, v4, s48
	v_sub_nc_u32_e32 v1, v1, v5
	s_delay_alu instid0(VALU_DEP_1)
	v_mad_u32 v3, v1, s31, v3
	v_mad_u32 v2, v1, s30, v2
	v_mov_b32_e32 v1, v4
	s_cbranch_scc1 .LBB239_12
; %bb.13:
	s_delay_alu instid0(VALU_DEP_3)
	v_mov_b32_e32 v4, v3
.LBB239_14:
	s_cbranch_execnz .LBB239_17
.LBB239_15:
	v_mov_b32_e32 v1, 0
	s_and_not1_b32 vcc_lo, exec_lo, s38
	s_delay_alu instid0(VALU_DEP_1) | instskip(NEXT) | instid1(VALU_DEP_1)
	v_mul_u64_e32 v[2:3], s[20:21], v[0:1]
	v_add_nc_u32_e32 v2, v0, v3
	s_delay_alu instid0(VALU_DEP_1) | instskip(NEXT) | instid1(VALU_DEP_1)
	v_lshrrev_b32_e32 v6, s14, v2
	v_mul_lo_u32 v2, v6, s12
	s_delay_alu instid0(VALU_DEP_1) | instskip(NEXT) | instid1(VALU_DEP_1)
	v_sub_nc_u32_e32 v2, v0, v2
	v_mul_lo_u32 v4, v2, s17
	v_mul_lo_u32 v2, v2, s16
	s_cbranch_vccnz .LBB239_17
; %bb.16:
	v_mov_b32_e32 v7, v1
	s_delay_alu instid0(VALU_DEP_1) | instskip(NEXT) | instid1(VALU_DEP_1)
	v_mul_u64_e32 v[8:9], s[22:23], v[6:7]
	v_add_nc_u32_e32 v1, v6, v9
	s_delay_alu instid0(VALU_DEP_1) | instskip(NEXT) | instid1(VALU_DEP_1)
	v_lshrrev_b32_e32 v1, s1, v1
	v_mul_lo_u32 v1, v1, s15
	s_delay_alu instid0(VALU_DEP_1) | instskip(NEXT) | instid1(VALU_DEP_1)
	v_sub_nc_u32_e32 v1, v6, v1
	v_mad_u32 v2, v1, s18, v2
	v_mad_u32 v4, v1, s19, v4
.LBB239_17:
	v_mov_b32_e32 v5, 0
	s_and_b32 s0, 0xffff, s13
	s_delay_alu instid0(SALU_CYCLE_1) | instskip(NEXT) | instid1(VALU_DEP_1)
	s_cmp_lt_i32 s0, 11
	v_add_nc_u64_e32 v[4:5], s[6:7], v[4:5]
	s_cbranch_scc1 .LBB239_24
; %bb.18:
	s_cmp_gt_i32 s0, 25
	s_cbranch_scc0 .LBB239_30
; %bb.19:
	s_cmp_gt_i32 s0, 28
	s_cbranch_scc0 .LBB239_31
	;; [unrolled: 3-line block ×4, first 2 shown]
; %bb.22:
	s_cmp_eq_u32 s0, 46
	s_mov_b32 s28, 0
	s_cbranch_scc0 .LBB239_54
; %bb.23:
	global_load_b32 v1, v[4:5], off
	s_mov_b32 s27, -1
	s_mov_b32 s26, 0
	s_branch .LBB239_56
.LBB239_24:
	s_mov_b32 s26, 0
	s_mov_b32 s27, 0
                                        ; implicit-def: $vgpr1
	s_cbranch_execnz .LBB239_229
.LBB239_25:
	s_and_not1_b32 vcc_lo, exec_lo, s27
	s_cbranch_vccnz .LBB239_276
.LBB239_26:
	s_wait_loadcnt 0x0
	s_delay_alu instid0(VALU_DEP_1) | instskip(SKIP_1) | instid1(VALU_DEP_1)
	v_lshlrev_b32_e32 v3, 16, v1
	s_mov_b32 s0, exec_lo
	v_cmpx_o_f32_e32 v3, v3
	s_cbranch_execz .LBB239_41
; %bb.27:
	s_cmp_lt_i32 s8, 1
	s_mov_b32 s27, 0
	s_cbranch_scc1 .LBB239_32
; %bb.28:
	s_cmp_eq_u32 s8, 1
	s_cbranch_scc0 .LBB239_36
; %bb.29:
	v_max_num_f32_e64 v1, s9, s9
	v_max_num_f32_e32 v4, v3, v3
	s_mov_b32 s28, 0
	s_delay_alu instid0(VALU_DEP_1) | instskip(NEXT) | instid1(VALU_DEP_1)
	v_min_num_f32_e32 v1, v4, v1
	v_bfe_u32 v4, v1, 16, 1
	s_delay_alu instid0(VALU_DEP_1) | instskip(NEXT) | instid1(VALU_DEP_1)
	v_add3_u32 v1, v1, v4, 0x7fff
	v_lshrrev_b32_e32 v1, 16, v1
	s_branch .LBB239_37
.LBB239_30:
	s_mov_b32 s26, 0
	s_mov_b32 s27, 0
                                        ; implicit-def: $vgpr1
	s_cbranch_execnz .LBB239_194
	s_branch .LBB239_228
.LBB239_31:
	s_mov_b32 s28, -1
	s_mov_b32 s26, 0
	s_mov_b32 s27, 0
                                        ; implicit-def: $vgpr1
	s_branch .LBB239_175
.LBB239_32:
	s_mov_b32 s28, 0
                                        ; implicit-def: $vgpr1
	s_cbranch_execnz .LBB239_38
.LBB239_33:
	s_and_not1_b32 vcc_lo, exec_lo, s28
	s_cbranch_vccnz .LBB239_39
.LBB239_34:
	v_max_num_f32_e64 v1, s9, s9
	v_max_num_f32_e32 v4, v3, v3
	v_max_num_f32_e64 v5, s10, s10
	s_delay_alu instid0(VALU_DEP_1) | instskip(NEXT) | instid1(VALU_DEP_1)
	v_maxmin_num_f32 v1, v4, v1, v5
	v_bfe_u32 v4, v1, 16, 1
	s_delay_alu instid0(VALU_DEP_1) | instskip(NEXT) | instid1(VALU_DEP_1)
	v_add3_u32 v1, v1, v4, 0x7fff
	v_lshrrev_b32_e32 v1, 16, v1
	s_cbranch_execz .LBB239_40
	s_branch .LBB239_41
.LBB239_35:
	s_mov_b32 s28, -1
	s_mov_b32 s26, 0
	s_mov_b32 s27, 0
                                        ; implicit-def: $vgpr1
	s_branch .LBB239_170
.LBB239_36:
	s_mov_b32 s28, -1
                                        ; implicit-def: $vgpr1
.LBB239_37:
	s_branch .LBB239_33
.LBB239_38:
	s_cmp_lg_u32 s8, 0
	s_mov_b32 s27, -1
	s_cselect_b32 s28, -1, 0
	s_delay_alu instid0(SALU_CYCLE_1)
	s_and_not1_b32 vcc_lo, exec_lo, s28
	s_cbranch_vccz .LBB239_34
.LBB239_39:
	s_and_not1_b32 vcc_lo, exec_lo, s27
	s_cbranch_vccnz .LBB239_41
.LBB239_40:
	v_max_num_f32_e64 v1, s9, s9
	v_max_num_f32_e32 v3, v3, v3
	s_delay_alu instid0(VALU_DEP_1) | instskip(NEXT) | instid1(VALU_DEP_1)
	v_max_num_f32_e32 v1, v3, v1
	v_bfe_u32 v3, v1, 16, 1
	s_delay_alu instid0(VALU_DEP_1) | instskip(NEXT) | instid1(VALU_DEP_1)
	v_add3_u32 v1, v1, v3, 0x7fff
	v_lshrrev_b32_e32 v1, 16, v1
.LBB239_41:
	s_or_b32 exec_lo, exec_lo, s0
	v_mov_b32_e32 v3, 0
	s_and_b32 s27, s11, 0xff
	s_delay_alu instid0(SALU_CYCLE_1) | instskip(NEXT) | instid1(VALU_DEP_1)
	s_cmp_lt_i32 s27, 11
	v_add_nc_u64_e32 v[2:3], s[4:5], v[2:3]
	s_cbranch_scc1 .LBB239_48
; %bb.42:
	s_and_b32 s28, 0xffff, s27
	s_delay_alu instid0(SALU_CYCLE_1)
	s_cmp_gt_i32 s28, 25
	s_cbranch_scc0 .LBB239_50
; %bb.43:
	s_cmp_gt_i32 s28, 28
	s_cbranch_scc0 .LBB239_51
; %bb.44:
	;; [unrolled: 3-line block ×4, first 2 shown]
	s_mov_b32 s30, 0
	s_mov_b32 s0, -1
	s_cmp_eq_u32 s28, 46
	s_mov_b32 s29, 0
	s_cbranch_scc0 .LBB239_60
; %bb.47:
	v_and_b32_e32 v4, 0xffff, v1
	s_mov_b32 s29, -1
	s_mov_b32 s0, 0
	global_store_b32 v[2:3], v4, off
	s_branch .LBB239_60
.LBB239_48:
	s_mov_b32 s0, 0
	s_mov_b32 s29, 0
	s_cbranch_execnz .LBB239_129
.LBB239_49:
	s_and_not1_b32 vcc_lo, exec_lo, s29
	s_cbranch_vccz .LBB239_167
	s_branch .LBB239_277
.LBB239_50:
	s_mov_b32 s30, -1
	s_mov_b32 s0, 0
	s_mov_b32 s29, 0
	s_branch .LBB239_87
.LBB239_51:
	s_mov_b32 s30, -1
	s_mov_b32 s0, 0
	s_mov_b32 s29, 0
	s_branch .LBB239_70
.LBB239_52:
	s_mov_b32 s28, -1
	s_mov_b32 s26, 0
	s_branch .LBB239_55
.LBB239_53:
	s_mov_b32 s30, -1
	s_mov_b32 s0, 0
	s_mov_b32 s29, 0
	s_branch .LBB239_66
.LBB239_54:
	s_mov_b32 s26, -1
.LBB239_55:
	s_mov_b32 s27, 0
                                        ; implicit-def: $vgpr1
.LBB239_56:
	s_and_b32 vcc_lo, exec_lo, s28
	s_cbranch_vccz .LBB239_169
; %bb.57:
	s_cmp_eq_u32 s0, 44
	s_cbranch_scc0 .LBB239_168
; %bb.58:
	s_wait_loadcnt 0x0
	global_load_u8 v1, v[4:5], off
	s_mov_b32 s26, 0
	s_mov_b32 s27, -1
	s_wait_loadcnt 0x0
	v_lshlrev_b32_e32 v3, 23, v1
	v_cmp_ne_u32_e32 vcc_lo, 0xff, v1
	s_delay_alu instid0(VALU_DEP_2) | instskip(SKIP_1) | instid1(VALU_DEP_2)
	v_cndmask_b32_e32 v3, 0x7f800001, v3, vcc_lo
	v_cmp_ne_u32_e32 vcc_lo, 0, v1
	v_cndmask_b32_e32 v1, 0x400000, v3, vcc_lo
	s_delay_alu instid0(VALU_DEP_1) | instskip(SKIP_1) | instid1(VALU_DEP_2)
	v_add_nc_u32_e32 v3, 0x7fff, v1
	v_cmp_o_f32_e32 vcc_lo, v1, v1
	v_lshrrev_b32_e32 v3, 16, v3
	s_delay_alu instid0(VALU_DEP_1)
	v_cndmask_b32_e32 v1, 0x7fc0, v3, vcc_lo
	s_branch .LBB239_169
.LBB239_59:
	s_mov_b32 s30, -1
	s_mov_b32 s0, 0
	s_mov_b32 s29, 0
.LBB239_60:
	s_and_b32 vcc_lo, exec_lo, s30
	s_cbranch_vccz .LBB239_65
; %bb.61:
	s_cmp_eq_u32 s28, 44
	s_mov_b32 s0, -1
	s_cbranch_scc0 .LBB239_65
; %bb.62:
	s_wait_xcnt 0x0
	v_and_b32_e32 v4, 0xffff, v1
	v_mov_b32_e32 v5, 0xff
	s_mov_b32 s29, exec_lo
	s_delay_alu instid0(VALU_DEP_2) | instskip(NEXT) | instid1(VALU_DEP_1)
	v_bfe_u32 v6, v4, 7, 8
	v_cmpx_ne_u32_e32 0xff, v6
	s_cbranch_execz .LBB239_64
; %bb.63:
	v_dual_lshlrev_b32 v5, 16, v4 :: v_dual_bitop2_b32 v7, 64, v4 bitop3:0x40
	v_lshrrev_b32_e32 v4, 7, v4
	s_delay_alu instid0(VALU_DEP_2) | instskip(NEXT) | instid1(VALU_DEP_3)
	v_and_or_b32 v5, 0x3f0000, v5, v6
	v_cmp_ne_u32_e32 vcc_lo, 0, v7
	s_delay_alu instid0(VALU_DEP_2) | instskip(SKIP_1) | instid1(SALU_CYCLE_1)
	v_cmp_ne_u32_e64 s0, 0, v5
	s_and_b32 s0, vcc_lo, s0
	v_cndmask_b32_e64 v5, 0, 1, s0
	s_delay_alu instid0(VALU_DEP_1)
	v_add_nc_u32_e32 v5, v4, v5
.LBB239_64:
	s_or_b32 exec_lo, exec_lo, s29
	s_mov_b32 s29, -1
	s_mov_b32 s0, 0
	global_store_b8 v[2:3], v5, off
.LBB239_65:
	s_mov_b32 s30, 0
.LBB239_66:
	s_delay_alu instid0(SALU_CYCLE_1)
	s_and_b32 vcc_lo, exec_lo, s30
	s_cbranch_vccz .LBB239_69
; %bb.67:
	s_cmp_eq_u32 s28, 29
	s_mov_b32 s0, -1
	s_cbranch_scc0 .LBB239_69
; %bb.68:
	s_wait_xcnt 0x0
	v_lshlrev_b32_e32 v4, 16, v1
	s_mov_b32 s29, -1
	s_mov_b32 s0, 0
	s_mov_b32 s30, 0
	s_delay_alu instid0(VALU_DEP_1) | instskip(NEXT) | instid1(VALU_DEP_1)
	v_trunc_f32_e32 v4, v4
	v_mul_f32_e32 v5, 0x2f800000, v4
	s_delay_alu instid0(VALU_DEP_1) | instskip(NEXT) | instid1(VALU_DEP_1)
	v_floor_f32_e32 v5, v5
	v_fmamk_f32 v4, v5, 0xcf800000, v4
	v_cvt_u32_f32_e32 v5, v5
	s_delay_alu instid0(VALU_DEP_2)
	v_cvt_u32_f32_e32 v4, v4
	global_store_b64 v[2:3], v[4:5], off
	s_branch .LBB239_70
.LBB239_69:
	s_mov_b32 s30, 0
.LBB239_70:
	s_delay_alu instid0(SALU_CYCLE_1)
	s_and_b32 vcc_lo, exec_lo, s30
	s_cbranch_vccz .LBB239_86
; %bb.71:
	s_cmp_lt_i32 s28, 27
	s_mov_b32 s29, -1
	s_cbranch_scc1 .LBB239_77
; %bb.72:
	s_cmp_gt_i32 s28, 27
	s_cbranch_scc0 .LBB239_74
; %bb.73:
	s_wait_xcnt 0x0
	v_lshlrev_b32_e32 v4, 16, v1
	s_mov_b32 s29, 0
	s_delay_alu instid0(VALU_DEP_1)
	v_cvt_u32_f32_e32 v4, v4
	global_store_b32 v[2:3], v4, off
.LBB239_74:
	s_and_not1_b32 vcc_lo, exec_lo, s29
	s_cbranch_vccnz .LBB239_76
; %bb.75:
	s_wait_xcnt 0x0
	v_lshlrev_b32_e32 v4, 16, v1
	s_delay_alu instid0(VALU_DEP_1)
	v_cvt_u32_f32_e32 v4, v4
	global_store_b16 v[2:3], v4, off
.LBB239_76:
	s_mov_b32 s29, 0
.LBB239_77:
	s_delay_alu instid0(SALU_CYCLE_1)
	s_and_not1_b32 vcc_lo, exec_lo, s29
	s_cbranch_vccnz .LBB239_85
; %bb.78:
	v_dual_mov_b32 v7, 0x80 :: v_dual_lshlrev_b32 v6, 16, v1
	s_mov_b32 s29, exec_lo
	s_wait_xcnt 0x0
	s_delay_alu instid0(VALU_DEP_1) | instskip(NEXT) | instid1(VALU_DEP_1)
	v_and_b32_e32 v5, 0x7fffffff, v6
	v_cmpx_gt_u32_e32 0x43800000, v5
	s_cbranch_execz .LBB239_84
; %bb.79:
	v_and_b32_e32 v4, 0xffff, v1
	v_cmp_lt_u32_e32 vcc_lo, 0x3bffffff, v5
	s_mov_b32 s30, 0
                                        ; implicit-def: $vgpr5
	s_and_saveexec_b32 s31, vcc_lo
	s_delay_alu instid0(SALU_CYCLE_1)
	s_xor_b32 s31, exec_lo, s31
	s_cbranch_execz .LBB239_335
; %bb.80:
	v_bfe_u32 v5, v4, 4, 1
	s_mov_b32 s30, exec_lo
	s_delay_alu instid0(VALU_DEP_1) | instskip(NEXT) | instid1(VALU_DEP_1)
	v_add3_u32 v5, v6, v5, 0x487ffff
                                        ; implicit-def: $vgpr6
	v_lshrrev_b32_e32 v5, 20, v5
	s_and_not1_saveexec_b32 s31, s31
	s_cbranch_execnz .LBB239_336
.LBB239_81:
	s_or_b32 exec_lo, exec_lo, s31
	v_mov_b32_e32 v7, 0
	s_and_saveexec_b32 s31, s30
.LBB239_82:
	v_lshrrev_b32_e32 v4, 8, v4
	s_delay_alu instid0(VALU_DEP_1)
	v_and_or_b32 v7, 0x80, v4, v5
.LBB239_83:
	s_or_b32 exec_lo, exec_lo, s31
.LBB239_84:
	s_delay_alu instid0(SALU_CYCLE_1)
	s_or_b32 exec_lo, exec_lo, s29
	global_store_b8 v[2:3], v7, off
.LBB239_85:
	s_mov_b32 s29, -1
.LBB239_86:
	s_mov_b32 s30, 0
.LBB239_87:
	s_delay_alu instid0(SALU_CYCLE_1)
	s_and_b32 vcc_lo, exec_lo, s30
	s_cbranch_vccz .LBB239_128
; %bb.88:
	s_cmp_gt_i32 s28, 22
	s_mov_b32 s30, -1
	s_cbranch_scc0 .LBB239_120
; %bb.89:
	s_cmp_lt_i32 s28, 24
	s_mov_b32 s29, -1
	s_cbranch_scc1 .LBB239_109
; %bb.90:
	s_cmp_gt_i32 s28, 24
	s_cbranch_scc0 .LBB239_98
; %bb.91:
	s_wait_xcnt 0x0
	v_dual_mov_b32 v7, 0x80 :: v_dual_lshlrev_b32 v6, 16, v1
	s_mov_b32 s29, exec_lo
	s_delay_alu instid0(VALU_DEP_1) | instskip(NEXT) | instid1(VALU_DEP_1)
	v_and_b32_e32 v5, 0x7fffffff, v6
	v_cmpx_gt_u32_e32 0x47800000, v5
	s_cbranch_execz .LBB239_97
; %bb.92:
	v_and_b32_e32 v4, 0xffff, v1
	v_cmp_lt_u32_e32 vcc_lo, 0x37ffffff, v5
	s_mov_b32 s30, 0
                                        ; implicit-def: $vgpr5
	s_and_saveexec_b32 s31, vcc_lo
	s_delay_alu instid0(SALU_CYCLE_1)
	s_xor_b32 s31, exec_lo, s31
	s_cbranch_execz .LBB239_339
; %bb.93:
	v_bfe_u32 v5, v4, 5, 1
	s_mov_b32 s30, exec_lo
	s_delay_alu instid0(VALU_DEP_1) | instskip(NEXT) | instid1(VALU_DEP_1)
	v_add3_u32 v5, v6, v5, 0x88fffff
                                        ; implicit-def: $vgpr6
	v_lshrrev_b32_e32 v5, 21, v5
	s_and_not1_saveexec_b32 s31, s31
	s_cbranch_execnz .LBB239_340
.LBB239_94:
	s_or_b32 exec_lo, exec_lo, s31
	v_mov_b32_e32 v7, 0
	s_and_saveexec_b32 s31, s30
.LBB239_95:
	v_lshrrev_b32_e32 v4, 8, v4
	s_delay_alu instid0(VALU_DEP_1)
	v_and_or_b32 v7, 0x80, v4, v5
.LBB239_96:
	s_or_b32 exec_lo, exec_lo, s31
.LBB239_97:
	s_delay_alu instid0(SALU_CYCLE_1)
	s_or_b32 exec_lo, exec_lo, s29
	s_mov_b32 s29, 0
	global_store_b8 v[2:3], v7, off
.LBB239_98:
	s_and_b32 vcc_lo, exec_lo, s29
	s_cbranch_vccz .LBB239_108
; %bb.99:
	v_lshlrev_b32_e32 v6, 16, v1
	s_wait_xcnt 0x0
	v_and_b32_e32 v4, 0xffff, v1
	s_mov_b32 s29, exec_lo
                                        ; implicit-def: $vgpr5
	s_delay_alu instid0(VALU_DEP_2) | instskip(NEXT) | instid1(VALU_DEP_1)
	v_and_b32_e32 v7, 0x7fffffff, v6
	v_cmpx_gt_u32_e32 0x43f00000, v7
	s_xor_b32 s29, exec_lo, s29
	s_cbranch_execz .LBB239_105
; %bb.100:
	s_mov_b32 s30, exec_lo
                                        ; implicit-def: $vgpr5
	v_cmpx_lt_u32_e32 0x3c7fffff, v7
	s_xor_b32 s30, exec_lo, s30
; %bb.101:
	v_bfe_u32 v5, v4, 4, 1
	s_delay_alu instid0(VALU_DEP_1) | instskip(NEXT) | instid1(VALU_DEP_1)
	v_add3_u32 v5, v6, v5, 0x407ffff
	v_and_b32_e32 v6, 0xff00000, v5
	v_lshrrev_b32_e32 v5, 20, v5
	s_delay_alu instid0(VALU_DEP_2) | instskip(NEXT) | instid1(VALU_DEP_2)
	v_cmp_ne_u32_e32 vcc_lo, 0x7f00000, v6
                                        ; implicit-def: $vgpr6
	v_cndmask_b32_e32 v5, 0x7e, v5, vcc_lo
; %bb.102:
	s_and_not1_saveexec_b32 s30, s30
; %bb.103:
	v_add_f32_e64 v5, 0x46800000, |v6|
; %bb.104:
	s_or_b32 exec_lo, exec_lo, s30
                                        ; implicit-def: $vgpr7
.LBB239_105:
	s_and_not1_saveexec_b32 s29, s29
; %bb.106:
	v_mov_b32_e32 v5, 0x7f
	v_cmp_lt_u32_e32 vcc_lo, 0x7f800000, v7
	s_delay_alu instid0(VALU_DEP_2)
	v_cndmask_b32_e32 v5, 0x7e, v5, vcc_lo
; %bb.107:
	s_or_b32 exec_lo, exec_lo, s29
	v_lshrrev_b32_e32 v4, 8, v4
	s_delay_alu instid0(VALU_DEP_1)
	v_and_or_b32 v4, 0x80, v4, v5
	global_store_b8 v[2:3], v4, off
.LBB239_108:
	s_mov_b32 s29, 0
.LBB239_109:
	s_delay_alu instid0(SALU_CYCLE_1)
	s_and_not1_b32 vcc_lo, exec_lo, s29
	s_cbranch_vccnz .LBB239_119
; %bb.110:
	v_lshlrev_b32_e32 v6, 16, v1
	s_wait_xcnt 0x0
	v_and_b32_e32 v4, 0xffff, v1
	s_mov_b32 s29, exec_lo
                                        ; implicit-def: $vgpr5
	s_delay_alu instid0(VALU_DEP_2) | instskip(NEXT) | instid1(VALU_DEP_1)
	v_and_b32_e32 v7, 0x7fffffff, v6
	v_cmpx_gt_u32_e32 0x47800000, v7
	s_xor_b32 s29, exec_lo, s29
	s_cbranch_execz .LBB239_116
; %bb.111:
	s_mov_b32 s30, exec_lo
                                        ; implicit-def: $vgpr5
	v_cmpx_lt_u32_e32 0x387fffff, v7
	s_xor_b32 s30, exec_lo, s30
; %bb.112:
	v_bfe_u32 v5, v4, 5, 1
	s_delay_alu instid0(VALU_DEP_1) | instskip(NEXT) | instid1(VALU_DEP_1)
	v_add3_u32 v5, v6, v5, 0x80fffff
                                        ; implicit-def: $vgpr6
	v_lshrrev_b32_e32 v5, 21, v5
; %bb.113:
	s_and_not1_saveexec_b32 s30, s30
; %bb.114:
	v_add_f32_e64 v5, 0x43000000, |v6|
; %bb.115:
	s_or_b32 exec_lo, exec_lo, s30
                                        ; implicit-def: $vgpr7
.LBB239_116:
	s_and_not1_saveexec_b32 s29, s29
; %bb.117:
	v_mov_b32_e32 v5, 0x7f
	v_cmp_lt_u32_e32 vcc_lo, 0x7f800000, v7
	s_delay_alu instid0(VALU_DEP_2)
	v_cndmask_b32_e32 v5, 0x7c, v5, vcc_lo
; %bb.118:
	s_or_b32 exec_lo, exec_lo, s29
	v_lshrrev_b32_e32 v4, 8, v4
	s_delay_alu instid0(VALU_DEP_1)
	v_and_or_b32 v4, 0x80, v4, v5
	global_store_b8 v[2:3], v4, off
.LBB239_119:
	s_mov_b32 s30, 0
	s_mov_b32 s29, -1
.LBB239_120:
	s_and_not1_b32 vcc_lo, exec_lo, s30
	s_cbranch_vccnz .LBB239_128
; %bb.121:
	s_cmp_gt_i32 s28, 14
	s_mov_b32 s30, -1
	s_cbranch_scc0 .LBB239_125
; %bb.122:
	s_cmp_eq_u32 s28, 15
	s_mov_b32 s0, -1
	s_cbranch_scc0 .LBB239_124
; %bb.123:
	s_mov_b32 s29, -1
	s_mov_b32 s0, 0
	global_store_b16 v[2:3], v1, off
.LBB239_124:
	s_mov_b32 s30, 0
.LBB239_125:
	s_delay_alu instid0(SALU_CYCLE_1)
	s_and_b32 vcc_lo, exec_lo, s30
	s_cbranch_vccz .LBB239_128
; %bb.126:
	s_cmp_eq_u32 s28, 11
	s_mov_b32 s0, -1
	s_cbranch_scc0 .LBB239_128
; %bb.127:
	s_wait_xcnt 0x0
	v_and_b32_e32 v4, 0x7fff, v1
	s_mov_b32 s0, 0
	s_mov_b32 s29, -1
	s_delay_alu instid0(VALU_DEP_1)
	v_cmp_ne_u16_e32 vcc_lo, 0, v4
	v_cndmask_b32_e64 v4, 0, 1, vcc_lo
	global_store_b8 v[2:3], v4, off
.LBB239_128:
	s_branch .LBB239_49
.LBB239_129:
	s_and_b32 s27, 0xffff, s27
	s_mov_b32 s28, -1
	s_cmp_lt_i32 s27, 5
	s_cbranch_scc1 .LBB239_150
; %bb.130:
	s_cmp_lt_i32 s27, 8
	s_cbranch_scc1 .LBB239_140
; %bb.131:
	;; [unrolled: 3-line block ×3, first 2 shown]
	s_cmp_gt_i32 s27, 9
	s_cbranch_scc0 .LBB239_134
; %bb.133:
	s_wait_xcnt 0x0
	v_dual_lshlrev_b32 v4, 16, v1 :: v_dual_mov_b32 v6, 0
	s_mov_b32 s28, 0
	s_delay_alu instid0(VALU_DEP_1) | instskip(NEXT) | instid1(VALU_DEP_2)
	v_cvt_f64_f32_e32 v[4:5], v4
	v_mov_b32_e32 v7, v6
	global_store_b128 v[2:3], v[4:7], off
.LBB239_134:
	s_and_not1_b32 vcc_lo, exec_lo, s28
	s_cbranch_vccnz .LBB239_136
; %bb.135:
	s_wait_xcnt 0x0
	v_dual_mov_b32 v5, 0 :: v_dual_lshlrev_b32 v4, 16, v1
	global_store_b64 v[2:3], v[4:5], off
.LBB239_136:
	s_mov_b32 s28, 0
.LBB239_137:
	s_delay_alu instid0(SALU_CYCLE_1)
	s_and_not1_b32 vcc_lo, exec_lo, s28
	s_cbranch_vccnz .LBB239_139
; %bb.138:
	s_wait_xcnt 0x0
	v_lshlrev_b32_e32 v4, 16, v1
	s_delay_alu instid0(VALU_DEP_1) | instskip(NEXT) | instid1(VALU_DEP_1)
	v_cvt_f16_f32_e32 v4, v4
	v_and_b32_e32 v4, 0xffff, v4
	global_store_b32 v[2:3], v4, off
.LBB239_139:
	s_mov_b32 s28, 0
.LBB239_140:
	s_delay_alu instid0(SALU_CYCLE_1)
	s_and_not1_b32 vcc_lo, exec_lo, s28
	s_cbranch_vccnz .LBB239_149
; %bb.141:
	s_cmp_lt_i32 s27, 6
	s_mov_b32 s28, -1
	s_cbranch_scc1 .LBB239_147
; %bb.142:
	s_cmp_gt_i32 s27, 6
	s_cbranch_scc0 .LBB239_144
; %bb.143:
	s_wait_xcnt 0x0
	v_lshlrev_b32_e32 v4, 16, v1
	s_mov_b32 s28, 0
	s_delay_alu instid0(VALU_DEP_1)
	v_cvt_f64_f32_e32 v[4:5], v4
	global_store_b64 v[2:3], v[4:5], off
.LBB239_144:
	s_and_not1_b32 vcc_lo, exec_lo, s28
	s_cbranch_vccnz .LBB239_146
; %bb.145:
	s_wait_xcnt 0x0
	v_lshlrev_b32_e32 v4, 16, v1
	global_store_b32 v[2:3], v4, off
.LBB239_146:
	s_mov_b32 s28, 0
.LBB239_147:
	s_delay_alu instid0(SALU_CYCLE_1)
	s_and_not1_b32 vcc_lo, exec_lo, s28
	s_cbranch_vccnz .LBB239_149
; %bb.148:
	s_wait_xcnt 0x0
	v_lshlrev_b32_e32 v4, 16, v1
	s_delay_alu instid0(VALU_DEP_1)
	v_cvt_f16_f32_e32 v4, v4
	global_store_b16 v[2:3], v4, off
.LBB239_149:
	s_mov_b32 s28, 0
.LBB239_150:
	s_delay_alu instid0(SALU_CYCLE_1)
	s_and_not1_b32 vcc_lo, exec_lo, s28
	s_cbranch_vccnz .LBB239_166
; %bb.151:
	s_cmp_lt_i32 s27, 2
	s_mov_b32 s28, -1
	s_cbranch_scc1 .LBB239_161
; %bb.152:
	s_cmp_lt_i32 s27, 3
	s_cbranch_scc1 .LBB239_158
; %bb.153:
	s_cmp_gt_i32 s27, 3
	s_cbranch_scc0 .LBB239_155
; %bb.154:
	s_wait_xcnt 0x0
	v_lshlrev_b32_e32 v4, 16, v1
	s_mov_b32 s28, 0
	s_delay_alu instid0(VALU_DEP_1) | instskip(NEXT) | instid1(VALU_DEP_1)
	v_trunc_f32_e32 v4, v4
	v_mul_f32_e64 v5, 0x2f800000, |v4|
	s_delay_alu instid0(VALU_DEP_1) | instskip(NEXT) | instid1(VALU_DEP_1)
	v_floor_f32_e32 v5, v5
	v_fma_f32 v6, 0xcf800000, v5, |v4|
	v_ashrrev_i32_e32 v4, 31, v4
	v_cvt_u32_f32_e32 v7, v5
	s_delay_alu instid0(VALU_DEP_3) | instskip(NEXT) | instid1(VALU_DEP_2)
	v_cvt_u32_f32_e32 v6, v6
	v_dual_mov_b32 v5, v4 :: v_dual_bitop2_b32 v7, v7, v4 bitop3:0x14
	s_delay_alu instid0(VALU_DEP_2) | instskip(NEXT) | instid1(VALU_DEP_1)
	v_xor_b32_e32 v6, v6, v4
	v_sub_nc_u64_e32 v[4:5], v[6:7], v[4:5]
	global_store_b64 v[2:3], v[4:5], off
.LBB239_155:
	s_and_not1_b32 vcc_lo, exec_lo, s28
	s_cbranch_vccnz .LBB239_157
; %bb.156:
	s_wait_xcnt 0x0
	v_lshlrev_b32_e32 v4, 16, v1
	s_delay_alu instid0(VALU_DEP_1)
	v_cvt_i32_f32_e32 v4, v4
	global_store_b32 v[2:3], v4, off
.LBB239_157:
	s_mov_b32 s28, 0
.LBB239_158:
	s_delay_alu instid0(SALU_CYCLE_1)
	s_and_not1_b32 vcc_lo, exec_lo, s28
	s_cbranch_vccnz .LBB239_160
; %bb.159:
	s_wait_xcnt 0x0
	v_lshlrev_b32_e32 v4, 16, v1
	s_delay_alu instid0(VALU_DEP_1)
	v_cvt_i32_f32_e32 v4, v4
	global_store_b16 v[2:3], v4, off
.LBB239_160:
	s_mov_b32 s28, 0
.LBB239_161:
	s_delay_alu instid0(SALU_CYCLE_1)
	s_and_not1_b32 vcc_lo, exec_lo, s28
	s_cbranch_vccnz .LBB239_166
; %bb.162:
	s_cmp_gt_i32 s27, 0
	s_mov_b32 s27, -1
	s_cbranch_scc0 .LBB239_164
; %bb.163:
	s_wait_xcnt 0x0
	v_lshlrev_b32_e32 v4, 16, v1
	s_mov_b32 s27, 0
	s_delay_alu instid0(VALU_DEP_1)
	v_cvt_i32_f32_e32 v4, v4
	global_store_b8 v[2:3], v4, off
.LBB239_164:
	s_and_not1_b32 vcc_lo, exec_lo, s27
	s_cbranch_vccnz .LBB239_166
; %bb.165:
	s_wait_xcnt 0x0
	v_lshlrev_b32_e32 v1, 16, v1
	s_delay_alu instid0(VALU_DEP_1) | instskip(NEXT) | instid1(VALU_DEP_1)
	v_trunc_f32_e32 v1, v1
	v_mul_f32_e64 v4, 0x2f800000, |v1|
	s_delay_alu instid0(VALU_DEP_1) | instskip(NEXT) | instid1(VALU_DEP_1)
	v_floor_f32_e32 v4, v4
	v_fma_f32 v4, 0xcf800000, v4, |v1|
	v_ashrrev_i32_e32 v1, 31, v1
	s_delay_alu instid0(VALU_DEP_2) | instskip(NEXT) | instid1(VALU_DEP_1)
	v_cvt_u32_f32_e32 v4, v4
	v_xor_b32_e32 v4, v4, v1
	s_delay_alu instid0(VALU_DEP_1)
	v_sub_nc_u32_e32 v1, v4, v1
	global_store_b8 v[2:3], v1, off
.LBB239_166:
.LBB239_167:
	v_add_nc_u32_e32 v0, 0x80, v0
	s_mov_b32 s27, -1
	s_branch .LBB239_278
.LBB239_168:
	s_mov_b32 s26, -1
                                        ; implicit-def: $vgpr1
.LBB239_169:
	s_mov_b32 s28, 0
.LBB239_170:
	s_delay_alu instid0(SALU_CYCLE_1)
	s_and_b32 vcc_lo, exec_lo, s28
	s_cbranch_vccz .LBB239_174
; %bb.171:
	s_cmp_eq_u32 s0, 29
	s_cbranch_scc0 .LBB239_173
; %bb.172:
	global_load_b64 v[6:7], v[4:5], off
	s_mov_b32 s27, -1
	s_mov_b32 s26, 0
	s_mov_b32 s28, 0
	s_wait_loadcnt 0x0
	v_clz_i32_u32_e32 v1, v7
	s_delay_alu instid0(VALU_DEP_1) | instskip(NEXT) | instid1(VALU_DEP_1)
	v_min_u32_e32 v1, 32, v1
	v_lshlrev_b64_e32 v[6:7], v1, v[6:7]
	v_sub_nc_u32_e32 v1, 32, v1
	s_delay_alu instid0(VALU_DEP_2) | instskip(NEXT) | instid1(VALU_DEP_1)
	v_min_u32_e32 v3, 1, v6
	v_or_b32_e32 v3, v7, v3
	s_delay_alu instid0(VALU_DEP_1) | instskip(NEXT) | instid1(VALU_DEP_1)
	v_cvt_f32_u32_e32 v3, v3
	v_ldexp_f32 v1, v3, v1
	s_delay_alu instid0(VALU_DEP_1) | instskip(NEXT) | instid1(VALU_DEP_1)
	v_bfe_u32 v3, v1, 16, 1
	v_add3_u32 v1, v1, v3, 0x7fff
	s_delay_alu instid0(VALU_DEP_1)
	v_lshrrev_b32_e32 v1, 16, v1
	s_branch .LBB239_175
.LBB239_173:
	s_mov_b32 s26, -1
                                        ; implicit-def: $vgpr1
.LBB239_174:
	s_mov_b32 s28, 0
.LBB239_175:
	s_delay_alu instid0(SALU_CYCLE_1)
	s_and_b32 vcc_lo, exec_lo, s28
	s_cbranch_vccz .LBB239_193
; %bb.176:
	s_cmp_lt_i32 s0, 27
	s_cbranch_scc1 .LBB239_179
; %bb.177:
	s_cmp_gt_i32 s0, 27
	s_cbranch_scc0 .LBB239_180
; %bb.178:
	s_wait_loadcnt 0x0
	global_load_b32 v1, v[4:5], off
	s_mov_b32 s27, 0
	s_wait_loadcnt 0x0
	v_cvt_f32_u32_e32 v1, v1
	s_delay_alu instid0(VALU_DEP_1) | instskip(NEXT) | instid1(VALU_DEP_1)
	v_bfe_u32 v3, v1, 16, 1
	v_add3_u32 v1, v1, v3, 0x7fff
	s_delay_alu instid0(VALU_DEP_1)
	v_lshrrev_b32_e32 v1, 16, v1
	s_branch .LBB239_181
.LBB239_179:
	s_mov_b32 s27, -1
                                        ; implicit-def: $vgpr1
	s_branch .LBB239_184
.LBB239_180:
	s_mov_b32 s27, -1
                                        ; implicit-def: $vgpr1
.LBB239_181:
	s_delay_alu instid0(SALU_CYCLE_1)
	s_and_not1_b32 vcc_lo, exec_lo, s27
	s_cbranch_vccnz .LBB239_183
; %bb.182:
	s_wait_loadcnt 0x0
	global_load_u16 v1, v[4:5], off
	s_wait_loadcnt 0x0
	v_cvt_f32_u32_e32 v1, v1
	s_delay_alu instid0(VALU_DEP_1) | instskip(NEXT) | instid1(VALU_DEP_1)
	v_bfe_u32 v3, v1, 16, 1
	v_add3_u32 v1, v1, v3, 0x7fff
	s_delay_alu instid0(VALU_DEP_1)
	v_lshrrev_b32_e32 v1, 16, v1
.LBB239_183:
	s_mov_b32 s27, 0
.LBB239_184:
	s_delay_alu instid0(SALU_CYCLE_1)
	s_and_not1_b32 vcc_lo, exec_lo, s27
	s_cbranch_vccnz .LBB239_192
; %bb.185:
	s_wait_loadcnt 0x0
	global_load_u8 v1, v[4:5], off
	s_mov_b32 s27, 0
	s_mov_b32 s28, exec_lo
	s_wait_loadcnt 0x0
	v_cmpx_lt_i16_e32 0x7f, v1
	s_xor_b32 s28, exec_lo, s28
	s_cbranch_execz .LBB239_205
; %bb.186:
	s_mov_b32 s27, -1
	s_mov_b32 s29, exec_lo
	v_cmpx_eq_u16_e32 0x80, v1
; %bb.187:
	s_xor_b32 s27, exec_lo, -1
; %bb.188:
	s_or_b32 exec_lo, exec_lo, s29
	s_delay_alu instid0(SALU_CYCLE_1)
	s_and_b32 s27, s27, exec_lo
	s_or_saveexec_b32 s28, s28
	v_mov_b32_e32 v3, 0x7f800001
	s_xor_b32 exec_lo, exec_lo, s28
	s_cbranch_execnz .LBB239_206
.LBB239_189:
	s_or_b32 exec_lo, exec_lo, s28
	s_and_saveexec_b32 s28, s27
	s_cbranch_execz .LBB239_191
.LBB239_190:
	v_and_b32_e32 v3, 0xffff, v1
	s_delay_alu instid0(VALU_DEP_1) | instskip(SKIP_1) | instid1(VALU_DEP_2)
	v_dual_lshlrev_b32 v1, 24, v1 :: v_dual_bitop2_b32 v6, 7, v3 bitop3:0x40
	v_bfe_u32 v9, v3, 3, 4
	v_and_b32_e32 v1, 0x80000000, v1
	s_delay_alu instid0(VALU_DEP_3) | instskip(NEXT) | instid1(VALU_DEP_3)
	v_clz_i32_u32_e32 v7, v6
	v_cmp_eq_u32_e32 vcc_lo, 0, v9
	s_delay_alu instid0(VALU_DEP_2) | instskip(NEXT) | instid1(VALU_DEP_1)
	v_min_u32_e32 v7, 32, v7
	v_subrev_nc_u32_e32 v8, 28, v7
	v_sub_nc_u32_e32 v7, 29, v7
	s_delay_alu instid0(VALU_DEP_2) | instskip(NEXT) | instid1(VALU_DEP_2)
	v_lshlrev_b32_e32 v3, v8, v3
	v_cndmask_b32_e32 v7, v9, v7, vcc_lo
	s_delay_alu instid0(VALU_DEP_2) | instskip(NEXT) | instid1(VALU_DEP_1)
	v_and_b32_e32 v3, 7, v3
	v_cndmask_b32_e32 v3, v6, v3, vcc_lo
	s_delay_alu instid0(VALU_DEP_3) | instskip(NEXT) | instid1(VALU_DEP_2)
	v_lshl_add_u32 v6, v7, 23, 0x3b800000
	v_lshlrev_b32_e32 v3, 20, v3
	s_delay_alu instid0(VALU_DEP_1)
	v_or3_b32 v3, v1, v6, v3
.LBB239_191:
	s_or_b32 exec_lo, exec_lo, s28
	s_delay_alu instid0(VALU_DEP_1) | instskip(SKIP_1) | instid1(VALU_DEP_2)
	v_bfe_u32 v1, v3, 16, 1
	v_cmp_o_f32_e32 vcc_lo, v3, v3
	v_add3_u32 v1, v3, v1, 0x7fff
	s_delay_alu instid0(VALU_DEP_1) | instskip(NEXT) | instid1(VALU_DEP_1)
	v_lshrrev_b32_e32 v1, 16, v1
	v_cndmask_b32_e32 v1, 0x7fc0, v1, vcc_lo
.LBB239_192:
	s_mov_b32 s27, -1
.LBB239_193:
	s_branch .LBB239_228
.LBB239_194:
	s_cmp_gt_i32 s0, 22
	s_cbranch_scc0 .LBB239_204
; %bb.195:
	s_cmp_lt_i32 s0, 24
	s_cbranch_scc1 .LBB239_207
; %bb.196:
	s_cmp_gt_i32 s0, 24
	s_cbranch_scc0 .LBB239_208
; %bb.197:
	s_wait_loadcnt 0x0
	global_load_u8 v1, v[4:5], off
	s_mov_b32 s27, 0
	s_mov_b32 s28, exec_lo
	s_wait_loadcnt 0x0
	v_cmpx_lt_i16_e32 0x7f, v1
	s_xor_b32 s28, exec_lo, s28
	s_cbranch_execz .LBB239_220
; %bb.198:
	s_mov_b32 s27, -1
	s_mov_b32 s29, exec_lo
	v_cmpx_eq_u16_e32 0x80, v1
; %bb.199:
	s_xor_b32 s27, exec_lo, -1
; %bb.200:
	s_or_b32 exec_lo, exec_lo, s29
	s_delay_alu instid0(SALU_CYCLE_1)
	s_and_b32 s27, s27, exec_lo
	s_or_saveexec_b32 s28, s28
	v_mov_b32_e32 v3, 0x7f800001
	s_xor_b32 exec_lo, exec_lo, s28
	s_cbranch_execnz .LBB239_221
.LBB239_201:
	s_or_b32 exec_lo, exec_lo, s28
	s_and_saveexec_b32 s28, s27
	s_cbranch_execz .LBB239_203
.LBB239_202:
	v_and_b32_e32 v3, 0xffff, v1
	s_delay_alu instid0(VALU_DEP_1) | instskip(SKIP_1) | instid1(VALU_DEP_2)
	v_dual_lshlrev_b32 v1, 24, v1 :: v_dual_bitop2_b32 v6, 3, v3 bitop3:0x40
	v_bfe_u32 v9, v3, 2, 5
	v_and_b32_e32 v1, 0x80000000, v1
	s_delay_alu instid0(VALU_DEP_3) | instskip(NEXT) | instid1(VALU_DEP_3)
	v_clz_i32_u32_e32 v7, v6
	v_cmp_eq_u32_e32 vcc_lo, 0, v9
	s_delay_alu instid0(VALU_DEP_2) | instskip(NEXT) | instid1(VALU_DEP_1)
	v_min_u32_e32 v7, 32, v7
	v_subrev_nc_u32_e32 v8, 29, v7
	v_sub_nc_u32_e32 v7, 30, v7
	s_delay_alu instid0(VALU_DEP_2) | instskip(NEXT) | instid1(VALU_DEP_2)
	v_lshlrev_b32_e32 v3, v8, v3
	v_cndmask_b32_e32 v7, v9, v7, vcc_lo
	s_delay_alu instid0(VALU_DEP_2) | instskip(NEXT) | instid1(VALU_DEP_1)
	v_and_b32_e32 v3, 3, v3
	v_cndmask_b32_e32 v3, v6, v3, vcc_lo
	s_delay_alu instid0(VALU_DEP_3) | instskip(NEXT) | instid1(VALU_DEP_2)
	v_lshl_add_u32 v6, v7, 23, 0x37800000
	v_lshlrev_b32_e32 v3, 21, v3
	s_delay_alu instid0(VALU_DEP_1)
	v_or3_b32 v3, v1, v6, v3
.LBB239_203:
	s_or_b32 exec_lo, exec_lo, s28
	s_delay_alu instid0(VALU_DEP_1) | instskip(SKIP_2) | instid1(VALU_DEP_2)
	v_bfe_u32 v1, v3, 16, 1
	v_cmp_o_f32_e32 vcc_lo, v3, v3
	s_mov_b32 s27, 0
	v_add3_u32 v1, v3, v1, 0x7fff
	s_delay_alu instid0(VALU_DEP_1) | instskip(NEXT) | instid1(VALU_DEP_1)
	v_lshrrev_b32_e32 v1, 16, v1
	v_cndmask_b32_e32 v1, 0x7fc0, v1, vcc_lo
	s_branch .LBB239_209
.LBB239_204:
	s_mov_b32 s28, -1
                                        ; implicit-def: $vgpr1
	s_branch .LBB239_215
.LBB239_205:
	s_or_saveexec_b32 s28, s28
	v_mov_b32_e32 v3, 0x7f800001
	s_xor_b32 exec_lo, exec_lo, s28
	s_cbranch_execz .LBB239_189
.LBB239_206:
	v_cmp_ne_u16_e32 vcc_lo, 0, v1
	v_mov_b32_e32 v3, 0
	s_and_not1_b32 s27, s27, exec_lo
	s_and_b32 s29, vcc_lo, exec_lo
	s_delay_alu instid0(SALU_CYCLE_1)
	s_or_b32 s27, s27, s29
	s_or_b32 exec_lo, exec_lo, s28
	s_and_saveexec_b32 s28, s27
	s_cbranch_execnz .LBB239_190
	s_branch .LBB239_191
.LBB239_207:
	s_mov_b32 s27, -1
                                        ; implicit-def: $vgpr1
	s_branch .LBB239_212
.LBB239_208:
	s_mov_b32 s27, -1
                                        ; implicit-def: $vgpr1
.LBB239_209:
	s_delay_alu instid0(SALU_CYCLE_1)
	s_and_b32 vcc_lo, exec_lo, s27
	s_cbranch_vccz .LBB239_211
; %bb.210:
	s_wait_loadcnt 0x0
	global_load_u8 v1, v[4:5], off
	s_wait_loadcnt 0x0
	v_lshlrev_b32_e32 v1, 24, v1
	s_delay_alu instid0(VALU_DEP_1) | instskip(NEXT) | instid1(VALU_DEP_1)
	v_and_b32_e32 v3, 0x7f000000, v1
	v_clz_i32_u32_e32 v6, v3
	v_cmp_ne_u32_e32 vcc_lo, 0, v3
	v_add_nc_u32_e32 v8, 0x1000000, v3
	s_delay_alu instid0(VALU_DEP_3) | instskip(NEXT) | instid1(VALU_DEP_1)
	v_min_u32_e32 v6, 32, v6
	v_sub_nc_u32_e64 v6, v6, 4 clamp
	s_delay_alu instid0(VALU_DEP_1) | instskip(NEXT) | instid1(VALU_DEP_1)
	v_dual_lshlrev_b32 v7, v6, v3 :: v_dual_lshlrev_b32 v6, 23, v6
	v_lshrrev_b32_e32 v7, 4, v7
	s_delay_alu instid0(VALU_DEP_1) | instskip(NEXT) | instid1(VALU_DEP_1)
	v_dual_sub_nc_u32 v6, v7, v6 :: v_dual_ashrrev_i32 v7, 8, v8
	v_add_nc_u32_e32 v6, 0x3c000000, v6
	s_delay_alu instid0(VALU_DEP_1) | instskip(NEXT) | instid1(VALU_DEP_1)
	v_and_or_b32 v6, 0x7f800000, v7, v6
	v_cndmask_b32_e32 v3, 0, v6, vcc_lo
	s_delay_alu instid0(VALU_DEP_1) | instskip(SKIP_1) | instid1(VALU_DEP_2)
	v_and_or_b32 v1, 0x80000000, v1, v3
	v_bfe_u32 v3, v3, 16, 1
	v_cmp_o_f32_e32 vcc_lo, v1, v1
	s_delay_alu instid0(VALU_DEP_2) | instskip(NEXT) | instid1(VALU_DEP_1)
	v_add3_u32 v3, v1, v3, 0x7fff
	v_lshrrev_b32_e32 v3, 16, v3
	s_delay_alu instid0(VALU_DEP_1)
	v_cndmask_b32_e32 v1, 0x7fc0, v3, vcc_lo
.LBB239_211:
	s_mov_b32 s27, 0
.LBB239_212:
	s_delay_alu instid0(SALU_CYCLE_1)
	s_and_not1_b32 vcc_lo, exec_lo, s27
	s_cbranch_vccnz .LBB239_214
; %bb.213:
	s_wait_loadcnt 0x0
	global_load_u8 v1, v[4:5], off
	s_wait_loadcnt 0x0
	v_lshlrev_b32_e32 v3, 25, v1
	v_lshlrev_b16 v1, 8, v1
	s_delay_alu instid0(VALU_DEP_1) | instskip(SKIP_1) | instid1(VALU_DEP_2)
	v_and_or_b32 v7, 0x7f00, v1, 0.5
	v_bfe_i32 v1, v1, 0, 16
	v_add_f32_e32 v7, -0.5, v7
	v_lshrrev_b32_e32 v6, 4, v3
	v_cmp_gt_u32_e32 vcc_lo, 0x8000000, v3
	s_delay_alu instid0(VALU_DEP_2) | instskip(NEXT) | instid1(VALU_DEP_1)
	v_or_b32_e32 v6, 0x70000000, v6
	v_mul_f32_e32 v6, 0x7800000, v6
	s_delay_alu instid0(VALU_DEP_1) | instskip(NEXT) | instid1(VALU_DEP_1)
	v_cndmask_b32_e32 v3, v6, v7, vcc_lo
	v_and_or_b32 v1, 0x80000000, v1, v3
	v_bfe_u32 v3, v3, 16, 1
	s_delay_alu instid0(VALU_DEP_2) | instskip(NEXT) | instid1(VALU_DEP_2)
	v_cmp_o_f32_e32 vcc_lo, v1, v1
	v_add3_u32 v3, v1, v3, 0x7fff
	s_delay_alu instid0(VALU_DEP_1) | instskip(NEXT) | instid1(VALU_DEP_1)
	v_lshrrev_b32_e32 v3, 16, v3
	v_cndmask_b32_e32 v1, 0x7fc0, v3, vcc_lo
.LBB239_214:
	s_mov_b32 s28, 0
	s_mov_b32 s27, -1
.LBB239_215:
	s_and_not1_b32 vcc_lo, exec_lo, s28
	s_cbranch_vccnz .LBB239_228
; %bb.216:
	s_cmp_gt_i32 s0, 14
	s_cbranch_scc0 .LBB239_219
; %bb.217:
	s_cmp_eq_u32 s0, 15
	s_cbranch_scc0 .LBB239_222
; %bb.218:
	s_wait_loadcnt 0x0
	global_load_u16 v1, v[4:5], off
	s_mov_b32 s27, -1
	s_mov_b32 s26, 0
	s_branch .LBB239_223
.LBB239_219:
	s_mov_b32 s28, -1
                                        ; implicit-def: $vgpr1
	s_branch .LBB239_224
.LBB239_220:
	s_or_saveexec_b32 s28, s28
	v_mov_b32_e32 v3, 0x7f800001
	s_xor_b32 exec_lo, exec_lo, s28
	s_cbranch_execz .LBB239_201
.LBB239_221:
	v_cmp_ne_u16_e32 vcc_lo, 0, v1
	v_mov_b32_e32 v3, 0
	s_and_not1_b32 s27, s27, exec_lo
	s_and_b32 s29, vcc_lo, exec_lo
	s_delay_alu instid0(SALU_CYCLE_1)
	s_or_b32 s27, s27, s29
	s_or_b32 exec_lo, exec_lo, s28
	s_and_saveexec_b32 s28, s27
	s_cbranch_execnz .LBB239_202
	s_branch .LBB239_203
.LBB239_222:
	s_mov_b32 s26, -1
                                        ; implicit-def: $vgpr1
.LBB239_223:
	s_mov_b32 s28, 0
.LBB239_224:
	s_delay_alu instid0(SALU_CYCLE_1)
	s_and_b32 vcc_lo, exec_lo, s28
	s_cbranch_vccz .LBB239_228
; %bb.225:
	s_cmp_eq_u32 s0, 11
	s_cbranch_scc0 .LBB239_227
; %bb.226:
	s_wait_loadcnt 0x0
	global_load_u8 v1, v[4:5], off
	s_mov_b32 s26, 0
	s_mov_b32 s27, -1
	s_wait_loadcnt 0x0
	v_cmp_ne_u16_e32 vcc_lo, 0, v1
	v_cndmask_b32_e64 v1, 0, 1.0, vcc_lo
	s_delay_alu instid0(VALU_DEP_1)
	v_lshrrev_b32_e32 v1, 16, v1
	s_branch .LBB239_228
.LBB239_227:
	s_mov_b32 s26, -1
                                        ; implicit-def: $vgpr1
.LBB239_228:
	s_branch .LBB239_25
.LBB239_229:
	s_cmp_lt_i32 s0, 5
	s_cbranch_scc1 .LBB239_234
; %bb.230:
	s_cmp_lt_i32 s0, 8
	s_cbranch_scc1 .LBB239_235
; %bb.231:
	;; [unrolled: 3-line block ×3, first 2 shown]
	s_cmp_gt_i32 s0, 9
	s_cbranch_scc0 .LBB239_237
; %bb.233:
	global_load_b64 v[6:7], v[4:5], off
	s_mov_b32 s27, 0
	s_wait_loadcnt 0x0
	v_cvt_f32_f64_e32 v1, v[6:7]
	s_delay_alu instid0(VALU_DEP_1) | instskip(SKIP_1) | instid1(VALU_DEP_2)
	v_bfe_u32 v3, v1, 16, 1
	v_cmp_o_f32_e32 vcc_lo, v1, v1
	v_add3_u32 v3, v1, v3, 0x7fff
	s_delay_alu instid0(VALU_DEP_1) | instskip(NEXT) | instid1(VALU_DEP_1)
	v_lshrrev_b32_e32 v3, 16, v3
	v_cndmask_b32_e32 v1, 0x7fc0, v3, vcc_lo
	s_branch .LBB239_238
.LBB239_234:
                                        ; implicit-def: $vgpr1
	s_branch .LBB239_256
.LBB239_235:
	s_mov_b32 s27, -1
                                        ; implicit-def: $vgpr1
	s_branch .LBB239_244
.LBB239_236:
	s_mov_b32 s27, -1
                                        ; implicit-def: $vgpr1
	s_branch .LBB239_241
.LBB239_237:
	s_mov_b32 s27, -1
                                        ; implicit-def: $vgpr1
.LBB239_238:
	s_delay_alu instid0(SALU_CYCLE_1)
	s_and_not1_b32 vcc_lo, exec_lo, s27
	s_cbranch_vccnz .LBB239_240
; %bb.239:
	s_wait_loadcnt 0x0
	global_load_b32 v1, v[4:5], off
	s_wait_loadcnt 0x0
	v_bfe_u32 v3, v1, 16, 1
	v_cmp_o_f32_e32 vcc_lo, v1, v1
	s_delay_alu instid0(VALU_DEP_2) | instskip(NEXT) | instid1(VALU_DEP_1)
	v_add3_u32 v3, v1, v3, 0x7fff
	v_lshrrev_b32_e32 v3, 16, v3
	s_delay_alu instid0(VALU_DEP_1)
	v_cndmask_b32_e32 v1, 0x7fc0, v3, vcc_lo
.LBB239_240:
	s_mov_b32 s27, 0
.LBB239_241:
	s_delay_alu instid0(SALU_CYCLE_1)
	s_and_not1_b32 vcc_lo, exec_lo, s27
	s_cbranch_vccnz .LBB239_243
; %bb.242:
	s_wait_loadcnt 0x0
	global_load_b32 v1, v[4:5], off
	s_wait_loadcnt 0x0
	v_cvt_f32_f16_e32 v3, v1
	v_cmp_o_f16_e32 vcc_lo, v1, v1
	s_delay_alu instid0(VALU_DEP_2) | instskip(NEXT) | instid1(VALU_DEP_1)
	v_bfe_u32 v6, v3, 16, 1
	v_add3_u32 v3, v3, v6, 0x7fff
	s_delay_alu instid0(VALU_DEP_1) | instskip(NEXT) | instid1(VALU_DEP_1)
	v_lshrrev_b32_e32 v3, 16, v3
	v_cndmask_b32_e32 v1, 0x7fc0, v3, vcc_lo
.LBB239_243:
	s_mov_b32 s27, 0
.LBB239_244:
	s_delay_alu instid0(SALU_CYCLE_1)
	s_and_not1_b32 vcc_lo, exec_lo, s27
	s_cbranch_vccnz .LBB239_255
; %bb.245:
	s_cmp_lt_i32 s0, 6
	s_cbranch_scc1 .LBB239_248
; %bb.246:
	s_cmp_gt_i32 s0, 6
	s_cbranch_scc0 .LBB239_249
; %bb.247:
	global_load_b64 v[6:7], v[4:5], off
	s_mov_b32 s27, 0
	s_wait_loadcnt 0x0
	v_cvt_f32_f64_e32 v1, v[6:7]
	s_delay_alu instid0(VALU_DEP_1) | instskip(SKIP_1) | instid1(VALU_DEP_2)
	v_bfe_u32 v3, v1, 16, 1
	v_cmp_o_f32_e32 vcc_lo, v1, v1
	v_add3_u32 v3, v1, v3, 0x7fff
	s_delay_alu instid0(VALU_DEP_1) | instskip(NEXT) | instid1(VALU_DEP_1)
	v_lshrrev_b32_e32 v3, 16, v3
	v_cndmask_b32_e32 v1, 0x7fc0, v3, vcc_lo
	s_branch .LBB239_250
.LBB239_248:
	s_mov_b32 s27, -1
                                        ; implicit-def: $vgpr1
	s_branch .LBB239_253
.LBB239_249:
	s_mov_b32 s27, -1
                                        ; implicit-def: $vgpr1
.LBB239_250:
	s_delay_alu instid0(SALU_CYCLE_1)
	s_and_not1_b32 vcc_lo, exec_lo, s27
	s_cbranch_vccnz .LBB239_252
; %bb.251:
	s_wait_loadcnt 0x0
	global_load_b32 v1, v[4:5], off
	s_wait_loadcnt 0x0
	v_bfe_u32 v3, v1, 16, 1
	v_cmp_o_f32_e32 vcc_lo, v1, v1
	s_delay_alu instid0(VALU_DEP_2) | instskip(NEXT) | instid1(VALU_DEP_1)
	v_add3_u32 v3, v1, v3, 0x7fff
	v_lshrrev_b32_e32 v3, 16, v3
	s_delay_alu instid0(VALU_DEP_1)
	v_cndmask_b32_e32 v1, 0x7fc0, v3, vcc_lo
.LBB239_252:
	s_mov_b32 s27, 0
.LBB239_253:
	s_delay_alu instid0(SALU_CYCLE_1)
	s_and_not1_b32 vcc_lo, exec_lo, s27
	s_cbranch_vccnz .LBB239_255
; %bb.254:
	s_wait_loadcnt 0x0
	global_load_u16 v1, v[4:5], off
	s_wait_loadcnt 0x0
	v_cvt_f32_f16_e32 v3, v1
	v_cmp_o_f16_e32 vcc_lo, v1, v1
	s_delay_alu instid0(VALU_DEP_2) | instskip(NEXT) | instid1(VALU_DEP_1)
	v_bfe_u32 v6, v3, 16, 1
	v_add3_u32 v3, v3, v6, 0x7fff
	s_delay_alu instid0(VALU_DEP_1) | instskip(NEXT) | instid1(VALU_DEP_1)
	v_lshrrev_b32_e32 v3, 16, v3
	v_cndmask_b32_e32 v1, 0x7fc0, v3, vcc_lo
.LBB239_255:
	s_cbranch_execnz .LBB239_275
.LBB239_256:
	s_cmp_lt_i32 s0, 2
	s_cbranch_scc1 .LBB239_260
; %bb.257:
	s_cmp_lt_i32 s0, 3
	s_cbranch_scc1 .LBB239_261
; %bb.258:
	s_cmp_gt_i32 s0, 3
	s_cbranch_scc0 .LBB239_262
; %bb.259:
	global_load_b64 v[6:7], v[4:5], off
	s_mov_b32 s27, 0
	s_wait_loadcnt 0x0
	v_xor_b32_e32 v1, v6, v7
	v_cls_i32_e32 v3, v7
	s_delay_alu instid0(VALU_DEP_2) | instskip(NEXT) | instid1(VALU_DEP_1)
	v_ashrrev_i32_e32 v1, 31, v1
	v_add_nc_u32_e32 v1, 32, v1
	s_delay_alu instid0(VALU_DEP_1) | instskip(NEXT) | instid1(VALU_DEP_1)
	v_add_min_u32_e64 v1, v3, -1, v1
	v_lshlrev_b64_e32 v[6:7], v1, v[6:7]
	v_sub_nc_u32_e32 v1, 32, v1
	s_delay_alu instid0(VALU_DEP_2) | instskip(NEXT) | instid1(VALU_DEP_1)
	v_min_u32_e32 v3, 1, v6
	v_or_b32_e32 v3, v7, v3
	s_delay_alu instid0(VALU_DEP_1) | instskip(NEXT) | instid1(VALU_DEP_1)
	v_cvt_f32_i32_e32 v3, v3
	v_ldexp_f32 v1, v3, v1
	s_delay_alu instid0(VALU_DEP_1) | instskip(NEXT) | instid1(VALU_DEP_1)
	v_bfe_u32 v3, v1, 16, 1
	v_add3_u32 v1, v1, v3, 0x7fff
	s_delay_alu instid0(VALU_DEP_1)
	v_lshrrev_b32_e32 v1, 16, v1
	s_branch .LBB239_263
.LBB239_260:
	s_mov_b32 s27, -1
                                        ; implicit-def: $vgpr1
	s_branch .LBB239_269
.LBB239_261:
	s_mov_b32 s27, -1
                                        ; implicit-def: $vgpr1
	s_branch .LBB239_266
.LBB239_262:
	s_mov_b32 s27, -1
                                        ; implicit-def: $vgpr1
.LBB239_263:
	s_delay_alu instid0(SALU_CYCLE_1)
	s_and_not1_b32 vcc_lo, exec_lo, s27
	s_cbranch_vccnz .LBB239_265
; %bb.264:
	s_wait_loadcnt 0x0
	global_load_b32 v1, v[4:5], off
	s_wait_loadcnt 0x0
	v_cvt_f32_i32_e32 v1, v1
	s_delay_alu instid0(VALU_DEP_1) | instskip(NEXT) | instid1(VALU_DEP_1)
	v_bfe_u32 v3, v1, 16, 1
	v_add3_u32 v1, v1, v3, 0x7fff
	s_delay_alu instid0(VALU_DEP_1)
	v_lshrrev_b32_e32 v1, 16, v1
.LBB239_265:
	s_mov_b32 s27, 0
.LBB239_266:
	s_delay_alu instid0(SALU_CYCLE_1)
	s_and_not1_b32 vcc_lo, exec_lo, s27
	s_cbranch_vccnz .LBB239_268
; %bb.267:
	s_wait_loadcnt 0x0
	global_load_i16 v1, v[4:5], off
	s_wait_loadcnt 0x0
	v_cvt_f32_i32_e32 v1, v1
	s_delay_alu instid0(VALU_DEP_1) | instskip(NEXT) | instid1(VALU_DEP_1)
	v_bfe_u32 v3, v1, 16, 1
	v_add3_u32 v1, v1, v3, 0x7fff
	s_delay_alu instid0(VALU_DEP_1)
	v_lshrrev_b32_e32 v1, 16, v1
.LBB239_268:
	s_mov_b32 s27, 0
.LBB239_269:
	s_delay_alu instid0(SALU_CYCLE_1)
	s_and_not1_b32 vcc_lo, exec_lo, s27
	s_cbranch_vccnz .LBB239_275
; %bb.270:
	s_cmp_gt_i32 s0, 0
	s_mov_b32 s0, 0
	s_cbranch_scc0 .LBB239_272
; %bb.271:
	s_wait_loadcnt 0x0
	global_load_i8 v1, v[4:5], off
	s_wait_loadcnt 0x0
	v_cvt_f32_i32_e32 v1, v1
	s_delay_alu instid0(VALU_DEP_1) | instskip(NEXT) | instid1(VALU_DEP_1)
	v_bfe_u32 v3, v1, 16, 1
	v_add3_u32 v1, v1, v3, 0x7fff
	s_delay_alu instid0(VALU_DEP_1)
	v_lshrrev_b32_e32 v1, 16, v1
	s_branch .LBB239_273
.LBB239_272:
	s_mov_b32 s0, -1
                                        ; implicit-def: $vgpr1
.LBB239_273:
	s_delay_alu instid0(SALU_CYCLE_1)
	s_and_not1_b32 vcc_lo, exec_lo, s0
	s_cbranch_vccnz .LBB239_275
; %bb.274:
	s_wait_loadcnt 0x0
	global_load_u8 v1, v[4:5], off
	s_wait_loadcnt 0x0
	v_cvt_f32_ubyte0_e32 v1, v1
	s_delay_alu instid0(VALU_DEP_1) | instskip(NEXT) | instid1(VALU_DEP_1)
	v_bfe_u32 v3, v1, 16, 1
	v_add3_u32 v1, v1, v3, 0x7fff
	s_delay_alu instid0(VALU_DEP_1)
	v_lshrrev_b32_e32 v1, 16, v1
.LBB239_275:
	s_branch .LBB239_26
.LBB239_276:
	s_mov_b32 s0, 0
.LBB239_277:
	s_mov_b32 s27, 0
                                        ; implicit-def: $vgpr0
.LBB239_278:
	s_and_b32 s42, s0, exec_lo
	s_and_b32 s43, s26, exec_lo
	s_or_not1_b32 s27, s27, exec_lo
.LBB239_279:
	s_wait_xcnt 0x0
	s_or_b32 exec_lo, exec_lo, s44
	s_mov_b32 s26, 0
	s_mov_b32 s0, 0
                                        ; implicit-def: $vgpr4_vgpr5
                                        ; implicit-def: $vgpr2
                                        ; implicit-def: $vgpr6
	s_and_saveexec_b32 s44, s27
	s_cbranch_execz .LBB239_287
; %bb.280:
	s_mov_b32 s0, -1
	s_mov_b32 s45, s43
	s_mov_b32 s46, s42
	s_mov_b32 s47, exec_lo
	v_cmpx_gt_i32_e64 s39, v0
	s_cbranch_execz .LBB239_571
; %bb.281:
	s_and_not1_b32 vcc_lo, exec_lo, s36
	s_cbranch_vccnz .LBB239_290
; %bb.282:
	s_and_not1_b32 vcc_lo, exec_lo, s41
	s_cbranch_vccnz .LBB239_291
; %bb.283:
	s_add_co_i32 s0, s40, 1
	s_cmp_eq_u32 s34, 2
	s_cbranch_scc1 .LBB239_292
; %bb.284:
	v_dual_mov_b32 v2, 0 :: v_dual_mov_b32 v4, 0
	s_wait_loadcnt 0x0
	v_mov_b32_e32 v1, v0
	s_and_b32 s26, s0, 28
	s_mov_b32 s27, 0
	s_mov_b64 s[28:29], s[2:3]
	s_mov_b64 s[30:31], s[24:25]
.LBB239_285:                            ; =>This Inner Loop Header: Depth=1
	s_clause 0x1
	s_load_b256 s[48:55], s[28:29], 0x4
	s_load_b128 s[64:67], s[28:29], 0x24
	s_load_b256 s[56:63], s[30:31], 0x0
	s_add_co_i32 s27, s27, 4
	s_wait_xcnt 0x0
	s_add_nc_u64 s[28:29], s[28:29], 48
	s_cmp_eq_u32 s26, s27
	s_add_nc_u64 s[30:31], s[30:31], 32
	s_wait_kmcnt 0x0
	v_mul_hi_u32 v3, s49, v1
	s_delay_alu instid0(VALU_DEP_1) | instskip(NEXT) | instid1(VALU_DEP_1)
	v_add_nc_u32_e32 v3, v1, v3
	v_lshrrev_b32_e32 v3, s50, v3
	s_delay_alu instid0(VALU_DEP_1) | instskip(NEXT) | instid1(VALU_DEP_1)
	v_mul_hi_u32 v5, s52, v3
	v_add_nc_u32_e32 v5, v3, v5
	s_delay_alu instid0(VALU_DEP_1) | instskip(NEXT) | instid1(VALU_DEP_1)
	v_lshrrev_b32_e32 v5, s53, v5
	v_mul_hi_u32 v6, s55, v5
	s_delay_alu instid0(VALU_DEP_1) | instskip(SKIP_1) | instid1(VALU_DEP_1)
	v_add_nc_u32_e32 v6, v5, v6
	v_mul_lo_u32 v7, v3, s48
	v_sub_nc_u32_e32 v1, v1, v7
	v_mul_lo_u32 v7, v5, s51
	s_delay_alu instid0(VALU_DEP_4) | instskip(NEXT) | instid1(VALU_DEP_3)
	v_lshrrev_b32_e32 v6, s64, v6
	v_mad_u32 v4, v1, s57, v4
	v_mad_u32 v1, v1, s56, v2
	s_delay_alu instid0(VALU_DEP_4) | instskip(NEXT) | instid1(VALU_DEP_4)
	v_sub_nc_u32_e32 v2, v3, v7
	v_mul_hi_u32 v8, s66, v6
	v_mul_lo_u32 v3, v6, s54
	s_delay_alu instid0(VALU_DEP_3) | instskip(SKIP_1) | instid1(VALU_DEP_3)
	v_mad_u32 v4, v2, s59, v4
	v_mad_u32 v2, v2, s58, v1
	v_dual_add_nc_u32 v7, v6, v8 :: v_dual_sub_nc_u32 v3, v5, v3
	s_delay_alu instid0(VALU_DEP_1) | instskip(NEXT) | instid1(VALU_DEP_2)
	v_lshrrev_b32_e32 v1, s67, v7
	v_mad_u32 v4, v3, s61, v4
	s_delay_alu instid0(VALU_DEP_4) | instskip(NEXT) | instid1(VALU_DEP_3)
	v_mad_u32 v2, v3, s60, v2
	v_mul_lo_u32 v5, v1, s65
	s_delay_alu instid0(VALU_DEP_1) | instskip(NEXT) | instid1(VALU_DEP_1)
	v_sub_nc_u32_e32 v3, v6, v5
	v_mad_u32 v4, v3, s63, v4
	s_delay_alu instid0(VALU_DEP_4)
	v_mad_u32 v2, v3, s62, v2
	s_cbranch_scc0 .LBB239_285
; %bb.286:
	s_delay_alu instid0(VALU_DEP_2)
	v_mov_b32_e32 v3, v4
	s_branch .LBB239_293
.LBB239_287:
	s_or_b32 exec_lo, exec_lo, s44
	s_mov_b32 s1, 0
	s_and_saveexec_b32 s6, s43
	s_cbranch_execnz .LBB239_966
.LBB239_288:
	s_or_b32 exec_lo, exec_lo, s6
	s_and_saveexec_b32 s6, s21
	s_delay_alu instid0(SALU_CYCLE_1)
	s_xor_b32 s6, exec_lo, s6
	s_cbranch_execz .LBB239_967
.LBB239_289:
	global_load_u8 v0, v[4:5], off
	s_or_b32 s0, s0, exec_lo
	s_wait_loadcnt 0x0
	v_cmp_ne_u16_e32 vcc_lo, 0, v0
	v_cndmask_b32_e64 v0, 0, 1.0, vcc_lo
	s_delay_alu instid0(VALU_DEP_1)
	v_lshrrev_b32_e32 v6, 16, v0
	s_wait_xcnt 0x0
	s_or_b32 exec_lo, exec_lo, s6
	s_and_saveexec_b32 s6, s26
	s_cbranch_execz .LBB239_1013
	s_branch .LBB239_968
.LBB239_290:
                                        ; implicit-def: $vgpr4
                                        ; implicit-def: $vgpr2
	s_and_not1_b32 vcc_lo, exec_lo, s0
	s_cbranch_vccnz .LBB239_300
	s_branch .LBB239_298
.LBB239_291:
	v_dual_mov_b32 v4, 0 :: v_dual_mov_b32 v2, 0
	s_branch .LBB239_297
.LBB239_292:
	v_mov_b64_e32 v[2:3], 0
	s_wait_loadcnt 0x0
	v_mov_b32_e32 v1, v0
                                        ; implicit-def: $vgpr4
.LBB239_293:
	s_and_b32 s0, s0, 3
	s_mov_b32 s27, 0
	s_cmp_eq_u32 s0, 0
	s_cbranch_scc1 .LBB239_297
; %bb.294:
	s_lshl_b32 s28, s26, 3
	s_mov_b32 s29, s27
	s_mul_u64 s[30:31], s[26:27], 12
	s_add_nc_u64 s[28:29], s[2:3], s[28:29]
	s_delay_alu instid0(SALU_CYCLE_1)
	s_add_nc_u64 s[26:27], s[28:29], 0xc4
	s_add_nc_u64 s[28:29], s[2:3], s[30:31]
.LBB239_295:                            ; =>This Inner Loop Header: Depth=1
	s_load_b96 s[48:50], s[28:29], 0x4
	s_load_b64 s[30:31], s[26:27], 0x0
	s_add_co_i32 s0, s0, -1
	s_wait_xcnt 0x0
	s_add_nc_u64 s[28:29], s[28:29], 12
	s_cmp_lg_u32 s0, 0
	s_add_nc_u64 s[26:27], s[26:27], 8
	s_wait_kmcnt 0x0
	v_mul_hi_u32 v4, s49, v1
	s_delay_alu instid0(VALU_DEP_1) | instskip(NEXT) | instid1(VALU_DEP_1)
	v_add_nc_u32_e32 v4, v1, v4
	v_lshrrev_b32_e32 v4, s50, v4
	s_delay_alu instid0(VALU_DEP_1) | instskip(NEXT) | instid1(VALU_DEP_1)
	v_mul_lo_u32 v5, v4, s48
	v_sub_nc_u32_e32 v1, v1, v5
	s_delay_alu instid0(VALU_DEP_1)
	v_mad_u32 v3, v1, s31, v3
	v_mad_u32 v2, v1, s30, v2
	v_mov_b32_e32 v1, v4
	s_cbranch_scc1 .LBB239_295
; %bb.296:
	s_delay_alu instid0(VALU_DEP_3)
	v_mov_b32_e32 v4, v3
.LBB239_297:
	s_cbranch_execnz .LBB239_300
.LBB239_298:
	s_wait_loadcnt 0x0
	v_mov_b32_e32 v1, 0
	s_and_not1_b32 vcc_lo, exec_lo, s38
	s_delay_alu instid0(VALU_DEP_1) | instskip(NEXT) | instid1(VALU_DEP_1)
	v_mul_u64_e32 v[2:3], s[20:21], v[0:1]
	v_add_nc_u32_e32 v2, v0, v3
	s_delay_alu instid0(VALU_DEP_1) | instskip(NEXT) | instid1(VALU_DEP_1)
	v_lshrrev_b32_e32 v6, s14, v2
	v_mul_lo_u32 v2, v6, s12
	s_delay_alu instid0(VALU_DEP_1) | instskip(NEXT) | instid1(VALU_DEP_1)
	v_sub_nc_u32_e32 v2, v0, v2
	v_mul_lo_u32 v4, v2, s17
	v_mul_lo_u32 v2, v2, s16
	s_cbranch_vccnz .LBB239_300
; %bb.299:
	v_mov_b32_e32 v7, v1
	s_delay_alu instid0(VALU_DEP_1) | instskip(NEXT) | instid1(VALU_DEP_1)
	v_mul_u64_e32 v[8:9], s[22:23], v[6:7]
	v_add_nc_u32_e32 v1, v6, v9
	s_delay_alu instid0(VALU_DEP_1) | instskip(NEXT) | instid1(VALU_DEP_1)
	v_lshrrev_b32_e32 v1, s1, v1
	v_mul_lo_u32 v1, v1, s15
	s_delay_alu instid0(VALU_DEP_1) | instskip(NEXT) | instid1(VALU_DEP_1)
	v_sub_nc_u32_e32 v1, v6, v1
	v_mad_u32 v2, v1, s18, v2
	v_mad_u32 v4, v1, s19, v4
.LBB239_300:
	v_mov_b32_e32 v5, 0
	s_and_b32 s0, 0xffff, s13
	s_delay_alu instid0(SALU_CYCLE_1) | instskip(NEXT) | instid1(VALU_DEP_1)
	s_cmp_lt_i32 s0, 11
	v_add_nc_u64_e32 v[4:5], s[6:7], v[4:5]
	s_cbranch_scc1 .LBB239_307
; %bb.301:
	s_cmp_gt_i32 s0, 25
	s_cbranch_scc0 .LBB239_313
; %bb.302:
	s_cmp_gt_i32 s0, 28
	s_cbranch_scc0 .LBB239_314
	;; [unrolled: 3-line block ×4, first 2 shown]
; %bb.305:
	s_cmp_eq_u32 s0, 46
	s_mov_b32 s28, 0
	s_cbranch_scc0 .LBB239_341
; %bb.306:
	s_wait_loadcnt 0x0
	global_load_b32 v1, v[4:5], off
	s_mov_b32 s27, -1
	s_mov_b32 s26, 0
	s_branch .LBB239_343
.LBB239_307:
	s_mov_b32 s27, 0
	s_mov_b32 s26, s43
                                        ; implicit-def: $vgpr1
	s_cbranch_execnz .LBB239_520
.LBB239_308:
	s_and_not1_b32 vcc_lo, exec_lo, s27
	s_cbranch_vccnz .LBB239_568
.LBB239_309:
	s_wait_loadcnt 0x0
	s_delay_alu instid0(VALU_DEP_1) | instskip(SKIP_2) | instid1(VALU_DEP_1)
	v_lshlrev_b32_e32 v3, 16, v1
	s_mov_b32 s0, exec_lo
	s_wait_xcnt 0x0
	v_cmpx_o_f32_e32 v3, v3
	s_cbranch_execz .LBB239_323
; %bb.310:
	s_cmp_lt_i32 s8, 1
	s_mov_b32 s27, 0
	s_cbranch_scc1 .LBB239_315
; %bb.311:
	s_cmp_eq_u32 s8, 1
	s_cbranch_scc0 .LBB239_317
; %bb.312:
	v_max_num_f32_e64 v1, s9, s9
	v_max_num_f32_e32 v4, v3, v3
	s_mov_b32 s28, 0
	s_delay_alu instid0(VALU_DEP_1) | instskip(NEXT) | instid1(VALU_DEP_1)
	v_min_num_f32_e32 v1, v4, v1
	v_bfe_u32 v4, v1, 16, 1
	s_delay_alu instid0(VALU_DEP_1) | instskip(NEXT) | instid1(VALU_DEP_1)
	v_add3_u32 v1, v1, v4, 0x7fff
	v_lshrrev_b32_e32 v1, 16, v1
	s_branch .LBB239_318
.LBB239_313:
	s_mov_b32 s28, -1
	s_mov_b32 s27, 0
	s_mov_b32 s26, s43
                                        ; implicit-def: $vgpr1
	s_branch .LBB239_484
.LBB239_314:
	s_mov_b32 s28, -1
	s_mov_b32 s27, 0
	s_mov_b32 s26, s43
                                        ; implicit-def: $vgpr1
	s_branch .LBB239_465
.LBB239_315:
	s_mov_b32 s29, -1
	s_mov_b32 s28, 0
                                        ; implicit-def: $vgpr1
	s_branch .LBB239_319
.LBB239_316:
	s_mov_b32 s28, -1
	s_mov_b32 s27, 0
	s_mov_b32 s26, s43
                                        ; implicit-def: $vgpr1
	s_branch .LBB239_460
.LBB239_317:
	s_mov_b32 s28, -1
                                        ; implicit-def: $vgpr1
.LBB239_318:
	s_mov_b32 s29, 0
.LBB239_319:
	s_delay_alu instid0(SALU_CYCLE_1)
	s_and_b32 vcc_lo, exec_lo, s29
	s_cbranch_vccz .LBB239_330
; %bb.320:
	s_cmp_lg_u32 s8, 0
	s_mov_b32 s27, -1
	s_cselect_b32 s28, -1, 0
	s_delay_alu instid0(SALU_CYCLE_1)
	s_and_not1_b32 vcc_lo, exec_lo, s28
	s_cbranch_vccz .LBB239_331
.LBB239_321:
	s_and_not1_b32 vcc_lo, exec_lo, s27
	s_cbranch_vccnz .LBB239_323
.LBB239_322:
	v_max_num_f32_e64 v1, s9, s9
	v_max_num_f32_e32 v3, v3, v3
	s_delay_alu instid0(VALU_DEP_1) | instskip(NEXT) | instid1(VALU_DEP_1)
	v_max_num_f32_e32 v1, v3, v1
	v_bfe_u32 v3, v1, 16, 1
	s_delay_alu instid0(VALU_DEP_1) | instskip(NEXT) | instid1(VALU_DEP_1)
	v_add3_u32 v1, v1, v3, 0x7fff
	v_lshrrev_b32_e32 v1, 16, v1
.LBB239_323:
	s_or_b32 exec_lo, exec_lo, s0
	v_mov_b32_e32 v3, 0
	s_and_b32 s27, s11, 0xff
	s_delay_alu instid0(SALU_CYCLE_1) | instskip(NEXT) | instid1(VALU_DEP_1)
	s_cmp_lt_i32 s27, 11
	v_add_nc_u64_e32 v[2:3], s[4:5], v[2:3]
	s_cbranch_scc1 .LBB239_332
; %bb.324:
	s_and_b32 s28, 0xffff, s27
	s_delay_alu instid0(SALU_CYCLE_1)
	s_cmp_gt_i32 s28, 25
	s_cbranch_scc0 .LBB239_333
; %bb.325:
	s_cmp_gt_i32 s28, 28
	s_cbranch_scc0 .LBB239_334
; %bb.326:
	;; [unrolled: 3-line block ×4, first 2 shown]
	s_mov_b32 s30, 0
	s_mov_b32 s0, -1
	s_cmp_eq_u32 s28, 46
	s_mov_b32 s29, 0
	s_cbranch_scc0 .LBB239_347
; %bb.329:
	v_and_b32_e32 v4, 0xffff, v1
	s_mov_b32 s29, -1
	s_mov_b32 s0, 0
	global_store_b32 v[2:3], v4, off
	s_branch .LBB239_347
.LBB239_330:
	s_and_not1_b32 vcc_lo, exec_lo, s28
	s_cbranch_vccnz .LBB239_321
.LBB239_331:
	v_max_num_f32_e64 v1, s9, s9
	v_max_num_f32_e32 v4, v3, v3
	v_max_num_f32_e64 v5, s10, s10
	s_delay_alu instid0(VALU_DEP_1) | instskip(NEXT) | instid1(VALU_DEP_1)
	v_maxmin_num_f32 v1, v4, v1, v5
	v_bfe_u32 v4, v1, 16, 1
	s_delay_alu instid0(VALU_DEP_1) | instskip(NEXT) | instid1(VALU_DEP_1)
	v_add3_u32 v1, v1, v4, 0x7fff
	v_lshrrev_b32_e32 v1, 16, v1
	s_cbranch_execz .LBB239_322
	s_branch .LBB239_323
.LBB239_332:
	s_mov_b32 s28, -1
	s_mov_b32 s29, 0
	s_mov_b32 s0, s42
	s_branch .LBB239_416
.LBB239_333:
	s_mov_b32 s30, -1
	s_mov_b32 s29, 0
	s_mov_b32 s0, s42
	s_branch .LBB239_374
.LBB239_334:
	s_mov_b32 s30, -1
	s_mov_b32 s29, 0
	s_mov_b32 s0, s42
	s_branch .LBB239_357
.LBB239_335:
	s_and_not1_saveexec_b32 s31, s31
	s_cbranch_execz .LBB239_81
.LBB239_336:
	v_add_f32_e64 v5, 0x46000000, |v6|
	s_and_not1_b32 s30, s30, exec_lo
	s_delay_alu instid0(VALU_DEP_1) | instskip(NEXT) | instid1(VALU_DEP_1)
	v_and_b32_e32 v5, 0xff, v5
	v_cmp_ne_u32_e32 vcc_lo, 0, v5
	s_and_b32 s42, vcc_lo, exec_lo
	s_delay_alu instid0(SALU_CYCLE_1)
	s_or_b32 s30, s30, s42
	s_or_b32 exec_lo, exec_lo, s31
	v_mov_b32_e32 v7, 0
	s_and_saveexec_b32 s31, s30
	s_cbranch_execnz .LBB239_82
	s_branch .LBB239_83
.LBB239_337:
	s_mov_b32 s28, -1
	s_mov_b32 s27, 0
	s_mov_b32 s26, s43
	s_branch .LBB239_342
.LBB239_338:
	s_mov_b32 s30, -1
	s_mov_b32 s29, 0
	s_mov_b32 s0, s42
	s_branch .LBB239_353
.LBB239_339:
	s_and_not1_saveexec_b32 s31, s31
	s_cbranch_execz .LBB239_94
.LBB239_340:
	v_add_f32_e64 v5, 0x42800000, |v6|
	s_and_not1_b32 s30, s30, exec_lo
	s_delay_alu instid0(VALU_DEP_1) | instskip(NEXT) | instid1(VALU_DEP_1)
	v_and_b32_e32 v5, 0xff, v5
	v_cmp_ne_u32_e32 vcc_lo, 0, v5
	s_and_b32 s42, vcc_lo, exec_lo
	s_delay_alu instid0(SALU_CYCLE_1)
	s_or_b32 s30, s30, s42
	s_or_b32 exec_lo, exec_lo, s31
	v_mov_b32_e32 v7, 0
	s_and_saveexec_b32 s31, s30
	s_cbranch_execnz .LBB239_95
	s_branch .LBB239_96
.LBB239_341:
	s_mov_b32 s26, -1
	s_mov_b32 s27, 0
.LBB239_342:
                                        ; implicit-def: $vgpr1
.LBB239_343:
	s_and_b32 vcc_lo, exec_lo, s28
	s_cbranch_vccz .LBB239_459
; %bb.344:
	s_cmp_eq_u32 s0, 44
	s_cbranch_scc0 .LBB239_458
; %bb.345:
	s_wait_loadcnt 0x0
	global_load_u8 v1, v[4:5], off
	s_mov_b32 s26, 0
	s_mov_b32 s27, -1
	s_wait_loadcnt 0x0
	v_lshlrev_b32_e32 v3, 23, v1
	v_cmp_ne_u32_e32 vcc_lo, 0xff, v1
	s_delay_alu instid0(VALU_DEP_2) | instskip(SKIP_1) | instid1(VALU_DEP_2)
	v_cndmask_b32_e32 v3, 0x7f800001, v3, vcc_lo
	v_cmp_ne_u32_e32 vcc_lo, 0, v1
	v_cndmask_b32_e32 v1, 0x400000, v3, vcc_lo
	s_delay_alu instid0(VALU_DEP_1) | instskip(SKIP_1) | instid1(VALU_DEP_2)
	v_add_nc_u32_e32 v3, 0x7fff, v1
	v_cmp_o_f32_e32 vcc_lo, v1, v1
	v_lshrrev_b32_e32 v3, 16, v3
	s_delay_alu instid0(VALU_DEP_1)
	v_cndmask_b32_e32 v1, 0x7fc0, v3, vcc_lo
	s_branch .LBB239_459
.LBB239_346:
	s_mov_b32 s30, -1
	s_mov_b32 s29, 0
	s_mov_b32 s0, s42
.LBB239_347:
	s_and_b32 vcc_lo, exec_lo, s30
	s_cbranch_vccz .LBB239_352
; %bb.348:
	s_cmp_eq_u32 s28, 44
	s_mov_b32 s0, -1
	s_cbranch_scc0 .LBB239_352
; %bb.349:
	s_wait_xcnt 0x0
	v_and_b32_e32 v4, 0xffff, v1
	v_mov_b32_e32 v5, 0xff
	s_mov_b32 s29, exec_lo
	s_delay_alu instid0(VALU_DEP_2) | instskip(NEXT) | instid1(VALU_DEP_1)
	v_bfe_u32 v6, v4, 7, 8
	v_cmpx_ne_u32_e32 0xff, v6
	s_cbranch_execz .LBB239_351
; %bb.350:
	v_dual_lshlrev_b32 v5, 16, v4 :: v_dual_bitop2_b32 v7, 64, v4 bitop3:0x40
	v_lshrrev_b32_e32 v4, 7, v4
	s_delay_alu instid0(VALU_DEP_2) | instskip(NEXT) | instid1(VALU_DEP_3)
	v_and_or_b32 v5, 0x3f0000, v5, v6
	v_cmp_ne_u32_e32 vcc_lo, 0, v7
	s_delay_alu instid0(VALU_DEP_2) | instskip(SKIP_1) | instid1(SALU_CYCLE_1)
	v_cmp_ne_u32_e64 s0, 0, v5
	s_and_b32 s0, vcc_lo, s0
	v_cndmask_b32_e64 v5, 0, 1, s0
	s_delay_alu instid0(VALU_DEP_1)
	v_add_nc_u32_e32 v5, v4, v5
.LBB239_351:
	s_or_b32 exec_lo, exec_lo, s29
	s_mov_b32 s29, -1
	s_mov_b32 s0, 0
	global_store_b8 v[2:3], v5, off
.LBB239_352:
	s_mov_b32 s30, 0
.LBB239_353:
	s_delay_alu instid0(SALU_CYCLE_1)
	s_and_b32 vcc_lo, exec_lo, s30
	s_cbranch_vccz .LBB239_356
; %bb.354:
	s_cmp_eq_u32 s28, 29
	s_mov_b32 s0, -1
	s_cbranch_scc0 .LBB239_356
; %bb.355:
	s_wait_xcnt 0x0
	v_lshlrev_b32_e32 v4, 16, v1
	s_mov_b32 s29, -1
	s_mov_b32 s0, 0
	s_mov_b32 s30, 0
	s_delay_alu instid0(VALU_DEP_1) | instskip(NEXT) | instid1(VALU_DEP_1)
	v_trunc_f32_e32 v4, v4
	v_mul_f32_e32 v5, 0x2f800000, v4
	s_delay_alu instid0(VALU_DEP_1) | instskip(NEXT) | instid1(VALU_DEP_1)
	v_floor_f32_e32 v5, v5
	v_fmamk_f32 v4, v5, 0xcf800000, v4
	v_cvt_u32_f32_e32 v5, v5
	s_delay_alu instid0(VALU_DEP_2)
	v_cvt_u32_f32_e32 v4, v4
	global_store_b64 v[2:3], v[4:5], off
	s_branch .LBB239_357
.LBB239_356:
	s_mov_b32 s30, 0
.LBB239_357:
	s_delay_alu instid0(SALU_CYCLE_1)
	s_and_b32 vcc_lo, exec_lo, s30
	s_cbranch_vccz .LBB239_373
; %bb.358:
	s_cmp_lt_i32 s28, 27
	s_mov_b32 s29, -1
	s_cbranch_scc1 .LBB239_364
; %bb.359:
	s_cmp_gt_i32 s28, 27
	s_cbranch_scc0 .LBB239_361
; %bb.360:
	s_wait_xcnt 0x0
	v_lshlrev_b32_e32 v4, 16, v1
	s_mov_b32 s29, 0
	s_delay_alu instid0(VALU_DEP_1)
	v_cvt_u32_f32_e32 v4, v4
	global_store_b32 v[2:3], v4, off
.LBB239_361:
	s_and_not1_b32 vcc_lo, exec_lo, s29
	s_cbranch_vccnz .LBB239_363
; %bb.362:
	s_wait_xcnt 0x0
	v_lshlrev_b32_e32 v4, 16, v1
	s_delay_alu instid0(VALU_DEP_1)
	v_cvt_u32_f32_e32 v4, v4
	global_store_b16 v[2:3], v4, off
.LBB239_363:
	s_mov_b32 s29, 0
.LBB239_364:
	s_delay_alu instid0(SALU_CYCLE_1)
	s_and_not1_b32 vcc_lo, exec_lo, s29
	s_cbranch_vccnz .LBB239_372
; %bb.365:
	v_dual_mov_b32 v7, 0x80 :: v_dual_lshlrev_b32 v6, 16, v1
	s_mov_b32 s29, exec_lo
	s_wait_xcnt 0x0
	s_delay_alu instid0(VALU_DEP_1) | instskip(NEXT) | instid1(VALU_DEP_1)
	v_and_b32_e32 v5, 0x7fffffff, v6
	v_cmpx_gt_u32_e32 0x43800000, v5
	s_cbranch_execz .LBB239_371
; %bb.366:
	v_and_b32_e32 v4, 0xffff, v1
	v_cmp_lt_u32_e32 vcc_lo, 0x3bffffff, v5
	s_mov_b32 s30, 0
                                        ; implicit-def: $vgpr5
	s_and_saveexec_b32 s31, vcc_lo
	s_delay_alu instid0(SALU_CYCLE_1)
	s_xor_b32 s31, exec_lo, s31
	s_cbranch_execz .LBB239_601
; %bb.367:
	v_bfe_u32 v5, v4, 4, 1
	s_mov_b32 s30, exec_lo
	s_delay_alu instid0(VALU_DEP_1) | instskip(NEXT) | instid1(VALU_DEP_1)
	v_add3_u32 v5, v6, v5, 0x487ffff
                                        ; implicit-def: $vgpr6
	v_lshrrev_b32_e32 v5, 20, v5
	s_and_not1_saveexec_b32 s31, s31
	s_cbranch_execnz .LBB239_602
.LBB239_368:
	s_or_b32 exec_lo, exec_lo, s31
	v_mov_b32_e32 v7, 0
	s_and_saveexec_b32 s31, s30
.LBB239_369:
	v_lshrrev_b32_e32 v4, 8, v4
	s_delay_alu instid0(VALU_DEP_1)
	v_and_or_b32 v7, 0x80, v4, v5
.LBB239_370:
	s_or_b32 exec_lo, exec_lo, s31
.LBB239_371:
	s_delay_alu instid0(SALU_CYCLE_1)
	s_or_b32 exec_lo, exec_lo, s29
	global_store_b8 v[2:3], v7, off
.LBB239_372:
	s_mov_b32 s29, -1
.LBB239_373:
	s_mov_b32 s30, 0
.LBB239_374:
	s_delay_alu instid0(SALU_CYCLE_1)
	s_and_b32 vcc_lo, exec_lo, s30
	s_cbranch_vccz .LBB239_415
; %bb.375:
	s_cmp_gt_i32 s28, 22
	s_mov_b32 s30, -1
	s_cbranch_scc0 .LBB239_407
; %bb.376:
	s_cmp_lt_i32 s28, 24
	s_mov_b32 s29, -1
	s_cbranch_scc1 .LBB239_396
; %bb.377:
	s_cmp_gt_i32 s28, 24
	s_cbranch_scc0 .LBB239_385
; %bb.378:
	s_wait_xcnt 0x0
	v_dual_mov_b32 v7, 0x80 :: v_dual_lshlrev_b32 v6, 16, v1
	s_mov_b32 s29, exec_lo
	s_delay_alu instid0(VALU_DEP_1) | instskip(NEXT) | instid1(VALU_DEP_1)
	v_and_b32_e32 v5, 0x7fffffff, v6
	v_cmpx_gt_u32_e32 0x47800000, v5
	s_cbranch_execz .LBB239_384
; %bb.379:
	v_and_b32_e32 v4, 0xffff, v1
	v_cmp_lt_u32_e32 vcc_lo, 0x37ffffff, v5
	s_mov_b32 s30, 0
                                        ; implicit-def: $vgpr5
	s_and_saveexec_b32 s31, vcc_lo
	s_delay_alu instid0(SALU_CYCLE_1)
	s_xor_b32 s31, exec_lo, s31
	s_cbranch_execz .LBB239_604
; %bb.380:
	v_bfe_u32 v5, v4, 5, 1
	s_mov_b32 s30, exec_lo
	s_delay_alu instid0(VALU_DEP_1) | instskip(NEXT) | instid1(VALU_DEP_1)
	v_add3_u32 v5, v6, v5, 0x88fffff
                                        ; implicit-def: $vgpr6
	v_lshrrev_b32_e32 v5, 21, v5
	s_and_not1_saveexec_b32 s31, s31
	s_cbranch_execnz .LBB239_605
.LBB239_381:
	s_or_b32 exec_lo, exec_lo, s31
	v_mov_b32_e32 v7, 0
	s_and_saveexec_b32 s31, s30
.LBB239_382:
	v_lshrrev_b32_e32 v4, 8, v4
	s_delay_alu instid0(VALU_DEP_1)
	v_and_or_b32 v7, 0x80, v4, v5
.LBB239_383:
	s_or_b32 exec_lo, exec_lo, s31
.LBB239_384:
	s_delay_alu instid0(SALU_CYCLE_1)
	s_or_b32 exec_lo, exec_lo, s29
	s_mov_b32 s29, 0
	global_store_b8 v[2:3], v7, off
.LBB239_385:
	s_and_b32 vcc_lo, exec_lo, s29
	s_cbranch_vccz .LBB239_395
; %bb.386:
	v_lshlrev_b32_e32 v6, 16, v1
	s_wait_xcnt 0x0
	v_and_b32_e32 v4, 0xffff, v1
	s_mov_b32 s29, exec_lo
                                        ; implicit-def: $vgpr5
	s_delay_alu instid0(VALU_DEP_2) | instskip(NEXT) | instid1(VALU_DEP_1)
	v_and_b32_e32 v7, 0x7fffffff, v6
	v_cmpx_gt_u32_e32 0x43f00000, v7
	s_xor_b32 s29, exec_lo, s29
	s_cbranch_execz .LBB239_392
; %bb.387:
	s_mov_b32 s30, exec_lo
                                        ; implicit-def: $vgpr5
	v_cmpx_lt_u32_e32 0x3c7fffff, v7
	s_xor_b32 s30, exec_lo, s30
; %bb.388:
	v_bfe_u32 v5, v4, 4, 1
	s_delay_alu instid0(VALU_DEP_1) | instskip(NEXT) | instid1(VALU_DEP_1)
	v_add3_u32 v5, v6, v5, 0x407ffff
	v_and_b32_e32 v6, 0xff00000, v5
	v_lshrrev_b32_e32 v5, 20, v5
	s_delay_alu instid0(VALU_DEP_2) | instskip(NEXT) | instid1(VALU_DEP_2)
	v_cmp_ne_u32_e32 vcc_lo, 0x7f00000, v6
                                        ; implicit-def: $vgpr6
	v_cndmask_b32_e32 v5, 0x7e, v5, vcc_lo
; %bb.389:
	s_and_not1_saveexec_b32 s30, s30
; %bb.390:
	v_add_f32_e64 v5, 0x46800000, |v6|
; %bb.391:
	s_or_b32 exec_lo, exec_lo, s30
                                        ; implicit-def: $vgpr7
.LBB239_392:
	s_and_not1_saveexec_b32 s29, s29
; %bb.393:
	v_mov_b32_e32 v5, 0x7f
	v_cmp_lt_u32_e32 vcc_lo, 0x7f800000, v7
	s_delay_alu instid0(VALU_DEP_2)
	v_cndmask_b32_e32 v5, 0x7e, v5, vcc_lo
; %bb.394:
	s_or_b32 exec_lo, exec_lo, s29
	v_lshrrev_b32_e32 v4, 8, v4
	s_delay_alu instid0(VALU_DEP_1)
	v_and_or_b32 v4, 0x80, v4, v5
	global_store_b8 v[2:3], v4, off
.LBB239_395:
	s_mov_b32 s29, 0
.LBB239_396:
	s_delay_alu instid0(SALU_CYCLE_1)
	s_and_not1_b32 vcc_lo, exec_lo, s29
	s_cbranch_vccnz .LBB239_406
; %bb.397:
	v_lshlrev_b32_e32 v6, 16, v1
	s_wait_xcnt 0x0
	v_and_b32_e32 v4, 0xffff, v1
	s_mov_b32 s29, exec_lo
                                        ; implicit-def: $vgpr5
	s_delay_alu instid0(VALU_DEP_2) | instskip(NEXT) | instid1(VALU_DEP_1)
	v_and_b32_e32 v7, 0x7fffffff, v6
	v_cmpx_gt_u32_e32 0x47800000, v7
	s_xor_b32 s29, exec_lo, s29
	s_cbranch_execz .LBB239_403
; %bb.398:
	s_mov_b32 s30, exec_lo
                                        ; implicit-def: $vgpr5
	v_cmpx_lt_u32_e32 0x387fffff, v7
	s_xor_b32 s30, exec_lo, s30
; %bb.399:
	v_bfe_u32 v5, v4, 5, 1
	s_delay_alu instid0(VALU_DEP_1) | instskip(NEXT) | instid1(VALU_DEP_1)
	v_add3_u32 v5, v6, v5, 0x80fffff
                                        ; implicit-def: $vgpr6
	v_lshrrev_b32_e32 v5, 21, v5
; %bb.400:
	s_and_not1_saveexec_b32 s30, s30
; %bb.401:
	v_add_f32_e64 v5, 0x43000000, |v6|
; %bb.402:
	s_or_b32 exec_lo, exec_lo, s30
                                        ; implicit-def: $vgpr7
.LBB239_403:
	s_and_not1_saveexec_b32 s29, s29
; %bb.404:
	v_mov_b32_e32 v5, 0x7f
	v_cmp_lt_u32_e32 vcc_lo, 0x7f800000, v7
	s_delay_alu instid0(VALU_DEP_2)
	v_cndmask_b32_e32 v5, 0x7c, v5, vcc_lo
; %bb.405:
	s_or_b32 exec_lo, exec_lo, s29
	v_lshrrev_b32_e32 v4, 8, v4
	s_delay_alu instid0(VALU_DEP_1)
	v_and_or_b32 v4, 0x80, v4, v5
	global_store_b8 v[2:3], v4, off
.LBB239_406:
	s_mov_b32 s30, 0
	s_mov_b32 s29, -1
.LBB239_407:
	s_and_not1_b32 vcc_lo, exec_lo, s30
	s_cbranch_vccnz .LBB239_415
; %bb.408:
	s_cmp_gt_i32 s28, 14
	s_mov_b32 s30, -1
	s_cbranch_scc0 .LBB239_412
; %bb.409:
	s_cmp_eq_u32 s28, 15
	s_mov_b32 s0, -1
	s_cbranch_scc0 .LBB239_411
; %bb.410:
	s_mov_b32 s29, -1
	s_mov_b32 s0, 0
	global_store_b16 v[2:3], v1, off
.LBB239_411:
	s_mov_b32 s30, 0
.LBB239_412:
	s_delay_alu instid0(SALU_CYCLE_1)
	s_and_b32 vcc_lo, exec_lo, s30
	s_cbranch_vccz .LBB239_415
; %bb.413:
	s_cmp_eq_u32 s28, 11
	s_mov_b32 s0, -1
	s_cbranch_scc0 .LBB239_415
; %bb.414:
	s_wait_xcnt 0x0
	v_and_b32_e32 v4, 0x7fff, v1
	s_mov_b32 s0, 0
	s_mov_b32 s29, -1
	s_delay_alu instid0(VALU_DEP_1)
	v_cmp_ne_u16_e32 vcc_lo, 0, v4
	v_cndmask_b32_e64 v4, 0, 1, vcc_lo
	global_store_b8 v[2:3], v4, off
.LBB239_415:
	s_mov_b32 s28, 0
.LBB239_416:
	s_delay_alu instid0(SALU_CYCLE_1)
	s_and_b32 vcc_lo, exec_lo, s28
	s_cbranch_vccz .LBB239_455
; %bb.417:
	s_and_b32 s27, 0xffff, s27
	s_mov_b32 s28, -1
	s_cmp_lt_i32 s27, 5
	s_cbranch_scc1 .LBB239_438
; %bb.418:
	s_cmp_lt_i32 s27, 8
	s_cbranch_scc1 .LBB239_428
; %bb.419:
	;; [unrolled: 3-line block ×3, first 2 shown]
	s_cmp_gt_i32 s27, 9
	s_cbranch_scc0 .LBB239_422
; %bb.421:
	s_wait_xcnt 0x0
	v_dual_lshlrev_b32 v4, 16, v1 :: v_dual_mov_b32 v6, 0
	s_mov_b32 s28, 0
	s_delay_alu instid0(VALU_DEP_1) | instskip(NEXT) | instid1(VALU_DEP_2)
	v_cvt_f64_f32_e32 v[4:5], v4
	v_mov_b32_e32 v7, v6
	global_store_b128 v[2:3], v[4:7], off
.LBB239_422:
	s_and_not1_b32 vcc_lo, exec_lo, s28
	s_cbranch_vccnz .LBB239_424
; %bb.423:
	s_wait_xcnt 0x0
	v_dual_mov_b32 v5, 0 :: v_dual_lshlrev_b32 v4, 16, v1
	global_store_b64 v[2:3], v[4:5], off
.LBB239_424:
	s_mov_b32 s28, 0
.LBB239_425:
	s_delay_alu instid0(SALU_CYCLE_1)
	s_and_not1_b32 vcc_lo, exec_lo, s28
	s_cbranch_vccnz .LBB239_427
; %bb.426:
	s_wait_xcnt 0x0
	v_lshlrev_b32_e32 v4, 16, v1
	s_delay_alu instid0(VALU_DEP_1) | instskip(NEXT) | instid1(VALU_DEP_1)
	v_cvt_f16_f32_e32 v4, v4
	v_and_b32_e32 v4, 0xffff, v4
	global_store_b32 v[2:3], v4, off
.LBB239_427:
	s_mov_b32 s28, 0
.LBB239_428:
	s_delay_alu instid0(SALU_CYCLE_1)
	s_and_not1_b32 vcc_lo, exec_lo, s28
	s_cbranch_vccnz .LBB239_437
; %bb.429:
	s_cmp_lt_i32 s27, 6
	s_mov_b32 s28, -1
	s_cbranch_scc1 .LBB239_435
; %bb.430:
	s_cmp_gt_i32 s27, 6
	s_cbranch_scc0 .LBB239_432
; %bb.431:
	s_wait_xcnt 0x0
	v_lshlrev_b32_e32 v4, 16, v1
	s_mov_b32 s28, 0
	s_delay_alu instid0(VALU_DEP_1)
	v_cvt_f64_f32_e32 v[4:5], v4
	global_store_b64 v[2:3], v[4:5], off
.LBB239_432:
	s_and_not1_b32 vcc_lo, exec_lo, s28
	s_cbranch_vccnz .LBB239_434
; %bb.433:
	s_wait_xcnt 0x0
	v_lshlrev_b32_e32 v4, 16, v1
	global_store_b32 v[2:3], v4, off
.LBB239_434:
	s_mov_b32 s28, 0
.LBB239_435:
	s_delay_alu instid0(SALU_CYCLE_1)
	s_and_not1_b32 vcc_lo, exec_lo, s28
	s_cbranch_vccnz .LBB239_437
; %bb.436:
	s_wait_xcnt 0x0
	v_lshlrev_b32_e32 v4, 16, v1
	s_delay_alu instid0(VALU_DEP_1)
	v_cvt_f16_f32_e32 v4, v4
	global_store_b16 v[2:3], v4, off
.LBB239_437:
	s_mov_b32 s28, 0
.LBB239_438:
	s_delay_alu instid0(SALU_CYCLE_1)
	s_and_not1_b32 vcc_lo, exec_lo, s28
	s_cbranch_vccnz .LBB239_454
; %bb.439:
	s_cmp_lt_i32 s27, 2
	s_mov_b32 s28, -1
	s_cbranch_scc1 .LBB239_449
; %bb.440:
	s_cmp_lt_i32 s27, 3
	s_cbranch_scc1 .LBB239_446
; %bb.441:
	s_cmp_gt_i32 s27, 3
	s_cbranch_scc0 .LBB239_443
; %bb.442:
	s_wait_xcnt 0x0
	v_lshlrev_b32_e32 v4, 16, v1
	s_mov_b32 s28, 0
	s_delay_alu instid0(VALU_DEP_1) | instskip(NEXT) | instid1(VALU_DEP_1)
	v_trunc_f32_e32 v4, v4
	v_mul_f32_e64 v5, 0x2f800000, |v4|
	s_delay_alu instid0(VALU_DEP_1) | instskip(NEXT) | instid1(VALU_DEP_1)
	v_floor_f32_e32 v5, v5
	v_fma_f32 v6, 0xcf800000, v5, |v4|
	v_ashrrev_i32_e32 v4, 31, v4
	v_cvt_u32_f32_e32 v7, v5
	s_delay_alu instid0(VALU_DEP_3) | instskip(NEXT) | instid1(VALU_DEP_2)
	v_cvt_u32_f32_e32 v6, v6
	v_dual_mov_b32 v5, v4 :: v_dual_bitop2_b32 v7, v7, v4 bitop3:0x14
	s_delay_alu instid0(VALU_DEP_2) | instskip(NEXT) | instid1(VALU_DEP_1)
	v_xor_b32_e32 v6, v6, v4
	v_sub_nc_u64_e32 v[4:5], v[6:7], v[4:5]
	global_store_b64 v[2:3], v[4:5], off
.LBB239_443:
	s_and_not1_b32 vcc_lo, exec_lo, s28
	s_cbranch_vccnz .LBB239_445
; %bb.444:
	s_wait_xcnt 0x0
	v_lshlrev_b32_e32 v4, 16, v1
	s_delay_alu instid0(VALU_DEP_1)
	v_cvt_i32_f32_e32 v4, v4
	global_store_b32 v[2:3], v4, off
.LBB239_445:
	s_mov_b32 s28, 0
.LBB239_446:
	s_delay_alu instid0(SALU_CYCLE_1)
	s_and_not1_b32 vcc_lo, exec_lo, s28
	s_cbranch_vccnz .LBB239_448
; %bb.447:
	s_wait_xcnt 0x0
	v_lshlrev_b32_e32 v4, 16, v1
	s_delay_alu instid0(VALU_DEP_1)
	v_cvt_i32_f32_e32 v4, v4
	global_store_b16 v[2:3], v4, off
.LBB239_448:
	s_mov_b32 s28, 0
.LBB239_449:
	s_delay_alu instid0(SALU_CYCLE_1)
	s_and_not1_b32 vcc_lo, exec_lo, s28
	s_cbranch_vccnz .LBB239_454
; %bb.450:
	s_wait_xcnt 0x0
	v_lshlrev_b32_e32 v1, 16, v1
	s_cmp_gt_i32 s27, 0
	s_mov_b32 s27, -1
	s_cbranch_scc0 .LBB239_452
; %bb.451:
	s_delay_alu instid0(VALU_DEP_1)
	v_cvt_i32_f32_e32 v4, v1
	s_mov_b32 s27, 0
	global_store_b8 v[2:3], v4, off
.LBB239_452:
	s_and_not1_b32 vcc_lo, exec_lo, s27
	s_cbranch_vccnz .LBB239_454
; %bb.453:
	v_trunc_f32_e32 v1, v1
	s_wait_xcnt 0x0
	s_delay_alu instid0(VALU_DEP_1) | instskip(NEXT) | instid1(VALU_DEP_1)
	v_mul_f32_e64 v4, 0x2f800000, |v1|
	v_floor_f32_e32 v4, v4
	s_delay_alu instid0(VALU_DEP_1) | instskip(SKIP_1) | instid1(VALU_DEP_2)
	v_fma_f32 v4, 0xcf800000, v4, |v1|
	v_ashrrev_i32_e32 v1, 31, v1
	v_cvt_u32_f32_e32 v4, v4
	s_delay_alu instid0(VALU_DEP_1) | instskip(NEXT) | instid1(VALU_DEP_1)
	v_xor_b32_e32 v4, v4, v1
	v_sub_nc_u32_e32 v1, v4, v1
	global_store_b8 v[2:3], v1, off
.LBB239_454:
	s_mov_b32 s29, -1
.LBB239_455:
	s_delay_alu instid0(SALU_CYCLE_1)
	s_and_not1_b32 vcc_lo, exec_lo, s29
	s_cbranch_vccnz .LBB239_457
; %bb.456:
	v_add_nc_u32_e32 v0, 0x80, v0
	s_mov_b32 s27, -1
	s_branch .LBB239_570
.LBB239_457:
	s_mov_b32 s27, 0
	s_branch .LBB239_569
.LBB239_458:
	s_mov_b32 s26, -1
                                        ; implicit-def: $vgpr1
.LBB239_459:
	s_mov_b32 s28, 0
.LBB239_460:
	s_delay_alu instid0(SALU_CYCLE_1)
	s_and_b32 vcc_lo, exec_lo, s28
	s_cbranch_vccz .LBB239_464
; %bb.461:
	s_cmp_eq_u32 s0, 29
	s_cbranch_scc0 .LBB239_463
; %bb.462:
	global_load_b64 v[6:7], v[4:5], off
	s_mov_b32 s27, -1
	s_mov_b32 s26, 0
	s_mov_b32 s28, 0
	s_wait_loadcnt 0x0
	v_clz_i32_u32_e32 v1, v7
	s_delay_alu instid0(VALU_DEP_1) | instskip(NEXT) | instid1(VALU_DEP_1)
	v_min_u32_e32 v1, 32, v1
	v_lshlrev_b64_e32 v[6:7], v1, v[6:7]
	v_sub_nc_u32_e32 v1, 32, v1
	s_delay_alu instid0(VALU_DEP_2) | instskip(NEXT) | instid1(VALU_DEP_1)
	v_min_u32_e32 v3, 1, v6
	v_or_b32_e32 v3, v7, v3
	s_delay_alu instid0(VALU_DEP_1) | instskip(NEXT) | instid1(VALU_DEP_1)
	v_cvt_f32_u32_e32 v3, v3
	v_ldexp_f32 v1, v3, v1
	s_delay_alu instid0(VALU_DEP_1) | instskip(NEXT) | instid1(VALU_DEP_1)
	v_bfe_u32 v3, v1, 16, 1
	v_add3_u32 v1, v1, v3, 0x7fff
	s_delay_alu instid0(VALU_DEP_1)
	v_lshrrev_b32_e32 v1, 16, v1
	s_branch .LBB239_465
.LBB239_463:
	s_mov_b32 s26, -1
                                        ; implicit-def: $vgpr1
.LBB239_464:
	s_mov_b32 s28, 0
.LBB239_465:
	s_delay_alu instid0(SALU_CYCLE_1)
	s_and_b32 vcc_lo, exec_lo, s28
	s_cbranch_vccz .LBB239_483
; %bb.466:
	s_cmp_lt_i32 s0, 27
	s_cbranch_scc1 .LBB239_469
; %bb.467:
	s_cmp_gt_i32 s0, 27
	s_cbranch_scc0 .LBB239_470
; %bb.468:
	s_wait_loadcnt 0x0
	global_load_b32 v1, v[4:5], off
	s_mov_b32 s27, 0
	s_wait_loadcnt 0x0
	v_cvt_f32_u32_e32 v1, v1
	s_delay_alu instid0(VALU_DEP_1) | instskip(NEXT) | instid1(VALU_DEP_1)
	v_bfe_u32 v3, v1, 16, 1
	v_add3_u32 v1, v1, v3, 0x7fff
	s_delay_alu instid0(VALU_DEP_1)
	v_lshrrev_b32_e32 v1, 16, v1
	s_branch .LBB239_471
.LBB239_469:
	s_mov_b32 s27, -1
                                        ; implicit-def: $vgpr1
	s_branch .LBB239_474
.LBB239_470:
	s_mov_b32 s27, -1
                                        ; implicit-def: $vgpr1
.LBB239_471:
	s_delay_alu instid0(SALU_CYCLE_1)
	s_and_not1_b32 vcc_lo, exec_lo, s27
	s_cbranch_vccnz .LBB239_473
; %bb.472:
	s_wait_loadcnt 0x0
	global_load_u16 v1, v[4:5], off
	s_wait_loadcnt 0x0
	v_cvt_f32_u32_e32 v1, v1
	s_delay_alu instid0(VALU_DEP_1) | instskip(NEXT) | instid1(VALU_DEP_1)
	v_bfe_u32 v3, v1, 16, 1
	v_add3_u32 v1, v1, v3, 0x7fff
	s_delay_alu instid0(VALU_DEP_1)
	v_lshrrev_b32_e32 v1, 16, v1
.LBB239_473:
	s_mov_b32 s27, 0
.LBB239_474:
	s_delay_alu instid0(SALU_CYCLE_1)
	s_and_not1_b32 vcc_lo, exec_lo, s27
	s_cbranch_vccnz .LBB239_482
; %bb.475:
	s_wait_loadcnt 0x0
	global_load_u8 v1, v[4:5], off
	s_mov_b32 s27, 0
	s_mov_b32 s28, exec_lo
	s_wait_loadcnt 0x0
	v_cmpx_lt_i16_e32 0x7f, v1
	s_xor_b32 s28, exec_lo, s28
	s_cbranch_execz .LBB239_496
; %bb.476:
	s_mov_b32 s27, -1
	s_mov_b32 s29, exec_lo
	v_cmpx_eq_u16_e32 0x80, v1
; %bb.477:
	s_xor_b32 s27, exec_lo, -1
; %bb.478:
	s_or_b32 exec_lo, exec_lo, s29
	s_delay_alu instid0(SALU_CYCLE_1)
	s_and_b32 s27, s27, exec_lo
	s_or_saveexec_b32 s28, s28
	v_mov_b32_e32 v3, 0x7f800001
	s_xor_b32 exec_lo, exec_lo, s28
	s_cbranch_execnz .LBB239_497
.LBB239_479:
	s_or_b32 exec_lo, exec_lo, s28
	s_and_saveexec_b32 s28, s27
	s_cbranch_execz .LBB239_481
.LBB239_480:
	v_and_b32_e32 v3, 0xffff, v1
	s_delay_alu instid0(VALU_DEP_1) | instskip(SKIP_1) | instid1(VALU_DEP_2)
	v_dual_lshlrev_b32 v1, 24, v1 :: v_dual_bitop2_b32 v6, 7, v3 bitop3:0x40
	v_bfe_u32 v9, v3, 3, 4
	v_and_b32_e32 v1, 0x80000000, v1
	s_delay_alu instid0(VALU_DEP_3) | instskip(NEXT) | instid1(VALU_DEP_3)
	v_clz_i32_u32_e32 v7, v6
	v_cmp_eq_u32_e32 vcc_lo, 0, v9
	s_delay_alu instid0(VALU_DEP_2) | instskip(NEXT) | instid1(VALU_DEP_1)
	v_min_u32_e32 v7, 32, v7
	v_subrev_nc_u32_e32 v8, 28, v7
	v_sub_nc_u32_e32 v7, 29, v7
	s_delay_alu instid0(VALU_DEP_2) | instskip(NEXT) | instid1(VALU_DEP_2)
	v_lshlrev_b32_e32 v3, v8, v3
	v_cndmask_b32_e32 v7, v9, v7, vcc_lo
	s_delay_alu instid0(VALU_DEP_2) | instskip(NEXT) | instid1(VALU_DEP_1)
	v_and_b32_e32 v3, 7, v3
	v_cndmask_b32_e32 v3, v6, v3, vcc_lo
	s_delay_alu instid0(VALU_DEP_3) | instskip(NEXT) | instid1(VALU_DEP_2)
	v_lshl_add_u32 v6, v7, 23, 0x3b800000
	v_lshlrev_b32_e32 v3, 20, v3
	s_delay_alu instid0(VALU_DEP_1)
	v_or3_b32 v3, v1, v6, v3
.LBB239_481:
	s_or_b32 exec_lo, exec_lo, s28
	s_delay_alu instid0(VALU_DEP_1) | instskip(SKIP_1) | instid1(VALU_DEP_2)
	v_bfe_u32 v1, v3, 16, 1
	v_cmp_o_f32_e32 vcc_lo, v3, v3
	v_add3_u32 v1, v3, v1, 0x7fff
	s_delay_alu instid0(VALU_DEP_1) | instskip(NEXT) | instid1(VALU_DEP_1)
	v_lshrrev_b32_e32 v1, 16, v1
	v_cndmask_b32_e32 v1, 0x7fc0, v1, vcc_lo
.LBB239_482:
	s_mov_b32 s27, -1
.LBB239_483:
	s_mov_b32 s28, 0
.LBB239_484:
	s_delay_alu instid0(SALU_CYCLE_1)
	s_and_b32 vcc_lo, exec_lo, s28
	s_cbranch_vccz .LBB239_519
; %bb.485:
	s_cmp_gt_i32 s0, 22
	s_cbranch_scc0 .LBB239_495
; %bb.486:
	s_cmp_lt_i32 s0, 24
	s_cbranch_scc1 .LBB239_498
; %bb.487:
	s_cmp_gt_i32 s0, 24
	s_cbranch_scc0 .LBB239_499
; %bb.488:
	s_wait_loadcnt 0x0
	global_load_u8 v1, v[4:5], off
	s_mov_b32 s27, 0
	s_mov_b32 s28, exec_lo
	s_wait_loadcnt 0x0
	v_cmpx_lt_i16_e32 0x7f, v1
	s_xor_b32 s28, exec_lo, s28
	s_cbranch_execz .LBB239_511
; %bb.489:
	s_mov_b32 s27, -1
	s_mov_b32 s29, exec_lo
	v_cmpx_eq_u16_e32 0x80, v1
; %bb.490:
	s_xor_b32 s27, exec_lo, -1
; %bb.491:
	s_or_b32 exec_lo, exec_lo, s29
	s_delay_alu instid0(SALU_CYCLE_1)
	s_and_b32 s27, s27, exec_lo
	s_or_saveexec_b32 s28, s28
	v_mov_b32_e32 v3, 0x7f800001
	s_xor_b32 exec_lo, exec_lo, s28
	s_cbranch_execnz .LBB239_512
.LBB239_492:
	s_or_b32 exec_lo, exec_lo, s28
	s_and_saveexec_b32 s28, s27
	s_cbranch_execz .LBB239_494
.LBB239_493:
	v_and_b32_e32 v3, 0xffff, v1
	s_delay_alu instid0(VALU_DEP_1) | instskip(SKIP_1) | instid1(VALU_DEP_2)
	v_dual_lshlrev_b32 v1, 24, v1 :: v_dual_bitop2_b32 v6, 3, v3 bitop3:0x40
	v_bfe_u32 v9, v3, 2, 5
	v_and_b32_e32 v1, 0x80000000, v1
	s_delay_alu instid0(VALU_DEP_3) | instskip(NEXT) | instid1(VALU_DEP_3)
	v_clz_i32_u32_e32 v7, v6
	v_cmp_eq_u32_e32 vcc_lo, 0, v9
	s_delay_alu instid0(VALU_DEP_2) | instskip(NEXT) | instid1(VALU_DEP_1)
	v_min_u32_e32 v7, 32, v7
	v_subrev_nc_u32_e32 v8, 29, v7
	v_sub_nc_u32_e32 v7, 30, v7
	s_delay_alu instid0(VALU_DEP_2) | instskip(NEXT) | instid1(VALU_DEP_2)
	v_lshlrev_b32_e32 v3, v8, v3
	v_cndmask_b32_e32 v7, v9, v7, vcc_lo
	s_delay_alu instid0(VALU_DEP_2) | instskip(NEXT) | instid1(VALU_DEP_1)
	v_and_b32_e32 v3, 3, v3
	v_cndmask_b32_e32 v3, v6, v3, vcc_lo
	s_delay_alu instid0(VALU_DEP_3) | instskip(NEXT) | instid1(VALU_DEP_2)
	v_lshl_add_u32 v6, v7, 23, 0x37800000
	v_lshlrev_b32_e32 v3, 21, v3
	s_delay_alu instid0(VALU_DEP_1)
	v_or3_b32 v3, v1, v6, v3
.LBB239_494:
	s_or_b32 exec_lo, exec_lo, s28
	s_delay_alu instid0(VALU_DEP_1) | instskip(SKIP_2) | instid1(VALU_DEP_2)
	v_bfe_u32 v1, v3, 16, 1
	v_cmp_o_f32_e32 vcc_lo, v3, v3
	s_mov_b32 s27, 0
	v_add3_u32 v1, v3, v1, 0x7fff
	s_delay_alu instid0(VALU_DEP_1) | instskip(NEXT) | instid1(VALU_DEP_1)
	v_lshrrev_b32_e32 v1, 16, v1
	v_cndmask_b32_e32 v1, 0x7fc0, v1, vcc_lo
	s_branch .LBB239_500
.LBB239_495:
	s_mov_b32 s28, -1
                                        ; implicit-def: $vgpr1
	s_branch .LBB239_506
.LBB239_496:
	s_or_saveexec_b32 s28, s28
	v_mov_b32_e32 v3, 0x7f800001
	s_xor_b32 exec_lo, exec_lo, s28
	s_cbranch_execz .LBB239_479
.LBB239_497:
	v_cmp_ne_u16_e32 vcc_lo, 0, v1
	v_mov_b32_e32 v3, 0
	s_and_not1_b32 s27, s27, exec_lo
	s_and_b32 s29, vcc_lo, exec_lo
	s_delay_alu instid0(SALU_CYCLE_1)
	s_or_b32 s27, s27, s29
	s_or_b32 exec_lo, exec_lo, s28
	s_and_saveexec_b32 s28, s27
	s_cbranch_execnz .LBB239_480
	s_branch .LBB239_481
.LBB239_498:
	s_mov_b32 s27, -1
                                        ; implicit-def: $vgpr1
	s_branch .LBB239_503
.LBB239_499:
	s_mov_b32 s27, -1
                                        ; implicit-def: $vgpr1
.LBB239_500:
	s_delay_alu instid0(SALU_CYCLE_1)
	s_and_b32 vcc_lo, exec_lo, s27
	s_cbranch_vccz .LBB239_502
; %bb.501:
	s_wait_loadcnt 0x0
	global_load_u8 v1, v[4:5], off
	s_wait_loadcnt 0x0
	v_lshlrev_b32_e32 v1, 24, v1
	s_delay_alu instid0(VALU_DEP_1) | instskip(NEXT) | instid1(VALU_DEP_1)
	v_and_b32_e32 v3, 0x7f000000, v1
	v_clz_i32_u32_e32 v6, v3
	v_cmp_ne_u32_e32 vcc_lo, 0, v3
	v_add_nc_u32_e32 v8, 0x1000000, v3
	s_delay_alu instid0(VALU_DEP_3) | instskip(NEXT) | instid1(VALU_DEP_1)
	v_min_u32_e32 v6, 32, v6
	v_sub_nc_u32_e64 v6, v6, 4 clamp
	s_delay_alu instid0(VALU_DEP_1) | instskip(NEXT) | instid1(VALU_DEP_1)
	v_dual_lshlrev_b32 v7, v6, v3 :: v_dual_lshlrev_b32 v6, 23, v6
	v_lshrrev_b32_e32 v7, 4, v7
	s_delay_alu instid0(VALU_DEP_1) | instskip(NEXT) | instid1(VALU_DEP_1)
	v_dual_sub_nc_u32 v6, v7, v6 :: v_dual_ashrrev_i32 v7, 8, v8
	v_add_nc_u32_e32 v6, 0x3c000000, v6
	s_delay_alu instid0(VALU_DEP_1) | instskip(NEXT) | instid1(VALU_DEP_1)
	v_and_or_b32 v6, 0x7f800000, v7, v6
	v_cndmask_b32_e32 v3, 0, v6, vcc_lo
	s_delay_alu instid0(VALU_DEP_1) | instskip(SKIP_1) | instid1(VALU_DEP_2)
	v_and_or_b32 v1, 0x80000000, v1, v3
	v_bfe_u32 v3, v3, 16, 1
	v_cmp_o_f32_e32 vcc_lo, v1, v1
	s_delay_alu instid0(VALU_DEP_2) | instskip(NEXT) | instid1(VALU_DEP_1)
	v_add3_u32 v3, v1, v3, 0x7fff
	v_lshrrev_b32_e32 v3, 16, v3
	s_delay_alu instid0(VALU_DEP_1)
	v_cndmask_b32_e32 v1, 0x7fc0, v3, vcc_lo
.LBB239_502:
	s_mov_b32 s27, 0
.LBB239_503:
	s_delay_alu instid0(SALU_CYCLE_1)
	s_and_not1_b32 vcc_lo, exec_lo, s27
	s_cbranch_vccnz .LBB239_505
; %bb.504:
	s_wait_loadcnt 0x0
	global_load_u8 v1, v[4:5], off
	s_wait_loadcnt 0x0
	v_lshlrev_b32_e32 v3, 25, v1
	v_lshlrev_b16 v1, 8, v1
	s_delay_alu instid0(VALU_DEP_1) | instskip(SKIP_1) | instid1(VALU_DEP_2)
	v_and_or_b32 v7, 0x7f00, v1, 0.5
	v_bfe_i32 v1, v1, 0, 16
	v_add_f32_e32 v7, -0.5, v7
	v_lshrrev_b32_e32 v6, 4, v3
	v_cmp_gt_u32_e32 vcc_lo, 0x8000000, v3
	s_delay_alu instid0(VALU_DEP_2) | instskip(NEXT) | instid1(VALU_DEP_1)
	v_or_b32_e32 v6, 0x70000000, v6
	v_mul_f32_e32 v6, 0x7800000, v6
	s_delay_alu instid0(VALU_DEP_1) | instskip(NEXT) | instid1(VALU_DEP_1)
	v_cndmask_b32_e32 v3, v6, v7, vcc_lo
	v_and_or_b32 v1, 0x80000000, v1, v3
	v_bfe_u32 v3, v3, 16, 1
	s_delay_alu instid0(VALU_DEP_2) | instskip(NEXT) | instid1(VALU_DEP_2)
	v_cmp_o_f32_e32 vcc_lo, v1, v1
	v_add3_u32 v3, v1, v3, 0x7fff
	s_delay_alu instid0(VALU_DEP_1) | instskip(NEXT) | instid1(VALU_DEP_1)
	v_lshrrev_b32_e32 v3, 16, v3
	v_cndmask_b32_e32 v1, 0x7fc0, v3, vcc_lo
.LBB239_505:
	s_mov_b32 s28, 0
	s_mov_b32 s27, -1
.LBB239_506:
	s_and_not1_b32 vcc_lo, exec_lo, s28
	s_cbranch_vccnz .LBB239_519
; %bb.507:
	s_cmp_gt_i32 s0, 14
	s_cbranch_scc0 .LBB239_510
; %bb.508:
	s_cmp_eq_u32 s0, 15
	s_cbranch_scc0 .LBB239_513
; %bb.509:
	s_wait_loadcnt 0x0
	global_load_u16 v1, v[4:5], off
	s_mov_b32 s27, -1
	s_mov_b32 s26, 0
	s_branch .LBB239_514
.LBB239_510:
	s_mov_b32 s28, -1
                                        ; implicit-def: $vgpr1
	s_branch .LBB239_515
.LBB239_511:
	s_or_saveexec_b32 s28, s28
	v_mov_b32_e32 v3, 0x7f800001
	s_xor_b32 exec_lo, exec_lo, s28
	s_cbranch_execz .LBB239_492
.LBB239_512:
	v_cmp_ne_u16_e32 vcc_lo, 0, v1
	v_mov_b32_e32 v3, 0
	s_and_not1_b32 s27, s27, exec_lo
	s_and_b32 s29, vcc_lo, exec_lo
	s_delay_alu instid0(SALU_CYCLE_1)
	s_or_b32 s27, s27, s29
	s_or_b32 exec_lo, exec_lo, s28
	s_and_saveexec_b32 s28, s27
	s_cbranch_execnz .LBB239_493
	s_branch .LBB239_494
.LBB239_513:
	s_mov_b32 s26, -1
                                        ; implicit-def: $vgpr1
.LBB239_514:
	s_mov_b32 s28, 0
.LBB239_515:
	s_delay_alu instid0(SALU_CYCLE_1)
	s_and_b32 vcc_lo, exec_lo, s28
	s_cbranch_vccz .LBB239_519
; %bb.516:
	s_cmp_eq_u32 s0, 11
	s_cbranch_scc0 .LBB239_518
; %bb.517:
	s_wait_loadcnt 0x0
	global_load_u8 v1, v[4:5], off
	s_mov_b32 s26, 0
	s_mov_b32 s27, -1
	s_wait_loadcnt 0x0
	v_cmp_ne_u16_e32 vcc_lo, 0, v1
	v_cndmask_b32_e64 v1, 0, 1.0, vcc_lo
	s_delay_alu instid0(VALU_DEP_1)
	v_lshrrev_b32_e32 v1, 16, v1
	s_branch .LBB239_519
.LBB239_518:
	s_mov_b32 s26, -1
                                        ; implicit-def: $vgpr1
.LBB239_519:
	s_branch .LBB239_308
.LBB239_520:
	s_cmp_lt_i32 s0, 5
	s_cbranch_scc1 .LBB239_525
; %bb.521:
	s_cmp_lt_i32 s0, 8
	s_cbranch_scc1 .LBB239_526
; %bb.522:
	;; [unrolled: 3-line block ×3, first 2 shown]
	s_cmp_gt_i32 s0, 9
	s_cbranch_scc0 .LBB239_528
; %bb.524:
	global_load_b64 v[6:7], v[4:5], off
	s_mov_b32 s27, 0
	s_wait_loadcnt 0x0
	v_cvt_f32_f64_e32 v1, v[6:7]
	s_delay_alu instid0(VALU_DEP_1) | instskip(SKIP_1) | instid1(VALU_DEP_2)
	v_bfe_u32 v3, v1, 16, 1
	v_cmp_o_f32_e32 vcc_lo, v1, v1
	v_add3_u32 v3, v1, v3, 0x7fff
	s_delay_alu instid0(VALU_DEP_1) | instskip(NEXT) | instid1(VALU_DEP_1)
	v_lshrrev_b32_e32 v3, 16, v3
	v_cndmask_b32_e32 v1, 0x7fc0, v3, vcc_lo
	s_branch .LBB239_529
.LBB239_525:
	s_mov_b32 s27, -1
                                        ; implicit-def: $vgpr1
	s_branch .LBB239_547
.LBB239_526:
	s_mov_b32 s27, -1
                                        ; implicit-def: $vgpr1
	s_branch .LBB239_535
.LBB239_527:
	s_mov_b32 s27, -1
                                        ; implicit-def: $vgpr1
	s_branch .LBB239_532
.LBB239_528:
	s_mov_b32 s27, -1
                                        ; implicit-def: $vgpr1
.LBB239_529:
	s_delay_alu instid0(SALU_CYCLE_1)
	s_and_not1_b32 vcc_lo, exec_lo, s27
	s_cbranch_vccnz .LBB239_531
; %bb.530:
	s_wait_loadcnt 0x0
	global_load_b32 v1, v[4:5], off
	s_wait_loadcnt 0x0
	v_bfe_u32 v3, v1, 16, 1
	v_cmp_o_f32_e32 vcc_lo, v1, v1
	s_delay_alu instid0(VALU_DEP_2) | instskip(NEXT) | instid1(VALU_DEP_1)
	v_add3_u32 v3, v1, v3, 0x7fff
	v_lshrrev_b32_e32 v3, 16, v3
	s_delay_alu instid0(VALU_DEP_1)
	v_cndmask_b32_e32 v1, 0x7fc0, v3, vcc_lo
.LBB239_531:
	s_mov_b32 s27, 0
.LBB239_532:
	s_delay_alu instid0(SALU_CYCLE_1)
	s_and_not1_b32 vcc_lo, exec_lo, s27
	s_cbranch_vccnz .LBB239_534
; %bb.533:
	s_wait_loadcnt 0x0
	global_load_b32 v1, v[4:5], off
	s_wait_loadcnt 0x0
	v_cvt_f32_f16_e32 v3, v1
	v_cmp_o_f16_e32 vcc_lo, v1, v1
	s_delay_alu instid0(VALU_DEP_2) | instskip(NEXT) | instid1(VALU_DEP_1)
	v_bfe_u32 v6, v3, 16, 1
	v_add3_u32 v3, v3, v6, 0x7fff
	s_delay_alu instid0(VALU_DEP_1) | instskip(NEXT) | instid1(VALU_DEP_1)
	v_lshrrev_b32_e32 v3, 16, v3
	v_cndmask_b32_e32 v1, 0x7fc0, v3, vcc_lo
.LBB239_534:
	s_mov_b32 s27, 0
.LBB239_535:
	s_delay_alu instid0(SALU_CYCLE_1)
	s_and_not1_b32 vcc_lo, exec_lo, s27
	s_cbranch_vccnz .LBB239_546
; %bb.536:
	s_cmp_lt_i32 s0, 6
	s_cbranch_scc1 .LBB239_539
; %bb.537:
	s_cmp_gt_i32 s0, 6
	s_cbranch_scc0 .LBB239_540
; %bb.538:
	global_load_b64 v[6:7], v[4:5], off
	s_mov_b32 s27, 0
	s_wait_loadcnt 0x0
	v_cvt_f32_f64_e32 v1, v[6:7]
	s_delay_alu instid0(VALU_DEP_1) | instskip(SKIP_1) | instid1(VALU_DEP_2)
	v_bfe_u32 v3, v1, 16, 1
	v_cmp_o_f32_e32 vcc_lo, v1, v1
	v_add3_u32 v3, v1, v3, 0x7fff
	s_delay_alu instid0(VALU_DEP_1) | instskip(NEXT) | instid1(VALU_DEP_1)
	v_lshrrev_b32_e32 v3, 16, v3
	v_cndmask_b32_e32 v1, 0x7fc0, v3, vcc_lo
	s_branch .LBB239_541
.LBB239_539:
	s_mov_b32 s27, -1
                                        ; implicit-def: $vgpr1
	s_branch .LBB239_544
.LBB239_540:
	s_mov_b32 s27, -1
                                        ; implicit-def: $vgpr1
.LBB239_541:
	s_delay_alu instid0(SALU_CYCLE_1)
	s_and_not1_b32 vcc_lo, exec_lo, s27
	s_cbranch_vccnz .LBB239_543
; %bb.542:
	s_wait_loadcnt 0x0
	global_load_b32 v1, v[4:5], off
	s_wait_loadcnt 0x0
	v_bfe_u32 v3, v1, 16, 1
	v_cmp_o_f32_e32 vcc_lo, v1, v1
	s_delay_alu instid0(VALU_DEP_2) | instskip(NEXT) | instid1(VALU_DEP_1)
	v_add3_u32 v3, v1, v3, 0x7fff
	v_lshrrev_b32_e32 v3, 16, v3
	s_delay_alu instid0(VALU_DEP_1)
	v_cndmask_b32_e32 v1, 0x7fc0, v3, vcc_lo
.LBB239_543:
	s_mov_b32 s27, 0
.LBB239_544:
	s_delay_alu instid0(SALU_CYCLE_1)
	s_and_not1_b32 vcc_lo, exec_lo, s27
	s_cbranch_vccnz .LBB239_546
; %bb.545:
	s_wait_loadcnt 0x0
	global_load_u16 v1, v[4:5], off
	s_wait_loadcnt 0x0
	v_cvt_f32_f16_e32 v3, v1
	v_cmp_o_f16_e32 vcc_lo, v1, v1
	s_delay_alu instid0(VALU_DEP_2) | instskip(NEXT) | instid1(VALU_DEP_1)
	v_bfe_u32 v6, v3, 16, 1
	v_add3_u32 v3, v3, v6, 0x7fff
	s_delay_alu instid0(VALU_DEP_1) | instskip(NEXT) | instid1(VALU_DEP_1)
	v_lshrrev_b32_e32 v3, 16, v3
	v_cndmask_b32_e32 v1, 0x7fc0, v3, vcc_lo
.LBB239_546:
	s_mov_b32 s27, 0
.LBB239_547:
	s_delay_alu instid0(SALU_CYCLE_1)
	s_and_not1_b32 vcc_lo, exec_lo, s27
	s_cbranch_vccnz .LBB239_567
; %bb.548:
	s_cmp_lt_i32 s0, 2
	s_cbranch_scc1 .LBB239_552
; %bb.549:
	s_cmp_lt_i32 s0, 3
	s_cbranch_scc1 .LBB239_553
; %bb.550:
	s_cmp_gt_i32 s0, 3
	s_cbranch_scc0 .LBB239_554
; %bb.551:
	global_load_b64 v[6:7], v[4:5], off
	s_mov_b32 s27, 0
	s_wait_loadcnt 0x0
	v_xor_b32_e32 v1, v6, v7
	v_cls_i32_e32 v3, v7
	s_delay_alu instid0(VALU_DEP_2) | instskip(NEXT) | instid1(VALU_DEP_1)
	v_ashrrev_i32_e32 v1, 31, v1
	v_add_nc_u32_e32 v1, 32, v1
	s_delay_alu instid0(VALU_DEP_1) | instskip(NEXT) | instid1(VALU_DEP_1)
	v_add_min_u32_e64 v1, v3, -1, v1
	v_lshlrev_b64_e32 v[6:7], v1, v[6:7]
	v_sub_nc_u32_e32 v1, 32, v1
	s_delay_alu instid0(VALU_DEP_2) | instskip(NEXT) | instid1(VALU_DEP_1)
	v_min_u32_e32 v3, 1, v6
	v_or_b32_e32 v3, v7, v3
	s_delay_alu instid0(VALU_DEP_1) | instskip(NEXT) | instid1(VALU_DEP_1)
	v_cvt_f32_i32_e32 v3, v3
	v_ldexp_f32 v1, v3, v1
	s_delay_alu instid0(VALU_DEP_1) | instskip(NEXT) | instid1(VALU_DEP_1)
	v_bfe_u32 v3, v1, 16, 1
	v_add3_u32 v1, v1, v3, 0x7fff
	s_delay_alu instid0(VALU_DEP_1)
	v_lshrrev_b32_e32 v1, 16, v1
	s_branch .LBB239_555
.LBB239_552:
	s_mov_b32 s27, -1
                                        ; implicit-def: $vgpr1
	s_branch .LBB239_561
.LBB239_553:
	s_mov_b32 s27, -1
                                        ; implicit-def: $vgpr1
	s_branch .LBB239_558
.LBB239_554:
	s_mov_b32 s27, -1
                                        ; implicit-def: $vgpr1
.LBB239_555:
	s_delay_alu instid0(SALU_CYCLE_1)
	s_and_not1_b32 vcc_lo, exec_lo, s27
	s_cbranch_vccnz .LBB239_557
; %bb.556:
	s_wait_loadcnt 0x0
	global_load_b32 v1, v[4:5], off
	s_wait_loadcnt 0x0
	v_cvt_f32_i32_e32 v1, v1
	s_delay_alu instid0(VALU_DEP_1) | instskip(NEXT) | instid1(VALU_DEP_1)
	v_bfe_u32 v3, v1, 16, 1
	v_add3_u32 v1, v1, v3, 0x7fff
	s_delay_alu instid0(VALU_DEP_1)
	v_lshrrev_b32_e32 v1, 16, v1
.LBB239_557:
	s_mov_b32 s27, 0
.LBB239_558:
	s_delay_alu instid0(SALU_CYCLE_1)
	s_and_not1_b32 vcc_lo, exec_lo, s27
	s_cbranch_vccnz .LBB239_560
; %bb.559:
	s_wait_loadcnt 0x0
	global_load_i16 v1, v[4:5], off
	s_wait_loadcnt 0x0
	v_cvt_f32_i32_e32 v1, v1
	s_delay_alu instid0(VALU_DEP_1) | instskip(NEXT) | instid1(VALU_DEP_1)
	v_bfe_u32 v3, v1, 16, 1
	v_add3_u32 v1, v1, v3, 0x7fff
	s_delay_alu instid0(VALU_DEP_1)
	v_lshrrev_b32_e32 v1, 16, v1
.LBB239_560:
	s_mov_b32 s27, 0
.LBB239_561:
	s_delay_alu instid0(SALU_CYCLE_1)
	s_and_not1_b32 vcc_lo, exec_lo, s27
	s_cbranch_vccnz .LBB239_567
; %bb.562:
	s_cmp_gt_i32 s0, 0
	s_mov_b32 s0, 0
	s_cbranch_scc0 .LBB239_564
; %bb.563:
	s_wait_loadcnt 0x0
	global_load_i8 v1, v[4:5], off
	s_wait_loadcnt 0x0
	v_cvt_f32_i32_e32 v1, v1
	s_delay_alu instid0(VALU_DEP_1) | instskip(NEXT) | instid1(VALU_DEP_1)
	v_bfe_u32 v3, v1, 16, 1
	v_add3_u32 v1, v1, v3, 0x7fff
	s_delay_alu instid0(VALU_DEP_1)
	v_lshrrev_b32_e32 v1, 16, v1
	s_branch .LBB239_565
.LBB239_564:
	s_mov_b32 s0, -1
                                        ; implicit-def: $vgpr1
.LBB239_565:
	s_delay_alu instid0(SALU_CYCLE_1)
	s_and_not1_b32 vcc_lo, exec_lo, s0
	s_cbranch_vccnz .LBB239_567
; %bb.566:
	s_wait_loadcnt 0x0
	global_load_u8 v1, v[4:5], off
	s_wait_loadcnt 0x0
	v_cvt_f32_ubyte0_e32 v1, v1
	s_delay_alu instid0(VALU_DEP_1) | instskip(NEXT) | instid1(VALU_DEP_1)
	v_bfe_u32 v3, v1, 16, 1
	v_add3_u32 v1, v1, v3, 0x7fff
	s_delay_alu instid0(VALU_DEP_1)
	v_lshrrev_b32_e32 v1, 16, v1
.LBB239_567:
	s_branch .LBB239_309
.LBB239_568:
	s_mov_b32 s27, 0
	s_mov_b32 s0, s42
.LBB239_569:
                                        ; implicit-def: $vgpr0
.LBB239_570:
	s_and_not1_b32 s28, s42, exec_lo
	s_and_b32 s0, s0, exec_lo
	s_and_not1_b32 s29, s43, exec_lo
	s_and_b32 s26, s26, exec_lo
	s_or_b32 s46, s28, s0
	s_or_b32 s45, s29, s26
	s_or_not1_b32 s0, s27, exec_lo
.LBB239_571:
	s_wait_xcnt 0x0
	s_or_b32 exec_lo, exec_lo, s47
	s_mov_b32 s27, 0
	s_mov_b32 s26, 0
	;; [unrolled: 1-line block ×3, first 2 shown]
                                        ; implicit-def: $vgpr4_vgpr5
                                        ; implicit-def: $vgpr2
                                        ; implicit-def: $vgpr6
	s_and_saveexec_b32 s47, s0
	s_cbranch_execz .LBB239_965
; %bb.572:
	s_mov_b32 s29, -1
	s_mov_b32 s0, s45
	s_mov_b32 s30, s46
	s_mov_b32 s48, exec_lo
	v_cmpx_gt_i32_e64 s39, v0
	s_cbranch_execz .LBB239_862
; %bb.573:
	s_and_not1_b32 vcc_lo, exec_lo, s36
	s_cbranch_vccnz .LBB239_579
; %bb.574:
	s_and_not1_b32 vcc_lo, exec_lo, s41
	s_cbranch_vccnz .LBB239_580
; %bb.575:
	s_add_co_i32 s0, s40, 1
	s_cmp_eq_u32 s34, 2
	s_cbranch_scc1 .LBB239_581
; %bb.576:
	v_dual_mov_b32 v2, 0 :: v_dual_mov_b32 v4, 0
	s_wait_loadcnt 0x0
	v_mov_b32_e32 v1, v0
	s_and_b32 s26, s0, 28
	s_mov_b64 s[28:29], s[2:3]
	s_mov_b64 s[30:31], s[24:25]
.LBB239_577:                            ; =>This Inner Loop Header: Depth=1
	s_clause 0x1
	s_load_b256 s[52:59], s[28:29], 0x4
	s_load_b128 s[68:71], s[28:29], 0x24
	s_load_b256 s[60:67], s[30:31], 0x0
	s_add_co_i32 s27, s27, 4
	s_wait_xcnt 0x0
	s_add_nc_u64 s[28:29], s[28:29], 48
	s_cmp_eq_u32 s26, s27
	s_add_nc_u64 s[30:31], s[30:31], 32
	s_wait_kmcnt 0x0
	v_mul_hi_u32 v3, s53, v1
	s_delay_alu instid0(VALU_DEP_1) | instskip(NEXT) | instid1(VALU_DEP_1)
	v_add_nc_u32_e32 v3, v1, v3
	v_lshrrev_b32_e32 v3, s54, v3
	s_delay_alu instid0(VALU_DEP_1) | instskip(NEXT) | instid1(VALU_DEP_1)
	v_mul_hi_u32 v5, s56, v3
	v_add_nc_u32_e32 v5, v3, v5
	s_delay_alu instid0(VALU_DEP_1) | instskip(NEXT) | instid1(VALU_DEP_1)
	v_lshrrev_b32_e32 v5, s57, v5
	v_mul_hi_u32 v6, s59, v5
	s_delay_alu instid0(VALU_DEP_1) | instskip(SKIP_1) | instid1(VALU_DEP_1)
	v_add_nc_u32_e32 v6, v5, v6
	v_mul_lo_u32 v7, v3, s52
	v_sub_nc_u32_e32 v1, v1, v7
	v_mul_lo_u32 v7, v5, s55
	s_delay_alu instid0(VALU_DEP_4) | instskip(NEXT) | instid1(VALU_DEP_3)
	v_lshrrev_b32_e32 v6, s68, v6
	v_mad_u32 v4, v1, s61, v4
	v_mad_u32 v1, v1, s60, v2
	s_delay_alu instid0(VALU_DEP_4) | instskip(NEXT) | instid1(VALU_DEP_4)
	v_sub_nc_u32_e32 v2, v3, v7
	v_mul_hi_u32 v8, s70, v6
	v_mul_lo_u32 v3, v6, s58
	s_delay_alu instid0(VALU_DEP_3) | instskip(SKIP_1) | instid1(VALU_DEP_3)
	v_mad_u32 v4, v2, s63, v4
	v_mad_u32 v2, v2, s62, v1
	v_dual_add_nc_u32 v7, v6, v8 :: v_dual_sub_nc_u32 v3, v5, v3
	s_delay_alu instid0(VALU_DEP_1) | instskip(NEXT) | instid1(VALU_DEP_2)
	v_lshrrev_b32_e32 v1, s71, v7
	v_mad_u32 v4, v3, s65, v4
	s_delay_alu instid0(VALU_DEP_4) | instskip(NEXT) | instid1(VALU_DEP_3)
	v_mad_u32 v2, v3, s64, v2
	v_mul_lo_u32 v5, v1, s69
	s_delay_alu instid0(VALU_DEP_1) | instskip(NEXT) | instid1(VALU_DEP_1)
	v_sub_nc_u32_e32 v3, v6, v5
	v_mad_u32 v4, v3, s67, v4
	s_delay_alu instid0(VALU_DEP_4)
	v_mad_u32 v2, v3, s66, v2
	s_cbranch_scc0 .LBB239_577
; %bb.578:
	s_delay_alu instid0(VALU_DEP_2)
	v_mov_b32_e32 v3, v4
	s_branch .LBB239_582
.LBB239_579:
	s_mov_b32 s0, -1
                                        ; implicit-def: $vgpr4
                                        ; implicit-def: $vgpr2
	s_branch .LBB239_587
.LBB239_580:
	v_dual_mov_b32 v4, 0 :: v_dual_mov_b32 v2, 0
	s_branch .LBB239_586
.LBB239_581:
	v_mov_b64_e32 v[2:3], 0
	s_wait_loadcnt 0x0
	v_mov_b32_e32 v1, v0
                                        ; implicit-def: $vgpr4
.LBB239_582:
	s_and_b32 s0, s0, 3
	s_mov_b32 s27, 0
	s_cmp_eq_u32 s0, 0
	s_cbranch_scc1 .LBB239_586
; %bb.583:
	s_lshl_b32 s28, s26, 3
	s_mov_b32 s29, s27
	s_mul_u64 s[30:31], s[26:27], 12
	s_add_nc_u64 s[28:29], s[2:3], s[28:29]
	s_delay_alu instid0(SALU_CYCLE_1)
	s_add_nc_u64 s[26:27], s[28:29], 0xc4
	s_add_nc_u64 s[28:29], s[2:3], s[30:31]
.LBB239_584:                            ; =>This Inner Loop Header: Depth=1
	s_load_b96 s[52:54], s[28:29], 0x4
	s_load_b64 s[30:31], s[26:27], 0x0
	s_add_co_i32 s0, s0, -1
	s_wait_xcnt 0x0
	s_add_nc_u64 s[28:29], s[28:29], 12
	s_cmp_lg_u32 s0, 0
	s_add_nc_u64 s[26:27], s[26:27], 8
	s_wait_kmcnt 0x0
	v_mul_hi_u32 v4, s53, v1
	s_delay_alu instid0(VALU_DEP_1) | instskip(NEXT) | instid1(VALU_DEP_1)
	v_add_nc_u32_e32 v4, v1, v4
	v_lshrrev_b32_e32 v4, s54, v4
	s_delay_alu instid0(VALU_DEP_1) | instskip(NEXT) | instid1(VALU_DEP_1)
	v_mul_lo_u32 v5, v4, s52
	v_sub_nc_u32_e32 v1, v1, v5
	s_delay_alu instid0(VALU_DEP_1)
	v_mad_u32 v3, v1, s31, v3
	v_mad_u32 v2, v1, s30, v2
	v_mov_b32_e32 v1, v4
	s_cbranch_scc1 .LBB239_584
; %bb.585:
	s_delay_alu instid0(VALU_DEP_3)
	v_mov_b32_e32 v4, v3
.LBB239_586:
	s_mov_b32 s0, 0
.LBB239_587:
	s_delay_alu instid0(SALU_CYCLE_1)
	s_and_not1_b32 vcc_lo, exec_lo, s0
	s_cbranch_vccnz .LBB239_590
; %bb.588:
	s_wait_loadcnt 0x0
	v_mov_b32_e32 v1, 0
	s_and_not1_b32 vcc_lo, exec_lo, s38
	s_delay_alu instid0(VALU_DEP_1) | instskip(NEXT) | instid1(VALU_DEP_1)
	v_mul_u64_e32 v[2:3], s[20:21], v[0:1]
	v_add_nc_u32_e32 v2, v0, v3
	s_delay_alu instid0(VALU_DEP_1) | instskip(NEXT) | instid1(VALU_DEP_1)
	v_lshrrev_b32_e32 v6, s14, v2
	v_mul_lo_u32 v2, v6, s12
	s_delay_alu instid0(VALU_DEP_1) | instskip(NEXT) | instid1(VALU_DEP_1)
	v_sub_nc_u32_e32 v2, v0, v2
	v_mul_lo_u32 v4, v2, s17
	v_mul_lo_u32 v2, v2, s16
	s_cbranch_vccnz .LBB239_590
; %bb.589:
	v_mov_b32_e32 v7, v1
	s_delay_alu instid0(VALU_DEP_1) | instskip(NEXT) | instid1(VALU_DEP_1)
	v_mul_u64_e32 v[8:9], s[22:23], v[6:7]
	v_add_nc_u32_e32 v1, v6, v9
	s_delay_alu instid0(VALU_DEP_1) | instskip(NEXT) | instid1(VALU_DEP_1)
	v_lshrrev_b32_e32 v1, s1, v1
	v_mul_lo_u32 v1, v1, s15
	s_delay_alu instid0(VALU_DEP_1) | instskip(NEXT) | instid1(VALU_DEP_1)
	v_sub_nc_u32_e32 v1, v6, v1
	v_mad_u32 v2, v1, s18, v2
	v_mad_u32 v4, v1, s19, v4
.LBB239_590:
	v_mov_b32_e32 v5, 0
	s_and_b32 s0, 0xffff, s13
	s_delay_alu instid0(SALU_CYCLE_1) | instskip(NEXT) | instid1(VALU_DEP_1)
	s_cmp_lt_i32 s0, 11
	v_add_nc_u64_e32 v[4:5], s[6:7], v[4:5]
	s_cbranch_scc1 .LBB239_597
; %bb.591:
	s_cmp_gt_i32 s0, 25
	s_cbranch_scc0 .LBB239_598
; %bb.592:
	s_cmp_gt_i32 s0, 28
	s_cbranch_scc0 .LBB239_599
	;; [unrolled: 3-line block ×4, first 2 shown]
; %bb.595:
	s_cmp_eq_u32 s0, 46
	s_mov_b32 s28, 0
	s_cbranch_scc0 .LBB239_606
; %bb.596:
	s_wait_loadcnt 0x0
	global_load_b32 v1, v[4:5], off
	s_mov_b32 s27, -1
	s_mov_b32 s26, 0
	s_branch .LBB239_608
.LBB239_597:
	s_mov_b32 s28, -1
	s_mov_b32 s27, 0
	s_mov_b32 s26, s45
                                        ; implicit-def: $vgpr1
	s_branch .LBB239_673
.LBB239_598:
	s_mov_b32 s28, -1
	s_mov_b32 s27, 0
	s_mov_b32 s26, s45
                                        ; implicit-def: $vgpr1
	s_branch .LBB239_637
.LBB239_599:
	s_mov_b32 s28, -1
	s_mov_b32 s27, 0
	s_mov_b32 s26, s45
                                        ; implicit-def: $vgpr1
	s_branch .LBB239_618
.LBB239_600:
	s_mov_b32 s28, -1
	s_mov_b32 s27, 0
	s_mov_b32 s26, s45
                                        ; implicit-def: $vgpr1
	s_branch .LBB239_613
.LBB239_601:
	s_and_not1_saveexec_b32 s31, s31
	s_cbranch_execz .LBB239_368
.LBB239_602:
	v_add_f32_e64 v5, 0x46000000, |v6|
	s_and_not1_b32 s30, s30, exec_lo
	s_delay_alu instid0(VALU_DEP_1) | instskip(NEXT) | instid1(VALU_DEP_1)
	v_and_b32_e32 v5, 0xff, v5
	v_cmp_ne_u32_e32 vcc_lo, 0, v5
	s_and_b32 s45, vcc_lo, exec_lo
	s_delay_alu instid0(SALU_CYCLE_1)
	s_or_b32 s30, s30, s45
	s_or_b32 exec_lo, exec_lo, s31
	v_mov_b32_e32 v7, 0
	s_and_saveexec_b32 s31, s30
	s_cbranch_execnz .LBB239_369
	s_branch .LBB239_370
.LBB239_603:
	s_mov_b32 s28, -1
	s_mov_b32 s27, 0
	s_mov_b32 s26, s45
	s_branch .LBB239_607
.LBB239_604:
	s_and_not1_saveexec_b32 s31, s31
	s_cbranch_execz .LBB239_381
.LBB239_605:
	v_add_f32_e64 v5, 0x42800000, |v6|
	s_and_not1_b32 s30, s30, exec_lo
	s_delay_alu instid0(VALU_DEP_1) | instskip(NEXT) | instid1(VALU_DEP_1)
	v_and_b32_e32 v5, 0xff, v5
	v_cmp_ne_u32_e32 vcc_lo, 0, v5
	s_and_b32 s45, vcc_lo, exec_lo
	s_delay_alu instid0(SALU_CYCLE_1)
	s_or_b32 s30, s30, s45
	s_or_b32 exec_lo, exec_lo, s31
	v_mov_b32_e32 v7, 0
	s_and_saveexec_b32 s31, s30
	s_cbranch_execnz .LBB239_382
	s_branch .LBB239_383
.LBB239_606:
	s_mov_b32 s26, -1
	s_mov_b32 s27, 0
.LBB239_607:
                                        ; implicit-def: $vgpr1
.LBB239_608:
	s_and_b32 vcc_lo, exec_lo, s28
	s_cbranch_vccz .LBB239_612
; %bb.609:
	s_cmp_eq_u32 s0, 44
	s_cbranch_scc0 .LBB239_611
; %bb.610:
	s_wait_loadcnt 0x0
	global_load_u8 v1, v[4:5], off
	s_mov_b32 s26, 0
	s_mov_b32 s27, -1
	s_wait_loadcnt 0x0
	v_lshlrev_b32_e32 v3, 23, v1
	v_cmp_ne_u32_e32 vcc_lo, 0xff, v1
	s_delay_alu instid0(VALU_DEP_2) | instskip(SKIP_1) | instid1(VALU_DEP_2)
	v_cndmask_b32_e32 v3, 0x7f800001, v3, vcc_lo
	v_cmp_ne_u32_e32 vcc_lo, 0, v1
	v_cndmask_b32_e32 v1, 0x400000, v3, vcc_lo
	s_delay_alu instid0(VALU_DEP_1) | instskip(SKIP_1) | instid1(VALU_DEP_2)
	v_add_nc_u32_e32 v3, 0x7fff, v1
	v_cmp_o_f32_e32 vcc_lo, v1, v1
	v_lshrrev_b32_e32 v3, 16, v3
	s_delay_alu instid0(VALU_DEP_1)
	v_cndmask_b32_e32 v1, 0x7fc0, v3, vcc_lo
	s_branch .LBB239_612
.LBB239_611:
	s_mov_b32 s26, -1
                                        ; implicit-def: $vgpr1
.LBB239_612:
	s_mov_b32 s28, 0
.LBB239_613:
	s_delay_alu instid0(SALU_CYCLE_1)
	s_and_b32 vcc_lo, exec_lo, s28
	s_cbranch_vccz .LBB239_617
; %bb.614:
	s_cmp_eq_u32 s0, 29
	s_cbranch_scc0 .LBB239_616
; %bb.615:
	global_load_b64 v[6:7], v[4:5], off
	s_mov_b32 s27, -1
	s_mov_b32 s26, 0
	s_mov_b32 s28, 0
	s_wait_loadcnt 0x0
	v_clz_i32_u32_e32 v1, v7
	s_delay_alu instid0(VALU_DEP_1) | instskip(NEXT) | instid1(VALU_DEP_1)
	v_min_u32_e32 v1, 32, v1
	v_lshlrev_b64_e32 v[6:7], v1, v[6:7]
	v_sub_nc_u32_e32 v1, 32, v1
	s_delay_alu instid0(VALU_DEP_2) | instskip(NEXT) | instid1(VALU_DEP_1)
	v_min_u32_e32 v3, 1, v6
	v_or_b32_e32 v3, v7, v3
	s_delay_alu instid0(VALU_DEP_1) | instskip(NEXT) | instid1(VALU_DEP_1)
	v_cvt_f32_u32_e32 v3, v3
	v_ldexp_f32 v1, v3, v1
	s_delay_alu instid0(VALU_DEP_1) | instskip(NEXT) | instid1(VALU_DEP_1)
	v_bfe_u32 v3, v1, 16, 1
	v_add3_u32 v1, v1, v3, 0x7fff
	s_delay_alu instid0(VALU_DEP_1)
	v_lshrrev_b32_e32 v1, 16, v1
	s_branch .LBB239_618
.LBB239_616:
	s_mov_b32 s26, -1
                                        ; implicit-def: $vgpr1
.LBB239_617:
	s_mov_b32 s28, 0
.LBB239_618:
	s_delay_alu instid0(SALU_CYCLE_1)
	s_and_b32 vcc_lo, exec_lo, s28
	s_cbranch_vccz .LBB239_636
; %bb.619:
	s_cmp_lt_i32 s0, 27
	s_cbranch_scc1 .LBB239_622
; %bb.620:
	s_cmp_gt_i32 s0, 27
	s_cbranch_scc0 .LBB239_623
; %bb.621:
	s_wait_loadcnt 0x0
	global_load_b32 v1, v[4:5], off
	s_mov_b32 s27, 0
	s_wait_loadcnt 0x0
	v_cvt_f32_u32_e32 v1, v1
	s_delay_alu instid0(VALU_DEP_1) | instskip(NEXT) | instid1(VALU_DEP_1)
	v_bfe_u32 v3, v1, 16, 1
	v_add3_u32 v1, v1, v3, 0x7fff
	s_delay_alu instid0(VALU_DEP_1)
	v_lshrrev_b32_e32 v1, 16, v1
	s_branch .LBB239_624
.LBB239_622:
	s_mov_b32 s27, -1
                                        ; implicit-def: $vgpr1
	s_branch .LBB239_627
.LBB239_623:
	s_mov_b32 s27, -1
                                        ; implicit-def: $vgpr1
.LBB239_624:
	s_delay_alu instid0(SALU_CYCLE_1)
	s_and_not1_b32 vcc_lo, exec_lo, s27
	s_cbranch_vccnz .LBB239_626
; %bb.625:
	s_wait_loadcnt 0x0
	global_load_u16 v1, v[4:5], off
	s_wait_loadcnt 0x0
	v_cvt_f32_u32_e32 v1, v1
	s_delay_alu instid0(VALU_DEP_1) | instskip(NEXT) | instid1(VALU_DEP_1)
	v_bfe_u32 v3, v1, 16, 1
	v_add3_u32 v1, v1, v3, 0x7fff
	s_delay_alu instid0(VALU_DEP_1)
	v_lshrrev_b32_e32 v1, 16, v1
.LBB239_626:
	s_mov_b32 s27, 0
.LBB239_627:
	s_delay_alu instid0(SALU_CYCLE_1)
	s_and_not1_b32 vcc_lo, exec_lo, s27
	s_cbranch_vccnz .LBB239_635
; %bb.628:
	s_wait_loadcnt 0x0
	global_load_u8 v1, v[4:5], off
	s_mov_b32 s27, 0
	s_mov_b32 s28, exec_lo
	s_wait_loadcnt 0x0
	v_cmpx_lt_i16_e32 0x7f, v1
	s_xor_b32 s28, exec_lo, s28
	s_cbranch_execz .LBB239_649
; %bb.629:
	s_mov_b32 s27, -1
	s_mov_b32 s29, exec_lo
	v_cmpx_eq_u16_e32 0x80, v1
; %bb.630:
	s_xor_b32 s27, exec_lo, -1
; %bb.631:
	s_or_b32 exec_lo, exec_lo, s29
	s_delay_alu instid0(SALU_CYCLE_1)
	s_and_b32 s27, s27, exec_lo
	s_or_saveexec_b32 s28, s28
	v_mov_b32_e32 v3, 0x7f800001
	s_xor_b32 exec_lo, exec_lo, s28
	s_cbranch_execnz .LBB239_650
.LBB239_632:
	s_or_b32 exec_lo, exec_lo, s28
	s_and_saveexec_b32 s28, s27
	s_cbranch_execz .LBB239_634
.LBB239_633:
	v_and_b32_e32 v3, 0xffff, v1
	s_delay_alu instid0(VALU_DEP_1) | instskip(SKIP_1) | instid1(VALU_DEP_2)
	v_dual_lshlrev_b32 v1, 24, v1 :: v_dual_bitop2_b32 v6, 7, v3 bitop3:0x40
	v_bfe_u32 v9, v3, 3, 4
	v_and_b32_e32 v1, 0x80000000, v1
	s_delay_alu instid0(VALU_DEP_3) | instskip(NEXT) | instid1(VALU_DEP_3)
	v_clz_i32_u32_e32 v7, v6
	v_cmp_eq_u32_e32 vcc_lo, 0, v9
	s_delay_alu instid0(VALU_DEP_2) | instskip(NEXT) | instid1(VALU_DEP_1)
	v_min_u32_e32 v7, 32, v7
	v_subrev_nc_u32_e32 v8, 28, v7
	v_sub_nc_u32_e32 v7, 29, v7
	s_delay_alu instid0(VALU_DEP_2) | instskip(NEXT) | instid1(VALU_DEP_2)
	v_lshlrev_b32_e32 v3, v8, v3
	v_cndmask_b32_e32 v7, v9, v7, vcc_lo
	s_delay_alu instid0(VALU_DEP_2) | instskip(NEXT) | instid1(VALU_DEP_1)
	v_and_b32_e32 v3, 7, v3
	v_cndmask_b32_e32 v3, v6, v3, vcc_lo
	s_delay_alu instid0(VALU_DEP_3) | instskip(NEXT) | instid1(VALU_DEP_2)
	v_lshl_add_u32 v6, v7, 23, 0x3b800000
	v_lshlrev_b32_e32 v3, 20, v3
	s_delay_alu instid0(VALU_DEP_1)
	v_or3_b32 v3, v1, v6, v3
.LBB239_634:
	s_or_b32 exec_lo, exec_lo, s28
	s_delay_alu instid0(VALU_DEP_1) | instskip(SKIP_1) | instid1(VALU_DEP_2)
	v_bfe_u32 v1, v3, 16, 1
	v_cmp_o_f32_e32 vcc_lo, v3, v3
	v_add3_u32 v1, v3, v1, 0x7fff
	s_delay_alu instid0(VALU_DEP_1) | instskip(NEXT) | instid1(VALU_DEP_1)
	v_lshrrev_b32_e32 v1, 16, v1
	v_cndmask_b32_e32 v1, 0x7fc0, v1, vcc_lo
.LBB239_635:
	s_mov_b32 s27, -1
.LBB239_636:
	s_mov_b32 s28, 0
.LBB239_637:
	s_delay_alu instid0(SALU_CYCLE_1)
	s_and_b32 vcc_lo, exec_lo, s28
	s_cbranch_vccz .LBB239_672
; %bb.638:
	s_cmp_gt_i32 s0, 22
	s_cbranch_scc0 .LBB239_648
; %bb.639:
	s_cmp_lt_i32 s0, 24
	s_cbranch_scc1 .LBB239_651
; %bb.640:
	s_cmp_gt_i32 s0, 24
	s_cbranch_scc0 .LBB239_652
; %bb.641:
	s_wait_loadcnt 0x0
	global_load_u8 v1, v[4:5], off
	s_mov_b32 s27, 0
	s_mov_b32 s28, exec_lo
	s_wait_loadcnt 0x0
	v_cmpx_lt_i16_e32 0x7f, v1
	s_xor_b32 s28, exec_lo, s28
	s_cbranch_execz .LBB239_664
; %bb.642:
	s_mov_b32 s27, -1
	s_mov_b32 s29, exec_lo
	v_cmpx_eq_u16_e32 0x80, v1
; %bb.643:
	s_xor_b32 s27, exec_lo, -1
; %bb.644:
	s_or_b32 exec_lo, exec_lo, s29
	s_delay_alu instid0(SALU_CYCLE_1)
	s_and_b32 s27, s27, exec_lo
	s_or_saveexec_b32 s28, s28
	v_mov_b32_e32 v3, 0x7f800001
	s_xor_b32 exec_lo, exec_lo, s28
	s_cbranch_execnz .LBB239_665
.LBB239_645:
	s_or_b32 exec_lo, exec_lo, s28
	s_and_saveexec_b32 s28, s27
	s_cbranch_execz .LBB239_647
.LBB239_646:
	v_and_b32_e32 v3, 0xffff, v1
	s_delay_alu instid0(VALU_DEP_1) | instskip(SKIP_1) | instid1(VALU_DEP_2)
	v_dual_lshlrev_b32 v1, 24, v1 :: v_dual_bitop2_b32 v6, 3, v3 bitop3:0x40
	v_bfe_u32 v9, v3, 2, 5
	v_and_b32_e32 v1, 0x80000000, v1
	s_delay_alu instid0(VALU_DEP_3) | instskip(NEXT) | instid1(VALU_DEP_3)
	v_clz_i32_u32_e32 v7, v6
	v_cmp_eq_u32_e32 vcc_lo, 0, v9
	s_delay_alu instid0(VALU_DEP_2) | instskip(NEXT) | instid1(VALU_DEP_1)
	v_min_u32_e32 v7, 32, v7
	v_subrev_nc_u32_e32 v8, 29, v7
	v_sub_nc_u32_e32 v7, 30, v7
	s_delay_alu instid0(VALU_DEP_2) | instskip(NEXT) | instid1(VALU_DEP_2)
	v_lshlrev_b32_e32 v3, v8, v3
	v_cndmask_b32_e32 v7, v9, v7, vcc_lo
	s_delay_alu instid0(VALU_DEP_2) | instskip(NEXT) | instid1(VALU_DEP_1)
	v_and_b32_e32 v3, 3, v3
	v_cndmask_b32_e32 v3, v6, v3, vcc_lo
	s_delay_alu instid0(VALU_DEP_3) | instskip(NEXT) | instid1(VALU_DEP_2)
	v_lshl_add_u32 v6, v7, 23, 0x37800000
	v_lshlrev_b32_e32 v3, 21, v3
	s_delay_alu instid0(VALU_DEP_1)
	v_or3_b32 v3, v1, v6, v3
.LBB239_647:
	s_or_b32 exec_lo, exec_lo, s28
	s_delay_alu instid0(VALU_DEP_1) | instskip(SKIP_2) | instid1(VALU_DEP_2)
	v_bfe_u32 v1, v3, 16, 1
	v_cmp_o_f32_e32 vcc_lo, v3, v3
	s_mov_b32 s27, 0
	v_add3_u32 v1, v3, v1, 0x7fff
	s_delay_alu instid0(VALU_DEP_1) | instskip(NEXT) | instid1(VALU_DEP_1)
	v_lshrrev_b32_e32 v1, 16, v1
	v_cndmask_b32_e32 v1, 0x7fc0, v1, vcc_lo
	s_branch .LBB239_653
.LBB239_648:
	s_mov_b32 s28, -1
                                        ; implicit-def: $vgpr1
	s_branch .LBB239_659
.LBB239_649:
	s_or_saveexec_b32 s28, s28
	v_mov_b32_e32 v3, 0x7f800001
	s_xor_b32 exec_lo, exec_lo, s28
	s_cbranch_execz .LBB239_632
.LBB239_650:
	v_cmp_ne_u16_e32 vcc_lo, 0, v1
	v_mov_b32_e32 v3, 0
	s_and_not1_b32 s27, s27, exec_lo
	s_and_b32 s29, vcc_lo, exec_lo
	s_delay_alu instid0(SALU_CYCLE_1)
	s_or_b32 s27, s27, s29
	s_or_b32 exec_lo, exec_lo, s28
	s_and_saveexec_b32 s28, s27
	s_cbranch_execnz .LBB239_633
	s_branch .LBB239_634
.LBB239_651:
	s_mov_b32 s27, -1
                                        ; implicit-def: $vgpr1
	s_branch .LBB239_656
.LBB239_652:
	s_mov_b32 s27, -1
                                        ; implicit-def: $vgpr1
.LBB239_653:
	s_delay_alu instid0(SALU_CYCLE_1)
	s_and_b32 vcc_lo, exec_lo, s27
	s_cbranch_vccz .LBB239_655
; %bb.654:
	s_wait_loadcnt 0x0
	global_load_u8 v1, v[4:5], off
	s_wait_loadcnt 0x0
	v_lshlrev_b32_e32 v1, 24, v1
	s_delay_alu instid0(VALU_DEP_1) | instskip(NEXT) | instid1(VALU_DEP_1)
	v_and_b32_e32 v3, 0x7f000000, v1
	v_clz_i32_u32_e32 v6, v3
	v_cmp_ne_u32_e32 vcc_lo, 0, v3
	v_add_nc_u32_e32 v8, 0x1000000, v3
	s_delay_alu instid0(VALU_DEP_3) | instskip(NEXT) | instid1(VALU_DEP_1)
	v_min_u32_e32 v6, 32, v6
	v_sub_nc_u32_e64 v6, v6, 4 clamp
	s_delay_alu instid0(VALU_DEP_1) | instskip(NEXT) | instid1(VALU_DEP_1)
	v_dual_lshlrev_b32 v7, v6, v3 :: v_dual_lshlrev_b32 v6, 23, v6
	v_lshrrev_b32_e32 v7, 4, v7
	s_delay_alu instid0(VALU_DEP_1) | instskip(NEXT) | instid1(VALU_DEP_1)
	v_dual_sub_nc_u32 v6, v7, v6 :: v_dual_ashrrev_i32 v7, 8, v8
	v_add_nc_u32_e32 v6, 0x3c000000, v6
	s_delay_alu instid0(VALU_DEP_1) | instskip(NEXT) | instid1(VALU_DEP_1)
	v_and_or_b32 v6, 0x7f800000, v7, v6
	v_cndmask_b32_e32 v3, 0, v6, vcc_lo
	s_delay_alu instid0(VALU_DEP_1) | instskip(SKIP_1) | instid1(VALU_DEP_2)
	v_and_or_b32 v1, 0x80000000, v1, v3
	v_bfe_u32 v3, v3, 16, 1
	v_cmp_o_f32_e32 vcc_lo, v1, v1
	s_delay_alu instid0(VALU_DEP_2) | instskip(NEXT) | instid1(VALU_DEP_1)
	v_add3_u32 v3, v1, v3, 0x7fff
	v_lshrrev_b32_e32 v3, 16, v3
	s_delay_alu instid0(VALU_DEP_1)
	v_cndmask_b32_e32 v1, 0x7fc0, v3, vcc_lo
.LBB239_655:
	s_mov_b32 s27, 0
.LBB239_656:
	s_delay_alu instid0(SALU_CYCLE_1)
	s_and_not1_b32 vcc_lo, exec_lo, s27
	s_cbranch_vccnz .LBB239_658
; %bb.657:
	s_wait_loadcnt 0x0
	global_load_u8 v1, v[4:5], off
	s_wait_loadcnt 0x0
	v_lshlrev_b32_e32 v3, 25, v1
	v_lshlrev_b16 v1, 8, v1
	s_delay_alu instid0(VALU_DEP_1) | instskip(SKIP_1) | instid1(VALU_DEP_2)
	v_and_or_b32 v7, 0x7f00, v1, 0.5
	v_bfe_i32 v1, v1, 0, 16
	v_add_f32_e32 v7, -0.5, v7
	v_lshrrev_b32_e32 v6, 4, v3
	v_cmp_gt_u32_e32 vcc_lo, 0x8000000, v3
	s_delay_alu instid0(VALU_DEP_2) | instskip(NEXT) | instid1(VALU_DEP_1)
	v_or_b32_e32 v6, 0x70000000, v6
	v_mul_f32_e32 v6, 0x7800000, v6
	s_delay_alu instid0(VALU_DEP_1) | instskip(NEXT) | instid1(VALU_DEP_1)
	v_cndmask_b32_e32 v3, v6, v7, vcc_lo
	v_and_or_b32 v1, 0x80000000, v1, v3
	v_bfe_u32 v3, v3, 16, 1
	s_delay_alu instid0(VALU_DEP_2) | instskip(NEXT) | instid1(VALU_DEP_2)
	v_cmp_o_f32_e32 vcc_lo, v1, v1
	v_add3_u32 v3, v1, v3, 0x7fff
	s_delay_alu instid0(VALU_DEP_1) | instskip(NEXT) | instid1(VALU_DEP_1)
	v_lshrrev_b32_e32 v3, 16, v3
	v_cndmask_b32_e32 v1, 0x7fc0, v3, vcc_lo
.LBB239_658:
	s_mov_b32 s28, 0
	s_mov_b32 s27, -1
.LBB239_659:
	s_and_not1_b32 vcc_lo, exec_lo, s28
	s_cbranch_vccnz .LBB239_672
; %bb.660:
	s_cmp_gt_i32 s0, 14
	s_cbranch_scc0 .LBB239_663
; %bb.661:
	s_cmp_eq_u32 s0, 15
	s_cbranch_scc0 .LBB239_666
; %bb.662:
	s_wait_loadcnt 0x0
	global_load_u16 v1, v[4:5], off
	s_mov_b32 s27, -1
	s_mov_b32 s26, 0
	s_branch .LBB239_667
.LBB239_663:
	s_mov_b32 s28, -1
                                        ; implicit-def: $vgpr1
	s_branch .LBB239_668
.LBB239_664:
	s_or_saveexec_b32 s28, s28
	v_mov_b32_e32 v3, 0x7f800001
	s_xor_b32 exec_lo, exec_lo, s28
	s_cbranch_execz .LBB239_645
.LBB239_665:
	v_cmp_ne_u16_e32 vcc_lo, 0, v1
	v_mov_b32_e32 v3, 0
	s_and_not1_b32 s27, s27, exec_lo
	s_and_b32 s29, vcc_lo, exec_lo
	s_delay_alu instid0(SALU_CYCLE_1)
	s_or_b32 s27, s27, s29
	s_or_b32 exec_lo, exec_lo, s28
	s_and_saveexec_b32 s28, s27
	s_cbranch_execnz .LBB239_646
	s_branch .LBB239_647
.LBB239_666:
	s_mov_b32 s26, -1
                                        ; implicit-def: $vgpr1
.LBB239_667:
	s_mov_b32 s28, 0
.LBB239_668:
	s_delay_alu instid0(SALU_CYCLE_1)
	s_and_b32 vcc_lo, exec_lo, s28
	s_cbranch_vccz .LBB239_672
; %bb.669:
	s_cmp_eq_u32 s0, 11
	s_cbranch_scc0 .LBB239_671
; %bb.670:
	s_wait_loadcnt 0x0
	global_load_u8 v1, v[4:5], off
	s_mov_b32 s26, 0
	s_mov_b32 s27, -1
	s_wait_loadcnt 0x0
	v_cmp_ne_u16_e32 vcc_lo, 0, v1
	v_cndmask_b32_e64 v1, 0, 1.0, vcc_lo
	s_delay_alu instid0(VALU_DEP_1)
	v_lshrrev_b32_e32 v1, 16, v1
	s_branch .LBB239_672
.LBB239_671:
	s_mov_b32 s26, -1
                                        ; implicit-def: $vgpr1
.LBB239_672:
	s_mov_b32 s28, 0
.LBB239_673:
	s_delay_alu instid0(SALU_CYCLE_1)
	s_and_b32 vcc_lo, exec_lo, s28
	s_cbranch_vccz .LBB239_722
; %bb.674:
	s_cmp_lt_i32 s0, 5
	s_cbranch_scc1 .LBB239_679
; %bb.675:
	s_cmp_lt_i32 s0, 8
	s_cbranch_scc1 .LBB239_680
	;; [unrolled: 3-line block ×3, first 2 shown]
; %bb.677:
	s_cmp_gt_i32 s0, 9
	s_cbranch_scc0 .LBB239_682
; %bb.678:
	global_load_b64 v[6:7], v[4:5], off
	s_mov_b32 s27, 0
	s_wait_loadcnt 0x0
	v_cvt_f32_f64_e32 v1, v[6:7]
	s_delay_alu instid0(VALU_DEP_1) | instskip(SKIP_1) | instid1(VALU_DEP_2)
	v_bfe_u32 v3, v1, 16, 1
	v_cmp_o_f32_e32 vcc_lo, v1, v1
	v_add3_u32 v3, v1, v3, 0x7fff
	s_delay_alu instid0(VALU_DEP_1) | instskip(NEXT) | instid1(VALU_DEP_1)
	v_lshrrev_b32_e32 v3, 16, v3
	v_cndmask_b32_e32 v1, 0x7fc0, v3, vcc_lo
	s_branch .LBB239_683
.LBB239_679:
	s_mov_b32 s27, -1
                                        ; implicit-def: $vgpr1
	s_branch .LBB239_701
.LBB239_680:
	s_mov_b32 s27, -1
                                        ; implicit-def: $vgpr1
	s_branch .LBB239_689
.LBB239_681:
	s_mov_b32 s27, -1
                                        ; implicit-def: $vgpr1
	s_branch .LBB239_686
.LBB239_682:
	s_mov_b32 s27, -1
                                        ; implicit-def: $vgpr1
.LBB239_683:
	s_delay_alu instid0(SALU_CYCLE_1)
	s_and_not1_b32 vcc_lo, exec_lo, s27
	s_cbranch_vccnz .LBB239_685
; %bb.684:
	s_wait_loadcnt 0x0
	global_load_b32 v1, v[4:5], off
	s_wait_loadcnt 0x0
	v_bfe_u32 v3, v1, 16, 1
	v_cmp_o_f32_e32 vcc_lo, v1, v1
	s_delay_alu instid0(VALU_DEP_2) | instskip(NEXT) | instid1(VALU_DEP_1)
	v_add3_u32 v3, v1, v3, 0x7fff
	v_lshrrev_b32_e32 v3, 16, v3
	s_delay_alu instid0(VALU_DEP_1)
	v_cndmask_b32_e32 v1, 0x7fc0, v3, vcc_lo
.LBB239_685:
	s_mov_b32 s27, 0
.LBB239_686:
	s_delay_alu instid0(SALU_CYCLE_1)
	s_and_not1_b32 vcc_lo, exec_lo, s27
	s_cbranch_vccnz .LBB239_688
; %bb.687:
	s_wait_loadcnt 0x0
	global_load_b32 v1, v[4:5], off
	s_wait_loadcnt 0x0
	v_cvt_f32_f16_e32 v3, v1
	v_cmp_o_f16_e32 vcc_lo, v1, v1
	s_delay_alu instid0(VALU_DEP_2) | instskip(NEXT) | instid1(VALU_DEP_1)
	v_bfe_u32 v6, v3, 16, 1
	v_add3_u32 v3, v3, v6, 0x7fff
	s_delay_alu instid0(VALU_DEP_1) | instskip(NEXT) | instid1(VALU_DEP_1)
	v_lshrrev_b32_e32 v3, 16, v3
	v_cndmask_b32_e32 v1, 0x7fc0, v3, vcc_lo
.LBB239_688:
	s_mov_b32 s27, 0
.LBB239_689:
	s_delay_alu instid0(SALU_CYCLE_1)
	s_and_not1_b32 vcc_lo, exec_lo, s27
	s_cbranch_vccnz .LBB239_700
; %bb.690:
	s_cmp_lt_i32 s0, 6
	s_cbranch_scc1 .LBB239_693
; %bb.691:
	s_cmp_gt_i32 s0, 6
	s_cbranch_scc0 .LBB239_694
; %bb.692:
	global_load_b64 v[6:7], v[4:5], off
	s_mov_b32 s27, 0
	s_wait_loadcnt 0x0
	v_cvt_f32_f64_e32 v1, v[6:7]
	s_delay_alu instid0(VALU_DEP_1) | instskip(SKIP_1) | instid1(VALU_DEP_2)
	v_bfe_u32 v3, v1, 16, 1
	v_cmp_o_f32_e32 vcc_lo, v1, v1
	v_add3_u32 v3, v1, v3, 0x7fff
	s_delay_alu instid0(VALU_DEP_1) | instskip(NEXT) | instid1(VALU_DEP_1)
	v_lshrrev_b32_e32 v3, 16, v3
	v_cndmask_b32_e32 v1, 0x7fc0, v3, vcc_lo
	s_branch .LBB239_695
.LBB239_693:
	s_mov_b32 s27, -1
                                        ; implicit-def: $vgpr1
	s_branch .LBB239_698
.LBB239_694:
	s_mov_b32 s27, -1
                                        ; implicit-def: $vgpr1
.LBB239_695:
	s_delay_alu instid0(SALU_CYCLE_1)
	s_and_not1_b32 vcc_lo, exec_lo, s27
	s_cbranch_vccnz .LBB239_697
; %bb.696:
	s_wait_loadcnt 0x0
	global_load_b32 v1, v[4:5], off
	s_wait_loadcnt 0x0
	v_bfe_u32 v3, v1, 16, 1
	v_cmp_o_f32_e32 vcc_lo, v1, v1
	s_delay_alu instid0(VALU_DEP_2) | instskip(NEXT) | instid1(VALU_DEP_1)
	v_add3_u32 v3, v1, v3, 0x7fff
	v_lshrrev_b32_e32 v3, 16, v3
	s_delay_alu instid0(VALU_DEP_1)
	v_cndmask_b32_e32 v1, 0x7fc0, v3, vcc_lo
.LBB239_697:
	s_mov_b32 s27, 0
.LBB239_698:
	s_delay_alu instid0(SALU_CYCLE_1)
	s_and_not1_b32 vcc_lo, exec_lo, s27
	s_cbranch_vccnz .LBB239_700
; %bb.699:
	s_wait_loadcnt 0x0
	global_load_u16 v1, v[4:5], off
	s_wait_loadcnt 0x0
	v_cvt_f32_f16_e32 v3, v1
	v_cmp_o_f16_e32 vcc_lo, v1, v1
	s_delay_alu instid0(VALU_DEP_2) | instskip(NEXT) | instid1(VALU_DEP_1)
	v_bfe_u32 v6, v3, 16, 1
	v_add3_u32 v3, v3, v6, 0x7fff
	s_delay_alu instid0(VALU_DEP_1) | instskip(NEXT) | instid1(VALU_DEP_1)
	v_lshrrev_b32_e32 v3, 16, v3
	v_cndmask_b32_e32 v1, 0x7fc0, v3, vcc_lo
.LBB239_700:
	s_mov_b32 s27, 0
.LBB239_701:
	s_delay_alu instid0(SALU_CYCLE_1)
	s_and_not1_b32 vcc_lo, exec_lo, s27
	s_cbranch_vccnz .LBB239_721
; %bb.702:
	s_cmp_lt_i32 s0, 2
	s_cbranch_scc1 .LBB239_706
; %bb.703:
	s_cmp_lt_i32 s0, 3
	s_cbranch_scc1 .LBB239_707
; %bb.704:
	s_cmp_gt_i32 s0, 3
	s_cbranch_scc0 .LBB239_708
; %bb.705:
	global_load_b64 v[6:7], v[4:5], off
	s_mov_b32 s27, 0
	s_wait_loadcnt 0x0
	v_xor_b32_e32 v1, v6, v7
	v_cls_i32_e32 v3, v7
	s_delay_alu instid0(VALU_DEP_2) | instskip(NEXT) | instid1(VALU_DEP_1)
	v_ashrrev_i32_e32 v1, 31, v1
	v_add_nc_u32_e32 v1, 32, v1
	s_delay_alu instid0(VALU_DEP_1) | instskip(NEXT) | instid1(VALU_DEP_1)
	v_add_min_u32_e64 v1, v3, -1, v1
	v_lshlrev_b64_e32 v[6:7], v1, v[6:7]
	v_sub_nc_u32_e32 v1, 32, v1
	s_delay_alu instid0(VALU_DEP_2) | instskip(NEXT) | instid1(VALU_DEP_1)
	v_min_u32_e32 v3, 1, v6
	v_or_b32_e32 v3, v7, v3
	s_delay_alu instid0(VALU_DEP_1) | instskip(NEXT) | instid1(VALU_DEP_1)
	v_cvt_f32_i32_e32 v3, v3
	v_ldexp_f32 v1, v3, v1
	s_delay_alu instid0(VALU_DEP_1) | instskip(NEXT) | instid1(VALU_DEP_1)
	v_bfe_u32 v3, v1, 16, 1
	v_add3_u32 v1, v1, v3, 0x7fff
	s_delay_alu instid0(VALU_DEP_1)
	v_lshrrev_b32_e32 v1, 16, v1
	s_branch .LBB239_709
.LBB239_706:
	s_mov_b32 s27, -1
                                        ; implicit-def: $vgpr1
	s_branch .LBB239_715
.LBB239_707:
	s_mov_b32 s27, -1
                                        ; implicit-def: $vgpr1
	s_branch .LBB239_712
.LBB239_708:
	s_mov_b32 s27, -1
                                        ; implicit-def: $vgpr1
.LBB239_709:
	s_delay_alu instid0(SALU_CYCLE_1)
	s_and_not1_b32 vcc_lo, exec_lo, s27
	s_cbranch_vccnz .LBB239_711
; %bb.710:
	s_wait_loadcnt 0x0
	global_load_b32 v1, v[4:5], off
	s_wait_loadcnt 0x0
	v_cvt_f32_i32_e32 v1, v1
	s_delay_alu instid0(VALU_DEP_1) | instskip(NEXT) | instid1(VALU_DEP_1)
	v_bfe_u32 v3, v1, 16, 1
	v_add3_u32 v1, v1, v3, 0x7fff
	s_delay_alu instid0(VALU_DEP_1)
	v_lshrrev_b32_e32 v1, 16, v1
.LBB239_711:
	s_mov_b32 s27, 0
.LBB239_712:
	s_delay_alu instid0(SALU_CYCLE_1)
	s_and_not1_b32 vcc_lo, exec_lo, s27
	s_cbranch_vccnz .LBB239_714
; %bb.713:
	s_wait_loadcnt 0x0
	global_load_i16 v1, v[4:5], off
	s_wait_loadcnt 0x0
	v_cvt_f32_i32_e32 v1, v1
	s_delay_alu instid0(VALU_DEP_1) | instskip(NEXT) | instid1(VALU_DEP_1)
	v_bfe_u32 v3, v1, 16, 1
	v_add3_u32 v1, v1, v3, 0x7fff
	s_delay_alu instid0(VALU_DEP_1)
	v_lshrrev_b32_e32 v1, 16, v1
.LBB239_714:
	s_mov_b32 s27, 0
.LBB239_715:
	s_delay_alu instid0(SALU_CYCLE_1)
	s_and_not1_b32 vcc_lo, exec_lo, s27
	s_cbranch_vccnz .LBB239_721
; %bb.716:
	s_cmp_gt_i32 s0, 0
	s_mov_b32 s0, 0
	s_cbranch_scc0 .LBB239_718
; %bb.717:
	s_wait_loadcnt 0x0
	global_load_i8 v1, v[4:5], off
	s_wait_loadcnt 0x0
	v_cvt_f32_i32_e32 v1, v1
	s_delay_alu instid0(VALU_DEP_1) | instskip(NEXT) | instid1(VALU_DEP_1)
	v_bfe_u32 v3, v1, 16, 1
	v_add3_u32 v1, v1, v3, 0x7fff
	s_delay_alu instid0(VALU_DEP_1)
	v_lshrrev_b32_e32 v1, 16, v1
	s_branch .LBB239_719
.LBB239_718:
	s_mov_b32 s0, -1
                                        ; implicit-def: $vgpr1
.LBB239_719:
	s_delay_alu instid0(SALU_CYCLE_1)
	s_and_not1_b32 vcc_lo, exec_lo, s0
	s_cbranch_vccnz .LBB239_721
; %bb.720:
	s_wait_loadcnt 0x0
	global_load_u8 v1, v[4:5], off
	s_wait_loadcnt 0x0
	v_cvt_f32_ubyte0_e32 v1, v1
	s_delay_alu instid0(VALU_DEP_1) | instskip(NEXT) | instid1(VALU_DEP_1)
	v_bfe_u32 v3, v1, 16, 1
	v_add3_u32 v1, v1, v3, 0x7fff
	s_delay_alu instid0(VALU_DEP_1)
	v_lshrrev_b32_e32 v1, 16, v1
.LBB239_721:
	s_mov_b32 s27, -1
.LBB239_722:
	s_delay_alu instid0(SALU_CYCLE_1)
	s_and_not1_b32 vcc_lo, exec_lo, s27
	s_cbranch_vccnz .LBB239_727
; %bb.723:
	s_wait_loadcnt 0x0
	v_lshlrev_b32_e32 v3, 16, v1
	s_mov_b32 s0, exec_lo
	s_wait_xcnt 0x0
	s_delay_alu instid0(VALU_DEP_1)
	v_cmpx_o_f32_e32 v3, v3
	s_cbranch_execz .LBB239_735
; %bb.724:
	s_cmp_lt_i32 s8, 1
	s_mov_b32 s27, 0
	s_cbranch_scc1 .LBB239_728
; %bb.725:
	s_cmp_eq_u32 s8, 1
	s_cbranch_scc0 .LBB239_729
; %bb.726:
	v_max_num_f32_e64 v1, s9, s9
	v_max_num_f32_e32 v4, v3, v3
	s_mov_b32 s28, 0
	s_delay_alu instid0(VALU_DEP_1) | instskip(NEXT) | instid1(VALU_DEP_1)
	v_min_num_f32_e32 v1, v4, v1
	v_bfe_u32 v4, v1, 16, 1
	s_delay_alu instid0(VALU_DEP_1) | instskip(NEXT) | instid1(VALU_DEP_1)
	v_add3_u32 v1, v1, v4, 0x7fff
	v_lshrrev_b32_e32 v1, 16, v1
	s_branch .LBB239_730
.LBB239_727:
	s_mov_b32 s27, 0
	s_mov_b32 s0, s46
	s_branch .LBB239_860
.LBB239_728:
	s_mov_b32 s29, -1
	s_mov_b32 s28, 0
                                        ; implicit-def: $vgpr1
	s_branch .LBB239_731
.LBB239_729:
	s_mov_b32 s28, -1
                                        ; implicit-def: $vgpr1
.LBB239_730:
	s_mov_b32 s29, 0
.LBB239_731:
	s_delay_alu instid0(SALU_CYCLE_1)
	s_and_b32 vcc_lo, exec_lo, s29
	s_cbranch_vccz .LBB239_742
; %bb.732:
	s_cmp_lg_u32 s8, 0
	s_mov_b32 s27, -1
	s_cselect_b32 s28, -1, 0
	s_delay_alu instid0(SALU_CYCLE_1)
	s_and_not1_b32 vcc_lo, exec_lo, s28
	s_cbranch_vccz .LBB239_743
.LBB239_733:
	s_and_not1_b32 vcc_lo, exec_lo, s27
	s_cbranch_vccnz .LBB239_735
.LBB239_734:
	v_max_num_f32_e64 v1, s9, s9
	v_max_num_f32_e32 v3, v3, v3
	s_delay_alu instid0(VALU_DEP_1) | instskip(NEXT) | instid1(VALU_DEP_1)
	v_max_num_f32_e32 v1, v3, v1
	v_bfe_u32 v3, v1, 16, 1
	s_delay_alu instid0(VALU_DEP_1) | instskip(NEXT) | instid1(VALU_DEP_1)
	v_add3_u32 v1, v1, v3, 0x7fff
	v_lshrrev_b32_e32 v1, 16, v1
.LBB239_735:
	s_or_b32 exec_lo, exec_lo, s0
	v_mov_b32_e32 v3, 0
	s_and_b32 s27, s11, 0xff
	s_delay_alu instid0(SALU_CYCLE_1) | instskip(NEXT) | instid1(VALU_DEP_1)
	s_cmp_lt_i32 s27, 11
	v_add_nc_u64_e32 v[2:3], s[4:5], v[2:3]
	s_cbranch_scc1 .LBB239_744
; %bb.736:
	s_and_b32 s28, 0xffff, s27
	s_delay_alu instid0(SALU_CYCLE_1)
	s_cmp_gt_i32 s28, 25
	s_cbranch_scc0 .LBB239_745
; %bb.737:
	s_cmp_gt_i32 s28, 28
	s_cbranch_scc0 .LBB239_746
; %bb.738:
	;; [unrolled: 3-line block ×4, first 2 shown]
	s_mov_b32 s30, 0
	s_mov_b32 s0, -1
	s_cmp_eq_u32 s28, 46
	s_mov_b32 s29, 0
	s_cbranch_scc0 .LBB239_749
; %bb.741:
	v_and_b32_e32 v4, 0xffff, v1
	s_mov_b32 s29, -1
	s_mov_b32 s0, 0
	global_store_b32 v[2:3], v4, off
	s_branch .LBB239_749
.LBB239_742:
	s_and_not1_b32 vcc_lo, exec_lo, s28
	s_cbranch_vccnz .LBB239_733
.LBB239_743:
	v_max_num_f32_e64 v1, s9, s9
	v_max_num_f32_e32 v4, v3, v3
	v_max_num_f32_e64 v5, s10, s10
	s_delay_alu instid0(VALU_DEP_1) | instskip(NEXT) | instid1(VALU_DEP_1)
	v_maxmin_num_f32 v1, v4, v1, v5
	v_bfe_u32 v4, v1, 16, 1
	s_delay_alu instid0(VALU_DEP_1) | instskip(NEXT) | instid1(VALU_DEP_1)
	v_add3_u32 v1, v1, v4, 0x7fff
	v_lshrrev_b32_e32 v1, 16, v1
	s_cbranch_execz .LBB239_734
	s_branch .LBB239_735
.LBB239_744:
	s_mov_b32 s28, -1
	s_mov_b32 s29, 0
	s_mov_b32 s0, s46
	s_branch .LBB239_818
.LBB239_745:
	s_mov_b32 s30, -1
	s_mov_b32 s29, 0
	s_mov_b32 s0, s46
	s_branch .LBB239_776
.LBB239_746:
	s_mov_b32 s30, -1
	s_mov_b32 s29, 0
	s_mov_b32 s0, s46
	s_branch .LBB239_759
.LBB239_747:
	s_mov_b32 s30, -1
	s_mov_b32 s29, 0
	s_mov_b32 s0, s46
	s_branch .LBB239_755
.LBB239_748:
	s_mov_b32 s30, -1
	s_mov_b32 s29, 0
	s_mov_b32 s0, s46
.LBB239_749:
	s_and_b32 vcc_lo, exec_lo, s30
	s_cbranch_vccz .LBB239_754
; %bb.750:
	s_cmp_eq_u32 s28, 44
	s_mov_b32 s0, -1
	s_cbranch_scc0 .LBB239_754
; %bb.751:
	s_wait_xcnt 0x0
	v_and_b32_e32 v4, 0xffff, v1
	v_mov_b32_e32 v5, 0xff
	s_mov_b32 s29, exec_lo
	s_delay_alu instid0(VALU_DEP_2) | instskip(NEXT) | instid1(VALU_DEP_1)
	v_bfe_u32 v6, v4, 7, 8
	v_cmpx_ne_u32_e32 0xff, v6
	s_cbranch_execz .LBB239_753
; %bb.752:
	v_dual_lshlrev_b32 v5, 16, v4 :: v_dual_bitop2_b32 v7, 64, v4 bitop3:0x40
	v_lshrrev_b32_e32 v4, 7, v4
	s_delay_alu instid0(VALU_DEP_2) | instskip(NEXT) | instid1(VALU_DEP_3)
	v_and_or_b32 v5, 0x3f0000, v5, v6
	v_cmp_ne_u32_e32 vcc_lo, 0, v7
	s_delay_alu instid0(VALU_DEP_2) | instskip(SKIP_1) | instid1(SALU_CYCLE_1)
	v_cmp_ne_u32_e64 s0, 0, v5
	s_and_b32 s0, vcc_lo, s0
	v_cndmask_b32_e64 v5, 0, 1, s0
	s_delay_alu instid0(VALU_DEP_1)
	v_add_nc_u32_e32 v5, v4, v5
.LBB239_753:
	s_or_b32 exec_lo, exec_lo, s29
	s_mov_b32 s29, -1
	s_mov_b32 s0, 0
	global_store_b8 v[2:3], v5, off
.LBB239_754:
	s_mov_b32 s30, 0
.LBB239_755:
	s_delay_alu instid0(SALU_CYCLE_1)
	s_and_b32 vcc_lo, exec_lo, s30
	s_cbranch_vccz .LBB239_758
; %bb.756:
	s_cmp_eq_u32 s28, 29
	s_mov_b32 s0, -1
	s_cbranch_scc0 .LBB239_758
; %bb.757:
	s_wait_xcnt 0x0
	v_lshlrev_b32_e32 v4, 16, v1
	s_mov_b32 s29, -1
	s_mov_b32 s0, 0
	s_mov_b32 s30, 0
	s_delay_alu instid0(VALU_DEP_1) | instskip(NEXT) | instid1(VALU_DEP_1)
	v_trunc_f32_e32 v4, v4
	v_mul_f32_e32 v5, 0x2f800000, v4
	s_delay_alu instid0(VALU_DEP_1) | instskip(NEXT) | instid1(VALU_DEP_1)
	v_floor_f32_e32 v5, v5
	v_fmamk_f32 v4, v5, 0xcf800000, v4
	v_cvt_u32_f32_e32 v5, v5
	s_delay_alu instid0(VALU_DEP_2)
	v_cvt_u32_f32_e32 v4, v4
	global_store_b64 v[2:3], v[4:5], off
	s_branch .LBB239_759
.LBB239_758:
	s_mov_b32 s30, 0
.LBB239_759:
	s_delay_alu instid0(SALU_CYCLE_1)
	s_and_b32 vcc_lo, exec_lo, s30
	s_cbranch_vccz .LBB239_775
; %bb.760:
	s_cmp_lt_i32 s28, 27
	s_mov_b32 s29, -1
	s_cbranch_scc1 .LBB239_766
; %bb.761:
	s_cmp_gt_i32 s28, 27
	s_cbranch_scc0 .LBB239_763
; %bb.762:
	s_wait_xcnt 0x0
	v_lshlrev_b32_e32 v4, 16, v1
	s_mov_b32 s29, 0
	s_delay_alu instid0(VALU_DEP_1)
	v_cvt_u32_f32_e32 v4, v4
	global_store_b32 v[2:3], v4, off
.LBB239_763:
	s_and_not1_b32 vcc_lo, exec_lo, s29
	s_cbranch_vccnz .LBB239_765
; %bb.764:
	s_wait_xcnt 0x0
	v_lshlrev_b32_e32 v4, 16, v1
	s_delay_alu instid0(VALU_DEP_1)
	v_cvt_u32_f32_e32 v4, v4
	global_store_b16 v[2:3], v4, off
.LBB239_765:
	s_mov_b32 s29, 0
.LBB239_766:
	s_delay_alu instid0(SALU_CYCLE_1)
	s_and_not1_b32 vcc_lo, exec_lo, s29
	s_cbranch_vccnz .LBB239_774
; %bb.767:
	v_dual_mov_b32 v7, 0x80 :: v_dual_lshlrev_b32 v6, 16, v1
	s_mov_b32 s29, exec_lo
	s_wait_xcnt 0x0
	s_delay_alu instid0(VALU_DEP_1) | instskip(NEXT) | instid1(VALU_DEP_1)
	v_and_b32_e32 v5, 0x7fffffff, v6
	v_cmpx_gt_u32_e32 0x43800000, v5
	s_cbranch_execz .LBB239_773
; %bb.768:
	v_and_b32_e32 v4, 0xffff, v1
	v_cmp_lt_u32_e32 vcc_lo, 0x3bffffff, v5
	s_mov_b32 s30, 0
                                        ; implicit-def: $vgpr5
	s_and_saveexec_b32 s31, vcc_lo
	s_delay_alu instid0(SALU_CYCLE_1)
	s_xor_b32 s31, exec_lo, s31
	s_cbranch_execz .LBB239_892
; %bb.769:
	v_bfe_u32 v5, v4, 4, 1
	s_mov_b32 s30, exec_lo
	s_delay_alu instid0(VALU_DEP_1) | instskip(NEXT) | instid1(VALU_DEP_1)
	v_add3_u32 v5, v6, v5, 0x487ffff
                                        ; implicit-def: $vgpr6
	v_lshrrev_b32_e32 v5, 20, v5
	s_and_not1_saveexec_b32 s31, s31
	s_cbranch_execnz .LBB239_893
.LBB239_770:
	s_or_b32 exec_lo, exec_lo, s31
	v_mov_b32_e32 v7, 0
	s_and_saveexec_b32 s31, s30
.LBB239_771:
	v_lshrrev_b32_e32 v4, 8, v4
	s_delay_alu instid0(VALU_DEP_1)
	v_and_or_b32 v7, 0x80, v4, v5
.LBB239_772:
	s_or_b32 exec_lo, exec_lo, s31
.LBB239_773:
	s_delay_alu instid0(SALU_CYCLE_1)
	s_or_b32 exec_lo, exec_lo, s29
	global_store_b8 v[2:3], v7, off
.LBB239_774:
	s_mov_b32 s29, -1
.LBB239_775:
	s_mov_b32 s30, 0
.LBB239_776:
	s_delay_alu instid0(SALU_CYCLE_1)
	s_and_b32 vcc_lo, exec_lo, s30
	s_cbranch_vccz .LBB239_817
; %bb.777:
	s_cmp_gt_i32 s28, 22
	s_mov_b32 s30, -1
	s_cbranch_scc0 .LBB239_809
; %bb.778:
	s_cmp_lt_i32 s28, 24
	s_mov_b32 s29, -1
	s_cbranch_scc1 .LBB239_798
; %bb.779:
	s_cmp_gt_i32 s28, 24
	s_cbranch_scc0 .LBB239_787
; %bb.780:
	s_wait_xcnt 0x0
	v_dual_mov_b32 v7, 0x80 :: v_dual_lshlrev_b32 v6, 16, v1
	s_mov_b32 s29, exec_lo
	s_delay_alu instid0(VALU_DEP_1) | instskip(NEXT) | instid1(VALU_DEP_1)
	v_and_b32_e32 v5, 0x7fffffff, v6
	v_cmpx_gt_u32_e32 0x47800000, v5
	s_cbranch_execz .LBB239_786
; %bb.781:
	v_and_b32_e32 v4, 0xffff, v1
	v_cmp_lt_u32_e32 vcc_lo, 0x37ffffff, v5
	s_mov_b32 s30, 0
                                        ; implicit-def: $vgpr5
	s_and_saveexec_b32 s31, vcc_lo
	s_delay_alu instid0(SALU_CYCLE_1)
	s_xor_b32 s31, exec_lo, s31
	s_cbranch_execz .LBB239_895
; %bb.782:
	v_bfe_u32 v5, v4, 5, 1
	s_mov_b32 s30, exec_lo
	s_delay_alu instid0(VALU_DEP_1) | instskip(NEXT) | instid1(VALU_DEP_1)
	v_add3_u32 v5, v6, v5, 0x88fffff
                                        ; implicit-def: $vgpr6
	v_lshrrev_b32_e32 v5, 21, v5
	s_and_not1_saveexec_b32 s31, s31
	s_cbranch_execnz .LBB239_896
.LBB239_783:
	s_or_b32 exec_lo, exec_lo, s31
	v_mov_b32_e32 v7, 0
	s_and_saveexec_b32 s31, s30
.LBB239_784:
	v_lshrrev_b32_e32 v4, 8, v4
	s_delay_alu instid0(VALU_DEP_1)
	v_and_or_b32 v7, 0x80, v4, v5
.LBB239_785:
	s_or_b32 exec_lo, exec_lo, s31
.LBB239_786:
	s_delay_alu instid0(SALU_CYCLE_1)
	s_or_b32 exec_lo, exec_lo, s29
	s_mov_b32 s29, 0
	global_store_b8 v[2:3], v7, off
.LBB239_787:
	s_and_b32 vcc_lo, exec_lo, s29
	s_cbranch_vccz .LBB239_797
; %bb.788:
	v_lshlrev_b32_e32 v6, 16, v1
	s_wait_xcnt 0x0
	v_and_b32_e32 v4, 0xffff, v1
	s_mov_b32 s29, exec_lo
                                        ; implicit-def: $vgpr5
	s_delay_alu instid0(VALU_DEP_2) | instskip(NEXT) | instid1(VALU_DEP_1)
	v_and_b32_e32 v7, 0x7fffffff, v6
	v_cmpx_gt_u32_e32 0x43f00000, v7
	s_xor_b32 s29, exec_lo, s29
	s_cbranch_execz .LBB239_794
; %bb.789:
	s_mov_b32 s30, exec_lo
                                        ; implicit-def: $vgpr5
	v_cmpx_lt_u32_e32 0x3c7fffff, v7
	s_xor_b32 s30, exec_lo, s30
; %bb.790:
	v_bfe_u32 v5, v4, 4, 1
	s_delay_alu instid0(VALU_DEP_1) | instskip(NEXT) | instid1(VALU_DEP_1)
	v_add3_u32 v5, v6, v5, 0x407ffff
	v_and_b32_e32 v6, 0xff00000, v5
	v_lshrrev_b32_e32 v5, 20, v5
	s_delay_alu instid0(VALU_DEP_2) | instskip(NEXT) | instid1(VALU_DEP_2)
	v_cmp_ne_u32_e32 vcc_lo, 0x7f00000, v6
                                        ; implicit-def: $vgpr6
	v_cndmask_b32_e32 v5, 0x7e, v5, vcc_lo
; %bb.791:
	s_and_not1_saveexec_b32 s30, s30
; %bb.792:
	v_add_f32_e64 v5, 0x46800000, |v6|
; %bb.793:
	s_or_b32 exec_lo, exec_lo, s30
                                        ; implicit-def: $vgpr7
.LBB239_794:
	s_and_not1_saveexec_b32 s29, s29
; %bb.795:
	v_mov_b32_e32 v5, 0x7f
	v_cmp_lt_u32_e32 vcc_lo, 0x7f800000, v7
	s_delay_alu instid0(VALU_DEP_2)
	v_cndmask_b32_e32 v5, 0x7e, v5, vcc_lo
; %bb.796:
	s_or_b32 exec_lo, exec_lo, s29
	v_lshrrev_b32_e32 v4, 8, v4
	s_delay_alu instid0(VALU_DEP_1)
	v_and_or_b32 v4, 0x80, v4, v5
	global_store_b8 v[2:3], v4, off
.LBB239_797:
	s_mov_b32 s29, 0
.LBB239_798:
	s_delay_alu instid0(SALU_CYCLE_1)
	s_and_not1_b32 vcc_lo, exec_lo, s29
	s_cbranch_vccnz .LBB239_808
; %bb.799:
	v_lshlrev_b32_e32 v6, 16, v1
	s_wait_xcnt 0x0
	v_and_b32_e32 v4, 0xffff, v1
	s_mov_b32 s29, exec_lo
                                        ; implicit-def: $vgpr5
	s_delay_alu instid0(VALU_DEP_2) | instskip(NEXT) | instid1(VALU_DEP_1)
	v_and_b32_e32 v7, 0x7fffffff, v6
	v_cmpx_gt_u32_e32 0x47800000, v7
	s_xor_b32 s29, exec_lo, s29
	s_cbranch_execz .LBB239_805
; %bb.800:
	s_mov_b32 s30, exec_lo
                                        ; implicit-def: $vgpr5
	v_cmpx_lt_u32_e32 0x387fffff, v7
	s_xor_b32 s30, exec_lo, s30
; %bb.801:
	v_bfe_u32 v5, v4, 5, 1
	s_delay_alu instid0(VALU_DEP_1) | instskip(NEXT) | instid1(VALU_DEP_1)
	v_add3_u32 v5, v6, v5, 0x80fffff
                                        ; implicit-def: $vgpr6
	v_lshrrev_b32_e32 v5, 21, v5
; %bb.802:
	s_and_not1_saveexec_b32 s30, s30
; %bb.803:
	v_add_f32_e64 v5, 0x43000000, |v6|
; %bb.804:
	s_or_b32 exec_lo, exec_lo, s30
                                        ; implicit-def: $vgpr7
.LBB239_805:
	s_and_not1_saveexec_b32 s29, s29
; %bb.806:
	v_mov_b32_e32 v5, 0x7f
	v_cmp_lt_u32_e32 vcc_lo, 0x7f800000, v7
	s_delay_alu instid0(VALU_DEP_2)
	v_cndmask_b32_e32 v5, 0x7c, v5, vcc_lo
; %bb.807:
	s_or_b32 exec_lo, exec_lo, s29
	v_lshrrev_b32_e32 v4, 8, v4
	s_delay_alu instid0(VALU_DEP_1)
	v_and_or_b32 v4, 0x80, v4, v5
	global_store_b8 v[2:3], v4, off
.LBB239_808:
	s_mov_b32 s30, 0
	s_mov_b32 s29, -1
.LBB239_809:
	s_and_not1_b32 vcc_lo, exec_lo, s30
	s_cbranch_vccnz .LBB239_817
; %bb.810:
	s_cmp_gt_i32 s28, 14
	s_mov_b32 s30, -1
	s_cbranch_scc0 .LBB239_814
; %bb.811:
	s_cmp_eq_u32 s28, 15
	s_mov_b32 s0, -1
	s_cbranch_scc0 .LBB239_813
; %bb.812:
	s_mov_b32 s29, -1
	s_mov_b32 s0, 0
	global_store_b16 v[2:3], v1, off
.LBB239_813:
	s_mov_b32 s30, 0
.LBB239_814:
	s_delay_alu instid0(SALU_CYCLE_1)
	s_and_b32 vcc_lo, exec_lo, s30
	s_cbranch_vccz .LBB239_817
; %bb.815:
	s_cmp_eq_u32 s28, 11
	s_mov_b32 s0, -1
	s_cbranch_scc0 .LBB239_817
; %bb.816:
	s_wait_xcnt 0x0
	v_and_b32_e32 v4, 0x7fff, v1
	s_mov_b32 s0, 0
	s_mov_b32 s29, -1
	s_delay_alu instid0(VALU_DEP_1)
	v_cmp_ne_u16_e32 vcc_lo, 0, v4
	v_cndmask_b32_e64 v4, 0, 1, vcc_lo
	global_store_b8 v[2:3], v4, off
.LBB239_817:
	s_mov_b32 s28, 0
.LBB239_818:
	s_delay_alu instid0(SALU_CYCLE_1)
	s_and_b32 vcc_lo, exec_lo, s28
	s_cbranch_vccz .LBB239_857
; %bb.819:
	s_and_b32 s27, 0xffff, s27
	s_mov_b32 s28, -1
	s_cmp_lt_i32 s27, 5
	s_cbranch_scc1 .LBB239_840
; %bb.820:
	s_cmp_lt_i32 s27, 8
	s_cbranch_scc1 .LBB239_830
; %bb.821:
	;; [unrolled: 3-line block ×3, first 2 shown]
	s_cmp_gt_i32 s27, 9
	s_cbranch_scc0 .LBB239_824
; %bb.823:
	s_wait_xcnt 0x0
	v_dual_lshlrev_b32 v4, 16, v1 :: v_dual_mov_b32 v6, 0
	s_mov_b32 s28, 0
	s_delay_alu instid0(VALU_DEP_1) | instskip(NEXT) | instid1(VALU_DEP_2)
	v_cvt_f64_f32_e32 v[4:5], v4
	v_mov_b32_e32 v7, v6
	global_store_b128 v[2:3], v[4:7], off
.LBB239_824:
	s_and_not1_b32 vcc_lo, exec_lo, s28
	s_cbranch_vccnz .LBB239_826
; %bb.825:
	s_wait_xcnt 0x0
	v_dual_mov_b32 v5, 0 :: v_dual_lshlrev_b32 v4, 16, v1
	global_store_b64 v[2:3], v[4:5], off
.LBB239_826:
	s_mov_b32 s28, 0
.LBB239_827:
	s_delay_alu instid0(SALU_CYCLE_1)
	s_and_not1_b32 vcc_lo, exec_lo, s28
	s_cbranch_vccnz .LBB239_829
; %bb.828:
	s_wait_xcnt 0x0
	v_lshlrev_b32_e32 v4, 16, v1
	s_delay_alu instid0(VALU_DEP_1) | instskip(NEXT) | instid1(VALU_DEP_1)
	v_cvt_f16_f32_e32 v4, v4
	v_and_b32_e32 v4, 0xffff, v4
	global_store_b32 v[2:3], v4, off
.LBB239_829:
	s_mov_b32 s28, 0
.LBB239_830:
	s_delay_alu instid0(SALU_CYCLE_1)
	s_and_not1_b32 vcc_lo, exec_lo, s28
	s_cbranch_vccnz .LBB239_839
; %bb.831:
	s_cmp_lt_i32 s27, 6
	s_mov_b32 s28, -1
	s_cbranch_scc1 .LBB239_837
; %bb.832:
	s_cmp_gt_i32 s27, 6
	s_cbranch_scc0 .LBB239_834
; %bb.833:
	s_wait_xcnt 0x0
	v_lshlrev_b32_e32 v4, 16, v1
	s_mov_b32 s28, 0
	s_delay_alu instid0(VALU_DEP_1)
	v_cvt_f64_f32_e32 v[4:5], v4
	global_store_b64 v[2:3], v[4:5], off
.LBB239_834:
	s_and_not1_b32 vcc_lo, exec_lo, s28
	s_cbranch_vccnz .LBB239_836
; %bb.835:
	s_wait_xcnt 0x0
	v_lshlrev_b32_e32 v4, 16, v1
	global_store_b32 v[2:3], v4, off
.LBB239_836:
	s_mov_b32 s28, 0
.LBB239_837:
	s_delay_alu instid0(SALU_CYCLE_1)
	s_and_not1_b32 vcc_lo, exec_lo, s28
	s_cbranch_vccnz .LBB239_839
; %bb.838:
	s_wait_xcnt 0x0
	v_lshlrev_b32_e32 v4, 16, v1
	s_delay_alu instid0(VALU_DEP_1)
	v_cvt_f16_f32_e32 v4, v4
	global_store_b16 v[2:3], v4, off
.LBB239_839:
	s_mov_b32 s28, 0
.LBB239_840:
	s_delay_alu instid0(SALU_CYCLE_1)
	s_and_not1_b32 vcc_lo, exec_lo, s28
	s_cbranch_vccnz .LBB239_856
; %bb.841:
	s_cmp_lt_i32 s27, 2
	s_mov_b32 s28, -1
	s_cbranch_scc1 .LBB239_851
; %bb.842:
	s_cmp_lt_i32 s27, 3
	s_cbranch_scc1 .LBB239_848
; %bb.843:
	s_cmp_gt_i32 s27, 3
	s_cbranch_scc0 .LBB239_845
; %bb.844:
	s_wait_xcnt 0x0
	v_lshlrev_b32_e32 v4, 16, v1
	s_mov_b32 s28, 0
	s_delay_alu instid0(VALU_DEP_1) | instskip(NEXT) | instid1(VALU_DEP_1)
	v_trunc_f32_e32 v4, v4
	v_mul_f32_e64 v5, 0x2f800000, |v4|
	s_delay_alu instid0(VALU_DEP_1) | instskip(NEXT) | instid1(VALU_DEP_1)
	v_floor_f32_e32 v5, v5
	v_fma_f32 v6, 0xcf800000, v5, |v4|
	v_ashrrev_i32_e32 v4, 31, v4
	v_cvt_u32_f32_e32 v7, v5
	s_delay_alu instid0(VALU_DEP_3) | instskip(NEXT) | instid1(VALU_DEP_2)
	v_cvt_u32_f32_e32 v6, v6
	v_dual_mov_b32 v5, v4 :: v_dual_bitop2_b32 v7, v7, v4 bitop3:0x14
	s_delay_alu instid0(VALU_DEP_2) | instskip(NEXT) | instid1(VALU_DEP_1)
	v_xor_b32_e32 v6, v6, v4
	v_sub_nc_u64_e32 v[4:5], v[6:7], v[4:5]
	global_store_b64 v[2:3], v[4:5], off
.LBB239_845:
	s_and_not1_b32 vcc_lo, exec_lo, s28
	s_cbranch_vccnz .LBB239_847
; %bb.846:
	s_wait_xcnt 0x0
	v_lshlrev_b32_e32 v4, 16, v1
	s_delay_alu instid0(VALU_DEP_1)
	v_cvt_i32_f32_e32 v4, v4
	global_store_b32 v[2:3], v4, off
.LBB239_847:
	s_mov_b32 s28, 0
.LBB239_848:
	s_delay_alu instid0(SALU_CYCLE_1)
	s_and_not1_b32 vcc_lo, exec_lo, s28
	s_cbranch_vccnz .LBB239_850
; %bb.849:
	s_wait_xcnt 0x0
	v_lshlrev_b32_e32 v4, 16, v1
	s_delay_alu instid0(VALU_DEP_1)
	v_cvt_i32_f32_e32 v4, v4
	global_store_b16 v[2:3], v4, off
.LBB239_850:
	s_mov_b32 s28, 0
.LBB239_851:
	s_delay_alu instid0(SALU_CYCLE_1)
	s_and_not1_b32 vcc_lo, exec_lo, s28
	s_cbranch_vccnz .LBB239_856
; %bb.852:
	s_wait_xcnt 0x0
	v_lshlrev_b32_e32 v1, 16, v1
	s_cmp_gt_i32 s27, 0
	s_mov_b32 s27, -1
	s_cbranch_scc0 .LBB239_854
; %bb.853:
	s_delay_alu instid0(VALU_DEP_1)
	v_cvt_i32_f32_e32 v4, v1
	s_mov_b32 s27, 0
	global_store_b8 v[2:3], v4, off
.LBB239_854:
	s_and_not1_b32 vcc_lo, exec_lo, s27
	s_cbranch_vccnz .LBB239_856
; %bb.855:
	v_trunc_f32_e32 v1, v1
	s_wait_xcnt 0x0
	s_delay_alu instid0(VALU_DEP_1) | instskip(NEXT) | instid1(VALU_DEP_1)
	v_mul_f32_e64 v4, 0x2f800000, |v1|
	v_floor_f32_e32 v4, v4
	s_delay_alu instid0(VALU_DEP_1) | instskip(SKIP_1) | instid1(VALU_DEP_2)
	v_fma_f32 v4, 0xcf800000, v4, |v1|
	v_ashrrev_i32_e32 v1, 31, v1
	v_cvt_u32_f32_e32 v4, v4
	s_delay_alu instid0(VALU_DEP_1) | instskip(NEXT) | instid1(VALU_DEP_1)
	v_xor_b32_e32 v4, v4, v1
	v_sub_nc_u32_e32 v1, v4, v1
	global_store_b8 v[2:3], v1, off
.LBB239_856:
	s_mov_b32 s29, -1
.LBB239_857:
	s_delay_alu instid0(SALU_CYCLE_1)
	s_and_not1_b32 vcc_lo, exec_lo, s29
	s_cbranch_vccnz .LBB239_859
; %bb.858:
	v_add_nc_u32_e32 v0, 0x80, v0
	s_mov_b32 s27, -1
	s_branch .LBB239_861
.LBB239_859:
	s_mov_b32 s27, 0
.LBB239_860:
                                        ; implicit-def: $vgpr0
.LBB239_861:
	s_and_not1_b32 s28, s46, exec_lo
	s_and_b32 s0, s0, exec_lo
	s_and_not1_b32 s29, s45, exec_lo
	s_and_b32 s26, s26, exec_lo
	s_or_b32 s30, s28, s0
	s_or_b32 s0, s29, s26
	s_or_not1_b32 s29, s27, exec_lo
.LBB239_862:
	s_wait_xcnt 0x0
	s_or_b32 exec_lo, exec_lo, s48
	s_mov_b32 s27, 0
	s_mov_b32 s26, 0
	;; [unrolled: 1-line block ×3, first 2 shown]
                                        ; implicit-def: $vgpr4_vgpr5
                                        ; implicit-def: $vgpr2
                                        ; implicit-def: $vgpr6
	s_and_saveexec_b32 s31, s29
	s_cbranch_execz .LBB239_964
; %bb.863:
	v_cmp_gt_i32_e32 vcc_lo, s39, v0
	s_mov_b32 s29, s0
                                        ; implicit-def: $vgpr4_vgpr5
                                        ; implicit-def: $vgpr2
                                        ; implicit-def: $vgpr6
	s_and_saveexec_b32 s39, vcc_lo
	s_cbranch_execz .LBB239_963
; %bb.864:
	s_and_not1_b32 vcc_lo, exec_lo, s36
	s_cbranch_vccnz .LBB239_870
; %bb.865:
	s_and_not1_b32 vcc_lo, exec_lo, s41
	s_cbranch_vccnz .LBB239_871
; %bb.866:
	s_add_co_i32 s40, s40, 1
	s_cmp_eq_u32 s34, 2
	s_cbranch_scc1 .LBB239_872
; %bb.867:
	v_dual_mov_b32 v2, 0 :: v_dual_mov_b32 v4, 0
	s_wait_loadcnt 0x0
	v_mov_b32_e32 v1, v0
	s_and_b32 s26, s40, 28
	s_mov_b64 s[28:29], s[2:3]
.LBB239_868:                            ; =>This Inner Loop Header: Depth=1
	s_clause 0x1
	s_load_b256 s[48:55], s[28:29], 0x4
	s_load_b128 s[64:67], s[28:29], 0x24
	s_load_b256 s[56:63], s[24:25], 0x0
	s_add_co_i32 s27, s27, 4
	s_wait_xcnt 0x0
	s_add_nc_u64 s[28:29], s[28:29], 48
	s_cmp_eq_u32 s26, s27
	s_add_nc_u64 s[24:25], s[24:25], 32
	s_wait_kmcnt 0x0
	v_mul_hi_u32 v3, s49, v1
	s_delay_alu instid0(VALU_DEP_1) | instskip(NEXT) | instid1(VALU_DEP_1)
	v_add_nc_u32_e32 v3, v1, v3
	v_lshrrev_b32_e32 v3, s50, v3
	s_delay_alu instid0(VALU_DEP_1) | instskip(NEXT) | instid1(VALU_DEP_1)
	v_mul_hi_u32 v5, s52, v3
	v_add_nc_u32_e32 v5, v3, v5
	s_delay_alu instid0(VALU_DEP_1) | instskip(NEXT) | instid1(VALU_DEP_1)
	v_lshrrev_b32_e32 v5, s53, v5
	v_mul_hi_u32 v6, s55, v5
	s_delay_alu instid0(VALU_DEP_1) | instskip(SKIP_1) | instid1(VALU_DEP_1)
	v_add_nc_u32_e32 v6, v5, v6
	v_mul_lo_u32 v7, v3, s48
	v_sub_nc_u32_e32 v1, v1, v7
	v_mul_lo_u32 v7, v5, s51
	s_delay_alu instid0(VALU_DEP_4) | instskip(NEXT) | instid1(VALU_DEP_3)
	v_lshrrev_b32_e32 v6, s64, v6
	v_mad_u32 v4, v1, s57, v4
	v_mad_u32 v1, v1, s56, v2
	s_delay_alu instid0(VALU_DEP_4) | instskip(NEXT) | instid1(VALU_DEP_4)
	v_sub_nc_u32_e32 v2, v3, v7
	v_mul_hi_u32 v8, s66, v6
	v_mul_lo_u32 v3, v6, s54
	s_delay_alu instid0(VALU_DEP_3) | instskip(SKIP_1) | instid1(VALU_DEP_3)
	v_mad_u32 v4, v2, s59, v4
	v_mad_u32 v2, v2, s58, v1
	v_dual_add_nc_u32 v7, v6, v8 :: v_dual_sub_nc_u32 v3, v5, v3
	s_delay_alu instid0(VALU_DEP_1) | instskip(NEXT) | instid1(VALU_DEP_2)
	v_lshrrev_b32_e32 v1, s67, v7
	v_mad_u32 v4, v3, s61, v4
	s_delay_alu instid0(VALU_DEP_4) | instskip(NEXT) | instid1(VALU_DEP_3)
	v_mad_u32 v2, v3, s60, v2
	v_mul_lo_u32 v5, v1, s65
	s_delay_alu instid0(VALU_DEP_1) | instskip(NEXT) | instid1(VALU_DEP_1)
	v_sub_nc_u32_e32 v3, v6, v5
	v_mad_u32 v4, v3, s63, v4
	s_delay_alu instid0(VALU_DEP_4)
	v_mad_u32 v2, v3, s62, v2
	s_cbranch_scc0 .LBB239_868
; %bb.869:
	s_delay_alu instid0(VALU_DEP_2)
	v_mov_b32_e32 v3, v4
	s_branch .LBB239_873
.LBB239_870:
	s_mov_b32 s24, -1
                                        ; implicit-def: $vgpr4
                                        ; implicit-def: $vgpr2
	s_branch .LBB239_878
.LBB239_871:
	v_dual_mov_b32 v4, 0 :: v_dual_mov_b32 v2, 0
	s_branch .LBB239_877
.LBB239_872:
	v_mov_b64_e32 v[2:3], 0
	s_wait_loadcnt 0x0
	v_mov_b32_e32 v1, v0
                                        ; implicit-def: $vgpr4
.LBB239_873:
	s_and_b32 s28, s40, 3
	s_mov_b32 s27, 0
	s_cmp_eq_u32 s28, 0
	s_cbranch_scc1 .LBB239_877
; %bb.874:
	s_lshl_b32 s24, s26, 3
	s_mov_b32 s25, s27
	s_mul_u64 s[26:27], s[26:27], 12
	s_add_nc_u64 s[24:25], s[2:3], s[24:25]
	s_add_nc_u64 s[26:27], s[2:3], s[26:27]
	;; [unrolled: 1-line block ×3, first 2 shown]
.LBB239_875:                            ; =>This Inner Loop Header: Depth=1
	s_load_b96 s[48:50], s[26:27], 0x4
	s_load_b64 s[40:41], s[24:25], 0x0
	s_add_co_i32 s28, s28, -1
	s_wait_xcnt 0x0
	s_add_nc_u64 s[26:27], s[26:27], 12
	s_cmp_lg_u32 s28, 0
	s_add_nc_u64 s[24:25], s[24:25], 8
	s_wait_kmcnt 0x0
	v_mul_hi_u32 v4, s49, v1
	s_delay_alu instid0(VALU_DEP_1) | instskip(NEXT) | instid1(VALU_DEP_1)
	v_add_nc_u32_e32 v4, v1, v4
	v_lshrrev_b32_e32 v4, s50, v4
	s_delay_alu instid0(VALU_DEP_1) | instskip(NEXT) | instid1(VALU_DEP_1)
	v_mul_lo_u32 v5, v4, s48
	v_sub_nc_u32_e32 v1, v1, v5
	s_delay_alu instid0(VALU_DEP_1)
	v_mad_u32 v3, v1, s41, v3
	v_mad_u32 v2, v1, s40, v2
	v_mov_b32_e32 v1, v4
	s_cbranch_scc1 .LBB239_875
; %bb.876:
	s_delay_alu instid0(VALU_DEP_3)
	v_mov_b32_e32 v4, v3
.LBB239_877:
	s_mov_b32 s24, 0
.LBB239_878:
	s_delay_alu instid0(SALU_CYCLE_1)
	s_and_not1_b32 vcc_lo, exec_lo, s24
	s_cbranch_vccnz .LBB239_881
; %bb.879:
	s_wait_loadcnt 0x0
	v_mov_b32_e32 v1, 0
	s_and_not1_b32 vcc_lo, exec_lo, s38
	s_delay_alu instid0(VALU_DEP_1) | instskip(NEXT) | instid1(VALU_DEP_1)
	v_mul_u64_e32 v[2:3], s[20:21], v[0:1]
	v_add_nc_u32_e32 v2, v0, v3
	s_delay_alu instid0(VALU_DEP_1) | instskip(NEXT) | instid1(VALU_DEP_1)
	v_lshrrev_b32_e32 v6, s14, v2
	v_mul_lo_u32 v2, v6, s12
	s_delay_alu instid0(VALU_DEP_1) | instskip(NEXT) | instid1(VALU_DEP_1)
	v_sub_nc_u32_e32 v0, v0, v2
	v_mul_lo_u32 v4, v0, s17
	v_mul_lo_u32 v2, v0, s16
	s_cbranch_vccnz .LBB239_881
; %bb.880:
	v_mov_b32_e32 v7, v1
	s_delay_alu instid0(VALU_DEP_1) | instskip(NEXT) | instid1(VALU_DEP_1)
	v_mul_u64_e32 v[0:1], s[22:23], v[6:7]
	v_add_nc_u32_e32 v0, v6, v1
	s_delay_alu instid0(VALU_DEP_1) | instskip(NEXT) | instid1(VALU_DEP_1)
	v_lshrrev_b32_e32 v0, s1, v0
	v_mul_lo_u32 v0, v0, s15
	s_delay_alu instid0(VALU_DEP_1) | instskip(NEXT) | instid1(VALU_DEP_1)
	v_sub_nc_u32_e32 v0, v6, v0
	v_mad_u32 v2, v0, s18, v2
	v_mad_u32 v4, v0, s19, v4
.LBB239_881:
	v_mov_b32_e32 v5, 0
	s_and_b32 s1, 0xffff, s13
	s_delay_alu instid0(SALU_CYCLE_1) | instskip(NEXT) | instid1(VALU_DEP_1)
	s_cmp_lt_i32 s1, 11
	v_add_nc_u64_e32 v[4:5], s[6:7], v[4:5]
	s_cbranch_scc1 .LBB239_888
; %bb.882:
	s_cmp_gt_i32 s1, 25
	s_mov_b32 s7, 0
	s_cbranch_scc0 .LBB239_889
; %bb.883:
	s_cmp_gt_i32 s1, 28
	s_cbranch_scc0 .LBB239_890
; %bb.884:
	s_cmp_gt_i32 s1, 43
	;; [unrolled: 3-line block ×3, first 2 shown]
	s_cbranch_scc0 .LBB239_894
; %bb.886:
	s_cmp_eq_u32 s1, 46
	s_mov_b32 s14, 0
	s_cbranch_scc0 .LBB239_897
; %bb.887:
	global_load_b32 v6, v[4:5], off
	s_mov_b32 s6, 0
	s_mov_b32 s12, -1
	s_branch .LBB239_899
.LBB239_888:
	s_mov_b32 s1, -1
	s_mov_b32 s12, 0
	s_mov_b32 s7, 0
	;; [unrolled: 1-line block ×3, first 2 shown]
                                        ; implicit-def: $vgpr6
	s_branch .LBB239_962
.LBB239_889:
	s_mov_b32 s14, -1
	s_mov_b32 s12, 0
	s_mov_b32 s6, s0
                                        ; implicit-def: $vgpr6
	s_branch .LBB239_928
.LBB239_890:
	s_mov_b32 s14, -1
	s_mov_b32 s12, 0
	s_mov_b32 s6, s0
                                        ; implicit-def: $vgpr6
	s_branch .LBB239_909
.LBB239_891:
	s_mov_b32 s14, -1
	s_mov_b32 s12, 0
	s_mov_b32 s6, s0
                                        ; implicit-def: $vgpr6
	s_branch .LBB239_904
.LBB239_892:
	s_and_not1_saveexec_b32 s31, s31
	s_cbranch_execz .LBB239_770
.LBB239_893:
	v_add_f32_e64 v5, 0x46000000, |v6|
	s_and_not1_b32 s30, s30, exec_lo
	s_delay_alu instid0(VALU_DEP_1) | instskip(NEXT) | instid1(VALU_DEP_1)
	v_and_b32_e32 v5, 0xff, v5
	v_cmp_ne_u32_e32 vcc_lo, 0, v5
	s_and_b32 s49, vcc_lo, exec_lo
	s_delay_alu instid0(SALU_CYCLE_1)
	s_or_b32 s30, s30, s49
	s_or_b32 exec_lo, exec_lo, s31
	v_mov_b32_e32 v7, 0
	s_and_saveexec_b32 s31, s30
	s_cbranch_execnz .LBB239_771
	s_branch .LBB239_772
.LBB239_894:
	s_mov_b32 s14, -1
	s_mov_b32 s12, 0
	s_mov_b32 s6, s0
	s_branch .LBB239_898
.LBB239_895:
	s_and_not1_saveexec_b32 s31, s31
	s_cbranch_execz .LBB239_783
.LBB239_896:
	v_add_f32_e64 v5, 0x42800000, |v6|
	s_and_not1_b32 s30, s30, exec_lo
	s_delay_alu instid0(VALU_DEP_1) | instskip(NEXT) | instid1(VALU_DEP_1)
	v_and_b32_e32 v5, 0xff, v5
	v_cmp_ne_u32_e32 vcc_lo, 0, v5
	s_and_b32 s49, vcc_lo, exec_lo
	s_delay_alu instid0(SALU_CYCLE_1)
	s_or_b32 s30, s30, s49
	s_or_b32 exec_lo, exec_lo, s31
	v_mov_b32_e32 v7, 0
	s_and_saveexec_b32 s31, s30
	s_cbranch_execnz .LBB239_784
	s_branch .LBB239_785
.LBB239_897:
	s_mov_b32 s6, -1
	s_mov_b32 s12, 0
.LBB239_898:
                                        ; implicit-def: $vgpr6
.LBB239_899:
	s_and_b32 vcc_lo, exec_lo, s14
	s_cbranch_vccz .LBB239_903
; %bb.900:
	s_cmp_eq_u32 s1, 44
	s_cbranch_scc0 .LBB239_902
; %bb.901:
	global_load_u8 v0, v[4:5], off
	s_mov_b32 s6, 0
	s_mov_b32 s12, -1
	s_wait_loadcnt 0x0
	v_lshlrev_b32_e32 v1, 23, v0
	v_cmp_ne_u32_e32 vcc_lo, 0xff, v0
	s_delay_alu instid0(VALU_DEP_2) | instskip(SKIP_1) | instid1(VALU_DEP_2)
	v_cndmask_b32_e32 v1, 0x7f800001, v1, vcc_lo
	v_cmp_ne_u32_e32 vcc_lo, 0, v0
	v_cndmask_b32_e32 v0, 0x400000, v1, vcc_lo
	s_delay_alu instid0(VALU_DEP_1) | instskip(NEXT) | instid1(VALU_DEP_1)
	v_add_nc_u32_e32 v1, 0x7fff, v0
	v_lshrrev_b32_e32 v1, 16, v1
	v_cmp_o_f32_e32 vcc_lo, v0, v0
	s_delay_alu instid0(VALU_DEP_2)
	v_cndmask_b32_e32 v6, 0x7fc0, v1, vcc_lo
	s_branch .LBB239_903
.LBB239_902:
	s_mov_b32 s6, -1
                                        ; implicit-def: $vgpr6
.LBB239_903:
	s_mov_b32 s14, 0
.LBB239_904:
	s_delay_alu instid0(SALU_CYCLE_1)
	s_and_b32 vcc_lo, exec_lo, s14
	s_cbranch_vccz .LBB239_908
; %bb.905:
	s_cmp_eq_u32 s1, 29
	s_cbranch_scc0 .LBB239_907
; %bb.906:
	s_wait_loadcnt 0x0
	global_load_b64 v[0:1], v[4:5], off
	s_mov_b32 s6, 0
	s_mov_b32 s12, -1
	s_mov_b32 s14, 0
	s_wait_loadcnt 0x0
	v_clz_i32_u32_e32 v3, v1
	s_delay_alu instid0(VALU_DEP_1) | instskip(NEXT) | instid1(VALU_DEP_1)
	v_min_u32_e32 v3, 32, v3
	v_lshlrev_b64_e32 v[0:1], v3, v[0:1]
	s_delay_alu instid0(VALU_DEP_1) | instskip(NEXT) | instid1(VALU_DEP_1)
	v_min_u32_e32 v0, 1, v0
	v_dual_sub_nc_u32 v1, 32, v3 :: v_dual_bitop2_b32 v0, v1, v0 bitop3:0x54
	s_delay_alu instid0(VALU_DEP_1) | instskip(NEXT) | instid1(VALU_DEP_1)
	v_cvt_f32_u32_e32 v0, v0
	v_ldexp_f32 v0, v0, v1
	s_delay_alu instid0(VALU_DEP_1) | instskip(NEXT) | instid1(VALU_DEP_1)
	v_bfe_u32 v1, v0, 16, 1
	v_add3_u32 v0, v0, v1, 0x7fff
	s_delay_alu instid0(VALU_DEP_1)
	v_lshrrev_b32_e32 v6, 16, v0
	s_branch .LBB239_909
.LBB239_907:
	s_mov_b32 s6, -1
                                        ; implicit-def: $vgpr6
.LBB239_908:
	s_mov_b32 s14, 0
.LBB239_909:
	s_delay_alu instid0(SALU_CYCLE_1)
	s_and_b32 vcc_lo, exec_lo, s14
	s_cbranch_vccz .LBB239_927
; %bb.910:
	s_cmp_lt_i32 s1, 27
	s_cbranch_scc1 .LBB239_913
; %bb.911:
	s_cmp_gt_i32 s1, 27
	s_cbranch_scc0 .LBB239_914
; %bb.912:
	global_load_b32 v0, v[4:5], off
	s_mov_b32 s12, 0
	s_wait_loadcnt 0x0
	v_cvt_f32_u32_e32 v0, v0
	s_delay_alu instid0(VALU_DEP_1) | instskip(NEXT) | instid1(VALU_DEP_1)
	v_bfe_u32 v1, v0, 16, 1
	v_add3_u32 v0, v0, v1, 0x7fff
	s_delay_alu instid0(VALU_DEP_1)
	v_lshrrev_b32_e32 v6, 16, v0
	s_branch .LBB239_915
.LBB239_913:
	s_mov_b32 s12, -1
                                        ; implicit-def: $vgpr6
	s_branch .LBB239_918
.LBB239_914:
	s_mov_b32 s12, -1
                                        ; implicit-def: $vgpr6
.LBB239_915:
	s_delay_alu instid0(SALU_CYCLE_1)
	s_and_not1_b32 vcc_lo, exec_lo, s12
	s_cbranch_vccnz .LBB239_917
; %bb.916:
	global_load_u16 v0, v[4:5], off
	s_wait_loadcnt 0x0
	v_cvt_f32_u32_e32 v0, v0
	s_delay_alu instid0(VALU_DEP_1) | instskip(NEXT) | instid1(VALU_DEP_1)
	v_bfe_u32 v1, v0, 16, 1
	v_add3_u32 v0, v0, v1, 0x7fff
	s_delay_alu instid0(VALU_DEP_1)
	v_lshrrev_b32_e32 v6, 16, v0
.LBB239_917:
	s_mov_b32 s12, 0
.LBB239_918:
	s_delay_alu instid0(SALU_CYCLE_1)
	s_and_not1_b32 vcc_lo, exec_lo, s12
	s_cbranch_vccnz .LBB239_926
; %bb.919:
	global_load_u8 v0, v[4:5], off
	s_mov_b32 s12, 0
	s_mov_b32 s14, exec_lo
	s_wait_loadcnt 0x0
	v_cmpx_lt_i16_e32 0x7f, v0
	s_xor_b32 s14, exec_lo, s14
	s_cbranch_execz .LBB239_940
; %bb.920:
	s_mov_b32 s12, -1
	s_mov_b32 s15, exec_lo
	v_cmpx_eq_u16_e32 0x80, v0
; %bb.921:
	s_xor_b32 s12, exec_lo, -1
; %bb.922:
	s_or_b32 exec_lo, exec_lo, s15
	s_delay_alu instid0(SALU_CYCLE_1)
	s_and_b32 s12, s12, exec_lo
	s_or_saveexec_b32 s14, s14
	v_mov_b32_e32 v1, 0x7f800001
	s_xor_b32 exec_lo, exec_lo, s14
	s_cbranch_execnz .LBB239_941
.LBB239_923:
	s_or_b32 exec_lo, exec_lo, s14
	s_and_saveexec_b32 s14, s12
	s_cbranch_execz .LBB239_925
.LBB239_924:
	v_and_b32_e32 v1, 0xffff, v0
	s_delay_alu instid0(VALU_DEP_1) | instskip(SKIP_1) | instid1(VALU_DEP_2)
	v_and_b32_e32 v3, 7, v1
	v_bfe_u32 v8, v1, 3, 4
	v_clz_i32_u32_e32 v6, v3
	s_delay_alu instid0(VALU_DEP_2) | instskip(NEXT) | instid1(VALU_DEP_2)
	v_cmp_eq_u32_e32 vcc_lo, 0, v8
	v_min_u32_e32 v6, 32, v6
	s_delay_alu instid0(VALU_DEP_1) | instskip(NEXT) | instid1(VALU_DEP_1)
	v_subrev_nc_u32_e32 v7, 28, v6
	v_dual_lshlrev_b32 v1, v7, v1 :: v_dual_sub_nc_u32 v6, 29, v6
	s_delay_alu instid0(VALU_DEP_1) | instskip(NEXT) | instid1(VALU_DEP_1)
	v_dual_lshlrev_b32 v0, 24, v0 :: v_dual_bitop2_b32 v1, 7, v1 bitop3:0x40
	v_dual_cndmask_b32 v6, v8, v6 :: v_dual_cndmask_b32 v1, v3, v1
	s_delay_alu instid0(VALU_DEP_2) | instskip(NEXT) | instid1(VALU_DEP_2)
	v_and_b32_e32 v0, 0x80000000, v0
	v_lshl_add_u32 v3, v6, 23, 0x3b800000
	s_delay_alu instid0(VALU_DEP_3) | instskip(NEXT) | instid1(VALU_DEP_1)
	v_lshlrev_b32_e32 v1, 20, v1
	v_or3_b32 v1, v0, v3, v1
.LBB239_925:
	s_or_b32 exec_lo, exec_lo, s14
	s_delay_alu instid0(VALU_DEP_1) | instskip(SKIP_1) | instid1(VALU_DEP_2)
	v_bfe_u32 v0, v1, 16, 1
	v_cmp_o_f32_e32 vcc_lo, v1, v1
	v_add3_u32 v0, v1, v0, 0x7fff
	s_delay_alu instid0(VALU_DEP_1) | instskip(NEXT) | instid1(VALU_DEP_1)
	v_lshrrev_b32_e32 v0, 16, v0
	v_cndmask_b32_e32 v6, 0x7fc0, v0, vcc_lo
.LBB239_926:
	s_mov_b32 s12, -1
.LBB239_927:
	s_mov_b32 s14, 0
.LBB239_928:
	s_delay_alu instid0(SALU_CYCLE_1)
	s_and_b32 vcc_lo, exec_lo, s14
	s_cbranch_vccz .LBB239_961
; %bb.929:
	s_cmp_gt_i32 s1, 22
	s_cbranch_scc0 .LBB239_939
; %bb.930:
	s_cmp_lt_i32 s1, 24
	s_cbranch_scc1 .LBB239_942
; %bb.931:
	s_cmp_gt_i32 s1, 24
	s_cbranch_scc0 .LBB239_943
; %bb.932:
	global_load_u8 v0, v[4:5], off
	s_mov_b32 s12, exec_lo
	s_wait_loadcnt 0x0
	v_cmpx_lt_i16_e32 0x7f, v0
	s_xor_b32 s12, exec_lo, s12
	s_cbranch_execz .LBB239_955
; %bb.933:
	s_mov_b32 s7, -1
	s_mov_b32 s14, exec_lo
	v_cmpx_eq_u16_e32 0x80, v0
; %bb.934:
	s_xor_b32 s7, exec_lo, -1
; %bb.935:
	s_or_b32 exec_lo, exec_lo, s14
	s_delay_alu instid0(SALU_CYCLE_1)
	s_and_b32 s7, s7, exec_lo
	s_or_saveexec_b32 s12, s12
	v_mov_b32_e32 v1, 0x7f800001
	s_xor_b32 exec_lo, exec_lo, s12
	s_cbranch_execnz .LBB239_956
.LBB239_936:
	s_or_b32 exec_lo, exec_lo, s12
	s_and_saveexec_b32 s12, s7
	s_cbranch_execz .LBB239_938
.LBB239_937:
	v_and_b32_e32 v1, 0xffff, v0
	s_delay_alu instid0(VALU_DEP_1) | instskip(SKIP_1) | instid1(VALU_DEP_2)
	v_and_b32_e32 v3, 3, v1
	v_bfe_u32 v8, v1, 2, 5
	v_clz_i32_u32_e32 v6, v3
	s_delay_alu instid0(VALU_DEP_2) | instskip(NEXT) | instid1(VALU_DEP_2)
	v_cmp_eq_u32_e32 vcc_lo, 0, v8
	v_min_u32_e32 v6, 32, v6
	s_delay_alu instid0(VALU_DEP_1) | instskip(NEXT) | instid1(VALU_DEP_1)
	v_subrev_nc_u32_e32 v7, 29, v6
	v_dual_lshlrev_b32 v1, v7, v1 :: v_dual_sub_nc_u32 v6, 30, v6
	s_delay_alu instid0(VALU_DEP_1) | instskip(NEXT) | instid1(VALU_DEP_1)
	v_dual_lshlrev_b32 v0, 24, v0 :: v_dual_bitop2_b32 v1, 3, v1 bitop3:0x40
	v_dual_cndmask_b32 v6, v8, v6 :: v_dual_cndmask_b32 v1, v3, v1
	s_delay_alu instid0(VALU_DEP_2) | instskip(NEXT) | instid1(VALU_DEP_2)
	v_and_b32_e32 v0, 0x80000000, v0
	v_lshl_add_u32 v3, v6, 23, 0x37800000
	s_delay_alu instid0(VALU_DEP_3) | instskip(NEXT) | instid1(VALU_DEP_1)
	v_lshlrev_b32_e32 v1, 21, v1
	v_or3_b32 v1, v0, v3, v1
.LBB239_938:
	s_or_b32 exec_lo, exec_lo, s12
	s_delay_alu instid0(VALU_DEP_1) | instskip(SKIP_2) | instid1(VALU_DEP_2)
	v_bfe_u32 v0, v1, 16, 1
	v_cmp_o_f32_e32 vcc_lo, v1, v1
	s_mov_b32 s7, 0
	v_add3_u32 v0, v1, v0, 0x7fff
	s_delay_alu instid0(VALU_DEP_1) | instskip(NEXT) | instid1(VALU_DEP_1)
	v_lshrrev_b32_e32 v0, 16, v0
	v_cndmask_b32_e32 v6, 0x7fc0, v0, vcc_lo
	s_branch .LBB239_944
.LBB239_939:
	s_mov_b32 s7, -1
                                        ; implicit-def: $vgpr6
	s_branch .LBB239_950
.LBB239_940:
	s_or_saveexec_b32 s14, s14
	v_mov_b32_e32 v1, 0x7f800001
	s_xor_b32 exec_lo, exec_lo, s14
	s_cbranch_execz .LBB239_923
.LBB239_941:
	v_cmp_ne_u16_e32 vcc_lo, 0, v0
	v_mov_b32_e32 v1, 0
	s_and_not1_b32 s12, s12, exec_lo
	s_and_b32 s15, vcc_lo, exec_lo
	s_delay_alu instid0(SALU_CYCLE_1)
	s_or_b32 s12, s12, s15
	s_or_b32 exec_lo, exec_lo, s14
	s_and_saveexec_b32 s14, s12
	s_cbranch_execnz .LBB239_924
	s_branch .LBB239_925
.LBB239_942:
	s_mov_b32 s7, -1
                                        ; implicit-def: $vgpr6
	s_branch .LBB239_947
.LBB239_943:
	s_mov_b32 s7, -1
                                        ; implicit-def: $vgpr6
.LBB239_944:
	s_delay_alu instid0(SALU_CYCLE_1)
	s_and_b32 vcc_lo, exec_lo, s7
	s_cbranch_vccz .LBB239_946
; %bb.945:
	global_load_u8 v0, v[4:5], off
	s_wait_loadcnt 0x0
	v_lshlrev_b32_e32 v0, 24, v0
	s_delay_alu instid0(VALU_DEP_1) | instskip(NEXT) | instid1(VALU_DEP_1)
	v_and_b32_e32 v1, 0x7f000000, v0
	v_clz_i32_u32_e32 v3, v1
	v_add_nc_u32_e32 v7, 0x1000000, v1
	v_cmp_ne_u32_e32 vcc_lo, 0, v1
	s_delay_alu instid0(VALU_DEP_3) | instskip(NEXT) | instid1(VALU_DEP_1)
	v_min_u32_e32 v3, 32, v3
	v_sub_nc_u32_e64 v3, v3, 4 clamp
	s_delay_alu instid0(VALU_DEP_1) | instskip(NEXT) | instid1(VALU_DEP_1)
	v_dual_lshlrev_b32 v6, v3, v1 :: v_dual_lshlrev_b32 v3, 23, v3
	v_lshrrev_b32_e32 v6, 4, v6
	s_delay_alu instid0(VALU_DEP_1) | instskip(SKIP_1) | instid1(VALU_DEP_2)
	v_sub_nc_u32_e32 v3, v6, v3
	v_ashrrev_i32_e32 v6, 8, v7
	v_add_nc_u32_e32 v3, 0x3c000000, v3
	s_delay_alu instid0(VALU_DEP_1) | instskip(NEXT) | instid1(VALU_DEP_1)
	v_and_or_b32 v3, 0x7f800000, v6, v3
	v_cndmask_b32_e32 v1, 0, v3, vcc_lo
	s_delay_alu instid0(VALU_DEP_1) | instskip(SKIP_1) | instid1(VALU_DEP_2)
	v_and_or_b32 v0, 0x80000000, v0, v1
	v_bfe_u32 v1, v1, 16, 1
	v_cmp_o_f32_e32 vcc_lo, v0, v0
	s_delay_alu instid0(VALU_DEP_2) | instskip(NEXT) | instid1(VALU_DEP_1)
	v_add3_u32 v1, v0, v1, 0x7fff
	v_lshrrev_b32_e32 v1, 16, v1
	s_delay_alu instid0(VALU_DEP_1)
	v_cndmask_b32_e32 v6, 0x7fc0, v1, vcc_lo
.LBB239_946:
	s_mov_b32 s7, 0
.LBB239_947:
	s_delay_alu instid0(SALU_CYCLE_1)
	s_and_not1_b32 vcc_lo, exec_lo, s7
	s_cbranch_vccnz .LBB239_949
; %bb.948:
	global_load_u8 v0, v[4:5], off
	s_wait_loadcnt 0x0
	v_lshlrev_b32_e32 v1, 25, v0
	v_lshlrev_b16 v0, 8, v0
	s_delay_alu instid0(VALU_DEP_1) | instskip(SKIP_1) | instid1(VALU_DEP_2)
	v_and_or_b32 v6, 0x7f00, v0, 0.5
	v_bfe_i32 v0, v0, 0, 16
	v_dual_add_f32 v6, -0.5, v6 :: v_dual_lshrrev_b32 v3, 4, v1
	v_cmp_gt_u32_e32 vcc_lo, 0x8000000, v1
	s_delay_alu instid0(VALU_DEP_2) | instskip(NEXT) | instid1(VALU_DEP_1)
	v_or_b32_e32 v3, 0x70000000, v3
	v_mul_f32_e32 v3, 0x7800000, v3
	s_delay_alu instid0(VALU_DEP_1) | instskip(NEXT) | instid1(VALU_DEP_1)
	v_cndmask_b32_e32 v1, v3, v6, vcc_lo
	v_and_or_b32 v0, 0x80000000, v0, v1
	v_bfe_u32 v1, v1, 16, 1
	s_delay_alu instid0(VALU_DEP_2) | instskip(NEXT) | instid1(VALU_DEP_2)
	v_cmp_o_f32_e32 vcc_lo, v0, v0
	v_add3_u32 v1, v0, v1, 0x7fff
	s_delay_alu instid0(VALU_DEP_1) | instskip(NEXT) | instid1(VALU_DEP_1)
	v_lshrrev_b32_e32 v1, 16, v1
	v_cndmask_b32_e32 v6, 0x7fc0, v1, vcc_lo
.LBB239_949:
	s_mov_b32 s7, 0
	s_mov_b32 s12, -1
.LBB239_950:
	s_and_not1_b32 vcc_lo, exec_lo, s7
	s_mov_b32 s7, 0
	s_cbranch_vccnz .LBB239_961
; %bb.951:
	s_cmp_gt_i32 s1, 14
	s_cbranch_scc0 .LBB239_954
; %bb.952:
	s_cmp_eq_u32 s1, 15
	s_cbranch_scc0 .LBB239_957
; %bb.953:
	s_wait_loadcnt 0x0
	global_load_u16 v6, v[4:5], off
	s_mov_b32 s6, 0
	s_mov_b32 s12, -1
	s_branch .LBB239_959
.LBB239_954:
	s_mov_b32 s7, -1
	s_branch .LBB239_958
.LBB239_955:
	s_or_saveexec_b32 s12, s12
	v_mov_b32_e32 v1, 0x7f800001
	s_xor_b32 exec_lo, exec_lo, s12
	s_cbranch_execz .LBB239_936
.LBB239_956:
	v_cmp_ne_u16_e32 vcc_lo, 0, v0
	v_mov_b32_e32 v1, 0
	s_and_not1_b32 s7, s7, exec_lo
	s_and_b32 s14, vcc_lo, exec_lo
	s_delay_alu instid0(SALU_CYCLE_1)
	s_or_b32 s7, s7, s14
	s_or_b32 exec_lo, exec_lo, s12
	s_and_saveexec_b32 s12, s7
	s_cbranch_execnz .LBB239_937
	s_branch .LBB239_938
.LBB239_957:
	s_mov_b32 s6, -1
.LBB239_958:
                                        ; implicit-def: $vgpr6
.LBB239_959:
	s_and_b32 vcc_lo, exec_lo, s7
	s_mov_b32 s7, 0
	s_cbranch_vccz .LBB239_961
; %bb.960:
	s_cmp_lg_u32 s1, 11
	s_mov_b32 s7, -1
	s_cselect_b32 s1, -1, 0
	s_and_not1_b32 s6, s6, exec_lo
	s_and_b32 s1, s1, exec_lo
	s_delay_alu instid0(SALU_CYCLE_1)
	s_or_b32 s6, s6, s1
.LBB239_961:
	s_mov_b32 s1, 0
.LBB239_962:
	s_delay_alu instid0(SALU_CYCLE_1)
	s_and_b32 s26, s1, exec_lo
	s_and_not1_b32 s1, s0, exec_lo
	s_and_b32 s6, s6, exec_lo
	s_and_b32 s28, s12, exec_lo
	;; [unrolled: 1-line block ×3, first 2 shown]
	s_or_b32 s29, s1, s6
.LBB239_963:
	s_wait_xcnt 0x0
	s_or_b32 exec_lo, exec_lo, s39
	s_delay_alu instid0(SALU_CYCLE_1)
	s_and_not1_b32 s0, s0, exec_lo
	s_and_b32 s1, s29, exec_lo
	s_and_b32 s28, s28, exec_lo
	;; [unrolled: 1-line block ×4, first 2 shown]
	s_or_b32 s0, s0, s1
.LBB239_964:
	s_or_b32 exec_lo, exec_lo, s31
	s_delay_alu instid0(SALU_CYCLE_1)
	s_and_not1_b32 s1, s46, exec_lo
	s_and_b32 s6, s30, exec_lo
	s_and_b32 s0, s0, exec_lo
	s_or_b32 s46, s1, s6
	s_and_not1_b32 s1, s45, exec_lo
	s_and_b32 s28, s28, exec_lo
	s_and_b32 s26, s26, exec_lo
	;; [unrolled: 1-line block ×3, first 2 shown]
	s_or_b32 s45, s1, s0
.LBB239_965:
	s_or_b32 exec_lo, exec_lo, s47
	s_delay_alu instid0(SALU_CYCLE_1)
	s_and_not1_b32 s0, s42, exec_lo
	s_and_b32 s1, s46, exec_lo
	s_and_b32 s6, s45, exec_lo
	s_or_b32 s42, s0, s1
	s_and_not1_b32 s1, s43, exec_lo
	s_and_b32 s0, s28, exec_lo
	s_and_b32 s26, s26, exec_lo
	;; [unrolled: 1-line block ×3, first 2 shown]
	s_or_b32 s43, s1, s6
	s_or_b32 exec_lo, exec_lo, s44
	s_mov_b32 s1, 0
	s_and_saveexec_b32 s6, s43
	s_cbranch_execz .LBB239_288
.LBB239_966:
	s_mov_b32 s1, exec_lo
	s_and_not1_b32 s21, s21, exec_lo
	s_trap 2
	s_or_b32 exec_lo, exec_lo, s6
	s_and_saveexec_b32 s6, s21
	s_delay_alu instid0(SALU_CYCLE_1)
	s_xor_b32 s6, exec_lo, s6
	s_cbranch_execnz .LBB239_289
.LBB239_967:
	s_or_b32 exec_lo, exec_lo, s6
	s_and_saveexec_b32 s6, s26
	s_cbranch_execz .LBB239_1013
.LBB239_968:
	s_sext_i32_i16 s7, s13
	s_delay_alu instid0(SALU_CYCLE_1)
	s_cmp_lt_i32 s7, 5
	s_cbranch_scc1 .LBB239_973
; %bb.969:
	s_cmp_lt_i32 s7, 8
	s_cbranch_scc1 .LBB239_974
; %bb.970:
	;; [unrolled: 3-line block ×3, first 2 shown]
	s_cmp_gt_i32 s7, 9
	s_cbranch_scc0 .LBB239_976
; %bb.972:
	s_wait_loadcnt 0x0
	global_load_b64 v[0:1], v[4:5], off
	s_mov_b32 s7, 0
	s_wait_loadcnt 0x0
	v_cvt_f32_f64_e32 v0, v[0:1]
	s_delay_alu instid0(VALU_DEP_1) | instskip(SKIP_1) | instid1(VALU_DEP_2)
	v_bfe_u32 v1, v0, 16, 1
	v_cmp_o_f32_e32 vcc_lo, v0, v0
	v_add3_u32 v1, v0, v1, 0x7fff
	s_delay_alu instid0(VALU_DEP_1) | instskip(NEXT) | instid1(VALU_DEP_1)
	v_lshrrev_b32_e32 v1, 16, v1
	v_cndmask_b32_e32 v6, 0x7fc0, v1, vcc_lo
	s_branch .LBB239_977
.LBB239_973:
                                        ; implicit-def: $vgpr6
	s_branch .LBB239_994
.LBB239_974:
                                        ; implicit-def: $vgpr6
	s_branch .LBB239_983
.LBB239_975:
	s_mov_b32 s7, -1
                                        ; implicit-def: $vgpr6
	s_branch .LBB239_980
.LBB239_976:
	s_mov_b32 s7, -1
                                        ; implicit-def: $vgpr6
.LBB239_977:
	s_delay_alu instid0(SALU_CYCLE_1)
	s_and_not1_b32 vcc_lo, exec_lo, s7
	s_cbranch_vccnz .LBB239_979
; %bb.978:
	global_load_b32 v0, v[4:5], off
	s_wait_loadcnt 0x0
	v_bfe_u32 v1, v0, 16, 1
	v_cmp_o_f32_e32 vcc_lo, v0, v0
	s_delay_alu instid0(VALU_DEP_2) | instskip(NEXT) | instid1(VALU_DEP_1)
	v_add3_u32 v1, v0, v1, 0x7fff
	v_lshrrev_b32_e32 v1, 16, v1
	s_delay_alu instid0(VALU_DEP_1)
	v_cndmask_b32_e32 v6, 0x7fc0, v1, vcc_lo
.LBB239_979:
	s_mov_b32 s7, 0
.LBB239_980:
	s_delay_alu instid0(SALU_CYCLE_1)
	s_and_not1_b32 vcc_lo, exec_lo, s7
	s_cbranch_vccnz .LBB239_982
; %bb.981:
	global_load_b32 v0, v[4:5], off
	s_wait_loadcnt 0x0
	v_cvt_f32_f16_e32 v1, v0
	v_cmp_o_f16_e32 vcc_lo, v0, v0
	s_delay_alu instid0(VALU_DEP_2) | instskip(NEXT) | instid1(VALU_DEP_1)
	v_bfe_u32 v3, v1, 16, 1
	v_add3_u32 v1, v1, v3, 0x7fff
	s_delay_alu instid0(VALU_DEP_1) | instskip(NEXT) | instid1(VALU_DEP_1)
	v_lshrrev_b32_e32 v1, 16, v1
	v_cndmask_b32_e32 v6, 0x7fc0, v1, vcc_lo
.LBB239_982:
	s_cbranch_execnz .LBB239_993
.LBB239_983:
	s_sext_i32_i16 s7, s13
	s_delay_alu instid0(SALU_CYCLE_1)
	s_cmp_lt_i32 s7, 6
	s_cbranch_scc1 .LBB239_986
; %bb.984:
	s_cmp_gt_i32 s7, 6
	s_cbranch_scc0 .LBB239_987
; %bb.985:
	s_wait_loadcnt 0x0
	global_load_b64 v[0:1], v[4:5], off
	s_mov_b32 s7, 0
	s_wait_loadcnt 0x0
	v_cvt_f32_f64_e32 v0, v[0:1]
	s_delay_alu instid0(VALU_DEP_1) | instskip(SKIP_1) | instid1(VALU_DEP_2)
	v_bfe_u32 v1, v0, 16, 1
	v_cmp_o_f32_e32 vcc_lo, v0, v0
	v_add3_u32 v1, v0, v1, 0x7fff
	s_delay_alu instid0(VALU_DEP_1) | instskip(NEXT) | instid1(VALU_DEP_1)
	v_lshrrev_b32_e32 v1, 16, v1
	v_cndmask_b32_e32 v6, 0x7fc0, v1, vcc_lo
	s_branch .LBB239_988
.LBB239_986:
	s_mov_b32 s7, -1
                                        ; implicit-def: $vgpr6
	s_branch .LBB239_991
.LBB239_987:
	s_mov_b32 s7, -1
                                        ; implicit-def: $vgpr6
.LBB239_988:
	s_delay_alu instid0(SALU_CYCLE_1)
	s_and_not1_b32 vcc_lo, exec_lo, s7
	s_cbranch_vccnz .LBB239_990
; %bb.989:
	global_load_b32 v0, v[4:5], off
	s_wait_loadcnt 0x0
	v_bfe_u32 v1, v0, 16, 1
	v_cmp_o_f32_e32 vcc_lo, v0, v0
	s_delay_alu instid0(VALU_DEP_2) | instskip(NEXT) | instid1(VALU_DEP_1)
	v_add3_u32 v1, v0, v1, 0x7fff
	v_lshrrev_b32_e32 v1, 16, v1
	s_delay_alu instid0(VALU_DEP_1)
	v_cndmask_b32_e32 v6, 0x7fc0, v1, vcc_lo
.LBB239_990:
	s_mov_b32 s7, 0
.LBB239_991:
	s_delay_alu instid0(SALU_CYCLE_1)
	s_and_not1_b32 vcc_lo, exec_lo, s7
	s_cbranch_vccnz .LBB239_993
; %bb.992:
	global_load_u16 v0, v[4:5], off
	s_wait_loadcnt 0x0
	v_cvt_f32_f16_e32 v1, v0
	v_cmp_o_f16_e32 vcc_lo, v0, v0
	s_delay_alu instid0(VALU_DEP_2) | instskip(NEXT) | instid1(VALU_DEP_1)
	v_bfe_u32 v3, v1, 16, 1
	v_add3_u32 v1, v1, v3, 0x7fff
	s_delay_alu instid0(VALU_DEP_1) | instskip(NEXT) | instid1(VALU_DEP_1)
	v_lshrrev_b32_e32 v1, 16, v1
	v_cndmask_b32_e32 v6, 0x7fc0, v1, vcc_lo
.LBB239_993:
	s_cbranch_execnz .LBB239_1012
.LBB239_994:
	s_sext_i32_i16 s7, s13
	s_delay_alu instid0(SALU_CYCLE_1)
	s_cmp_lt_i32 s7, 2
	s_cbranch_scc1 .LBB239_998
; %bb.995:
	s_cmp_lt_i32 s7, 3
	s_cbranch_scc1 .LBB239_999
; %bb.996:
	s_cmp_gt_i32 s7, 3
	s_cbranch_scc0 .LBB239_1000
; %bb.997:
	s_wait_loadcnt 0x0
	global_load_b64 v[0:1], v[4:5], off
	s_mov_b32 s7, 0
	s_wait_loadcnt 0x0
	v_xor_b32_e32 v3, v0, v1
	v_cls_i32_e32 v6, v1
	s_delay_alu instid0(VALU_DEP_2) | instskip(NEXT) | instid1(VALU_DEP_1)
	v_ashrrev_i32_e32 v3, 31, v3
	v_add_nc_u32_e32 v3, 32, v3
	s_delay_alu instid0(VALU_DEP_1) | instskip(NEXT) | instid1(VALU_DEP_1)
	v_add_min_u32_e64 v3, v6, -1, v3
	v_lshlrev_b64_e32 v[0:1], v3, v[0:1]
	s_delay_alu instid0(VALU_DEP_1) | instskip(NEXT) | instid1(VALU_DEP_1)
	v_min_u32_e32 v0, 1, v0
	v_dual_sub_nc_u32 v1, 32, v3 :: v_dual_bitop2_b32 v0, v1, v0 bitop3:0x54
	s_delay_alu instid0(VALU_DEP_1) | instskip(NEXT) | instid1(VALU_DEP_1)
	v_cvt_f32_i32_e32 v0, v0
	v_ldexp_f32 v0, v0, v1
	s_delay_alu instid0(VALU_DEP_1) | instskip(NEXT) | instid1(VALU_DEP_1)
	v_bfe_u32 v1, v0, 16, 1
	v_add3_u32 v0, v0, v1, 0x7fff
	s_delay_alu instid0(VALU_DEP_1)
	v_lshrrev_b32_e32 v6, 16, v0
	s_branch .LBB239_1001
.LBB239_998:
                                        ; implicit-def: $vgpr6
	s_branch .LBB239_1007
.LBB239_999:
	s_mov_b32 s7, -1
                                        ; implicit-def: $vgpr6
	s_branch .LBB239_1004
.LBB239_1000:
	s_mov_b32 s7, -1
                                        ; implicit-def: $vgpr6
.LBB239_1001:
	s_delay_alu instid0(SALU_CYCLE_1)
	s_and_not1_b32 vcc_lo, exec_lo, s7
	s_cbranch_vccnz .LBB239_1003
; %bb.1002:
	global_load_b32 v0, v[4:5], off
	s_wait_loadcnt 0x0
	v_cvt_f32_i32_e32 v0, v0
	s_delay_alu instid0(VALU_DEP_1) | instskip(NEXT) | instid1(VALU_DEP_1)
	v_bfe_u32 v1, v0, 16, 1
	v_add3_u32 v0, v0, v1, 0x7fff
	s_delay_alu instid0(VALU_DEP_1)
	v_lshrrev_b32_e32 v6, 16, v0
.LBB239_1003:
	s_mov_b32 s7, 0
.LBB239_1004:
	s_delay_alu instid0(SALU_CYCLE_1)
	s_and_not1_b32 vcc_lo, exec_lo, s7
	s_cbranch_vccnz .LBB239_1006
; %bb.1005:
	global_load_i16 v0, v[4:5], off
	s_wait_loadcnt 0x0
	v_cvt_f32_i32_e32 v0, v0
	s_delay_alu instid0(VALU_DEP_1) | instskip(NEXT) | instid1(VALU_DEP_1)
	v_bfe_u32 v1, v0, 16, 1
	v_add3_u32 v0, v0, v1, 0x7fff
	s_delay_alu instid0(VALU_DEP_1)
	v_lshrrev_b32_e32 v6, 16, v0
.LBB239_1006:
	s_cbranch_execnz .LBB239_1012
.LBB239_1007:
	s_sext_i32_i16 s7, s13
	s_delay_alu instid0(SALU_CYCLE_1)
	s_cmp_gt_i32 s7, 0
	s_mov_b32 s7, 0
	s_cbranch_scc0 .LBB239_1009
; %bb.1008:
	global_load_i8 v0, v[4:5], off
	s_wait_loadcnt 0x0
	v_cvt_f32_i32_e32 v0, v0
	s_delay_alu instid0(VALU_DEP_1) | instskip(NEXT) | instid1(VALU_DEP_1)
	v_bfe_u32 v1, v0, 16, 1
	v_add3_u32 v0, v0, v1, 0x7fff
	s_delay_alu instid0(VALU_DEP_1)
	v_lshrrev_b32_e32 v6, 16, v0
	s_branch .LBB239_1010
.LBB239_1009:
	s_mov_b32 s7, -1
                                        ; implicit-def: $vgpr6
.LBB239_1010:
	s_delay_alu instid0(SALU_CYCLE_1)
	s_and_not1_b32 vcc_lo, exec_lo, s7
	s_cbranch_vccnz .LBB239_1012
; %bb.1011:
	global_load_u8 v0, v[4:5], off
	s_wait_loadcnt 0x0
	v_cvt_f32_ubyte0_e32 v0, v0
	s_delay_alu instid0(VALU_DEP_1) | instskip(NEXT) | instid1(VALU_DEP_1)
	v_bfe_u32 v1, v0, 16, 1
	v_add3_u32 v0, v0, v1, 0x7fff
	s_delay_alu instid0(VALU_DEP_1)
	v_lshrrev_b32_e32 v6, 16, v0
.LBB239_1012:
	s_or_b32 s0, s0, exec_lo
.LBB239_1013:
	s_wait_xcnt 0x0
	s_or_b32 exec_lo, exec_lo, s6
	s_mov_b32 s13, 0
	s_mov_b32 s12, 0
                                        ; implicit-def: $sgpr6
                                        ; implicit-def: $vgpr0_vgpr1
	s_and_saveexec_b32 s7, s0
	s_cbranch_execz .LBB239_1020
; %bb.1014:
	s_wait_loadcnt 0x0
	v_lshlrev_b32_e32 v0, 16, v6
	s_mov_b32 s0, exec_lo
	s_delay_alu instid0(VALU_DEP_1)
	v_cmpx_o_f32_e32 v0, v0
	s_cbranch_execz .LBB239_1028
; %bb.1015:
	s_cmp_lt_i32 s8, 1
	s_mov_b32 s6, 0
	s_cbranch_scc1 .LBB239_1023
; %bb.1016:
	s_cmp_eq_u32 s8, 1
	s_cbranch_scc0 .LBB239_1024
; %bb.1017:
	v_max_num_f32_e64 v1, s9, s9
	v_max_num_f32_e32 v3, v0, v0
	s_delay_alu instid0(VALU_DEP_1) | instskip(NEXT) | instid1(VALU_DEP_1)
	v_min_num_f32_e32 v1, v3, v1
	v_bfe_u32 v3, v1, 16, 1
	s_delay_alu instid0(VALU_DEP_1) | instskip(NEXT) | instid1(VALU_DEP_1)
	v_add3_u32 v1, v1, v3, 0x7fff
	v_lshrrev_b32_e32 v6, 16, v1
	s_and_b32 vcc_lo, exec_lo, s13
	s_cbranch_vccnz .LBB239_1025
.LBB239_1018:
	s_and_not1_b32 vcc_lo, exec_lo, s12
	s_cbranch_vccnz .LBB239_1026
.LBB239_1019:
	v_max_num_f32_e64 v1, s9, s9
	v_max_num_f32_e32 v3, v0, v0
	v_max_num_f32_e64 v4, s10, s10
	s_delay_alu instid0(VALU_DEP_1) | instskip(NEXT) | instid1(VALU_DEP_1)
	v_maxmin_num_f32 v1, v3, v1, v4
	v_bfe_u32 v3, v1, 16, 1
	s_delay_alu instid0(VALU_DEP_1) | instskip(NEXT) | instid1(VALU_DEP_1)
	v_add3_u32 v1, v1, v3, 0x7fff
	v_lshrrev_b32_e32 v6, 16, v1
	s_cbranch_execz .LBB239_1027
	s_branch .LBB239_1028
.LBB239_1020:
	s_or_b32 exec_lo, exec_lo, s7
	s_and_saveexec_b32 s0, s42
	s_cbranch_execnz .LBB239_1105
.LBB239_1021:
	s_or_b32 exec_lo, exec_lo, s0
	s_and_saveexec_b32 s0, s13
	s_delay_alu instid0(SALU_CYCLE_1)
	s_xor_b32 s0, exec_lo, s0
	s_cbranch_execz .LBB239_1106
.LBB239_1022:
	s_wait_loadcnt 0x0
	v_and_b32_e32 v2, 0x7fff, v6
	s_delay_alu instid0(VALU_DEP_1)
	v_cmp_ne_u16_e32 vcc_lo, 0, v2
	v_cndmask_b32_e64 v2, 0, 1, vcc_lo
	global_store_b8 v[0:1], v2, off
	s_wait_xcnt 0x0
	s_or_b32 exec_lo, exec_lo, s0
	s_and_saveexec_b32 s0, s12
	s_delay_alu instid0(SALU_CYCLE_1)
	s_xor_b32 s0, exec_lo, s0
	s_cbranch_execz .LBB239_1144
	s_branch .LBB239_1107
.LBB239_1023:
                                        ; implicit-def: $vgpr6
	s_cbranch_execnz .LBB239_1025
	s_branch .LBB239_1018
.LBB239_1024:
	s_mov_b32 s12, -1
                                        ; implicit-def: $vgpr6
	s_and_b32 vcc_lo, exec_lo, s13
	s_cbranch_vccz .LBB239_1018
.LBB239_1025:
	s_cmp_lg_u32 s8, 0
	s_mov_b32 s6, -1
	s_cselect_b32 s12, -1, 0
	s_delay_alu instid0(SALU_CYCLE_1)
	s_and_not1_b32 vcc_lo, exec_lo, s12
	s_cbranch_vccz .LBB239_1019
.LBB239_1026:
	s_and_not1_b32 vcc_lo, exec_lo, s6
	s_cbranch_vccnz .LBB239_1028
.LBB239_1027:
	v_max_num_f32_e64 v1, s9, s9
	v_max_num_f32_e32 v0, v0, v0
	s_delay_alu instid0(VALU_DEP_1) | instskip(NEXT) | instid1(VALU_DEP_1)
	v_max_num_f32_e32 v0, v0, v1
	v_bfe_u32 v1, v0, 16, 1
	s_delay_alu instid0(VALU_DEP_1) | instskip(NEXT) | instid1(VALU_DEP_1)
	v_add3_u32 v0, v0, v1, 0x7fff
	v_lshrrev_b32_e32 v6, 16, v0
.LBB239_1028:
	s_or_b32 exec_lo, exec_lo, s0
	v_mov_b32_e32 v3, 0
	s_and_b32 s6, s11, 0xff
	s_delay_alu instid0(SALU_CYCLE_1) | instskip(NEXT) | instid1(VALU_DEP_1)
	s_cmp_lt_i32 s6, 11
	v_add_nc_u64_e32 v[0:1], s[4:5], v[2:3]
	s_cbranch_scc1 .LBB239_1035
; %bb.1029:
	s_and_b32 s4, 0xffff, s6
	s_mov_b32 s5, -1
	s_cmp_gt_i32 s4, 25
	s_mov_b32 s0, s42
	s_cbranch_scc0 .LBB239_1063
; %bb.1030:
	s_cmp_gt_i32 s4, 28
	s_mov_b32 s0, s42
	s_cbranch_scc0 .LBB239_1047
; %bb.1031:
	;; [unrolled: 4-line block ×4, first 2 shown]
	s_cmp_eq_u32 s4, 46
	s_mov_b32 s0, -1
	s_cbranch_scc0 .LBB239_1036
; %bb.1034:
	v_and_b32_e32 v2, 0xffff, v6
	s_mov_b32 s0, 0
	s_mov_b32 s5, 0
	global_store_b32 v[0:1], v2, off
	s_branch .LBB239_1037
.LBB239_1035:
	s_mov_b32 s8, 0
	s_mov_b32 s5, -1
	s_mov_b32 s0, s42
	s_branch .LBB239_1104
.LBB239_1036:
	s_mov_b32 s5, 0
.LBB239_1037:
	s_delay_alu instid0(SALU_CYCLE_1)
	s_and_b32 vcc_lo, exec_lo, s5
	s_cbranch_vccz .LBB239_1042
; %bb.1038:
	s_cmp_eq_u32 s4, 44
	s_mov_b32 s0, -1
	s_cbranch_scc0 .LBB239_1042
; %bb.1039:
	s_wait_xcnt 0x0
	v_and_b32_e32 v2, 0xffff, v6
	v_mov_b32_e32 v3, 0xff
	s_mov_b32 s5, exec_lo
	s_delay_alu instid0(VALU_DEP_2) | instskip(NEXT) | instid1(VALU_DEP_1)
	v_bfe_u32 v4, v2, 7, 8
	v_cmpx_ne_u32_e32 0xff, v4
	s_cbranch_execz .LBB239_1041
; %bb.1040:
	v_dual_lshlrev_b32 v3, 16, v2 :: v_dual_bitop2_b32 v5, 64, v2 bitop3:0x40
	v_lshrrev_b32_e32 v2, 7, v2
	s_delay_alu instid0(VALU_DEP_2) | instskip(NEXT) | instid1(VALU_DEP_3)
	v_and_or_b32 v3, 0x3f0000, v3, v4
	v_cmp_ne_u32_e32 vcc_lo, 0, v5
	s_delay_alu instid0(VALU_DEP_2) | instskip(SKIP_1) | instid1(SALU_CYCLE_1)
	v_cmp_ne_u32_e64 s0, 0, v3
	s_and_b32 s0, vcc_lo, s0
	v_cndmask_b32_e64 v3, 0, 1, s0
	s_delay_alu instid0(VALU_DEP_1)
	v_add_nc_u32_e32 v3, v2, v3
.LBB239_1041:
	s_or_b32 exec_lo, exec_lo, s5
	s_mov_b32 s0, 0
	global_store_b8 v[0:1], v3, off
.LBB239_1042:
	s_mov_b32 s5, 0
.LBB239_1043:
	s_delay_alu instid0(SALU_CYCLE_1)
	s_and_b32 vcc_lo, exec_lo, s5
	s_cbranch_vccz .LBB239_1046
; %bb.1044:
	s_cmp_eq_u32 s4, 29
	s_mov_b32 s0, -1
	s_cbranch_scc0 .LBB239_1046
; %bb.1045:
	s_wait_xcnt 0x0
	v_lshlrev_b32_e32 v2, 16, v6
	s_mov_b32 s0, 0
	s_mov_b32 s5, 0
	s_delay_alu instid0(VALU_DEP_1) | instskip(NEXT) | instid1(VALU_DEP_1)
	v_trunc_f32_e32 v2, v2
	v_mul_f32_e32 v3, 0x2f800000, v2
	s_delay_alu instid0(VALU_DEP_1) | instskip(NEXT) | instid1(VALU_DEP_1)
	v_floor_f32_e32 v3, v3
	v_fmamk_f32 v2, v3, 0xcf800000, v2
	v_cvt_u32_f32_e32 v3, v3
	s_delay_alu instid0(VALU_DEP_2)
	v_cvt_u32_f32_e32 v2, v2
	global_store_b64 v[0:1], v[2:3], off
	s_branch .LBB239_1047
.LBB239_1046:
	s_mov_b32 s5, 0
.LBB239_1047:
	s_delay_alu instid0(SALU_CYCLE_1)
	s_and_b32 vcc_lo, exec_lo, s5
	s_cbranch_vccz .LBB239_1062
; %bb.1048:
	s_cmp_lt_i32 s4, 27
	s_mov_b32 s5, -1
	s_cbranch_scc1 .LBB239_1054
; %bb.1049:
	s_cmp_gt_i32 s4, 27
	s_cbranch_scc0 .LBB239_1051
; %bb.1050:
	s_wait_xcnt 0x0
	v_lshlrev_b32_e32 v2, 16, v6
	s_mov_b32 s5, 0
	s_delay_alu instid0(VALU_DEP_1)
	v_cvt_u32_f32_e32 v2, v2
	global_store_b32 v[0:1], v2, off
.LBB239_1051:
	s_and_not1_b32 vcc_lo, exec_lo, s5
	s_cbranch_vccnz .LBB239_1053
; %bb.1052:
	s_wait_xcnt 0x0
	v_lshlrev_b32_e32 v2, 16, v6
	s_delay_alu instid0(VALU_DEP_1)
	v_cvt_u32_f32_e32 v2, v2
	global_store_b16 v[0:1], v2, off
.LBB239_1053:
	s_mov_b32 s5, 0
.LBB239_1054:
	s_delay_alu instid0(SALU_CYCLE_1)
	s_and_not1_b32 vcc_lo, exec_lo, s5
	s_cbranch_vccnz .LBB239_1062
; %bb.1055:
	v_dual_mov_b32 v5, 0x80 :: v_dual_lshlrev_b32 v4, 16, v6
	s_mov_b32 s5, exec_lo
	s_wait_xcnt 0x0
	s_delay_alu instid0(VALU_DEP_1) | instskip(NEXT) | instid1(VALU_DEP_1)
	v_and_b32_e32 v3, 0x7fffffff, v4
	v_cmpx_gt_u32_e32 0x43800000, v3
	s_cbranch_execz .LBB239_1061
; %bb.1056:
	v_and_b32_e32 v2, 0xffff, v6
	v_cmp_lt_u32_e32 vcc_lo, 0x3bffffff, v3
	s_mov_b32 s8, 0
                                        ; implicit-def: $vgpr3
	s_and_saveexec_b32 s9, vcc_lo
	s_delay_alu instid0(SALU_CYCLE_1)
	s_xor_b32 s9, exec_lo, s9
	s_cbranch_execz .LBB239_1219
; %bb.1057:
	v_bfe_u32 v3, v2, 4, 1
	s_mov_b32 s8, exec_lo
	s_delay_alu instid0(VALU_DEP_1) | instskip(NEXT) | instid1(VALU_DEP_1)
	v_add3_u32 v3, v4, v3, 0x487ffff
                                        ; implicit-def: $vgpr4
	v_lshrrev_b32_e32 v3, 20, v3
	s_and_not1_saveexec_b32 s9, s9
	s_cbranch_execnz .LBB239_1220
.LBB239_1058:
	s_or_b32 exec_lo, exec_lo, s9
	v_mov_b32_e32 v5, 0
	s_and_saveexec_b32 s9, s8
.LBB239_1059:
	v_lshrrev_b32_e32 v2, 8, v2
	s_delay_alu instid0(VALU_DEP_1)
	v_and_or_b32 v5, 0x80, v2, v3
.LBB239_1060:
	s_or_b32 exec_lo, exec_lo, s9
.LBB239_1061:
	s_delay_alu instid0(SALU_CYCLE_1)
	s_or_b32 exec_lo, exec_lo, s5
	global_store_b8 v[0:1], v5, off
.LBB239_1062:
	s_mov_b32 s5, 0
.LBB239_1063:
	s_delay_alu instid0(SALU_CYCLE_1)
	s_and_b32 vcc_lo, exec_lo, s5
	s_mov_b32 s5, 0
	s_cbranch_vccz .LBB239_1103
; %bb.1064:
	s_cmp_gt_i32 s4, 22
	s_mov_b32 s8, -1
	s_cbranch_scc0 .LBB239_1096
; %bb.1065:
	s_cmp_lt_i32 s4, 24
	s_cbranch_scc1 .LBB239_1085
; %bb.1066:
	s_cmp_gt_i32 s4, 24
	s_cbranch_scc0 .LBB239_1074
; %bb.1067:
	s_wait_xcnt 0x0
	v_dual_mov_b32 v5, 0x80 :: v_dual_lshlrev_b32 v4, 16, v6
	s_mov_b32 s8, exec_lo
	s_delay_alu instid0(VALU_DEP_1) | instskip(NEXT) | instid1(VALU_DEP_1)
	v_and_b32_e32 v3, 0x7fffffff, v4
	v_cmpx_gt_u32_e32 0x47800000, v3
	s_cbranch_execz .LBB239_1073
; %bb.1068:
	v_and_b32_e32 v2, 0xffff, v6
	v_cmp_lt_u32_e32 vcc_lo, 0x37ffffff, v3
	s_mov_b32 s9, 0
                                        ; implicit-def: $vgpr3
	s_and_saveexec_b32 s10, vcc_lo
	s_delay_alu instid0(SALU_CYCLE_1)
	s_xor_b32 s10, exec_lo, s10
	s_cbranch_execz .LBB239_1357
; %bb.1069:
	v_bfe_u32 v3, v2, 5, 1
	s_mov_b32 s9, exec_lo
	s_delay_alu instid0(VALU_DEP_1) | instskip(NEXT) | instid1(VALU_DEP_1)
	v_add3_u32 v3, v4, v3, 0x88fffff
                                        ; implicit-def: $vgpr4
	v_lshrrev_b32_e32 v3, 21, v3
	s_and_not1_saveexec_b32 s10, s10
	s_cbranch_execnz .LBB239_1358
.LBB239_1070:
	s_or_b32 exec_lo, exec_lo, s10
	v_mov_b32_e32 v5, 0
	s_and_saveexec_b32 s10, s9
.LBB239_1071:
	v_lshrrev_b32_e32 v2, 8, v2
	s_delay_alu instid0(VALU_DEP_1)
	v_and_or_b32 v5, 0x80, v2, v3
.LBB239_1072:
	s_or_b32 exec_lo, exec_lo, s10
.LBB239_1073:
	s_delay_alu instid0(SALU_CYCLE_1)
	s_or_b32 exec_lo, exec_lo, s8
	s_mov_b32 s8, 0
	global_store_b8 v[0:1], v5, off
.LBB239_1074:
	s_and_b32 vcc_lo, exec_lo, s8
	s_cbranch_vccz .LBB239_1084
; %bb.1075:
	v_lshlrev_b32_e32 v4, 16, v6
	s_wait_xcnt 0x0
	v_and_b32_e32 v2, 0xffff, v6
	s_mov_b32 s8, exec_lo
                                        ; implicit-def: $vgpr3
	s_delay_alu instid0(VALU_DEP_2) | instskip(NEXT) | instid1(VALU_DEP_1)
	v_and_b32_e32 v5, 0x7fffffff, v4
	v_cmpx_gt_u32_e32 0x43f00000, v5
	s_xor_b32 s8, exec_lo, s8
	s_cbranch_execz .LBB239_1081
; %bb.1076:
	s_mov_b32 s9, exec_lo
                                        ; implicit-def: $vgpr3
	v_cmpx_lt_u32_e32 0x3c7fffff, v5
	s_xor_b32 s9, exec_lo, s9
; %bb.1077:
	v_bfe_u32 v3, v2, 4, 1
	s_delay_alu instid0(VALU_DEP_1) | instskip(NEXT) | instid1(VALU_DEP_1)
	v_add3_u32 v3, v4, v3, 0x407ffff
	v_and_b32_e32 v4, 0xff00000, v3
	v_lshrrev_b32_e32 v3, 20, v3
	s_delay_alu instid0(VALU_DEP_2) | instskip(NEXT) | instid1(VALU_DEP_2)
	v_cmp_ne_u32_e32 vcc_lo, 0x7f00000, v4
                                        ; implicit-def: $vgpr4
	v_cndmask_b32_e32 v3, 0x7e, v3, vcc_lo
; %bb.1078:
	s_and_not1_saveexec_b32 s9, s9
; %bb.1079:
	v_add_f32_e64 v3, 0x46800000, |v4|
; %bb.1080:
	s_or_b32 exec_lo, exec_lo, s9
                                        ; implicit-def: $vgpr5
.LBB239_1081:
	s_and_not1_saveexec_b32 s8, s8
; %bb.1082:
	v_mov_b32_e32 v3, 0x7f
	v_cmp_lt_u32_e32 vcc_lo, 0x7f800000, v5
	s_delay_alu instid0(VALU_DEP_2)
	v_cndmask_b32_e32 v3, 0x7e, v3, vcc_lo
; %bb.1083:
	s_or_b32 exec_lo, exec_lo, s8
	v_lshrrev_b32_e32 v2, 8, v2
	s_delay_alu instid0(VALU_DEP_1)
	v_and_or_b32 v2, 0x80, v2, v3
	global_store_b8 v[0:1], v2, off
.LBB239_1084:
	s_mov_b32 s8, 0
.LBB239_1085:
	s_delay_alu instid0(SALU_CYCLE_1)
	s_and_not1_b32 vcc_lo, exec_lo, s8
	s_cbranch_vccnz .LBB239_1095
; %bb.1086:
	v_lshlrev_b32_e32 v4, 16, v6
	s_wait_xcnt 0x0
	v_and_b32_e32 v2, 0xffff, v6
	s_mov_b32 s8, exec_lo
                                        ; implicit-def: $vgpr3
	s_delay_alu instid0(VALU_DEP_2) | instskip(NEXT) | instid1(VALU_DEP_1)
	v_and_b32_e32 v5, 0x7fffffff, v4
	v_cmpx_gt_u32_e32 0x47800000, v5
	s_xor_b32 s8, exec_lo, s8
	s_cbranch_execz .LBB239_1092
; %bb.1087:
	s_mov_b32 s9, exec_lo
                                        ; implicit-def: $vgpr3
	v_cmpx_lt_u32_e32 0x387fffff, v5
	s_xor_b32 s9, exec_lo, s9
; %bb.1088:
	v_bfe_u32 v3, v2, 5, 1
	s_delay_alu instid0(VALU_DEP_1) | instskip(NEXT) | instid1(VALU_DEP_1)
	v_add3_u32 v3, v4, v3, 0x80fffff
                                        ; implicit-def: $vgpr4
	v_lshrrev_b32_e32 v3, 21, v3
; %bb.1089:
	s_and_not1_saveexec_b32 s9, s9
; %bb.1090:
	v_add_f32_e64 v3, 0x43000000, |v4|
; %bb.1091:
	s_or_b32 exec_lo, exec_lo, s9
                                        ; implicit-def: $vgpr5
.LBB239_1092:
	s_and_not1_saveexec_b32 s8, s8
; %bb.1093:
	v_mov_b32_e32 v3, 0x7f
	v_cmp_lt_u32_e32 vcc_lo, 0x7f800000, v5
	s_delay_alu instid0(VALU_DEP_2)
	v_cndmask_b32_e32 v3, 0x7c, v3, vcc_lo
; %bb.1094:
	s_or_b32 exec_lo, exec_lo, s8
	v_lshrrev_b32_e32 v2, 8, v2
	s_delay_alu instid0(VALU_DEP_1)
	v_and_or_b32 v2, 0x80, v2, v3
	global_store_b8 v[0:1], v2, off
.LBB239_1095:
	s_mov_b32 s8, 0
.LBB239_1096:
	s_delay_alu instid0(SALU_CYCLE_1)
	s_and_not1_b32 vcc_lo, exec_lo, s8
	s_mov_b32 s8, 0
	s_cbranch_vccnz .LBB239_1104
; %bb.1097:
	s_cmp_gt_i32 s4, 14
	s_mov_b32 s8, -1
	s_cbranch_scc0 .LBB239_1101
; %bb.1098:
	s_cmp_eq_u32 s4, 15
	s_mov_b32 s0, -1
	s_cbranch_scc0 .LBB239_1100
; %bb.1099:
	s_mov_b32 s0, 0
	global_store_b16 v[0:1], v6, off
.LBB239_1100:
	s_mov_b32 s8, 0
.LBB239_1101:
	s_delay_alu instid0(SALU_CYCLE_1)
	s_and_b32 vcc_lo, exec_lo, s8
	s_mov_b32 s8, 0
	s_cbranch_vccz .LBB239_1104
; %bb.1102:
	s_cmp_lg_u32 s4, 11
	s_mov_b32 s8, -1
	s_cselect_b32 s4, -1, 0
	s_and_not1_b32 s0, s0, exec_lo
	s_and_b32 s4, s4, exec_lo
	s_delay_alu instid0(SALU_CYCLE_1)
	s_or_b32 s0, s0, s4
	s_branch .LBB239_1104
.LBB239_1103:
	s_mov_b32 s8, 0
.LBB239_1104:
	s_and_not1_b32 s4, s42, exec_lo
	s_and_b32 s0, s0, exec_lo
	s_and_b32 s12, s5, exec_lo
	;; [unrolled: 1-line block ×3, first 2 shown]
	s_or_b32 s42, s4, s0
	s_wait_xcnt 0x0
	s_or_b32 exec_lo, exec_lo, s7
	s_and_saveexec_b32 s0, s42
	s_cbranch_execz .LBB239_1021
.LBB239_1105:
	s_or_b32 s1, s1, exec_lo
	s_and_not1_b32 s13, s13, exec_lo
	s_trap 2
	s_or_b32 exec_lo, exec_lo, s0
	s_and_saveexec_b32 s0, s13
	s_delay_alu instid0(SALU_CYCLE_1)
	s_xor_b32 s0, exec_lo, s0
	s_cbranch_execnz .LBB239_1022
.LBB239_1106:
	s_or_b32 exec_lo, exec_lo, s0
	s_and_saveexec_b32 s0, s12
	s_delay_alu instid0(SALU_CYCLE_1)
	s_xor_b32 s0, exec_lo, s0
	s_cbranch_execz .LBB239_1144
.LBB239_1107:
	s_sext_i32_i16 s5, s6
	s_mov_b32 s4, -1
	s_cmp_lt_i32 s5, 5
	s_cbranch_scc1 .LBB239_1128
; %bb.1108:
	s_cmp_lt_i32 s5, 8
	s_cbranch_scc1 .LBB239_1118
; %bb.1109:
	;; [unrolled: 3-line block ×3, first 2 shown]
	s_cmp_gt_i32 s5, 9
	s_cbranch_scc0 .LBB239_1112
; %bb.1111:
	s_wait_loadcnt 0x0
	v_dual_lshlrev_b32 v2, 16, v6 :: v_dual_mov_b32 v4, 0
	s_mov_b32 s4, 0
	s_delay_alu instid0(VALU_DEP_1) | instskip(NEXT) | instid1(VALU_DEP_2)
	v_cvt_f64_f32_e32 v[2:3], v2
	v_mov_b32_e32 v5, v4
	global_store_b128 v[0:1], v[2:5], off
.LBB239_1112:
	s_and_not1_b32 vcc_lo, exec_lo, s4
	s_cbranch_vccnz .LBB239_1114
; %bb.1113:
	s_wait_loadcnt 0x0
	v_dual_mov_b32 v3, 0 :: v_dual_lshlrev_b32 v2, 16, v6
	global_store_b64 v[0:1], v[2:3], off
.LBB239_1114:
	s_mov_b32 s4, 0
.LBB239_1115:
	s_delay_alu instid0(SALU_CYCLE_1)
	s_and_not1_b32 vcc_lo, exec_lo, s4
	s_cbranch_vccnz .LBB239_1117
; %bb.1116:
	s_wait_loadcnt 0x0
	v_lshlrev_b32_e32 v2, 16, v6
	s_delay_alu instid0(VALU_DEP_1) | instskip(NEXT) | instid1(VALU_DEP_1)
	v_cvt_f16_f32_e32 v2, v2
	v_and_b32_e32 v2, 0xffff, v2
	global_store_b32 v[0:1], v2, off
.LBB239_1117:
	s_mov_b32 s4, 0
.LBB239_1118:
	s_delay_alu instid0(SALU_CYCLE_1)
	s_and_not1_b32 vcc_lo, exec_lo, s4
	s_cbranch_vccnz .LBB239_1127
; %bb.1119:
	s_sext_i32_i16 s5, s6
	s_mov_b32 s4, -1
	s_cmp_lt_i32 s5, 6
	s_cbranch_scc1 .LBB239_1125
; %bb.1120:
	s_cmp_gt_i32 s5, 6
	s_cbranch_scc0 .LBB239_1122
; %bb.1121:
	s_wait_loadcnt 0x0
	v_lshlrev_b32_e32 v2, 16, v6
	s_mov_b32 s4, 0
	s_delay_alu instid0(VALU_DEP_1)
	v_cvt_f64_f32_e32 v[2:3], v2
	global_store_b64 v[0:1], v[2:3], off
.LBB239_1122:
	s_and_not1_b32 vcc_lo, exec_lo, s4
	s_cbranch_vccnz .LBB239_1124
; %bb.1123:
	s_wait_loadcnt 0x0
	v_lshlrev_b32_e32 v2, 16, v6
	global_store_b32 v[0:1], v2, off
.LBB239_1124:
	s_mov_b32 s4, 0
.LBB239_1125:
	s_delay_alu instid0(SALU_CYCLE_1)
	s_and_not1_b32 vcc_lo, exec_lo, s4
	s_cbranch_vccnz .LBB239_1127
; %bb.1126:
	s_wait_loadcnt 0x0
	v_lshlrev_b32_e32 v2, 16, v6
	s_delay_alu instid0(VALU_DEP_1)
	v_cvt_f16_f32_e32 v2, v2
	global_store_b16 v[0:1], v2, off
.LBB239_1127:
	s_mov_b32 s4, 0
.LBB239_1128:
	s_delay_alu instid0(SALU_CYCLE_1)
	s_and_not1_b32 vcc_lo, exec_lo, s4
	s_cbranch_vccnz .LBB239_1144
; %bb.1129:
	s_sext_i32_i16 s5, s6
	s_mov_b32 s4, -1
	s_cmp_lt_i32 s5, 2
	s_cbranch_scc1 .LBB239_1139
; %bb.1130:
	s_cmp_lt_i32 s5, 3
	s_cbranch_scc1 .LBB239_1136
; %bb.1131:
	s_cmp_gt_i32 s5, 3
	s_cbranch_scc0 .LBB239_1133
; %bb.1132:
	s_wait_loadcnt 0x0
	v_lshlrev_b32_e32 v2, 16, v6
	s_mov_b32 s4, 0
	s_delay_alu instid0(VALU_DEP_1) | instskip(NEXT) | instid1(VALU_DEP_1)
	v_trunc_f32_e32 v2, v2
	v_mul_f32_e64 v3, 0x2f800000, |v2|
	s_delay_alu instid0(VALU_DEP_1) | instskip(NEXT) | instid1(VALU_DEP_1)
	v_floor_f32_e32 v3, v3
	v_fma_f32 v4, 0xcf800000, v3, |v2|
	v_ashrrev_i32_e32 v2, 31, v2
	v_cvt_u32_f32_e32 v5, v3
	s_delay_alu instid0(VALU_DEP_3) | instskip(NEXT) | instid1(VALU_DEP_2)
	v_cvt_u32_f32_e32 v4, v4
	v_dual_mov_b32 v3, v2 :: v_dual_bitop2_b32 v5, v5, v2 bitop3:0x14
	s_delay_alu instid0(VALU_DEP_2) | instskip(NEXT) | instid1(VALU_DEP_1)
	v_xor_b32_e32 v4, v4, v2
	v_sub_nc_u64_e32 v[2:3], v[4:5], v[2:3]
	global_store_b64 v[0:1], v[2:3], off
.LBB239_1133:
	s_and_not1_b32 vcc_lo, exec_lo, s4
	s_cbranch_vccnz .LBB239_1135
; %bb.1134:
	s_wait_loadcnt 0x0
	v_lshlrev_b32_e32 v2, 16, v6
	s_delay_alu instid0(VALU_DEP_1)
	v_cvt_i32_f32_e32 v2, v2
	global_store_b32 v[0:1], v2, off
.LBB239_1135:
	s_mov_b32 s4, 0
.LBB239_1136:
	s_delay_alu instid0(SALU_CYCLE_1)
	s_and_not1_b32 vcc_lo, exec_lo, s4
	s_cbranch_vccnz .LBB239_1138
; %bb.1137:
	s_wait_loadcnt 0x0
	v_lshlrev_b32_e32 v2, 16, v6
	s_delay_alu instid0(VALU_DEP_1)
	v_cvt_i32_f32_e32 v2, v2
	global_store_b16 v[0:1], v2, off
.LBB239_1138:
	s_mov_b32 s4, 0
.LBB239_1139:
	s_delay_alu instid0(SALU_CYCLE_1)
	s_and_not1_b32 vcc_lo, exec_lo, s4
	s_cbranch_vccnz .LBB239_1144
; %bb.1140:
	s_sext_i32_i16 s4, s6
	s_delay_alu instid0(SALU_CYCLE_1)
	s_cmp_gt_i32 s4, 0
	s_mov_b32 s4, -1
	s_cbranch_scc0 .LBB239_1142
; %bb.1141:
	s_wait_loadcnt 0x0
	v_lshlrev_b32_e32 v2, 16, v6
	s_mov_b32 s4, 0
	s_delay_alu instid0(VALU_DEP_1)
	v_cvt_i32_f32_e32 v2, v2
	global_store_b8 v[0:1], v2, off
.LBB239_1142:
	s_and_not1_b32 vcc_lo, exec_lo, s4
	s_cbranch_vccnz .LBB239_1144
; %bb.1143:
	s_wait_loadcnt 0x0
	v_lshlrev_b32_e32 v2, 16, v6
	s_delay_alu instid0(VALU_DEP_1) | instskip(NEXT) | instid1(VALU_DEP_1)
	v_trunc_f32_e32 v2, v2
	v_mul_f32_e64 v3, 0x2f800000, |v2|
	s_delay_alu instid0(VALU_DEP_1) | instskip(NEXT) | instid1(VALU_DEP_1)
	v_floor_f32_e32 v3, v3
	v_fma_f32 v3, 0xcf800000, v3, |v2|
	v_ashrrev_i32_e32 v2, 31, v2
	s_delay_alu instid0(VALU_DEP_2) | instskip(NEXT) | instid1(VALU_DEP_1)
	v_cvt_u32_f32_e32 v3, v3
	v_xor_b32_e32 v3, v3, v2
	s_delay_alu instid0(VALU_DEP_1)
	v_sub_nc_u32_e32 v2, v3, v2
	global_store_b8 v[0:1], v2, off
.LBB239_1144:
	s_wait_xcnt 0x0
	s_or_b32 exec_lo, exec_lo, s0
	s_delay_alu instid0(SALU_CYCLE_1)
	s_and_b32 s8, s1, exec_lo
                                        ; implicit-def: $vgpr9
                                        ; implicit-def: $vgpr0
.LBB239_1145:
	s_or_saveexec_b32 s9, s37
	s_mov_b32 s0, 0
                                        ; implicit-def: $vgpr2_vgpr3
                                        ; implicit-def: $sgpr1
                                        ; implicit-def: $vgpr10
	s_xor_b32 exec_lo, exec_lo, s9
	s_cbranch_execz .LBB239_1765
; %bb.1146:
	s_wait_loadcnt 0x0
	v_cndmask_b32_e64 v1, 0, 1, s36
	s_and_not1_b32 vcc_lo, exec_lo, s36
	s_cbranch_vccnz .LBB239_1152
; %bb.1147:
	s_cmp_lg_u32 s33, 0
	s_mov_b32 s10, 0
	s_cbranch_scc0 .LBB239_1153
; %bb.1148:
	s_min_u32 s1, s34, 15
	s_delay_alu instid0(SALU_CYCLE_1)
	s_add_co_i32 s1, s1, 1
	s_cmp_eq_u32 s34, 2
	s_cbranch_scc1 .LBB239_1154
; %bb.1149:
	v_dual_mov_b32 v6, 0 :: v_dual_mov_b32 v14, 0
	v_mov_b32_e32 v2, v0
	s_and_b32 s0, s1, 28
	s_add_nc_u64 s[4:5], s[2:3], 0xc4
	s_mov_b32 s11, 0
	s_mov_b64 s[6:7], s[2:3]
.LBB239_1150:                           ; =>This Inner Loop Header: Depth=1
	s_clause 0x1
	s_load_b256 s[12:19], s[6:7], 0x4
	s_load_b128 s[28:31], s[6:7], 0x24
	s_load_b256 s[20:27], s[4:5], 0x0
	s_add_co_i32 s11, s11, 4
	s_wait_xcnt 0x0
	s_add_nc_u64 s[6:7], s[6:7], 48
	s_cmp_lg_u32 s0, s11
	s_add_nc_u64 s[4:5], s[4:5], 32
	s_wait_kmcnt 0x0
	v_mul_hi_u32 v3, s13, v2
	s_delay_alu instid0(VALU_DEP_1) | instskip(NEXT) | instid1(VALU_DEP_1)
	v_add_nc_u32_e32 v3, v2, v3
	v_lshrrev_b32_e32 v3, s14, v3
	s_delay_alu instid0(VALU_DEP_1) | instskip(NEXT) | instid1(VALU_DEP_1)
	v_mul_hi_u32 v4, s16, v3
	v_add_nc_u32_e32 v4, v3, v4
	s_delay_alu instid0(VALU_DEP_1) | instskip(NEXT) | instid1(VALU_DEP_1)
	v_lshrrev_b32_e32 v4, s17, v4
	v_mul_hi_u32 v5, s19, v4
	s_delay_alu instid0(VALU_DEP_1) | instskip(SKIP_1) | instid1(VALU_DEP_1)
	v_add_nc_u32_e32 v5, v4, v5
	v_mul_lo_u32 v7, v3, s12
	v_sub_nc_u32_e32 v2, v2, v7
	v_mul_lo_u32 v7, v4, s15
	s_delay_alu instid0(VALU_DEP_4) | instskip(NEXT) | instid1(VALU_DEP_3)
	v_lshrrev_b32_e32 v5, s28, v5
	v_mad_u32 v10, v2, s21, v14
	v_mad_u32 v2, v2, s20, v6
	s_delay_alu instid0(VALU_DEP_4) | instskip(NEXT) | instid1(VALU_DEP_4)
	v_sub_nc_u32_e32 v3, v3, v7
	v_mul_hi_u32 v8, s30, v5
	v_mul_lo_u32 v6, v5, s18
	s_delay_alu instid0(VALU_DEP_1) | instskip(NEXT) | instid1(VALU_DEP_4)
	v_dual_add_nc_u32 v7, v5, v8 :: v_dual_sub_nc_u32 v4, v4, v6
	v_mad_u32 v8, v3, s23, v10
	v_mad_u32 v3, v3, s22, v2
	s_delay_alu instid0(VALU_DEP_3) | instskip(NEXT) | instid1(VALU_DEP_1)
	v_lshrrev_b32_e32 v2, s31, v7
	v_mul_lo_u32 v6, v2, s29
	s_delay_alu instid0(VALU_DEP_4) | instskip(NEXT) | instid1(VALU_DEP_4)
	v_mad_u32 v7, v4, s25, v8
	v_mad_u32 v3, v4, s24, v3
	s_delay_alu instid0(VALU_DEP_3) | instskip(NEXT) | instid1(VALU_DEP_1)
	v_sub_nc_u32_e32 v4, v5, v6
	v_mad_u32 v14, v4, s27, v7
	s_delay_alu instid0(VALU_DEP_3)
	v_mad_u32 v6, v4, s26, v3
	s_cbranch_scc1 .LBB239_1150
; %bb.1151:
	s_delay_alu instid0(VALU_DEP_2)
	v_mov_b32_e32 v7, v14
	s_and_b32 s6, s1, 3
	s_mov_b32 s1, 0
	s_cmp_eq_u32 s6, 0
	s_cbranch_scc0 .LBB239_1155
	s_branch .LBB239_1158
.LBB239_1152:
	s_mov_b32 s10, -1
                                        ; implicit-def: $vgpr14
                                        ; implicit-def: $vgpr6
	s_branch .LBB239_1158
.LBB239_1153:
	v_dual_mov_b32 v14, 0 :: v_dual_mov_b32 v6, 0
	s_branch .LBB239_1158
.LBB239_1154:
	v_mov_b64_e32 v[6:7], 0
	v_mov_b32_e32 v2, v0
                                        ; implicit-def: $vgpr14
	s_and_b32 s6, s1, 3
	s_mov_b32 s1, 0
	s_cmp_eq_u32 s6, 0
	s_cbranch_scc1 .LBB239_1158
.LBB239_1155:
	s_lshl_b32 s4, s0, 3
	s_mov_b32 s5, s1
	s_mul_u64 s[12:13], s[0:1], 12
	s_add_nc_u64 s[4:5], s[2:3], s[4:5]
	s_delay_alu instid0(SALU_CYCLE_1)
	s_add_nc_u64 s[0:1], s[4:5], 0xc4
	s_add_nc_u64 s[4:5], s[2:3], s[12:13]
.LBB239_1156:                           ; =>This Inner Loop Header: Depth=1
	s_load_b96 s[12:14], s[4:5], 0x4
	s_add_co_i32 s6, s6, -1
	s_wait_xcnt 0x0
	s_add_nc_u64 s[4:5], s[4:5], 12
	s_cmp_lg_u32 s6, 0
	s_wait_kmcnt 0x0
	v_mul_hi_u32 v3, s13, v2
	s_delay_alu instid0(VALU_DEP_1) | instskip(NEXT) | instid1(VALU_DEP_1)
	v_add_nc_u32_e32 v3, v2, v3
	v_lshrrev_b32_e32 v3, s14, v3
	s_load_b64 s[14:15], s[0:1], 0x0
	s_wait_xcnt 0x0
	s_add_nc_u64 s[0:1], s[0:1], 8
	s_delay_alu instid0(VALU_DEP_1) | instskip(NEXT) | instid1(VALU_DEP_1)
	v_mul_lo_u32 v4, v3, s12
	v_sub_nc_u32_e32 v2, v2, v4
	s_wait_kmcnt 0x0
	s_delay_alu instid0(VALU_DEP_1)
	v_mad_u32 v7, v2, s15, v7
	v_mad_u32 v6, v2, s14, v6
	v_mov_b32_e32 v2, v3
	s_cbranch_scc1 .LBB239_1156
; %bb.1157:
	s_delay_alu instid0(VALU_DEP_3)
	v_mov_b32_e32 v14, v7
.LBB239_1158:
	s_and_not1_b32 vcc_lo, exec_lo, s10
	s_cbranch_vccnz .LBB239_1161
; %bb.1159:
	s_clause 0x1
	s_load_b96 s[4:6], s[2:3], 0x4
	s_load_b64 s[0:1], s[2:3], 0xc4
	s_cmp_lt_u32 s33, 2
	s_wait_kmcnt 0x0
	v_mul_hi_u32 v2, s5, v0
	s_delay_alu instid0(VALU_DEP_1) | instskip(NEXT) | instid1(VALU_DEP_1)
	v_add_nc_u32_e32 v2, v0, v2
	v_lshrrev_b32_e32 v2, s6, v2
	s_delay_alu instid0(VALU_DEP_1) | instskip(NEXT) | instid1(VALU_DEP_1)
	v_mul_lo_u32 v3, v2, s4
	v_sub_nc_u32_e32 v3, v0, v3
	s_delay_alu instid0(VALU_DEP_1)
	v_mul_lo_u32 v14, v3, s1
	v_mul_lo_u32 v6, v3, s0
	s_cbranch_scc1 .LBB239_1161
; %bb.1160:
	s_clause 0x1
	s_load_b96 s[4:6], s[2:3], 0x10
	s_load_b64 s[0:1], s[2:3], 0xcc
	s_wait_kmcnt 0x0
	v_mul_hi_u32 v3, s5, v2
	s_delay_alu instid0(VALU_DEP_1) | instskip(NEXT) | instid1(VALU_DEP_1)
	v_add_nc_u32_e32 v3, v2, v3
	v_lshrrev_b32_e32 v3, s6, v3
	s_delay_alu instid0(VALU_DEP_1) | instskip(NEXT) | instid1(VALU_DEP_1)
	v_mul_lo_u32 v3, v3, s4
	v_sub_nc_u32_e32 v2, v2, v3
	s_delay_alu instid0(VALU_DEP_1)
	v_mad_u32 v6, v2, s0, v6
	v_mad_u32 v14, v2, s1, v14
.LBB239_1161:
	v_cmp_ne_u32_e32 vcc_lo, 1, v1
	v_add_nc_u32_e32 v2, 0x80, v0
	s_cbranch_vccnz .LBB239_1167
; %bb.1162:
	s_cmp_lg_u32 s33, 0
	s_mov_b32 s10, 0
	s_cbranch_scc0 .LBB239_1168
; %bb.1163:
	s_min_u32 s1, s34, 15
	s_delay_alu instid0(SALU_CYCLE_1)
	s_add_co_i32 s1, s1, 1
	s_cmp_eq_u32 s34, 2
	s_cbranch_scc1 .LBB239_1169
; %bb.1164:
	v_dual_mov_b32 v4, 0 :: v_dual_mov_b32 v12, 0
	v_mov_b32_e32 v3, v2
	s_and_b32 s0, s1, 28
	s_add_nc_u64 s[4:5], s[2:3], 0xc4
	s_mov_b32 s11, 0
	s_mov_b64 s[6:7], s[2:3]
.LBB239_1165:                           ; =>This Inner Loop Header: Depth=1
	s_clause 0x1
	s_load_b256 s[12:19], s[6:7], 0x4
	s_load_b128 s[28:31], s[6:7], 0x24
	s_load_b256 s[20:27], s[4:5], 0x0
	s_add_co_i32 s11, s11, 4
	s_wait_xcnt 0x0
	s_add_nc_u64 s[6:7], s[6:7], 48
	s_cmp_lg_u32 s0, s11
	s_add_nc_u64 s[4:5], s[4:5], 32
	s_wait_kmcnt 0x0
	v_mul_hi_u32 v5, s13, v3
	s_delay_alu instid0(VALU_DEP_1) | instskip(NEXT) | instid1(VALU_DEP_1)
	v_add_nc_u32_e32 v5, v3, v5
	v_lshrrev_b32_e32 v5, s14, v5
	s_delay_alu instid0(VALU_DEP_1) | instskip(NEXT) | instid1(VALU_DEP_1)
	v_mul_hi_u32 v7, s16, v5
	v_add_nc_u32_e32 v7, v5, v7
	s_delay_alu instid0(VALU_DEP_1) | instskip(NEXT) | instid1(VALU_DEP_1)
	v_lshrrev_b32_e32 v7, s17, v7
	v_mul_hi_u32 v8, s19, v7
	s_delay_alu instid0(VALU_DEP_1) | instskip(SKIP_1) | instid1(VALU_DEP_1)
	v_add_nc_u32_e32 v8, v7, v8
	v_mul_lo_u32 v10, v5, s12
	v_sub_nc_u32_e32 v3, v3, v10
	v_mul_lo_u32 v10, v7, s15
	s_delay_alu instid0(VALU_DEP_4) | instskip(NEXT) | instid1(VALU_DEP_3)
	v_lshrrev_b32_e32 v8, s28, v8
	v_mad_u32 v12, v3, s21, v12
	v_mad_u32 v3, v3, s20, v4
	s_delay_alu instid0(VALU_DEP_4) | instskip(NEXT) | instid1(VALU_DEP_4)
	v_sub_nc_u32_e32 v4, v5, v10
	v_mul_hi_u32 v11, s30, v8
	v_mul_lo_u32 v5, v8, s18
	s_delay_alu instid0(VALU_DEP_1) | instskip(NEXT) | instid1(VALU_DEP_4)
	v_dual_add_nc_u32 v10, v8, v11 :: v_dual_sub_nc_u32 v5, v7, v5
	v_mad_u32 v11, v4, s23, v12
	v_mad_u32 v4, v4, s22, v3
	s_delay_alu instid0(VALU_DEP_3) | instskip(NEXT) | instid1(VALU_DEP_1)
	v_lshrrev_b32_e32 v3, s31, v10
	v_mul_lo_u32 v7, v3, s29
	s_delay_alu instid0(VALU_DEP_4) | instskip(NEXT) | instid1(VALU_DEP_4)
	v_mad_u32 v10, v5, s25, v11
	v_mad_u32 v4, v5, s24, v4
	s_delay_alu instid0(VALU_DEP_3) | instskip(NEXT) | instid1(VALU_DEP_1)
	v_sub_nc_u32_e32 v5, v8, v7
	v_mad_u32 v12, v5, s27, v10
	s_delay_alu instid0(VALU_DEP_3)
	v_mad_u32 v4, v5, s26, v4
	s_cbranch_scc1 .LBB239_1165
; %bb.1166:
	s_delay_alu instid0(VALU_DEP_2)
	v_mov_b32_e32 v5, v12
	s_and_b32 s6, s1, 3
	s_mov_b32 s1, 0
	s_cmp_eq_u32 s6, 0
	s_cbranch_scc0 .LBB239_1170
	s_branch .LBB239_1173
.LBB239_1167:
	s_mov_b32 s10, -1
                                        ; implicit-def: $vgpr12
                                        ; implicit-def: $vgpr4
	s_branch .LBB239_1173
.LBB239_1168:
	v_dual_mov_b32 v12, 0 :: v_dual_mov_b32 v4, 0
	s_branch .LBB239_1173
.LBB239_1169:
	v_mov_b64_e32 v[4:5], 0
	v_mov_b32_e32 v3, v2
	s_mov_b32 s0, 0
                                        ; implicit-def: $vgpr12
	s_and_b32 s6, s1, 3
	s_mov_b32 s1, 0
	s_cmp_eq_u32 s6, 0
	s_cbranch_scc1 .LBB239_1173
.LBB239_1170:
	s_lshl_b32 s4, s0, 3
	s_mov_b32 s5, s1
	s_mul_u64 s[12:13], s[0:1], 12
	s_add_nc_u64 s[4:5], s[2:3], s[4:5]
	s_delay_alu instid0(SALU_CYCLE_1)
	s_add_nc_u64 s[0:1], s[4:5], 0xc4
	s_add_nc_u64 s[4:5], s[2:3], s[12:13]
.LBB239_1171:                           ; =>This Inner Loop Header: Depth=1
	s_load_b96 s[12:14], s[4:5], 0x4
	s_add_co_i32 s6, s6, -1
	s_wait_xcnt 0x0
	s_add_nc_u64 s[4:5], s[4:5], 12
	s_cmp_lg_u32 s6, 0
	s_wait_kmcnt 0x0
	v_mul_hi_u32 v7, s13, v3
	s_delay_alu instid0(VALU_DEP_1) | instskip(NEXT) | instid1(VALU_DEP_1)
	v_add_nc_u32_e32 v7, v3, v7
	v_lshrrev_b32_e32 v7, s14, v7
	s_load_b64 s[14:15], s[0:1], 0x0
	s_wait_xcnt 0x0
	s_add_nc_u64 s[0:1], s[0:1], 8
	s_delay_alu instid0(VALU_DEP_1) | instskip(NEXT) | instid1(VALU_DEP_1)
	v_mul_lo_u32 v8, v7, s12
	v_sub_nc_u32_e32 v3, v3, v8
	s_wait_kmcnt 0x0
	s_delay_alu instid0(VALU_DEP_1)
	v_mad_u32 v5, v3, s15, v5
	v_mad_u32 v4, v3, s14, v4
	v_mov_b32_e32 v3, v7
	s_cbranch_scc1 .LBB239_1171
; %bb.1172:
	s_delay_alu instid0(VALU_DEP_3)
	v_mov_b32_e32 v12, v5
.LBB239_1173:
	s_and_not1_b32 vcc_lo, exec_lo, s10
	s_cbranch_vccnz .LBB239_1176
; %bb.1174:
	s_clause 0x1
	s_load_b96 s[4:6], s[2:3], 0x4
	s_load_b64 s[0:1], s[2:3], 0xc4
	s_cmp_lt_u32 s33, 2
	s_wait_kmcnt 0x0
	v_mul_hi_u32 v3, s5, v2
	s_delay_alu instid0(VALU_DEP_1) | instskip(NEXT) | instid1(VALU_DEP_1)
	v_add_nc_u32_e32 v3, v2, v3
	v_lshrrev_b32_e32 v3, s6, v3
	s_delay_alu instid0(VALU_DEP_1) | instskip(NEXT) | instid1(VALU_DEP_1)
	v_mul_lo_u32 v4, v3, s4
	v_sub_nc_u32_e32 v2, v2, v4
	s_delay_alu instid0(VALU_DEP_1)
	v_mul_lo_u32 v12, v2, s1
	v_mul_lo_u32 v4, v2, s0
	s_cbranch_scc1 .LBB239_1176
; %bb.1175:
	s_clause 0x1
	s_load_b96 s[4:6], s[2:3], 0x10
	s_load_b64 s[0:1], s[2:3], 0xcc
	s_wait_kmcnt 0x0
	v_mul_hi_u32 v2, s5, v3
	s_delay_alu instid0(VALU_DEP_1) | instskip(NEXT) | instid1(VALU_DEP_1)
	v_add_nc_u32_e32 v2, v3, v2
	v_lshrrev_b32_e32 v2, s6, v2
	s_delay_alu instid0(VALU_DEP_1) | instskip(NEXT) | instid1(VALU_DEP_1)
	v_mul_lo_u32 v2, v2, s4
	v_sub_nc_u32_e32 v2, v3, v2
	s_delay_alu instid0(VALU_DEP_1)
	v_mad_u32 v4, v2, s0, v4
	v_mad_u32 v12, v2, s1, v12
.LBB239_1176:
	v_cmp_ne_u32_e32 vcc_lo, 1, v1
	v_add_nc_u32_e32 v0, 0x100, v0
	s_cbranch_vccnz .LBB239_1182
; %bb.1177:
	s_cmp_lg_u32 s33, 0
	s_mov_b32 s10, 0
	s_cbranch_scc0 .LBB239_1183
; %bb.1178:
	s_min_u32 s1, s34, 15
	s_delay_alu instid0(SALU_CYCLE_1)
	s_add_co_i32 s1, s1, 1
	s_cmp_eq_u32 s34, 2
	s_cbranch_scc1 .LBB239_1184
; %bb.1179:
	v_dual_mov_b32 v2, 0 :: v_dual_mov_b32 v10, 0
	v_mov_b32_e32 v5, v0
	s_and_b32 s0, s1, 28
	s_add_nc_u64 s[4:5], s[2:3], 0xc4
	s_mov_b32 s11, 0
	s_mov_b64 s[6:7], s[2:3]
.LBB239_1180:                           ; =>This Inner Loop Header: Depth=1
	s_clause 0x1
	s_load_b256 s[12:19], s[6:7], 0x4
	s_load_b128 s[28:31], s[6:7], 0x24
	s_load_b256 s[20:27], s[4:5], 0x0
	s_add_co_i32 s11, s11, 4
	s_wait_xcnt 0x0
	s_add_nc_u64 s[6:7], s[6:7], 48
	s_cmp_lg_u32 s0, s11
	s_add_nc_u64 s[4:5], s[4:5], 32
	s_wait_kmcnt 0x0
	v_mul_hi_u32 v3, s13, v5
	s_delay_alu instid0(VALU_DEP_1) | instskip(NEXT) | instid1(VALU_DEP_1)
	v_add_nc_u32_e32 v3, v5, v3
	v_lshrrev_b32_e32 v3, s14, v3
	s_delay_alu instid0(VALU_DEP_1) | instskip(NEXT) | instid1(VALU_DEP_1)
	v_mul_hi_u32 v7, s16, v3
	v_add_nc_u32_e32 v7, v3, v7
	s_delay_alu instid0(VALU_DEP_1) | instskip(NEXT) | instid1(VALU_DEP_1)
	v_lshrrev_b32_e32 v7, s17, v7
	v_mul_hi_u32 v8, s19, v7
	s_delay_alu instid0(VALU_DEP_1) | instskip(NEXT) | instid1(VALU_DEP_1)
	v_add_nc_u32_e32 v8, v7, v8
	v_lshrrev_b32_e32 v8, s28, v8
	v_mul_lo_u32 v11, v3, s12
	s_delay_alu instid0(VALU_DEP_2) | instskip(NEXT) | instid1(VALU_DEP_2)
	v_mul_hi_u32 v13, s30, v8
	v_sub_nc_u32_e32 v5, v5, v11
	s_delay_alu instid0(VALU_DEP_1) | instskip(SKIP_1) | instid1(VALU_DEP_4)
	v_mad_u32 v10, v5, s21, v10
	v_mad_u32 v2, v5, s20, v2
	v_add_nc_u32_e32 v5, v8, v13
	s_delay_alu instid0(VALU_DEP_1) | instskip(SKIP_1) | instid1(VALU_DEP_1)
	v_lshrrev_b32_e32 v5, s31, v5
	v_mul_lo_u32 v11, v7, s15
	v_sub_nc_u32_e32 v3, v3, v11
	v_mul_lo_u32 v11, v8, s18
	s_delay_alu instid0(VALU_DEP_2) | instskip(SKIP_1) | instid1(VALU_DEP_3)
	v_mad_u32 v10, v3, s23, v10
	v_mad_u32 v2, v3, s22, v2
	v_sub_nc_u32_e32 v3, v7, v11
	v_mul_lo_u32 v7, v5, s29
	s_delay_alu instid0(VALU_DEP_2) | instskip(NEXT) | instid1(VALU_DEP_4)
	v_mad_u32 v10, v3, s25, v10
	v_mad_u32 v2, v3, s24, v2
	s_delay_alu instid0(VALU_DEP_3) | instskip(NEXT) | instid1(VALU_DEP_1)
	v_sub_nc_u32_e32 v3, v8, v7
	v_mad_u32 v10, v3, s27, v10
	s_delay_alu instid0(VALU_DEP_3)
	v_mad_u32 v2, v3, s26, v2
	s_cbranch_scc1 .LBB239_1180
; %bb.1181:
	s_delay_alu instid0(VALU_DEP_2)
	v_mov_b32_e32 v3, v10
	s_and_b32 s6, s1, 3
	s_mov_b32 s1, 0
	s_cmp_eq_u32 s6, 0
	s_cbranch_scc0 .LBB239_1185
	s_branch .LBB239_1188
.LBB239_1182:
	s_mov_b32 s10, -1
                                        ; implicit-def: $vgpr10
                                        ; implicit-def: $vgpr2
	s_branch .LBB239_1188
.LBB239_1183:
	v_dual_mov_b32 v10, 0 :: v_dual_mov_b32 v2, 0
	s_branch .LBB239_1188
.LBB239_1184:
	v_mov_b64_e32 v[2:3], 0
	v_mov_b32_e32 v5, v0
	s_mov_b32 s0, 0
                                        ; implicit-def: $vgpr10
	s_and_b32 s6, s1, 3
	s_mov_b32 s1, 0
	s_cmp_eq_u32 s6, 0
	s_cbranch_scc1 .LBB239_1188
.LBB239_1185:
	s_lshl_b32 s4, s0, 3
	s_mov_b32 s5, s1
	s_mul_u64 s[12:13], s[0:1], 12
	s_add_nc_u64 s[4:5], s[2:3], s[4:5]
	s_delay_alu instid0(SALU_CYCLE_1)
	s_add_nc_u64 s[0:1], s[4:5], 0xc4
	s_add_nc_u64 s[4:5], s[2:3], s[12:13]
.LBB239_1186:                           ; =>This Inner Loop Header: Depth=1
	s_load_b96 s[12:14], s[4:5], 0x4
	s_add_co_i32 s6, s6, -1
	s_wait_xcnt 0x0
	s_add_nc_u64 s[4:5], s[4:5], 12
	s_cmp_lg_u32 s6, 0
	s_wait_kmcnt 0x0
	v_mul_hi_u32 v7, s13, v5
	s_delay_alu instid0(VALU_DEP_1) | instskip(NEXT) | instid1(VALU_DEP_1)
	v_add_nc_u32_e32 v7, v5, v7
	v_lshrrev_b32_e32 v7, s14, v7
	s_load_b64 s[14:15], s[0:1], 0x0
	s_wait_xcnt 0x0
	s_add_nc_u64 s[0:1], s[0:1], 8
	s_delay_alu instid0(VALU_DEP_1) | instskip(NEXT) | instid1(VALU_DEP_1)
	v_mul_lo_u32 v8, v7, s12
	v_sub_nc_u32_e32 v5, v5, v8
	s_wait_kmcnt 0x0
	s_delay_alu instid0(VALU_DEP_1)
	v_mad_u32 v3, v5, s15, v3
	v_mad_u32 v2, v5, s14, v2
	v_mov_b32_e32 v5, v7
	s_cbranch_scc1 .LBB239_1186
; %bb.1187:
	s_delay_alu instid0(VALU_DEP_3)
	v_mov_b32_e32 v10, v3
.LBB239_1188:
	s_and_not1_b32 vcc_lo, exec_lo, s10
	s_cbranch_vccnz .LBB239_1191
; %bb.1189:
	s_clause 0x1
	s_load_b96 s[4:6], s[2:3], 0x4
	s_load_b64 s[0:1], s[2:3], 0xc4
	s_cmp_lt_u32 s33, 2
	s_wait_kmcnt 0x0
	v_mul_hi_u32 v2, s5, v0
	s_delay_alu instid0(VALU_DEP_1) | instskip(NEXT) | instid1(VALU_DEP_1)
	v_add_nc_u32_e32 v2, v0, v2
	v_lshrrev_b32_e32 v3, s6, v2
	s_delay_alu instid0(VALU_DEP_1) | instskip(NEXT) | instid1(VALU_DEP_1)
	v_mul_lo_u32 v2, v3, s4
	v_sub_nc_u32_e32 v0, v0, v2
	s_delay_alu instid0(VALU_DEP_1)
	v_mul_lo_u32 v10, v0, s1
	v_mul_lo_u32 v2, v0, s0
	s_cbranch_scc1 .LBB239_1191
; %bb.1190:
	s_clause 0x1
	s_load_b96 s[4:6], s[2:3], 0x10
	s_load_b64 s[0:1], s[2:3], 0xcc
	s_wait_kmcnt 0x0
	v_mul_hi_u32 v0, s5, v3
	s_delay_alu instid0(VALU_DEP_1) | instskip(NEXT) | instid1(VALU_DEP_1)
	v_add_nc_u32_e32 v0, v3, v0
	v_lshrrev_b32_e32 v0, s6, v0
	s_delay_alu instid0(VALU_DEP_1) | instskip(NEXT) | instid1(VALU_DEP_1)
	v_mul_lo_u32 v0, v0, s4
	v_sub_nc_u32_e32 v0, v3, v0
	s_delay_alu instid0(VALU_DEP_1)
	v_mad_u32 v2, v0, s0, v2
	v_mad_u32 v10, v0, s1, v10
.LBB239_1191:
	v_cmp_ne_u32_e32 vcc_lo, 1, v1
	s_cbranch_vccnz .LBB239_1197
; %bb.1192:
	s_cmp_lg_u32 s33, 0
	s_mov_b32 s10, 0
	s_cbranch_scc0 .LBB239_1198
; %bb.1193:
	s_min_u32 s1, s34, 15
	s_delay_alu instid0(SALU_CYCLE_1)
	s_add_co_i32 s1, s1, 1
	s_cmp_eq_u32 s34, 2
	s_cbranch_scc1 .LBB239_1199
; %bb.1194:
	v_dual_mov_b32 v0, 0 :: v_dual_mov_b32 v8, 0
	v_mov_b32_e32 v3, v9
	s_and_b32 s0, s1, 28
	s_add_nc_u64 s[4:5], s[2:3], 0xc4
	s_mov_b32 s11, 0
	s_mov_b64 s[6:7], s[2:3]
.LBB239_1195:                           ; =>This Inner Loop Header: Depth=1
	s_clause 0x1
	s_load_b256 s[12:19], s[6:7], 0x4
	s_load_b128 s[28:31], s[6:7], 0x24
	s_load_b256 s[20:27], s[4:5], 0x0
	s_add_co_i32 s11, s11, 4
	s_wait_xcnt 0x0
	s_add_nc_u64 s[6:7], s[6:7], 48
	s_cmp_lg_u32 s0, s11
	s_add_nc_u64 s[4:5], s[4:5], 32
	s_wait_kmcnt 0x0
	v_mul_hi_u32 v1, s13, v3
	s_delay_alu instid0(VALU_DEP_1) | instskip(NEXT) | instid1(VALU_DEP_1)
	v_add_nc_u32_e32 v1, v3, v1
	v_lshrrev_b32_e32 v1, s14, v1
	s_delay_alu instid0(VALU_DEP_1) | instskip(NEXT) | instid1(VALU_DEP_1)
	v_mul_lo_u32 v11, v1, s12
	v_sub_nc_u32_e32 v3, v3, v11
	v_mul_hi_u32 v5, s16, v1
	s_delay_alu instid0(VALU_DEP_2) | instskip(SKIP_1) | instid1(VALU_DEP_3)
	v_mad_u32 v8, v3, s21, v8
	v_mad_u32 v0, v3, s20, v0
	v_add_nc_u32_e32 v5, v1, v5
	s_delay_alu instid0(VALU_DEP_1) | instskip(NEXT) | instid1(VALU_DEP_1)
	v_lshrrev_b32_e32 v5, s17, v5
	v_mul_lo_u32 v11, v5, s15
	s_delay_alu instid0(VALU_DEP_1) | instskip(SKIP_1) | instid1(VALU_DEP_2)
	v_sub_nc_u32_e32 v1, v1, v11
	v_mul_hi_u32 v7, s19, v5
	v_mad_u32 v8, v1, s23, v8
	v_mad_u32 v0, v1, s22, v0
	s_delay_alu instid0(VALU_DEP_3) | instskip(NEXT) | instid1(VALU_DEP_1)
	v_add_nc_u32_e32 v7, v5, v7
	v_lshrrev_b32_e32 v7, s28, v7
	s_delay_alu instid0(VALU_DEP_1) | instskip(SKIP_1) | instid1(VALU_DEP_1)
	v_mul_hi_u32 v13, s30, v7
	v_mul_lo_u32 v11, v7, s18
	v_dual_add_nc_u32 v3, v7, v13 :: v_dual_sub_nc_u32 v1, v5, v11
	s_delay_alu instid0(VALU_DEP_1) | instskip(NEXT) | instid1(VALU_DEP_2)
	v_lshrrev_b32_e32 v3, s31, v3
	v_mad_u32 v8, v1, s25, v8
	v_mad_u32 v0, v1, s24, v0
	s_delay_alu instid0(VALU_DEP_3) | instskip(NEXT) | instid1(VALU_DEP_1)
	v_mul_lo_u32 v5, v3, s29
	v_sub_nc_u32_e32 v1, v7, v5
	s_delay_alu instid0(VALU_DEP_1) | instskip(NEXT) | instid1(VALU_DEP_4)
	v_mad_u32 v8, v1, s27, v8
	v_mad_u32 v0, v1, s26, v0
	s_cbranch_scc1 .LBB239_1195
; %bb.1196:
	s_delay_alu instid0(VALU_DEP_2)
	v_mov_b32_e32 v1, v8
	s_and_b32 s6, s1, 3
	s_mov_b32 s1, 0
	s_cmp_eq_u32 s6, 0
	s_cbranch_scc0 .LBB239_1200
	s_branch .LBB239_1203
.LBB239_1197:
	s_mov_b32 s10, -1
                                        ; implicit-def: $vgpr8
                                        ; implicit-def: $vgpr0
	s_branch .LBB239_1203
.LBB239_1198:
	v_dual_mov_b32 v8, 0 :: v_dual_mov_b32 v0, 0
	s_branch .LBB239_1203
.LBB239_1199:
	v_mov_b64_e32 v[0:1], 0
	v_mov_b32_e32 v3, v9
	s_mov_b32 s0, 0
                                        ; implicit-def: $vgpr8
	s_and_b32 s6, s1, 3
	s_mov_b32 s1, 0
	s_cmp_eq_u32 s6, 0
	s_cbranch_scc1 .LBB239_1203
.LBB239_1200:
	s_lshl_b32 s4, s0, 3
	s_mov_b32 s5, s1
	s_mul_u64 s[12:13], s[0:1], 12
	s_add_nc_u64 s[4:5], s[2:3], s[4:5]
	s_delay_alu instid0(SALU_CYCLE_1)
	s_add_nc_u64 s[0:1], s[4:5], 0xc4
	s_add_nc_u64 s[4:5], s[2:3], s[12:13]
.LBB239_1201:                           ; =>This Inner Loop Header: Depth=1
	s_load_b96 s[12:14], s[4:5], 0x4
	s_add_co_i32 s6, s6, -1
	s_wait_xcnt 0x0
	s_add_nc_u64 s[4:5], s[4:5], 12
	s_cmp_lg_u32 s6, 0
	s_wait_kmcnt 0x0
	v_mul_hi_u32 v5, s13, v3
	s_delay_alu instid0(VALU_DEP_1) | instskip(NEXT) | instid1(VALU_DEP_1)
	v_add_nc_u32_e32 v5, v3, v5
	v_lshrrev_b32_e32 v5, s14, v5
	s_load_b64 s[14:15], s[0:1], 0x0
	s_wait_xcnt 0x0
	s_add_nc_u64 s[0:1], s[0:1], 8
	s_delay_alu instid0(VALU_DEP_1) | instskip(NEXT) | instid1(VALU_DEP_1)
	v_mul_lo_u32 v7, v5, s12
	v_sub_nc_u32_e32 v3, v3, v7
	s_wait_kmcnt 0x0
	s_delay_alu instid0(VALU_DEP_1)
	v_mad_u32 v1, v3, s15, v1
	v_mad_u32 v0, v3, s14, v0
	v_mov_b32_e32 v3, v5
	s_cbranch_scc1 .LBB239_1201
; %bb.1202:
	s_delay_alu instid0(VALU_DEP_3)
	v_mov_b32_e32 v8, v1
.LBB239_1203:
	s_and_not1_b32 vcc_lo, exec_lo, s10
	s_cbranch_vccnz .LBB239_1206
; %bb.1204:
	s_clause 0x1
	s_load_b96 s[4:6], s[2:3], 0x4
	s_load_b64 s[0:1], s[2:3], 0xc4
	s_cmp_lt_u32 s33, 2
	s_wait_kmcnt 0x0
	v_mul_hi_u32 v0, s5, v9
	s_delay_alu instid0(VALU_DEP_1) | instskip(NEXT) | instid1(VALU_DEP_1)
	v_add_nc_u32_e32 v0, v9, v0
	v_lshrrev_b32_e32 v1, s6, v0
	s_delay_alu instid0(VALU_DEP_1) | instskip(NEXT) | instid1(VALU_DEP_1)
	v_mul_lo_u32 v0, v1, s4
	v_sub_nc_u32_e32 v0, v9, v0
	s_delay_alu instid0(VALU_DEP_1)
	v_mul_lo_u32 v8, v0, s1
	v_mul_lo_u32 v0, v0, s0
	s_cbranch_scc1 .LBB239_1206
; %bb.1205:
	s_clause 0x1
	s_load_b96 s[4:6], s[2:3], 0x10
	s_load_b64 s[0:1], s[2:3], 0xcc
	s_wait_kmcnt 0x0
	v_mul_hi_u32 v3, s5, v1
	s_delay_alu instid0(VALU_DEP_1) | instskip(NEXT) | instid1(VALU_DEP_1)
	v_add_nc_u32_e32 v3, v1, v3
	v_lshrrev_b32_e32 v3, s6, v3
	s_delay_alu instid0(VALU_DEP_1) | instskip(NEXT) | instid1(VALU_DEP_1)
	v_mul_lo_u32 v3, v3, s4
	v_sub_nc_u32_e32 v1, v1, v3
	s_delay_alu instid0(VALU_DEP_1)
	v_mad_u32 v0, v1, s0, v0
	v_mad_u32 v8, v1, s1, v8
.LBB239_1206:
	v_mov_b32_e32 v15, 0
	s_load_b128 s[4:7], s[2:3], 0x148
	global_load_u8 v1, v15, s[2:3] offset:357
	s_wait_kmcnt 0x0
	v_add_nc_u64_e32 v[14:15], s[6:7], v[14:15]
	s_wait_loadcnt 0x0
	v_and_b32_e32 v3, 0xffff, v1
	v_readfirstlane_b32 s11, v1
	s_delay_alu instid0(VALU_DEP_2)
	v_cmp_gt_i32_e32 vcc_lo, 11, v3
	s_cbranch_vccnz .LBB239_1213
; %bb.1207:
	s_and_b32 s0, 0xffff, s11
	s_mov_b32 s12, 0
	s_cmp_gt_i32 s0, 25
	s_cbranch_scc0 .LBB239_1215
; %bb.1208:
	s_cmp_gt_i32 s0, 28
	s_cbranch_scc0 .LBB239_1216
; %bb.1209:
	;; [unrolled: 3-line block ×4, first 2 shown]
	s_cmp_eq_u32 s0, 46
	s_mov_b32 s10, 0
	s_cbranch_scc0 .LBB239_1221
; %bb.1212:
	global_load_b32 v1, v[14:15], off
	s_mov_b32 s1, 0
	s_mov_b32 s13, -1
	s_branch .LBB239_1223
.LBB239_1213:
	s_mov_b32 s13, 0
	s_mov_b32 s10, s8
                                        ; implicit-def: $vgpr1
	s_cbranch_execnz .LBB239_1286
.LBB239_1214:
	s_and_not1_b32 vcc_lo, exec_lo, s13
	s_cbranch_vccz .LBB239_1331
	s_branch .LBB239_1763
.LBB239_1215:
	s_mov_b32 s13, 0
	s_mov_b32 s1, 0
                                        ; implicit-def: $vgpr1
	s_cbranch_execnz .LBB239_1251
	s_branch .LBB239_1282
.LBB239_1216:
	s_mov_b32 s10, -1
	s_mov_b32 s13, 0
	s_mov_b32 s1, 0
                                        ; implicit-def: $vgpr1
	s_branch .LBB239_1232
.LBB239_1217:
	s_mov_b32 s13, 0
	s_mov_b32 s1, 0
                                        ; implicit-def: $vgpr1
	s_cbranch_execnz .LBB239_1228
	s_branch .LBB239_1231
.LBB239_1218:
	s_mov_b32 s10, -1
	s_mov_b32 s13, 0
	s_mov_b32 s1, 0
	s_branch .LBB239_1222
.LBB239_1219:
	s_and_not1_saveexec_b32 s9, s9
	s_cbranch_execz .LBB239_1058
.LBB239_1220:
	v_add_f32_e64 v3, 0x46000000, |v4|
	s_and_not1_b32 s8, s8, exec_lo
	s_delay_alu instid0(VALU_DEP_1) | instskip(NEXT) | instid1(VALU_DEP_1)
	v_and_b32_e32 v3, 0xff, v3
	v_cmp_ne_u32_e32 vcc_lo, 0, v3
	s_and_b32 s10, vcc_lo, exec_lo
	s_delay_alu instid0(SALU_CYCLE_1)
	s_or_b32 s8, s8, s10
	s_or_b32 exec_lo, exec_lo, s9
	v_mov_b32_e32 v5, 0
	s_and_saveexec_b32 s9, s8
	s_cbranch_execnz .LBB239_1059
	s_branch .LBB239_1060
.LBB239_1221:
	s_mov_b32 s1, -1
	s_mov_b32 s13, 0
.LBB239_1222:
                                        ; implicit-def: $vgpr1
.LBB239_1223:
	s_and_b32 vcc_lo, exec_lo, s10
	s_cbranch_vccz .LBB239_1226
; %bb.1224:
	s_cmp_eq_u32 s0, 44
	s_cbranch_scc0 .LBB239_1227
; %bb.1225:
	s_wait_loadcnt 0x0
	global_load_u8 v1, v[14:15], off
	s_mov_b32 s1, 0
	s_mov_b32 s13, -1
	s_wait_loadcnt 0x0
	v_lshlrev_b32_e32 v3, 23, v1
	v_cmp_ne_u32_e32 vcc_lo, 0xff, v1
	s_delay_alu instid0(VALU_DEP_2) | instskip(SKIP_1) | instid1(VALU_DEP_2)
	v_cndmask_b32_e32 v3, 0x7f800001, v3, vcc_lo
	v_cmp_ne_u32_e32 vcc_lo, 0, v1
	v_cndmask_b32_e32 v1, 0x400000, v3, vcc_lo
	s_delay_alu instid0(VALU_DEP_1) | instskip(SKIP_1) | instid1(VALU_DEP_2)
	v_add_nc_u32_e32 v3, 0x7fff, v1
	v_cmp_o_f32_e32 vcc_lo, v1, v1
	v_lshrrev_b32_e32 v3, 16, v3
	s_delay_alu instid0(VALU_DEP_1)
	v_cndmask_b32_e32 v1, 0x7fc0, v3, vcc_lo
.LBB239_1226:
	s_branch .LBB239_1231
.LBB239_1227:
	s_mov_b32 s1, -1
                                        ; implicit-def: $vgpr1
	s_branch .LBB239_1231
.LBB239_1228:
	s_cmp_eq_u32 s0, 29
	s_cbranch_scc0 .LBB239_1230
; %bb.1229:
	global_load_b64 v[16:17], v[14:15], off
	s_mov_b32 s1, 0
	s_mov_b32 s13, -1
	s_mov_b32 s10, 0
	s_wait_loadcnt 0x0
	v_clz_i32_u32_e32 v1, v17
	s_delay_alu instid0(VALU_DEP_1) | instskip(NEXT) | instid1(VALU_DEP_1)
	v_min_u32_e32 v1, 32, v1
	v_lshlrev_b64_e32 v[16:17], v1, v[16:17]
	v_sub_nc_u32_e32 v1, 32, v1
	s_delay_alu instid0(VALU_DEP_2) | instskip(NEXT) | instid1(VALU_DEP_1)
	v_min_u32_e32 v3, 1, v16
	v_or_b32_e32 v3, v17, v3
	s_delay_alu instid0(VALU_DEP_1) | instskip(NEXT) | instid1(VALU_DEP_1)
	v_cvt_f32_u32_e32 v3, v3
	v_ldexp_f32 v1, v3, v1
	s_delay_alu instid0(VALU_DEP_1) | instskip(NEXT) | instid1(VALU_DEP_1)
	v_bfe_u32 v3, v1, 16, 1
	v_add3_u32 v1, v1, v3, 0x7fff
	s_delay_alu instid0(VALU_DEP_1)
	v_lshrrev_b32_e32 v1, 16, v1
	s_branch .LBB239_1232
.LBB239_1230:
	s_mov_b32 s1, -1
                                        ; implicit-def: $vgpr1
.LBB239_1231:
	s_mov_b32 s10, 0
.LBB239_1232:
	s_delay_alu instid0(SALU_CYCLE_1)
	s_and_b32 vcc_lo, exec_lo, s10
	s_cbranch_vccz .LBB239_1250
; %bb.1233:
	s_cmp_lt_i32 s0, 27
	s_cbranch_scc1 .LBB239_1236
; %bb.1234:
	s_cmp_gt_i32 s0, 27
	s_cbranch_scc0 .LBB239_1237
; %bb.1235:
	s_wait_loadcnt 0x0
	global_load_b32 v1, v[14:15], off
	s_mov_b32 s10, 0
	s_wait_loadcnt 0x0
	v_cvt_f32_u32_e32 v1, v1
	s_delay_alu instid0(VALU_DEP_1) | instskip(NEXT) | instid1(VALU_DEP_1)
	v_bfe_u32 v3, v1, 16, 1
	v_add3_u32 v1, v1, v3, 0x7fff
	s_delay_alu instid0(VALU_DEP_1)
	v_lshrrev_b32_e32 v1, 16, v1
	s_branch .LBB239_1238
.LBB239_1236:
	s_mov_b32 s10, -1
                                        ; implicit-def: $vgpr1
	s_branch .LBB239_1241
.LBB239_1237:
	s_mov_b32 s10, -1
                                        ; implicit-def: $vgpr1
.LBB239_1238:
	s_delay_alu instid0(SALU_CYCLE_1)
	s_and_not1_b32 vcc_lo, exec_lo, s10
	s_cbranch_vccnz .LBB239_1240
; %bb.1239:
	s_wait_loadcnt 0x0
	global_load_u16 v1, v[14:15], off
	s_wait_loadcnt 0x0
	v_cvt_f32_u32_e32 v1, v1
	s_delay_alu instid0(VALU_DEP_1) | instskip(NEXT) | instid1(VALU_DEP_1)
	v_bfe_u32 v3, v1, 16, 1
	v_add3_u32 v1, v1, v3, 0x7fff
	s_delay_alu instid0(VALU_DEP_1)
	v_lshrrev_b32_e32 v1, 16, v1
.LBB239_1240:
	s_mov_b32 s10, 0
.LBB239_1241:
	s_delay_alu instid0(SALU_CYCLE_1)
	s_and_not1_b32 vcc_lo, exec_lo, s10
	s_cbranch_vccnz .LBB239_1249
; %bb.1242:
	s_wait_loadcnt 0x0
	global_load_u8 v1, v[14:15], off
	s_mov_b32 s10, 0
	s_mov_b32 s13, exec_lo
	s_wait_loadcnt 0x0
	v_cmpx_lt_i16_e32 0x7f, v1
	s_xor_b32 s13, exec_lo, s13
	s_cbranch_execz .LBB239_1262
; %bb.1243:
	s_mov_b32 s10, -1
	s_mov_b32 s14, exec_lo
	v_cmpx_eq_u16_e32 0x80, v1
; %bb.1244:
	s_xor_b32 s10, exec_lo, -1
; %bb.1245:
	s_or_b32 exec_lo, exec_lo, s14
	s_delay_alu instid0(SALU_CYCLE_1)
	s_and_b32 s10, s10, exec_lo
	s_or_saveexec_b32 s13, s13
	v_mov_b32_e32 v3, 0x7f800001
	s_xor_b32 exec_lo, exec_lo, s13
	s_cbranch_execnz .LBB239_1263
.LBB239_1246:
	s_or_b32 exec_lo, exec_lo, s13
	s_and_saveexec_b32 s13, s10
	s_cbranch_execz .LBB239_1248
.LBB239_1247:
	v_and_b32_e32 v3, 0xffff, v1
	s_delay_alu instid0(VALU_DEP_1) | instskip(SKIP_1) | instid1(VALU_DEP_2)
	v_dual_lshlrev_b32 v1, 24, v1 :: v_dual_bitop2_b32 v5, 7, v3 bitop3:0x40
	v_bfe_u32 v11, v3, 3, 4
	v_and_b32_e32 v1, 0x80000000, v1
	s_delay_alu instid0(VALU_DEP_3) | instskip(NEXT) | instid1(VALU_DEP_3)
	v_clz_i32_u32_e32 v7, v5
	v_cmp_eq_u32_e32 vcc_lo, 0, v11
	s_delay_alu instid0(VALU_DEP_2) | instskip(NEXT) | instid1(VALU_DEP_1)
	v_min_u32_e32 v7, 32, v7
	v_subrev_nc_u32_e32 v9, 28, v7
	v_sub_nc_u32_e32 v7, 29, v7
	s_delay_alu instid0(VALU_DEP_2) | instskip(NEXT) | instid1(VALU_DEP_2)
	v_lshlrev_b32_e32 v3, v9, v3
	v_cndmask_b32_e32 v7, v11, v7, vcc_lo
	s_delay_alu instid0(VALU_DEP_2) | instskip(NEXT) | instid1(VALU_DEP_1)
	v_and_b32_e32 v3, 7, v3
	v_cndmask_b32_e32 v3, v5, v3, vcc_lo
	s_delay_alu instid0(VALU_DEP_3) | instskip(NEXT) | instid1(VALU_DEP_2)
	v_lshl_add_u32 v5, v7, 23, 0x3b800000
	v_lshlrev_b32_e32 v3, 20, v3
	s_delay_alu instid0(VALU_DEP_1)
	v_or3_b32 v3, v1, v5, v3
.LBB239_1248:
	s_or_b32 exec_lo, exec_lo, s13
	s_delay_alu instid0(VALU_DEP_1) | instskip(SKIP_1) | instid1(VALU_DEP_2)
	v_bfe_u32 v1, v3, 16, 1
	v_cmp_o_f32_e32 vcc_lo, v3, v3
	v_add3_u32 v1, v3, v1, 0x7fff
	s_delay_alu instid0(VALU_DEP_1) | instskip(NEXT) | instid1(VALU_DEP_1)
	v_lshrrev_b32_e32 v1, 16, v1
	v_cndmask_b32_e32 v1, 0x7fc0, v1, vcc_lo
.LBB239_1249:
	s_mov_b32 s13, -1
.LBB239_1250:
	s_branch .LBB239_1282
.LBB239_1251:
	s_cmp_gt_i32 s0, 22
	s_cbranch_scc0 .LBB239_1261
; %bb.1252:
	s_cmp_lt_i32 s0, 24
	s_cbranch_scc1 .LBB239_1264
; %bb.1253:
	s_cmp_gt_i32 s0, 24
	s_cbranch_scc0 .LBB239_1265
; %bb.1254:
	s_wait_loadcnt 0x0
	global_load_u8 v1, v[14:15], off
	s_mov_b32 s10, 0
	s_mov_b32 s12, exec_lo
	s_wait_loadcnt 0x0
	v_cmpx_lt_i16_e32 0x7f, v1
	s_xor_b32 s12, exec_lo, s12
	s_cbranch_execz .LBB239_1276
; %bb.1255:
	s_mov_b32 s10, -1
	s_mov_b32 s13, exec_lo
	v_cmpx_eq_u16_e32 0x80, v1
; %bb.1256:
	s_xor_b32 s10, exec_lo, -1
; %bb.1257:
	s_or_b32 exec_lo, exec_lo, s13
	s_delay_alu instid0(SALU_CYCLE_1)
	s_and_b32 s10, s10, exec_lo
	s_or_saveexec_b32 s12, s12
	v_mov_b32_e32 v3, 0x7f800001
	s_xor_b32 exec_lo, exec_lo, s12
	s_cbranch_execnz .LBB239_1277
.LBB239_1258:
	s_or_b32 exec_lo, exec_lo, s12
	s_and_saveexec_b32 s12, s10
	s_cbranch_execz .LBB239_1260
.LBB239_1259:
	v_and_b32_e32 v3, 0xffff, v1
	s_delay_alu instid0(VALU_DEP_1) | instskip(SKIP_1) | instid1(VALU_DEP_2)
	v_dual_lshlrev_b32 v1, 24, v1 :: v_dual_bitop2_b32 v5, 3, v3 bitop3:0x40
	v_bfe_u32 v11, v3, 2, 5
	v_and_b32_e32 v1, 0x80000000, v1
	s_delay_alu instid0(VALU_DEP_3) | instskip(NEXT) | instid1(VALU_DEP_3)
	v_clz_i32_u32_e32 v7, v5
	v_cmp_eq_u32_e32 vcc_lo, 0, v11
	s_delay_alu instid0(VALU_DEP_2) | instskip(NEXT) | instid1(VALU_DEP_1)
	v_min_u32_e32 v7, 32, v7
	v_subrev_nc_u32_e32 v9, 29, v7
	v_sub_nc_u32_e32 v7, 30, v7
	s_delay_alu instid0(VALU_DEP_2) | instskip(NEXT) | instid1(VALU_DEP_2)
	v_lshlrev_b32_e32 v3, v9, v3
	v_cndmask_b32_e32 v7, v11, v7, vcc_lo
	s_delay_alu instid0(VALU_DEP_2) | instskip(NEXT) | instid1(VALU_DEP_1)
	v_and_b32_e32 v3, 3, v3
	v_cndmask_b32_e32 v3, v5, v3, vcc_lo
	s_delay_alu instid0(VALU_DEP_3) | instskip(NEXT) | instid1(VALU_DEP_2)
	v_lshl_add_u32 v5, v7, 23, 0x37800000
	v_lshlrev_b32_e32 v3, 21, v3
	s_delay_alu instid0(VALU_DEP_1)
	v_or3_b32 v3, v1, v5, v3
.LBB239_1260:
	s_or_b32 exec_lo, exec_lo, s12
	s_delay_alu instid0(VALU_DEP_1) | instskip(SKIP_2) | instid1(VALU_DEP_2)
	v_bfe_u32 v1, v3, 16, 1
	v_cmp_o_f32_e32 vcc_lo, v3, v3
	s_mov_b32 s10, 0
	v_add3_u32 v1, v3, v1, 0x7fff
	s_delay_alu instid0(VALU_DEP_1) | instskip(NEXT) | instid1(VALU_DEP_1)
	v_lshrrev_b32_e32 v1, 16, v1
	v_cndmask_b32_e32 v1, 0x7fc0, v1, vcc_lo
	s_branch .LBB239_1266
.LBB239_1261:
                                        ; implicit-def: $vgpr1
	s_mov_b32 s12, 0
	s_branch .LBB239_1272
.LBB239_1262:
	s_or_saveexec_b32 s13, s13
	v_mov_b32_e32 v3, 0x7f800001
	s_xor_b32 exec_lo, exec_lo, s13
	s_cbranch_execz .LBB239_1246
.LBB239_1263:
	v_cmp_ne_u16_e32 vcc_lo, 0, v1
	v_mov_b32_e32 v3, 0
	s_and_not1_b32 s10, s10, exec_lo
	s_and_b32 s14, vcc_lo, exec_lo
	s_delay_alu instid0(SALU_CYCLE_1)
	s_or_b32 s10, s10, s14
	s_or_b32 exec_lo, exec_lo, s13
	s_and_saveexec_b32 s13, s10
	s_cbranch_execnz .LBB239_1247
	s_branch .LBB239_1248
.LBB239_1264:
	s_mov_b32 s10, -1
                                        ; implicit-def: $vgpr1
	s_branch .LBB239_1269
.LBB239_1265:
	s_mov_b32 s10, -1
                                        ; implicit-def: $vgpr1
.LBB239_1266:
	s_delay_alu instid0(SALU_CYCLE_1)
	s_and_b32 vcc_lo, exec_lo, s10
	s_cbranch_vccz .LBB239_1268
; %bb.1267:
	s_wait_loadcnt 0x0
	global_load_u8 v1, v[14:15], off
	s_wait_loadcnt 0x0
	v_lshlrev_b32_e32 v1, 24, v1
	s_delay_alu instid0(VALU_DEP_1) | instskip(NEXT) | instid1(VALU_DEP_1)
	v_and_b32_e32 v3, 0x7f000000, v1
	v_clz_i32_u32_e32 v5, v3
	v_add_nc_u32_e32 v9, 0x1000000, v3
	v_cmp_ne_u32_e32 vcc_lo, 0, v3
	s_delay_alu instid0(VALU_DEP_3) | instskip(NEXT) | instid1(VALU_DEP_1)
	v_min_u32_e32 v5, 32, v5
	v_sub_nc_u32_e64 v5, v5, 4 clamp
	s_delay_alu instid0(VALU_DEP_1) | instskip(NEXT) | instid1(VALU_DEP_1)
	v_dual_lshlrev_b32 v7, v5, v3 :: v_dual_lshlrev_b32 v5, 23, v5
	v_lshrrev_b32_e32 v7, 4, v7
	s_delay_alu instid0(VALU_DEP_1) | instskip(SKIP_1) | instid1(VALU_DEP_2)
	v_sub_nc_u32_e32 v5, v7, v5
	v_ashrrev_i32_e32 v7, 8, v9
	v_add_nc_u32_e32 v5, 0x3c000000, v5
	s_delay_alu instid0(VALU_DEP_1) | instskip(NEXT) | instid1(VALU_DEP_1)
	v_and_or_b32 v5, 0x7f800000, v7, v5
	v_cndmask_b32_e32 v3, 0, v5, vcc_lo
	s_delay_alu instid0(VALU_DEP_1) | instskip(SKIP_1) | instid1(VALU_DEP_2)
	v_and_or_b32 v1, 0x80000000, v1, v3
	v_bfe_u32 v3, v3, 16, 1
	v_cmp_o_f32_e32 vcc_lo, v1, v1
	s_delay_alu instid0(VALU_DEP_2) | instskip(NEXT) | instid1(VALU_DEP_1)
	v_add3_u32 v3, v1, v3, 0x7fff
	v_lshrrev_b32_e32 v3, 16, v3
	s_delay_alu instid0(VALU_DEP_1)
	v_cndmask_b32_e32 v1, 0x7fc0, v3, vcc_lo
.LBB239_1268:
	s_mov_b32 s10, 0
.LBB239_1269:
	s_delay_alu instid0(SALU_CYCLE_1)
	s_and_not1_b32 vcc_lo, exec_lo, s10
	s_cbranch_vccnz .LBB239_1271
; %bb.1270:
	s_wait_loadcnt 0x0
	global_load_u8 v1, v[14:15], off
	s_wait_loadcnt 0x0
	v_lshlrev_b32_e32 v3, 25, v1
	v_lshlrev_b16 v1, 8, v1
	s_delay_alu instid0(VALU_DEP_1) | instskip(SKIP_1) | instid1(VALU_DEP_2)
	v_and_or_b32 v7, 0x7f00, v1, 0.5
	v_bfe_i32 v1, v1, 0, 16
	v_add_f32_e32 v7, -0.5, v7
	v_lshrrev_b32_e32 v5, 4, v3
	v_cmp_gt_u32_e32 vcc_lo, 0x8000000, v3
	s_delay_alu instid0(VALU_DEP_2) | instskip(NEXT) | instid1(VALU_DEP_1)
	v_or_b32_e32 v5, 0x70000000, v5
	v_mul_f32_e32 v5, 0x7800000, v5
	s_delay_alu instid0(VALU_DEP_1) | instskip(NEXT) | instid1(VALU_DEP_1)
	v_cndmask_b32_e32 v3, v5, v7, vcc_lo
	v_and_or_b32 v1, 0x80000000, v1, v3
	v_bfe_u32 v3, v3, 16, 1
	s_delay_alu instid0(VALU_DEP_2) | instskip(NEXT) | instid1(VALU_DEP_2)
	v_cmp_o_f32_e32 vcc_lo, v1, v1
	v_add3_u32 v3, v1, v3, 0x7fff
	s_delay_alu instid0(VALU_DEP_1) | instskip(NEXT) | instid1(VALU_DEP_1)
	v_lshrrev_b32_e32 v3, 16, v3
	v_cndmask_b32_e32 v1, 0x7fc0, v3, vcc_lo
.LBB239_1271:
	s_mov_b32 s13, -1
	s_mov_b32 s12, 0
	s_cbranch_execnz .LBB239_1282
.LBB239_1272:
	s_cmp_gt_i32 s0, 14
	s_cbranch_scc0 .LBB239_1275
; %bb.1273:
	s_cmp_eq_u32 s0, 15
	s_cbranch_scc0 .LBB239_1278
; %bb.1274:
	s_wait_loadcnt 0x0
	global_load_u16 v1, v[14:15], off
	s_mov_b32 s1, 0
	s_mov_b32 s13, -1
	s_branch .LBB239_1279
.LBB239_1275:
	s_mov_b32 s10, -1
                                        ; implicit-def: $vgpr1
	s_branch .LBB239_1280
.LBB239_1276:
	s_or_saveexec_b32 s12, s12
	v_mov_b32_e32 v3, 0x7f800001
	s_xor_b32 exec_lo, exec_lo, s12
	s_cbranch_execz .LBB239_1258
.LBB239_1277:
	v_cmp_ne_u16_e32 vcc_lo, 0, v1
	v_mov_b32_e32 v3, 0
	s_and_not1_b32 s10, s10, exec_lo
	s_and_b32 s13, vcc_lo, exec_lo
	s_delay_alu instid0(SALU_CYCLE_1)
	s_or_b32 s10, s10, s13
	s_or_b32 exec_lo, exec_lo, s12
	s_and_saveexec_b32 s12, s10
	s_cbranch_execnz .LBB239_1259
	s_branch .LBB239_1260
.LBB239_1278:
	s_mov_b32 s1, -1
                                        ; implicit-def: $vgpr1
.LBB239_1279:
	s_mov_b32 s10, 0
.LBB239_1280:
	s_delay_alu instid0(SALU_CYCLE_1)
	s_and_b32 vcc_lo, exec_lo, s10
	s_cbranch_vccz .LBB239_1282
; %bb.1281:
	s_cmp_lg_u32 s0, 11
	s_mov_b32 s12, -1
	s_cselect_b32 s1, -1, 0
.LBB239_1282:
	s_delay_alu instid0(SALU_CYCLE_1)
	s_and_b32 vcc_lo, exec_lo, s1
	s_mov_b32 s10, s8
	s_cbranch_vccnz .LBB239_1355
; %bb.1283:
	s_and_not1_b32 vcc_lo, exec_lo, s12
	s_cbranch_vccnz .LBB239_1285
.LBB239_1284:
	s_wait_loadcnt 0x0
	global_load_u8 v1, v[14:15], off
	s_mov_b32 s13, -1
	s_wait_loadcnt 0x0
	v_cmp_ne_u16_e32 vcc_lo, 0, v1
	v_cndmask_b32_e64 v1, 0, 1.0, vcc_lo
	s_delay_alu instid0(VALU_DEP_1)
	v_lshrrev_b32_e32 v1, 16, v1
.LBB239_1285:
	s_branch .LBB239_1214
.LBB239_1286:
	s_and_b32 s0, 0xffff, s11
	s_delay_alu instid0(SALU_CYCLE_1)
	s_cmp_lt_i32 s0, 5
	s_cbranch_scc1 .LBB239_1291
; %bb.1287:
	s_cmp_lt_i32 s0, 8
	s_cbranch_scc1 .LBB239_1292
; %bb.1288:
	;; [unrolled: 3-line block ×3, first 2 shown]
	s_cmp_gt_i32 s0, 9
	s_cbranch_scc0 .LBB239_1294
; %bb.1290:
	global_load_b64 v[16:17], v[14:15], off
	s_mov_b32 s1, 0
	s_wait_loadcnt 0x0
	v_cvt_f32_f64_e32 v1, v[16:17]
	s_delay_alu instid0(VALU_DEP_1) | instskip(SKIP_1) | instid1(VALU_DEP_2)
	v_bfe_u32 v3, v1, 16, 1
	v_cmp_o_f32_e32 vcc_lo, v1, v1
	v_add3_u32 v3, v1, v3, 0x7fff
	s_delay_alu instid0(VALU_DEP_1) | instskip(NEXT) | instid1(VALU_DEP_1)
	v_lshrrev_b32_e32 v3, 16, v3
	v_cndmask_b32_e32 v1, 0x7fc0, v3, vcc_lo
	s_branch .LBB239_1295
.LBB239_1291:
                                        ; implicit-def: $vgpr1
	s_branch .LBB239_1312
.LBB239_1292:
                                        ; implicit-def: $vgpr1
	s_branch .LBB239_1301
.LBB239_1293:
	s_mov_b32 s1, -1
                                        ; implicit-def: $vgpr1
	s_branch .LBB239_1298
.LBB239_1294:
	s_mov_b32 s1, -1
                                        ; implicit-def: $vgpr1
.LBB239_1295:
	s_delay_alu instid0(SALU_CYCLE_1)
	s_and_not1_b32 vcc_lo, exec_lo, s1
	s_cbranch_vccnz .LBB239_1297
; %bb.1296:
	s_wait_loadcnt 0x0
	global_load_b32 v1, v[14:15], off
	s_wait_loadcnt 0x0
	v_bfe_u32 v3, v1, 16, 1
	v_cmp_o_f32_e32 vcc_lo, v1, v1
	s_delay_alu instid0(VALU_DEP_2) | instskip(NEXT) | instid1(VALU_DEP_1)
	v_add3_u32 v3, v1, v3, 0x7fff
	v_lshrrev_b32_e32 v3, 16, v3
	s_delay_alu instid0(VALU_DEP_1)
	v_cndmask_b32_e32 v1, 0x7fc0, v3, vcc_lo
.LBB239_1297:
	s_mov_b32 s1, 0
.LBB239_1298:
	s_delay_alu instid0(SALU_CYCLE_1)
	s_and_not1_b32 vcc_lo, exec_lo, s1
	s_cbranch_vccnz .LBB239_1300
; %bb.1299:
	s_wait_loadcnt 0x0
	global_load_b32 v1, v[14:15], off
	s_wait_loadcnt 0x0
	v_cvt_f32_f16_e32 v3, v1
	v_cmp_o_f16_e32 vcc_lo, v1, v1
	s_delay_alu instid0(VALU_DEP_2) | instskip(NEXT) | instid1(VALU_DEP_1)
	v_bfe_u32 v5, v3, 16, 1
	v_add3_u32 v3, v3, v5, 0x7fff
	s_delay_alu instid0(VALU_DEP_1) | instskip(NEXT) | instid1(VALU_DEP_1)
	v_lshrrev_b32_e32 v3, 16, v3
	v_cndmask_b32_e32 v1, 0x7fc0, v3, vcc_lo
.LBB239_1300:
	s_cbranch_execnz .LBB239_1311
.LBB239_1301:
	s_cmp_lt_i32 s0, 6
	s_cbranch_scc1 .LBB239_1304
; %bb.1302:
	s_cmp_gt_i32 s0, 6
	s_cbranch_scc0 .LBB239_1305
; %bb.1303:
	global_load_b64 v[16:17], v[14:15], off
	s_mov_b32 s1, 0
	s_wait_loadcnt 0x0
	v_cvt_f32_f64_e32 v1, v[16:17]
	s_delay_alu instid0(VALU_DEP_1) | instskip(SKIP_1) | instid1(VALU_DEP_2)
	v_bfe_u32 v3, v1, 16, 1
	v_cmp_o_f32_e32 vcc_lo, v1, v1
	v_add3_u32 v3, v1, v3, 0x7fff
	s_delay_alu instid0(VALU_DEP_1) | instskip(NEXT) | instid1(VALU_DEP_1)
	v_lshrrev_b32_e32 v3, 16, v3
	v_cndmask_b32_e32 v1, 0x7fc0, v3, vcc_lo
	s_branch .LBB239_1306
.LBB239_1304:
	s_mov_b32 s1, -1
                                        ; implicit-def: $vgpr1
	s_branch .LBB239_1309
.LBB239_1305:
	s_mov_b32 s1, -1
                                        ; implicit-def: $vgpr1
.LBB239_1306:
	s_delay_alu instid0(SALU_CYCLE_1)
	s_and_not1_b32 vcc_lo, exec_lo, s1
	s_cbranch_vccnz .LBB239_1308
; %bb.1307:
	s_wait_loadcnt 0x0
	global_load_b32 v1, v[14:15], off
	s_wait_loadcnt 0x0
	v_bfe_u32 v3, v1, 16, 1
	v_cmp_o_f32_e32 vcc_lo, v1, v1
	s_delay_alu instid0(VALU_DEP_2) | instskip(NEXT) | instid1(VALU_DEP_1)
	v_add3_u32 v3, v1, v3, 0x7fff
	v_lshrrev_b32_e32 v3, 16, v3
	s_delay_alu instid0(VALU_DEP_1)
	v_cndmask_b32_e32 v1, 0x7fc0, v3, vcc_lo
.LBB239_1308:
	s_mov_b32 s1, 0
.LBB239_1309:
	s_delay_alu instid0(SALU_CYCLE_1)
	s_and_not1_b32 vcc_lo, exec_lo, s1
	s_cbranch_vccnz .LBB239_1311
; %bb.1310:
	s_wait_loadcnt 0x0
	global_load_u16 v1, v[14:15], off
	s_wait_loadcnt 0x0
	v_cvt_f32_f16_e32 v3, v1
	v_cmp_o_f16_e32 vcc_lo, v1, v1
	s_delay_alu instid0(VALU_DEP_2) | instskip(NEXT) | instid1(VALU_DEP_1)
	v_bfe_u32 v5, v3, 16, 1
	v_add3_u32 v3, v3, v5, 0x7fff
	s_delay_alu instid0(VALU_DEP_1) | instskip(NEXT) | instid1(VALU_DEP_1)
	v_lshrrev_b32_e32 v3, 16, v3
	v_cndmask_b32_e32 v1, 0x7fc0, v3, vcc_lo
.LBB239_1311:
	s_cbranch_execnz .LBB239_1330
.LBB239_1312:
	s_cmp_lt_i32 s0, 2
	s_cbranch_scc1 .LBB239_1316
; %bb.1313:
	s_cmp_lt_i32 s0, 3
	s_cbranch_scc1 .LBB239_1317
; %bb.1314:
	s_cmp_gt_i32 s0, 3
	s_cbranch_scc0 .LBB239_1318
; %bb.1315:
	global_load_b64 v[16:17], v[14:15], off
	s_mov_b32 s1, 0
	s_wait_loadcnt 0x0
	v_xor_b32_e32 v1, v16, v17
	v_cls_i32_e32 v3, v17
	s_delay_alu instid0(VALU_DEP_2) | instskip(NEXT) | instid1(VALU_DEP_1)
	v_ashrrev_i32_e32 v1, 31, v1
	v_add_nc_u32_e32 v1, 32, v1
	s_delay_alu instid0(VALU_DEP_1) | instskip(NEXT) | instid1(VALU_DEP_1)
	v_add_min_u32_e64 v1, v3, -1, v1
	v_lshlrev_b64_e32 v[16:17], v1, v[16:17]
	v_sub_nc_u32_e32 v1, 32, v1
	s_delay_alu instid0(VALU_DEP_2) | instskip(NEXT) | instid1(VALU_DEP_1)
	v_min_u32_e32 v3, 1, v16
	v_or_b32_e32 v3, v17, v3
	s_delay_alu instid0(VALU_DEP_1) | instskip(NEXT) | instid1(VALU_DEP_1)
	v_cvt_f32_i32_e32 v3, v3
	v_ldexp_f32 v1, v3, v1
	s_delay_alu instid0(VALU_DEP_1) | instskip(NEXT) | instid1(VALU_DEP_1)
	v_bfe_u32 v3, v1, 16, 1
	v_add3_u32 v1, v1, v3, 0x7fff
	s_delay_alu instid0(VALU_DEP_1)
	v_lshrrev_b32_e32 v1, 16, v1
	s_branch .LBB239_1319
.LBB239_1316:
                                        ; implicit-def: $vgpr1
	s_branch .LBB239_1325
.LBB239_1317:
	s_mov_b32 s1, -1
                                        ; implicit-def: $vgpr1
	s_branch .LBB239_1322
.LBB239_1318:
	s_mov_b32 s1, -1
                                        ; implicit-def: $vgpr1
.LBB239_1319:
	s_delay_alu instid0(SALU_CYCLE_1)
	s_and_not1_b32 vcc_lo, exec_lo, s1
	s_cbranch_vccnz .LBB239_1321
; %bb.1320:
	s_wait_loadcnt 0x0
	global_load_b32 v1, v[14:15], off
	s_wait_loadcnt 0x0
	v_cvt_f32_i32_e32 v1, v1
	s_delay_alu instid0(VALU_DEP_1) | instskip(NEXT) | instid1(VALU_DEP_1)
	v_bfe_u32 v3, v1, 16, 1
	v_add3_u32 v1, v1, v3, 0x7fff
	s_delay_alu instid0(VALU_DEP_1)
	v_lshrrev_b32_e32 v1, 16, v1
.LBB239_1321:
	s_mov_b32 s1, 0
.LBB239_1322:
	s_delay_alu instid0(SALU_CYCLE_1)
	s_and_not1_b32 vcc_lo, exec_lo, s1
	s_cbranch_vccnz .LBB239_1324
; %bb.1323:
	s_wait_loadcnt 0x0
	global_load_i16 v1, v[14:15], off
	s_wait_loadcnt 0x0
	v_cvt_f32_i32_e32 v1, v1
	s_delay_alu instid0(VALU_DEP_1) | instskip(NEXT) | instid1(VALU_DEP_1)
	v_bfe_u32 v3, v1, 16, 1
	v_add3_u32 v1, v1, v3, 0x7fff
	s_delay_alu instid0(VALU_DEP_1)
	v_lshrrev_b32_e32 v1, 16, v1
.LBB239_1324:
	s_cbranch_execnz .LBB239_1330
.LBB239_1325:
	s_cmp_gt_i32 s0, 0
	s_mov_b32 s0, 0
	s_cbranch_scc0 .LBB239_1327
; %bb.1326:
	s_wait_loadcnt 0x0
	global_load_i8 v1, v[14:15], off
	s_wait_loadcnt 0x0
	v_cvt_f32_i32_e32 v1, v1
	s_delay_alu instid0(VALU_DEP_1) | instskip(NEXT) | instid1(VALU_DEP_1)
	v_bfe_u32 v3, v1, 16, 1
	v_add3_u32 v1, v1, v3, 0x7fff
	s_delay_alu instid0(VALU_DEP_1)
	v_lshrrev_b32_e32 v1, 16, v1
	s_branch .LBB239_1328
.LBB239_1327:
	s_mov_b32 s0, -1
                                        ; implicit-def: $vgpr1
.LBB239_1328:
	s_delay_alu instid0(SALU_CYCLE_1)
	s_and_not1_b32 vcc_lo, exec_lo, s0
	s_cbranch_vccnz .LBB239_1330
; %bb.1329:
	s_wait_loadcnt 0x0
	global_load_u8 v1, v[14:15], off
	s_wait_loadcnt 0x0
	v_cvt_f32_ubyte0_e32 v1, v1
	s_delay_alu instid0(VALU_DEP_1) | instskip(NEXT) | instid1(VALU_DEP_1)
	v_bfe_u32 v3, v1, 16, 1
	v_add3_u32 v1, v1, v3, 0x7fff
	s_delay_alu instid0(VALU_DEP_1)
	v_lshrrev_b32_e32 v1, 16, v1
.LBB239_1330:
.LBB239_1331:
	s_wait_loadcnt 0x0
	s_delay_alu instid0(VALU_DEP_1) | instskip(SKIP_2) | instid1(VALU_DEP_1)
	v_lshlrev_b32_e32 v3, 16, v1
	s_mov_b32 s12, exec_lo
	s_wait_xcnt 0x0
	v_cmpx_o_f32_e32 v3, v3
	s_cbranch_execz .LBB239_1343
; %bb.1332:
	s_load_b64 s[0:1], s[2:3], 0x158
	s_mov_b32 s13, 0
	s_wait_kmcnt 0x0
	s_cmp_lt_i32 s0, 1
	s_cbranch_scc1 .LBB239_1335
; %bb.1333:
	s_cmp_eq_u32 s0, 1
	s_cbranch_scc0 .LBB239_1336
; %bb.1334:
	v_max_num_f32_e64 v1, s1, s1
	v_max_num_f32_e32 v5, v3, v3
	s_mov_b32 s14, 0
	s_delay_alu instid0(VALU_DEP_1) | instskip(NEXT) | instid1(VALU_DEP_1)
	v_min_num_f32_e32 v1, v5, v1
	v_bfe_u32 v5, v1, 16, 1
	s_delay_alu instid0(VALU_DEP_1) | instskip(NEXT) | instid1(VALU_DEP_1)
	v_add3_u32 v1, v1, v5, 0x7fff
	v_lshrrev_b32_e32 v1, 16, v1
	s_branch .LBB239_1337
.LBB239_1335:
	s_mov_b32 s14, 0
                                        ; implicit-def: $vgpr1
	s_cbranch_execnz .LBB239_1338
	s_branch .LBB239_1339
.LBB239_1336:
	s_mov_b32 s14, -1
                                        ; implicit-def: $vgpr1
.LBB239_1337:
	s_branch .LBB239_1339
.LBB239_1338:
	s_cmp_lg_u32 s0, 0
	s_mov_b32 s13, -1
	s_cselect_b32 s14, -1, 0
.LBB239_1339:
	s_delay_alu instid0(SALU_CYCLE_1)
	s_and_not1_b32 vcc_lo, exec_lo, s14
	s_cbranch_vccnz .LBB239_1341
; %bb.1340:
	s_load_b32 s0, s[2:3], 0x160
	v_max_num_f32_e64 v1, s1, s1
	v_max_num_f32_e32 v5, v3, v3
	s_wait_kmcnt 0x0
	v_max_num_f32_e64 v7, s0, s0
	s_delay_alu instid0(VALU_DEP_1) | instskip(NEXT) | instid1(VALU_DEP_1)
	v_maxmin_num_f32 v1, v5, v1, v7
	v_bfe_u32 v5, v1, 16, 1
	s_delay_alu instid0(VALU_DEP_1) | instskip(NEXT) | instid1(VALU_DEP_1)
	v_add3_u32 v1, v1, v5, 0x7fff
	v_lshrrev_b32_e32 v1, 16, v1
	s_cbranch_execz .LBB239_1342
	s_branch .LBB239_1343
.LBB239_1341:
	s_and_not1_b32 vcc_lo, exec_lo, s13
	s_cbranch_vccnz .LBB239_1343
.LBB239_1342:
	v_max_num_f32_e64 v1, s1, s1
	v_max_num_f32_e32 v3, v3, v3
	s_delay_alu instid0(VALU_DEP_1) | instskip(NEXT) | instid1(VALU_DEP_1)
	v_max_num_f32_e32 v1, v3, v1
	v_bfe_u32 v3, v1, 16, 1
	s_delay_alu instid0(VALU_DEP_1) | instskip(NEXT) | instid1(VALU_DEP_1)
	v_add3_u32 v1, v1, v3, 0x7fff
	v_lshrrev_b32_e32 v1, 16, v1
.LBB239_1343:
	s_or_b32 exec_lo, exec_lo, s12
	v_mov_b32_e32 v13, 0
	s_and_b32 s11, 0xffff, s11
	s_delay_alu instid0(SALU_CYCLE_1) | instskip(NEXT) | instid1(VALU_DEP_1)
	s_cmp_lt_i32 s11, 11
	v_add_nc_u64_e32 v[12:13], s[6:7], v[12:13]
	s_cbranch_scc1 .LBB239_1350
; %bb.1344:
	s_cmp_gt_i32 s11, 25
	s_mov_b32 s1, 0
	s_cbranch_scc0 .LBB239_1352
; %bb.1345:
	s_cmp_gt_i32 s11, 28
	s_cbranch_scc0 .LBB239_1353
; %bb.1346:
	s_cmp_gt_i32 s11, 43
	;; [unrolled: 3-line block ×3, first 2 shown]
	s_cbranch_scc0 .LBB239_1356
; %bb.1348:
	s_cmp_eq_u32 s11, 46
	s_mov_b32 s13, 0
	s_cbranch_scc0 .LBB239_1359
; %bb.1349:
	global_load_b32 v3, v[12:13], off
	s_mov_b32 s0, 0
	s_mov_b32 s12, -1
	s_branch .LBB239_1361
.LBB239_1350:
	s_mov_b32 s12, 0
                                        ; implicit-def: $vgpr3
	s_cbranch_execnz .LBB239_1426
.LBB239_1351:
	s_and_not1_b32 vcc_lo, exec_lo, s12
	s_cbranch_vccnz .LBB239_1763
	s_branch .LBB239_1473
.LBB239_1352:
	s_mov_b32 s12, 0
	s_mov_b32 s0, 0
                                        ; implicit-def: $vgpr3
	s_cbranch_execnz .LBB239_1390
	s_branch .LBB239_1422
.LBB239_1353:
	s_mov_b32 s13, -1
	s_mov_b32 s12, 0
	s_mov_b32 s0, 0
                                        ; implicit-def: $vgpr3
	s_branch .LBB239_1371
.LBB239_1354:
	s_mov_b32 s13, -1
	s_mov_b32 s12, 0
	s_mov_b32 s0, 0
                                        ; implicit-def: $vgpr3
	s_branch .LBB239_1366
.LBB239_1355:
	s_or_b32 s10, s8, exec_lo
	s_trap 2
	s_cbranch_execz .LBB239_1284
	s_branch .LBB239_1285
.LBB239_1356:
	s_mov_b32 s13, -1
	s_mov_b32 s12, 0
	s_mov_b32 s0, 0
	s_branch .LBB239_1360
.LBB239_1357:
	s_and_not1_saveexec_b32 s10, s10
	s_cbranch_execz .LBB239_1070
.LBB239_1358:
	v_add_f32_e64 v3, 0x42800000, |v4|
	s_and_not1_b32 s9, s9, exec_lo
	s_delay_alu instid0(VALU_DEP_1) | instskip(NEXT) | instid1(VALU_DEP_1)
	v_and_b32_e32 v3, 0xff, v3
	v_cmp_ne_u32_e32 vcc_lo, 0, v3
	s_and_b32 s11, vcc_lo, exec_lo
	s_delay_alu instid0(SALU_CYCLE_1)
	s_or_b32 s9, s9, s11
	s_or_b32 exec_lo, exec_lo, s10
	v_mov_b32_e32 v5, 0
	s_and_saveexec_b32 s10, s9
	s_cbranch_execnz .LBB239_1071
	s_branch .LBB239_1072
.LBB239_1359:
	s_mov_b32 s0, -1
	s_mov_b32 s12, 0
.LBB239_1360:
                                        ; implicit-def: $vgpr3
.LBB239_1361:
	s_and_b32 vcc_lo, exec_lo, s13
	s_cbranch_vccz .LBB239_1365
; %bb.1362:
	s_cmp_eq_u32 s11, 44
	s_cbranch_scc0 .LBB239_1364
; %bb.1363:
	s_wait_loadcnt 0x0
	global_load_u8 v3, v[12:13], off
	s_mov_b32 s0, 0
	s_mov_b32 s12, -1
	s_wait_loadcnt 0x0
	v_lshlrev_b32_e32 v5, 23, v3
	v_cmp_ne_u32_e32 vcc_lo, 0xff, v3
	s_delay_alu instid0(VALU_DEP_2) | instskip(SKIP_1) | instid1(VALU_DEP_2)
	v_cndmask_b32_e32 v5, 0x7f800001, v5, vcc_lo
	v_cmp_ne_u32_e32 vcc_lo, 0, v3
	v_cndmask_b32_e32 v3, 0x400000, v5, vcc_lo
	s_delay_alu instid0(VALU_DEP_1) | instskip(SKIP_1) | instid1(VALU_DEP_2)
	v_add_nc_u32_e32 v5, 0x7fff, v3
	v_cmp_o_f32_e32 vcc_lo, v3, v3
	v_lshrrev_b32_e32 v5, 16, v5
	s_delay_alu instid0(VALU_DEP_1)
	v_cndmask_b32_e32 v3, 0x7fc0, v5, vcc_lo
	s_branch .LBB239_1365
.LBB239_1364:
	s_mov_b32 s0, -1
                                        ; implicit-def: $vgpr3
.LBB239_1365:
	s_mov_b32 s13, 0
.LBB239_1366:
	s_delay_alu instid0(SALU_CYCLE_1)
	s_and_b32 vcc_lo, exec_lo, s13
	s_cbranch_vccz .LBB239_1370
; %bb.1367:
	s_cmp_eq_u32 s11, 29
	s_cbranch_scc0 .LBB239_1369
; %bb.1368:
	global_load_b64 v[14:15], v[12:13], off
	s_mov_b32 s0, 0
	s_mov_b32 s12, -1
	s_mov_b32 s13, 0
	s_wait_loadcnt 0x0
	v_clz_i32_u32_e32 v3, v15
	s_delay_alu instid0(VALU_DEP_1) | instskip(NEXT) | instid1(VALU_DEP_1)
	v_min_u32_e32 v3, 32, v3
	v_lshlrev_b64_e32 v[14:15], v3, v[14:15]
	v_sub_nc_u32_e32 v3, 32, v3
	s_delay_alu instid0(VALU_DEP_2) | instskip(NEXT) | instid1(VALU_DEP_1)
	v_min_u32_e32 v5, 1, v14
	v_or_b32_e32 v5, v15, v5
	s_delay_alu instid0(VALU_DEP_1) | instskip(NEXT) | instid1(VALU_DEP_1)
	v_cvt_f32_u32_e32 v5, v5
	v_ldexp_f32 v3, v5, v3
	s_delay_alu instid0(VALU_DEP_1) | instskip(NEXT) | instid1(VALU_DEP_1)
	v_bfe_u32 v5, v3, 16, 1
	v_add3_u32 v3, v3, v5, 0x7fff
	s_delay_alu instid0(VALU_DEP_1)
	v_lshrrev_b32_e32 v3, 16, v3
	s_branch .LBB239_1371
.LBB239_1369:
	s_mov_b32 s0, -1
                                        ; implicit-def: $vgpr3
.LBB239_1370:
	s_mov_b32 s13, 0
.LBB239_1371:
	s_delay_alu instid0(SALU_CYCLE_1)
	s_and_b32 vcc_lo, exec_lo, s13
	s_cbranch_vccz .LBB239_1389
; %bb.1372:
	s_cmp_lt_i32 s11, 27
	s_cbranch_scc1 .LBB239_1375
; %bb.1373:
	s_cmp_gt_i32 s11, 27
	s_cbranch_scc0 .LBB239_1376
; %bb.1374:
	s_wait_loadcnt 0x0
	global_load_b32 v3, v[12:13], off
	s_mov_b32 s12, 0
	s_wait_loadcnt 0x0
	v_cvt_f32_u32_e32 v3, v3
	s_delay_alu instid0(VALU_DEP_1) | instskip(NEXT) | instid1(VALU_DEP_1)
	v_bfe_u32 v5, v3, 16, 1
	v_add3_u32 v3, v3, v5, 0x7fff
	s_delay_alu instid0(VALU_DEP_1)
	v_lshrrev_b32_e32 v3, 16, v3
	s_branch .LBB239_1377
.LBB239_1375:
	s_mov_b32 s12, -1
                                        ; implicit-def: $vgpr3
	s_branch .LBB239_1380
.LBB239_1376:
	s_mov_b32 s12, -1
                                        ; implicit-def: $vgpr3
.LBB239_1377:
	s_delay_alu instid0(SALU_CYCLE_1)
	s_and_not1_b32 vcc_lo, exec_lo, s12
	s_cbranch_vccnz .LBB239_1379
; %bb.1378:
	s_wait_loadcnt 0x0
	global_load_u16 v3, v[12:13], off
	s_wait_loadcnt 0x0
	v_cvt_f32_u32_e32 v3, v3
	s_delay_alu instid0(VALU_DEP_1) | instskip(NEXT) | instid1(VALU_DEP_1)
	v_bfe_u32 v5, v3, 16, 1
	v_add3_u32 v3, v3, v5, 0x7fff
	s_delay_alu instid0(VALU_DEP_1)
	v_lshrrev_b32_e32 v3, 16, v3
.LBB239_1379:
	s_mov_b32 s12, 0
.LBB239_1380:
	s_delay_alu instid0(SALU_CYCLE_1)
	s_and_not1_b32 vcc_lo, exec_lo, s12
	s_cbranch_vccnz .LBB239_1388
; %bb.1381:
	s_wait_loadcnt 0x0
	global_load_u8 v3, v[12:13], off
	s_mov_b32 s12, 0
	s_mov_b32 s13, exec_lo
	s_wait_loadcnt 0x0
	v_cmpx_lt_i16_e32 0x7f, v3
	s_xor_b32 s13, exec_lo, s13
	s_cbranch_execz .LBB239_1401
; %bb.1382:
	s_mov_b32 s12, -1
	s_mov_b32 s14, exec_lo
	v_cmpx_eq_u16_e32 0x80, v3
; %bb.1383:
	s_xor_b32 s12, exec_lo, -1
; %bb.1384:
	s_or_b32 exec_lo, exec_lo, s14
	s_delay_alu instid0(SALU_CYCLE_1)
	s_and_b32 s12, s12, exec_lo
	s_or_saveexec_b32 s13, s13
	v_mov_b32_e32 v5, 0x7f800001
	s_xor_b32 exec_lo, exec_lo, s13
	s_cbranch_execnz .LBB239_1402
.LBB239_1385:
	s_or_b32 exec_lo, exec_lo, s13
	s_and_saveexec_b32 s13, s12
	s_cbranch_execz .LBB239_1387
.LBB239_1386:
	v_and_b32_e32 v5, 0xffff, v3
	s_delay_alu instid0(VALU_DEP_1) | instskip(SKIP_1) | instid1(VALU_DEP_2)
	v_dual_lshlrev_b32 v3, 24, v3 :: v_dual_bitop2_b32 v7, 7, v5 bitop3:0x40
	v_bfe_u32 v14, v5, 3, 4
	v_and_b32_e32 v3, 0x80000000, v3
	s_delay_alu instid0(VALU_DEP_3) | instskip(NEXT) | instid1(VALU_DEP_3)
	v_clz_i32_u32_e32 v9, v7
	v_cmp_eq_u32_e32 vcc_lo, 0, v14
	s_delay_alu instid0(VALU_DEP_2) | instskip(NEXT) | instid1(VALU_DEP_1)
	v_min_u32_e32 v9, 32, v9
	v_subrev_nc_u32_e32 v11, 28, v9
	v_sub_nc_u32_e32 v9, 29, v9
	s_delay_alu instid0(VALU_DEP_2) | instskip(NEXT) | instid1(VALU_DEP_2)
	v_lshlrev_b32_e32 v5, v11, v5
	v_cndmask_b32_e32 v9, v14, v9, vcc_lo
	s_delay_alu instid0(VALU_DEP_2) | instskip(NEXT) | instid1(VALU_DEP_1)
	v_and_b32_e32 v5, 7, v5
	v_cndmask_b32_e32 v5, v7, v5, vcc_lo
	s_delay_alu instid0(VALU_DEP_3) | instskip(NEXT) | instid1(VALU_DEP_2)
	v_lshl_add_u32 v7, v9, 23, 0x3b800000
	v_lshlrev_b32_e32 v5, 20, v5
	s_delay_alu instid0(VALU_DEP_1)
	v_or3_b32 v5, v3, v7, v5
.LBB239_1387:
	s_or_b32 exec_lo, exec_lo, s13
	s_delay_alu instid0(VALU_DEP_1) | instskip(SKIP_1) | instid1(VALU_DEP_2)
	v_bfe_u32 v3, v5, 16, 1
	v_cmp_o_f32_e32 vcc_lo, v5, v5
	v_add3_u32 v3, v5, v3, 0x7fff
	s_delay_alu instid0(VALU_DEP_1) | instskip(NEXT) | instid1(VALU_DEP_1)
	v_lshrrev_b32_e32 v3, 16, v3
	v_cndmask_b32_e32 v3, 0x7fc0, v3, vcc_lo
.LBB239_1388:
	s_mov_b32 s12, -1
.LBB239_1389:
	s_branch .LBB239_1422
.LBB239_1390:
	s_cmp_gt_i32 s11, 22
	s_cbranch_scc0 .LBB239_1400
; %bb.1391:
	s_cmp_lt_i32 s11, 24
	s_cbranch_scc1 .LBB239_1403
; %bb.1392:
	s_cmp_gt_i32 s11, 24
	s_cbranch_scc0 .LBB239_1404
; %bb.1393:
	s_wait_loadcnt 0x0
	global_load_u8 v3, v[12:13], off
	s_mov_b32 s12, exec_lo
	s_wait_loadcnt 0x0
	v_cmpx_lt_i16_e32 0x7f, v3
	s_xor_b32 s12, exec_lo, s12
	s_cbranch_execz .LBB239_1416
; %bb.1394:
	s_mov_b32 s1, -1
	s_mov_b32 s13, exec_lo
	v_cmpx_eq_u16_e32 0x80, v3
; %bb.1395:
	s_xor_b32 s1, exec_lo, -1
; %bb.1396:
	s_or_b32 exec_lo, exec_lo, s13
	s_delay_alu instid0(SALU_CYCLE_1)
	s_and_b32 s1, s1, exec_lo
	s_or_saveexec_b32 s12, s12
	v_mov_b32_e32 v5, 0x7f800001
	s_xor_b32 exec_lo, exec_lo, s12
	s_cbranch_execnz .LBB239_1417
.LBB239_1397:
	s_or_b32 exec_lo, exec_lo, s12
	s_and_saveexec_b32 s12, s1
	s_cbranch_execz .LBB239_1399
.LBB239_1398:
	v_and_b32_e32 v5, 0xffff, v3
	s_delay_alu instid0(VALU_DEP_1) | instskip(SKIP_1) | instid1(VALU_DEP_2)
	v_dual_lshlrev_b32 v3, 24, v3 :: v_dual_bitop2_b32 v7, 3, v5 bitop3:0x40
	v_bfe_u32 v14, v5, 2, 5
	v_and_b32_e32 v3, 0x80000000, v3
	s_delay_alu instid0(VALU_DEP_3) | instskip(NEXT) | instid1(VALU_DEP_3)
	v_clz_i32_u32_e32 v9, v7
	v_cmp_eq_u32_e32 vcc_lo, 0, v14
	s_delay_alu instid0(VALU_DEP_2) | instskip(NEXT) | instid1(VALU_DEP_1)
	v_min_u32_e32 v9, 32, v9
	v_subrev_nc_u32_e32 v11, 29, v9
	v_sub_nc_u32_e32 v9, 30, v9
	s_delay_alu instid0(VALU_DEP_2) | instskip(NEXT) | instid1(VALU_DEP_2)
	v_lshlrev_b32_e32 v5, v11, v5
	v_cndmask_b32_e32 v9, v14, v9, vcc_lo
	s_delay_alu instid0(VALU_DEP_2) | instskip(NEXT) | instid1(VALU_DEP_1)
	v_and_b32_e32 v5, 3, v5
	v_cndmask_b32_e32 v5, v7, v5, vcc_lo
	s_delay_alu instid0(VALU_DEP_3) | instskip(NEXT) | instid1(VALU_DEP_2)
	v_lshl_add_u32 v7, v9, 23, 0x37800000
	v_lshlrev_b32_e32 v5, 21, v5
	s_delay_alu instid0(VALU_DEP_1)
	v_or3_b32 v5, v3, v7, v5
.LBB239_1399:
	s_or_b32 exec_lo, exec_lo, s12
	s_delay_alu instid0(VALU_DEP_1) | instskip(SKIP_2) | instid1(VALU_DEP_2)
	v_bfe_u32 v3, v5, 16, 1
	v_cmp_o_f32_e32 vcc_lo, v5, v5
	s_mov_b32 s1, 0
	v_add3_u32 v3, v5, v3, 0x7fff
	s_delay_alu instid0(VALU_DEP_1) | instskip(NEXT) | instid1(VALU_DEP_1)
	v_lshrrev_b32_e32 v3, 16, v3
	v_cndmask_b32_e32 v3, 0x7fc0, v3, vcc_lo
	s_branch .LBB239_1405
.LBB239_1400:
	s_mov_b32 s1, -1
                                        ; implicit-def: $vgpr3
	s_branch .LBB239_1411
.LBB239_1401:
	s_or_saveexec_b32 s13, s13
	v_mov_b32_e32 v5, 0x7f800001
	s_xor_b32 exec_lo, exec_lo, s13
	s_cbranch_execz .LBB239_1385
.LBB239_1402:
	v_cmp_ne_u16_e32 vcc_lo, 0, v3
	v_mov_b32_e32 v5, 0
	s_and_not1_b32 s12, s12, exec_lo
	s_and_b32 s14, vcc_lo, exec_lo
	s_delay_alu instid0(SALU_CYCLE_1)
	s_or_b32 s12, s12, s14
	s_or_b32 exec_lo, exec_lo, s13
	s_and_saveexec_b32 s13, s12
	s_cbranch_execnz .LBB239_1386
	s_branch .LBB239_1387
.LBB239_1403:
	s_mov_b32 s1, -1
                                        ; implicit-def: $vgpr3
	s_branch .LBB239_1408
.LBB239_1404:
	s_mov_b32 s1, -1
                                        ; implicit-def: $vgpr3
.LBB239_1405:
	s_delay_alu instid0(SALU_CYCLE_1)
	s_and_b32 vcc_lo, exec_lo, s1
	s_cbranch_vccz .LBB239_1407
; %bb.1406:
	s_wait_loadcnt 0x0
	global_load_u8 v3, v[12:13], off
	s_wait_loadcnt 0x0
	v_lshlrev_b32_e32 v3, 24, v3
	s_delay_alu instid0(VALU_DEP_1) | instskip(NEXT) | instid1(VALU_DEP_1)
	v_and_b32_e32 v5, 0x7f000000, v3
	v_clz_i32_u32_e32 v7, v5
	v_add_nc_u32_e32 v11, 0x1000000, v5
	v_cmp_ne_u32_e32 vcc_lo, 0, v5
	s_delay_alu instid0(VALU_DEP_3) | instskip(NEXT) | instid1(VALU_DEP_1)
	v_min_u32_e32 v7, 32, v7
	v_sub_nc_u32_e64 v7, v7, 4 clamp
	s_delay_alu instid0(VALU_DEP_1) | instskip(NEXT) | instid1(VALU_DEP_1)
	v_dual_lshlrev_b32 v9, v7, v5 :: v_dual_lshlrev_b32 v7, 23, v7
	v_lshrrev_b32_e32 v9, 4, v9
	s_delay_alu instid0(VALU_DEP_1) | instskip(SKIP_1) | instid1(VALU_DEP_2)
	v_sub_nc_u32_e32 v7, v9, v7
	v_ashrrev_i32_e32 v9, 8, v11
	v_add_nc_u32_e32 v7, 0x3c000000, v7
	s_delay_alu instid0(VALU_DEP_1) | instskip(NEXT) | instid1(VALU_DEP_1)
	v_and_or_b32 v7, 0x7f800000, v9, v7
	v_cndmask_b32_e32 v5, 0, v7, vcc_lo
	s_delay_alu instid0(VALU_DEP_1) | instskip(SKIP_1) | instid1(VALU_DEP_2)
	v_and_or_b32 v3, 0x80000000, v3, v5
	v_bfe_u32 v5, v5, 16, 1
	v_cmp_o_f32_e32 vcc_lo, v3, v3
	s_delay_alu instid0(VALU_DEP_2) | instskip(NEXT) | instid1(VALU_DEP_1)
	v_add3_u32 v5, v3, v5, 0x7fff
	v_lshrrev_b32_e32 v5, 16, v5
	s_delay_alu instid0(VALU_DEP_1)
	v_cndmask_b32_e32 v3, 0x7fc0, v5, vcc_lo
.LBB239_1407:
	s_mov_b32 s1, 0
.LBB239_1408:
	s_delay_alu instid0(SALU_CYCLE_1)
	s_and_not1_b32 vcc_lo, exec_lo, s1
	s_cbranch_vccnz .LBB239_1410
; %bb.1409:
	s_wait_loadcnt 0x0
	global_load_u8 v3, v[12:13], off
	s_wait_loadcnt 0x0
	v_lshlrev_b32_e32 v5, 25, v3
	v_lshlrev_b16 v3, 8, v3
	s_delay_alu instid0(VALU_DEP_1) | instskip(SKIP_1) | instid1(VALU_DEP_2)
	v_and_or_b32 v9, 0x7f00, v3, 0.5
	v_bfe_i32 v3, v3, 0, 16
	v_add_f32_e32 v9, -0.5, v9
	v_lshrrev_b32_e32 v7, 4, v5
	v_cmp_gt_u32_e32 vcc_lo, 0x8000000, v5
	s_delay_alu instid0(VALU_DEP_2) | instskip(NEXT) | instid1(VALU_DEP_1)
	v_or_b32_e32 v7, 0x70000000, v7
	v_mul_f32_e32 v7, 0x7800000, v7
	s_delay_alu instid0(VALU_DEP_1) | instskip(NEXT) | instid1(VALU_DEP_1)
	v_cndmask_b32_e32 v5, v7, v9, vcc_lo
	v_and_or_b32 v3, 0x80000000, v3, v5
	v_bfe_u32 v5, v5, 16, 1
	s_delay_alu instid0(VALU_DEP_2) | instskip(NEXT) | instid1(VALU_DEP_2)
	v_cmp_o_f32_e32 vcc_lo, v3, v3
	v_add3_u32 v5, v3, v5, 0x7fff
	s_delay_alu instid0(VALU_DEP_1) | instskip(NEXT) | instid1(VALU_DEP_1)
	v_lshrrev_b32_e32 v5, 16, v5
	v_cndmask_b32_e32 v3, 0x7fc0, v5, vcc_lo
.LBB239_1410:
	s_mov_b32 s1, 0
	s_mov_b32 s12, -1
.LBB239_1411:
	s_and_not1_b32 vcc_lo, exec_lo, s1
	s_mov_b32 s1, 0
	s_cbranch_vccnz .LBB239_1422
; %bb.1412:
	s_cmp_gt_i32 s11, 14
	s_cbranch_scc0 .LBB239_1415
; %bb.1413:
	s_cmp_eq_u32 s11, 15
	s_cbranch_scc0 .LBB239_1418
; %bb.1414:
	s_wait_loadcnt 0x0
	global_load_u16 v3, v[12:13], off
	s_mov_b32 s0, 0
	s_mov_b32 s12, -1
	s_branch .LBB239_1420
.LBB239_1415:
	s_mov_b32 s1, -1
	s_branch .LBB239_1419
.LBB239_1416:
	s_or_saveexec_b32 s12, s12
	v_mov_b32_e32 v5, 0x7f800001
	s_xor_b32 exec_lo, exec_lo, s12
	s_cbranch_execz .LBB239_1397
.LBB239_1417:
	v_cmp_ne_u16_e32 vcc_lo, 0, v3
	v_mov_b32_e32 v5, 0
	s_and_not1_b32 s1, s1, exec_lo
	s_and_b32 s13, vcc_lo, exec_lo
	s_delay_alu instid0(SALU_CYCLE_1)
	s_or_b32 s1, s1, s13
	s_or_b32 exec_lo, exec_lo, s12
	s_and_saveexec_b32 s12, s1
	s_cbranch_execnz .LBB239_1398
	s_branch .LBB239_1399
.LBB239_1418:
	s_mov_b32 s0, -1
.LBB239_1419:
                                        ; implicit-def: $vgpr3
.LBB239_1420:
	s_and_b32 vcc_lo, exec_lo, s1
	s_mov_b32 s1, 0
	s_cbranch_vccz .LBB239_1422
; %bb.1421:
	s_cmp_lg_u32 s11, 11
	s_mov_b32 s1, -1
	s_cselect_b32 s0, -1, 0
.LBB239_1422:
	s_delay_alu instid0(SALU_CYCLE_1)
	s_and_b32 vcc_lo, exec_lo, s0
	s_cbranch_vccnz .LBB239_1497
; %bb.1423:
	s_and_not1_b32 vcc_lo, exec_lo, s1
	s_cbranch_vccnz .LBB239_1425
.LBB239_1424:
	s_wait_loadcnt 0x0
	global_load_u8 v3, v[12:13], off
	s_mov_b32 s12, -1
	s_wait_loadcnt 0x0
	v_cmp_ne_u16_e32 vcc_lo, 0, v3
	v_cndmask_b32_e64 v3, 0, 1.0, vcc_lo
	s_delay_alu instid0(VALU_DEP_1)
	v_lshrrev_b32_e32 v3, 16, v3
.LBB239_1425:
	s_branch .LBB239_1351
.LBB239_1426:
	s_cmp_lt_i32 s11, 5
	s_cbranch_scc1 .LBB239_1431
; %bb.1427:
	s_cmp_lt_i32 s11, 8
	s_cbranch_scc1 .LBB239_1432
; %bb.1428:
	;; [unrolled: 3-line block ×3, first 2 shown]
	s_cmp_gt_i32 s11, 9
	s_cbranch_scc0 .LBB239_1434
; %bb.1430:
	global_load_b64 v[14:15], v[12:13], off
	s_mov_b32 s0, 0
	s_wait_loadcnt 0x0
	v_cvt_f32_f64_e32 v3, v[14:15]
	s_delay_alu instid0(VALU_DEP_1) | instskip(SKIP_1) | instid1(VALU_DEP_2)
	v_bfe_u32 v5, v3, 16, 1
	v_cmp_o_f32_e32 vcc_lo, v3, v3
	v_add3_u32 v5, v3, v5, 0x7fff
	s_delay_alu instid0(VALU_DEP_1) | instskip(NEXT) | instid1(VALU_DEP_1)
	v_lshrrev_b32_e32 v5, 16, v5
	v_cndmask_b32_e32 v3, 0x7fc0, v5, vcc_lo
	s_branch .LBB239_1435
.LBB239_1431:
                                        ; implicit-def: $vgpr3
	s_branch .LBB239_1453
.LBB239_1432:
	s_mov_b32 s0, -1
                                        ; implicit-def: $vgpr3
	s_branch .LBB239_1441
.LBB239_1433:
	s_mov_b32 s0, -1
                                        ; implicit-def: $vgpr3
	s_branch .LBB239_1438
.LBB239_1434:
	s_mov_b32 s0, -1
                                        ; implicit-def: $vgpr3
.LBB239_1435:
	s_delay_alu instid0(SALU_CYCLE_1)
	s_and_not1_b32 vcc_lo, exec_lo, s0
	s_cbranch_vccnz .LBB239_1437
; %bb.1436:
	s_wait_loadcnt 0x0
	global_load_b32 v3, v[12:13], off
	s_wait_loadcnt 0x0
	v_bfe_u32 v5, v3, 16, 1
	v_cmp_o_f32_e32 vcc_lo, v3, v3
	s_delay_alu instid0(VALU_DEP_2) | instskip(NEXT) | instid1(VALU_DEP_1)
	v_add3_u32 v5, v3, v5, 0x7fff
	v_lshrrev_b32_e32 v5, 16, v5
	s_delay_alu instid0(VALU_DEP_1)
	v_cndmask_b32_e32 v3, 0x7fc0, v5, vcc_lo
.LBB239_1437:
	s_mov_b32 s0, 0
.LBB239_1438:
	s_delay_alu instid0(SALU_CYCLE_1)
	s_and_not1_b32 vcc_lo, exec_lo, s0
	s_cbranch_vccnz .LBB239_1440
; %bb.1439:
	s_wait_loadcnt 0x0
	global_load_b32 v3, v[12:13], off
	s_wait_loadcnt 0x0
	v_cvt_f32_f16_e32 v5, v3
	v_cmp_o_f16_e32 vcc_lo, v3, v3
	s_delay_alu instid0(VALU_DEP_2) | instskip(NEXT) | instid1(VALU_DEP_1)
	v_bfe_u32 v7, v5, 16, 1
	v_add3_u32 v5, v5, v7, 0x7fff
	s_delay_alu instid0(VALU_DEP_1) | instskip(NEXT) | instid1(VALU_DEP_1)
	v_lshrrev_b32_e32 v5, 16, v5
	v_cndmask_b32_e32 v3, 0x7fc0, v5, vcc_lo
.LBB239_1440:
	s_mov_b32 s0, 0
.LBB239_1441:
	s_delay_alu instid0(SALU_CYCLE_1)
	s_and_not1_b32 vcc_lo, exec_lo, s0
	s_cbranch_vccnz .LBB239_1452
; %bb.1442:
	s_cmp_lt_i32 s11, 6
	s_cbranch_scc1 .LBB239_1445
; %bb.1443:
	s_cmp_gt_i32 s11, 6
	s_cbranch_scc0 .LBB239_1446
; %bb.1444:
	global_load_b64 v[14:15], v[12:13], off
	s_mov_b32 s0, 0
	s_wait_loadcnt 0x0
	v_cvt_f32_f64_e32 v3, v[14:15]
	s_delay_alu instid0(VALU_DEP_1) | instskip(SKIP_1) | instid1(VALU_DEP_2)
	v_bfe_u32 v5, v3, 16, 1
	v_cmp_o_f32_e32 vcc_lo, v3, v3
	v_add3_u32 v5, v3, v5, 0x7fff
	s_delay_alu instid0(VALU_DEP_1) | instskip(NEXT) | instid1(VALU_DEP_1)
	v_lshrrev_b32_e32 v5, 16, v5
	v_cndmask_b32_e32 v3, 0x7fc0, v5, vcc_lo
	s_branch .LBB239_1447
.LBB239_1445:
	s_mov_b32 s0, -1
                                        ; implicit-def: $vgpr3
	s_branch .LBB239_1450
.LBB239_1446:
	s_mov_b32 s0, -1
                                        ; implicit-def: $vgpr3
.LBB239_1447:
	s_delay_alu instid0(SALU_CYCLE_1)
	s_and_not1_b32 vcc_lo, exec_lo, s0
	s_cbranch_vccnz .LBB239_1449
; %bb.1448:
	s_wait_loadcnt 0x0
	global_load_b32 v3, v[12:13], off
	s_wait_loadcnt 0x0
	v_bfe_u32 v5, v3, 16, 1
	v_cmp_o_f32_e32 vcc_lo, v3, v3
	s_delay_alu instid0(VALU_DEP_2) | instskip(NEXT) | instid1(VALU_DEP_1)
	v_add3_u32 v5, v3, v5, 0x7fff
	v_lshrrev_b32_e32 v5, 16, v5
	s_delay_alu instid0(VALU_DEP_1)
	v_cndmask_b32_e32 v3, 0x7fc0, v5, vcc_lo
.LBB239_1449:
	s_mov_b32 s0, 0
.LBB239_1450:
	s_delay_alu instid0(SALU_CYCLE_1)
	s_and_not1_b32 vcc_lo, exec_lo, s0
	s_cbranch_vccnz .LBB239_1452
; %bb.1451:
	s_wait_loadcnt 0x0
	global_load_u16 v3, v[12:13], off
	s_wait_loadcnt 0x0
	v_cvt_f32_f16_e32 v5, v3
	v_cmp_o_f16_e32 vcc_lo, v3, v3
	s_delay_alu instid0(VALU_DEP_2) | instskip(NEXT) | instid1(VALU_DEP_1)
	v_bfe_u32 v7, v5, 16, 1
	v_add3_u32 v5, v5, v7, 0x7fff
	s_delay_alu instid0(VALU_DEP_1) | instskip(NEXT) | instid1(VALU_DEP_1)
	v_lshrrev_b32_e32 v5, 16, v5
	v_cndmask_b32_e32 v3, 0x7fc0, v5, vcc_lo
.LBB239_1452:
	s_cbranch_execnz .LBB239_1472
.LBB239_1453:
	s_cmp_lt_i32 s11, 2
	s_cbranch_scc1 .LBB239_1457
; %bb.1454:
	s_cmp_lt_i32 s11, 3
	s_cbranch_scc1 .LBB239_1458
; %bb.1455:
	s_cmp_gt_i32 s11, 3
	s_cbranch_scc0 .LBB239_1459
; %bb.1456:
	global_load_b64 v[14:15], v[12:13], off
	s_mov_b32 s0, 0
	s_wait_loadcnt 0x0
	v_xor_b32_e32 v3, v14, v15
	v_cls_i32_e32 v5, v15
	s_delay_alu instid0(VALU_DEP_2) | instskip(NEXT) | instid1(VALU_DEP_1)
	v_ashrrev_i32_e32 v3, 31, v3
	v_add_nc_u32_e32 v3, 32, v3
	s_delay_alu instid0(VALU_DEP_1) | instskip(NEXT) | instid1(VALU_DEP_1)
	v_add_min_u32_e64 v3, v5, -1, v3
	v_lshlrev_b64_e32 v[14:15], v3, v[14:15]
	v_sub_nc_u32_e32 v3, 32, v3
	s_delay_alu instid0(VALU_DEP_2) | instskip(NEXT) | instid1(VALU_DEP_1)
	v_min_u32_e32 v5, 1, v14
	v_or_b32_e32 v5, v15, v5
	s_delay_alu instid0(VALU_DEP_1) | instskip(NEXT) | instid1(VALU_DEP_1)
	v_cvt_f32_i32_e32 v5, v5
	v_ldexp_f32 v3, v5, v3
	s_delay_alu instid0(VALU_DEP_1) | instskip(NEXT) | instid1(VALU_DEP_1)
	v_bfe_u32 v5, v3, 16, 1
	v_add3_u32 v3, v3, v5, 0x7fff
	s_delay_alu instid0(VALU_DEP_1)
	v_lshrrev_b32_e32 v3, 16, v3
	s_branch .LBB239_1460
.LBB239_1457:
	s_mov_b32 s0, -1
                                        ; implicit-def: $vgpr3
	s_branch .LBB239_1466
.LBB239_1458:
	s_mov_b32 s0, -1
                                        ; implicit-def: $vgpr3
	s_branch .LBB239_1463
.LBB239_1459:
	s_mov_b32 s0, -1
                                        ; implicit-def: $vgpr3
.LBB239_1460:
	s_delay_alu instid0(SALU_CYCLE_1)
	s_and_not1_b32 vcc_lo, exec_lo, s0
	s_cbranch_vccnz .LBB239_1462
; %bb.1461:
	s_wait_loadcnt 0x0
	global_load_b32 v3, v[12:13], off
	s_wait_loadcnt 0x0
	v_cvt_f32_i32_e32 v3, v3
	s_delay_alu instid0(VALU_DEP_1) | instskip(NEXT) | instid1(VALU_DEP_1)
	v_bfe_u32 v5, v3, 16, 1
	v_add3_u32 v3, v3, v5, 0x7fff
	s_delay_alu instid0(VALU_DEP_1)
	v_lshrrev_b32_e32 v3, 16, v3
.LBB239_1462:
	s_mov_b32 s0, 0
.LBB239_1463:
	s_delay_alu instid0(SALU_CYCLE_1)
	s_and_not1_b32 vcc_lo, exec_lo, s0
	s_cbranch_vccnz .LBB239_1465
; %bb.1464:
	s_wait_loadcnt 0x0
	global_load_i16 v3, v[12:13], off
	s_wait_loadcnt 0x0
	v_cvt_f32_i32_e32 v3, v3
	s_delay_alu instid0(VALU_DEP_1) | instskip(NEXT) | instid1(VALU_DEP_1)
	v_bfe_u32 v5, v3, 16, 1
	v_add3_u32 v3, v3, v5, 0x7fff
	s_delay_alu instid0(VALU_DEP_1)
	v_lshrrev_b32_e32 v3, 16, v3
.LBB239_1465:
	s_mov_b32 s0, 0
.LBB239_1466:
	s_delay_alu instid0(SALU_CYCLE_1)
	s_and_not1_b32 vcc_lo, exec_lo, s0
	s_cbranch_vccnz .LBB239_1472
; %bb.1467:
	s_cmp_gt_i32 s11, 0
	s_mov_b32 s0, 0
	s_cbranch_scc0 .LBB239_1469
; %bb.1468:
	s_wait_loadcnt 0x0
	global_load_i8 v3, v[12:13], off
	s_wait_loadcnt 0x0
	v_cvt_f32_i32_e32 v3, v3
	s_delay_alu instid0(VALU_DEP_1) | instskip(NEXT) | instid1(VALU_DEP_1)
	v_bfe_u32 v5, v3, 16, 1
	v_add3_u32 v3, v3, v5, 0x7fff
	s_delay_alu instid0(VALU_DEP_1)
	v_lshrrev_b32_e32 v3, 16, v3
	s_branch .LBB239_1470
.LBB239_1469:
	s_mov_b32 s0, -1
                                        ; implicit-def: $vgpr3
.LBB239_1470:
	s_delay_alu instid0(SALU_CYCLE_1)
	s_and_not1_b32 vcc_lo, exec_lo, s0
	s_cbranch_vccnz .LBB239_1472
; %bb.1471:
	s_wait_loadcnt 0x0
	global_load_u8 v3, v[12:13], off
	s_wait_loadcnt 0x0
	v_cvt_f32_ubyte0_e32 v3, v3
	s_delay_alu instid0(VALU_DEP_1) | instskip(NEXT) | instid1(VALU_DEP_1)
	v_bfe_u32 v5, v3, 16, 1
	v_add3_u32 v3, v3, v5, 0x7fff
	s_delay_alu instid0(VALU_DEP_1)
	v_lshrrev_b32_e32 v3, 16, v3
.LBB239_1472:
.LBB239_1473:
	s_wait_loadcnt 0x0
	s_delay_alu instid0(VALU_DEP_1) | instskip(SKIP_2) | instid1(VALU_DEP_1)
	v_lshlrev_b32_e32 v5, 16, v3
	s_mov_b32 s12, exec_lo
	s_wait_xcnt 0x0
	v_cmpx_o_f32_e32 v5, v5
	s_cbranch_execz .LBB239_1485
; %bb.1474:
	s_load_b64 s[0:1], s[2:3], 0x158
	s_mov_b32 s13, 0
	s_wait_kmcnt 0x0
	s_cmp_lt_i32 s0, 1
	s_cbranch_scc1 .LBB239_1477
; %bb.1475:
	s_cmp_eq_u32 s0, 1
	s_cbranch_scc0 .LBB239_1480
; %bb.1476:
	v_max_num_f32_e64 v3, s1, s1
	v_max_num_f32_e32 v7, v5, v5
	s_mov_b32 s14, 0
	s_delay_alu instid0(VALU_DEP_1) | instskip(NEXT) | instid1(VALU_DEP_1)
	v_min_num_f32_e32 v3, v7, v3
	v_bfe_u32 v7, v3, 16, 1
	s_delay_alu instid0(VALU_DEP_1) | instskip(NEXT) | instid1(VALU_DEP_1)
	v_add3_u32 v3, v3, v7, 0x7fff
	v_lshrrev_b32_e32 v3, 16, v3
	s_branch .LBB239_1481
.LBB239_1477:
	s_mov_b32 s14, 0
                                        ; implicit-def: $vgpr3
	s_cbranch_execnz .LBB239_1482
.LBB239_1478:
	s_and_not1_b32 vcc_lo, exec_lo, s14
	s_cbranch_vccnz .LBB239_1483
.LBB239_1479:
	s_load_b32 s0, s[2:3], 0x160
	v_max_num_f32_e64 v3, s1, s1
	v_max_num_f32_e32 v7, v5, v5
	s_wait_kmcnt 0x0
	v_max_num_f32_e64 v9, s0, s0
	s_delay_alu instid0(VALU_DEP_1) | instskip(NEXT) | instid1(VALU_DEP_1)
	v_maxmin_num_f32 v3, v7, v3, v9
	v_bfe_u32 v7, v3, 16, 1
	s_delay_alu instid0(VALU_DEP_1) | instskip(NEXT) | instid1(VALU_DEP_1)
	v_add3_u32 v3, v3, v7, 0x7fff
	v_lshrrev_b32_e32 v3, 16, v3
	s_cbranch_execz .LBB239_1484
	s_branch .LBB239_1485
.LBB239_1480:
	s_mov_b32 s14, -1
                                        ; implicit-def: $vgpr3
.LBB239_1481:
	s_branch .LBB239_1478
.LBB239_1482:
	s_cmp_lg_u32 s0, 0
	s_mov_b32 s13, -1
	s_cselect_b32 s14, -1, 0
	s_delay_alu instid0(SALU_CYCLE_1)
	s_and_not1_b32 vcc_lo, exec_lo, s14
	s_cbranch_vccz .LBB239_1479
.LBB239_1483:
	s_and_not1_b32 vcc_lo, exec_lo, s13
	s_cbranch_vccnz .LBB239_1485
.LBB239_1484:
	v_max_num_f32_e64 v3, s1, s1
	v_max_num_f32_e32 v5, v5, v5
	s_delay_alu instid0(VALU_DEP_1) | instskip(NEXT) | instid1(VALU_DEP_1)
	v_max_num_f32_e32 v3, v5, v3
	v_bfe_u32 v5, v3, 16, 1
	s_delay_alu instid0(VALU_DEP_1) | instskip(NEXT) | instid1(VALU_DEP_1)
	v_add3_u32 v3, v3, v5, 0x7fff
	v_lshrrev_b32_e32 v3, 16, v3
.LBB239_1485:
	s_or_b32 exec_lo, exec_lo, s12
	v_mov_b32_e32 v11, 0
	s_cmp_lt_i32 s11, 11
	s_delay_alu instid0(VALU_DEP_1)
	v_add_nc_u64_e32 v[10:11], s[6:7], v[10:11]
	s_cbranch_scc1 .LBB239_1492
; %bb.1486:
	s_cmp_gt_i32 s11, 25
	s_mov_b32 s1, 0
	s_cbranch_scc0 .LBB239_1494
; %bb.1487:
	s_cmp_gt_i32 s11, 28
	s_cbranch_scc0 .LBB239_1495
; %bb.1488:
	s_cmp_gt_i32 s11, 43
	;; [unrolled: 3-line block ×3, first 2 shown]
	s_cbranch_scc0 .LBB239_1498
; %bb.1490:
	s_cmp_eq_u32 s11, 46
	s_mov_b32 s13, 0
	s_cbranch_scc0 .LBB239_1499
; %bb.1491:
	global_load_b32 v12, v[10:11], off
	s_mov_b32 s0, 0
	s_mov_b32 s12, -1
	s_branch .LBB239_1501
.LBB239_1492:
	s_mov_b32 s12, 0
                                        ; implicit-def: $vgpr12
	s_cbranch_execnz .LBB239_1567
.LBB239_1493:
	s_and_not1_b32 vcc_lo, exec_lo, s12
	s_cbranch_vccnz .LBB239_1763
	s_branch .LBB239_1615
.LBB239_1494:
	s_mov_b32 s13, -1
	s_mov_b32 s12, 0
	s_mov_b32 s0, 0
                                        ; implicit-def: $vgpr12
	s_branch .LBB239_1530
.LBB239_1495:
	s_mov_b32 s13, -1
	s_mov_b32 s12, 0
	s_mov_b32 s0, 0
                                        ; implicit-def: $vgpr12
	s_branch .LBB239_1511
.LBB239_1496:
	s_mov_b32 s13, -1
	s_mov_b32 s12, 0
	s_mov_b32 s0, 0
                                        ; implicit-def: $vgpr12
	s_branch .LBB239_1506
.LBB239_1497:
	s_or_b32 s10, s10, exec_lo
	s_trap 2
	s_cbranch_execz .LBB239_1424
	s_branch .LBB239_1425
.LBB239_1498:
	s_mov_b32 s13, -1
	s_mov_b32 s12, 0
	s_mov_b32 s0, 0
	s_branch .LBB239_1500
.LBB239_1499:
	s_mov_b32 s0, -1
	s_mov_b32 s12, 0
.LBB239_1500:
                                        ; implicit-def: $vgpr12
.LBB239_1501:
	s_and_b32 vcc_lo, exec_lo, s13
	s_cbranch_vccz .LBB239_1505
; %bb.1502:
	s_cmp_eq_u32 s11, 44
	s_cbranch_scc0 .LBB239_1504
; %bb.1503:
	global_load_u8 v5, v[10:11], off
	s_mov_b32 s0, 0
	s_mov_b32 s12, -1
	s_wait_loadcnt 0x0
	v_lshlrev_b32_e32 v7, 23, v5
	v_cmp_ne_u32_e32 vcc_lo, 0xff, v5
	s_delay_alu instid0(VALU_DEP_2) | instskip(SKIP_1) | instid1(VALU_DEP_2)
	v_cndmask_b32_e32 v7, 0x7f800001, v7, vcc_lo
	v_cmp_ne_u32_e32 vcc_lo, 0, v5
	v_cndmask_b32_e32 v5, 0x400000, v7, vcc_lo
	s_delay_alu instid0(VALU_DEP_1) | instskip(SKIP_1) | instid1(VALU_DEP_2)
	v_add_nc_u32_e32 v7, 0x7fff, v5
	v_cmp_o_f32_e32 vcc_lo, v5, v5
	v_lshrrev_b32_e32 v7, 16, v7
	s_delay_alu instid0(VALU_DEP_1)
	v_cndmask_b32_e32 v12, 0x7fc0, v7, vcc_lo
	s_branch .LBB239_1505
.LBB239_1504:
	s_mov_b32 s0, -1
                                        ; implicit-def: $vgpr12
.LBB239_1505:
	s_mov_b32 s13, 0
.LBB239_1506:
	s_delay_alu instid0(SALU_CYCLE_1)
	s_and_b32 vcc_lo, exec_lo, s13
	s_cbranch_vccz .LBB239_1510
; %bb.1507:
	s_cmp_eq_u32 s11, 29
	s_cbranch_scc0 .LBB239_1509
; %bb.1508:
	s_wait_loadcnt 0x0
	global_load_b64 v[12:13], v[10:11], off
	s_mov_b32 s0, 0
	s_mov_b32 s12, -1
	s_mov_b32 s13, 0
	s_wait_loadcnt 0x0
	v_clz_i32_u32_e32 v5, v13
	s_delay_alu instid0(VALU_DEP_1) | instskip(NEXT) | instid1(VALU_DEP_1)
	v_min_u32_e32 v5, 32, v5
	v_lshlrev_b64_e32 v[12:13], v5, v[12:13]
	v_sub_nc_u32_e32 v5, 32, v5
	s_delay_alu instid0(VALU_DEP_2) | instskip(NEXT) | instid1(VALU_DEP_1)
	v_min_u32_e32 v7, 1, v12
	v_or_b32_e32 v7, v13, v7
	s_delay_alu instid0(VALU_DEP_1) | instskip(NEXT) | instid1(VALU_DEP_1)
	v_cvt_f32_u32_e32 v7, v7
	v_ldexp_f32 v5, v7, v5
	s_delay_alu instid0(VALU_DEP_1) | instskip(NEXT) | instid1(VALU_DEP_1)
	v_bfe_u32 v7, v5, 16, 1
	v_add3_u32 v5, v5, v7, 0x7fff
	s_delay_alu instid0(VALU_DEP_1)
	v_lshrrev_b32_e32 v12, 16, v5
	s_branch .LBB239_1511
.LBB239_1509:
	s_mov_b32 s0, -1
                                        ; implicit-def: $vgpr12
.LBB239_1510:
	s_mov_b32 s13, 0
.LBB239_1511:
	s_delay_alu instid0(SALU_CYCLE_1)
	s_and_b32 vcc_lo, exec_lo, s13
	s_cbranch_vccz .LBB239_1529
; %bb.1512:
	s_cmp_lt_i32 s11, 27
	s_cbranch_scc1 .LBB239_1515
; %bb.1513:
	s_cmp_gt_i32 s11, 27
	s_cbranch_scc0 .LBB239_1516
; %bb.1514:
	global_load_b32 v5, v[10:11], off
	s_mov_b32 s12, 0
	s_wait_loadcnt 0x0
	v_cvt_f32_u32_e32 v5, v5
	s_delay_alu instid0(VALU_DEP_1) | instskip(NEXT) | instid1(VALU_DEP_1)
	v_bfe_u32 v7, v5, 16, 1
	v_add3_u32 v5, v5, v7, 0x7fff
	s_delay_alu instid0(VALU_DEP_1)
	v_lshrrev_b32_e32 v12, 16, v5
	s_branch .LBB239_1517
.LBB239_1515:
	s_mov_b32 s12, -1
                                        ; implicit-def: $vgpr12
	s_branch .LBB239_1520
.LBB239_1516:
	s_mov_b32 s12, -1
                                        ; implicit-def: $vgpr12
.LBB239_1517:
	s_delay_alu instid0(SALU_CYCLE_1)
	s_and_not1_b32 vcc_lo, exec_lo, s12
	s_cbranch_vccnz .LBB239_1519
; %bb.1518:
	global_load_u16 v5, v[10:11], off
	s_wait_loadcnt 0x0
	v_cvt_f32_u32_e32 v5, v5
	s_delay_alu instid0(VALU_DEP_1) | instskip(NEXT) | instid1(VALU_DEP_1)
	v_bfe_u32 v7, v5, 16, 1
	v_add3_u32 v5, v5, v7, 0x7fff
	s_delay_alu instid0(VALU_DEP_1)
	v_lshrrev_b32_e32 v12, 16, v5
.LBB239_1519:
	s_mov_b32 s12, 0
.LBB239_1520:
	s_delay_alu instid0(SALU_CYCLE_1)
	s_and_not1_b32 vcc_lo, exec_lo, s12
	s_cbranch_vccnz .LBB239_1528
; %bb.1521:
	global_load_u8 v5, v[10:11], off
	s_mov_b32 s12, 0
	s_mov_b32 s13, exec_lo
	s_wait_loadcnt 0x0
	v_cmpx_lt_i16_e32 0x7f, v5
	s_xor_b32 s13, exec_lo, s13
	s_cbranch_execz .LBB239_1542
; %bb.1522:
	s_mov_b32 s12, -1
	s_mov_b32 s14, exec_lo
	v_cmpx_eq_u16_e32 0x80, v5
; %bb.1523:
	s_xor_b32 s12, exec_lo, -1
; %bb.1524:
	s_or_b32 exec_lo, exec_lo, s14
	s_delay_alu instid0(SALU_CYCLE_1)
	s_and_b32 s12, s12, exec_lo
	s_or_saveexec_b32 s13, s13
	v_mov_b32_e32 v7, 0x7f800001
	s_xor_b32 exec_lo, exec_lo, s13
	s_cbranch_execnz .LBB239_1543
.LBB239_1525:
	s_or_b32 exec_lo, exec_lo, s13
	s_and_saveexec_b32 s13, s12
	s_cbranch_execz .LBB239_1527
.LBB239_1526:
	v_and_b32_e32 v7, 0xffff, v5
	s_delay_alu instid0(VALU_DEP_1) | instskip(SKIP_1) | instid1(VALU_DEP_2)
	v_and_b32_e32 v9, 7, v7
	v_bfe_u32 v14, v7, 3, 4
	v_clz_i32_u32_e32 v12, v9
	s_delay_alu instid0(VALU_DEP_2) | instskip(NEXT) | instid1(VALU_DEP_2)
	v_cmp_eq_u32_e32 vcc_lo, 0, v14
	v_min_u32_e32 v12, 32, v12
	s_delay_alu instid0(VALU_DEP_1) | instskip(NEXT) | instid1(VALU_DEP_1)
	v_subrev_nc_u32_e32 v13, 28, v12
	v_dual_lshlrev_b32 v7, v13, v7 :: v_dual_sub_nc_u32 v12, 29, v12
	s_delay_alu instid0(VALU_DEP_1) | instskip(NEXT) | instid1(VALU_DEP_1)
	v_dual_lshlrev_b32 v5, 24, v5 :: v_dual_bitop2_b32 v7, 7, v7 bitop3:0x40
	v_dual_cndmask_b32 v12, v14, v12 :: v_dual_cndmask_b32 v7, v9, v7
	s_delay_alu instid0(VALU_DEP_2) | instskip(NEXT) | instid1(VALU_DEP_2)
	v_and_b32_e32 v5, 0x80000000, v5
	v_lshl_add_u32 v9, v12, 23, 0x3b800000
	s_delay_alu instid0(VALU_DEP_3) | instskip(NEXT) | instid1(VALU_DEP_1)
	v_lshlrev_b32_e32 v7, 20, v7
	v_or3_b32 v7, v5, v9, v7
.LBB239_1527:
	s_or_b32 exec_lo, exec_lo, s13
	s_delay_alu instid0(VALU_DEP_1) | instskip(SKIP_1) | instid1(VALU_DEP_2)
	v_bfe_u32 v5, v7, 16, 1
	v_cmp_o_f32_e32 vcc_lo, v7, v7
	v_add3_u32 v5, v7, v5, 0x7fff
	s_delay_alu instid0(VALU_DEP_1) | instskip(NEXT) | instid1(VALU_DEP_1)
	v_lshrrev_b32_e32 v5, 16, v5
	v_cndmask_b32_e32 v12, 0x7fc0, v5, vcc_lo
.LBB239_1528:
	s_mov_b32 s12, -1
.LBB239_1529:
	s_mov_b32 s13, 0
.LBB239_1530:
	s_delay_alu instid0(SALU_CYCLE_1)
	s_and_b32 vcc_lo, exec_lo, s13
	s_cbranch_vccz .LBB239_1563
; %bb.1531:
	s_cmp_gt_i32 s11, 22
	s_cbranch_scc0 .LBB239_1541
; %bb.1532:
	s_cmp_lt_i32 s11, 24
	s_cbranch_scc1 .LBB239_1544
; %bb.1533:
	s_cmp_gt_i32 s11, 24
	s_cbranch_scc0 .LBB239_1545
; %bb.1534:
	global_load_u8 v5, v[10:11], off
	s_mov_b32 s12, exec_lo
	s_wait_loadcnt 0x0
	v_cmpx_lt_i16_e32 0x7f, v5
	s_xor_b32 s12, exec_lo, s12
	s_cbranch_execz .LBB239_1557
; %bb.1535:
	s_mov_b32 s1, -1
	s_mov_b32 s13, exec_lo
	v_cmpx_eq_u16_e32 0x80, v5
; %bb.1536:
	s_xor_b32 s1, exec_lo, -1
; %bb.1537:
	s_or_b32 exec_lo, exec_lo, s13
	s_delay_alu instid0(SALU_CYCLE_1)
	s_and_b32 s1, s1, exec_lo
	s_or_saveexec_b32 s12, s12
	v_mov_b32_e32 v7, 0x7f800001
	s_xor_b32 exec_lo, exec_lo, s12
	s_cbranch_execnz .LBB239_1558
.LBB239_1538:
	s_or_b32 exec_lo, exec_lo, s12
	s_and_saveexec_b32 s12, s1
	s_cbranch_execz .LBB239_1540
.LBB239_1539:
	v_and_b32_e32 v7, 0xffff, v5
	s_delay_alu instid0(VALU_DEP_1) | instskip(SKIP_1) | instid1(VALU_DEP_2)
	v_and_b32_e32 v9, 3, v7
	v_bfe_u32 v14, v7, 2, 5
	v_clz_i32_u32_e32 v12, v9
	s_delay_alu instid0(VALU_DEP_2) | instskip(NEXT) | instid1(VALU_DEP_2)
	v_cmp_eq_u32_e32 vcc_lo, 0, v14
	v_min_u32_e32 v12, 32, v12
	s_delay_alu instid0(VALU_DEP_1) | instskip(NEXT) | instid1(VALU_DEP_1)
	v_subrev_nc_u32_e32 v13, 29, v12
	v_dual_lshlrev_b32 v7, v13, v7 :: v_dual_sub_nc_u32 v12, 30, v12
	s_delay_alu instid0(VALU_DEP_1) | instskip(NEXT) | instid1(VALU_DEP_1)
	v_dual_lshlrev_b32 v5, 24, v5 :: v_dual_bitop2_b32 v7, 3, v7 bitop3:0x40
	v_dual_cndmask_b32 v12, v14, v12 :: v_dual_cndmask_b32 v7, v9, v7
	s_delay_alu instid0(VALU_DEP_2) | instskip(NEXT) | instid1(VALU_DEP_2)
	v_and_b32_e32 v5, 0x80000000, v5
	v_lshl_add_u32 v9, v12, 23, 0x37800000
	s_delay_alu instid0(VALU_DEP_3) | instskip(NEXT) | instid1(VALU_DEP_1)
	v_lshlrev_b32_e32 v7, 21, v7
	v_or3_b32 v7, v5, v9, v7
.LBB239_1540:
	s_or_b32 exec_lo, exec_lo, s12
	s_delay_alu instid0(VALU_DEP_1) | instskip(SKIP_2) | instid1(VALU_DEP_2)
	v_bfe_u32 v5, v7, 16, 1
	v_cmp_o_f32_e32 vcc_lo, v7, v7
	s_mov_b32 s1, 0
	v_add3_u32 v5, v7, v5, 0x7fff
	s_delay_alu instid0(VALU_DEP_1) | instskip(NEXT) | instid1(VALU_DEP_1)
	v_lshrrev_b32_e32 v5, 16, v5
	v_cndmask_b32_e32 v12, 0x7fc0, v5, vcc_lo
	s_branch .LBB239_1546
.LBB239_1541:
	s_mov_b32 s1, -1
                                        ; implicit-def: $vgpr12
	s_branch .LBB239_1552
.LBB239_1542:
	s_or_saveexec_b32 s13, s13
	v_mov_b32_e32 v7, 0x7f800001
	s_xor_b32 exec_lo, exec_lo, s13
	s_cbranch_execz .LBB239_1525
.LBB239_1543:
	v_cmp_ne_u16_e32 vcc_lo, 0, v5
	v_mov_b32_e32 v7, 0
	s_and_not1_b32 s12, s12, exec_lo
	s_and_b32 s14, vcc_lo, exec_lo
	s_delay_alu instid0(SALU_CYCLE_1)
	s_or_b32 s12, s12, s14
	s_or_b32 exec_lo, exec_lo, s13
	s_and_saveexec_b32 s13, s12
	s_cbranch_execnz .LBB239_1526
	s_branch .LBB239_1527
.LBB239_1544:
	s_mov_b32 s1, -1
                                        ; implicit-def: $vgpr12
	s_branch .LBB239_1549
.LBB239_1545:
	s_mov_b32 s1, -1
                                        ; implicit-def: $vgpr12
.LBB239_1546:
	s_delay_alu instid0(SALU_CYCLE_1)
	s_and_b32 vcc_lo, exec_lo, s1
	s_cbranch_vccz .LBB239_1548
; %bb.1547:
	global_load_u8 v5, v[10:11], off
	s_wait_loadcnt 0x0
	v_lshlrev_b32_e32 v5, 24, v5
	s_delay_alu instid0(VALU_DEP_1) | instskip(NEXT) | instid1(VALU_DEP_1)
	v_and_b32_e32 v7, 0x7f000000, v5
	v_clz_i32_u32_e32 v9, v7
	v_add_nc_u32_e32 v13, 0x1000000, v7
	v_cmp_ne_u32_e32 vcc_lo, 0, v7
	s_delay_alu instid0(VALU_DEP_3) | instskip(NEXT) | instid1(VALU_DEP_1)
	v_min_u32_e32 v9, 32, v9
	v_sub_nc_u32_e64 v9, v9, 4 clamp
	s_delay_alu instid0(VALU_DEP_1) | instskip(NEXT) | instid1(VALU_DEP_1)
	v_dual_lshlrev_b32 v12, v9, v7 :: v_dual_lshlrev_b32 v9, 23, v9
	v_lshrrev_b32_e32 v12, 4, v12
	s_delay_alu instid0(VALU_DEP_1) | instskip(SKIP_1) | instid1(VALU_DEP_2)
	v_sub_nc_u32_e32 v9, v12, v9
	v_ashrrev_i32_e32 v12, 8, v13
	v_add_nc_u32_e32 v9, 0x3c000000, v9
	s_delay_alu instid0(VALU_DEP_1) | instskip(NEXT) | instid1(VALU_DEP_1)
	v_and_or_b32 v9, 0x7f800000, v12, v9
	v_cndmask_b32_e32 v7, 0, v9, vcc_lo
	s_delay_alu instid0(VALU_DEP_1) | instskip(SKIP_1) | instid1(VALU_DEP_2)
	v_and_or_b32 v5, 0x80000000, v5, v7
	v_bfe_u32 v7, v7, 16, 1
	v_cmp_o_f32_e32 vcc_lo, v5, v5
	s_delay_alu instid0(VALU_DEP_2) | instskip(NEXT) | instid1(VALU_DEP_1)
	v_add3_u32 v7, v5, v7, 0x7fff
	v_lshrrev_b32_e32 v7, 16, v7
	s_delay_alu instid0(VALU_DEP_1)
	v_cndmask_b32_e32 v12, 0x7fc0, v7, vcc_lo
.LBB239_1548:
	s_mov_b32 s1, 0
.LBB239_1549:
	s_delay_alu instid0(SALU_CYCLE_1)
	s_and_not1_b32 vcc_lo, exec_lo, s1
	s_cbranch_vccnz .LBB239_1551
; %bb.1550:
	global_load_u8 v5, v[10:11], off
	s_wait_loadcnt 0x0
	v_lshlrev_b32_e32 v7, 25, v5
	v_lshlrev_b16 v5, 8, v5
	s_delay_alu instid0(VALU_DEP_1) | instskip(SKIP_1) | instid1(VALU_DEP_2)
	v_and_or_b32 v12, 0x7f00, v5, 0.5
	v_bfe_i32 v5, v5, 0, 16
	v_dual_add_f32 v12, -0.5, v12 :: v_dual_lshrrev_b32 v9, 4, v7
	v_cmp_gt_u32_e32 vcc_lo, 0x8000000, v7
	s_delay_alu instid0(VALU_DEP_2) | instskip(NEXT) | instid1(VALU_DEP_1)
	v_or_b32_e32 v9, 0x70000000, v9
	v_mul_f32_e32 v9, 0x7800000, v9
	s_delay_alu instid0(VALU_DEP_1) | instskip(NEXT) | instid1(VALU_DEP_1)
	v_cndmask_b32_e32 v7, v9, v12, vcc_lo
	v_and_or_b32 v5, 0x80000000, v5, v7
	v_bfe_u32 v7, v7, 16, 1
	s_delay_alu instid0(VALU_DEP_2) | instskip(NEXT) | instid1(VALU_DEP_2)
	v_cmp_o_f32_e32 vcc_lo, v5, v5
	v_add3_u32 v7, v5, v7, 0x7fff
	s_delay_alu instid0(VALU_DEP_1) | instskip(NEXT) | instid1(VALU_DEP_1)
	v_lshrrev_b32_e32 v7, 16, v7
	v_cndmask_b32_e32 v12, 0x7fc0, v7, vcc_lo
.LBB239_1551:
	s_mov_b32 s1, 0
	s_mov_b32 s12, -1
.LBB239_1552:
	s_and_not1_b32 vcc_lo, exec_lo, s1
	s_mov_b32 s1, 0
	s_cbranch_vccnz .LBB239_1563
; %bb.1553:
	s_cmp_gt_i32 s11, 14
	s_cbranch_scc0 .LBB239_1556
; %bb.1554:
	s_cmp_eq_u32 s11, 15
	s_cbranch_scc0 .LBB239_1559
; %bb.1555:
	s_wait_loadcnt 0x0
	global_load_u16 v12, v[10:11], off
	s_mov_b32 s0, 0
	s_mov_b32 s12, -1
	s_branch .LBB239_1561
.LBB239_1556:
	s_mov_b32 s1, -1
	s_branch .LBB239_1560
.LBB239_1557:
	s_or_saveexec_b32 s12, s12
	v_mov_b32_e32 v7, 0x7f800001
	s_xor_b32 exec_lo, exec_lo, s12
	s_cbranch_execz .LBB239_1538
.LBB239_1558:
	v_cmp_ne_u16_e32 vcc_lo, 0, v5
	v_mov_b32_e32 v7, 0
	s_and_not1_b32 s1, s1, exec_lo
	s_and_b32 s13, vcc_lo, exec_lo
	s_delay_alu instid0(SALU_CYCLE_1)
	s_or_b32 s1, s1, s13
	s_or_b32 exec_lo, exec_lo, s12
	s_and_saveexec_b32 s12, s1
	s_cbranch_execnz .LBB239_1539
	s_branch .LBB239_1540
.LBB239_1559:
	s_mov_b32 s0, -1
.LBB239_1560:
                                        ; implicit-def: $vgpr12
.LBB239_1561:
	s_and_b32 vcc_lo, exec_lo, s1
	s_mov_b32 s1, 0
	s_cbranch_vccz .LBB239_1563
; %bb.1562:
	s_cmp_lg_u32 s11, 11
	s_mov_b32 s1, -1
	s_cselect_b32 s0, -1, 0
.LBB239_1563:
	s_delay_alu instid0(SALU_CYCLE_1)
	s_and_b32 vcc_lo, exec_lo, s0
	s_cbranch_vccnz .LBB239_1639
; %bb.1564:
	s_and_not1_b32 vcc_lo, exec_lo, s1
	s_cbranch_vccnz .LBB239_1566
.LBB239_1565:
	global_load_u8 v5, v[10:11], off
	s_mov_b32 s12, -1
	s_wait_loadcnt 0x0
	v_cmp_ne_u16_e32 vcc_lo, 0, v5
	v_cndmask_b32_e64 v5, 0, 1.0, vcc_lo
	s_delay_alu instid0(VALU_DEP_1)
	v_lshrrev_b32_e32 v12, 16, v5
.LBB239_1566:
	s_branch .LBB239_1493
.LBB239_1567:
	s_cmp_lt_i32 s11, 5
	s_cbranch_scc1 .LBB239_1572
; %bb.1568:
	s_cmp_lt_i32 s11, 8
	s_cbranch_scc1 .LBB239_1573
; %bb.1569:
	;; [unrolled: 3-line block ×3, first 2 shown]
	s_cmp_gt_i32 s11, 9
	s_cbranch_scc0 .LBB239_1575
; %bb.1571:
	s_wait_loadcnt 0x0
	global_load_b64 v[12:13], v[10:11], off
	s_mov_b32 s0, 0
	s_wait_loadcnt 0x0
	v_cvt_f32_f64_e32 v5, v[12:13]
	s_delay_alu instid0(VALU_DEP_1) | instskip(SKIP_1) | instid1(VALU_DEP_2)
	v_bfe_u32 v7, v5, 16, 1
	v_cmp_o_f32_e32 vcc_lo, v5, v5
	v_add3_u32 v7, v5, v7, 0x7fff
	s_delay_alu instid0(VALU_DEP_1) | instskip(NEXT) | instid1(VALU_DEP_1)
	v_lshrrev_b32_e32 v7, 16, v7
	v_cndmask_b32_e32 v12, 0x7fc0, v7, vcc_lo
	s_branch .LBB239_1576
.LBB239_1572:
	s_mov_b32 s0, -1
                                        ; implicit-def: $vgpr12
	s_branch .LBB239_1594
.LBB239_1573:
	s_mov_b32 s0, -1
                                        ; implicit-def: $vgpr12
	s_branch .LBB239_1582
.LBB239_1574:
	s_mov_b32 s0, -1
                                        ; implicit-def: $vgpr12
	s_branch .LBB239_1579
.LBB239_1575:
	s_mov_b32 s0, -1
                                        ; implicit-def: $vgpr12
.LBB239_1576:
	s_delay_alu instid0(SALU_CYCLE_1)
	s_and_not1_b32 vcc_lo, exec_lo, s0
	s_cbranch_vccnz .LBB239_1578
; %bb.1577:
	global_load_b32 v5, v[10:11], off
	s_wait_loadcnt 0x0
	v_bfe_u32 v7, v5, 16, 1
	v_cmp_o_f32_e32 vcc_lo, v5, v5
	s_delay_alu instid0(VALU_DEP_2) | instskip(NEXT) | instid1(VALU_DEP_1)
	v_add3_u32 v7, v5, v7, 0x7fff
	v_lshrrev_b32_e32 v7, 16, v7
	s_delay_alu instid0(VALU_DEP_1)
	v_cndmask_b32_e32 v12, 0x7fc0, v7, vcc_lo
.LBB239_1578:
	s_mov_b32 s0, 0
.LBB239_1579:
	s_delay_alu instid0(SALU_CYCLE_1)
	s_and_not1_b32 vcc_lo, exec_lo, s0
	s_cbranch_vccnz .LBB239_1581
; %bb.1580:
	global_load_b32 v5, v[10:11], off
	s_wait_loadcnt 0x0
	v_cvt_f32_f16_e32 v7, v5
	v_cmp_o_f16_e32 vcc_lo, v5, v5
	s_delay_alu instid0(VALU_DEP_2) | instskip(NEXT) | instid1(VALU_DEP_1)
	v_bfe_u32 v9, v7, 16, 1
	v_add3_u32 v7, v7, v9, 0x7fff
	s_delay_alu instid0(VALU_DEP_1) | instskip(NEXT) | instid1(VALU_DEP_1)
	v_lshrrev_b32_e32 v7, 16, v7
	v_cndmask_b32_e32 v12, 0x7fc0, v7, vcc_lo
.LBB239_1581:
	s_mov_b32 s0, 0
.LBB239_1582:
	s_delay_alu instid0(SALU_CYCLE_1)
	s_and_not1_b32 vcc_lo, exec_lo, s0
	s_cbranch_vccnz .LBB239_1593
; %bb.1583:
	s_cmp_lt_i32 s11, 6
	s_cbranch_scc1 .LBB239_1586
; %bb.1584:
	s_cmp_gt_i32 s11, 6
	s_cbranch_scc0 .LBB239_1587
; %bb.1585:
	s_wait_loadcnt 0x0
	global_load_b64 v[12:13], v[10:11], off
	s_mov_b32 s0, 0
	s_wait_loadcnt 0x0
	v_cvt_f32_f64_e32 v5, v[12:13]
	s_delay_alu instid0(VALU_DEP_1) | instskip(SKIP_1) | instid1(VALU_DEP_2)
	v_bfe_u32 v7, v5, 16, 1
	v_cmp_o_f32_e32 vcc_lo, v5, v5
	v_add3_u32 v7, v5, v7, 0x7fff
	s_delay_alu instid0(VALU_DEP_1) | instskip(NEXT) | instid1(VALU_DEP_1)
	v_lshrrev_b32_e32 v7, 16, v7
	v_cndmask_b32_e32 v12, 0x7fc0, v7, vcc_lo
	s_branch .LBB239_1588
.LBB239_1586:
	s_mov_b32 s0, -1
                                        ; implicit-def: $vgpr12
	s_branch .LBB239_1591
.LBB239_1587:
	s_mov_b32 s0, -1
                                        ; implicit-def: $vgpr12
.LBB239_1588:
	s_delay_alu instid0(SALU_CYCLE_1)
	s_and_not1_b32 vcc_lo, exec_lo, s0
	s_cbranch_vccnz .LBB239_1590
; %bb.1589:
	global_load_b32 v5, v[10:11], off
	s_wait_loadcnt 0x0
	v_bfe_u32 v7, v5, 16, 1
	v_cmp_o_f32_e32 vcc_lo, v5, v5
	s_delay_alu instid0(VALU_DEP_2) | instskip(NEXT) | instid1(VALU_DEP_1)
	v_add3_u32 v7, v5, v7, 0x7fff
	v_lshrrev_b32_e32 v7, 16, v7
	s_delay_alu instid0(VALU_DEP_1)
	v_cndmask_b32_e32 v12, 0x7fc0, v7, vcc_lo
.LBB239_1590:
	s_mov_b32 s0, 0
.LBB239_1591:
	s_delay_alu instid0(SALU_CYCLE_1)
	s_and_not1_b32 vcc_lo, exec_lo, s0
	s_cbranch_vccnz .LBB239_1593
; %bb.1592:
	global_load_u16 v5, v[10:11], off
	s_wait_loadcnt 0x0
	v_cvt_f32_f16_e32 v7, v5
	v_cmp_o_f16_e32 vcc_lo, v5, v5
	s_delay_alu instid0(VALU_DEP_2) | instskip(NEXT) | instid1(VALU_DEP_1)
	v_bfe_u32 v9, v7, 16, 1
	v_add3_u32 v7, v7, v9, 0x7fff
	s_delay_alu instid0(VALU_DEP_1) | instskip(NEXT) | instid1(VALU_DEP_1)
	v_lshrrev_b32_e32 v7, 16, v7
	v_cndmask_b32_e32 v12, 0x7fc0, v7, vcc_lo
.LBB239_1593:
	s_mov_b32 s0, 0
.LBB239_1594:
	s_delay_alu instid0(SALU_CYCLE_1)
	s_and_not1_b32 vcc_lo, exec_lo, s0
	s_cbranch_vccnz .LBB239_1614
; %bb.1595:
	s_cmp_lt_i32 s11, 2
	s_cbranch_scc1 .LBB239_1599
; %bb.1596:
	s_cmp_lt_i32 s11, 3
	s_cbranch_scc1 .LBB239_1600
; %bb.1597:
	s_cmp_gt_i32 s11, 3
	s_cbranch_scc0 .LBB239_1601
; %bb.1598:
	s_wait_loadcnt 0x0
	global_load_b64 v[12:13], v[10:11], off
	s_mov_b32 s0, 0
	s_wait_loadcnt 0x0
	v_xor_b32_e32 v5, v12, v13
	v_cls_i32_e32 v7, v13
	s_delay_alu instid0(VALU_DEP_2) | instskip(NEXT) | instid1(VALU_DEP_1)
	v_ashrrev_i32_e32 v5, 31, v5
	v_add_nc_u32_e32 v5, 32, v5
	s_delay_alu instid0(VALU_DEP_1) | instskip(NEXT) | instid1(VALU_DEP_1)
	v_add_min_u32_e64 v5, v7, -1, v5
	v_lshlrev_b64_e32 v[12:13], v5, v[12:13]
	v_sub_nc_u32_e32 v5, 32, v5
	s_delay_alu instid0(VALU_DEP_2) | instskip(NEXT) | instid1(VALU_DEP_1)
	v_min_u32_e32 v7, 1, v12
	v_or_b32_e32 v7, v13, v7
	s_delay_alu instid0(VALU_DEP_1) | instskip(NEXT) | instid1(VALU_DEP_1)
	v_cvt_f32_i32_e32 v7, v7
	v_ldexp_f32 v5, v7, v5
	s_delay_alu instid0(VALU_DEP_1) | instskip(NEXT) | instid1(VALU_DEP_1)
	v_bfe_u32 v7, v5, 16, 1
	v_add3_u32 v5, v5, v7, 0x7fff
	s_delay_alu instid0(VALU_DEP_1)
	v_lshrrev_b32_e32 v12, 16, v5
	s_branch .LBB239_1602
.LBB239_1599:
	s_mov_b32 s0, -1
                                        ; implicit-def: $vgpr12
	s_branch .LBB239_1608
.LBB239_1600:
	s_mov_b32 s0, -1
                                        ; implicit-def: $vgpr12
	s_branch .LBB239_1605
.LBB239_1601:
	s_mov_b32 s0, -1
                                        ; implicit-def: $vgpr12
.LBB239_1602:
	s_delay_alu instid0(SALU_CYCLE_1)
	s_and_not1_b32 vcc_lo, exec_lo, s0
	s_cbranch_vccnz .LBB239_1604
; %bb.1603:
	global_load_b32 v5, v[10:11], off
	s_wait_loadcnt 0x0
	v_cvt_f32_i32_e32 v5, v5
	s_delay_alu instid0(VALU_DEP_1) | instskip(NEXT) | instid1(VALU_DEP_1)
	v_bfe_u32 v7, v5, 16, 1
	v_add3_u32 v5, v5, v7, 0x7fff
	s_delay_alu instid0(VALU_DEP_1)
	v_lshrrev_b32_e32 v12, 16, v5
.LBB239_1604:
	s_mov_b32 s0, 0
.LBB239_1605:
	s_delay_alu instid0(SALU_CYCLE_1)
	s_and_not1_b32 vcc_lo, exec_lo, s0
	s_cbranch_vccnz .LBB239_1607
; %bb.1606:
	global_load_i16 v5, v[10:11], off
	s_wait_loadcnt 0x0
	v_cvt_f32_i32_e32 v5, v5
	s_delay_alu instid0(VALU_DEP_1) | instskip(NEXT) | instid1(VALU_DEP_1)
	v_bfe_u32 v7, v5, 16, 1
	v_add3_u32 v5, v5, v7, 0x7fff
	s_delay_alu instid0(VALU_DEP_1)
	v_lshrrev_b32_e32 v12, 16, v5
.LBB239_1607:
	s_mov_b32 s0, 0
.LBB239_1608:
	s_delay_alu instid0(SALU_CYCLE_1)
	s_and_not1_b32 vcc_lo, exec_lo, s0
	s_cbranch_vccnz .LBB239_1614
; %bb.1609:
	s_cmp_gt_i32 s11, 0
	s_mov_b32 s0, 0
	s_cbranch_scc0 .LBB239_1611
; %bb.1610:
	global_load_i8 v5, v[10:11], off
	s_wait_loadcnt 0x0
	v_cvt_f32_i32_e32 v5, v5
	s_delay_alu instid0(VALU_DEP_1) | instskip(NEXT) | instid1(VALU_DEP_1)
	v_bfe_u32 v7, v5, 16, 1
	v_add3_u32 v5, v5, v7, 0x7fff
	s_delay_alu instid0(VALU_DEP_1)
	v_lshrrev_b32_e32 v12, 16, v5
	s_branch .LBB239_1612
.LBB239_1611:
	s_mov_b32 s0, -1
                                        ; implicit-def: $vgpr12
.LBB239_1612:
	s_delay_alu instid0(SALU_CYCLE_1)
	s_and_not1_b32 vcc_lo, exec_lo, s0
	s_cbranch_vccnz .LBB239_1614
; %bb.1613:
	global_load_u8 v5, v[10:11], off
	s_wait_loadcnt 0x0
	v_cvt_f32_ubyte0_e32 v5, v5
	s_delay_alu instid0(VALU_DEP_1) | instskip(NEXT) | instid1(VALU_DEP_1)
	v_bfe_u32 v7, v5, 16, 1
	v_add3_u32 v5, v5, v7, 0x7fff
	s_delay_alu instid0(VALU_DEP_1)
	v_lshrrev_b32_e32 v12, 16, v5
.LBB239_1614:
.LBB239_1615:
	s_wait_loadcnt 0x0
	s_delay_alu instid0(VALU_DEP_1) | instskip(SKIP_2) | instid1(VALU_DEP_1)
	v_lshlrev_b32_e32 v5, 16, v12
	s_mov_b32 s12, exec_lo
	s_wait_xcnt 0x0
	v_cmpx_o_f32_e32 v5, v5
	s_cbranch_execz .LBB239_1626
; %bb.1616:
	s_load_b64 s[0:1], s[2:3], 0x158
	s_mov_b32 s13, 0
	s_wait_kmcnt 0x0
	s_cmp_lt_i32 s0, 1
	s_cbranch_scc1 .LBB239_1619
; %bb.1617:
	s_cmp_eq_u32 s0, 1
	s_cbranch_scc0 .LBB239_1620
; %bb.1618:
	v_max_num_f32_e64 v7, s1, s1
	v_max_num_f32_e32 v9, v5, v5
	s_mov_b32 s14, 0
	s_delay_alu instid0(VALU_DEP_1) | instskip(NEXT) | instid1(VALU_DEP_1)
	v_min_num_f32_e32 v7, v9, v7
	v_bfe_u32 v9, v7, 16, 1
	s_delay_alu instid0(VALU_DEP_1) | instskip(NEXT) | instid1(VALU_DEP_1)
	v_add3_u32 v7, v7, v9, 0x7fff
	v_lshrrev_b32_e32 v12, 16, v7
	s_branch .LBB239_1621
.LBB239_1619:
	s_mov_b32 s15, -1
	s_mov_b32 s14, 0
                                        ; implicit-def: $vgpr12
	s_branch .LBB239_1622
.LBB239_1620:
	s_mov_b32 s14, -1
                                        ; implicit-def: $vgpr12
.LBB239_1621:
	s_mov_b32 s15, 0
.LBB239_1622:
	s_delay_alu instid0(SALU_CYCLE_1)
	s_and_b32 vcc_lo, exec_lo, s15
	s_cbranch_vccz .LBB239_1633
; %bb.1623:
	s_cmp_lg_u32 s0, 0
	s_mov_b32 s13, -1
	s_cselect_b32 s14, -1, 0
	s_delay_alu instid0(SALU_CYCLE_1)
	s_and_not1_b32 vcc_lo, exec_lo, s14
	s_cbranch_vccz .LBB239_1634
.LBB239_1624:
	s_and_not1_b32 vcc_lo, exec_lo, s13
	s_cbranch_vccnz .LBB239_1626
.LBB239_1625:
	v_max_num_f32_e64 v7, s1, s1
	v_max_num_f32_e32 v5, v5, v5
	s_delay_alu instid0(VALU_DEP_1) | instskip(NEXT) | instid1(VALU_DEP_1)
	v_max_num_f32_e32 v5, v5, v7
	v_bfe_u32 v7, v5, 16, 1
	s_delay_alu instid0(VALU_DEP_1) | instskip(NEXT) | instid1(VALU_DEP_1)
	v_add3_u32 v5, v5, v7, 0x7fff
	v_lshrrev_b32_e32 v12, 16, v5
.LBB239_1626:
	s_or_b32 exec_lo, exec_lo, s12
	v_mov_b32_e32 v9, 0
	s_cmp_lt_i32 s11, 11
	s_delay_alu instid0(VALU_DEP_1)
	v_add_nc_u64_e32 v[8:9], s[6:7], v[8:9]
	s_cbranch_scc1 .LBB239_1635
; %bb.1627:
	s_cmp_gt_i32 s11, 25
	s_mov_b32 s1, 0
	s_cbranch_scc0 .LBB239_1636
; %bb.1628:
	s_cmp_gt_i32 s11, 28
	s_cbranch_scc0 .LBB239_1637
; %bb.1629:
	s_cmp_gt_i32 s11, 43
	;; [unrolled: 3-line block ×3, first 2 shown]
	s_cbranch_scc0 .LBB239_1640
; %bb.1631:
	s_cmp_eq_u32 s11, 46
	s_mov_b32 s7, 0
	s_cbranch_scc0 .LBB239_1641
; %bb.1632:
	global_load_b32 v10, v[8:9], off
	s_mov_b32 s0, 0
	s_mov_b32 s6, -1
	s_branch .LBB239_1643
.LBB239_1633:
	s_and_not1_b32 vcc_lo, exec_lo, s14
	s_cbranch_vccnz .LBB239_1624
.LBB239_1634:
	s_load_b32 s0, s[2:3], 0x160
	v_max_num_f32_e64 v7, s1, s1
	v_max_num_f32_e32 v9, v5, v5
	s_wait_kmcnt 0x0
	v_max_num_f32_e64 v10, s0, s0
	s_delay_alu instid0(VALU_DEP_1) | instskip(NEXT) | instid1(VALU_DEP_1)
	v_maxmin_num_f32 v7, v9, v7, v10
	v_bfe_u32 v9, v7, 16, 1
	s_delay_alu instid0(VALU_DEP_1) | instskip(NEXT) | instid1(VALU_DEP_1)
	v_add3_u32 v7, v7, v9, 0x7fff
	v_lshrrev_b32_e32 v12, 16, v7
	s_cbranch_execz .LBB239_1625
	s_branch .LBB239_1626
.LBB239_1635:
	s_mov_b32 s0, -1
	s_mov_b32 s6, 0
                                        ; implicit-def: $vgpr10
	s_branch .LBB239_1709
.LBB239_1636:
	s_mov_b32 s7, -1
	s_mov_b32 s6, 0
	s_mov_b32 s0, 0
                                        ; implicit-def: $vgpr10
	s_branch .LBB239_1672
.LBB239_1637:
	s_mov_b32 s7, -1
	s_mov_b32 s6, 0
	s_mov_b32 s0, 0
                                        ; implicit-def: $vgpr10
	s_branch .LBB239_1653
.LBB239_1638:
	s_mov_b32 s7, -1
	s_mov_b32 s6, 0
	s_mov_b32 s0, 0
                                        ; implicit-def: $vgpr10
	s_branch .LBB239_1648
.LBB239_1639:
	s_or_b32 s10, s10, exec_lo
	s_trap 2
	s_cbranch_execz .LBB239_1565
	s_branch .LBB239_1566
.LBB239_1640:
	s_mov_b32 s7, -1
	s_mov_b32 s6, 0
	s_mov_b32 s0, 0
	s_branch .LBB239_1642
.LBB239_1641:
	s_mov_b32 s0, -1
	s_mov_b32 s6, 0
.LBB239_1642:
                                        ; implicit-def: $vgpr10
.LBB239_1643:
	s_and_b32 vcc_lo, exec_lo, s7
	s_cbranch_vccz .LBB239_1647
; %bb.1644:
	s_cmp_eq_u32 s11, 44
	s_cbranch_scc0 .LBB239_1646
; %bb.1645:
	global_load_u8 v5, v[8:9], off
	s_mov_b32 s0, 0
	s_mov_b32 s6, -1
	s_wait_loadcnt 0x0
	v_lshlrev_b32_e32 v7, 23, v5
	v_cmp_ne_u32_e32 vcc_lo, 0xff, v5
	s_delay_alu instid0(VALU_DEP_2) | instskip(SKIP_1) | instid1(VALU_DEP_2)
	v_cndmask_b32_e32 v7, 0x7f800001, v7, vcc_lo
	v_cmp_ne_u32_e32 vcc_lo, 0, v5
	v_cndmask_b32_e32 v5, 0x400000, v7, vcc_lo
	s_delay_alu instid0(VALU_DEP_1) | instskip(SKIP_1) | instid1(VALU_DEP_2)
	v_add_nc_u32_e32 v7, 0x7fff, v5
	v_cmp_o_f32_e32 vcc_lo, v5, v5
	v_lshrrev_b32_e32 v7, 16, v7
	s_delay_alu instid0(VALU_DEP_1)
	v_cndmask_b32_e32 v10, 0x7fc0, v7, vcc_lo
	s_branch .LBB239_1647
.LBB239_1646:
	s_mov_b32 s0, -1
                                        ; implicit-def: $vgpr10
.LBB239_1647:
	s_mov_b32 s7, 0
.LBB239_1648:
	s_delay_alu instid0(SALU_CYCLE_1)
	s_and_b32 vcc_lo, exec_lo, s7
	s_cbranch_vccz .LBB239_1652
; %bb.1649:
	s_cmp_eq_u32 s11, 29
	s_cbranch_scc0 .LBB239_1651
; %bb.1650:
	s_wait_loadcnt 0x0
	global_load_b64 v[10:11], v[8:9], off
	s_mov_b32 s0, 0
	s_mov_b32 s6, -1
	s_mov_b32 s7, 0
	s_wait_loadcnt 0x0
	v_clz_i32_u32_e32 v5, v11
	s_delay_alu instid0(VALU_DEP_1) | instskip(NEXT) | instid1(VALU_DEP_1)
	v_min_u32_e32 v5, 32, v5
	v_lshlrev_b64_e32 v[10:11], v5, v[10:11]
	v_sub_nc_u32_e32 v5, 32, v5
	s_delay_alu instid0(VALU_DEP_2) | instskip(NEXT) | instid1(VALU_DEP_1)
	v_min_u32_e32 v7, 1, v10
	v_or_b32_e32 v7, v11, v7
	s_delay_alu instid0(VALU_DEP_1) | instskip(NEXT) | instid1(VALU_DEP_1)
	v_cvt_f32_u32_e32 v7, v7
	v_ldexp_f32 v5, v7, v5
	s_delay_alu instid0(VALU_DEP_1) | instskip(NEXT) | instid1(VALU_DEP_1)
	v_bfe_u32 v7, v5, 16, 1
	v_add3_u32 v5, v5, v7, 0x7fff
	s_delay_alu instid0(VALU_DEP_1)
	v_lshrrev_b32_e32 v10, 16, v5
	s_branch .LBB239_1653
.LBB239_1651:
	s_mov_b32 s0, -1
                                        ; implicit-def: $vgpr10
.LBB239_1652:
	s_mov_b32 s7, 0
.LBB239_1653:
	s_delay_alu instid0(SALU_CYCLE_1)
	s_and_b32 vcc_lo, exec_lo, s7
	s_cbranch_vccz .LBB239_1671
; %bb.1654:
	s_cmp_lt_i32 s11, 27
	s_cbranch_scc1 .LBB239_1657
; %bb.1655:
	s_cmp_gt_i32 s11, 27
	s_cbranch_scc0 .LBB239_1658
; %bb.1656:
	global_load_b32 v5, v[8:9], off
	s_mov_b32 s6, 0
	s_wait_loadcnt 0x0
	v_cvt_f32_u32_e32 v5, v5
	s_delay_alu instid0(VALU_DEP_1) | instskip(NEXT) | instid1(VALU_DEP_1)
	v_bfe_u32 v7, v5, 16, 1
	v_add3_u32 v5, v5, v7, 0x7fff
	s_delay_alu instid0(VALU_DEP_1)
	v_lshrrev_b32_e32 v10, 16, v5
	s_branch .LBB239_1659
.LBB239_1657:
	s_mov_b32 s6, -1
                                        ; implicit-def: $vgpr10
	s_branch .LBB239_1662
.LBB239_1658:
	s_mov_b32 s6, -1
                                        ; implicit-def: $vgpr10
.LBB239_1659:
	s_delay_alu instid0(SALU_CYCLE_1)
	s_and_not1_b32 vcc_lo, exec_lo, s6
	s_cbranch_vccnz .LBB239_1661
; %bb.1660:
	global_load_u16 v5, v[8:9], off
	s_wait_loadcnt 0x0
	v_cvt_f32_u32_e32 v5, v5
	s_delay_alu instid0(VALU_DEP_1) | instskip(NEXT) | instid1(VALU_DEP_1)
	v_bfe_u32 v7, v5, 16, 1
	v_add3_u32 v5, v5, v7, 0x7fff
	s_delay_alu instid0(VALU_DEP_1)
	v_lshrrev_b32_e32 v10, 16, v5
.LBB239_1661:
	s_mov_b32 s6, 0
.LBB239_1662:
	s_delay_alu instid0(SALU_CYCLE_1)
	s_and_not1_b32 vcc_lo, exec_lo, s6
	s_cbranch_vccnz .LBB239_1670
; %bb.1663:
	global_load_u8 v5, v[8:9], off
	s_mov_b32 s6, 0
	s_mov_b32 s7, exec_lo
	s_wait_loadcnt 0x0
	v_cmpx_lt_i16_e32 0x7f, v5
	s_xor_b32 s7, exec_lo, s7
	s_cbranch_execz .LBB239_1684
; %bb.1664:
	s_mov_b32 s6, -1
	s_mov_b32 s12, exec_lo
	v_cmpx_eq_u16_e32 0x80, v5
; %bb.1665:
	s_xor_b32 s6, exec_lo, -1
; %bb.1666:
	s_or_b32 exec_lo, exec_lo, s12
	s_delay_alu instid0(SALU_CYCLE_1)
	s_and_b32 s6, s6, exec_lo
	s_or_saveexec_b32 s7, s7
	v_mov_b32_e32 v7, 0x7f800001
	s_xor_b32 exec_lo, exec_lo, s7
	s_cbranch_execnz .LBB239_1685
.LBB239_1667:
	s_or_b32 exec_lo, exec_lo, s7
	s_and_saveexec_b32 s7, s6
	s_cbranch_execz .LBB239_1669
.LBB239_1668:
	v_and_b32_e32 v7, 0xffff, v5
	s_delay_alu instid0(VALU_DEP_1) | instskip(SKIP_1) | instid1(VALU_DEP_2)
	v_dual_lshlrev_b32 v5, 24, v5 :: v_dual_bitop2_b32 v10, 7, v7 bitop3:0x40
	v_bfe_u32 v14, v7, 3, 4
	v_and_b32_e32 v5, 0x80000000, v5
	s_delay_alu instid0(VALU_DEP_3) | instskip(NEXT) | instid1(VALU_DEP_3)
	v_clz_i32_u32_e32 v11, v10
	v_cmp_eq_u32_e32 vcc_lo, 0, v14
	s_delay_alu instid0(VALU_DEP_2) | instskip(NEXT) | instid1(VALU_DEP_1)
	v_min_u32_e32 v11, 32, v11
	v_subrev_nc_u32_e32 v13, 28, v11
	v_sub_nc_u32_e32 v11, 29, v11
	s_delay_alu instid0(VALU_DEP_2) | instskip(NEXT) | instid1(VALU_DEP_2)
	v_lshlrev_b32_e32 v7, v13, v7
	v_cndmask_b32_e32 v11, v14, v11, vcc_lo
	s_delay_alu instid0(VALU_DEP_2) | instskip(NEXT) | instid1(VALU_DEP_1)
	v_and_b32_e32 v7, 7, v7
	v_cndmask_b32_e32 v7, v10, v7, vcc_lo
	s_delay_alu instid0(VALU_DEP_3) | instskip(NEXT) | instid1(VALU_DEP_2)
	v_lshl_add_u32 v10, v11, 23, 0x3b800000
	v_lshlrev_b32_e32 v7, 20, v7
	s_delay_alu instid0(VALU_DEP_1)
	v_or3_b32 v7, v5, v10, v7
.LBB239_1669:
	s_or_b32 exec_lo, exec_lo, s7
	s_delay_alu instid0(VALU_DEP_1) | instskip(SKIP_1) | instid1(VALU_DEP_2)
	v_bfe_u32 v5, v7, 16, 1
	v_cmp_o_f32_e32 vcc_lo, v7, v7
	v_add3_u32 v5, v7, v5, 0x7fff
	s_delay_alu instid0(VALU_DEP_1) | instskip(NEXT) | instid1(VALU_DEP_1)
	v_lshrrev_b32_e32 v5, 16, v5
	v_cndmask_b32_e32 v10, 0x7fc0, v5, vcc_lo
.LBB239_1670:
	s_mov_b32 s6, -1
.LBB239_1671:
	s_mov_b32 s7, 0
.LBB239_1672:
	s_delay_alu instid0(SALU_CYCLE_1)
	s_and_b32 vcc_lo, exec_lo, s7
	s_cbranch_vccz .LBB239_1705
; %bb.1673:
	s_cmp_gt_i32 s11, 22
	s_cbranch_scc0 .LBB239_1683
; %bb.1674:
	s_cmp_lt_i32 s11, 24
	s_cbranch_scc1 .LBB239_1686
; %bb.1675:
	s_cmp_gt_i32 s11, 24
	s_cbranch_scc0 .LBB239_1687
; %bb.1676:
	global_load_u8 v5, v[8:9], off
	s_mov_b32 s6, exec_lo
	s_wait_loadcnt 0x0
	v_cmpx_lt_i16_e32 0x7f, v5
	s_xor_b32 s6, exec_lo, s6
	s_cbranch_execz .LBB239_1699
; %bb.1677:
	s_mov_b32 s1, -1
	s_mov_b32 s7, exec_lo
	v_cmpx_eq_u16_e32 0x80, v5
; %bb.1678:
	s_xor_b32 s1, exec_lo, -1
; %bb.1679:
	s_or_b32 exec_lo, exec_lo, s7
	s_delay_alu instid0(SALU_CYCLE_1)
	s_and_b32 s1, s1, exec_lo
	s_or_saveexec_b32 s6, s6
	v_mov_b32_e32 v7, 0x7f800001
	s_xor_b32 exec_lo, exec_lo, s6
	s_cbranch_execnz .LBB239_1700
.LBB239_1680:
	s_or_b32 exec_lo, exec_lo, s6
	s_and_saveexec_b32 s6, s1
	s_cbranch_execz .LBB239_1682
.LBB239_1681:
	v_and_b32_e32 v7, 0xffff, v5
	s_delay_alu instid0(VALU_DEP_1) | instskip(SKIP_1) | instid1(VALU_DEP_2)
	v_dual_lshlrev_b32 v5, 24, v5 :: v_dual_bitop2_b32 v10, 3, v7 bitop3:0x40
	v_bfe_u32 v14, v7, 2, 5
	v_and_b32_e32 v5, 0x80000000, v5
	s_delay_alu instid0(VALU_DEP_3) | instskip(NEXT) | instid1(VALU_DEP_3)
	v_clz_i32_u32_e32 v11, v10
	v_cmp_eq_u32_e32 vcc_lo, 0, v14
	s_delay_alu instid0(VALU_DEP_2) | instskip(NEXT) | instid1(VALU_DEP_1)
	v_min_u32_e32 v11, 32, v11
	v_subrev_nc_u32_e32 v13, 29, v11
	v_sub_nc_u32_e32 v11, 30, v11
	s_delay_alu instid0(VALU_DEP_2) | instskip(NEXT) | instid1(VALU_DEP_2)
	v_lshlrev_b32_e32 v7, v13, v7
	v_cndmask_b32_e32 v11, v14, v11, vcc_lo
	s_delay_alu instid0(VALU_DEP_2) | instskip(NEXT) | instid1(VALU_DEP_1)
	v_and_b32_e32 v7, 3, v7
	v_cndmask_b32_e32 v7, v10, v7, vcc_lo
	s_delay_alu instid0(VALU_DEP_3) | instskip(NEXT) | instid1(VALU_DEP_2)
	v_lshl_add_u32 v10, v11, 23, 0x37800000
	v_lshlrev_b32_e32 v7, 21, v7
	s_delay_alu instid0(VALU_DEP_1)
	v_or3_b32 v7, v5, v10, v7
.LBB239_1682:
	s_or_b32 exec_lo, exec_lo, s6
	s_delay_alu instid0(VALU_DEP_1) | instskip(SKIP_2) | instid1(VALU_DEP_2)
	v_bfe_u32 v5, v7, 16, 1
	v_cmp_o_f32_e32 vcc_lo, v7, v7
	s_mov_b32 s1, 0
	v_add3_u32 v5, v7, v5, 0x7fff
	s_delay_alu instid0(VALU_DEP_1) | instskip(NEXT) | instid1(VALU_DEP_1)
	v_lshrrev_b32_e32 v5, 16, v5
	v_cndmask_b32_e32 v10, 0x7fc0, v5, vcc_lo
	s_branch .LBB239_1688
.LBB239_1683:
	s_mov_b32 s1, -1
                                        ; implicit-def: $vgpr10
	s_branch .LBB239_1694
.LBB239_1684:
	s_or_saveexec_b32 s7, s7
	v_mov_b32_e32 v7, 0x7f800001
	s_xor_b32 exec_lo, exec_lo, s7
	s_cbranch_execz .LBB239_1667
.LBB239_1685:
	v_cmp_ne_u16_e32 vcc_lo, 0, v5
	v_mov_b32_e32 v7, 0
	s_and_not1_b32 s6, s6, exec_lo
	s_and_b32 s12, vcc_lo, exec_lo
	s_delay_alu instid0(SALU_CYCLE_1)
	s_or_b32 s6, s6, s12
	s_or_b32 exec_lo, exec_lo, s7
	s_and_saveexec_b32 s7, s6
	s_cbranch_execnz .LBB239_1668
	s_branch .LBB239_1669
.LBB239_1686:
	s_mov_b32 s1, -1
                                        ; implicit-def: $vgpr10
	s_branch .LBB239_1691
.LBB239_1687:
	s_mov_b32 s1, -1
                                        ; implicit-def: $vgpr10
.LBB239_1688:
	s_delay_alu instid0(SALU_CYCLE_1)
	s_and_b32 vcc_lo, exec_lo, s1
	s_cbranch_vccz .LBB239_1690
; %bb.1689:
	global_load_u8 v5, v[8:9], off
	s_wait_loadcnt 0x0
	v_lshlrev_b32_e32 v5, 24, v5
	s_delay_alu instid0(VALU_DEP_1) | instskip(NEXT) | instid1(VALU_DEP_1)
	v_and_b32_e32 v7, 0x7f000000, v5
	v_clz_i32_u32_e32 v10, v7
	v_add_nc_u32_e32 v13, 0x1000000, v7
	v_cmp_ne_u32_e32 vcc_lo, 0, v7
	s_delay_alu instid0(VALU_DEP_3) | instskip(NEXT) | instid1(VALU_DEP_1)
	v_min_u32_e32 v10, 32, v10
	v_sub_nc_u32_e64 v10, v10, 4 clamp
	s_delay_alu instid0(VALU_DEP_1) | instskip(NEXT) | instid1(VALU_DEP_1)
	v_dual_lshlrev_b32 v11, v10, v7 :: v_dual_lshlrev_b32 v10, 23, v10
	v_lshrrev_b32_e32 v11, 4, v11
	s_delay_alu instid0(VALU_DEP_1) | instskip(NEXT) | instid1(VALU_DEP_1)
	v_dual_sub_nc_u32 v10, v11, v10 :: v_dual_ashrrev_i32 v11, 8, v13
	v_add_nc_u32_e32 v10, 0x3c000000, v10
	s_delay_alu instid0(VALU_DEP_1) | instskip(NEXT) | instid1(VALU_DEP_1)
	v_and_or_b32 v10, 0x7f800000, v11, v10
	v_cndmask_b32_e32 v7, 0, v10, vcc_lo
	s_delay_alu instid0(VALU_DEP_1) | instskip(SKIP_1) | instid1(VALU_DEP_2)
	v_and_or_b32 v5, 0x80000000, v5, v7
	v_bfe_u32 v7, v7, 16, 1
	v_cmp_o_f32_e32 vcc_lo, v5, v5
	s_delay_alu instid0(VALU_DEP_2) | instskip(NEXT) | instid1(VALU_DEP_1)
	v_add3_u32 v7, v5, v7, 0x7fff
	v_lshrrev_b32_e32 v7, 16, v7
	s_delay_alu instid0(VALU_DEP_1)
	v_cndmask_b32_e32 v10, 0x7fc0, v7, vcc_lo
.LBB239_1690:
	s_mov_b32 s1, 0
.LBB239_1691:
	s_delay_alu instid0(SALU_CYCLE_1)
	s_and_not1_b32 vcc_lo, exec_lo, s1
	s_cbranch_vccnz .LBB239_1693
; %bb.1692:
	global_load_u8 v5, v[8:9], off
	s_wait_loadcnt 0x0
	v_lshlrev_b32_e32 v7, 25, v5
	v_lshlrev_b16 v5, 8, v5
	s_delay_alu instid0(VALU_DEP_1) | instskip(SKIP_1) | instid1(VALU_DEP_2)
	v_and_or_b32 v11, 0x7f00, v5, 0.5
	v_bfe_i32 v5, v5, 0, 16
	v_add_f32_e32 v11, -0.5, v11
	v_lshrrev_b32_e32 v10, 4, v7
	v_cmp_gt_u32_e32 vcc_lo, 0x8000000, v7
	s_delay_alu instid0(VALU_DEP_2) | instskip(NEXT) | instid1(VALU_DEP_1)
	v_or_b32_e32 v10, 0x70000000, v10
	v_mul_f32_e32 v10, 0x7800000, v10
	s_delay_alu instid0(VALU_DEP_1) | instskip(NEXT) | instid1(VALU_DEP_1)
	v_cndmask_b32_e32 v7, v10, v11, vcc_lo
	v_and_or_b32 v5, 0x80000000, v5, v7
	v_bfe_u32 v7, v7, 16, 1
	s_delay_alu instid0(VALU_DEP_2) | instskip(NEXT) | instid1(VALU_DEP_2)
	v_cmp_o_f32_e32 vcc_lo, v5, v5
	v_add3_u32 v7, v5, v7, 0x7fff
	s_delay_alu instid0(VALU_DEP_1) | instskip(NEXT) | instid1(VALU_DEP_1)
	v_lshrrev_b32_e32 v7, 16, v7
	v_cndmask_b32_e32 v10, 0x7fc0, v7, vcc_lo
.LBB239_1693:
	s_mov_b32 s1, 0
	s_mov_b32 s6, -1
.LBB239_1694:
	s_and_not1_b32 vcc_lo, exec_lo, s1
	s_mov_b32 s1, 0
	s_cbranch_vccnz .LBB239_1705
; %bb.1695:
	s_cmp_gt_i32 s11, 14
	s_cbranch_scc0 .LBB239_1698
; %bb.1696:
	s_cmp_eq_u32 s11, 15
	s_cbranch_scc0 .LBB239_1701
; %bb.1697:
	s_wait_loadcnt 0x0
	global_load_u16 v10, v[8:9], off
	s_mov_b32 s0, 0
	s_mov_b32 s6, -1
	s_branch .LBB239_1703
.LBB239_1698:
	s_mov_b32 s1, -1
	s_branch .LBB239_1702
.LBB239_1699:
	s_or_saveexec_b32 s6, s6
	v_mov_b32_e32 v7, 0x7f800001
	s_xor_b32 exec_lo, exec_lo, s6
	s_cbranch_execz .LBB239_1680
.LBB239_1700:
	v_cmp_ne_u16_e32 vcc_lo, 0, v5
	v_mov_b32_e32 v7, 0
	s_and_not1_b32 s1, s1, exec_lo
	s_and_b32 s7, vcc_lo, exec_lo
	s_delay_alu instid0(SALU_CYCLE_1)
	s_or_b32 s1, s1, s7
	s_or_b32 exec_lo, exec_lo, s6
	s_and_saveexec_b32 s6, s1
	s_cbranch_execnz .LBB239_1681
	s_branch .LBB239_1682
.LBB239_1701:
	s_mov_b32 s0, -1
.LBB239_1702:
                                        ; implicit-def: $vgpr10
.LBB239_1703:
	s_and_b32 vcc_lo, exec_lo, s1
	s_mov_b32 s1, 0
	s_cbranch_vccz .LBB239_1705
; %bb.1704:
	s_cmp_lg_u32 s11, 11
	s_mov_b32 s1, -1
	s_cselect_b32 s0, -1, 0
.LBB239_1705:
	s_delay_alu instid0(SALU_CYCLE_1)
	s_and_b32 vcc_lo, exec_lo, s0
	s_cbranch_vccnz .LBB239_2252
; %bb.1706:
	s_and_not1_b32 vcc_lo, exec_lo, s1
	s_cbranch_vccnz .LBB239_1708
.LBB239_1707:
	global_load_u8 v5, v[8:9], off
	s_mov_b32 s6, -1
	s_wait_loadcnt 0x0
	v_cmp_ne_u16_e32 vcc_lo, 0, v5
	v_cndmask_b32_e64 v5, 0, 1.0, vcc_lo
	s_delay_alu instid0(VALU_DEP_1)
	v_lshrrev_b32_e32 v10, 16, v5
.LBB239_1708:
	s_mov_b32 s0, 0
.LBB239_1709:
	s_delay_alu instid0(SALU_CYCLE_1)
	s_and_b32 vcc_lo, exec_lo, s0
	s_cbranch_vccz .LBB239_1758
; %bb.1710:
	s_cmp_lt_i32 s11, 5
	s_cbranch_scc1 .LBB239_1715
; %bb.1711:
	s_cmp_lt_i32 s11, 8
	s_cbranch_scc1 .LBB239_1716
	;; [unrolled: 3-line block ×3, first 2 shown]
; %bb.1713:
	s_cmp_gt_i32 s11, 9
	s_cbranch_scc0 .LBB239_1718
; %bb.1714:
	s_wait_loadcnt 0x0
	global_load_b64 v[10:11], v[8:9], off
	s_mov_b32 s0, 0
	s_wait_loadcnt 0x0
	v_cvt_f32_f64_e32 v5, v[10:11]
	s_delay_alu instid0(VALU_DEP_1) | instskip(SKIP_1) | instid1(VALU_DEP_2)
	v_bfe_u32 v7, v5, 16, 1
	v_cmp_o_f32_e32 vcc_lo, v5, v5
	v_add3_u32 v7, v5, v7, 0x7fff
	s_delay_alu instid0(VALU_DEP_1) | instskip(NEXT) | instid1(VALU_DEP_1)
	v_lshrrev_b32_e32 v7, 16, v7
	v_cndmask_b32_e32 v10, 0x7fc0, v7, vcc_lo
	s_branch .LBB239_1719
.LBB239_1715:
	s_mov_b32 s0, -1
                                        ; implicit-def: $vgpr10
	s_branch .LBB239_1737
.LBB239_1716:
	s_mov_b32 s0, -1
                                        ; implicit-def: $vgpr10
	s_branch .LBB239_1725
.LBB239_1717:
	s_mov_b32 s0, -1
                                        ; implicit-def: $vgpr10
	s_branch .LBB239_1722
.LBB239_1718:
	s_mov_b32 s0, -1
                                        ; implicit-def: $vgpr10
.LBB239_1719:
	s_delay_alu instid0(SALU_CYCLE_1)
	s_and_not1_b32 vcc_lo, exec_lo, s0
	s_cbranch_vccnz .LBB239_1721
; %bb.1720:
	global_load_b32 v5, v[8:9], off
	s_wait_loadcnt 0x0
	v_bfe_u32 v7, v5, 16, 1
	v_cmp_o_f32_e32 vcc_lo, v5, v5
	s_delay_alu instid0(VALU_DEP_2) | instskip(NEXT) | instid1(VALU_DEP_1)
	v_add3_u32 v7, v5, v7, 0x7fff
	v_lshrrev_b32_e32 v7, 16, v7
	s_delay_alu instid0(VALU_DEP_1)
	v_cndmask_b32_e32 v10, 0x7fc0, v7, vcc_lo
.LBB239_1721:
	s_mov_b32 s0, 0
.LBB239_1722:
	s_delay_alu instid0(SALU_CYCLE_1)
	s_and_not1_b32 vcc_lo, exec_lo, s0
	s_cbranch_vccnz .LBB239_1724
; %bb.1723:
	global_load_b32 v5, v[8:9], off
	s_wait_loadcnt 0x0
	v_cvt_f32_f16_e32 v7, v5
	v_cmp_o_f16_e32 vcc_lo, v5, v5
	s_delay_alu instid0(VALU_DEP_2) | instskip(NEXT) | instid1(VALU_DEP_1)
	v_bfe_u32 v10, v7, 16, 1
	v_add3_u32 v7, v7, v10, 0x7fff
	s_delay_alu instid0(VALU_DEP_1) | instskip(NEXT) | instid1(VALU_DEP_1)
	v_lshrrev_b32_e32 v7, 16, v7
	v_cndmask_b32_e32 v10, 0x7fc0, v7, vcc_lo
.LBB239_1724:
	s_mov_b32 s0, 0
.LBB239_1725:
	s_delay_alu instid0(SALU_CYCLE_1)
	s_and_not1_b32 vcc_lo, exec_lo, s0
	s_cbranch_vccnz .LBB239_1736
; %bb.1726:
	s_cmp_lt_i32 s11, 6
	s_cbranch_scc1 .LBB239_1729
; %bb.1727:
	s_cmp_gt_i32 s11, 6
	s_cbranch_scc0 .LBB239_1730
; %bb.1728:
	s_wait_loadcnt 0x0
	global_load_b64 v[10:11], v[8:9], off
	s_mov_b32 s0, 0
	s_wait_loadcnt 0x0
	v_cvt_f32_f64_e32 v5, v[10:11]
	s_delay_alu instid0(VALU_DEP_1) | instskip(SKIP_1) | instid1(VALU_DEP_2)
	v_bfe_u32 v7, v5, 16, 1
	v_cmp_o_f32_e32 vcc_lo, v5, v5
	v_add3_u32 v7, v5, v7, 0x7fff
	s_delay_alu instid0(VALU_DEP_1) | instskip(NEXT) | instid1(VALU_DEP_1)
	v_lshrrev_b32_e32 v7, 16, v7
	v_cndmask_b32_e32 v10, 0x7fc0, v7, vcc_lo
	s_branch .LBB239_1731
.LBB239_1729:
	s_mov_b32 s0, -1
                                        ; implicit-def: $vgpr10
	s_branch .LBB239_1734
.LBB239_1730:
	s_mov_b32 s0, -1
                                        ; implicit-def: $vgpr10
.LBB239_1731:
	s_delay_alu instid0(SALU_CYCLE_1)
	s_and_not1_b32 vcc_lo, exec_lo, s0
	s_cbranch_vccnz .LBB239_1733
; %bb.1732:
	global_load_b32 v5, v[8:9], off
	s_wait_loadcnt 0x0
	v_bfe_u32 v7, v5, 16, 1
	v_cmp_o_f32_e32 vcc_lo, v5, v5
	s_delay_alu instid0(VALU_DEP_2) | instskip(NEXT) | instid1(VALU_DEP_1)
	v_add3_u32 v7, v5, v7, 0x7fff
	v_lshrrev_b32_e32 v7, 16, v7
	s_delay_alu instid0(VALU_DEP_1)
	v_cndmask_b32_e32 v10, 0x7fc0, v7, vcc_lo
.LBB239_1733:
	s_mov_b32 s0, 0
.LBB239_1734:
	s_delay_alu instid0(SALU_CYCLE_1)
	s_and_not1_b32 vcc_lo, exec_lo, s0
	s_cbranch_vccnz .LBB239_1736
; %bb.1735:
	global_load_u16 v5, v[8:9], off
	s_wait_loadcnt 0x0
	v_cvt_f32_f16_e32 v7, v5
	v_cmp_o_f16_e32 vcc_lo, v5, v5
	s_delay_alu instid0(VALU_DEP_2) | instskip(NEXT) | instid1(VALU_DEP_1)
	v_bfe_u32 v10, v7, 16, 1
	v_add3_u32 v7, v7, v10, 0x7fff
	s_delay_alu instid0(VALU_DEP_1) | instskip(NEXT) | instid1(VALU_DEP_1)
	v_lshrrev_b32_e32 v7, 16, v7
	v_cndmask_b32_e32 v10, 0x7fc0, v7, vcc_lo
.LBB239_1736:
	s_mov_b32 s0, 0
.LBB239_1737:
	s_delay_alu instid0(SALU_CYCLE_1)
	s_and_not1_b32 vcc_lo, exec_lo, s0
	s_cbranch_vccnz .LBB239_1757
; %bb.1738:
	s_cmp_lt_i32 s11, 2
	s_cbranch_scc1 .LBB239_1742
; %bb.1739:
	s_cmp_lt_i32 s11, 3
	s_cbranch_scc1 .LBB239_1743
; %bb.1740:
	s_cmp_gt_i32 s11, 3
	s_cbranch_scc0 .LBB239_1744
; %bb.1741:
	s_wait_loadcnt 0x0
	global_load_b64 v[10:11], v[8:9], off
	s_mov_b32 s0, 0
	s_wait_loadcnt 0x0
	v_xor_b32_e32 v5, v10, v11
	v_cls_i32_e32 v7, v11
	s_delay_alu instid0(VALU_DEP_2) | instskip(NEXT) | instid1(VALU_DEP_1)
	v_ashrrev_i32_e32 v5, 31, v5
	v_add_nc_u32_e32 v5, 32, v5
	s_delay_alu instid0(VALU_DEP_1) | instskip(NEXT) | instid1(VALU_DEP_1)
	v_add_min_u32_e64 v5, v7, -1, v5
	v_lshlrev_b64_e32 v[10:11], v5, v[10:11]
	v_sub_nc_u32_e32 v5, 32, v5
	s_delay_alu instid0(VALU_DEP_2) | instskip(NEXT) | instid1(VALU_DEP_1)
	v_min_u32_e32 v7, 1, v10
	v_or_b32_e32 v7, v11, v7
	s_delay_alu instid0(VALU_DEP_1) | instskip(NEXT) | instid1(VALU_DEP_1)
	v_cvt_f32_i32_e32 v7, v7
	v_ldexp_f32 v5, v7, v5
	s_delay_alu instid0(VALU_DEP_1) | instskip(NEXT) | instid1(VALU_DEP_1)
	v_bfe_u32 v7, v5, 16, 1
	v_add3_u32 v5, v5, v7, 0x7fff
	s_delay_alu instid0(VALU_DEP_1)
	v_lshrrev_b32_e32 v10, 16, v5
	s_branch .LBB239_1745
.LBB239_1742:
	s_mov_b32 s0, -1
                                        ; implicit-def: $vgpr10
	s_branch .LBB239_1751
.LBB239_1743:
	s_mov_b32 s0, -1
                                        ; implicit-def: $vgpr10
	s_branch .LBB239_1748
.LBB239_1744:
	s_mov_b32 s0, -1
                                        ; implicit-def: $vgpr10
.LBB239_1745:
	s_delay_alu instid0(SALU_CYCLE_1)
	s_and_not1_b32 vcc_lo, exec_lo, s0
	s_cbranch_vccnz .LBB239_1747
; %bb.1746:
	global_load_b32 v5, v[8:9], off
	s_wait_loadcnt 0x0
	v_cvt_f32_i32_e32 v5, v5
	s_delay_alu instid0(VALU_DEP_1) | instskip(NEXT) | instid1(VALU_DEP_1)
	v_bfe_u32 v7, v5, 16, 1
	v_add3_u32 v5, v5, v7, 0x7fff
	s_delay_alu instid0(VALU_DEP_1)
	v_lshrrev_b32_e32 v10, 16, v5
.LBB239_1747:
	s_mov_b32 s0, 0
.LBB239_1748:
	s_delay_alu instid0(SALU_CYCLE_1)
	s_and_not1_b32 vcc_lo, exec_lo, s0
	s_cbranch_vccnz .LBB239_1750
; %bb.1749:
	global_load_i16 v5, v[8:9], off
	s_wait_loadcnt 0x0
	v_cvt_f32_i32_e32 v5, v5
	s_delay_alu instid0(VALU_DEP_1) | instskip(NEXT) | instid1(VALU_DEP_1)
	v_bfe_u32 v7, v5, 16, 1
	v_add3_u32 v5, v5, v7, 0x7fff
	s_delay_alu instid0(VALU_DEP_1)
	v_lshrrev_b32_e32 v10, 16, v5
.LBB239_1750:
	s_mov_b32 s0, 0
.LBB239_1751:
	s_delay_alu instid0(SALU_CYCLE_1)
	s_and_not1_b32 vcc_lo, exec_lo, s0
	s_cbranch_vccnz .LBB239_1757
; %bb.1752:
	s_cmp_gt_i32 s11, 0
	s_mov_b32 s0, 0
	s_cbranch_scc0 .LBB239_1754
; %bb.1753:
	global_load_i8 v5, v[8:9], off
	s_wait_loadcnt 0x0
	v_cvt_f32_i32_e32 v5, v5
	s_delay_alu instid0(VALU_DEP_1) | instskip(NEXT) | instid1(VALU_DEP_1)
	v_bfe_u32 v7, v5, 16, 1
	v_add3_u32 v5, v5, v7, 0x7fff
	s_delay_alu instid0(VALU_DEP_1)
	v_lshrrev_b32_e32 v10, 16, v5
	s_branch .LBB239_1755
.LBB239_1754:
	s_mov_b32 s0, -1
                                        ; implicit-def: $vgpr10
.LBB239_1755:
	s_delay_alu instid0(SALU_CYCLE_1)
	s_and_not1_b32 vcc_lo, exec_lo, s0
	s_cbranch_vccnz .LBB239_1757
; %bb.1756:
	global_load_u8 v5, v[8:9], off
	s_wait_loadcnt 0x0
	v_cvt_f32_ubyte0_e32 v5, v5
	s_delay_alu instid0(VALU_DEP_1) | instskip(NEXT) | instid1(VALU_DEP_1)
	v_bfe_u32 v7, v5, 16, 1
	v_add3_u32 v5, v5, v7, 0x7fff
	s_delay_alu instid0(VALU_DEP_1)
	v_lshrrev_b32_e32 v10, 16, v5
.LBB239_1757:
	s_mov_b32 s6, -1
.LBB239_1758:
	s_delay_alu instid0(SALU_CYCLE_1)
	s_and_not1_b32 vcc_lo, exec_lo, s6
	s_cbranch_vccnz .LBB239_1763
; %bb.1759:
	s_wait_loadcnt 0x0
	v_lshlrev_b32_e32 v5, 16, v10
	s_mov_b32 s6, exec_lo
	s_wait_xcnt 0x0
	s_delay_alu instid0(VALU_DEP_1)
	v_cmpx_o_f32_e32 v5, v5
	s_cbranch_execz .LBB239_1815
; %bb.1760:
	s_load_b64 s[0:1], s[2:3], 0x158
	s_mov_b32 s7, 0
	s_wait_kmcnt 0x0
	s_cmp_lt_i32 s0, 1
	s_cbranch_scc1 .LBB239_1808
; %bb.1761:
	s_cmp_eq_u32 s0, 1
	s_cbranch_scc0 .LBB239_1809
; %bb.1762:
	v_max_num_f32_e64 v7, s1, s1
	v_max_num_f32_e32 v8, v5, v5
	s_mov_b32 s11, 0
	s_delay_alu instid0(VALU_DEP_1) | instskip(NEXT) | instid1(VALU_DEP_1)
	v_min_num_f32_e32 v7, v8, v7
	v_bfe_u32 v8, v7, 16, 1
	s_delay_alu instid0(VALU_DEP_1) | instskip(NEXT) | instid1(VALU_DEP_1)
	v_add3_u32 v7, v7, v8, 0x7fff
	v_lshrrev_b32_e32 v10, 16, v7
	s_branch .LBB239_1810
.LBB239_1763:
	s_mov_b32 s0, 0
	s_mov_b32 s3, 0
                                        ; implicit-def: $vgpr2_vgpr3
                                        ; implicit-def: $sgpr1
                                        ; implicit-def: $vgpr10
.LBB239_1764:
	s_and_not1_b32 s2, s8, exec_lo
	s_and_b32 s4, s10, exec_lo
	s_and_b32 s0, s0, exec_lo
	;; [unrolled: 1-line block ×3, first 2 shown]
	s_or_b32 s8, s2, s4
.LBB239_1765:
	s_wait_xcnt 0x0
	s_or_b32 exec_lo, exec_lo, s9
	s_and_saveexec_b32 s2, s8
	s_cbranch_execz .LBB239_1768
; %bb.1766:
	; divergent unreachable
	s_or_b32 exec_lo, exec_lo, s2
	s_and_saveexec_b32 s2, s35
	s_delay_alu instid0(SALU_CYCLE_1)
	s_xor_b32 s2, exec_lo, s2
	s_cbranch_execnz .LBB239_1769
.LBB239_1767:
	s_or_b32 exec_lo, exec_lo, s2
	s_and_saveexec_b32 s2, s0
	s_cbranch_execnz .LBB239_1770
	s_branch .LBB239_1807
.LBB239_1768:
	s_or_b32 exec_lo, exec_lo, s2
	s_and_saveexec_b32 s2, s35
	s_delay_alu instid0(SALU_CYCLE_1)
	s_xor_b32 s2, exec_lo, s2
	s_cbranch_execz .LBB239_1767
.LBB239_1769:
	s_wait_loadcnt 0x0
	v_and_b32_e32 v0, 0x7fff, v10
	s_delay_alu instid0(VALU_DEP_1)
	v_cmp_ne_u16_e32 vcc_lo, 0, v0
	v_cndmask_b32_e64 v0, 0, 1, vcc_lo
	global_store_b8 v[2:3], v0, off
	s_wait_xcnt 0x0
	s_or_b32 exec_lo, exec_lo, s2
	s_and_saveexec_b32 s2, s0
	s_cbranch_execz .LBB239_1807
.LBB239_1770:
	s_sext_i32_i16 s2, s1
	s_mov_b32 s0, -1
	s_cmp_lt_i32 s2, 5
	s_cbranch_scc1 .LBB239_1791
; %bb.1771:
	s_cmp_lt_i32 s2, 8
	s_cbranch_scc1 .LBB239_1781
; %bb.1772:
	;; [unrolled: 3-line block ×3, first 2 shown]
	s_cmp_gt_i32 s2, 9
	s_cbranch_scc0 .LBB239_1775
; %bb.1774:
	s_wait_loadcnt 0x0
	v_dual_lshlrev_b32 v0, 16, v10 :: v_dual_mov_b32 v6, 0
	s_mov_b32 s0, 0
	s_delay_alu instid0(VALU_DEP_1) | instskip(NEXT) | instid1(VALU_DEP_2)
	v_cvt_f64_f32_e32 v[4:5], v0
	v_mov_b32_e32 v7, v6
	global_store_b128 v[2:3], v[4:7], off
.LBB239_1775:
	s_and_not1_b32 vcc_lo, exec_lo, s0
	s_cbranch_vccnz .LBB239_1777
; %bb.1776:
	s_wait_loadcnt 0x0
	v_dual_mov_b32 v1, 0 :: v_dual_lshlrev_b32 v0, 16, v10
	global_store_b64 v[2:3], v[0:1], off
.LBB239_1777:
	s_mov_b32 s0, 0
.LBB239_1778:
	s_delay_alu instid0(SALU_CYCLE_1)
	s_and_not1_b32 vcc_lo, exec_lo, s0
	s_cbranch_vccnz .LBB239_1780
; %bb.1779:
	s_wait_loadcnt 0x0
	v_lshlrev_b32_e32 v0, 16, v10
	s_delay_alu instid0(VALU_DEP_1) | instskip(NEXT) | instid1(VALU_DEP_1)
	v_cvt_f16_f32_e32 v0, v0
	v_and_b32_e32 v0, 0xffff, v0
	global_store_b32 v[2:3], v0, off
.LBB239_1780:
	s_mov_b32 s0, 0
.LBB239_1781:
	s_delay_alu instid0(SALU_CYCLE_1)
	s_and_not1_b32 vcc_lo, exec_lo, s0
	s_cbranch_vccnz .LBB239_1790
; %bb.1782:
	s_sext_i32_i16 s2, s1
	s_mov_b32 s0, -1
	s_cmp_lt_i32 s2, 6
	s_cbranch_scc1 .LBB239_1788
; %bb.1783:
	s_cmp_gt_i32 s2, 6
	s_cbranch_scc0 .LBB239_1785
; %bb.1784:
	s_wait_loadcnt 0x0
	v_lshlrev_b32_e32 v0, 16, v10
	s_mov_b32 s0, 0
	s_delay_alu instid0(VALU_DEP_1)
	v_cvt_f64_f32_e32 v[0:1], v0
	global_store_b64 v[2:3], v[0:1], off
.LBB239_1785:
	s_and_not1_b32 vcc_lo, exec_lo, s0
	s_cbranch_vccnz .LBB239_1787
; %bb.1786:
	s_wait_loadcnt 0x0
	v_lshlrev_b32_e32 v0, 16, v10
	global_store_b32 v[2:3], v0, off
.LBB239_1787:
	s_mov_b32 s0, 0
.LBB239_1788:
	s_delay_alu instid0(SALU_CYCLE_1)
	s_and_not1_b32 vcc_lo, exec_lo, s0
	s_cbranch_vccnz .LBB239_1790
; %bb.1789:
	s_wait_loadcnt 0x0
	v_lshlrev_b32_e32 v0, 16, v10
	s_delay_alu instid0(VALU_DEP_1)
	v_cvt_f16_f32_e32 v0, v0
	global_store_b16 v[2:3], v0, off
.LBB239_1790:
	s_mov_b32 s0, 0
.LBB239_1791:
	s_delay_alu instid0(SALU_CYCLE_1)
	s_and_not1_b32 vcc_lo, exec_lo, s0
	s_cbranch_vccnz .LBB239_1807
; %bb.1792:
	s_sext_i32_i16 s2, s1
	s_mov_b32 s0, -1
	s_cmp_lt_i32 s2, 2
	s_cbranch_scc1 .LBB239_1802
; %bb.1793:
	s_cmp_lt_i32 s2, 3
	s_cbranch_scc1 .LBB239_1799
; %bb.1794:
	s_cmp_gt_i32 s2, 3
	s_cbranch_scc0 .LBB239_1796
; %bb.1795:
	s_wait_loadcnt 0x0
	v_lshlrev_b32_e32 v0, 16, v10
	s_mov_b32 s0, 0
	s_delay_alu instid0(VALU_DEP_1) | instskip(NEXT) | instid1(VALU_DEP_1)
	v_trunc_f32_e32 v0, v0
	v_mul_f32_e64 v1, 0x2f800000, |v0|
	s_delay_alu instid0(VALU_DEP_1) | instskip(NEXT) | instid1(VALU_DEP_1)
	v_floor_f32_e32 v1, v1
	v_fma_f32 v4, 0xcf800000, v1, |v0|
	v_ashrrev_i32_e32 v0, 31, v0
	v_cvt_u32_f32_e32 v5, v1
	s_delay_alu instid0(VALU_DEP_3) | instskip(NEXT) | instid1(VALU_DEP_2)
	v_cvt_u32_f32_e32 v4, v4
	v_dual_mov_b32 v1, v0 :: v_dual_bitop2_b32 v5, v5, v0 bitop3:0x14
	s_delay_alu instid0(VALU_DEP_2) | instskip(NEXT) | instid1(VALU_DEP_1)
	v_xor_b32_e32 v4, v4, v0
	v_sub_nc_u64_e32 v[0:1], v[4:5], v[0:1]
	global_store_b64 v[2:3], v[0:1], off
.LBB239_1796:
	s_and_not1_b32 vcc_lo, exec_lo, s0
	s_cbranch_vccnz .LBB239_1798
; %bb.1797:
	s_wait_loadcnt 0x0
	v_lshlrev_b32_e32 v0, 16, v10
	s_delay_alu instid0(VALU_DEP_1)
	v_cvt_i32_f32_e32 v0, v0
	global_store_b32 v[2:3], v0, off
.LBB239_1798:
	s_mov_b32 s0, 0
.LBB239_1799:
	s_delay_alu instid0(SALU_CYCLE_1)
	s_and_not1_b32 vcc_lo, exec_lo, s0
	s_cbranch_vccnz .LBB239_1801
; %bb.1800:
	s_wait_loadcnt 0x0
	v_lshlrev_b32_e32 v0, 16, v10
	s_delay_alu instid0(VALU_DEP_1)
	v_cvt_i32_f32_e32 v0, v0
	global_store_b16 v[2:3], v0, off
.LBB239_1801:
	s_mov_b32 s0, 0
.LBB239_1802:
	s_delay_alu instid0(SALU_CYCLE_1)
	s_and_not1_b32 vcc_lo, exec_lo, s0
	s_cbranch_vccnz .LBB239_1807
; %bb.1803:
	s_sext_i32_i16 s0, s1
	s_delay_alu instid0(SALU_CYCLE_1)
	s_cmp_gt_i32 s0, 0
	s_mov_b32 s0, -1
	s_cbranch_scc0 .LBB239_1805
; %bb.1804:
	s_wait_loadcnt 0x0
	v_lshlrev_b32_e32 v0, 16, v10
	s_mov_b32 s0, 0
	s_delay_alu instid0(VALU_DEP_1)
	v_cvt_i32_f32_e32 v0, v0
	global_store_b8 v[2:3], v0, off
.LBB239_1805:
	s_and_not1_b32 vcc_lo, exec_lo, s0
	s_cbranch_vccnz .LBB239_1807
; %bb.1806:
	s_wait_loadcnt 0x0
	v_lshlrev_b32_e32 v0, 16, v10
	s_delay_alu instid0(VALU_DEP_1) | instskip(NEXT) | instid1(VALU_DEP_1)
	v_trunc_f32_e32 v0, v0
	v_mul_f32_e64 v1, 0x2f800000, |v0|
	s_delay_alu instid0(VALU_DEP_1) | instskip(NEXT) | instid1(VALU_DEP_1)
	v_floor_f32_e32 v1, v1
	v_fma_f32 v1, 0xcf800000, v1, |v0|
	v_ashrrev_i32_e32 v0, 31, v0
	s_delay_alu instid0(VALU_DEP_2) | instskip(NEXT) | instid1(VALU_DEP_1)
	v_cvt_u32_f32_e32 v1, v1
	v_xor_b32_e32 v1, v1, v0
	s_delay_alu instid0(VALU_DEP_1)
	v_sub_nc_u32_e32 v0, v1, v0
	global_store_b8 v[2:3], v0, off
	s_endpgm
.LBB239_1807:
	s_endpgm
.LBB239_1808:
	s_mov_b32 s12, -1
	s_mov_b32 s11, 0
                                        ; implicit-def: $vgpr10
	s_branch .LBB239_1811
.LBB239_1809:
	s_mov_b32 s11, -1
                                        ; implicit-def: $vgpr10
.LBB239_1810:
	s_mov_b32 s12, 0
.LBB239_1811:
	s_delay_alu instid0(SALU_CYCLE_1)
	s_and_b32 vcc_lo, exec_lo, s12
	s_cbranch_vccz .LBB239_1893
; %bb.1812:
	s_cmp_lg_u32 s0, 0
	s_mov_b32 s7, -1
	s_cselect_b32 s11, -1, 0
	s_delay_alu instid0(SALU_CYCLE_1)
	s_and_not1_b32 vcc_lo, exec_lo, s11
	s_cbranch_vccz .LBB239_1894
.LBB239_1813:
	s_and_not1_b32 vcc_lo, exec_lo, s7
	s_cbranch_vccnz .LBB239_1815
.LBB239_1814:
	v_max_num_f32_e64 v7, s1, s1
	v_max_num_f32_e32 v5, v5, v5
	s_delay_alu instid0(VALU_DEP_1) | instskip(NEXT) | instid1(VALU_DEP_1)
	v_max_num_f32_e32 v5, v5, v7
	v_bfe_u32 v7, v5, 16, 1
	s_delay_alu instid0(VALU_DEP_1) | instskip(NEXT) | instid1(VALU_DEP_1)
	v_add3_u32 v5, v5, v7, 0x7fff
	v_lshrrev_b32_e32 v10, 16, v5
.LBB239_1815:
	s_or_b32 exec_lo, exec_lo, s6
	s_load_b32 s0, s[2:3], 0x164
	v_mov_b32_e32 v7, 0
	s_delay_alu instid0(VALU_DEP_1) | instskip(SKIP_2) | instid1(SALU_CYCLE_1)
	v_add_nc_u64_e32 v[6:7], s[4:5], v[6:7]
	s_wait_kmcnt 0x0
	s_and_b32 s1, s0, 0xff
	s_cmp_lt_i32 s1, 11
	s_cbranch_scc1 .LBB239_1895
; %bb.1816:
	s_and_b32 s2, 0xffff, s1
	s_mov_b32 s7, -1
	s_mov_b32 s3, 0
	s_cmp_gt_i32 s2, 25
	s_mov_b32 s6, 0
	s_mov_b32 s0, 0
	s_cbranch_scc0 .LBB239_1849
; %bb.1817:
	s_cmp_gt_i32 s2, 28
	s_cbranch_scc0 .LBB239_1832
; %bb.1818:
	s_cmp_gt_i32 s2, 43
	;; [unrolled: 3-line block ×3, first 2 shown]
	s_cbranch_scc0 .LBB239_1822
; %bb.1820:
	s_mov_b32 s0, -1
	s_mov_b32 s7, 0
	s_cmp_eq_u32 s2, 46
	s_cbranch_scc0 .LBB239_1822
; %bb.1821:
	v_and_b32_e32 v5, 0xffff, v1
	s_mov_b32 s0, 0
	s_mov_b32 s6, -1
	global_store_b32 v[6:7], v5, off
.LBB239_1822:
	s_and_b32 vcc_lo, exec_lo, s7
	s_cbranch_vccz .LBB239_1827
; %bb.1823:
	s_cmp_eq_u32 s2, 44
	s_mov_b32 s0, -1
	s_cbranch_scc0 .LBB239_1827
; %bb.1824:
	s_wait_xcnt 0x0
	v_and_b32_e32 v5, 0xffff, v1
	v_mov_b32_e32 v8, 0xff
	s_mov_b32 s6, exec_lo
	s_delay_alu instid0(VALU_DEP_2) | instskip(NEXT) | instid1(VALU_DEP_1)
	v_bfe_u32 v9, v5, 7, 8
	v_cmpx_ne_u32_e32 0xff, v9
	s_cbranch_execz .LBB239_1826
; %bb.1825:
	v_dual_lshlrev_b32 v8, 16, v5 :: v_dual_bitop2_b32 v11, 64, v5 bitop3:0x40
	v_lshrrev_b32_e32 v5, 7, v5
	s_delay_alu instid0(VALU_DEP_2) | instskip(NEXT) | instid1(VALU_DEP_3)
	v_and_or_b32 v8, 0x3f0000, v8, v9
	v_cmp_ne_u32_e32 vcc_lo, 0, v11
	s_delay_alu instid0(VALU_DEP_2) | instskip(SKIP_1) | instid1(SALU_CYCLE_1)
	v_cmp_ne_u32_e64 s0, 0, v8
	s_and_b32 s0, vcc_lo, s0
	v_cndmask_b32_e64 v8, 0, 1, s0
	s_delay_alu instid0(VALU_DEP_1)
	v_add_nc_u32_e32 v8, v5, v8
.LBB239_1826:
	s_or_b32 exec_lo, exec_lo, s6
	s_mov_b32 s0, 0
	s_mov_b32 s6, -1
	global_store_b8 v[6:7], v8, off
.LBB239_1827:
	s_mov_b32 s7, 0
.LBB239_1828:
	s_delay_alu instid0(SALU_CYCLE_1)
	s_and_b32 vcc_lo, exec_lo, s7
	s_cbranch_vccz .LBB239_1831
; %bb.1829:
	s_cmp_eq_u32 s2, 29
	s_mov_b32 s0, -1
	s_cbranch_scc0 .LBB239_1831
; %bb.1830:
	s_wait_xcnt 0x0
	v_lshlrev_b32_e32 v5, 16, v1
	s_mov_b32 s0, 0
	s_mov_b32 s6, -1
	s_delay_alu instid0(VALU_DEP_1) | instskip(NEXT) | instid1(VALU_DEP_1)
	v_trunc_f32_e32 v5, v5
	v_mul_f32_e32 v8, 0x2f800000, v5
	s_delay_alu instid0(VALU_DEP_1) | instskip(NEXT) | instid1(VALU_DEP_1)
	v_floor_f32_e32 v8, v8
	v_fmamk_f32 v5, v8, 0xcf800000, v5
	v_cvt_u32_f32_e32 v9, v8
	s_delay_alu instid0(VALU_DEP_2)
	v_cvt_u32_f32_e32 v8, v5
	global_store_b64 v[6:7], v[8:9], off
.LBB239_1831:
	s_mov_b32 s7, 0
.LBB239_1832:
	s_delay_alu instid0(SALU_CYCLE_1)
	s_and_b32 vcc_lo, exec_lo, s7
	s_cbranch_vccz .LBB239_1848
; %bb.1833:
	s_cmp_lt_i32 s2, 27
	s_mov_b32 s6, -1
	s_cbranch_scc1 .LBB239_1839
; %bb.1834:
	s_cmp_gt_i32 s2, 27
	s_cbranch_scc0 .LBB239_1836
; %bb.1835:
	s_wait_xcnt 0x0
	v_lshlrev_b32_e32 v5, 16, v1
	s_mov_b32 s6, 0
	s_delay_alu instid0(VALU_DEP_1)
	v_cvt_u32_f32_e32 v5, v5
	global_store_b32 v[6:7], v5, off
.LBB239_1836:
	s_and_not1_b32 vcc_lo, exec_lo, s6
	s_cbranch_vccnz .LBB239_1838
; %bb.1837:
	s_wait_xcnt 0x0
	v_lshlrev_b32_e32 v5, 16, v1
	s_delay_alu instid0(VALU_DEP_1)
	v_cvt_u32_f32_e32 v5, v5
	global_store_b16 v[6:7], v5, off
.LBB239_1838:
	s_mov_b32 s6, 0
.LBB239_1839:
	s_delay_alu instid0(SALU_CYCLE_1)
	s_and_not1_b32 vcc_lo, exec_lo, s6
	s_cbranch_vccnz .LBB239_1847
; %bb.1840:
	s_wait_xcnt 0x0
	v_lshlrev_b32_e32 v9, 16, v1
	v_mov_b32_e32 v11, 0x80
	s_mov_b32 s6, exec_lo
	s_delay_alu instid0(VALU_DEP_2) | instskip(NEXT) | instid1(VALU_DEP_1)
	v_and_b32_e32 v8, 0x7fffffff, v9
	v_cmpx_gt_u32_e32 0x43800000, v8
	s_cbranch_execz .LBB239_1846
; %bb.1841:
	v_and_b32_e32 v5, 0xffff, v1
	v_cmp_lt_u32_e32 vcc_lo, 0x3bffffff, v8
	s_mov_b32 s7, 0
                                        ; implicit-def: $vgpr8
	s_and_saveexec_b32 s11, vcc_lo
	s_delay_alu instid0(SALU_CYCLE_1)
	s_xor_b32 s11, exec_lo, s11
	s_cbranch_execz .LBB239_2253
; %bb.1842:
	v_bfe_u32 v8, v5, 4, 1
	s_mov_b32 s7, exec_lo
	s_delay_alu instid0(VALU_DEP_1) | instskip(NEXT) | instid1(VALU_DEP_1)
	v_add3_u32 v8, v9, v8, 0x487ffff
                                        ; implicit-def: $vgpr9
	v_lshrrev_b32_e32 v8, 20, v8
	s_and_not1_saveexec_b32 s11, s11
	s_cbranch_execnz .LBB239_2254
.LBB239_1843:
	s_or_b32 exec_lo, exec_lo, s11
	v_mov_b32_e32 v11, 0
	s_and_saveexec_b32 s11, s7
.LBB239_1844:
	v_lshrrev_b32_e32 v5, 8, v5
	s_delay_alu instid0(VALU_DEP_1)
	v_and_or_b32 v11, 0x80, v5, v8
.LBB239_1845:
	s_or_b32 exec_lo, exec_lo, s11
.LBB239_1846:
	s_delay_alu instid0(SALU_CYCLE_1)
	s_or_b32 exec_lo, exec_lo, s6
	global_store_b8 v[6:7], v11, off
.LBB239_1847:
	s_mov_b32 s6, -1
.LBB239_1848:
	s_mov_b32 s7, 0
.LBB239_1849:
	s_delay_alu instid0(SALU_CYCLE_1)
	s_and_b32 vcc_lo, exec_lo, s7
	s_cbranch_vccz .LBB239_1889
; %bb.1850:
	s_cmp_gt_i32 s2, 22
	s_mov_b32 s3, -1
	s_cbranch_scc0 .LBB239_1882
; %bb.1851:
	s_cmp_lt_i32 s2, 24
	s_cbranch_scc1 .LBB239_1871
; %bb.1852:
	s_cmp_gt_i32 s2, 24
	s_cbranch_scc0 .LBB239_1860
; %bb.1853:
	s_wait_xcnt 0x0
	v_lshlrev_b32_e32 v9, 16, v1
	v_mov_b32_e32 v11, 0x80
	s_mov_b32 s3, exec_lo
	s_delay_alu instid0(VALU_DEP_2) | instskip(NEXT) | instid1(VALU_DEP_1)
	v_and_b32_e32 v8, 0x7fffffff, v9
	v_cmpx_gt_u32_e32 0x47800000, v8
	s_cbranch_execz .LBB239_1859
; %bb.1854:
	v_and_b32_e32 v5, 0xffff, v1
	v_cmp_lt_u32_e32 vcc_lo, 0x37ffffff, v8
	s_mov_b32 s6, 0
                                        ; implicit-def: $vgpr8
	s_and_saveexec_b32 s7, vcc_lo
	s_delay_alu instid0(SALU_CYCLE_1)
	s_xor_b32 s7, exec_lo, s7
	s_cbranch_execz .LBB239_2256
; %bb.1855:
	v_bfe_u32 v8, v5, 5, 1
	s_mov_b32 s6, exec_lo
	s_delay_alu instid0(VALU_DEP_1) | instskip(NEXT) | instid1(VALU_DEP_1)
	v_add3_u32 v8, v9, v8, 0x88fffff
                                        ; implicit-def: $vgpr9
	v_lshrrev_b32_e32 v8, 21, v8
	s_and_not1_saveexec_b32 s7, s7
	s_cbranch_execnz .LBB239_2257
.LBB239_1856:
	s_or_b32 exec_lo, exec_lo, s7
	v_mov_b32_e32 v11, 0
	s_and_saveexec_b32 s7, s6
.LBB239_1857:
	v_lshrrev_b32_e32 v5, 8, v5
	s_delay_alu instid0(VALU_DEP_1)
	v_and_or_b32 v11, 0x80, v5, v8
.LBB239_1858:
	s_or_b32 exec_lo, exec_lo, s7
.LBB239_1859:
	s_delay_alu instid0(SALU_CYCLE_1)
	s_or_b32 exec_lo, exec_lo, s3
	s_mov_b32 s3, 0
	global_store_b8 v[6:7], v11, off
.LBB239_1860:
	s_and_b32 vcc_lo, exec_lo, s3
	s_cbranch_vccz .LBB239_1870
; %bb.1861:
	s_wait_xcnt 0x0
	v_lshlrev_b32_e32 v9, 16, v1
	v_and_b32_e32 v5, 0xffff, v1
	s_mov_b32 s3, exec_lo
                                        ; implicit-def: $vgpr8
	s_delay_alu instid0(VALU_DEP_2) | instskip(NEXT) | instid1(VALU_DEP_1)
	v_and_b32_e32 v11, 0x7fffffff, v9
	v_cmpx_gt_u32_e32 0x43f00000, v11
	s_xor_b32 s3, exec_lo, s3
	s_cbranch_execz .LBB239_1867
; %bb.1862:
	s_mov_b32 s6, exec_lo
                                        ; implicit-def: $vgpr8
	v_cmpx_lt_u32_e32 0x3c7fffff, v11
	s_xor_b32 s6, exec_lo, s6
; %bb.1863:
	v_bfe_u32 v8, v5, 4, 1
	s_delay_alu instid0(VALU_DEP_1) | instskip(NEXT) | instid1(VALU_DEP_1)
	v_add3_u32 v8, v9, v8, 0x407ffff
	v_and_b32_e32 v9, 0xff00000, v8
	v_lshrrev_b32_e32 v8, 20, v8
	s_delay_alu instid0(VALU_DEP_2) | instskip(NEXT) | instid1(VALU_DEP_2)
	v_cmp_ne_u32_e32 vcc_lo, 0x7f00000, v9
                                        ; implicit-def: $vgpr9
	v_cndmask_b32_e32 v8, 0x7e, v8, vcc_lo
; %bb.1864:
	s_and_not1_saveexec_b32 s6, s6
; %bb.1865:
	v_add_f32_e64 v8, 0x46800000, |v9|
; %bb.1866:
	s_or_b32 exec_lo, exec_lo, s6
                                        ; implicit-def: $vgpr11
.LBB239_1867:
	s_and_not1_saveexec_b32 s3, s3
; %bb.1868:
	v_mov_b32_e32 v8, 0x7f
	v_cmp_lt_u32_e32 vcc_lo, 0x7f800000, v11
	s_delay_alu instid0(VALU_DEP_2)
	v_cndmask_b32_e32 v8, 0x7e, v8, vcc_lo
; %bb.1869:
	s_or_b32 exec_lo, exec_lo, s3
	v_lshrrev_b32_e32 v5, 8, v5
	s_delay_alu instid0(VALU_DEP_1)
	v_and_or_b32 v5, 0x80, v5, v8
	global_store_b8 v[6:7], v5, off
.LBB239_1870:
	s_mov_b32 s3, 0
.LBB239_1871:
	s_delay_alu instid0(SALU_CYCLE_1)
	s_and_not1_b32 vcc_lo, exec_lo, s3
	s_cbranch_vccnz .LBB239_1881
; %bb.1872:
	s_wait_xcnt 0x0
	v_lshlrev_b32_e32 v9, 16, v1
	v_and_b32_e32 v5, 0xffff, v1
	s_mov_b32 s3, exec_lo
                                        ; implicit-def: $vgpr8
	s_delay_alu instid0(VALU_DEP_2) | instskip(NEXT) | instid1(VALU_DEP_1)
	v_and_b32_e32 v11, 0x7fffffff, v9
	v_cmpx_gt_u32_e32 0x47800000, v11
	s_xor_b32 s3, exec_lo, s3
	s_cbranch_execz .LBB239_1878
; %bb.1873:
	s_mov_b32 s6, exec_lo
                                        ; implicit-def: $vgpr8
	v_cmpx_lt_u32_e32 0x387fffff, v11
	s_xor_b32 s6, exec_lo, s6
; %bb.1874:
	v_bfe_u32 v8, v5, 5, 1
	s_delay_alu instid0(VALU_DEP_1) | instskip(NEXT) | instid1(VALU_DEP_1)
	v_add3_u32 v8, v9, v8, 0x80fffff
                                        ; implicit-def: $vgpr9
	v_lshrrev_b32_e32 v8, 21, v8
; %bb.1875:
	s_and_not1_saveexec_b32 s6, s6
; %bb.1876:
	v_add_f32_e64 v8, 0x43000000, |v9|
; %bb.1877:
	s_or_b32 exec_lo, exec_lo, s6
                                        ; implicit-def: $vgpr11
.LBB239_1878:
	s_and_not1_saveexec_b32 s3, s3
; %bb.1879:
	v_mov_b32_e32 v8, 0x7f
	v_cmp_lt_u32_e32 vcc_lo, 0x7f800000, v11
	s_delay_alu instid0(VALU_DEP_2)
	v_cndmask_b32_e32 v8, 0x7c, v8, vcc_lo
; %bb.1880:
	s_or_b32 exec_lo, exec_lo, s3
	v_lshrrev_b32_e32 v5, 8, v5
	s_delay_alu instid0(VALU_DEP_1)
	v_and_or_b32 v5, 0x80, v5, v8
	global_store_b8 v[6:7], v5, off
.LBB239_1881:
	s_mov_b32 s3, 0
	s_mov_b32 s6, -1
.LBB239_1882:
	s_and_not1_b32 vcc_lo, exec_lo, s3
	s_mov_b32 s3, 0
	s_cbranch_vccnz .LBB239_1889
; %bb.1883:
	s_cmp_gt_i32 s2, 14
	s_mov_b32 s3, -1
	s_cbranch_scc0 .LBB239_1887
; %bb.1884:
	s_cmp_eq_u32 s2, 15
	s_mov_b32 s0, -1
	s_cbranch_scc0 .LBB239_1886
; %bb.1885:
	s_mov_b32 s0, 0
	s_mov_b32 s6, -1
	global_store_b16 v[6:7], v1, off
.LBB239_1886:
	s_mov_b32 s3, 0
.LBB239_1887:
	s_delay_alu instid0(SALU_CYCLE_1)
	s_and_b32 vcc_lo, exec_lo, s3
	s_mov_b32 s3, 0
	s_cbranch_vccz .LBB239_1889
; %bb.1888:
	s_cmp_lg_u32 s2, 11
	s_mov_b32 s3, -1
	s_cselect_b32 s0, -1, 0
.LBB239_1889:
	s_delay_alu instid0(SALU_CYCLE_1)
	s_and_b32 vcc_lo, exec_lo, s0
	s_cbranch_vccnz .LBB239_2255
; %bb.1890:
	s_and_not1_b32 vcc_lo, exec_lo, s3
	s_cbranch_vccnz .LBB239_1892
.LBB239_1891:
	s_wait_xcnt 0x0
	v_and_b32_e32 v5, 0x7fff, v1
	s_mov_b32 s6, -1
	s_delay_alu instid0(VALU_DEP_1)
	v_cmp_ne_u16_e32 vcc_lo, 0, v5
	v_cndmask_b32_e64 v5, 0, 1, vcc_lo
	global_store_b8 v[6:7], v5, off
.LBB239_1892:
	s_mov_b32 s0, 0
	s_branch .LBB239_1896
.LBB239_1893:
	s_and_not1_b32 vcc_lo, exec_lo, s11
	s_cbranch_vccnz .LBB239_1813
.LBB239_1894:
	s_load_b32 s0, s[2:3], 0x160
	v_max_num_f32_e64 v7, s1, s1
	v_max_num_f32_e32 v8, v5, v5
	s_wait_kmcnt 0x0
	v_max_num_f32_e64 v9, s0, s0
	s_delay_alu instid0(VALU_DEP_1) | instskip(NEXT) | instid1(VALU_DEP_1)
	v_maxmin_num_f32 v7, v8, v7, v9
	v_bfe_u32 v8, v7, 16, 1
	s_delay_alu instid0(VALU_DEP_1) | instskip(NEXT) | instid1(VALU_DEP_1)
	v_add3_u32 v7, v7, v8, 0x7fff
	v_lshrrev_b32_e32 v10, 16, v7
	s_cbranch_execz .LBB239_1814
	s_branch .LBB239_1815
.LBB239_1895:
	s_mov_b32 s0, -1
	s_mov_b32 s6, 0
.LBB239_1896:
	s_and_b32 vcc_lo, exec_lo, s0
	s_cbranch_vccz .LBB239_1935
; %bb.1897:
	s_and_b32 s0, 0xffff, s1
	s_mov_b32 s2, -1
	s_cmp_lt_i32 s0, 5
	s_cbranch_scc1 .LBB239_1918
; %bb.1898:
	s_cmp_lt_i32 s0, 8
	s_cbranch_scc1 .LBB239_1908
; %bb.1899:
	s_cmp_lt_i32 s0, 9
	s_cbranch_scc1 .LBB239_1905
; %bb.1900:
	s_cmp_gt_i32 s0, 9
	s_cbranch_scc0 .LBB239_1902
; %bb.1901:
	s_wait_xcnt 0x0
	v_dual_mov_b32 v16, 0 :: v_dual_lshlrev_b32 v5, 16, v1
	s_mov_b32 s2, 0
	s_delay_alu instid0(VALU_DEP_1) | instskip(NEXT) | instid1(VALU_DEP_2)
	v_cvt_f64_f32_e32 v[14:15], v5
	v_mov_b32_e32 v17, v16
	global_store_b128 v[6:7], v[14:17], off
.LBB239_1902:
	s_and_not1_b32 vcc_lo, exec_lo, s2
	s_cbranch_vccnz .LBB239_1904
; %bb.1903:
	s_wait_xcnt 0x0
	v_dual_mov_b32 v9, 0 :: v_dual_lshlrev_b32 v8, 16, v1
	global_store_b64 v[6:7], v[8:9], off
.LBB239_1904:
	s_mov_b32 s2, 0
.LBB239_1905:
	s_delay_alu instid0(SALU_CYCLE_1)
	s_and_not1_b32 vcc_lo, exec_lo, s2
	s_cbranch_vccnz .LBB239_1907
; %bb.1906:
	s_wait_xcnt 0x0
	v_lshlrev_b32_e32 v5, 16, v1
	s_delay_alu instid0(VALU_DEP_1) | instskip(NEXT) | instid1(VALU_DEP_1)
	v_cvt_f16_f32_e32 v5, v5
	v_and_b32_e32 v5, 0xffff, v5
	global_store_b32 v[6:7], v5, off
.LBB239_1907:
	s_mov_b32 s2, 0
.LBB239_1908:
	s_delay_alu instid0(SALU_CYCLE_1)
	s_and_not1_b32 vcc_lo, exec_lo, s2
	s_cbranch_vccnz .LBB239_1917
; %bb.1909:
	s_cmp_lt_i32 s0, 6
	s_mov_b32 s2, -1
	s_cbranch_scc1 .LBB239_1915
; %bb.1910:
	s_cmp_gt_i32 s0, 6
	s_cbranch_scc0 .LBB239_1912
; %bb.1911:
	s_wait_xcnt 0x0
	v_lshlrev_b32_e32 v5, 16, v1
	s_mov_b32 s2, 0
	s_delay_alu instid0(VALU_DEP_1)
	v_cvt_f64_f32_e32 v[8:9], v5
	global_store_b64 v[6:7], v[8:9], off
.LBB239_1912:
	s_and_not1_b32 vcc_lo, exec_lo, s2
	s_cbranch_vccnz .LBB239_1914
; %bb.1913:
	s_wait_xcnt 0x0
	v_lshlrev_b32_e32 v5, 16, v1
	global_store_b32 v[6:7], v5, off
.LBB239_1914:
	s_mov_b32 s2, 0
.LBB239_1915:
	s_delay_alu instid0(SALU_CYCLE_1)
	s_and_not1_b32 vcc_lo, exec_lo, s2
	s_cbranch_vccnz .LBB239_1917
; %bb.1916:
	s_wait_xcnt 0x0
	v_lshlrev_b32_e32 v5, 16, v1
	s_delay_alu instid0(VALU_DEP_1)
	v_cvt_f16_f32_e32 v5, v5
	global_store_b16 v[6:7], v5, off
.LBB239_1917:
	s_mov_b32 s2, 0
.LBB239_1918:
	s_delay_alu instid0(SALU_CYCLE_1)
	s_and_not1_b32 vcc_lo, exec_lo, s2
	s_cbranch_vccnz .LBB239_1934
; %bb.1919:
	s_cmp_lt_i32 s0, 2
	s_mov_b32 s2, -1
	s_cbranch_scc1 .LBB239_1929
; %bb.1920:
	s_cmp_lt_i32 s0, 3
	s_cbranch_scc1 .LBB239_1926
; %bb.1921:
	s_cmp_gt_i32 s0, 3
	s_cbranch_scc0 .LBB239_1923
; %bb.1922:
	s_wait_xcnt 0x0
	v_lshlrev_b32_e32 v5, 16, v1
	s_mov_b32 s2, 0
	s_delay_alu instid0(VALU_DEP_1) | instskip(NEXT) | instid1(VALU_DEP_1)
	v_trunc_f32_e32 v5, v5
	v_mul_f32_e64 v8, 0x2f800000, |v5|
	s_delay_alu instid0(VALU_DEP_1) | instskip(SKIP_1) | instid1(VALU_DEP_2)
	v_floor_f32_e32 v9, v8
	v_ashrrev_i32_e32 v8, 31, v5
	v_fma_f32 v11, 0xcf800000, v9, |v5|
	v_cvt_u32_f32_e32 v5, v9
	s_delay_alu instid0(VALU_DEP_3) | instskip(NEXT) | instid1(VALU_DEP_3)
	v_mov_b32_e32 v9, v8
	v_cvt_u32_f32_e32 v11, v11
	s_delay_alu instid0(VALU_DEP_3) | instskip(NEXT) | instid1(VALU_DEP_2)
	v_xor_b32_e32 v15, v5, v8
	v_xor_b32_e32 v14, v11, v8
	s_delay_alu instid0(VALU_DEP_1)
	v_sub_nc_u64_e32 v[8:9], v[14:15], v[8:9]
	global_store_b64 v[6:7], v[8:9], off
.LBB239_1923:
	s_and_not1_b32 vcc_lo, exec_lo, s2
	s_cbranch_vccnz .LBB239_1925
; %bb.1924:
	s_wait_xcnt 0x0
	v_lshlrev_b32_e32 v5, 16, v1
	s_delay_alu instid0(VALU_DEP_1)
	v_cvt_i32_f32_e32 v5, v5
	global_store_b32 v[6:7], v5, off
.LBB239_1925:
	s_mov_b32 s2, 0
.LBB239_1926:
	s_delay_alu instid0(SALU_CYCLE_1)
	s_and_not1_b32 vcc_lo, exec_lo, s2
	s_cbranch_vccnz .LBB239_1928
; %bb.1927:
	s_wait_xcnt 0x0
	v_lshlrev_b32_e32 v5, 16, v1
	s_delay_alu instid0(VALU_DEP_1)
	v_cvt_i32_f32_e32 v5, v5
	global_store_b16 v[6:7], v5, off
.LBB239_1928:
	s_mov_b32 s2, 0
.LBB239_1929:
	s_delay_alu instid0(SALU_CYCLE_1)
	s_and_not1_b32 vcc_lo, exec_lo, s2
	s_cbranch_vccnz .LBB239_1934
; %bb.1930:
	s_wait_xcnt 0x0
	v_lshlrev_b32_e32 v1, 16, v1
	s_cmp_gt_i32 s0, 0
	s_mov_b32 s0, -1
	s_cbranch_scc0 .LBB239_1932
; %bb.1931:
	s_delay_alu instid0(VALU_DEP_1)
	v_cvt_i32_f32_e32 v5, v1
	s_mov_b32 s0, 0
	global_store_b8 v[6:7], v5, off
.LBB239_1932:
	s_and_not1_b32 vcc_lo, exec_lo, s0
	s_cbranch_vccnz .LBB239_1934
; %bb.1933:
	v_trunc_f32_e32 v1, v1
	s_wait_xcnt 0x0
	s_delay_alu instid0(VALU_DEP_1) | instskip(NEXT) | instid1(VALU_DEP_1)
	v_mul_f32_e64 v5, 0x2f800000, |v1|
	v_floor_f32_e32 v5, v5
	s_delay_alu instid0(VALU_DEP_1) | instskip(SKIP_1) | instid1(VALU_DEP_2)
	v_fma_f32 v5, 0xcf800000, v5, |v1|
	v_ashrrev_i32_e32 v1, 31, v1
	v_cvt_u32_f32_e32 v5, v5
	s_delay_alu instid0(VALU_DEP_1) | instskip(NEXT) | instid1(VALU_DEP_1)
	v_xor_b32_e32 v5, v5, v1
	v_sub_nc_u32_e32 v1, v5, v1
	global_store_b8 v[6:7], v1, off
.LBB239_1934:
	s_mov_b32 s6, -1
.LBB239_1935:
	s_delay_alu instid0(SALU_CYCLE_1)
	s_and_not1_b32 vcc_lo, exec_lo, s6
	s_cbranch_vccnz .LBB239_2250
; %bb.1936:
	s_wait_xcnt 0x0
	v_mov_b32_e32 v5, 0
	s_and_b32 s2, 0xffff, s1
	s_delay_alu instid0(SALU_CYCLE_1) | instskip(NEXT) | instid1(VALU_DEP_1)
	s_cmp_lt_i32 s2, 11
	v_add_nc_u64_e32 v[4:5], s[4:5], v[4:5]
	s_cbranch_scc1 .LBB239_2014
; %bb.1937:
	s_mov_b32 s7, -1
	s_mov_b32 s3, 0
	s_cmp_gt_i32 s2, 25
	s_mov_b32 s6, 0
	s_mov_b32 s0, 0
	s_cbranch_scc0 .LBB239_1970
; %bb.1938:
	s_cmp_gt_i32 s2, 28
	s_cbranch_scc0 .LBB239_1953
; %bb.1939:
	s_cmp_gt_i32 s2, 43
	;; [unrolled: 3-line block ×3, first 2 shown]
	s_cbranch_scc0 .LBB239_1943
; %bb.1941:
	s_mov_b32 s0, -1
	s_mov_b32 s7, 0
	s_cmp_eq_u32 s2, 46
	s_cbranch_scc0 .LBB239_1943
; %bb.1942:
	v_and_b32_e32 v1, 0xffff, v3
	s_mov_b32 s0, 0
	s_mov_b32 s6, -1
	global_store_b32 v[4:5], v1, off
.LBB239_1943:
	s_and_b32 vcc_lo, exec_lo, s7
	s_cbranch_vccz .LBB239_1948
; %bb.1944:
	s_cmp_eq_u32 s2, 44
	s_mov_b32 s0, -1
	s_cbranch_scc0 .LBB239_1948
; %bb.1945:
	s_wait_xcnt 0x0
	v_and_b32_e32 v1, 0xffff, v3
	v_mov_b32_e32 v6, 0xff
	s_mov_b32 s6, exec_lo
	s_delay_alu instid0(VALU_DEP_2) | instskip(NEXT) | instid1(VALU_DEP_1)
	v_bfe_u32 v7, v1, 7, 8
	v_cmpx_ne_u32_e32 0xff, v7
	s_cbranch_execz .LBB239_1947
; %bb.1946:
	v_dual_lshlrev_b32 v6, 16, v1 :: v_dual_bitop2_b32 v8, 64, v1 bitop3:0x40
	v_lshrrev_b32_e32 v1, 7, v1
	s_delay_alu instid0(VALU_DEP_2) | instskip(NEXT) | instid1(VALU_DEP_3)
	v_and_or_b32 v6, 0x3f0000, v6, v7
	v_cmp_ne_u32_e32 vcc_lo, 0, v8
	s_delay_alu instid0(VALU_DEP_2) | instskip(SKIP_1) | instid1(SALU_CYCLE_1)
	v_cmp_ne_u32_e64 s0, 0, v6
	s_and_b32 s0, vcc_lo, s0
	v_cndmask_b32_e64 v6, 0, 1, s0
	s_delay_alu instid0(VALU_DEP_1)
	v_add_nc_u32_e32 v6, v1, v6
.LBB239_1947:
	s_or_b32 exec_lo, exec_lo, s6
	s_mov_b32 s0, 0
	s_mov_b32 s6, -1
	global_store_b8 v[4:5], v6, off
.LBB239_1948:
	s_mov_b32 s7, 0
.LBB239_1949:
	s_delay_alu instid0(SALU_CYCLE_1)
	s_and_b32 vcc_lo, exec_lo, s7
	s_cbranch_vccz .LBB239_1952
; %bb.1950:
	s_cmp_eq_u32 s2, 29
	s_mov_b32 s0, -1
	s_cbranch_scc0 .LBB239_1952
; %bb.1951:
	s_wait_xcnt 0x0
	v_lshlrev_b32_e32 v1, 16, v3
	s_mov_b32 s0, 0
	s_mov_b32 s6, -1
	s_delay_alu instid0(VALU_DEP_1) | instskip(NEXT) | instid1(VALU_DEP_1)
	v_trunc_f32_e32 v1, v1
	v_mul_f32_e32 v6, 0x2f800000, v1
	s_delay_alu instid0(VALU_DEP_1) | instskip(NEXT) | instid1(VALU_DEP_1)
	v_floor_f32_e32 v6, v6
	v_fmamk_f32 v1, v6, 0xcf800000, v1
	v_cvt_u32_f32_e32 v7, v6
	s_delay_alu instid0(VALU_DEP_2)
	v_cvt_u32_f32_e32 v6, v1
	global_store_b64 v[4:5], v[6:7], off
.LBB239_1952:
	s_mov_b32 s7, 0
.LBB239_1953:
	s_delay_alu instid0(SALU_CYCLE_1)
	s_and_b32 vcc_lo, exec_lo, s7
	s_cbranch_vccz .LBB239_1969
; %bb.1954:
	s_cmp_lt_i32 s2, 27
	s_mov_b32 s6, -1
	s_cbranch_scc1 .LBB239_1960
; %bb.1955:
	s_cmp_gt_i32 s2, 27
	s_cbranch_scc0 .LBB239_1957
; %bb.1956:
	s_wait_xcnt 0x0
	v_lshlrev_b32_e32 v1, 16, v3
	s_mov_b32 s6, 0
	s_delay_alu instid0(VALU_DEP_1)
	v_cvt_u32_f32_e32 v1, v1
	global_store_b32 v[4:5], v1, off
.LBB239_1957:
	s_and_not1_b32 vcc_lo, exec_lo, s6
	s_cbranch_vccnz .LBB239_1959
; %bb.1958:
	s_wait_xcnt 0x0
	v_lshlrev_b32_e32 v1, 16, v3
	s_delay_alu instid0(VALU_DEP_1)
	v_cvt_u32_f32_e32 v1, v1
	global_store_b16 v[4:5], v1, off
.LBB239_1959:
	s_mov_b32 s6, 0
.LBB239_1960:
	s_delay_alu instid0(SALU_CYCLE_1)
	s_and_not1_b32 vcc_lo, exec_lo, s6
	s_cbranch_vccnz .LBB239_1968
; %bb.1961:
	s_wait_xcnt 0x0
	v_dual_mov_b32 v8, 0x80 :: v_dual_lshlrev_b32 v7, 16, v3
	s_mov_b32 s6, exec_lo
	s_delay_alu instid0(VALU_DEP_1) | instskip(NEXT) | instid1(VALU_DEP_1)
	v_and_b32_e32 v6, 0x7fffffff, v7
	v_cmpx_gt_u32_e32 0x43800000, v6
	s_cbranch_execz .LBB239_1967
; %bb.1962:
	v_and_b32_e32 v1, 0xffff, v3
	v_cmp_lt_u32_e32 vcc_lo, 0x3bffffff, v6
	s_mov_b32 s7, 0
                                        ; implicit-def: $vgpr6
	s_and_saveexec_b32 s11, vcc_lo
	s_delay_alu instid0(SALU_CYCLE_1)
	s_xor_b32 s11, exec_lo, s11
	s_cbranch_execz .LBB239_2258
; %bb.1963:
	v_bfe_u32 v6, v1, 4, 1
	s_mov_b32 s7, exec_lo
	s_delay_alu instid0(VALU_DEP_1) | instskip(NEXT) | instid1(VALU_DEP_1)
	v_add3_u32 v6, v7, v6, 0x487ffff
                                        ; implicit-def: $vgpr7
	v_lshrrev_b32_e32 v6, 20, v6
	s_and_not1_saveexec_b32 s11, s11
	s_cbranch_execnz .LBB239_2259
.LBB239_1964:
	s_or_b32 exec_lo, exec_lo, s11
	v_mov_b32_e32 v8, 0
	s_and_saveexec_b32 s11, s7
.LBB239_1965:
	v_lshrrev_b32_e32 v1, 8, v1
	s_delay_alu instid0(VALU_DEP_1)
	v_and_or_b32 v8, 0x80, v1, v6
.LBB239_1966:
	s_or_b32 exec_lo, exec_lo, s11
.LBB239_1967:
	s_delay_alu instid0(SALU_CYCLE_1)
	s_or_b32 exec_lo, exec_lo, s6
	global_store_b8 v[4:5], v8, off
.LBB239_1968:
	s_mov_b32 s6, -1
.LBB239_1969:
	s_mov_b32 s7, 0
.LBB239_1970:
	s_delay_alu instid0(SALU_CYCLE_1)
	s_and_b32 vcc_lo, exec_lo, s7
	s_cbranch_vccz .LBB239_2010
; %bb.1971:
	s_cmp_gt_i32 s2, 22
	s_mov_b32 s3, -1
	s_cbranch_scc0 .LBB239_2003
; %bb.1972:
	s_cmp_lt_i32 s2, 24
	s_cbranch_scc1 .LBB239_1992
; %bb.1973:
	s_cmp_gt_i32 s2, 24
	s_cbranch_scc0 .LBB239_1981
; %bb.1974:
	s_wait_xcnt 0x0
	v_dual_mov_b32 v8, 0x80 :: v_dual_lshlrev_b32 v7, 16, v3
	s_mov_b32 s3, exec_lo
	s_delay_alu instid0(VALU_DEP_1) | instskip(NEXT) | instid1(VALU_DEP_1)
	v_and_b32_e32 v6, 0x7fffffff, v7
	v_cmpx_gt_u32_e32 0x47800000, v6
	s_cbranch_execz .LBB239_1980
; %bb.1975:
	v_and_b32_e32 v1, 0xffff, v3
	v_cmp_lt_u32_e32 vcc_lo, 0x37ffffff, v6
	s_mov_b32 s6, 0
                                        ; implicit-def: $vgpr6
	s_and_saveexec_b32 s7, vcc_lo
	s_delay_alu instid0(SALU_CYCLE_1)
	s_xor_b32 s7, exec_lo, s7
	s_cbranch_execz .LBB239_2261
; %bb.1976:
	v_bfe_u32 v6, v1, 5, 1
	s_mov_b32 s6, exec_lo
	s_delay_alu instid0(VALU_DEP_1) | instskip(NEXT) | instid1(VALU_DEP_1)
	v_add3_u32 v6, v7, v6, 0x88fffff
                                        ; implicit-def: $vgpr7
	v_lshrrev_b32_e32 v6, 21, v6
	s_and_not1_saveexec_b32 s7, s7
	s_cbranch_execnz .LBB239_2262
.LBB239_1977:
	s_or_b32 exec_lo, exec_lo, s7
	v_mov_b32_e32 v8, 0
	s_and_saveexec_b32 s7, s6
.LBB239_1978:
	v_lshrrev_b32_e32 v1, 8, v1
	s_delay_alu instid0(VALU_DEP_1)
	v_and_or_b32 v8, 0x80, v1, v6
.LBB239_1979:
	s_or_b32 exec_lo, exec_lo, s7
.LBB239_1980:
	s_delay_alu instid0(SALU_CYCLE_1)
	s_or_b32 exec_lo, exec_lo, s3
	s_mov_b32 s3, 0
	global_store_b8 v[4:5], v8, off
.LBB239_1981:
	s_and_b32 vcc_lo, exec_lo, s3
	s_cbranch_vccz .LBB239_1991
; %bb.1982:
	s_wait_xcnt 0x0
	v_lshlrev_b32_e32 v7, 16, v3
	v_and_b32_e32 v1, 0xffff, v3
	s_mov_b32 s3, exec_lo
                                        ; implicit-def: $vgpr6
	s_delay_alu instid0(VALU_DEP_2) | instskip(NEXT) | instid1(VALU_DEP_1)
	v_and_b32_e32 v8, 0x7fffffff, v7
	v_cmpx_gt_u32_e32 0x43f00000, v8
	s_xor_b32 s3, exec_lo, s3
	s_cbranch_execz .LBB239_1988
; %bb.1983:
	s_mov_b32 s6, exec_lo
                                        ; implicit-def: $vgpr6
	v_cmpx_lt_u32_e32 0x3c7fffff, v8
	s_xor_b32 s6, exec_lo, s6
; %bb.1984:
	v_bfe_u32 v6, v1, 4, 1
	s_delay_alu instid0(VALU_DEP_1) | instskip(NEXT) | instid1(VALU_DEP_1)
	v_add3_u32 v6, v7, v6, 0x407ffff
	v_and_b32_e32 v7, 0xff00000, v6
	v_lshrrev_b32_e32 v6, 20, v6
	s_delay_alu instid0(VALU_DEP_2) | instskip(NEXT) | instid1(VALU_DEP_2)
	v_cmp_ne_u32_e32 vcc_lo, 0x7f00000, v7
                                        ; implicit-def: $vgpr7
	v_cndmask_b32_e32 v6, 0x7e, v6, vcc_lo
; %bb.1985:
	s_and_not1_saveexec_b32 s6, s6
; %bb.1986:
	v_add_f32_e64 v6, 0x46800000, |v7|
; %bb.1987:
	s_or_b32 exec_lo, exec_lo, s6
                                        ; implicit-def: $vgpr8
.LBB239_1988:
	s_and_not1_saveexec_b32 s3, s3
; %bb.1989:
	v_mov_b32_e32 v6, 0x7f
	v_cmp_lt_u32_e32 vcc_lo, 0x7f800000, v8
	s_delay_alu instid0(VALU_DEP_2)
	v_cndmask_b32_e32 v6, 0x7e, v6, vcc_lo
; %bb.1990:
	s_or_b32 exec_lo, exec_lo, s3
	v_lshrrev_b32_e32 v1, 8, v1
	s_delay_alu instid0(VALU_DEP_1)
	v_and_or_b32 v1, 0x80, v1, v6
	global_store_b8 v[4:5], v1, off
.LBB239_1991:
	s_mov_b32 s3, 0
.LBB239_1992:
	s_delay_alu instid0(SALU_CYCLE_1)
	s_and_not1_b32 vcc_lo, exec_lo, s3
	s_cbranch_vccnz .LBB239_2002
; %bb.1993:
	s_wait_xcnt 0x0
	v_lshlrev_b32_e32 v7, 16, v3
	v_and_b32_e32 v1, 0xffff, v3
	s_mov_b32 s3, exec_lo
                                        ; implicit-def: $vgpr6
	s_delay_alu instid0(VALU_DEP_2) | instskip(NEXT) | instid1(VALU_DEP_1)
	v_and_b32_e32 v8, 0x7fffffff, v7
	v_cmpx_gt_u32_e32 0x47800000, v8
	s_xor_b32 s3, exec_lo, s3
	s_cbranch_execz .LBB239_1999
; %bb.1994:
	s_mov_b32 s6, exec_lo
                                        ; implicit-def: $vgpr6
	v_cmpx_lt_u32_e32 0x387fffff, v8
	s_xor_b32 s6, exec_lo, s6
; %bb.1995:
	v_bfe_u32 v6, v1, 5, 1
	s_delay_alu instid0(VALU_DEP_1) | instskip(NEXT) | instid1(VALU_DEP_1)
	v_add3_u32 v6, v7, v6, 0x80fffff
                                        ; implicit-def: $vgpr7
	v_lshrrev_b32_e32 v6, 21, v6
; %bb.1996:
	s_and_not1_saveexec_b32 s6, s6
; %bb.1997:
	v_add_f32_e64 v6, 0x43000000, |v7|
; %bb.1998:
	s_or_b32 exec_lo, exec_lo, s6
                                        ; implicit-def: $vgpr8
.LBB239_1999:
	s_and_not1_saveexec_b32 s3, s3
; %bb.2000:
	v_mov_b32_e32 v6, 0x7f
	v_cmp_lt_u32_e32 vcc_lo, 0x7f800000, v8
	s_delay_alu instid0(VALU_DEP_2)
	v_cndmask_b32_e32 v6, 0x7c, v6, vcc_lo
; %bb.2001:
	s_or_b32 exec_lo, exec_lo, s3
	v_lshrrev_b32_e32 v1, 8, v1
	s_delay_alu instid0(VALU_DEP_1)
	v_and_or_b32 v1, 0x80, v1, v6
	global_store_b8 v[4:5], v1, off
.LBB239_2002:
	s_mov_b32 s3, 0
	s_mov_b32 s6, -1
.LBB239_2003:
	s_and_not1_b32 vcc_lo, exec_lo, s3
	s_mov_b32 s3, 0
	s_cbranch_vccnz .LBB239_2010
; %bb.2004:
	s_cmp_gt_i32 s2, 14
	s_mov_b32 s3, -1
	s_cbranch_scc0 .LBB239_2008
; %bb.2005:
	s_cmp_eq_u32 s2, 15
	s_mov_b32 s0, -1
	s_cbranch_scc0 .LBB239_2007
; %bb.2006:
	s_mov_b32 s0, 0
	s_mov_b32 s6, -1
	global_store_b16 v[4:5], v3, off
.LBB239_2007:
	s_mov_b32 s3, 0
.LBB239_2008:
	s_delay_alu instid0(SALU_CYCLE_1)
	s_and_b32 vcc_lo, exec_lo, s3
	s_mov_b32 s3, 0
	s_cbranch_vccz .LBB239_2010
; %bb.2009:
	s_cmp_lg_u32 s2, 11
	s_mov_b32 s3, -1
	s_cselect_b32 s0, -1, 0
.LBB239_2010:
	s_delay_alu instid0(SALU_CYCLE_1)
	s_and_b32 vcc_lo, exec_lo, s0
	s_cbranch_vccnz .LBB239_2260
; %bb.2011:
	s_and_not1_b32 vcc_lo, exec_lo, s3
	s_cbranch_vccnz .LBB239_2013
.LBB239_2012:
	s_wait_xcnt 0x0
	v_and_b32_e32 v1, 0x7fff, v3
	s_mov_b32 s6, -1
	s_delay_alu instid0(VALU_DEP_1)
	v_cmp_ne_u16_e32 vcc_lo, 0, v1
	v_cndmask_b32_e64 v1, 0, 1, vcc_lo
	global_store_b8 v[4:5], v1, off
.LBB239_2013:
	s_mov_b32 s0, 0
	s_branch .LBB239_2015
.LBB239_2014:
	s_mov_b32 s0, -1
	s_mov_b32 s6, 0
.LBB239_2015:
	s_and_b32 vcc_lo, exec_lo, s0
	s_cbranch_vccz .LBB239_2054
; %bb.2016:
	s_cmp_lt_i32 s2, 5
	s_mov_b32 s0, -1
	s_cbranch_scc1 .LBB239_2037
; %bb.2017:
	s_cmp_lt_i32 s2, 8
	s_cbranch_scc1 .LBB239_2027
; %bb.2018:
	s_cmp_lt_i32 s2, 9
	s_cbranch_scc1 .LBB239_2024
; %bb.2019:
	s_cmp_gt_i32 s2, 9
	s_cbranch_scc0 .LBB239_2021
; %bb.2020:
	s_wait_xcnt 0x0
	v_dual_mov_b32 v8, 0 :: v_dual_lshlrev_b32 v1, 16, v3
	s_mov_b32 s0, 0
	s_delay_alu instid0(VALU_DEP_1) | instskip(NEXT) | instid1(VALU_DEP_2)
	v_cvt_f64_f32_e32 v[6:7], v1
	v_mov_b32_e32 v9, v8
	global_store_b128 v[4:5], v[6:9], off
.LBB239_2021:
	s_and_not1_b32 vcc_lo, exec_lo, s0
	s_cbranch_vccnz .LBB239_2023
; %bb.2022:
	s_wait_xcnt 0x0
	v_dual_mov_b32 v7, 0 :: v_dual_lshlrev_b32 v6, 16, v3
	global_store_b64 v[4:5], v[6:7], off
.LBB239_2023:
	s_mov_b32 s0, 0
.LBB239_2024:
	s_delay_alu instid0(SALU_CYCLE_1)
	s_and_not1_b32 vcc_lo, exec_lo, s0
	s_cbranch_vccnz .LBB239_2026
; %bb.2025:
	s_wait_xcnt 0x0
	v_lshlrev_b32_e32 v1, 16, v3
	s_delay_alu instid0(VALU_DEP_1) | instskip(NEXT) | instid1(VALU_DEP_1)
	v_cvt_f16_f32_e32 v1, v1
	v_and_b32_e32 v1, 0xffff, v1
	global_store_b32 v[4:5], v1, off
.LBB239_2026:
	s_mov_b32 s0, 0
.LBB239_2027:
	s_delay_alu instid0(SALU_CYCLE_1)
	s_and_not1_b32 vcc_lo, exec_lo, s0
	s_cbranch_vccnz .LBB239_2036
; %bb.2028:
	s_cmp_lt_i32 s2, 6
	s_mov_b32 s0, -1
	s_cbranch_scc1 .LBB239_2034
; %bb.2029:
	s_cmp_gt_i32 s2, 6
	s_cbranch_scc0 .LBB239_2031
; %bb.2030:
	s_wait_xcnt 0x0
	v_lshlrev_b32_e32 v1, 16, v3
	s_mov_b32 s0, 0
	s_delay_alu instid0(VALU_DEP_1)
	v_cvt_f64_f32_e32 v[6:7], v1
	global_store_b64 v[4:5], v[6:7], off
.LBB239_2031:
	s_and_not1_b32 vcc_lo, exec_lo, s0
	s_cbranch_vccnz .LBB239_2033
; %bb.2032:
	s_wait_xcnt 0x0
	v_lshlrev_b32_e32 v1, 16, v3
	global_store_b32 v[4:5], v1, off
.LBB239_2033:
	s_mov_b32 s0, 0
.LBB239_2034:
	s_delay_alu instid0(SALU_CYCLE_1)
	s_and_not1_b32 vcc_lo, exec_lo, s0
	s_cbranch_vccnz .LBB239_2036
; %bb.2035:
	s_wait_xcnt 0x0
	v_lshlrev_b32_e32 v1, 16, v3
	s_delay_alu instid0(VALU_DEP_1)
	v_cvt_f16_f32_e32 v1, v1
	global_store_b16 v[4:5], v1, off
.LBB239_2036:
	s_mov_b32 s0, 0
.LBB239_2037:
	s_delay_alu instid0(SALU_CYCLE_1)
	s_and_not1_b32 vcc_lo, exec_lo, s0
	s_cbranch_vccnz .LBB239_2053
; %bb.2038:
	s_cmp_lt_i32 s2, 2
	s_mov_b32 s0, -1
	s_cbranch_scc1 .LBB239_2048
; %bb.2039:
	s_cmp_lt_i32 s2, 3
	s_cbranch_scc1 .LBB239_2045
; %bb.2040:
	s_cmp_gt_i32 s2, 3
	s_cbranch_scc0 .LBB239_2042
; %bb.2041:
	s_wait_xcnt 0x0
	v_lshlrev_b32_e32 v1, 16, v3
	s_mov_b32 s0, 0
	s_delay_alu instid0(VALU_DEP_1) | instskip(NEXT) | instid1(VALU_DEP_1)
	v_trunc_f32_e32 v1, v1
	v_mul_f32_e64 v6, 0x2f800000, |v1|
	s_delay_alu instid0(VALU_DEP_1) | instskip(SKIP_1) | instid1(VALU_DEP_2)
	v_floor_f32_e32 v7, v6
	v_ashrrev_i32_e32 v6, 31, v1
	v_fma_f32 v8, 0xcf800000, v7, |v1|
	v_cvt_u32_f32_e32 v1, v7
	s_delay_alu instid0(VALU_DEP_3) | instskip(NEXT) | instid1(VALU_DEP_3)
	v_mov_b32_e32 v7, v6
	v_cvt_u32_f32_e32 v8, v8
	s_delay_alu instid0(VALU_DEP_3) | instskip(NEXT) | instid1(VALU_DEP_2)
	v_xor_b32_e32 v9, v1, v6
	v_xor_b32_e32 v8, v8, v6
	s_delay_alu instid0(VALU_DEP_1)
	v_sub_nc_u64_e32 v[6:7], v[8:9], v[6:7]
	global_store_b64 v[4:5], v[6:7], off
.LBB239_2042:
	s_and_not1_b32 vcc_lo, exec_lo, s0
	s_cbranch_vccnz .LBB239_2044
; %bb.2043:
	s_wait_xcnt 0x0
	v_lshlrev_b32_e32 v1, 16, v3
	s_delay_alu instid0(VALU_DEP_1)
	v_cvt_i32_f32_e32 v1, v1
	global_store_b32 v[4:5], v1, off
.LBB239_2044:
	s_mov_b32 s0, 0
.LBB239_2045:
	s_delay_alu instid0(SALU_CYCLE_1)
	s_and_not1_b32 vcc_lo, exec_lo, s0
	s_cbranch_vccnz .LBB239_2047
; %bb.2046:
	s_wait_xcnt 0x0
	v_lshlrev_b32_e32 v1, 16, v3
	s_delay_alu instid0(VALU_DEP_1)
	v_cvt_i32_f32_e32 v1, v1
	global_store_b16 v[4:5], v1, off
.LBB239_2047:
	s_mov_b32 s0, 0
.LBB239_2048:
	s_delay_alu instid0(SALU_CYCLE_1)
	s_and_not1_b32 vcc_lo, exec_lo, s0
	s_cbranch_vccnz .LBB239_2053
; %bb.2049:
	s_wait_xcnt 0x0
	v_lshlrev_b32_e32 v1, 16, v3
	s_cmp_gt_i32 s2, 0
	s_mov_b32 s0, -1
	s_cbranch_scc0 .LBB239_2051
; %bb.2050:
	s_delay_alu instid0(VALU_DEP_1)
	v_cvt_i32_f32_e32 v3, v1
	s_mov_b32 s0, 0
	global_store_b8 v[4:5], v3, off
.LBB239_2051:
	s_and_not1_b32 vcc_lo, exec_lo, s0
	s_cbranch_vccnz .LBB239_2053
; %bb.2052:
	v_trunc_f32_e32 v1, v1
	s_wait_xcnt 0x0
	s_delay_alu instid0(VALU_DEP_1) | instskip(NEXT) | instid1(VALU_DEP_1)
	v_mul_f32_e64 v3, 0x2f800000, |v1|
	v_floor_f32_e32 v3, v3
	s_delay_alu instid0(VALU_DEP_1) | instskip(SKIP_1) | instid1(VALU_DEP_2)
	v_fma_f32 v3, 0xcf800000, v3, |v1|
	v_ashrrev_i32_e32 v1, 31, v1
	v_cvt_u32_f32_e32 v3, v3
	s_delay_alu instid0(VALU_DEP_1) | instskip(NEXT) | instid1(VALU_DEP_1)
	v_xor_b32_e32 v3, v3, v1
	v_sub_nc_u32_e32 v1, v3, v1
	global_store_b8 v[4:5], v1, off
.LBB239_2053:
	s_mov_b32 s6, -1
.LBB239_2054:
	s_delay_alu instid0(SALU_CYCLE_1)
	s_and_not1_b32 vcc_lo, exec_lo, s6
	s_cbranch_vccnz .LBB239_2250
; %bb.2055:
	s_wait_xcnt 0x0
	v_mov_b32_e32 v3, 0
	s_cmp_lt_i32 s2, 11
	s_delay_alu instid0(VALU_DEP_1)
	v_add_nc_u64_e32 v[2:3], s[4:5], v[2:3]
	s_cbranch_scc1 .LBB239_2133
; %bb.2056:
	s_mov_b32 s7, -1
	s_mov_b32 s3, 0
	s_cmp_gt_i32 s2, 25
	s_mov_b32 s6, 0
	s_mov_b32 s0, 0
	s_cbranch_scc0 .LBB239_2089
; %bb.2057:
	s_cmp_gt_i32 s2, 28
	s_cbranch_scc0 .LBB239_2072
; %bb.2058:
	s_cmp_gt_i32 s2, 43
	;; [unrolled: 3-line block ×3, first 2 shown]
	s_cbranch_scc0 .LBB239_2062
; %bb.2060:
	s_mov_b32 s0, -1
	s_mov_b32 s7, 0
	s_cmp_eq_u32 s2, 46
	s_cbranch_scc0 .LBB239_2062
; %bb.2061:
	v_and_b32_e32 v1, 0xffff, v12
	s_mov_b32 s0, 0
	s_mov_b32 s6, -1
	global_store_b32 v[2:3], v1, off
.LBB239_2062:
	s_and_b32 vcc_lo, exec_lo, s7
	s_cbranch_vccz .LBB239_2067
; %bb.2063:
	s_cmp_eq_u32 s2, 44
	s_mov_b32 s0, -1
	s_cbranch_scc0 .LBB239_2067
; %bb.2064:
	s_wait_xcnt 0x0
	v_and_b32_e32 v1, 0xffff, v12
	v_mov_b32_e32 v4, 0xff
	s_mov_b32 s6, exec_lo
	s_delay_alu instid0(VALU_DEP_2) | instskip(NEXT) | instid1(VALU_DEP_1)
	v_bfe_u32 v5, v1, 7, 8
	v_cmpx_ne_u32_e32 0xff, v5
	s_cbranch_execz .LBB239_2066
; %bb.2065:
	v_dual_lshlrev_b32 v4, 16, v1 :: v_dual_bitop2_b32 v6, 64, v1 bitop3:0x40
	v_lshrrev_b32_e32 v1, 7, v1
	s_delay_alu instid0(VALU_DEP_2) | instskip(NEXT) | instid1(VALU_DEP_3)
	v_and_or_b32 v4, 0x3f0000, v4, v5
	v_cmp_ne_u32_e32 vcc_lo, 0, v6
	s_delay_alu instid0(VALU_DEP_2) | instskip(SKIP_1) | instid1(SALU_CYCLE_1)
	v_cmp_ne_u32_e64 s0, 0, v4
	s_and_b32 s0, vcc_lo, s0
	v_cndmask_b32_e64 v4, 0, 1, s0
	s_delay_alu instid0(VALU_DEP_1)
	v_add_nc_u32_e32 v4, v1, v4
.LBB239_2066:
	s_or_b32 exec_lo, exec_lo, s6
	s_mov_b32 s0, 0
	s_mov_b32 s6, -1
	global_store_b8 v[2:3], v4, off
.LBB239_2067:
	s_mov_b32 s7, 0
.LBB239_2068:
	s_delay_alu instid0(SALU_CYCLE_1)
	s_and_b32 vcc_lo, exec_lo, s7
	s_cbranch_vccz .LBB239_2071
; %bb.2069:
	s_cmp_eq_u32 s2, 29
	s_mov_b32 s0, -1
	s_cbranch_scc0 .LBB239_2071
; %bb.2070:
	s_wait_xcnt 0x0
	v_lshlrev_b32_e32 v1, 16, v12
	s_mov_b32 s0, 0
	s_mov_b32 s6, -1
	s_delay_alu instid0(VALU_DEP_1) | instskip(NEXT) | instid1(VALU_DEP_1)
	v_trunc_f32_e32 v1, v1
	v_mul_f32_e32 v4, 0x2f800000, v1
	s_delay_alu instid0(VALU_DEP_1) | instskip(NEXT) | instid1(VALU_DEP_1)
	v_floor_f32_e32 v4, v4
	v_fmamk_f32 v1, v4, 0xcf800000, v1
	v_cvt_u32_f32_e32 v5, v4
	s_delay_alu instid0(VALU_DEP_2)
	v_cvt_u32_f32_e32 v4, v1
	global_store_b64 v[2:3], v[4:5], off
.LBB239_2071:
	s_mov_b32 s7, 0
.LBB239_2072:
	s_delay_alu instid0(SALU_CYCLE_1)
	s_and_b32 vcc_lo, exec_lo, s7
	s_cbranch_vccz .LBB239_2088
; %bb.2073:
	s_cmp_lt_i32 s2, 27
	s_mov_b32 s6, -1
	s_cbranch_scc1 .LBB239_2079
; %bb.2074:
	s_cmp_gt_i32 s2, 27
	s_cbranch_scc0 .LBB239_2076
; %bb.2075:
	s_wait_xcnt 0x0
	v_lshlrev_b32_e32 v1, 16, v12
	s_mov_b32 s6, 0
	s_delay_alu instid0(VALU_DEP_1)
	v_cvt_u32_f32_e32 v1, v1
	global_store_b32 v[2:3], v1, off
.LBB239_2076:
	s_and_not1_b32 vcc_lo, exec_lo, s6
	s_cbranch_vccnz .LBB239_2078
; %bb.2077:
	s_wait_xcnt 0x0
	v_lshlrev_b32_e32 v1, 16, v12
	s_delay_alu instid0(VALU_DEP_1)
	v_cvt_u32_f32_e32 v1, v1
	global_store_b16 v[2:3], v1, off
.LBB239_2078:
	s_mov_b32 s6, 0
.LBB239_2079:
	s_delay_alu instid0(SALU_CYCLE_1)
	s_and_not1_b32 vcc_lo, exec_lo, s6
	s_cbranch_vccnz .LBB239_2087
; %bb.2080:
	s_wait_xcnt 0x0
	v_dual_mov_b32 v6, 0x80 :: v_dual_lshlrev_b32 v5, 16, v12
	s_mov_b32 s6, exec_lo
	s_delay_alu instid0(VALU_DEP_1) | instskip(NEXT) | instid1(VALU_DEP_1)
	v_and_b32_e32 v4, 0x7fffffff, v5
	v_cmpx_gt_u32_e32 0x43800000, v4
	s_cbranch_execz .LBB239_2086
; %bb.2081:
	v_and_b32_e32 v1, 0xffff, v12
	v_cmp_lt_u32_e32 vcc_lo, 0x3bffffff, v4
	s_mov_b32 s7, 0
                                        ; implicit-def: $vgpr4
	s_and_saveexec_b32 s11, vcc_lo
	s_delay_alu instid0(SALU_CYCLE_1)
	s_xor_b32 s11, exec_lo, s11
	s_cbranch_execz .LBB239_2263
; %bb.2082:
	v_bfe_u32 v4, v1, 4, 1
	s_mov_b32 s7, exec_lo
	s_delay_alu instid0(VALU_DEP_1) | instskip(NEXT) | instid1(VALU_DEP_1)
	v_add3_u32 v4, v5, v4, 0x487ffff
                                        ; implicit-def: $vgpr5
	v_lshrrev_b32_e32 v4, 20, v4
	s_and_not1_saveexec_b32 s11, s11
	s_cbranch_execnz .LBB239_2264
.LBB239_2083:
	s_or_b32 exec_lo, exec_lo, s11
	v_mov_b32_e32 v6, 0
	s_and_saveexec_b32 s11, s7
.LBB239_2084:
	v_lshrrev_b32_e32 v1, 8, v1
	s_delay_alu instid0(VALU_DEP_1)
	v_and_or_b32 v6, 0x80, v1, v4
.LBB239_2085:
	s_or_b32 exec_lo, exec_lo, s11
.LBB239_2086:
	s_delay_alu instid0(SALU_CYCLE_1)
	s_or_b32 exec_lo, exec_lo, s6
	global_store_b8 v[2:3], v6, off
.LBB239_2087:
	s_mov_b32 s6, -1
.LBB239_2088:
	s_mov_b32 s7, 0
.LBB239_2089:
	s_delay_alu instid0(SALU_CYCLE_1)
	s_and_b32 vcc_lo, exec_lo, s7
	s_cbranch_vccz .LBB239_2129
; %bb.2090:
	s_cmp_gt_i32 s2, 22
	s_mov_b32 s3, -1
	s_cbranch_scc0 .LBB239_2122
; %bb.2091:
	s_cmp_lt_i32 s2, 24
	s_cbranch_scc1 .LBB239_2111
; %bb.2092:
	s_cmp_gt_i32 s2, 24
	s_cbranch_scc0 .LBB239_2100
; %bb.2093:
	s_wait_xcnt 0x0
	v_dual_mov_b32 v6, 0x80 :: v_dual_lshlrev_b32 v5, 16, v12
	s_mov_b32 s3, exec_lo
	s_delay_alu instid0(VALU_DEP_1) | instskip(NEXT) | instid1(VALU_DEP_1)
	v_and_b32_e32 v4, 0x7fffffff, v5
	v_cmpx_gt_u32_e32 0x47800000, v4
	s_cbranch_execz .LBB239_2099
; %bb.2094:
	v_and_b32_e32 v1, 0xffff, v12
	v_cmp_lt_u32_e32 vcc_lo, 0x37ffffff, v4
	s_mov_b32 s6, 0
                                        ; implicit-def: $vgpr4
	s_and_saveexec_b32 s7, vcc_lo
	s_delay_alu instid0(SALU_CYCLE_1)
	s_xor_b32 s7, exec_lo, s7
	s_cbranch_execz .LBB239_2266
; %bb.2095:
	v_bfe_u32 v4, v1, 5, 1
	s_mov_b32 s6, exec_lo
	s_delay_alu instid0(VALU_DEP_1) | instskip(NEXT) | instid1(VALU_DEP_1)
	v_add3_u32 v4, v5, v4, 0x88fffff
                                        ; implicit-def: $vgpr5
	v_lshrrev_b32_e32 v4, 21, v4
	s_and_not1_saveexec_b32 s7, s7
	s_cbranch_execnz .LBB239_2267
.LBB239_2096:
	s_or_b32 exec_lo, exec_lo, s7
	v_mov_b32_e32 v6, 0
	s_and_saveexec_b32 s7, s6
.LBB239_2097:
	v_lshrrev_b32_e32 v1, 8, v1
	s_delay_alu instid0(VALU_DEP_1)
	v_and_or_b32 v6, 0x80, v1, v4
.LBB239_2098:
	s_or_b32 exec_lo, exec_lo, s7
.LBB239_2099:
	s_delay_alu instid0(SALU_CYCLE_1)
	s_or_b32 exec_lo, exec_lo, s3
	s_mov_b32 s3, 0
	global_store_b8 v[2:3], v6, off
.LBB239_2100:
	s_and_b32 vcc_lo, exec_lo, s3
	s_cbranch_vccz .LBB239_2110
; %bb.2101:
	s_wait_xcnt 0x0
	v_lshlrev_b32_e32 v5, 16, v12
	v_and_b32_e32 v1, 0xffff, v12
	s_mov_b32 s3, exec_lo
                                        ; implicit-def: $vgpr4
	s_delay_alu instid0(VALU_DEP_2) | instskip(NEXT) | instid1(VALU_DEP_1)
	v_and_b32_e32 v6, 0x7fffffff, v5
	v_cmpx_gt_u32_e32 0x43f00000, v6
	s_xor_b32 s3, exec_lo, s3
	s_cbranch_execz .LBB239_2107
; %bb.2102:
	s_mov_b32 s6, exec_lo
                                        ; implicit-def: $vgpr4
	v_cmpx_lt_u32_e32 0x3c7fffff, v6
	s_xor_b32 s6, exec_lo, s6
; %bb.2103:
	v_bfe_u32 v4, v1, 4, 1
	s_delay_alu instid0(VALU_DEP_1) | instskip(NEXT) | instid1(VALU_DEP_1)
	v_add3_u32 v4, v5, v4, 0x407ffff
	v_and_b32_e32 v5, 0xff00000, v4
	v_lshrrev_b32_e32 v4, 20, v4
	s_delay_alu instid0(VALU_DEP_2) | instskip(NEXT) | instid1(VALU_DEP_2)
	v_cmp_ne_u32_e32 vcc_lo, 0x7f00000, v5
                                        ; implicit-def: $vgpr5
	v_cndmask_b32_e32 v4, 0x7e, v4, vcc_lo
; %bb.2104:
	s_and_not1_saveexec_b32 s6, s6
; %bb.2105:
	v_add_f32_e64 v4, 0x46800000, |v5|
; %bb.2106:
	s_or_b32 exec_lo, exec_lo, s6
                                        ; implicit-def: $vgpr6
.LBB239_2107:
	s_and_not1_saveexec_b32 s3, s3
; %bb.2108:
	v_mov_b32_e32 v4, 0x7f
	v_cmp_lt_u32_e32 vcc_lo, 0x7f800000, v6
	s_delay_alu instid0(VALU_DEP_2)
	v_cndmask_b32_e32 v4, 0x7e, v4, vcc_lo
; %bb.2109:
	s_or_b32 exec_lo, exec_lo, s3
	v_lshrrev_b32_e32 v1, 8, v1
	s_delay_alu instid0(VALU_DEP_1)
	v_and_or_b32 v1, 0x80, v1, v4
	global_store_b8 v[2:3], v1, off
.LBB239_2110:
	s_mov_b32 s3, 0
.LBB239_2111:
	s_delay_alu instid0(SALU_CYCLE_1)
	s_and_not1_b32 vcc_lo, exec_lo, s3
	s_cbranch_vccnz .LBB239_2121
; %bb.2112:
	s_wait_xcnt 0x0
	v_lshlrev_b32_e32 v5, 16, v12
	v_and_b32_e32 v1, 0xffff, v12
	s_mov_b32 s3, exec_lo
                                        ; implicit-def: $vgpr4
	s_delay_alu instid0(VALU_DEP_2) | instskip(NEXT) | instid1(VALU_DEP_1)
	v_and_b32_e32 v6, 0x7fffffff, v5
	v_cmpx_gt_u32_e32 0x47800000, v6
	s_xor_b32 s3, exec_lo, s3
	s_cbranch_execz .LBB239_2118
; %bb.2113:
	s_mov_b32 s6, exec_lo
                                        ; implicit-def: $vgpr4
	v_cmpx_lt_u32_e32 0x387fffff, v6
	s_xor_b32 s6, exec_lo, s6
; %bb.2114:
	v_bfe_u32 v4, v1, 5, 1
	s_delay_alu instid0(VALU_DEP_1) | instskip(NEXT) | instid1(VALU_DEP_1)
	v_add3_u32 v4, v5, v4, 0x80fffff
                                        ; implicit-def: $vgpr5
	v_lshrrev_b32_e32 v4, 21, v4
; %bb.2115:
	s_and_not1_saveexec_b32 s6, s6
; %bb.2116:
	v_add_f32_e64 v4, 0x43000000, |v5|
; %bb.2117:
	s_or_b32 exec_lo, exec_lo, s6
                                        ; implicit-def: $vgpr6
.LBB239_2118:
	s_and_not1_saveexec_b32 s3, s3
; %bb.2119:
	v_mov_b32_e32 v4, 0x7f
	v_cmp_lt_u32_e32 vcc_lo, 0x7f800000, v6
	s_delay_alu instid0(VALU_DEP_2)
	v_cndmask_b32_e32 v4, 0x7c, v4, vcc_lo
; %bb.2120:
	s_or_b32 exec_lo, exec_lo, s3
	v_lshrrev_b32_e32 v1, 8, v1
	s_delay_alu instid0(VALU_DEP_1)
	v_and_or_b32 v1, 0x80, v1, v4
	global_store_b8 v[2:3], v1, off
.LBB239_2121:
	s_mov_b32 s3, 0
	s_mov_b32 s6, -1
.LBB239_2122:
	s_and_not1_b32 vcc_lo, exec_lo, s3
	s_mov_b32 s3, 0
	s_cbranch_vccnz .LBB239_2129
; %bb.2123:
	s_cmp_gt_i32 s2, 14
	s_mov_b32 s3, -1
	s_cbranch_scc0 .LBB239_2127
; %bb.2124:
	s_cmp_eq_u32 s2, 15
	s_mov_b32 s0, -1
	s_cbranch_scc0 .LBB239_2126
; %bb.2125:
	s_mov_b32 s0, 0
	s_mov_b32 s6, -1
	global_store_b16 v[2:3], v12, off
.LBB239_2126:
	s_mov_b32 s3, 0
.LBB239_2127:
	s_delay_alu instid0(SALU_CYCLE_1)
	s_and_b32 vcc_lo, exec_lo, s3
	s_mov_b32 s3, 0
	s_cbranch_vccz .LBB239_2129
; %bb.2128:
	s_cmp_lg_u32 s2, 11
	s_mov_b32 s3, -1
	s_cselect_b32 s0, -1, 0
.LBB239_2129:
	s_delay_alu instid0(SALU_CYCLE_1)
	s_and_b32 vcc_lo, exec_lo, s0
	s_cbranch_vccnz .LBB239_2265
; %bb.2130:
	s_and_not1_b32 vcc_lo, exec_lo, s3
	s_cbranch_vccnz .LBB239_2132
.LBB239_2131:
	s_wait_xcnt 0x0
	v_and_b32_e32 v1, 0x7fff, v12
	s_mov_b32 s6, -1
	s_delay_alu instid0(VALU_DEP_1)
	v_cmp_ne_u16_e32 vcc_lo, 0, v1
	v_cndmask_b32_e64 v1, 0, 1, vcc_lo
	global_store_b8 v[2:3], v1, off
.LBB239_2132:
	s_mov_b32 s0, 0
	s_branch .LBB239_2134
.LBB239_2133:
	s_mov_b32 s0, -1
	s_mov_b32 s6, 0
.LBB239_2134:
	s_and_b32 vcc_lo, exec_lo, s0
	s_cbranch_vccz .LBB239_2173
; %bb.2135:
	s_cmp_lt_i32 s2, 5
	s_mov_b32 s0, -1
	s_cbranch_scc1 .LBB239_2156
; %bb.2136:
	s_cmp_lt_i32 s2, 8
	s_cbranch_scc1 .LBB239_2146
; %bb.2137:
	s_cmp_lt_i32 s2, 9
	s_cbranch_scc1 .LBB239_2143
; %bb.2138:
	s_cmp_gt_i32 s2, 9
	s_cbranch_scc0 .LBB239_2140
; %bb.2139:
	s_wait_xcnt 0x0
	v_dual_mov_b32 v6, 0 :: v_dual_lshlrev_b32 v1, 16, v12
	s_mov_b32 s0, 0
	s_delay_alu instid0(VALU_DEP_1) | instskip(NEXT) | instid1(VALU_DEP_2)
	v_cvt_f64_f32_e32 v[4:5], v1
	v_mov_b32_e32 v7, v6
	global_store_b128 v[2:3], v[4:7], off
.LBB239_2140:
	s_and_not1_b32 vcc_lo, exec_lo, s0
	s_cbranch_vccnz .LBB239_2142
; %bb.2141:
	s_wait_xcnt 0x0
	v_dual_mov_b32 v5, 0 :: v_dual_lshlrev_b32 v4, 16, v12
	global_store_b64 v[2:3], v[4:5], off
.LBB239_2142:
	s_mov_b32 s0, 0
.LBB239_2143:
	s_delay_alu instid0(SALU_CYCLE_1)
	s_and_not1_b32 vcc_lo, exec_lo, s0
	s_cbranch_vccnz .LBB239_2145
; %bb.2144:
	s_wait_xcnt 0x0
	v_lshlrev_b32_e32 v1, 16, v12
	s_delay_alu instid0(VALU_DEP_1) | instskip(NEXT) | instid1(VALU_DEP_1)
	v_cvt_f16_f32_e32 v1, v1
	v_and_b32_e32 v1, 0xffff, v1
	global_store_b32 v[2:3], v1, off
.LBB239_2145:
	s_mov_b32 s0, 0
.LBB239_2146:
	s_delay_alu instid0(SALU_CYCLE_1)
	s_and_not1_b32 vcc_lo, exec_lo, s0
	s_cbranch_vccnz .LBB239_2155
; %bb.2147:
	s_cmp_lt_i32 s2, 6
	s_mov_b32 s0, -1
	s_cbranch_scc1 .LBB239_2153
; %bb.2148:
	s_cmp_gt_i32 s2, 6
	s_cbranch_scc0 .LBB239_2150
; %bb.2149:
	s_wait_xcnt 0x0
	v_lshlrev_b32_e32 v1, 16, v12
	s_mov_b32 s0, 0
	s_delay_alu instid0(VALU_DEP_1)
	v_cvt_f64_f32_e32 v[4:5], v1
	global_store_b64 v[2:3], v[4:5], off
.LBB239_2150:
	s_and_not1_b32 vcc_lo, exec_lo, s0
	s_cbranch_vccnz .LBB239_2152
; %bb.2151:
	s_wait_xcnt 0x0
	v_lshlrev_b32_e32 v1, 16, v12
	global_store_b32 v[2:3], v1, off
.LBB239_2152:
	s_mov_b32 s0, 0
.LBB239_2153:
	s_delay_alu instid0(SALU_CYCLE_1)
	s_and_not1_b32 vcc_lo, exec_lo, s0
	s_cbranch_vccnz .LBB239_2155
; %bb.2154:
	s_wait_xcnt 0x0
	v_lshlrev_b32_e32 v1, 16, v12
	s_delay_alu instid0(VALU_DEP_1)
	v_cvt_f16_f32_e32 v1, v1
	global_store_b16 v[2:3], v1, off
.LBB239_2155:
	s_mov_b32 s0, 0
.LBB239_2156:
	s_delay_alu instid0(SALU_CYCLE_1)
	s_and_not1_b32 vcc_lo, exec_lo, s0
	s_cbranch_vccnz .LBB239_2172
; %bb.2157:
	s_cmp_lt_i32 s2, 2
	s_mov_b32 s0, -1
	s_cbranch_scc1 .LBB239_2167
; %bb.2158:
	s_cmp_lt_i32 s2, 3
	s_cbranch_scc1 .LBB239_2164
; %bb.2159:
	s_cmp_gt_i32 s2, 3
	s_cbranch_scc0 .LBB239_2161
; %bb.2160:
	s_wait_xcnt 0x0
	v_lshlrev_b32_e32 v1, 16, v12
	s_mov_b32 s0, 0
	s_delay_alu instid0(VALU_DEP_1) | instskip(NEXT) | instid1(VALU_DEP_1)
	v_trunc_f32_e32 v1, v1
	v_mul_f32_e64 v4, 0x2f800000, |v1|
	s_delay_alu instid0(VALU_DEP_1) | instskip(SKIP_1) | instid1(VALU_DEP_2)
	v_floor_f32_e32 v5, v4
	v_ashrrev_i32_e32 v4, 31, v1
	v_fma_f32 v6, 0xcf800000, v5, |v1|
	v_cvt_u32_f32_e32 v1, v5
	s_delay_alu instid0(VALU_DEP_3) | instskip(NEXT) | instid1(VALU_DEP_3)
	v_mov_b32_e32 v5, v4
	v_cvt_u32_f32_e32 v6, v6
	s_delay_alu instid0(VALU_DEP_3) | instskip(NEXT) | instid1(VALU_DEP_2)
	v_xor_b32_e32 v7, v1, v4
	v_xor_b32_e32 v6, v6, v4
	s_delay_alu instid0(VALU_DEP_1)
	v_sub_nc_u64_e32 v[4:5], v[6:7], v[4:5]
	global_store_b64 v[2:3], v[4:5], off
.LBB239_2161:
	s_and_not1_b32 vcc_lo, exec_lo, s0
	s_cbranch_vccnz .LBB239_2163
; %bb.2162:
	s_wait_xcnt 0x0
	v_lshlrev_b32_e32 v1, 16, v12
	s_delay_alu instid0(VALU_DEP_1)
	v_cvt_i32_f32_e32 v1, v1
	global_store_b32 v[2:3], v1, off
.LBB239_2163:
	s_mov_b32 s0, 0
.LBB239_2164:
	s_delay_alu instid0(SALU_CYCLE_1)
	s_and_not1_b32 vcc_lo, exec_lo, s0
	s_cbranch_vccnz .LBB239_2166
; %bb.2165:
	s_wait_xcnt 0x0
	v_lshlrev_b32_e32 v1, 16, v12
	s_delay_alu instid0(VALU_DEP_1)
	v_cvt_i32_f32_e32 v1, v1
	global_store_b16 v[2:3], v1, off
.LBB239_2166:
	s_mov_b32 s0, 0
.LBB239_2167:
	s_delay_alu instid0(SALU_CYCLE_1)
	s_and_not1_b32 vcc_lo, exec_lo, s0
	s_cbranch_vccnz .LBB239_2172
; %bb.2168:
	s_cmp_gt_i32 s2, 0
	s_mov_b32 s0, -1
	s_cbranch_scc0 .LBB239_2170
; %bb.2169:
	s_wait_xcnt 0x0
	v_lshlrev_b32_e32 v1, 16, v12
	s_mov_b32 s0, 0
	s_delay_alu instid0(VALU_DEP_1)
	v_cvt_i32_f32_e32 v1, v1
	global_store_b8 v[2:3], v1, off
.LBB239_2170:
	s_and_not1_b32 vcc_lo, exec_lo, s0
	s_cbranch_vccnz .LBB239_2172
; %bb.2171:
	s_wait_xcnt 0x0
	v_lshlrev_b32_e32 v1, 16, v12
	s_delay_alu instid0(VALU_DEP_1) | instskip(NEXT) | instid1(VALU_DEP_1)
	v_trunc_f32_e32 v1, v1
	v_mul_f32_e64 v4, 0x2f800000, |v1|
	s_delay_alu instid0(VALU_DEP_1) | instskip(NEXT) | instid1(VALU_DEP_1)
	v_floor_f32_e32 v4, v4
	v_fma_f32 v4, 0xcf800000, v4, |v1|
	v_ashrrev_i32_e32 v1, 31, v1
	s_delay_alu instid0(VALU_DEP_2) | instskip(NEXT) | instid1(VALU_DEP_1)
	v_cvt_u32_f32_e32 v4, v4
	v_xor_b32_e32 v4, v4, v1
	s_delay_alu instid0(VALU_DEP_1)
	v_sub_nc_u32_e32 v1, v4, v1
	global_store_b8 v[2:3], v1, off
.LBB239_2172:
	s_mov_b32 s6, -1
.LBB239_2173:
	s_delay_alu instid0(SALU_CYCLE_1)
	s_and_not1_b32 vcc_lo, exec_lo, s6
	s_cbranch_vccnz .LBB239_2250
; %bb.2174:
	s_wait_xcnt 0x0
	v_mov_b32_e32 v1, 0
	s_cmp_lt_i32 s2, 11
	s_delay_alu instid0(VALU_DEP_1)
	v_add_nc_u64_e32 v[2:3], s[4:5], v[0:1]
	s_cbranch_scc1 .LBB239_2251
; %bb.2175:
	s_mov_b32 s4, -1
	s_mov_b32 s3, 0
	s_cmp_gt_i32 s2, 25
	s_mov_b32 s0, 0
	s_cbranch_scc0 .LBB239_2208
; %bb.2176:
	s_cmp_gt_i32 s2, 28
	s_cbranch_scc0 .LBB239_2192
; %bb.2177:
	s_cmp_gt_i32 s2, 43
	;; [unrolled: 3-line block ×3, first 2 shown]
	s_cbranch_scc0 .LBB239_2182
; %bb.2179:
	s_cmp_eq_u32 s2, 46
	s_mov_b32 s0, -1
	s_cbranch_scc0 .LBB239_2181
; %bb.2180:
	v_and_b32_e32 v0, 0xffff, v10
	s_mov_b32 s0, 0
	global_store_b32 v[2:3], v0, off
.LBB239_2181:
	s_mov_b32 s4, 0
.LBB239_2182:
	s_delay_alu instid0(SALU_CYCLE_1)
	s_and_b32 vcc_lo, exec_lo, s4
	s_cbranch_vccz .LBB239_2187
; %bb.2183:
	s_cmp_eq_u32 s2, 44
	s_mov_b32 s0, -1
	s_cbranch_scc0 .LBB239_2187
; %bb.2184:
	s_wait_xcnt 0x0
	v_and_b32_e32 v0, 0xffff, v10
	v_mov_b32_e32 v1, 0xff
	s_mov_b32 s4, exec_lo
	s_delay_alu instid0(VALU_DEP_2) | instskip(NEXT) | instid1(VALU_DEP_1)
	v_bfe_u32 v4, v0, 7, 8
	v_cmpx_ne_u32_e32 0xff, v4
	s_cbranch_execz .LBB239_2186
; %bb.2185:
	v_dual_lshlrev_b32 v1, 16, v0 :: v_dual_bitop2_b32 v5, 64, v0 bitop3:0x40
	v_lshrrev_b32_e32 v0, 7, v0
	s_delay_alu instid0(VALU_DEP_2) | instskip(NEXT) | instid1(VALU_DEP_3)
	v_and_or_b32 v1, 0x3f0000, v1, v4
	v_cmp_ne_u32_e32 vcc_lo, 0, v5
	s_delay_alu instid0(VALU_DEP_2) | instskip(SKIP_1) | instid1(SALU_CYCLE_1)
	v_cmp_ne_u32_e64 s0, 0, v1
	s_and_b32 s0, vcc_lo, s0
	v_cndmask_b32_e64 v1, 0, 1, s0
	s_delay_alu instid0(VALU_DEP_1)
	v_add_nc_u32_e32 v1, v0, v1
.LBB239_2186:
	s_or_b32 exec_lo, exec_lo, s4
	s_mov_b32 s0, 0
	global_store_b8 v[2:3], v1, off
.LBB239_2187:
	s_mov_b32 s4, 0
.LBB239_2188:
	s_delay_alu instid0(SALU_CYCLE_1)
	s_and_b32 vcc_lo, exec_lo, s4
	s_cbranch_vccz .LBB239_2191
; %bb.2189:
	s_cmp_eq_u32 s2, 29
	s_mov_b32 s0, -1
	s_cbranch_scc0 .LBB239_2191
; %bb.2190:
	s_wait_xcnt 0x0
	v_lshlrev_b32_e32 v0, 16, v10
	s_mov_b32 s0, 0
	s_delay_alu instid0(VALU_DEP_1) | instskip(NEXT) | instid1(VALU_DEP_1)
	v_trunc_f32_e32 v0, v0
	v_mul_f32_e32 v1, 0x2f800000, v0
	s_delay_alu instid0(VALU_DEP_1) | instskip(NEXT) | instid1(VALU_DEP_1)
	v_floor_f32_e32 v1, v1
	v_fmamk_f32 v0, v1, 0xcf800000, v0
	v_cvt_u32_f32_e32 v1, v1
	s_delay_alu instid0(VALU_DEP_2)
	v_cvt_u32_f32_e32 v0, v0
	global_store_b64 v[2:3], v[0:1], off
.LBB239_2191:
	s_mov_b32 s4, 0
.LBB239_2192:
	s_delay_alu instid0(SALU_CYCLE_1)
	s_and_b32 vcc_lo, exec_lo, s4
	s_cbranch_vccz .LBB239_2207
; %bb.2193:
	s_cmp_lt_i32 s2, 27
	s_mov_b32 s4, -1
	s_cbranch_scc1 .LBB239_2199
; %bb.2194:
	s_cmp_gt_i32 s2, 27
	s_cbranch_scc0 .LBB239_2196
; %bb.2195:
	s_wait_xcnt 0x0
	v_lshlrev_b32_e32 v0, 16, v10
	s_mov_b32 s4, 0
	s_delay_alu instid0(VALU_DEP_1)
	v_cvt_u32_f32_e32 v0, v0
	global_store_b32 v[2:3], v0, off
.LBB239_2196:
	s_and_not1_b32 vcc_lo, exec_lo, s4
	s_cbranch_vccnz .LBB239_2198
; %bb.2197:
	s_wait_xcnt 0x0
	v_lshlrev_b32_e32 v0, 16, v10
	s_delay_alu instid0(VALU_DEP_1)
	v_cvt_u32_f32_e32 v0, v0
	global_store_b16 v[2:3], v0, off
.LBB239_2198:
	s_mov_b32 s4, 0
.LBB239_2199:
	s_delay_alu instid0(SALU_CYCLE_1)
	s_and_not1_b32 vcc_lo, exec_lo, s4
	s_cbranch_vccnz .LBB239_2207
; %bb.2200:
	v_dual_mov_b32 v5, 0x80 :: v_dual_lshlrev_b32 v4, 16, v10
	s_mov_b32 s4, exec_lo
	s_wait_xcnt 0x0
	s_delay_alu instid0(VALU_DEP_1) | instskip(NEXT) | instid1(VALU_DEP_1)
	v_and_b32_e32 v1, 0x7fffffff, v4
	v_cmpx_gt_u32_e32 0x43800000, v1
	s_cbranch_execz .LBB239_2206
; %bb.2201:
	v_and_b32_e32 v0, 0xffff, v10
	v_cmp_lt_u32_e32 vcc_lo, 0x3bffffff, v1
	s_mov_b32 s5, 0
                                        ; implicit-def: $vgpr1
	s_and_saveexec_b32 s6, vcc_lo
	s_delay_alu instid0(SALU_CYCLE_1)
	s_xor_b32 s6, exec_lo, s6
	s_cbranch_execz .LBB239_2268
; %bb.2202:
	v_bfe_u32 v1, v0, 4, 1
	s_mov_b32 s5, exec_lo
	s_delay_alu instid0(VALU_DEP_1) | instskip(NEXT) | instid1(VALU_DEP_1)
	v_add3_u32 v1, v4, v1, 0x487ffff
                                        ; implicit-def: $vgpr4
	v_lshrrev_b32_e32 v1, 20, v1
	s_and_not1_saveexec_b32 s6, s6
	s_cbranch_execnz .LBB239_2269
.LBB239_2203:
	s_or_b32 exec_lo, exec_lo, s6
	v_mov_b32_e32 v5, 0
	s_and_saveexec_b32 s6, s5
.LBB239_2204:
	v_lshrrev_b32_e32 v0, 8, v0
	s_delay_alu instid0(VALU_DEP_1)
	v_and_or_b32 v5, 0x80, v0, v1
.LBB239_2205:
	s_or_b32 exec_lo, exec_lo, s6
.LBB239_2206:
	s_delay_alu instid0(SALU_CYCLE_1)
	s_or_b32 exec_lo, exec_lo, s4
	global_store_b8 v[2:3], v5, off
.LBB239_2207:
	s_mov_b32 s4, 0
.LBB239_2208:
	s_delay_alu instid0(SALU_CYCLE_1)
	s_and_b32 vcc_lo, exec_lo, s4
	s_cbranch_vccz .LBB239_2248
; %bb.2209:
	s_cmp_gt_i32 s2, 22
	s_mov_b32 s3, -1
	s_cbranch_scc0 .LBB239_2241
; %bb.2210:
	s_cmp_lt_i32 s2, 24
	s_cbranch_scc1 .LBB239_2230
; %bb.2211:
	s_cmp_gt_i32 s2, 24
	s_cbranch_scc0 .LBB239_2219
; %bb.2212:
	s_wait_xcnt 0x0
	v_dual_mov_b32 v5, 0x80 :: v_dual_lshlrev_b32 v4, 16, v10
	s_mov_b32 s3, exec_lo
	s_delay_alu instid0(VALU_DEP_1) | instskip(NEXT) | instid1(VALU_DEP_1)
	v_and_b32_e32 v1, 0x7fffffff, v4
	v_cmpx_gt_u32_e32 0x47800000, v1
	s_cbranch_execz .LBB239_2218
; %bb.2213:
	v_and_b32_e32 v0, 0xffff, v10
	v_cmp_lt_u32_e32 vcc_lo, 0x37ffffff, v1
	s_mov_b32 s4, 0
                                        ; implicit-def: $vgpr1
	s_and_saveexec_b32 s5, vcc_lo
	s_delay_alu instid0(SALU_CYCLE_1)
	s_xor_b32 s5, exec_lo, s5
	s_cbranch_execz .LBB239_2271
; %bb.2214:
	v_bfe_u32 v1, v0, 5, 1
	s_mov_b32 s4, exec_lo
	s_delay_alu instid0(VALU_DEP_1) | instskip(NEXT) | instid1(VALU_DEP_1)
	v_add3_u32 v1, v4, v1, 0x88fffff
                                        ; implicit-def: $vgpr4
	v_lshrrev_b32_e32 v1, 21, v1
	s_and_not1_saveexec_b32 s5, s5
	s_cbranch_execnz .LBB239_2272
.LBB239_2215:
	s_or_b32 exec_lo, exec_lo, s5
	v_mov_b32_e32 v5, 0
	s_and_saveexec_b32 s5, s4
.LBB239_2216:
	v_lshrrev_b32_e32 v0, 8, v0
	s_delay_alu instid0(VALU_DEP_1)
	v_and_or_b32 v5, 0x80, v0, v1
.LBB239_2217:
	s_or_b32 exec_lo, exec_lo, s5
.LBB239_2218:
	s_delay_alu instid0(SALU_CYCLE_1)
	s_or_b32 exec_lo, exec_lo, s3
	s_mov_b32 s3, 0
	global_store_b8 v[2:3], v5, off
.LBB239_2219:
	s_and_b32 vcc_lo, exec_lo, s3
	s_cbranch_vccz .LBB239_2229
; %bb.2220:
	v_lshlrev_b32_e32 v4, 16, v10
	s_wait_xcnt 0x0
	v_and_b32_e32 v0, 0xffff, v10
	s_mov_b32 s3, exec_lo
                                        ; implicit-def: $vgpr1
	s_delay_alu instid0(VALU_DEP_2) | instskip(NEXT) | instid1(VALU_DEP_1)
	v_and_b32_e32 v5, 0x7fffffff, v4
	v_cmpx_gt_u32_e32 0x43f00000, v5
	s_xor_b32 s3, exec_lo, s3
	s_cbranch_execz .LBB239_2226
; %bb.2221:
	s_mov_b32 s4, exec_lo
                                        ; implicit-def: $vgpr1
	v_cmpx_lt_u32_e32 0x3c7fffff, v5
	s_xor_b32 s4, exec_lo, s4
; %bb.2222:
	v_bfe_u32 v1, v0, 4, 1
	s_delay_alu instid0(VALU_DEP_1) | instskip(NEXT) | instid1(VALU_DEP_1)
	v_add3_u32 v1, v4, v1, 0x407ffff
	v_and_b32_e32 v4, 0xff00000, v1
	v_lshrrev_b32_e32 v1, 20, v1
	s_delay_alu instid0(VALU_DEP_2) | instskip(NEXT) | instid1(VALU_DEP_2)
	v_cmp_ne_u32_e32 vcc_lo, 0x7f00000, v4
                                        ; implicit-def: $vgpr4
	v_cndmask_b32_e32 v1, 0x7e, v1, vcc_lo
; %bb.2223:
	s_and_not1_saveexec_b32 s4, s4
; %bb.2224:
	v_add_f32_e64 v1, 0x46800000, |v4|
; %bb.2225:
	s_or_b32 exec_lo, exec_lo, s4
                                        ; implicit-def: $vgpr5
.LBB239_2226:
	s_and_not1_saveexec_b32 s3, s3
; %bb.2227:
	v_mov_b32_e32 v1, 0x7f
	v_cmp_lt_u32_e32 vcc_lo, 0x7f800000, v5
	s_delay_alu instid0(VALU_DEP_2)
	v_cndmask_b32_e32 v1, 0x7e, v1, vcc_lo
; %bb.2228:
	s_or_b32 exec_lo, exec_lo, s3
	v_lshrrev_b32_e32 v0, 8, v0
	s_delay_alu instid0(VALU_DEP_1)
	v_and_or_b32 v0, 0x80, v0, v1
	global_store_b8 v[2:3], v0, off
.LBB239_2229:
	s_mov_b32 s3, 0
.LBB239_2230:
	s_delay_alu instid0(SALU_CYCLE_1)
	s_and_not1_b32 vcc_lo, exec_lo, s3
	s_cbranch_vccnz .LBB239_2240
; %bb.2231:
	v_lshlrev_b32_e32 v4, 16, v10
	s_wait_xcnt 0x0
	v_and_b32_e32 v0, 0xffff, v10
	s_mov_b32 s3, exec_lo
                                        ; implicit-def: $vgpr1
	s_delay_alu instid0(VALU_DEP_2) | instskip(NEXT) | instid1(VALU_DEP_1)
	v_and_b32_e32 v5, 0x7fffffff, v4
	v_cmpx_gt_u32_e32 0x47800000, v5
	s_xor_b32 s3, exec_lo, s3
	s_cbranch_execz .LBB239_2237
; %bb.2232:
	s_mov_b32 s4, exec_lo
                                        ; implicit-def: $vgpr1
	v_cmpx_lt_u32_e32 0x387fffff, v5
	s_xor_b32 s4, exec_lo, s4
; %bb.2233:
	v_bfe_u32 v1, v0, 5, 1
	s_delay_alu instid0(VALU_DEP_1) | instskip(NEXT) | instid1(VALU_DEP_1)
	v_add3_u32 v1, v4, v1, 0x80fffff
                                        ; implicit-def: $vgpr4
	v_lshrrev_b32_e32 v1, 21, v1
; %bb.2234:
	s_and_not1_saveexec_b32 s4, s4
; %bb.2235:
	v_add_f32_e64 v1, 0x43000000, |v4|
; %bb.2236:
	s_or_b32 exec_lo, exec_lo, s4
                                        ; implicit-def: $vgpr5
.LBB239_2237:
	s_and_not1_saveexec_b32 s3, s3
; %bb.2238:
	v_mov_b32_e32 v1, 0x7f
	v_cmp_lt_u32_e32 vcc_lo, 0x7f800000, v5
	s_delay_alu instid0(VALU_DEP_2)
	v_cndmask_b32_e32 v1, 0x7c, v1, vcc_lo
; %bb.2239:
	s_or_b32 exec_lo, exec_lo, s3
	v_lshrrev_b32_e32 v0, 8, v0
	s_delay_alu instid0(VALU_DEP_1)
	v_and_or_b32 v0, 0x80, v0, v1
	global_store_b8 v[2:3], v0, off
.LBB239_2240:
	s_mov_b32 s3, 0
.LBB239_2241:
	s_delay_alu instid0(SALU_CYCLE_1)
	s_and_not1_b32 vcc_lo, exec_lo, s3
	s_mov_b32 s3, 0
	s_cbranch_vccnz .LBB239_2248
; %bb.2242:
	s_cmp_gt_i32 s2, 14
	s_mov_b32 s3, -1
	s_cbranch_scc0 .LBB239_2246
; %bb.2243:
	s_cmp_eq_u32 s2, 15
	s_mov_b32 s0, -1
	s_cbranch_scc0 .LBB239_2245
; %bb.2244:
	s_mov_b32 s0, 0
	global_store_b16 v[2:3], v10, off
.LBB239_2245:
	s_mov_b32 s3, 0
.LBB239_2246:
	s_delay_alu instid0(SALU_CYCLE_1)
	s_and_b32 vcc_lo, exec_lo, s3
	s_mov_b32 s3, 0
	s_cbranch_vccz .LBB239_2248
; %bb.2247:
	s_cmp_lg_u32 s2, 11
	s_mov_b32 s3, -1
	s_cselect_b32 s0, -1, 0
.LBB239_2248:
	s_delay_alu instid0(SALU_CYCLE_1)
	s_and_b32 vcc_lo, exec_lo, s0
	s_cbranch_vccnz .LBB239_2270
.LBB239_2249:
	s_mov_b32 s0, 0
	s_branch .LBB239_1764
.LBB239_2250:
	s_mov_b32 s0, 0
	s_mov_b32 s3, 0
                                        ; implicit-def: $vgpr2_vgpr3
                                        ; implicit-def: $sgpr1
	s_branch .LBB239_1764
.LBB239_2251:
	s_mov_b32 s3, 0
	s_mov_b32 s0, -1
	s_branch .LBB239_1764
.LBB239_2252:
	s_or_b32 s10, s10, exec_lo
	s_trap 2
	s_cbranch_execz .LBB239_1707
	s_branch .LBB239_1708
.LBB239_2253:
	s_and_not1_saveexec_b32 s11, s11
	s_cbranch_execz .LBB239_1843
.LBB239_2254:
	v_add_f32_e64 v8, 0x46000000, |v9|
	s_and_not1_b32 s7, s7, exec_lo
	s_delay_alu instid0(VALU_DEP_1) | instskip(NEXT) | instid1(VALU_DEP_1)
	v_and_b32_e32 v8, 0xff, v8
	v_cmp_ne_u32_e32 vcc_lo, 0, v8
	s_and_b32 s12, vcc_lo, exec_lo
	s_delay_alu instid0(SALU_CYCLE_1)
	s_or_b32 s7, s7, s12
	s_or_b32 exec_lo, exec_lo, s11
	v_mov_b32_e32 v11, 0
	s_and_saveexec_b32 s11, s7
	s_cbranch_execnz .LBB239_1844
	s_branch .LBB239_1845
.LBB239_2255:
	s_or_b32 s10, s10, exec_lo
	s_trap 2
	s_cbranch_execz .LBB239_1891
	s_branch .LBB239_1892
.LBB239_2256:
	s_and_not1_saveexec_b32 s7, s7
	s_cbranch_execz .LBB239_1856
.LBB239_2257:
	v_add_f32_e64 v8, 0x42800000, |v9|
	s_and_not1_b32 s6, s6, exec_lo
	s_delay_alu instid0(VALU_DEP_1) | instskip(NEXT) | instid1(VALU_DEP_1)
	v_and_b32_e32 v8, 0xff, v8
	v_cmp_ne_u32_e32 vcc_lo, 0, v8
	s_and_b32 s11, vcc_lo, exec_lo
	s_delay_alu instid0(SALU_CYCLE_1)
	s_or_b32 s6, s6, s11
	s_or_b32 exec_lo, exec_lo, s7
	v_mov_b32_e32 v11, 0
	s_and_saveexec_b32 s7, s6
	s_cbranch_execnz .LBB239_1857
	s_branch .LBB239_1858
.LBB239_2258:
	s_and_not1_saveexec_b32 s11, s11
	s_cbranch_execz .LBB239_1964
.LBB239_2259:
	v_add_f32_e64 v6, 0x46000000, |v7|
	s_and_not1_b32 s7, s7, exec_lo
	s_delay_alu instid0(VALU_DEP_1) | instskip(NEXT) | instid1(VALU_DEP_1)
	v_and_b32_e32 v6, 0xff, v6
	v_cmp_ne_u32_e32 vcc_lo, 0, v6
	s_and_b32 s12, vcc_lo, exec_lo
	s_delay_alu instid0(SALU_CYCLE_1)
	s_or_b32 s7, s7, s12
	s_or_b32 exec_lo, exec_lo, s11
	v_mov_b32_e32 v8, 0
	s_and_saveexec_b32 s11, s7
	s_cbranch_execnz .LBB239_1965
	s_branch .LBB239_1966
.LBB239_2260:
	s_or_b32 s10, s10, exec_lo
	s_trap 2
	s_cbranch_execz .LBB239_2012
	s_branch .LBB239_2013
.LBB239_2261:
	s_and_not1_saveexec_b32 s7, s7
	s_cbranch_execz .LBB239_1977
.LBB239_2262:
	v_add_f32_e64 v6, 0x42800000, |v7|
	s_and_not1_b32 s6, s6, exec_lo
	s_delay_alu instid0(VALU_DEP_1) | instskip(NEXT) | instid1(VALU_DEP_1)
	v_and_b32_e32 v6, 0xff, v6
	v_cmp_ne_u32_e32 vcc_lo, 0, v6
	s_and_b32 s11, vcc_lo, exec_lo
	s_delay_alu instid0(SALU_CYCLE_1)
	s_or_b32 s6, s6, s11
	s_or_b32 exec_lo, exec_lo, s7
	v_mov_b32_e32 v8, 0
	s_and_saveexec_b32 s7, s6
	s_cbranch_execnz .LBB239_1978
	s_branch .LBB239_1979
.LBB239_2263:
	s_and_not1_saveexec_b32 s11, s11
	s_cbranch_execz .LBB239_2083
.LBB239_2264:
	v_add_f32_e64 v4, 0x46000000, |v5|
	s_and_not1_b32 s7, s7, exec_lo
	s_delay_alu instid0(VALU_DEP_1) | instskip(NEXT) | instid1(VALU_DEP_1)
	v_and_b32_e32 v4, 0xff, v4
	v_cmp_ne_u32_e32 vcc_lo, 0, v4
	s_and_b32 s12, vcc_lo, exec_lo
	s_delay_alu instid0(SALU_CYCLE_1)
	s_or_b32 s7, s7, s12
	s_or_b32 exec_lo, exec_lo, s11
	v_mov_b32_e32 v6, 0
	s_and_saveexec_b32 s11, s7
	s_cbranch_execnz .LBB239_2084
	s_branch .LBB239_2085
.LBB239_2265:
	s_or_b32 s10, s10, exec_lo
	s_trap 2
	s_cbranch_execz .LBB239_2131
	s_branch .LBB239_2132
.LBB239_2266:
	s_and_not1_saveexec_b32 s7, s7
	s_cbranch_execz .LBB239_2096
.LBB239_2267:
	v_add_f32_e64 v4, 0x42800000, |v5|
	s_and_not1_b32 s6, s6, exec_lo
	s_delay_alu instid0(VALU_DEP_1) | instskip(NEXT) | instid1(VALU_DEP_1)
	v_and_b32_e32 v4, 0xff, v4
	v_cmp_ne_u32_e32 vcc_lo, 0, v4
	s_and_b32 s11, vcc_lo, exec_lo
	s_delay_alu instid0(SALU_CYCLE_1)
	s_or_b32 s6, s6, s11
	s_or_b32 exec_lo, exec_lo, s7
	v_mov_b32_e32 v6, 0
	s_and_saveexec_b32 s7, s6
	s_cbranch_execnz .LBB239_2097
	s_branch .LBB239_2098
.LBB239_2268:
	s_and_not1_saveexec_b32 s6, s6
	s_cbranch_execz .LBB239_2203
.LBB239_2269:
	v_add_f32_e64 v1, 0x46000000, |v4|
	s_and_not1_b32 s5, s5, exec_lo
	s_delay_alu instid0(VALU_DEP_1) | instskip(NEXT) | instid1(VALU_DEP_1)
	v_and_b32_e32 v1, 0xff, v1
	v_cmp_ne_u32_e32 vcc_lo, 0, v1
	s_and_b32 s7, vcc_lo, exec_lo
	s_delay_alu instid0(SALU_CYCLE_1)
	s_or_b32 s5, s5, s7
	s_or_b32 exec_lo, exec_lo, s6
	v_mov_b32_e32 v5, 0
	s_and_saveexec_b32 s6, s5
	s_cbranch_execnz .LBB239_2204
	s_branch .LBB239_2205
.LBB239_2270:
	s_mov_b32 s3, 0
	s_or_b32 s10, s10, exec_lo
	s_trap 2
	s_branch .LBB239_2249
.LBB239_2271:
	s_and_not1_saveexec_b32 s5, s5
	s_cbranch_execz .LBB239_2215
.LBB239_2272:
	v_add_f32_e64 v1, 0x42800000, |v4|
	s_and_not1_b32 s4, s4, exec_lo
	s_delay_alu instid0(VALU_DEP_1) | instskip(NEXT) | instid1(VALU_DEP_1)
	v_and_b32_e32 v1, 0xff, v1
	v_cmp_ne_u32_e32 vcc_lo, 0, v1
	s_and_b32 s6, vcc_lo, exec_lo
	s_delay_alu instid0(SALU_CYCLE_1)
	s_or_b32 s4, s4, s6
	s_or_b32 exec_lo, exec_lo, s5
	v_mov_b32_e32 v5, 0
	s_and_saveexec_b32 s5, s4
	s_cbranch_execnz .LBB239_2216
	s_branch .LBB239_2217
	.section	.rodata,"a",@progbits
	.p2align	6, 0x0
	.amdhsa_kernel _ZN2at6native32elementwise_kernel_manual_unrollILi128ELi4EZNS0_15gpu_kernel_implIZZZNS0_12_GLOBAL__N_119launch_clamp_scalarERNS_18TensorIteratorBaseEN3c106ScalarES7_NS0_6detail11ClampLimitsEENKUlvE_clEvENKUlvE7_clEvEUlNS6_8BFloat16EE_EEvS5_RKT_EUlibE0_EEviT1_
		.amdhsa_group_segment_fixed_size 0
		.amdhsa_private_segment_fixed_size 0
		.amdhsa_kernarg_size 368
		.amdhsa_user_sgpr_count 2
		.amdhsa_user_sgpr_dispatch_ptr 0
		.amdhsa_user_sgpr_queue_ptr 0
		.amdhsa_user_sgpr_kernarg_segment_ptr 1
		.amdhsa_user_sgpr_dispatch_id 0
		.amdhsa_user_sgpr_kernarg_preload_length 0
		.amdhsa_user_sgpr_kernarg_preload_offset 0
		.amdhsa_user_sgpr_private_segment_size 0
		.amdhsa_wavefront_size32 1
		.amdhsa_uses_dynamic_stack 0
		.amdhsa_enable_private_segment 0
		.amdhsa_system_sgpr_workgroup_id_x 1
		.amdhsa_system_sgpr_workgroup_id_y 0
		.amdhsa_system_sgpr_workgroup_id_z 0
		.amdhsa_system_sgpr_workgroup_info 0
		.amdhsa_system_vgpr_workitem_id 0
		.amdhsa_next_free_vgpr 18
		.amdhsa_next_free_sgpr 72
		.amdhsa_named_barrier_count 0
		.amdhsa_reserve_vcc 1
		.amdhsa_float_round_mode_32 0
		.amdhsa_float_round_mode_16_64 0
		.amdhsa_float_denorm_mode_32 3
		.amdhsa_float_denorm_mode_16_64 3
		.amdhsa_fp16_overflow 0
		.amdhsa_memory_ordered 1
		.amdhsa_forward_progress 1
		.amdhsa_inst_pref_size 255
		.amdhsa_round_robin_scheduling 0
		.amdhsa_exception_fp_ieee_invalid_op 0
		.amdhsa_exception_fp_denorm_src 0
		.amdhsa_exception_fp_ieee_div_zero 0
		.amdhsa_exception_fp_ieee_overflow 0
		.amdhsa_exception_fp_ieee_underflow 0
		.amdhsa_exception_fp_ieee_inexact 0
		.amdhsa_exception_int_div_zero 0
	.end_amdhsa_kernel
	.section	.text._ZN2at6native32elementwise_kernel_manual_unrollILi128ELi4EZNS0_15gpu_kernel_implIZZZNS0_12_GLOBAL__N_119launch_clamp_scalarERNS_18TensorIteratorBaseEN3c106ScalarES7_NS0_6detail11ClampLimitsEENKUlvE_clEvENKUlvE7_clEvEUlNS6_8BFloat16EE_EEvS5_RKT_EUlibE0_EEviT1_,"axG",@progbits,_ZN2at6native32elementwise_kernel_manual_unrollILi128ELi4EZNS0_15gpu_kernel_implIZZZNS0_12_GLOBAL__N_119launch_clamp_scalarERNS_18TensorIteratorBaseEN3c106ScalarES7_NS0_6detail11ClampLimitsEENKUlvE_clEvENKUlvE7_clEvEUlNS6_8BFloat16EE_EEvS5_RKT_EUlibE0_EEviT1_,comdat
.Lfunc_end239:
	.size	_ZN2at6native32elementwise_kernel_manual_unrollILi128ELi4EZNS0_15gpu_kernel_implIZZZNS0_12_GLOBAL__N_119launch_clamp_scalarERNS_18TensorIteratorBaseEN3c106ScalarES7_NS0_6detail11ClampLimitsEENKUlvE_clEvENKUlvE7_clEvEUlNS6_8BFloat16EE_EEvS5_RKT_EUlibE0_EEviT1_, .Lfunc_end239-_ZN2at6native32elementwise_kernel_manual_unrollILi128ELi4EZNS0_15gpu_kernel_implIZZZNS0_12_GLOBAL__N_119launch_clamp_scalarERNS_18TensorIteratorBaseEN3c106ScalarES7_NS0_6detail11ClampLimitsEENKUlvE_clEvENKUlvE7_clEvEUlNS6_8BFloat16EE_EEvS5_RKT_EUlibE0_EEviT1_
                                        ; -- End function
	.set _ZN2at6native32elementwise_kernel_manual_unrollILi128ELi4EZNS0_15gpu_kernel_implIZZZNS0_12_GLOBAL__N_119launch_clamp_scalarERNS_18TensorIteratorBaseEN3c106ScalarES7_NS0_6detail11ClampLimitsEENKUlvE_clEvENKUlvE7_clEvEUlNS6_8BFloat16EE_EEvS5_RKT_EUlibE0_EEviT1_.num_vgpr, 18
	.set _ZN2at6native32elementwise_kernel_manual_unrollILi128ELi4EZNS0_15gpu_kernel_implIZZZNS0_12_GLOBAL__N_119launch_clamp_scalarERNS_18TensorIteratorBaseEN3c106ScalarES7_NS0_6detail11ClampLimitsEENKUlvE_clEvENKUlvE7_clEvEUlNS6_8BFloat16EE_EEvS5_RKT_EUlibE0_EEviT1_.num_agpr, 0
	.set _ZN2at6native32elementwise_kernel_manual_unrollILi128ELi4EZNS0_15gpu_kernel_implIZZZNS0_12_GLOBAL__N_119launch_clamp_scalarERNS_18TensorIteratorBaseEN3c106ScalarES7_NS0_6detail11ClampLimitsEENKUlvE_clEvENKUlvE7_clEvEUlNS6_8BFloat16EE_EEvS5_RKT_EUlibE0_EEviT1_.numbered_sgpr, 72
	.set _ZN2at6native32elementwise_kernel_manual_unrollILi128ELi4EZNS0_15gpu_kernel_implIZZZNS0_12_GLOBAL__N_119launch_clamp_scalarERNS_18TensorIteratorBaseEN3c106ScalarES7_NS0_6detail11ClampLimitsEENKUlvE_clEvENKUlvE7_clEvEUlNS6_8BFloat16EE_EEvS5_RKT_EUlibE0_EEviT1_.num_named_barrier, 0
	.set _ZN2at6native32elementwise_kernel_manual_unrollILi128ELi4EZNS0_15gpu_kernel_implIZZZNS0_12_GLOBAL__N_119launch_clamp_scalarERNS_18TensorIteratorBaseEN3c106ScalarES7_NS0_6detail11ClampLimitsEENKUlvE_clEvENKUlvE7_clEvEUlNS6_8BFloat16EE_EEvS5_RKT_EUlibE0_EEviT1_.private_seg_size, 0
	.set _ZN2at6native32elementwise_kernel_manual_unrollILi128ELi4EZNS0_15gpu_kernel_implIZZZNS0_12_GLOBAL__N_119launch_clamp_scalarERNS_18TensorIteratorBaseEN3c106ScalarES7_NS0_6detail11ClampLimitsEENKUlvE_clEvENKUlvE7_clEvEUlNS6_8BFloat16EE_EEvS5_RKT_EUlibE0_EEviT1_.uses_vcc, 1
	.set _ZN2at6native32elementwise_kernel_manual_unrollILi128ELi4EZNS0_15gpu_kernel_implIZZZNS0_12_GLOBAL__N_119launch_clamp_scalarERNS_18TensorIteratorBaseEN3c106ScalarES7_NS0_6detail11ClampLimitsEENKUlvE_clEvENKUlvE7_clEvEUlNS6_8BFloat16EE_EEvS5_RKT_EUlibE0_EEviT1_.uses_flat_scratch, 0
	.set _ZN2at6native32elementwise_kernel_manual_unrollILi128ELi4EZNS0_15gpu_kernel_implIZZZNS0_12_GLOBAL__N_119launch_clamp_scalarERNS_18TensorIteratorBaseEN3c106ScalarES7_NS0_6detail11ClampLimitsEENKUlvE_clEvENKUlvE7_clEvEUlNS6_8BFloat16EE_EEvS5_RKT_EUlibE0_EEviT1_.has_dyn_sized_stack, 0
	.set _ZN2at6native32elementwise_kernel_manual_unrollILi128ELi4EZNS0_15gpu_kernel_implIZZZNS0_12_GLOBAL__N_119launch_clamp_scalarERNS_18TensorIteratorBaseEN3c106ScalarES7_NS0_6detail11ClampLimitsEENKUlvE_clEvENKUlvE7_clEvEUlNS6_8BFloat16EE_EEvS5_RKT_EUlibE0_EEviT1_.has_recursion, 0
	.set _ZN2at6native32elementwise_kernel_manual_unrollILi128ELi4EZNS0_15gpu_kernel_implIZZZNS0_12_GLOBAL__N_119launch_clamp_scalarERNS_18TensorIteratorBaseEN3c106ScalarES7_NS0_6detail11ClampLimitsEENKUlvE_clEvENKUlvE7_clEvEUlNS6_8BFloat16EE_EEvS5_RKT_EUlibE0_EEviT1_.has_indirect_call, 0
	.section	.AMDGPU.csdata,"",@progbits
; Kernel info:
; codeLenInByte = 52060
; TotalNumSgprs: 74
; NumVgprs: 18
; ScratchSize: 0
; MemoryBound: 0
; FloatMode: 240
; IeeeMode: 1
; LDSByteSize: 0 bytes/workgroup (compile time only)
; SGPRBlocks: 0
; VGPRBlocks: 1
; NumSGPRsForWavesPerEU: 74
; NumVGPRsForWavesPerEU: 18
; NamedBarCnt: 0
; Occupancy: 16
; WaveLimiterHint : 1
; COMPUTE_PGM_RSRC2:SCRATCH_EN: 0
; COMPUTE_PGM_RSRC2:USER_SGPR: 2
; COMPUTE_PGM_RSRC2:TRAP_HANDLER: 0
; COMPUTE_PGM_RSRC2:TGID_X_EN: 1
; COMPUTE_PGM_RSRC2:TGID_Y_EN: 0
; COMPUTE_PGM_RSRC2:TGID_Z_EN: 0
; COMPUTE_PGM_RSRC2:TIDIG_COMP_CNT: 0
	.section	.text._ZN2at6native25_assert_async_cuda_kernelIhEEvPKT_NS0_3MsgE,"axG",@progbits,_ZN2at6native25_assert_async_cuda_kernelIhEEvPKT_NS0_3MsgE,comdat
	.protected	_ZN2at6native25_assert_async_cuda_kernelIhEEvPKT_NS0_3MsgE ; -- Begin function _ZN2at6native25_assert_async_cuda_kernelIhEEvPKT_NS0_3MsgE
	.globl	_ZN2at6native25_assert_async_cuda_kernelIhEEvPKT_NS0_3MsgE
	.p2align	8
	.type	_ZN2at6native25_assert_async_cuda_kernelIhEEvPKT_NS0_3MsgE,@function
_ZN2at6native25_assert_async_cuda_kernelIhEEvPKT_NS0_3MsgE: ; @_ZN2at6native25_assert_async_cuda_kernelIhEEvPKT_NS0_3MsgE
; %bb.0:
	s_load_b64 s[0:1], s[0:1], 0x0
	s_wait_kmcnt 0x0
	s_load_u8 s0, s[0:1], 0x0
	s_wait_kmcnt 0x0
	s_cmp_lg_u32 s0, 0
	s_cbranch_scc0 .LBB240_2
; %bb.1:
	s_endpgm
.LBB240_2:
	s_trap 2
	.section	.rodata,"a",@progbits
	.p2align	6, 0x0
	.amdhsa_kernel _ZN2at6native25_assert_async_cuda_kernelIhEEvPKT_NS0_3MsgE
		.amdhsa_group_segment_fixed_size 0
		.amdhsa_private_segment_fixed_size 0
		.amdhsa_kernarg_size 264
		.amdhsa_user_sgpr_count 2
		.amdhsa_user_sgpr_dispatch_ptr 0
		.amdhsa_user_sgpr_queue_ptr 0
		.amdhsa_user_sgpr_kernarg_segment_ptr 1
		.amdhsa_user_sgpr_dispatch_id 0
		.amdhsa_user_sgpr_kernarg_preload_length 0
		.amdhsa_user_sgpr_kernarg_preload_offset 0
		.amdhsa_user_sgpr_private_segment_size 0
		.amdhsa_wavefront_size32 1
		.amdhsa_uses_dynamic_stack 0
		.amdhsa_enable_private_segment 0
		.amdhsa_system_sgpr_workgroup_id_x 1
		.amdhsa_system_sgpr_workgroup_id_y 0
		.amdhsa_system_sgpr_workgroup_id_z 0
		.amdhsa_system_sgpr_workgroup_info 0
		.amdhsa_system_vgpr_workitem_id 0
		.amdhsa_next_free_vgpr 1
		.amdhsa_next_free_sgpr 2
		.amdhsa_named_barrier_count 0
		.amdhsa_reserve_vcc 0
		.amdhsa_float_round_mode_32 0
		.amdhsa_float_round_mode_16_64 0
		.amdhsa_float_denorm_mode_32 3
		.amdhsa_float_denorm_mode_16_64 3
		.amdhsa_fp16_overflow 0
		.amdhsa_memory_ordered 1
		.amdhsa_forward_progress 1
		.amdhsa_inst_pref_size 1
		.amdhsa_round_robin_scheduling 0
		.amdhsa_exception_fp_ieee_invalid_op 0
		.amdhsa_exception_fp_denorm_src 0
		.amdhsa_exception_fp_ieee_div_zero 0
		.amdhsa_exception_fp_ieee_overflow 0
		.amdhsa_exception_fp_ieee_underflow 0
		.amdhsa_exception_fp_ieee_inexact 0
		.amdhsa_exception_int_div_zero 0
	.end_amdhsa_kernel
	.section	.text._ZN2at6native25_assert_async_cuda_kernelIhEEvPKT_NS0_3MsgE,"axG",@progbits,_ZN2at6native25_assert_async_cuda_kernelIhEEvPKT_NS0_3MsgE,comdat
.Lfunc_end240:
	.size	_ZN2at6native25_assert_async_cuda_kernelIhEEvPKT_NS0_3MsgE, .Lfunc_end240-_ZN2at6native25_assert_async_cuda_kernelIhEEvPKT_NS0_3MsgE
                                        ; -- End function
	.set _ZN2at6native25_assert_async_cuda_kernelIhEEvPKT_NS0_3MsgE.num_vgpr, 0
	.set _ZN2at6native25_assert_async_cuda_kernelIhEEvPKT_NS0_3MsgE.num_agpr, 0
	.set _ZN2at6native25_assert_async_cuda_kernelIhEEvPKT_NS0_3MsgE.numbered_sgpr, 2
	.set _ZN2at6native25_assert_async_cuda_kernelIhEEvPKT_NS0_3MsgE.num_named_barrier, 0
	.set _ZN2at6native25_assert_async_cuda_kernelIhEEvPKT_NS0_3MsgE.private_seg_size, 0
	.set _ZN2at6native25_assert_async_cuda_kernelIhEEvPKT_NS0_3MsgE.uses_vcc, 0
	.set _ZN2at6native25_assert_async_cuda_kernelIhEEvPKT_NS0_3MsgE.uses_flat_scratch, 0
	.set _ZN2at6native25_assert_async_cuda_kernelIhEEvPKT_NS0_3MsgE.has_dyn_sized_stack, 0
	.set _ZN2at6native25_assert_async_cuda_kernelIhEEvPKT_NS0_3MsgE.has_recursion, 0
	.set _ZN2at6native25_assert_async_cuda_kernelIhEEvPKT_NS0_3MsgE.has_indirect_call, 0
	.section	.AMDGPU.csdata,"",@progbits
; Kernel info:
; codeLenInByte = 40
; TotalNumSgprs: 2
; NumVgprs: 0
; ScratchSize: 0
; MemoryBound: 0
; FloatMode: 240
; IeeeMode: 1
; LDSByteSize: 0 bytes/workgroup (compile time only)
; SGPRBlocks: 0
; VGPRBlocks: 0
; NumSGPRsForWavesPerEU: 2
; NumVGPRsForWavesPerEU: 1
; NamedBarCnt: 0
; Occupancy: 16
; WaveLimiterHint : 0
; COMPUTE_PGM_RSRC2:SCRATCH_EN: 0
; COMPUTE_PGM_RSRC2:USER_SGPR: 2
; COMPUTE_PGM_RSRC2:TRAP_HANDLER: 0
; COMPUTE_PGM_RSRC2:TGID_X_EN: 1
; COMPUTE_PGM_RSRC2:TGID_Y_EN: 0
; COMPUTE_PGM_RSRC2:TGID_Z_EN: 0
; COMPUTE_PGM_RSRC2:TIDIG_COMP_CNT: 0
	.section	.text._ZN2at6native25_assert_async_cuda_kernelIaEEvPKT_NS0_3MsgE,"axG",@progbits,_ZN2at6native25_assert_async_cuda_kernelIaEEvPKT_NS0_3MsgE,comdat
	.protected	_ZN2at6native25_assert_async_cuda_kernelIaEEvPKT_NS0_3MsgE ; -- Begin function _ZN2at6native25_assert_async_cuda_kernelIaEEvPKT_NS0_3MsgE
	.globl	_ZN2at6native25_assert_async_cuda_kernelIaEEvPKT_NS0_3MsgE
	.p2align	8
	.type	_ZN2at6native25_assert_async_cuda_kernelIaEEvPKT_NS0_3MsgE,@function
_ZN2at6native25_assert_async_cuda_kernelIaEEvPKT_NS0_3MsgE: ; @_ZN2at6native25_assert_async_cuda_kernelIaEEvPKT_NS0_3MsgE
; %bb.0:
	s_load_b64 s[0:1], s[0:1], 0x0
	s_wait_kmcnt 0x0
	s_load_u8 s0, s[0:1], 0x0
	s_wait_kmcnt 0x0
	s_cmp_lg_u32 s0, 0
	s_cbranch_scc0 .LBB241_2
; %bb.1:
	s_endpgm
.LBB241_2:
	s_trap 2
	.section	.rodata,"a",@progbits
	.p2align	6, 0x0
	.amdhsa_kernel _ZN2at6native25_assert_async_cuda_kernelIaEEvPKT_NS0_3MsgE
		.amdhsa_group_segment_fixed_size 0
		.amdhsa_private_segment_fixed_size 0
		.amdhsa_kernarg_size 264
		.amdhsa_user_sgpr_count 2
		.amdhsa_user_sgpr_dispatch_ptr 0
		.amdhsa_user_sgpr_queue_ptr 0
		.amdhsa_user_sgpr_kernarg_segment_ptr 1
		.amdhsa_user_sgpr_dispatch_id 0
		.amdhsa_user_sgpr_kernarg_preload_length 0
		.amdhsa_user_sgpr_kernarg_preload_offset 0
		.amdhsa_user_sgpr_private_segment_size 0
		.amdhsa_wavefront_size32 1
		.amdhsa_uses_dynamic_stack 0
		.amdhsa_enable_private_segment 0
		.amdhsa_system_sgpr_workgroup_id_x 1
		.amdhsa_system_sgpr_workgroup_id_y 0
		.amdhsa_system_sgpr_workgroup_id_z 0
		.amdhsa_system_sgpr_workgroup_info 0
		.amdhsa_system_vgpr_workitem_id 0
		.amdhsa_next_free_vgpr 1
		.amdhsa_next_free_sgpr 2
		.amdhsa_named_barrier_count 0
		.amdhsa_reserve_vcc 0
		.amdhsa_float_round_mode_32 0
		.amdhsa_float_round_mode_16_64 0
		.amdhsa_float_denorm_mode_32 3
		.amdhsa_float_denorm_mode_16_64 3
		.amdhsa_fp16_overflow 0
		.amdhsa_memory_ordered 1
		.amdhsa_forward_progress 1
		.amdhsa_inst_pref_size 1
		.amdhsa_round_robin_scheduling 0
		.amdhsa_exception_fp_ieee_invalid_op 0
		.amdhsa_exception_fp_denorm_src 0
		.amdhsa_exception_fp_ieee_div_zero 0
		.amdhsa_exception_fp_ieee_overflow 0
		.amdhsa_exception_fp_ieee_underflow 0
		.amdhsa_exception_fp_ieee_inexact 0
		.amdhsa_exception_int_div_zero 0
	.end_amdhsa_kernel
	.section	.text._ZN2at6native25_assert_async_cuda_kernelIaEEvPKT_NS0_3MsgE,"axG",@progbits,_ZN2at6native25_assert_async_cuda_kernelIaEEvPKT_NS0_3MsgE,comdat
.Lfunc_end241:
	.size	_ZN2at6native25_assert_async_cuda_kernelIaEEvPKT_NS0_3MsgE, .Lfunc_end241-_ZN2at6native25_assert_async_cuda_kernelIaEEvPKT_NS0_3MsgE
                                        ; -- End function
	.set _ZN2at6native25_assert_async_cuda_kernelIaEEvPKT_NS0_3MsgE.num_vgpr, 0
	.set _ZN2at6native25_assert_async_cuda_kernelIaEEvPKT_NS0_3MsgE.num_agpr, 0
	.set _ZN2at6native25_assert_async_cuda_kernelIaEEvPKT_NS0_3MsgE.numbered_sgpr, 2
	.set _ZN2at6native25_assert_async_cuda_kernelIaEEvPKT_NS0_3MsgE.num_named_barrier, 0
	.set _ZN2at6native25_assert_async_cuda_kernelIaEEvPKT_NS0_3MsgE.private_seg_size, 0
	.set _ZN2at6native25_assert_async_cuda_kernelIaEEvPKT_NS0_3MsgE.uses_vcc, 0
	.set _ZN2at6native25_assert_async_cuda_kernelIaEEvPKT_NS0_3MsgE.uses_flat_scratch, 0
	.set _ZN2at6native25_assert_async_cuda_kernelIaEEvPKT_NS0_3MsgE.has_dyn_sized_stack, 0
	.set _ZN2at6native25_assert_async_cuda_kernelIaEEvPKT_NS0_3MsgE.has_recursion, 0
	.set _ZN2at6native25_assert_async_cuda_kernelIaEEvPKT_NS0_3MsgE.has_indirect_call, 0
	.section	.AMDGPU.csdata,"",@progbits
; Kernel info:
; codeLenInByte = 40
; TotalNumSgprs: 2
; NumVgprs: 0
; ScratchSize: 0
; MemoryBound: 0
; FloatMode: 240
; IeeeMode: 1
; LDSByteSize: 0 bytes/workgroup (compile time only)
; SGPRBlocks: 0
; VGPRBlocks: 0
; NumSGPRsForWavesPerEU: 2
; NumVGPRsForWavesPerEU: 1
; NamedBarCnt: 0
; Occupancy: 16
; WaveLimiterHint : 0
; COMPUTE_PGM_RSRC2:SCRATCH_EN: 0
; COMPUTE_PGM_RSRC2:USER_SGPR: 2
; COMPUTE_PGM_RSRC2:TRAP_HANDLER: 0
; COMPUTE_PGM_RSRC2:TGID_X_EN: 1
; COMPUTE_PGM_RSRC2:TGID_Y_EN: 0
; COMPUTE_PGM_RSRC2:TGID_Z_EN: 0
; COMPUTE_PGM_RSRC2:TIDIG_COMP_CNT: 0
	.section	.text._ZN2at6native25_assert_async_cuda_kernelIiEEvPKT_NS0_3MsgE,"axG",@progbits,_ZN2at6native25_assert_async_cuda_kernelIiEEvPKT_NS0_3MsgE,comdat
	.protected	_ZN2at6native25_assert_async_cuda_kernelIiEEvPKT_NS0_3MsgE ; -- Begin function _ZN2at6native25_assert_async_cuda_kernelIiEEvPKT_NS0_3MsgE
	.globl	_ZN2at6native25_assert_async_cuda_kernelIiEEvPKT_NS0_3MsgE
	.p2align	8
	.type	_ZN2at6native25_assert_async_cuda_kernelIiEEvPKT_NS0_3MsgE,@function
_ZN2at6native25_assert_async_cuda_kernelIiEEvPKT_NS0_3MsgE: ; @_ZN2at6native25_assert_async_cuda_kernelIiEEvPKT_NS0_3MsgE
; %bb.0:
	s_load_b64 s[0:1], s[0:1], 0x0
	s_wait_kmcnt 0x0
	s_load_b32 s0, s[0:1], 0x0
	s_wait_kmcnt 0x0
	s_cmp_lg_u32 s0, 0
	s_cbranch_scc0 .LBB242_2
; %bb.1:
	s_endpgm
.LBB242_2:
	s_trap 2
	.section	.rodata,"a",@progbits
	.p2align	6, 0x0
	.amdhsa_kernel _ZN2at6native25_assert_async_cuda_kernelIiEEvPKT_NS0_3MsgE
		.amdhsa_group_segment_fixed_size 0
		.amdhsa_private_segment_fixed_size 0
		.amdhsa_kernarg_size 264
		.amdhsa_user_sgpr_count 2
		.amdhsa_user_sgpr_dispatch_ptr 0
		.amdhsa_user_sgpr_queue_ptr 0
		.amdhsa_user_sgpr_kernarg_segment_ptr 1
		.amdhsa_user_sgpr_dispatch_id 0
		.amdhsa_user_sgpr_kernarg_preload_length 0
		.amdhsa_user_sgpr_kernarg_preload_offset 0
		.amdhsa_user_sgpr_private_segment_size 0
		.amdhsa_wavefront_size32 1
		.amdhsa_uses_dynamic_stack 0
		.amdhsa_enable_private_segment 0
		.amdhsa_system_sgpr_workgroup_id_x 1
		.amdhsa_system_sgpr_workgroup_id_y 0
		.amdhsa_system_sgpr_workgroup_id_z 0
		.amdhsa_system_sgpr_workgroup_info 0
		.amdhsa_system_vgpr_workitem_id 0
		.amdhsa_next_free_vgpr 1
		.amdhsa_next_free_sgpr 2
		.amdhsa_named_barrier_count 0
		.amdhsa_reserve_vcc 0
		.amdhsa_float_round_mode_32 0
		.amdhsa_float_round_mode_16_64 0
		.amdhsa_float_denorm_mode_32 3
		.amdhsa_float_denorm_mode_16_64 3
		.amdhsa_fp16_overflow 0
		.amdhsa_memory_ordered 1
		.amdhsa_forward_progress 1
		.amdhsa_inst_pref_size 1
		.amdhsa_round_robin_scheduling 0
		.amdhsa_exception_fp_ieee_invalid_op 0
		.amdhsa_exception_fp_denorm_src 0
		.amdhsa_exception_fp_ieee_div_zero 0
		.amdhsa_exception_fp_ieee_overflow 0
		.amdhsa_exception_fp_ieee_underflow 0
		.amdhsa_exception_fp_ieee_inexact 0
		.amdhsa_exception_int_div_zero 0
	.end_amdhsa_kernel
	.section	.text._ZN2at6native25_assert_async_cuda_kernelIiEEvPKT_NS0_3MsgE,"axG",@progbits,_ZN2at6native25_assert_async_cuda_kernelIiEEvPKT_NS0_3MsgE,comdat
.Lfunc_end242:
	.size	_ZN2at6native25_assert_async_cuda_kernelIiEEvPKT_NS0_3MsgE, .Lfunc_end242-_ZN2at6native25_assert_async_cuda_kernelIiEEvPKT_NS0_3MsgE
                                        ; -- End function
	.set _ZN2at6native25_assert_async_cuda_kernelIiEEvPKT_NS0_3MsgE.num_vgpr, 0
	.set _ZN2at6native25_assert_async_cuda_kernelIiEEvPKT_NS0_3MsgE.num_agpr, 0
	.set _ZN2at6native25_assert_async_cuda_kernelIiEEvPKT_NS0_3MsgE.numbered_sgpr, 2
	.set _ZN2at6native25_assert_async_cuda_kernelIiEEvPKT_NS0_3MsgE.num_named_barrier, 0
	.set _ZN2at6native25_assert_async_cuda_kernelIiEEvPKT_NS0_3MsgE.private_seg_size, 0
	.set _ZN2at6native25_assert_async_cuda_kernelIiEEvPKT_NS0_3MsgE.uses_vcc, 0
	.set _ZN2at6native25_assert_async_cuda_kernelIiEEvPKT_NS0_3MsgE.uses_flat_scratch, 0
	.set _ZN2at6native25_assert_async_cuda_kernelIiEEvPKT_NS0_3MsgE.has_dyn_sized_stack, 0
	.set _ZN2at6native25_assert_async_cuda_kernelIiEEvPKT_NS0_3MsgE.has_recursion, 0
	.set _ZN2at6native25_assert_async_cuda_kernelIiEEvPKT_NS0_3MsgE.has_indirect_call, 0
	.section	.AMDGPU.csdata,"",@progbits
; Kernel info:
; codeLenInByte = 40
; TotalNumSgprs: 2
; NumVgprs: 0
; ScratchSize: 0
; MemoryBound: 0
; FloatMode: 240
; IeeeMode: 1
; LDSByteSize: 0 bytes/workgroup (compile time only)
; SGPRBlocks: 0
; VGPRBlocks: 0
; NumSGPRsForWavesPerEU: 2
; NumVGPRsForWavesPerEU: 1
; NamedBarCnt: 0
; Occupancy: 16
; WaveLimiterHint : 0
; COMPUTE_PGM_RSRC2:SCRATCH_EN: 0
; COMPUTE_PGM_RSRC2:USER_SGPR: 2
; COMPUTE_PGM_RSRC2:TRAP_HANDLER: 0
; COMPUTE_PGM_RSRC2:TGID_X_EN: 1
; COMPUTE_PGM_RSRC2:TGID_Y_EN: 0
; COMPUTE_PGM_RSRC2:TGID_Z_EN: 0
; COMPUTE_PGM_RSRC2:TIDIG_COMP_CNT: 0
	.section	.text._ZN2at6native25_assert_async_cuda_kernelIlEEvPKT_NS0_3MsgE,"axG",@progbits,_ZN2at6native25_assert_async_cuda_kernelIlEEvPKT_NS0_3MsgE,comdat
	.protected	_ZN2at6native25_assert_async_cuda_kernelIlEEvPKT_NS0_3MsgE ; -- Begin function _ZN2at6native25_assert_async_cuda_kernelIlEEvPKT_NS0_3MsgE
	.globl	_ZN2at6native25_assert_async_cuda_kernelIlEEvPKT_NS0_3MsgE
	.p2align	8
	.type	_ZN2at6native25_assert_async_cuda_kernelIlEEvPKT_NS0_3MsgE,@function
_ZN2at6native25_assert_async_cuda_kernelIlEEvPKT_NS0_3MsgE: ; @_ZN2at6native25_assert_async_cuda_kernelIlEEvPKT_NS0_3MsgE
; %bb.0:
	s_load_b64 s[0:1], s[0:1], 0x0
	s_wait_kmcnt 0x0
	s_load_b64 s[0:1], s[0:1], 0x0
	s_wait_kmcnt 0x0
	s_cmp_lg_u64 s[0:1], 0
	s_cbranch_scc0 .LBB243_2
; %bb.1:
	s_endpgm
.LBB243_2:
	s_trap 2
	.section	.rodata,"a",@progbits
	.p2align	6, 0x0
	.amdhsa_kernel _ZN2at6native25_assert_async_cuda_kernelIlEEvPKT_NS0_3MsgE
		.amdhsa_group_segment_fixed_size 0
		.amdhsa_private_segment_fixed_size 0
		.amdhsa_kernarg_size 264
		.amdhsa_user_sgpr_count 2
		.amdhsa_user_sgpr_dispatch_ptr 0
		.amdhsa_user_sgpr_queue_ptr 0
		.amdhsa_user_sgpr_kernarg_segment_ptr 1
		.amdhsa_user_sgpr_dispatch_id 0
		.amdhsa_user_sgpr_kernarg_preload_length 0
		.amdhsa_user_sgpr_kernarg_preload_offset 0
		.amdhsa_user_sgpr_private_segment_size 0
		.amdhsa_wavefront_size32 1
		.amdhsa_uses_dynamic_stack 0
		.amdhsa_enable_private_segment 0
		.amdhsa_system_sgpr_workgroup_id_x 1
		.amdhsa_system_sgpr_workgroup_id_y 0
		.amdhsa_system_sgpr_workgroup_id_z 0
		.amdhsa_system_sgpr_workgroup_info 0
		.amdhsa_system_vgpr_workitem_id 0
		.amdhsa_next_free_vgpr 1
		.amdhsa_next_free_sgpr 2
		.amdhsa_named_barrier_count 0
		.amdhsa_reserve_vcc 0
		.amdhsa_float_round_mode_32 0
		.amdhsa_float_round_mode_16_64 0
		.amdhsa_float_denorm_mode_32 3
		.amdhsa_float_denorm_mode_16_64 3
		.amdhsa_fp16_overflow 0
		.amdhsa_memory_ordered 1
		.amdhsa_forward_progress 1
		.amdhsa_inst_pref_size 1
		.amdhsa_round_robin_scheduling 0
		.amdhsa_exception_fp_ieee_invalid_op 0
		.amdhsa_exception_fp_denorm_src 0
		.amdhsa_exception_fp_ieee_div_zero 0
		.amdhsa_exception_fp_ieee_overflow 0
		.amdhsa_exception_fp_ieee_underflow 0
		.amdhsa_exception_fp_ieee_inexact 0
		.amdhsa_exception_int_div_zero 0
	.end_amdhsa_kernel
	.section	.text._ZN2at6native25_assert_async_cuda_kernelIlEEvPKT_NS0_3MsgE,"axG",@progbits,_ZN2at6native25_assert_async_cuda_kernelIlEEvPKT_NS0_3MsgE,comdat
.Lfunc_end243:
	.size	_ZN2at6native25_assert_async_cuda_kernelIlEEvPKT_NS0_3MsgE, .Lfunc_end243-_ZN2at6native25_assert_async_cuda_kernelIlEEvPKT_NS0_3MsgE
                                        ; -- End function
	.set _ZN2at6native25_assert_async_cuda_kernelIlEEvPKT_NS0_3MsgE.num_vgpr, 0
	.set _ZN2at6native25_assert_async_cuda_kernelIlEEvPKT_NS0_3MsgE.num_agpr, 0
	.set _ZN2at6native25_assert_async_cuda_kernelIlEEvPKT_NS0_3MsgE.numbered_sgpr, 2
	.set _ZN2at6native25_assert_async_cuda_kernelIlEEvPKT_NS0_3MsgE.num_named_barrier, 0
	.set _ZN2at6native25_assert_async_cuda_kernelIlEEvPKT_NS0_3MsgE.private_seg_size, 0
	.set _ZN2at6native25_assert_async_cuda_kernelIlEEvPKT_NS0_3MsgE.uses_vcc, 0
	.set _ZN2at6native25_assert_async_cuda_kernelIlEEvPKT_NS0_3MsgE.uses_flat_scratch, 0
	.set _ZN2at6native25_assert_async_cuda_kernelIlEEvPKT_NS0_3MsgE.has_dyn_sized_stack, 0
	.set _ZN2at6native25_assert_async_cuda_kernelIlEEvPKT_NS0_3MsgE.has_recursion, 0
	.set _ZN2at6native25_assert_async_cuda_kernelIlEEvPKT_NS0_3MsgE.has_indirect_call, 0
	.section	.AMDGPU.csdata,"",@progbits
; Kernel info:
; codeLenInByte = 40
; TotalNumSgprs: 2
; NumVgprs: 0
; ScratchSize: 0
; MemoryBound: 0
; FloatMode: 240
; IeeeMode: 1
; LDSByteSize: 0 bytes/workgroup (compile time only)
; SGPRBlocks: 0
; VGPRBlocks: 0
; NumSGPRsForWavesPerEU: 2
; NumVGPRsForWavesPerEU: 1
; NamedBarCnt: 0
; Occupancy: 16
; WaveLimiterHint : 0
; COMPUTE_PGM_RSRC2:SCRATCH_EN: 0
; COMPUTE_PGM_RSRC2:USER_SGPR: 2
; COMPUTE_PGM_RSRC2:TRAP_HANDLER: 0
; COMPUTE_PGM_RSRC2:TGID_X_EN: 1
; COMPUTE_PGM_RSRC2:TGID_Y_EN: 0
; COMPUTE_PGM_RSRC2:TGID_Z_EN: 0
; COMPUTE_PGM_RSRC2:TIDIG_COMP_CNT: 0
	.section	.text._ZN2at6native25_assert_async_cuda_kernelIsEEvPKT_NS0_3MsgE,"axG",@progbits,_ZN2at6native25_assert_async_cuda_kernelIsEEvPKT_NS0_3MsgE,comdat
	.protected	_ZN2at6native25_assert_async_cuda_kernelIsEEvPKT_NS0_3MsgE ; -- Begin function _ZN2at6native25_assert_async_cuda_kernelIsEEvPKT_NS0_3MsgE
	.globl	_ZN2at6native25_assert_async_cuda_kernelIsEEvPKT_NS0_3MsgE
	.p2align	8
	.type	_ZN2at6native25_assert_async_cuda_kernelIsEEvPKT_NS0_3MsgE,@function
_ZN2at6native25_assert_async_cuda_kernelIsEEvPKT_NS0_3MsgE: ; @_ZN2at6native25_assert_async_cuda_kernelIsEEvPKT_NS0_3MsgE
; %bb.0:
	s_load_b64 s[0:1], s[0:1], 0x0
	s_wait_kmcnt 0x0
	s_load_u16 s0, s[0:1], 0x0
	s_wait_kmcnt 0x0
	s_cmp_lg_u32 s0, 0
	s_cbranch_scc0 .LBB244_2
; %bb.1:
	s_endpgm
.LBB244_2:
	s_trap 2
	.section	.rodata,"a",@progbits
	.p2align	6, 0x0
	.amdhsa_kernel _ZN2at6native25_assert_async_cuda_kernelIsEEvPKT_NS0_3MsgE
		.amdhsa_group_segment_fixed_size 0
		.amdhsa_private_segment_fixed_size 0
		.amdhsa_kernarg_size 264
		.amdhsa_user_sgpr_count 2
		.amdhsa_user_sgpr_dispatch_ptr 0
		.amdhsa_user_sgpr_queue_ptr 0
		.amdhsa_user_sgpr_kernarg_segment_ptr 1
		.amdhsa_user_sgpr_dispatch_id 0
		.amdhsa_user_sgpr_kernarg_preload_length 0
		.amdhsa_user_sgpr_kernarg_preload_offset 0
		.amdhsa_user_sgpr_private_segment_size 0
		.amdhsa_wavefront_size32 1
		.amdhsa_uses_dynamic_stack 0
		.amdhsa_enable_private_segment 0
		.amdhsa_system_sgpr_workgroup_id_x 1
		.amdhsa_system_sgpr_workgroup_id_y 0
		.amdhsa_system_sgpr_workgroup_id_z 0
		.amdhsa_system_sgpr_workgroup_info 0
		.amdhsa_system_vgpr_workitem_id 0
		.amdhsa_next_free_vgpr 1
		.amdhsa_next_free_sgpr 2
		.amdhsa_named_barrier_count 0
		.amdhsa_reserve_vcc 0
		.amdhsa_float_round_mode_32 0
		.amdhsa_float_round_mode_16_64 0
		.amdhsa_float_denorm_mode_32 3
		.amdhsa_float_denorm_mode_16_64 3
		.amdhsa_fp16_overflow 0
		.amdhsa_memory_ordered 1
		.amdhsa_forward_progress 1
		.amdhsa_inst_pref_size 1
		.amdhsa_round_robin_scheduling 0
		.amdhsa_exception_fp_ieee_invalid_op 0
		.amdhsa_exception_fp_denorm_src 0
		.amdhsa_exception_fp_ieee_div_zero 0
		.amdhsa_exception_fp_ieee_overflow 0
		.amdhsa_exception_fp_ieee_underflow 0
		.amdhsa_exception_fp_ieee_inexact 0
		.amdhsa_exception_int_div_zero 0
	.end_amdhsa_kernel
	.section	.text._ZN2at6native25_assert_async_cuda_kernelIsEEvPKT_NS0_3MsgE,"axG",@progbits,_ZN2at6native25_assert_async_cuda_kernelIsEEvPKT_NS0_3MsgE,comdat
.Lfunc_end244:
	.size	_ZN2at6native25_assert_async_cuda_kernelIsEEvPKT_NS0_3MsgE, .Lfunc_end244-_ZN2at6native25_assert_async_cuda_kernelIsEEvPKT_NS0_3MsgE
                                        ; -- End function
	.set _ZN2at6native25_assert_async_cuda_kernelIsEEvPKT_NS0_3MsgE.num_vgpr, 0
	.set _ZN2at6native25_assert_async_cuda_kernelIsEEvPKT_NS0_3MsgE.num_agpr, 0
	.set _ZN2at6native25_assert_async_cuda_kernelIsEEvPKT_NS0_3MsgE.numbered_sgpr, 2
	.set _ZN2at6native25_assert_async_cuda_kernelIsEEvPKT_NS0_3MsgE.num_named_barrier, 0
	.set _ZN2at6native25_assert_async_cuda_kernelIsEEvPKT_NS0_3MsgE.private_seg_size, 0
	.set _ZN2at6native25_assert_async_cuda_kernelIsEEvPKT_NS0_3MsgE.uses_vcc, 0
	.set _ZN2at6native25_assert_async_cuda_kernelIsEEvPKT_NS0_3MsgE.uses_flat_scratch, 0
	.set _ZN2at6native25_assert_async_cuda_kernelIsEEvPKT_NS0_3MsgE.has_dyn_sized_stack, 0
	.set _ZN2at6native25_assert_async_cuda_kernelIsEEvPKT_NS0_3MsgE.has_recursion, 0
	.set _ZN2at6native25_assert_async_cuda_kernelIsEEvPKT_NS0_3MsgE.has_indirect_call, 0
	.section	.AMDGPU.csdata,"",@progbits
; Kernel info:
; codeLenInByte = 40
; TotalNumSgprs: 2
; NumVgprs: 0
; ScratchSize: 0
; MemoryBound: 0
; FloatMode: 240
; IeeeMode: 1
; LDSByteSize: 0 bytes/workgroup (compile time only)
; SGPRBlocks: 0
; VGPRBlocks: 0
; NumSGPRsForWavesPerEU: 2
; NumVGPRsForWavesPerEU: 1
; NamedBarCnt: 0
; Occupancy: 16
; WaveLimiterHint : 0
; COMPUTE_PGM_RSRC2:SCRATCH_EN: 0
; COMPUTE_PGM_RSRC2:USER_SGPR: 2
; COMPUTE_PGM_RSRC2:TRAP_HANDLER: 0
; COMPUTE_PGM_RSRC2:TGID_X_EN: 1
; COMPUTE_PGM_RSRC2:TGID_Y_EN: 0
; COMPUTE_PGM_RSRC2:TGID_Z_EN: 0
; COMPUTE_PGM_RSRC2:TIDIG_COMP_CNT: 0
	.section	.text._ZN2at6native25_assert_async_cuda_kernelIdEEvPKT_NS0_3MsgE,"axG",@progbits,_ZN2at6native25_assert_async_cuda_kernelIdEEvPKT_NS0_3MsgE,comdat
	.protected	_ZN2at6native25_assert_async_cuda_kernelIdEEvPKT_NS0_3MsgE ; -- Begin function _ZN2at6native25_assert_async_cuda_kernelIdEEvPKT_NS0_3MsgE
	.globl	_ZN2at6native25_assert_async_cuda_kernelIdEEvPKT_NS0_3MsgE
	.p2align	8
	.type	_ZN2at6native25_assert_async_cuda_kernelIdEEvPKT_NS0_3MsgE,@function
_ZN2at6native25_assert_async_cuda_kernelIdEEvPKT_NS0_3MsgE: ; @_ZN2at6native25_assert_async_cuda_kernelIdEEvPKT_NS0_3MsgE
; %bb.0:
	s_load_b64 s[0:1], s[0:1], 0x0
	s_wait_kmcnt 0x0
	s_load_b64 s[0:1], s[0:1], 0x0
	s_wait_kmcnt 0x0
	v_cmp_neq_f64_e64 s0, s[0:1], 0
	s_and_b32 vcc_lo, exec_lo, s0
	s_cbranch_vccz .LBB245_2
; %bb.1:
	s_endpgm
.LBB245_2:
	s_trap 2
	.section	.rodata,"a",@progbits
	.p2align	6, 0x0
	.amdhsa_kernel _ZN2at6native25_assert_async_cuda_kernelIdEEvPKT_NS0_3MsgE
		.amdhsa_group_segment_fixed_size 0
		.amdhsa_private_segment_fixed_size 0
		.amdhsa_kernarg_size 264
		.amdhsa_user_sgpr_count 2
		.amdhsa_user_sgpr_dispatch_ptr 0
		.amdhsa_user_sgpr_queue_ptr 0
		.amdhsa_user_sgpr_kernarg_segment_ptr 1
		.amdhsa_user_sgpr_dispatch_id 0
		.amdhsa_user_sgpr_kernarg_preload_length 0
		.amdhsa_user_sgpr_kernarg_preload_offset 0
		.amdhsa_user_sgpr_private_segment_size 0
		.amdhsa_wavefront_size32 1
		.amdhsa_uses_dynamic_stack 0
		.amdhsa_enable_private_segment 0
		.amdhsa_system_sgpr_workgroup_id_x 1
		.amdhsa_system_sgpr_workgroup_id_y 0
		.amdhsa_system_sgpr_workgroup_id_z 0
		.amdhsa_system_sgpr_workgroup_info 0
		.amdhsa_system_vgpr_workitem_id 0
		.amdhsa_next_free_vgpr 1
		.amdhsa_next_free_sgpr 2
		.amdhsa_named_barrier_count 0
		.amdhsa_reserve_vcc 1
		.amdhsa_float_round_mode_32 0
		.amdhsa_float_round_mode_16_64 0
		.amdhsa_float_denorm_mode_32 3
		.amdhsa_float_denorm_mode_16_64 3
		.amdhsa_fp16_overflow 0
		.amdhsa_memory_ordered 1
		.amdhsa_forward_progress 1
		.amdhsa_inst_pref_size 1
		.amdhsa_round_robin_scheduling 0
		.amdhsa_exception_fp_ieee_invalid_op 0
		.amdhsa_exception_fp_denorm_src 0
		.amdhsa_exception_fp_ieee_div_zero 0
		.amdhsa_exception_fp_ieee_overflow 0
		.amdhsa_exception_fp_ieee_underflow 0
		.amdhsa_exception_fp_ieee_inexact 0
		.amdhsa_exception_int_div_zero 0
	.end_amdhsa_kernel
	.section	.text._ZN2at6native25_assert_async_cuda_kernelIdEEvPKT_NS0_3MsgE,"axG",@progbits,_ZN2at6native25_assert_async_cuda_kernelIdEEvPKT_NS0_3MsgE,comdat
.Lfunc_end245:
	.size	_ZN2at6native25_assert_async_cuda_kernelIdEEvPKT_NS0_3MsgE, .Lfunc_end245-_ZN2at6native25_assert_async_cuda_kernelIdEEvPKT_NS0_3MsgE
                                        ; -- End function
	.set _ZN2at6native25_assert_async_cuda_kernelIdEEvPKT_NS0_3MsgE.num_vgpr, 0
	.set _ZN2at6native25_assert_async_cuda_kernelIdEEvPKT_NS0_3MsgE.num_agpr, 0
	.set _ZN2at6native25_assert_async_cuda_kernelIdEEvPKT_NS0_3MsgE.numbered_sgpr, 2
	.set _ZN2at6native25_assert_async_cuda_kernelIdEEvPKT_NS0_3MsgE.num_named_barrier, 0
	.set _ZN2at6native25_assert_async_cuda_kernelIdEEvPKT_NS0_3MsgE.private_seg_size, 0
	.set _ZN2at6native25_assert_async_cuda_kernelIdEEvPKT_NS0_3MsgE.uses_vcc, 1
	.set _ZN2at6native25_assert_async_cuda_kernelIdEEvPKT_NS0_3MsgE.uses_flat_scratch, 0
	.set _ZN2at6native25_assert_async_cuda_kernelIdEEvPKT_NS0_3MsgE.has_dyn_sized_stack, 0
	.set _ZN2at6native25_assert_async_cuda_kernelIdEEvPKT_NS0_3MsgE.has_recursion, 0
	.set _ZN2at6native25_assert_async_cuda_kernelIdEEvPKT_NS0_3MsgE.has_indirect_call, 0
	.section	.AMDGPU.csdata,"",@progbits
; Kernel info:
; codeLenInByte = 48
; TotalNumSgprs: 4
; NumVgprs: 0
; ScratchSize: 0
; MemoryBound: 0
; FloatMode: 240
; IeeeMode: 1
; LDSByteSize: 0 bytes/workgroup (compile time only)
; SGPRBlocks: 0
; VGPRBlocks: 0
; NumSGPRsForWavesPerEU: 4
; NumVGPRsForWavesPerEU: 1
; NamedBarCnt: 0
; Occupancy: 16
; WaveLimiterHint : 0
; COMPUTE_PGM_RSRC2:SCRATCH_EN: 0
; COMPUTE_PGM_RSRC2:USER_SGPR: 2
; COMPUTE_PGM_RSRC2:TRAP_HANDLER: 0
; COMPUTE_PGM_RSRC2:TGID_X_EN: 1
; COMPUTE_PGM_RSRC2:TGID_Y_EN: 0
; COMPUTE_PGM_RSRC2:TGID_Z_EN: 0
; COMPUTE_PGM_RSRC2:TIDIG_COMP_CNT: 0
	.section	.text._ZN2at6native25_assert_async_cuda_kernelIfEEvPKT_NS0_3MsgE,"axG",@progbits,_ZN2at6native25_assert_async_cuda_kernelIfEEvPKT_NS0_3MsgE,comdat
	.protected	_ZN2at6native25_assert_async_cuda_kernelIfEEvPKT_NS0_3MsgE ; -- Begin function _ZN2at6native25_assert_async_cuda_kernelIfEEvPKT_NS0_3MsgE
	.globl	_ZN2at6native25_assert_async_cuda_kernelIfEEvPKT_NS0_3MsgE
	.p2align	8
	.type	_ZN2at6native25_assert_async_cuda_kernelIfEEvPKT_NS0_3MsgE,@function
_ZN2at6native25_assert_async_cuda_kernelIfEEvPKT_NS0_3MsgE: ; @_ZN2at6native25_assert_async_cuda_kernelIfEEvPKT_NS0_3MsgE
; %bb.0:
	s_load_b64 s[0:1], s[0:1], 0x0
	s_wait_kmcnt 0x0
	s_load_b32 s0, s[0:1], 0x0
	s_wait_kmcnt 0x0
	s_cmp_neq_f32 s0, 0
	s_cbranch_scc0 .LBB246_2
; %bb.1:
	s_endpgm
.LBB246_2:
	s_trap 2
	.section	.rodata,"a",@progbits
	.p2align	6, 0x0
	.amdhsa_kernel _ZN2at6native25_assert_async_cuda_kernelIfEEvPKT_NS0_3MsgE
		.amdhsa_group_segment_fixed_size 0
		.amdhsa_private_segment_fixed_size 0
		.amdhsa_kernarg_size 264
		.amdhsa_user_sgpr_count 2
		.amdhsa_user_sgpr_dispatch_ptr 0
		.amdhsa_user_sgpr_queue_ptr 0
		.amdhsa_user_sgpr_kernarg_segment_ptr 1
		.amdhsa_user_sgpr_dispatch_id 0
		.amdhsa_user_sgpr_kernarg_preload_length 0
		.amdhsa_user_sgpr_kernarg_preload_offset 0
		.amdhsa_user_sgpr_private_segment_size 0
		.amdhsa_wavefront_size32 1
		.amdhsa_uses_dynamic_stack 0
		.amdhsa_enable_private_segment 0
		.amdhsa_system_sgpr_workgroup_id_x 1
		.amdhsa_system_sgpr_workgroup_id_y 0
		.amdhsa_system_sgpr_workgroup_id_z 0
		.amdhsa_system_sgpr_workgroup_info 0
		.amdhsa_system_vgpr_workitem_id 0
		.amdhsa_next_free_vgpr 1
		.amdhsa_next_free_sgpr 2
		.amdhsa_named_barrier_count 0
		.amdhsa_reserve_vcc 0
		.amdhsa_float_round_mode_32 0
		.amdhsa_float_round_mode_16_64 0
		.amdhsa_float_denorm_mode_32 3
		.amdhsa_float_denorm_mode_16_64 3
		.amdhsa_fp16_overflow 0
		.amdhsa_memory_ordered 1
		.amdhsa_forward_progress 1
		.amdhsa_inst_pref_size 1
		.amdhsa_round_robin_scheduling 0
		.amdhsa_exception_fp_ieee_invalid_op 0
		.amdhsa_exception_fp_denorm_src 0
		.amdhsa_exception_fp_ieee_div_zero 0
		.amdhsa_exception_fp_ieee_overflow 0
		.amdhsa_exception_fp_ieee_underflow 0
		.amdhsa_exception_fp_ieee_inexact 0
		.amdhsa_exception_int_div_zero 0
	.end_amdhsa_kernel
	.section	.text._ZN2at6native25_assert_async_cuda_kernelIfEEvPKT_NS0_3MsgE,"axG",@progbits,_ZN2at6native25_assert_async_cuda_kernelIfEEvPKT_NS0_3MsgE,comdat
.Lfunc_end246:
	.size	_ZN2at6native25_assert_async_cuda_kernelIfEEvPKT_NS0_3MsgE, .Lfunc_end246-_ZN2at6native25_assert_async_cuda_kernelIfEEvPKT_NS0_3MsgE
                                        ; -- End function
	.set _ZN2at6native25_assert_async_cuda_kernelIfEEvPKT_NS0_3MsgE.num_vgpr, 0
	.set _ZN2at6native25_assert_async_cuda_kernelIfEEvPKT_NS0_3MsgE.num_agpr, 0
	.set _ZN2at6native25_assert_async_cuda_kernelIfEEvPKT_NS0_3MsgE.numbered_sgpr, 2
	.set _ZN2at6native25_assert_async_cuda_kernelIfEEvPKT_NS0_3MsgE.num_named_barrier, 0
	.set _ZN2at6native25_assert_async_cuda_kernelIfEEvPKT_NS0_3MsgE.private_seg_size, 0
	.set _ZN2at6native25_assert_async_cuda_kernelIfEEvPKT_NS0_3MsgE.uses_vcc, 0
	.set _ZN2at6native25_assert_async_cuda_kernelIfEEvPKT_NS0_3MsgE.uses_flat_scratch, 0
	.set _ZN2at6native25_assert_async_cuda_kernelIfEEvPKT_NS0_3MsgE.has_dyn_sized_stack, 0
	.set _ZN2at6native25_assert_async_cuda_kernelIfEEvPKT_NS0_3MsgE.has_recursion, 0
	.set _ZN2at6native25_assert_async_cuda_kernelIfEEvPKT_NS0_3MsgE.has_indirect_call, 0
	.section	.AMDGPU.csdata,"",@progbits
; Kernel info:
; codeLenInByte = 40
; TotalNumSgprs: 2
; NumVgprs: 0
; ScratchSize: 0
; MemoryBound: 0
; FloatMode: 240
; IeeeMode: 1
; LDSByteSize: 0 bytes/workgroup (compile time only)
; SGPRBlocks: 0
; VGPRBlocks: 0
; NumSGPRsForWavesPerEU: 2
; NumVGPRsForWavesPerEU: 1
; NamedBarCnt: 0
; Occupancy: 16
; WaveLimiterHint : 0
; COMPUTE_PGM_RSRC2:SCRATCH_EN: 0
; COMPUTE_PGM_RSRC2:USER_SGPR: 2
; COMPUTE_PGM_RSRC2:TRAP_HANDLER: 0
; COMPUTE_PGM_RSRC2:TGID_X_EN: 1
; COMPUTE_PGM_RSRC2:TGID_Y_EN: 0
; COMPUTE_PGM_RSRC2:TGID_Z_EN: 0
; COMPUTE_PGM_RSRC2:TIDIG_COMP_CNT: 0
	.section	.text._ZN2at6native25_assert_async_cuda_kernelIN3c104HalfEEEvPKT_NS0_3MsgE,"axG",@progbits,_ZN2at6native25_assert_async_cuda_kernelIN3c104HalfEEEvPKT_NS0_3MsgE,comdat
	.protected	_ZN2at6native25_assert_async_cuda_kernelIN3c104HalfEEEvPKT_NS0_3MsgE ; -- Begin function _ZN2at6native25_assert_async_cuda_kernelIN3c104HalfEEEvPKT_NS0_3MsgE
	.globl	_ZN2at6native25_assert_async_cuda_kernelIN3c104HalfEEEvPKT_NS0_3MsgE
	.p2align	8
	.type	_ZN2at6native25_assert_async_cuda_kernelIN3c104HalfEEEvPKT_NS0_3MsgE,@function
_ZN2at6native25_assert_async_cuda_kernelIN3c104HalfEEEvPKT_NS0_3MsgE: ; @_ZN2at6native25_assert_async_cuda_kernelIN3c104HalfEEEvPKT_NS0_3MsgE
; %bb.0:
	s_load_b64 s[0:1], s[0:1], 0x0
	v_mov_b32_e32 v0, 0
	s_wait_kmcnt 0x0
	global_load_u16 v0, v0, s[0:1]
	s_wait_loadcnt 0x0
	v_cmp_neq_f16_e32 vcc_lo, 0, v0
	s_cbranch_vccz .LBB247_2
; %bb.1:
	s_endpgm
.LBB247_2:
	s_trap 2
	.section	.rodata,"a",@progbits
	.p2align	6, 0x0
	.amdhsa_kernel _ZN2at6native25_assert_async_cuda_kernelIN3c104HalfEEEvPKT_NS0_3MsgE
		.amdhsa_group_segment_fixed_size 0
		.amdhsa_private_segment_fixed_size 0
		.amdhsa_kernarg_size 264
		.amdhsa_user_sgpr_count 2
		.amdhsa_user_sgpr_dispatch_ptr 0
		.amdhsa_user_sgpr_queue_ptr 0
		.amdhsa_user_sgpr_kernarg_segment_ptr 1
		.amdhsa_user_sgpr_dispatch_id 0
		.amdhsa_user_sgpr_kernarg_preload_length 0
		.amdhsa_user_sgpr_kernarg_preload_offset 0
		.amdhsa_user_sgpr_private_segment_size 0
		.amdhsa_wavefront_size32 1
		.amdhsa_uses_dynamic_stack 0
		.amdhsa_enable_private_segment 0
		.amdhsa_system_sgpr_workgroup_id_x 1
		.amdhsa_system_sgpr_workgroup_id_y 0
		.amdhsa_system_sgpr_workgroup_id_z 0
		.amdhsa_system_sgpr_workgroup_info 0
		.amdhsa_system_vgpr_workitem_id 0
		.amdhsa_next_free_vgpr 1
		.amdhsa_next_free_sgpr 2
		.amdhsa_named_barrier_count 0
		.amdhsa_reserve_vcc 1
		.amdhsa_float_round_mode_32 0
		.amdhsa_float_round_mode_16_64 0
		.amdhsa_float_denorm_mode_32 3
		.amdhsa_float_denorm_mode_16_64 3
		.amdhsa_fp16_overflow 0
		.amdhsa_memory_ordered 1
		.amdhsa_forward_progress 1
		.amdhsa_inst_pref_size 1
		.amdhsa_round_robin_scheduling 0
		.amdhsa_exception_fp_ieee_invalid_op 0
		.amdhsa_exception_fp_denorm_src 0
		.amdhsa_exception_fp_ieee_div_zero 0
		.amdhsa_exception_fp_ieee_overflow 0
		.amdhsa_exception_fp_ieee_underflow 0
		.amdhsa_exception_fp_ieee_inexact 0
		.amdhsa_exception_int_div_zero 0
	.end_amdhsa_kernel
	.section	.text._ZN2at6native25_assert_async_cuda_kernelIN3c104HalfEEEvPKT_NS0_3MsgE,"axG",@progbits,_ZN2at6native25_assert_async_cuda_kernelIN3c104HalfEEEvPKT_NS0_3MsgE,comdat
.Lfunc_end247:
	.size	_ZN2at6native25_assert_async_cuda_kernelIN3c104HalfEEEvPKT_NS0_3MsgE, .Lfunc_end247-_ZN2at6native25_assert_async_cuda_kernelIN3c104HalfEEEvPKT_NS0_3MsgE
                                        ; -- End function
	.set _ZN2at6native25_assert_async_cuda_kernelIN3c104HalfEEEvPKT_NS0_3MsgE.num_vgpr, 1
	.set _ZN2at6native25_assert_async_cuda_kernelIN3c104HalfEEEvPKT_NS0_3MsgE.num_agpr, 0
	.set _ZN2at6native25_assert_async_cuda_kernelIN3c104HalfEEEvPKT_NS0_3MsgE.numbered_sgpr, 2
	.set _ZN2at6native25_assert_async_cuda_kernelIN3c104HalfEEEvPKT_NS0_3MsgE.num_named_barrier, 0
	.set _ZN2at6native25_assert_async_cuda_kernelIN3c104HalfEEEvPKT_NS0_3MsgE.private_seg_size, 0
	.set _ZN2at6native25_assert_async_cuda_kernelIN3c104HalfEEEvPKT_NS0_3MsgE.uses_vcc, 1
	.set _ZN2at6native25_assert_async_cuda_kernelIN3c104HalfEEEvPKT_NS0_3MsgE.uses_flat_scratch, 0
	.set _ZN2at6native25_assert_async_cuda_kernelIN3c104HalfEEEvPKT_NS0_3MsgE.has_dyn_sized_stack, 0
	.set _ZN2at6native25_assert_async_cuda_kernelIN3c104HalfEEEvPKT_NS0_3MsgE.has_recursion, 0
	.set _ZN2at6native25_assert_async_cuda_kernelIN3c104HalfEEEvPKT_NS0_3MsgE.has_indirect_call, 0
	.section	.AMDGPU.csdata,"",@progbits
; Kernel info:
; codeLenInByte = 48
; TotalNumSgprs: 4
; NumVgprs: 1
; ScratchSize: 0
; MemoryBound: 0
; FloatMode: 240
; IeeeMode: 1
; LDSByteSize: 0 bytes/workgroup (compile time only)
; SGPRBlocks: 0
; VGPRBlocks: 0
; NumSGPRsForWavesPerEU: 4
; NumVGPRsForWavesPerEU: 1
; NamedBarCnt: 0
; Occupancy: 16
; WaveLimiterHint : 0
; COMPUTE_PGM_RSRC2:SCRATCH_EN: 0
; COMPUTE_PGM_RSRC2:USER_SGPR: 2
; COMPUTE_PGM_RSRC2:TRAP_HANDLER: 0
; COMPUTE_PGM_RSRC2:TGID_X_EN: 1
; COMPUTE_PGM_RSRC2:TGID_Y_EN: 0
; COMPUTE_PGM_RSRC2:TGID_Z_EN: 0
; COMPUTE_PGM_RSRC2:TIDIG_COMP_CNT: 0
	.section	.text._ZN2at6native25_assert_async_cuda_kernelIbEEvPKT_NS0_3MsgE,"axG",@progbits,_ZN2at6native25_assert_async_cuda_kernelIbEEvPKT_NS0_3MsgE,comdat
	.protected	_ZN2at6native25_assert_async_cuda_kernelIbEEvPKT_NS0_3MsgE ; -- Begin function _ZN2at6native25_assert_async_cuda_kernelIbEEvPKT_NS0_3MsgE
	.globl	_ZN2at6native25_assert_async_cuda_kernelIbEEvPKT_NS0_3MsgE
	.p2align	8
	.type	_ZN2at6native25_assert_async_cuda_kernelIbEEvPKT_NS0_3MsgE,@function
_ZN2at6native25_assert_async_cuda_kernelIbEEvPKT_NS0_3MsgE: ; @_ZN2at6native25_assert_async_cuda_kernelIbEEvPKT_NS0_3MsgE
; %bb.0:
	s_load_b64 s[0:1], s[0:1], 0x0
	v_mov_b32_e32 v0, 0
	s_wait_kmcnt 0x0
	global_load_u8 v0, v0, s[0:1]
	s_wait_loadcnt 0x0
	v_and_b32_e32 v0, 1, v0
	s_delay_alu instid0(VALU_DEP_1)
	v_cmp_eq_u32_e32 vcc_lo, 1, v0
	s_cbranch_vccz .LBB248_2
; %bb.1:
	s_endpgm
.LBB248_2:
	s_trap 2
	.section	.rodata,"a",@progbits
	.p2align	6, 0x0
	.amdhsa_kernel _ZN2at6native25_assert_async_cuda_kernelIbEEvPKT_NS0_3MsgE
		.amdhsa_group_segment_fixed_size 0
		.amdhsa_private_segment_fixed_size 0
		.amdhsa_kernarg_size 264
		.amdhsa_user_sgpr_count 2
		.amdhsa_user_sgpr_dispatch_ptr 0
		.amdhsa_user_sgpr_queue_ptr 0
		.amdhsa_user_sgpr_kernarg_segment_ptr 1
		.amdhsa_user_sgpr_dispatch_id 0
		.amdhsa_user_sgpr_kernarg_preload_length 0
		.amdhsa_user_sgpr_kernarg_preload_offset 0
		.amdhsa_user_sgpr_private_segment_size 0
		.amdhsa_wavefront_size32 1
		.amdhsa_uses_dynamic_stack 0
		.amdhsa_enable_private_segment 0
		.amdhsa_system_sgpr_workgroup_id_x 1
		.amdhsa_system_sgpr_workgroup_id_y 0
		.amdhsa_system_sgpr_workgroup_id_z 0
		.amdhsa_system_sgpr_workgroup_info 0
		.amdhsa_system_vgpr_workitem_id 0
		.amdhsa_next_free_vgpr 1
		.amdhsa_next_free_sgpr 2
		.amdhsa_named_barrier_count 0
		.amdhsa_reserve_vcc 1
		.amdhsa_float_round_mode_32 0
		.amdhsa_float_round_mode_16_64 0
		.amdhsa_float_denorm_mode_32 3
		.amdhsa_float_denorm_mode_16_64 3
		.amdhsa_fp16_overflow 0
		.amdhsa_memory_ordered 1
		.amdhsa_forward_progress 1
		.amdhsa_inst_pref_size 1
		.amdhsa_round_robin_scheduling 0
		.amdhsa_exception_fp_ieee_invalid_op 0
		.amdhsa_exception_fp_denorm_src 0
		.amdhsa_exception_fp_ieee_div_zero 0
		.amdhsa_exception_fp_ieee_overflow 0
		.amdhsa_exception_fp_ieee_underflow 0
		.amdhsa_exception_fp_ieee_inexact 0
		.amdhsa_exception_int_div_zero 0
	.end_amdhsa_kernel
	.section	.text._ZN2at6native25_assert_async_cuda_kernelIbEEvPKT_NS0_3MsgE,"axG",@progbits,_ZN2at6native25_assert_async_cuda_kernelIbEEvPKT_NS0_3MsgE,comdat
.Lfunc_end248:
	.size	_ZN2at6native25_assert_async_cuda_kernelIbEEvPKT_NS0_3MsgE, .Lfunc_end248-_ZN2at6native25_assert_async_cuda_kernelIbEEvPKT_NS0_3MsgE
                                        ; -- End function
	.set _ZN2at6native25_assert_async_cuda_kernelIbEEvPKT_NS0_3MsgE.num_vgpr, 1
	.set _ZN2at6native25_assert_async_cuda_kernelIbEEvPKT_NS0_3MsgE.num_agpr, 0
	.set _ZN2at6native25_assert_async_cuda_kernelIbEEvPKT_NS0_3MsgE.numbered_sgpr, 2
	.set _ZN2at6native25_assert_async_cuda_kernelIbEEvPKT_NS0_3MsgE.num_named_barrier, 0
	.set _ZN2at6native25_assert_async_cuda_kernelIbEEvPKT_NS0_3MsgE.private_seg_size, 0
	.set _ZN2at6native25_assert_async_cuda_kernelIbEEvPKT_NS0_3MsgE.uses_vcc, 1
	.set _ZN2at6native25_assert_async_cuda_kernelIbEEvPKT_NS0_3MsgE.uses_flat_scratch, 0
	.set _ZN2at6native25_assert_async_cuda_kernelIbEEvPKT_NS0_3MsgE.has_dyn_sized_stack, 0
	.set _ZN2at6native25_assert_async_cuda_kernelIbEEvPKT_NS0_3MsgE.has_recursion, 0
	.set _ZN2at6native25_assert_async_cuda_kernelIbEEvPKT_NS0_3MsgE.has_indirect_call, 0
	.section	.AMDGPU.csdata,"",@progbits
; Kernel info:
; codeLenInByte = 56
; TotalNumSgprs: 4
; NumVgprs: 1
; ScratchSize: 0
; MemoryBound: 0
; FloatMode: 240
; IeeeMode: 1
; LDSByteSize: 0 bytes/workgroup (compile time only)
; SGPRBlocks: 0
; VGPRBlocks: 0
; NumSGPRsForWavesPerEU: 4
; NumVGPRsForWavesPerEU: 1
; NamedBarCnt: 0
; Occupancy: 16
; WaveLimiterHint : 0
; COMPUTE_PGM_RSRC2:SCRATCH_EN: 0
; COMPUTE_PGM_RSRC2:USER_SGPR: 2
; COMPUTE_PGM_RSRC2:TRAP_HANDLER: 0
; COMPUTE_PGM_RSRC2:TGID_X_EN: 1
; COMPUTE_PGM_RSRC2:TGID_Y_EN: 0
; COMPUTE_PGM_RSRC2:TGID_Z_EN: 0
; COMPUTE_PGM_RSRC2:TIDIG_COMP_CNT: 0
	.section	.text._ZN2at6native25_assert_async_cuda_kernelIN3c108BFloat16EEEvPKT_NS0_3MsgE,"axG",@progbits,_ZN2at6native25_assert_async_cuda_kernelIN3c108BFloat16EEEvPKT_NS0_3MsgE,comdat
	.protected	_ZN2at6native25_assert_async_cuda_kernelIN3c108BFloat16EEEvPKT_NS0_3MsgE ; -- Begin function _ZN2at6native25_assert_async_cuda_kernelIN3c108BFloat16EEEvPKT_NS0_3MsgE
	.globl	_ZN2at6native25_assert_async_cuda_kernelIN3c108BFloat16EEEvPKT_NS0_3MsgE
	.p2align	8
	.type	_ZN2at6native25_assert_async_cuda_kernelIN3c108BFloat16EEEvPKT_NS0_3MsgE,@function
_ZN2at6native25_assert_async_cuda_kernelIN3c108BFloat16EEEvPKT_NS0_3MsgE: ; @_ZN2at6native25_assert_async_cuda_kernelIN3c108BFloat16EEEvPKT_NS0_3MsgE
; %bb.0:
	s_load_b64 s[0:1], s[0:1], 0x0
	s_wait_kmcnt 0x0
	s_load_u16 s0, s[0:1], 0x0
	s_wait_kmcnt 0x0
	s_and_b32 s0, s0, 0x7fff
	s_delay_alu instid0(SALU_CYCLE_1)
	s_cmp_lg_u32 s0, 0
	s_cbranch_scc0 .LBB249_2
; %bb.1:
	s_endpgm
.LBB249_2:
	s_trap 2
	.section	.rodata,"a",@progbits
	.p2align	6, 0x0
	.amdhsa_kernel _ZN2at6native25_assert_async_cuda_kernelIN3c108BFloat16EEEvPKT_NS0_3MsgE
		.amdhsa_group_segment_fixed_size 0
		.amdhsa_private_segment_fixed_size 0
		.amdhsa_kernarg_size 264
		.amdhsa_user_sgpr_count 2
		.amdhsa_user_sgpr_dispatch_ptr 0
		.amdhsa_user_sgpr_queue_ptr 0
		.amdhsa_user_sgpr_kernarg_segment_ptr 1
		.amdhsa_user_sgpr_dispatch_id 0
		.amdhsa_user_sgpr_kernarg_preload_length 0
		.amdhsa_user_sgpr_kernarg_preload_offset 0
		.amdhsa_user_sgpr_private_segment_size 0
		.amdhsa_wavefront_size32 1
		.amdhsa_uses_dynamic_stack 0
		.amdhsa_enable_private_segment 0
		.amdhsa_system_sgpr_workgroup_id_x 1
		.amdhsa_system_sgpr_workgroup_id_y 0
		.amdhsa_system_sgpr_workgroup_id_z 0
		.amdhsa_system_sgpr_workgroup_info 0
		.amdhsa_system_vgpr_workitem_id 0
		.amdhsa_next_free_vgpr 1
		.amdhsa_next_free_sgpr 2
		.amdhsa_named_barrier_count 0
		.amdhsa_reserve_vcc 0
		.amdhsa_float_round_mode_32 0
		.amdhsa_float_round_mode_16_64 0
		.amdhsa_float_denorm_mode_32 3
		.amdhsa_float_denorm_mode_16_64 3
		.amdhsa_fp16_overflow 0
		.amdhsa_memory_ordered 1
		.amdhsa_forward_progress 1
		.amdhsa_inst_pref_size 1
		.amdhsa_round_robin_scheduling 0
		.amdhsa_exception_fp_ieee_invalid_op 0
		.amdhsa_exception_fp_denorm_src 0
		.amdhsa_exception_fp_ieee_div_zero 0
		.amdhsa_exception_fp_ieee_overflow 0
		.amdhsa_exception_fp_ieee_underflow 0
		.amdhsa_exception_fp_ieee_inexact 0
		.amdhsa_exception_int_div_zero 0
	.end_amdhsa_kernel
	.section	.text._ZN2at6native25_assert_async_cuda_kernelIN3c108BFloat16EEEvPKT_NS0_3MsgE,"axG",@progbits,_ZN2at6native25_assert_async_cuda_kernelIN3c108BFloat16EEEvPKT_NS0_3MsgE,comdat
.Lfunc_end249:
	.size	_ZN2at6native25_assert_async_cuda_kernelIN3c108BFloat16EEEvPKT_NS0_3MsgE, .Lfunc_end249-_ZN2at6native25_assert_async_cuda_kernelIN3c108BFloat16EEEvPKT_NS0_3MsgE
                                        ; -- End function
	.set _ZN2at6native25_assert_async_cuda_kernelIN3c108BFloat16EEEvPKT_NS0_3MsgE.num_vgpr, 0
	.set _ZN2at6native25_assert_async_cuda_kernelIN3c108BFloat16EEEvPKT_NS0_3MsgE.num_agpr, 0
	.set _ZN2at6native25_assert_async_cuda_kernelIN3c108BFloat16EEEvPKT_NS0_3MsgE.numbered_sgpr, 2
	.set _ZN2at6native25_assert_async_cuda_kernelIN3c108BFloat16EEEvPKT_NS0_3MsgE.num_named_barrier, 0
	.set _ZN2at6native25_assert_async_cuda_kernelIN3c108BFloat16EEEvPKT_NS0_3MsgE.private_seg_size, 0
	.set _ZN2at6native25_assert_async_cuda_kernelIN3c108BFloat16EEEvPKT_NS0_3MsgE.uses_vcc, 0
	.set _ZN2at6native25_assert_async_cuda_kernelIN3c108BFloat16EEEvPKT_NS0_3MsgE.uses_flat_scratch, 0
	.set _ZN2at6native25_assert_async_cuda_kernelIN3c108BFloat16EEEvPKT_NS0_3MsgE.has_dyn_sized_stack, 0
	.set _ZN2at6native25_assert_async_cuda_kernelIN3c108BFloat16EEEvPKT_NS0_3MsgE.has_recursion, 0
	.set _ZN2at6native25_assert_async_cuda_kernelIN3c108BFloat16EEEvPKT_NS0_3MsgE.has_indirect_call, 0
	.section	.AMDGPU.csdata,"",@progbits
; Kernel info:
; codeLenInByte = 52
; TotalNumSgprs: 2
; NumVgprs: 0
; ScratchSize: 0
; MemoryBound: 0
; FloatMode: 240
; IeeeMode: 1
; LDSByteSize: 0 bytes/workgroup (compile time only)
; SGPRBlocks: 0
; VGPRBlocks: 0
; NumSGPRsForWavesPerEU: 2
; NumVGPRsForWavesPerEU: 1
; NamedBarCnt: 0
; Occupancy: 16
; WaveLimiterHint : 0
; COMPUTE_PGM_RSRC2:SCRATCH_EN: 0
; COMPUTE_PGM_RSRC2:USER_SGPR: 2
; COMPUTE_PGM_RSRC2:TRAP_HANDLER: 0
; COMPUTE_PGM_RSRC2:TGID_X_EN: 1
; COMPUTE_PGM_RSRC2:TGID_Y_EN: 0
; COMPUTE_PGM_RSRC2:TGID_Z_EN: 0
; COMPUTE_PGM_RSRC2:TIDIG_COMP_CNT: 0
	.text
	.p2alignl 7, 3214868480
	.fill 96, 4, 3214868480
	.section	.AMDGPU.gpr_maximums,"",@progbits
	.set amdgpu.max_num_vgpr, 0
	.set amdgpu.max_num_agpr, 0
	.set amdgpu.max_num_sgpr, 0
	.text
	.type	__hip_cuid_df954200b38cd0d5,@object ; @__hip_cuid_df954200b38cd0d5
	.section	.bss,"aw",@nobits
	.globl	__hip_cuid_df954200b38cd0d5
__hip_cuid_df954200b38cd0d5:
	.byte	0                               ; 0x0
	.size	__hip_cuid_df954200b38cd0d5, 1

	.ident	"AMD clang version 22.0.0git (https://github.com/RadeonOpenCompute/llvm-project roc-7.2.4 26084 f58b06dce1f9c15707c5f808fd002e18c2accf7e)"
	.section	".note.GNU-stack","",@progbits
	.addrsig
	.addrsig_sym __hip_cuid_df954200b38cd0d5
	.amdgpu_metadata
---
amdhsa.kernels:
  - .args:
      - .address_space:  global
        .offset:         0
        .size:           8
        .value_kind:     global_buffer
      - .offset:         8
        .size:           256
        .value_kind:     by_value
    .group_segment_fixed_size: 0
    .kernarg_segment_align: 8
    .kernarg_segment_size: 264
    .language:       OpenCL C
    .language_version:
      - 2
      - 0
    .max_flat_workgroup_size: 1024
    .name:           _ZN2at6native25_assert_async_cuda_kernelEPKN3c107complexIfEENS0_3MsgE
    .private_segment_fixed_size: 0
    .sgpr_count:     4
    .sgpr_spill_count: 0
    .symbol:         _ZN2at6native25_assert_async_cuda_kernelEPKN3c107complexIfEENS0_3MsgE.kd
    .uniform_work_group_size: 1
    .uses_dynamic_stack: false
    .vgpr_count:     0
    .vgpr_spill_count: 0
    .wavefront_size: 32
  - .args:
      - .address_space:  global
        .offset:         0
        .size:           8
        .value_kind:     global_buffer
      - .offset:         8
        .size:           256
        .value_kind:     by_value
    .group_segment_fixed_size: 0
    .kernarg_segment_align: 8
    .kernarg_segment_size: 264
    .language:       OpenCL C
    .language_version:
      - 2
      - 0
    .max_flat_workgroup_size: 1024
    .name:           _ZN2at6native25_assert_async_cuda_kernelEPKN3c107complexIdEENS0_3MsgE
    .private_segment_fixed_size: 0
    .sgpr_count:     6
    .sgpr_spill_count: 0
    .symbol:         _ZN2at6native25_assert_async_cuda_kernelEPKN3c107complexIdEENS0_3MsgE.kd
    .uniform_work_group_size: 1
    .uses_dynamic_stack: false
    .vgpr_count:     0
    .vgpr_spill_count: 0
    .wavefront_size: 32
  - .args:
      - .offset:         0
        .size:           4
        .value_kind:     by_value
      - .offset:         4
        .size:           1
        .value_kind:     by_value
      - .offset:         8
        .size:           32
        .value_kind:     by_value
    .group_segment_fixed_size: 0
    .kernarg_segment_align: 8
    .kernarg_segment_size: 40
    .language:       OpenCL C
    .language_version:
      - 2
      - 0
    .max_flat_workgroup_size: 256
    .name:           _ZN2at6native29vectorized_elementwise_kernelILi16EZZZNS0_12_GLOBAL__N_117where_kernel_implERNS_14TensorIteratorEENKUlvE_clEvENKUlvE_clEvEUlbhhE_St5arrayIPcLm4EEEEviT0_T1_
    .private_segment_fixed_size: 0
    .sgpr_count:     39
    .sgpr_spill_count: 0
    .symbol:         _ZN2at6native29vectorized_elementwise_kernelILi16EZZZNS0_12_GLOBAL__N_117where_kernel_implERNS_14TensorIteratorEENKUlvE_clEvENKUlvE_clEvEUlbhhE_St5arrayIPcLm4EEEEviT0_T1_.kd
    .uniform_work_group_size: 1
    .uses_dynamic_stack: false
    .vgpr_count:     42
    .vgpr_spill_count: 0
    .wavefront_size: 32
  - .args:
      - .offset:         0
        .size:           4
        .value_kind:     by_value
      - .offset:         4
        .size:           1
        .value_kind:     by_value
      - .offset:         8
        .size:           32
        .value_kind:     by_value
    .group_segment_fixed_size: 0
    .kernarg_segment_align: 8
    .kernarg_segment_size: 40
    .language:       OpenCL C
    .language_version:
      - 2
      - 0
    .max_flat_workgroup_size: 256
    .name:           _ZN2at6native29vectorized_elementwise_kernelILi8EZZZNS0_12_GLOBAL__N_117where_kernel_implERNS_14TensorIteratorEENKUlvE_clEvENKUlvE_clEvEUlbhhE_St5arrayIPcLm4EEEEviT0_T1_
    .private_segment_fixed_size: 0
    .sgpr_count:     39
    .sgpr_spill_count: 0
    .symbol:         _ZN2at6native29vectorized_elementwise_kernelILi8EZZZNS0_12_GLOBAL__N_117where_kernel_implERNS_14TensorIteratorEENKUlvE_clEvENKUlvE_clEvEUlbhhE_St5arrayIPcLm4EEEEviT0_T1_.kd
    .uniform_work_group_size: 1
    .uses_dynamic_stack: false
    .vgpr_count:     42
    .vgpr_spill_count: 0
    .wavefront_size: 32
  - .args:
      - .offset:         0
        .size:           4
        .value_kind:     by_value
      - .offset:         4
        .size:           1
        .value_kind:     by_value
      - .offset:         8
        .size:           32
        .value_kind:     by_value
    .group_segment_fixed_size: 0
    .kernarg_segment_align: 8
    .kernarg_segment_size: 40
    .language:       OpenCL C
    .language_version:
      - 2
      - 0
    .max_flat_workgroup_size: 256
    .name:           _ZN2at6native29vectorized_elementwise_kernelILi4EZZZNS0_12_GLOBAL__N_117where_kernel_implERNS_14TensorIteratorEENKUlvE_clEvENKUlvE_clEvEUlbhhE_St5arrayIPcLm4EEEEviT0_T1_
    .private_segment_fixed_size: 0
    .sgpr_count:     39
    .sgpr_spill_count: 0
    .symbol:         _ZN2at6native29vectorized_elementwise_kernelILi4EZZZNS0_12_GLOBAL__N_117where_kernel_implERNS_14TensorIteratorEENKUlvE_clEvENKUlvE_clEvEUlbhhE_St5arrayIPcLm4EEEEviT0_T1_.kd
    .uniform_work_group_size: 1
    .uses_dynamic_stack: false
    .vgpr_count:     42
    .vgpr_spill_count: 0
    .wavefront_size: 32
  - .args:
      - .offset:         0
        .size:           4
        .value_kind:     by_value
      - .offset:         4
        .size:           1
        .value_kind:     by_value
      - .offset:         8
        .size:           32
        .value_kind:     by_value
    .group_segment_fixed_size: 0
    .kernarg_segment_align: 8
    .kernarg_segment_size: 40
    .language:       OpenCL C
    .language_version:
      - 2
      - 0
    .max_flat_workgroup_size: 256
    .name:           _ZN2at6native29vectorized_elementwise_kernelILi2EZZZNS0_12_GLOBAL__N_117where_kernel_implERNS_14TensorIteratorEENKUlvE_clEvENKUlvE_clEvEUlbhhE_St5arrayIPcLm4EEEEviT0_T1_
    .private_segment_fixed_size: 0
    .sgpr_count:     39
    .sgpr_spill_count: 0
    .symbol:         _ZN2at6native29vectorized_elementwise_kernelILi2EZZZNS0_12_GLOBAL__N_117where_kernel_implERNS_14TensorIteratorEENKUlvE_clEvENKUlvE_clEvEUlbhhE_St5arrayIPcLm4EEEEviT0_T1_.kd
    .uniform_work_group_size: 1
    .uses_dynamic_stack: false
    .vgpr_count:     42
    .vgpr_spill_count: 0
    .wavefront_size: 32
  - .args:
      - .offset:         0
        .size:           4
        .value_kind:     by_value
      - .offset:         4
        .size:           1
        .value_kind:     by_value
      - .offset:         8
        .size:           32
        .value_kind:     by_value
      - .offset:         40
        .size:           1
        .value_kind:     by_value
      - .offset:         41
        .size:           1
        .value_kind:     by_value
      - .offset:         42
        .size:           1
        .value_kind:     by_value
      - .offset:         43
        .size:           1
        .value_kind:     by_value
    .group_segment_fixed_size: 0
    .kernarg_segment_align: 8
    .kernarg_segment_size: 44
    .language:       OpenCL C
    .language_version:
      - 2
      - 0
    .max_flat_workgroup_size: 256
    .name:           _ZN2at6native27unrolled_elementwise_kernelIZZZNS0_12_GLOBAL__N_117where_kernel_implERNS_14TensorIteratorEENKUlvE_clEvENKUlvE_clEvEUlbhhE_St5arrayIPcLm4EELi4E23TrivialOffsetCalculatorILi3EjESB_ILi1EjENS0_6memory15LoadWithoutCastENSE_16StoreWithoutCastEEEviT_T0_T2_T3_T4_T5_
    .private_segment_fixed_size: 0
    .sgpr_count:     18
    .sgpr_spill_count: 0
    .symbol:         _ZN2at6native27unrolled_elementwise_kernelIZZZNS0_12_GLOBAL__N_117where_kernel_implERNS_14TensorIteratorEENKUlvE_clEvENKUlvE_clEvEUlbhhE_St5arrayIPcLm4EELi4E23TrivialOffsetCalculatorILi3EjESB_ILi1EjENS0_6memory15LoadWithoutCastENSE_16StoreWithoutCastEEEviT_T0_T2_T3_T4_T5_.kd
    .uniform_work_group_size: 1
    .uses_dynamic_stack: false
    .vgpr_count:     16
    .vgpr_spill_count: 0
    .wavefront_size: 32
  - .args:
      - .offset:         0
        .size:           4
        .value_kind:     by_value
      - .offset:         8
        .size:           496
        .value_kind:     by_value
    .group_segment_fixed_size: 0
    .kernarg_segment_align: 8
    .kernarg_segment_size: 504
    .language:       OpenCL C
    .language_version:
      - 2
      - 0
    .max_flat_workgroup_size: 128
    .name:           _ZN2at6native32elementwise_kernel_manual_unrollILi128ELi8EZNS0_22gpu_kernel_impl_nocastIZZZNS0_12_GLOBAL__N_117where_kernel_implERNS_14TensorIteratorEENKUlvE_clEvENKUlvE_clEvEUlbhhE_EEvRNS_18TensorIteratorBaseERKT_EUlibE_EEviT1_
    .private_segment_fixed_size: 0
    .sgpr_count:     58
    .sgpr_spill_count: 0
    .symbol:         _ZN2at6native32elementwise_kernel_manual_unrollILi128ELi8EZNS0_22gpu_kernel_impl_nocastIZZZNS0_12_GLOBAL__N_117where_kernel_implERNS_14TensorIteratorEENKUlvE_clEvENKUlvE_clEvEUlbhhE_EEvRNS_18TensorIteratorBaseERKT_EUlibE_EEviT1_.kd
    .uniform_work_group_size: 1
    .uses_dynamic_stack: false
    .vgpr_count:     47
    .vgpr_spill_count: 0
    .wavefront_size: 32
  - .args:
      - .offset:         0
        .size:           4
        .value_kind:     by_value
      - .offset:         4
        .size:           1
        .value_kind:     by_value
      - .offset:         8
        .size:           32
        .value_kind:     by_value
    .group_segment_fixed_size: 0
    .kernarg_segment_align: 8
    .kernarg_segment_size: 40
    .language:       OpenCL C
    .language_version:
      - 2
      - 0
    .max_flat_workgroup_size: 256
    .name:           _ZN2at6native29vectorized_elementwise_kernelILi16EZZZNS0_12_GLOBAL__N_117where_kernel_implERNS_14TensorIteratorEENKUlvE_clEvENKUlvE0_clEvEUlbttE_St5arrayIPcLm4EEEEviT0_T1_
    .private_segment_fixed_size: 0
    .sgpr_count:     20
    .sgpr_spill_count: 0
    .symbol:         _ZN2at6native29vectorized_elementwise_kernelILi16EZZZNS0_12_GLOBAL__N_117where_kernel_implERNS_14TensorIteratorEENKUlvE_clEvENKUlvE0_clEvEUlbttE_St5arrayIPcLm4EEEEviT0_T1_.kd
    .uniform_work_group_size: 1
    .uses_dynamic_stack: false
    .vgpr_count:     50
    .vgpr_spill_count: 0
    .wavefront_size: 32
  - .args:
      - .offset:         0
        .size:           4
        .value_kind:     by_value
      - .offset:         4
        .size:           1
        .value_kind:     by_value
      - .offset:         8
        .size:           32
        .value_kind:     by_value
    .group_segment_fixed_size: 0
    .kernarg_segment_align: 8
    .kernarg_segment_size: 40
    .language:       OpenCL C
    .language_version:
      - 2
      - 0
    .max_flat_workgroup_size: 256
    .name:           _ZN2at6native29vectorized_elementwise_kernelILi8EZZZNS0_12_GLOBAL__N_117where_kernel_implERNS_14TensorIteratorEENKUlvE_clEvENKUlvE0_clEvEUlbttE_St5arrayIPcLm4EEEEviT0_T1_
    .private_segment_fixed_size: 0
    .sgpr_count:     20
    .sgpr_spill_count: 0
    .symbol:         _ZN2at6native29vectorized_elementwise_kernelILi8EZZZNS0_12_GLOBAL__N_117where_kernel_implERNS_14TensorIteratorEENKUlvE_clEvENKUlvE0_clEvEUlbttE_St5arrayIPcLm4EEEEviT0_T1_.kd
    .uniform_work_group_size: 1
    .uses_dynamic_stack: false
    .vgpr_count:     49
    .vgpr_spill_count: 0
    .wavefront_size: 32
  - .args:
      - .offset:         0
        .size:           4
        .value_kind:     by_value
      - .offset:         4
        .size:           1
        .value_kind:     by_value
      - .offset:         8
        .size:           32
        .value_kind:     by_value
    .group_segment_fixed_size: 0
    .kernarg_segment_align: 8
    .kernarg_segment_size: 40
    .language:       OpenCL C
    .language_version:
      - 2
      - 0
    .max_flat_workgroup_size: 256
    .name:           _ZN2at6native29vectorized_elementwise_kernelILi4EZZZNS0_12_GLOBAL__N_117where_kernel_implERNS_14TensorIteratorEENKUlvE_clEvENKUlvE0_clEvEUlbttE_St5arrayIPcLm4EEEEviT0_T1_
    .private_segment_fixed_size: 0
    .sgpr_count:     20
    .sgpr_spill_count: 0
    .symbol:         _ZN2at6native29vectorized_elementwise_kernelILi4EZZZNS0_12_GLOBAL__N_117where_kernel_implERNS_14TensorIteratorEENKUlvE_clEvENKUlvE0_clEvEUlbttE_St5arrayIPcLm4EEEEviT0_T1_.kd
    .uniform_work_group_size: 1
    .uses_dynamic_stack: false
    .vgpr_count:     33
    .vgpr_spill_count: 0
    .wavefront_size: 32
  - .args:
      - .offset:         0
        .size:           4
        .value_kind:     by_value
      - .offset:         4
        .size:           1
        .value_kind:     by_value
      - .offset:         8
        .size:           32
        .value_kind:     by_value
    .group_segment_fixed_size: 0
    .kernarg_segment_align: 8
    .kernarg_segment_size: 40
    .language:       OpenCL C
    .language_version:
      - 2
      - 0
    .max_flat_workgroup_size: 256
    .name:           _ZN2at6native29vectorized_elementwise_kernelILi2EZZZNS0_12_GLOBAL__N_117where_kernel_implERNS_14TensorIteratorEENKUlvE_clEvENKUlvE0_clEvEUlbttE_St5arrayIPcLm4EEEEviT0_T1_
    .private_segment_fixed_size: 0
    .sgpr_count:     20
    .sgpr_spill_count: 0
    .symbol:         _ZN2at6native29vectorized_elementwise_kernelILi2EZZZNS0_12_GLOBAL__N_117where_kernel_implERNS_14TensorIteratorEENKUlvE_clEvENKUlvE0_clEvEUlbttE_St5arrayIPcLm4EEEEviT0_T1_.kd
    .uniform_work_group_size: 1
    .uses_dynamic_stack: false
    .vgpr_count:     33
    .vgpr_spill_count: 0
    .wavefront_size: 32
  - .args:
      - .offset:         0
        .size:           4
        .value_kind:     by_value
      - .offset:         4
        .size:           1
        .value_kind:     by_value
      - .offset:         8
        .size:           32
        .value_kind:     by_value
      - .offset:         40
        .size:           1
        .value_kind:     by_value
      - .offset:         41
        .size:           1
        .value_kind:     by_value
      - .offset:         42
        .size:           1
        .value_kind:     by_value
      - .offset:         43
        .size:           1
        .value_kind:     by_value
    .group_segment_fixed_size: 0
    .kernarg_segment_align: 8
    .kernarg_segment_size: 44
    .language:       OpenCL C
    .language_version:
      - 2
      - 0
    .max_flat_workgroup_size: 256
    .name:           _ZN2at6native27unrolled_elementwise_kernelIZZZNS0_12_GLOBAL__N_117where_kernel_implERNS_14TensorIteratorEENKUlvE_clEvENKUlvE0_clEvEUlbttE_St5arrayIPcLm4EELi4E23TrivialOffsetCalculatorILi3EjESB_ILi1EjENS0_6memory15LoadWithoutCastENSE_16StoreWithoutCastEEEviT_T0_T2_T3_T4_T5_
    .private_segment_fixed_size: 0
    .sgpr_count:     14
    .sgpr_spill_count: 0
    .symbol:         _ZN2at6native27unrolled_elementwise_kernelIZZZNS0_12_GLOBAL__N_117where_kernel_implERNS_14TensorIteratorEENKUlvE_clEvENKUlvE0_clEvEUlbttE_St5arrayIPcLm4EELi4E23TrivialOffsetCalculatorILi3EjESB_ILi1EjENS0_6memory15LoadWithoutCastENSE_16StoreWithoutCastEEEviT_T0_T2_T3_T4_T5_.kd
    .uniform_work_group_size: 1
    .uses_dynamic_stack: false
    .vgpr_count:     11
    .vgpr_spill_count: 0
    .wavefront_size: 32
  - .args:
      - .offset:         0
        .size:           4
        .value_kind:     by_value
      - .offset:         8
        .size:           496
        .value_kind:     by_value
    .group_segment_fixed_size: 0
    .kernarg_segment_align: 8
    .kernarg_segment_size: 504
    .language:       OpenCL C
    .language_version:
      - 2
      - 0
    .max_flat_workgroup_size: 128
    .name:           _ZN2at6native32elementwise_kernel_manual_unrollILi128ELi8EZNS0_22gpu_kernel_impl_nocastIZZZNS0_12_GLOBAL__N_117where_kernel_implERNS_14TensorIteratorEENKUlvE_clEvENKUlvE0_clEvEUlbttE_EEvRNS_18TensorIteratorBaseERKT_EUlibE_EEviT1_
    .private_segment_fixed_size: 0
    .sgpr_count:     58
    .sgpr_spill_count: 0
    .symbol:         _ZN2at6native32elementwise_kernel_manual_unrollILi128ELi8EZNS0_22gpu_kernel_impl_nocastIZZZNS0_12_GLOBAL__N_117where_kernel_implERNS_14TensorIteratorEENKUlvE_clEvENKUlvE0_clEvEUlbttE_EEvRNS_18TensorIteratorBaseERKT_EUlibE_EEviT1_.kd
    .uniform_work_group_size: 1
    .uses_dynamic_stack: false
    .vgpr_count:     47
    .vgpr_spill_count: 0
    .wavefront_size: 32
  - .args:
      - .offset:         0
        .size:           4
        .value_kind:     by_value
      - .offset:         4
        .size:           1
        .value_kind:     by_value
      - .offset:         8
        .size:           32
        .value_kind:     by_value
    .group_segment_fixed_size: 0
    .kernarg_segment_align: 8
    .kernarg_segment_size: 40
    .language:       OpenCL C
    .language_version:
      - 2
      - 0
    .max_flat_workgroup_size: 256
    .name:           _ZN2at6native29vectorized_elementwise_kernelILi16EZZZNS0_12_GLOBAL__N_117where_kernel_implERNS_14TensorIteratorEENKUlvE_clEvENKUlvE1_clEvEUlbjjE_St5arrayIPcLm4EEEEviT0_T1_
    .private_segment_fixed_size: 0
    .sgpr_count:     39
    .sgpr_spill_count: 0
    .symbol:         _ZN2at6native29vectorized_elementwise_kernelILi16EZZZNS0_12_GLOBAL__N_117where_kernel_implERNS_14TensorIteratorEENKUlvE_clEvENKUlvE1_clEvEUlbjjE_St5arrayIPcLm4EEEEviT0_T1_.kd
    .uniform_work_group_size: 1
    .uses_dynamic_stack: false
    .vgpr_count:     54
    .vgpr_spill_count: 0
    .wavefront_size: 32
  - .args:
      - .offset:         0
        .size:           4
        .value_kind:     by_value
      - .offset:         4
        .size:           1
        .value_kind:     by_value
      - .offset:         8
        .size:           32
        .value_kind:     by_value
    .group_segment_fixed_size: 0
    .kernarg_segment_align: 8
    .kernarg_segment_size: 40
    .language:       OpenCL C
    .language_version:
      - 2
      - 0
    .max_flat_workgroup_size: 256
    .name:           _ZN2at6native29vectorized_elementwise_kernelILi8EZZZNS0_12_GLOBAL__N_117where_kernel_implERNS_14TensorIteratorEENKUlvE_clEvENKUlvE1_clEvEUlbjjE_St5arrayIPcLm4EEEEviT0_T1_
    .private_segment_fixed_size: 0
    .sgpr_count:     39
    .sgpr_spill_count: 0
    .symbol:         _ZN2at6native29vectorized_elementwise_kernelILi8EZZZNS0_12_GLOBAL__N_117where_kernel_implERNS_14TensorIteratorEENKUlvE_clEvENKUlvE1_clEvEUlbjjE_St5arrayIPcLm4EEEEviT0_T1_.kd
    .uniform_work_group_size: 1
    .uses_dynamic_stack: false
    .vgpr_count:     50
    .vgpr_spill_count: 0
    .wavefront_size: 32
  - .args:
      - .offset:         0
        .size:           4
        .value_kind:     by_value
      - .offset:         4
        .size:           1
        .value_kind:     by_value
      - .offset:         8
        .size:           32
        .value_kind:     by_value
    .group_segment_fixed_size: 0
    .kernarg_segment_align: 8
    .kernarg_segment_size: 40
    .language:       OpenCL C
    .language_version:
      - 2
      - 0
    .max_flat_workgroup_size: 256
    .name:           _ZN2at6native29vectorized_elementwise_kernelILi4EZZZNS0_12_GLOBAL__N_117where_kernel_implERNS_14TensorIteratorEENKUlvE_clEvENKUlvE1_clEvEUlbjjE_St5arrayIPcLm4EEEEviT0_T1_
    .private_segment_fixed_size: 0
    .sgpr_count:     39
    .sgpr_spill_count: 0
    .symbol:         _ZN2at6native29vectorized_elementwise_kernelILi4EZZZNS0_12_GLOBAL__N_117where_kernel_implERNS_14TensorIteratorEENKUlvE_clEvENKUlvE1_clEvEUlbjjE_St5arrayIPcLm4EEEEviT0_T1_.kd
    .uniform_work_group_size: 1
    .uses_dynamic_stack: false
    .vgpr_count:     49
    .vgpr_spill_count: 0
    .wavefront_size: 32
  - .args:
      - .offset:         0
        .size:           4
        .value_kind:     by_value
      - .offset:         4
        .size:           1
        .value_kind:     by_value
      - .offset:         8
        .size:           32
        .value_kind:     by_value
    .group_segment_fixed_size: 0
    .kernarg_segment_align: 8
    .kernarg_segment_size: 40
    .language:       OpenCL C
    .language_version:
      - 2
      - 0
    .max_flat_workgroup_size: 256
    .name:           _ZN2at6native29vectorized_elementwise_kernelILi2EZZZNS0_12_GLOBAL__N_117where_kernel_implERNS_14TensorIteratorEENKUlvE_clEvENKUlvE1_clEvEUlbjjE_St5arrayIPcLm4EEEEviT0_T1_
    .private_segment_fixed_size: 0
    .sgpr_count:     39
    .sgpr_spill_count: 0
    .symbol:         _ZN2at6native29vectorized_elementwise_kernelILi2EZZZNS0_12_GLOBAL__N_117where_kernel_implERNS_14TensorIteratorEENKUlvE_clEvENKUlvE1_clEvEUlbjjE_St5arrayIPcLm4EEEEviT0_T1_.kd
    .uniform_work_group_size: 1
    .uses_dynamic_stack: false
    .vgpr_count:     49
    .vgpr_spill_count: 0
    .wavefront_size: 32
  - .args:
      - .offset:         0
        .size:           4
        .value_kind:     by_value
      - .offset:         4
        .size:           1
        .value_kind:     by_value
      - .offset:         8
        .size:           32
        .value_kind:     by_value
      - .offset:         40
        .size:           1
        .value_kind:     by_value
      - .offset:         41
        .size:           1
        .value_kind:     by_value
      - .offset:         42
        .size:           1
        .value_kind:     by_value
      - .offset:         43
        .size:           1
        .value_kind:     by_value
    .group_segment_fixed_size: 0
    .kernarg_segment_align: 8
    .kernarg_segment_size: 44
    .language:       OpenCL C
    .language_version:
      - 2
      - 0
    .max_flat_workgroup_size: 256
    .name:           _ZN2at6native27unrolled_elementwise_kernelIZZZNS0_12_GLOBAL__N_117where_kernel_implERNS_14TensorIteratorEENKUlvE_clEvENKUlvE1_clEvEUlbjjE_St5arrayIPcLm4EELi4E23TrivialOffsetCalculatorILi3EjESB_ILi1EjENS0_6memory15LoadWithoutCastENSE_16StoreWithoutCastEEEviT_T0_T2_T3_T4_T5_
    .private_segment_fixed_size: 0
    .sgpr_count:     20
    .sgpr_spill_count: 0
    .symbol:         _ZN2at6native27unrolled_elementwise_kernelIZZZNS0_12_GLOBAL__N_117where_kernel_implERNS_14TensorIteratorEENKUlvE_clEvENKUlvE1_clEvEUlbjjE_St5arrayIPcLm4EELi4E23TrivialOffsetCalculatorILi3EjESB_ILi1EjENS0_6memory15LoadWithoutCastENSE_16StoreWithoutCastEEEviT_T0_T2_T3_T4_T5_.kd
    .uniform_work_group_size: 1
    .uses_dynamic_stack: false
    .vgpr_count:     13
    .vgpr_spill_count: 0
    .wavefront_size: 32
  - .args:
      - .offset:         0
        .size:           4
        .value_kind:     by_value
      - .offset:         8
        .size:           496
        .value_kind:     by_value
    .group_segment_fixed_size: 0
    .kernarg_segment_align: 8
    .kernarg_segment_size: 504
    .language:       OpenCL C
    .language_version:
      - 2
      - 0
    .max_flat_workgroup_size: 128
    .name:           _ZN2at6native32elementwise_kernel_manual_unrollILi128ELi4EZNS0_22gpu_kernel_impl_nocastIZZZNS0_12_GLOBAL__N_117where_kernel_implERNS_14TensorIteratorEENKUlvE_clEvENKUlvE1_clEvEUlbjjE_EEvRNS_18TensorIteratorBaseERKT_EUlibE_EEviT1_
    .private_segment_fixed_size: 0
    .sgpr_count:     58
    .sgpr_spill_count: 0
    .symbol:         _ZN2at6native32elementwise_kernel_manual_unrollILi128ELi4EZNS0_22gpu_kernel_impl_nocastIZZZNS0_12_GLOBAL__N_117where_kernel_implERNS_14TensorIteratorEENKUlvE_clEvENKUlvE1_clEvEUlbjjE_EEvRNS_18TensorIteratorBaseERKT_EUlibE_EEviT1_.kd
    .uniform_work_group_size: 1
    .uses_dynamic_stack: false
    .vgpr_count:     28
    .vgpr_spill_count: 0
    .wavefront_size: 32
  - .args:
      - .offset:         0
        .size:           4
        .value_kind:     by_value
      - .offset:         4
        .size:           1
        .value_kind:     by_value
      - .offset:         8
        .size:           32
        .value_kind:     by_value
    .group_segment_fixed_size: 0
    .kernarg_segment_align: 8
    .kernarg_segment_size: 40
    .language:       OpenCL C
    .language_version:
      - 2
      - 0
    .max_flat_workgroup_size: 256
    .name:           _ZN2at6native29vectorized_elementwise_kernelILi16EZZZNS0_12_GLOBAL__N_117where_kernel_implERNS_14TensorIteratorEENKUlvE_clEvENKUlvE2_clEvEUlbmmE_St5arrayIPcLm4EEEEviT0_T1_
    .private_segment_fixed_size: 0
    .sgpr_count:     22
    .sgpr_spill_count: 0
    .symbol:         _ZN2at6native29vectorized_elementwise_kernelILi16EZZZNS0_12_GLOBAL__N_117where_kernel_implERNS_14TensorIteratorEENKUlvE_clEvENKUlvE2_clEvEUlbmmE_St5arrayIPcLm4EEEEviT0_T1_.kd
    .uniform_work_group_size: 1
    .uses_dynamic_stack: false
    .vgpr_count:     58
    .vgpr_spill_count: 0
    .wavefront_size: 32
  - .args:
      - .offset:         0
        .size:           4
        .value_kind:     by_value
      - .offset:         4
        .size:           1
        .value_kind:     by_value
      - .offset:         8
        .size:           32
        .value_kind:     by_value
    .group_segment_fixed_size: 0
    .kernarg_segment_align: 8
    .kernarg_segment_size: 40
    .language:       OpenCL C
    .language_version:
      - 2
      - 0
    .max_flat_workgroup_size: 256
    .name:           _ZN2at6native29vectorized_elementwise_kernelILi8EZZZNS0_12_GLOBAL__N_117where_kernel_implERNS_14TensorIteratorEENKUlvE_clEvENKUlvE2_clEvEUlbmmE_St5arrayIPcLm4EEEEviT0_T1_
    .private_segment_fixed_size: 0
    .sgpr_count:     24
    .sgpr_spill_count: 0
    .symbol:         _ZN2at6native29vectorized_elementwise_kernelILi8EZZZNS0_12_GLOBAL__N_117where_kernel_implERNS_14TensorIteratorEENKUlvE_clEvENKUlvE2_clEvEUlbmmE_St5arrayIPcLm4EEEEviT0_T1_.kd
    .uniform_work_group_size: 1
    .uses_dynamic_stack: false
    .vgpr_count:     60
    .vgpr_spill_count: 0
    .wavefront_size: 32
  - .args:
      - .offset:         0
        .size:           4
        .value_kind:     by_value
      - .offset:         4
        .size:           1
        .value_kind:     by_value
      - .offset:         8
        .size:           32
        .value_kind:     by_value
    .group_segment_fixed_size: 0
    .kernarg_segment_align: 8
    .kernarg_segment_size: 40
    .language:       OpenCL C
    .language_version:
      - 2
      - 0
    .max_flat_workgroup_size: 256
    .name:           _ZN2at6native29vectorized_elementwise_kernelILi4EZZZNS0_12_GLOBAL__N_117where_kernel_implERNS_14TensorIteratorEENKUlvE_clEvENKUlvE2_clEvEUlbmmE_St5arrayIPcLm4EEEEviT0_T1_
    .private_segment_fixed_size: 0
    .sgpr_count:     24
    .sgpr_spill_count: 0
    .symbol:         _ZN2at6native29vectorized_elementwise_kernelILi4EZZZNS0_12_GLOBAL__N_117where_kernel_implERNS_14TensorIteratorEENKUlvE_clEvENKUlvE2_clEvEUlbmmE_St5arrayIPcLm4EEEEviT0_T1_.kd
    .uniform_work_group_size: 1
    .uses_dynamic_stack: false
    .vgpr_count:     60
    .vgpr_spill_count: 0
    .wavefront_size: 32
  - .args:
      - .offset:         0
        .size:           4
        .value_kind:     by_value
      - .offset:         4
        .size:           1
        .value_kind:     by_value
      - .offset:         8
        .size:           32
        .value_kind:     by_value
    .group_segment_fixed_size: 0
    .kernarg_segment_align: 8
    .kernarg_segment_size: 40
    .language:       OpenCL C
    .language_version:
      - 2
      - 0
    .max_flat_workgroup_size: 256
    .name:           _ZN2at6native29vectorized_elementwise_kernelILi2EZZZNS0_12_GLOBAL__N_117where_kernel_implERNS_14TensorIteratorEENKUlvE_clEvENKUlvE2_clEvEUlbmmE_St5arrayIPcLm4EEEEviT0_T1_
    .private_segment_fixed_size: 0
    .sgpr_count:     22
    .sgpr_spill_count: 0
    .symbol:         _ZN2at6native29vectorized_elementwise_kernelILi2EZZZNS0_12_GLOBAL__N_117where_kernel_implERNS_14TensorIteratorEENKUlvE_clEvENKUlvE2_clEvEUlbmmE_St5arrayIPcLm4EEEEviT0_T1_.kd
    .uniform_work_group_size: 1
    .uses_dynamic_stack: false
    .vgpr_count:     59
    .vgpr_spill_count: 0
    .wavefront_size: 32
  - .args:
      - .offset:         0
        .size:           4
        .value_kind:     by_value
      - .offset:         4
        .size:           1
        .value_kind:     by_value
      - .offset:         8
        .size:           32
        .value_kind:     by_value
      - .offset:         40
        .size:           1
        .value_kind:     by_value
      - .offset:         41
        .size:           1
        .value_kind:     by_value
      - .offset:         42
        .size:           1
        .value_kind:     by_value
      - .offset:         43
        .size:           1
        .value_kind:     by_value
    .group_segment_fixed_size: 0
    .kernarg_segment_align: 8
    .kernarg_segment_size: 44
    .language:       OpenCL C
    .language_version:
      - 2
      - 0
    .max_flat_workgroup_size: 256
    .name:           _ZN2at6native27unrolled_elementwise_kernelIZZZNS0_12_GLOBAL__N_117where_kernel_implERNS_14TensorIteratorEENKUlvE_clEvENKUlvE2_clEvEUlbmmE_St5arrayIPcLm4EELi4E23TrivialOffsetCalculatorILi3EjESB_ILi1EjENS0_6memory15LoadWithoutCastENSE_16StoreWithoutCastEEEviT_T0_T2_T3_T4_T5_
    .private_segment_fixed_size: 0
    .sgpr_count:     14
    .sgpr_spill_count: 0
    .symbol:         _ZN2at6native27unrolled_elementwise_kernelIZZZNS0_12_GLOBAL__N_117where_kernel_implERNS_14TensorIteratorEENKUlvE_clEvENKUlvE2_clEvEUlbmmE_St5arrayIPcLm4EELi4E23TrivialOffsetCalculatorILi3EjESB_ILi1EjENS0_6memory15LoadWithoutCastENSE_16StoreWithoutCastEEEviT_T0_T2_T3_T4_T5_.kd
    .uniform_work_group_size: 1
    .uses_dynamic_stack: false
    .vgpr_count:     16
    .vgpr_spill_count: 0
    .wavefront_size: 32
  - .args:
      - .offset:         0
        .size:           4
        .value_kind:     by_value
      - .offset:         8
        .size:           496
        .value_kind:     by_value
    .group_segment_fixed_size: 0
    .kernarg_segment_align: 8
    .kernarg_segment_size: 504
    .language:       OpenCL C
    .language_version:
      - 2
      - 0
    .max_flat_workgroup_size: 128
    .name:           _ZN2at6native32elementwise_kernel_manual_unrollILi128ELi4EZNS0_22gpu_kernel_impl_nocastIZZZNS0_12_GLOBAL__N_117where_kernel_implERNS_14TensorIteratorEENKUlvE_clEvENKUlvE2_clEvEUlbmmE_EEvRNS_18TensorIteratorBaseERKT_EUlibE_EEviT1_
    .private_segment_fixed_size: 0
    .sgpr_count:     58
    .sgpr_spill_count: 0
    .symbol:         _ZN2at6native32elementwise_kernel_manual_unrollILi128ELi4EZNS0_22gpu_kernel_impl_nocastIZZZNS0_12_GLOBAL__N_117where_kernel_implERNS_14TensorIteratorEENKUlvE_clEvENKUlvE2_clEvEUlbmmE_EEvRNS_18TensorIteratorBaseERKT_EUlibE_EEviT1_.kd
    .uniform_work_group_size: 1
    .uses_dynamic_stack: false
    .vgpr_count:     36
    .vgpr_spill_count: 0
    .wavefront_size: 32
  - .args:
      - .offset:         0
        .size:           4
        .value_kind:     by_value
      - .offset:         4
        .size:           1
        .value_kind:     by_value
      - .offset:         8
        .size:           32
        .value_kind:     by_value
    .group_segment_fixed_size: 0
    .kernarg_segment_align: 8
    .kernarg_segment_size: 40
    .language:       OpenCL C
    .language_version:
      - 2
      - 0
    .max_flat_workgroup_size: 256
    .name:           _ZN2at6native29vectorized_elementwise_kernelILi16EZZZNS0_12_GLOBAL__N_117where_kernel_implERNS_14TensorIteratorEENKUlvE_clEvENKUlvE3_clEvEUlbN3c107complexIdEES9_E_St5arrayIPcLm4EEEEviT0_T1_
    .private_segment_fixed_size: 0
    .sgpr_count:     30
    .sgpr_spill_count: 0
    .symbol:         _ZN2at6native29vectorized_elementwise_kernelILi16EZZZNS0_12_GLOBAL__N_117where_kernel_implERNS_14TensorIteratorEENKUlvE_clEvENKUlvE3_clEvEUlbN3c107complexIdEES9_E_St5arrayIPcLm4EEEEviT0_T1_.kd
    .uniform_work_group_size: 1
    .uses_dynamic_stack: false
    .vgpr_count:     143
    .vgpr_spill_count: 0
    .wavefront_size: 32
  - .args:
      - .offset:         0
        .size:           4
        .value_kind:     by_value
      - .offset:         4
        .size:           1
        .value_kind:     by_value
      - .offset:         8
        .size:           32
        .value_kind:     by_value
    .group_segment_fixed_size: 0
    .kernarg_segment_align: 8
    .kernarg_segment_size: 40
    .language:       OpenCL C
    .language_version:
      - 2
      - 0
    .max_flat_workgroup_size: 256
    .name:           _ZN2at6native29vectorized_elementwise_kernelILi8EZZZNS0_12_GLOBAL__N_117where_kernel_implERNS_14TensorIteratorEENKUlvE_clEvENKUlvE3_clEvEUlbN3c107complexIdEES9_E_St5arrayIPcLm4EEEEviT0_T1_
    .private_segment_fixed_size: 0
    .sgpr_count:     30
    .sgpr_spill_count: 0
    .symbol:         _ZN2at6native29vectorized_elementwise_kernelILi8EZZZNS0_12_GLOBAL__N_117where_kernel_implERNS_14TensorIteratorEENKUlvE_clEvENKUlvE3_clEvEUlbN3c107complexIdEES9_E_St5arrayIPcLm4EEEEviT0_T1_.kd
    .uniform_work_group_size: 1
    .uses_dynamic_stack: false
    .vgpr_count:     143
    .vgpr_spill_count: 0
    .wavefront_size: 32
  - .args:
      - .offset:         0
        .size:           4
        .value_kind:     by_value
      - .offset:         4
        .size:           1
        .value_kind:     by_value
      - .offset:         8
        .size:           32
        .value_kind:     by_value
    .group_segment_fixed_size: 0
    .kernarg_segment_align: 8
    .kernarg_segment_size: 40
    .language:       OpenCL C
    .language_version:
      - 2
      - 0
    .max_flat_workgroup_size: 256
    .name:           _ZN2at6native29vectorized_elementwise_kernelILi4EZZZNS0_12_GLOBAL__N_117where_kernel_implERNS_14TensorIteratorEENKUlvE_clEvENKUlvE3_clEvEUlbN3c107complexIdEES9_E_St5arrayIPcLm4EEEEviT0_T1_
    .private_segment_fixed_size: 0
    .sgpr_count:     30
    .sgpr_spill_count: 0
    .symbol:         _ZN2at6native29vectorized_elementwise_kernelILi4EZZZNS0_12_GLOBAL__N_117where_kernel_implERNS_14TensorIteratorEENKUlvE_clEvENKUlvE3_clEvEUlbN3c107complexIdEES9_E_St5arrayIPcLm4EEEEviT0_T1_.kd
    .uniform_work_group_size: 1
    .uses_dynamic_stack: false
    .vgpr_count:     143
    .vgpr_spill_count: 0
    .wavefront_size: 32
  - .args:
      - .offset:         0
        .size:           4
        .value_kind:     by_value
      - .offset:         4
        .size:           1
        .value_kind:     by_value
      - .offset:         8
        .size:           32
        .value_kind:     by_value
    .group_segment_fixed_size: 0
    .kernarg_segment_align: 8
    .kernarg_segment_size: 40
    .language:       OpenCL C
    .language_version:
      - 2
      - 0
    .max_flat_workgroup_size: 256
    .name:           _ZN2at6native29vectorized_elementwise_kernelILi2EZZZNS0_12_GLOBAL__N_117where_kernel_implERNS_14TensorIteratorEENKUlvE_clEvENKUlvE3_clEvEUlbN3c107complexIdEES9_E_St5arrayIPcLm4EEEEviT0_T1_
    .private_segment_fixed_size: 0
    .sgpr_count:     30
    .sgpr_spill_count: 0
    .symbol:         _ZN2at6native29vectorized_elementwise_kernelILi2EZZZNS0_12_GLOBAL__N_117where_kernel_implERNS_14TensorIteratorEENKUlvE_clEvENKUlvE3_clEvEUlbN3c107complexIdEES9_E_St5arrayIPcLm4EEEEviT0_T1_.kd
    .uniform_work_group_size: 1
    .uses_dynamic_stack: false
    .vgpr_count:     139
    .vgpr_spill_count: 0
    .wavefront_size: 32
  - .args:
      - .offset:         0
        .size:           4
        .value_kind:     by_value
      - .offset:         4
        .size:           1
        .value_kind:     by_value
      - .offset:         8
        .size:           32
        .value_kind:     by_value
      - .offset:         40
        .size:           1
        .value_kind:     by_value
      - .offset:         41
        .size:           1
        .value_kind:     by_value
      - .offset:         42
        .size:           1
        .value_kind:     by_value
      - .offset:         43
        .size:           1
        .value_kind:     by_value
    .group_segment_fixed_size: 0
    .kernarg_segment_align: 8
    .kernarg_segment_size: 44
    .language:       OpenCL C
    .language_version:
      - 2
      - 0
    .max_flat_workgroup_size: 256
    .name:           _ZN2at6native27unrolled_elementwise_kernelIZZZNS0_12_GLOBAL__N_117where_kernel_implERNS_14TensorIteratorEENKUlvE_clEvENKUlvE3_clEvEUlbN3c107complexIdEES9_E_St5arrayIPcLm4EELi4E23TrivialOffsetCalculatorILi3EjESE_ILi1EjENS0_6memory15LoadWithoutCastENSH_16StoreWithoutCastEEEviT_T0_T2_T3_T4_T5_
    .private_segment_fixed_size: 0
    .sgpr_count:     18
    .sgpr_spill_count: 0
    .symbol:         _ZN2at6native27unrolled_elementwise_kernelIZZZNS0_12_GLOBAL__N_117where_kernel_implERNS_14TensorIteratorEENKUlvE_clEvENKUlvE3_clEvEUlbN3c107complexIdEES9_E_St5arrayIPcLm4EELi4E23TrivialOffsetCalculatorILi3EjESE_ILi1EjENS0_6memory15LoadWithoutCastENSH_16StoreWithoutCastEEEviT_T0_T2_T3_T4_T5_.kd
    .uniform_work_group_size: 1
    .uses_dynamic_stack: false
    .vgpr_count:     38
    .vgpr_spill_count: 0
    .wavefront_size: 32
  - .args:
      - .offset:         0
        .size:           4
        .value_kind:     by_value
      - .offset:         8
        .size:           496
        .value_kind:     by_value
    .group_segment_fixed_size: 0
    .kernarg_segment_align: 8
    .kernarg_segment_size: 504
    .language:       OpenCL C
    .language_version:
      - 2
      - 0
    .max_flat_workgroup_size: 128
    .name:           _ZN2at6native32elementwise_kernel_manual_unrollILi128ELi4EZNS0_22gpu_kernel_impl_nocastIZZZNS0_12_GLOBAL__N_117where_kernel_implERNS_14TensorIteratorEENKUlvE_clEvENKUlvE3_clEvEUlbN3c107complexIdEESA_E_EEvRNS_18TensorIteratorBaseERKT_EUlibE_EEviT1_
    .private_segment_fixed_size: 0
    .sgpr_count:     58
    .sgpr_spill_count: 0
    .symbol:         _ZN2at6native32elementwise_kernel_manual_unrollILi128ELi4EZNS0_22gpu_kernel_impl_nocastIZZZNS0_12_GLOBAL__N_117where_kernel_implERNS_14TensorIteratorEENKUlvE_clEvENKUlvE3_clEvEUlbN3c107complexIdEESA_E_EEvRNS_18TensorIteratorBaseERKT_EUlibE_EEviT1_.kd
    .uniform_work_group_size: 1
    .uses_dynamic_stack: false
    .vgpr_count:     52
    .vgpr_spill_count: 0
    .wavefront_size: 32
  - .args:
      - .offset:         0
        .size:           4
        .value_kind:     by_value
      - .offset:         4
        .size:           1
        .value_kind:     by_value
      - .offset:         8
        .size:           16
        .value_kind:     by_value
    .group_segment_fixed_size: 0
    .kernarg_segment_align: 8
    .kernarg_segment_size: 24
    .language:       OpenCL C
    .language_version:
      - 2
      - 0
    .max_flat_workgroup_size: 256
    .name:           _ZN2at6native29vectorized_elementwise_kernelILi16EZZZNS0_12_GLOBAL__N_120isposinf_kernel_implERNS_18TensorIteratorBaseEENKUlvE_clEvENKUlvE_clEvEUldE_St5arrayIPcLm2EEEEviT0_T1_
    .private_segment_fixed_size: 0
    .sgpr_count:     26
    .sgpr_spill_count: 0
    .symbol:         _ZN2at6native29vectorized_elementwise_kernelILi16EZZZNS0_12_GLOBAL__N_120isposinf_kernel_implERNS_18TensorIteratorBaseEENKUlvE_clEvENKUlvE_clEvEUldE_St5arrayIPcLm2EEEEviT0_T1_.kd
    .uniform_work_group_size: 1
    .uses_dynamic_stack: false
    .vgpr_count:     34
    .vgpr_spill_count: 0
    .wavefront_size: 32
  - .args:
      - .offset:         0
        .size:           4
        .value_kind:     by_value
      - .offset:         4
        .size:           1
        .value_kind:     by_value
      - .offset:         8
        .size:           16
        .value_kind:     by_value
    .group_segment_fixed_size: 0
    .kernarg_segment_align: 8
    .kernarg_segment_size: 24
    .language:       OpenCL C
    .language_version:
      - 2
      - 0
    .max_flat_workgroup_size: 256
    .name:           _ZN2at6native29vectorized_elementwise_kernelILi8EZZZNS0_12_GLOBAL__N_120isposinf_kernel_implERNS_18TensorIteratorBaseEENKUlvE_clEvENKUlvE_clEvEUldE_St5arrayIPcLm2EEEEviT0_T1_
    .private_segment_fixed_size: 0
    .sgpr_count:     26
    .sgpr_spill_count: 0
    .symbol:         _ZN2at6native29vectorized_elementwise_kernelILi8EZZZNS0_12_GLOBAL__N_120isposinf_kernel_implERNS_18TensorIteratorBaseEENKUlvE_clEvENKUlvE_clEvEUldE_St5arrayIPcLm2EEEEviT0_T1_.kd
    .uniform_work_group_size: 1
    .uses_dynamic_stack: false
    .vgpr_count:     34
    .vgpr_spill_count: 0
    .wavefront_size: 32
  - .args:
      - .offset:         0
        .size:           4
        .value_kind:     by_value
      - .offset:         4
        .size:           1
        .value_kind:     by_value
      - .offset:         8
        .size:           16
        .value_kind:     by_value
    .group_segment_fixed_size: 0
    .kernarg_segment_align: 8
    .kernarg_segment_size: 24
    .language:       OpenCL C
    .language_version:
      - 2
      - 0
    .max_flat_workgroup_size: 256
    .name:           _ZN2at6native29vectorized_elementwise_kernelILi4EZZZNS0_12_GLOBAL__N_120isposinf_kernel_implERNS_18TensorIteratorBaseEENKUlvE_clEvENKUlvE_clEvEUldE_St5arrayIPcLm2EEEEviT0_T1_
    .private_segment_fixed_size: 0
    .sgpr_count:     26
    .sgpr_spill_count: 0
    .symbol:         _ZN2at6native29vectorized_elementwise_kernelILi4EZZZNS0_12_GLOBAL__N_120isposinf_kernel_implERNS_18TensorIteratorBaseEENKUlvE_clEvENKUlvE_clEvEUldE_St5arrayIPcLm2EEEEviT0_T1_.kd
    .uniform_work_group_size: 1
    .uses_dynamic_stack: false
    .vgpr_count:     34
    .vgpr_spill_count: 0
    .wavefront_size: 32
  - .args:
      - .offset:         0
        .size:           4
        .value_kind:     by_value
      - .offset:         4
        .size:           1
        .value_kind:     by_value
      - .offset:         8
        .size:           16
        .value_kind:     by_value
    .group_segment_fixed_size: 0
    .kernarg_segment_align: 8
    .kernarg_segment_size: 24
    .language:       OpenCL C
    .language_version:
      - 2
      - 0
    .max_flat_workgroup_size: 256
    .name:           _ZN2at6native29vectorized_elementwise_kernelILi2EZZZNS0_12_GLOBAL__N_120isposinf_kernel_implERNS_18TensorIteratorBaseEENKUlvE_clEvENKUlvE_clEvEUldE_St5arrayIPcLm2EEEEviT0_T1_
    .private_segment_fixed_size: 0
    .sgpr_count:     26
    .sgpr_spill_count: 0
    .symbol:         _ZN2at6native29vectorized_elementwise_kernelILi2EZZZNS0_12_GLOBAL__N_120isposinf_kernel_implERNS_18TensorIteratorBaseEENKUlvE_clEvENKUlvE_clEvEUldE_St5arrayIPcLm2EEEEviT0_T1_.kd
    .uniform_work_group_size: 1
    .uses_dynamic_stack: false
    .vgpr_count:     34
    .vgpr_spill_count: 0
    .wavefront_size: 32
  - .args:
      - .offset:         0
        .size:           4
        .value_kind:     by_value
      - .offset:         4
        .size:           1
        .value_kind:     by_value
      - .offset:         8
        .size:           16
        .value_kind:     by_value
      - .offset:         24
        .size:           1
        .value_kind:     by_value
      - .offset:         25
        .size:           1
        .value_kind:     by_value
      - .offset:         26
        .size:           1
        .value_kind:     by_value
      - .offset:         27
        .size:           1
        .value_kind:     by_value
    .group_segment_fixed_size: 0
    .kernarg_segment_align: 8
    .kernarg_segment_size: 28
    .language:       OpenCL C
    .language_version:
      - 2
      - 0
    .max_flat_workgroup_size: 256
    .name:           _ZN2at6native27unrolled_elementwise_kernelIZZZNS0_12_GLOBAL__N_120isposinf_kernel_implERNS_18TensorIteratorBaseEENKUlvE_clEvENKUlvE_clEvEUldE_St5arrayIPcLm2EELi4E23TrivialOffsetCalculatorILi1EjESC_NS0_6memory15LoadWithoutCastENSD_16StoreWithoutCastEEEviT_T0_T2_T3_T4_T5_
    .private_segment_fixed_size: 0
    .sgpr_count:     14
    .sgpr_spill_count: 0
    .symbol:         _ZN2at6native27unrolled_elementwise_kernelIZZZNS0_12_GLOBAL__N_120isposinf_kernel_implERNS_18TensorIteratorBaseEENKUlvE_clEvENKUlvE_clEvEUldE_St5arrayIPcLm2EELi4E23TrivialOffsetCalculatorILi1EjESC_NS0_6memory15LoadWithoutCastENSD_16StoreWithoutCastEEEviT_T0_T2_T3_T4_T5_.kd
    .uniform_work_group_size: 1
    .uses_dynamic_stack: false
    .vgpr_count:     6
    .vgpr_spill_count: 0
    .wavefront_size: 32
  - .args:
      - .offset:         0
        .size:           4
        .value_kind:     by_value
      - .offset:         8
        .size:           352
        .value_kind:     by_value
    .group_segment_fixed_size: 0
    .kernarg_segment_align: 8
    .kernarg_segment_size: 360
    .language:       OpenCL C
    .language_version:
      - 2
      - 0
    .max_flat_workgroup_size: 128
    .name:           _ZN2at6native32elementwise_kernel_manual_unrollILi128ELi8EZNS0_22gpu_kernel_impl_nocastIZZZNS0_12_GLOBAL__N_120isposinf_kernel_implERNS_18TensorIteratorBaseEENKUlvE_clEvENKUlvE_clEvEUldE_EEvS5_RKT_EUlibE_EEviT1_
    .private_segment_fixed_size: 0
    .sgpr_count:     62
    .sgpr_spill_count: 0
    .symbol:         _ZN2at6native32elementwise_kernel_manual_unrollILi128ELi8EZNS0_22gpu_kernel_impl_nocastIZZZNS0_12_GLOBAL__N_120isposinf_kernel_implERNS_18TensorIteratorBaseEENKUlvE_clEvENKUlvE_clEvEUldE_EEvS5_RKT_EUlibE_EEviT1_.kd
    .uniform_work_group_size: 1
    .uses_dynamic_stack: false
    .vgpr_count:     32
    .vgpr_spill_count: 0
    .wavefront_size: 32
  - .args:
      - .offset:         0
        .size:           4
        .value_kind:     by_value
      - .offset:         8
        .size:           32
        .value_kind:     by_value
    .group_segment_fixed_size: 0
    .kernarg_segment_align: 8
    .kernarg_segment_size: 40
    .language:       OpenCL C
    .language_version:
      - 2
      - 0
    .max_flat_workgroup_size: 128
    .name:           _ZN2at6native32elementwise_kernel_manual_unrollILi128ELi4EZNS0_15gpu_kernel_implIZZZNS0_12_GLOBAL__N_120isposinf_kernel_implERNS_18TensorIteratorBaseEENKUlvE_clEvENKUlvE_clEvEUldE_EEvS5_RKT_EUlibE_EEviT1_
    .private_segment_fixed_size: 0
    .sgpr_count:     29
    .sgpr_spill_count: 0
    .symbol:         _ZN2at6native32elementwise_kernel_manual_unrollILi128ELi4EZNS0_15gpu_kernel_implIZZZNS0_12_GLOBAL__N_120isposinf_kernel_implERNS_18TensorIteratorBaseEENKUlvE_clEvENKUlvE_clEvEUldE_EEvS5_RKT_EUlibE_EEviT1_.kd
    .uniform_work_group_size: 1
    .uses_dynamic_stack: false
    .vgpr_count:     15
    .vgpr_spill_count: 0
    .wavefront_size: 32
  - .args:
      - .offset:         0
        .size:           4
        .value_kind:     by_value
      - .offset:         8
        .size:           352
        .value_kind:     by_value
    .group_segment_fixed_size: 0
    .kernarg_segment_align: 8
    .kernarg_segment_size: 360
    .language:       OpenCL C
    .language_version:
      - 2
      - 0
    .max_flat_workgroup_size: 128
    .name:           _ZN2at6native32elementwise_kernel_manual_unrollILi128ELi4EZNS0_15gpu_kernel_implIZZZNS0_12_GLOBAL__N_120isposinf_kernel_implERNS_18TensorIteratorBaseEENKUlvE_clEvENKUlvE_clEvEUldE_EEvS5_RKT_EUlibE0_EEviT1_
    .private_segment_fixed_size: 0
    .sgpr_count:     70
    .sgpr_spill_count: 0
    .symbol:         _ZN2at6native32elementwise_kernel_manual_unrollILi128ELi4EZNS0_15gpu_kernel_implIZZZNS0_12_GLOBAL__N_120isposinf_kernel_implERNS_18TensorIteratorBaseEENKUlvE_clEvENKUlvE_clEvEUldE_EEvS5_RKT_EUlibE0_EEviT1_.kd
    .uniform_work_group_size: 1
    .uses_dynamic_stack: false
    .vgpr_count:     20
    .vgpr_spill_count: 0
    .wavefront_size: 32
  - .args:
      - .offset:         0
        .size:           4
        .value_kind:     by_value
      - .offset:         4
        .size:           1
        .value_kind:     by_value
      - .offset:         8
        .size:           16
        .value_kind:     by_value
    .group_segment_fixed_size: 0
    .kernarg_segment_align: 8
    .kernarg_segment_size: 24
    .language:       OpenCL C
    .language_version:
      - 2
      - 0
    .max_flat_workgroup_size: 256
    .name:           _ZN2at6native29vectorized_elementwise_kernelILi16EZZZNS0_12_GLOBAL__N_120isposinf_kernel_implERNS_18TensorIteratorBaseEENKUlvE_clEvENKUlvE0_clEvEUlfE_St5arrayIPcLm2EEEEviT0_T1_
    .private_segment_fixed_size: 0
    .sgpr_count:     26
    .sgpr_spill_count: 0
    .symbol:         _ZN2at6native29vectorized_elementwise_kernelILi16EZZZNS0_12_GLOBAL__N_120isposinf_kernel_implERNS_18TensorIteratorBaseEENKUlvE_clEvENKUlvE0_clEvEUlfE_St5arrayIPcLm2EEEEviT0_T1_.kd
    .uniform_work_group_size: 1
    .uses_dynamic_stack: false
    .vgpr_count:     18
    .vgpr_spill_count: 0
    .wavefront_size: 32
  - .args:
      - .offset:         0
        .size:           4
        .value_kind:     by_value
      - .offset:         4
        .size:           1
        .value_kind:     by_value
      - .offset:         8
        .size:           16
        .value_kind:     by_value
    .group_segment_fixed_size: 0
    .kernarg_segment_align: 8
    .kernarg_segment_size: 24
    .language:       OpenCL C
    .language_version:
      - 2
      - 0
    .max_flat_workgroup_size: 256
    .name:           _ZN2at6native29vectorized_elementwise_kernelILi8EZZZNS0_12_GLOBAL__N_120isposinf_kernel_implERNS_18TensorIteratorBaseEENKUlvE_clEvENKUlvE0_clEvEUlfE_St5arrayIPcLm2EEEEviT0_T1_
    .private_segment_fixed_size: 0
    .sgpr_count:     26
    .sgpr_spill_count: 0
    .symbol:         _ZN2at6native29vectorized_elementwise_kernelILi8EZZZNS0_12_GLOBAL__N_120isposinf_kernel_implERNS_18TensorIteratorBaseEENKUlvE_clEvENKUlvE0_clEvEUlfE_St5arrayIPcLm2EEEEviT0_T1_.kd
    .uniform_work_group_size: 1
    .uses_dynamic_stack: false
    .vgpr_count:     18
    .vgpr_spill_count: 0
    .wavefront_size: 32
  - .args:
      - .offset:         0
        .size:           4
        .value_kind:     by_value
      - .offset:         4
        .size:           1
        .value_kind:     by_value
      - .offset:         8
        .size:           16
        .value_kind:     by_value
    .group_segment_fixed_size: 0
    .kernarg_segment_align: 8
    .kernarg_segment_size: 24
    .language:       OpenCL C
    .language_version:
      - 2
      - 0
    .max_flat_workgroup_size: 256
    .name:           _ZN2at6native29vectorized_elementwise_kernelILi4EZZZNS0_12_GLOBAL__N_120isposinf_kernel_implERNS_18TensorIteratorBaseEENKUlvE_clEvENKUlvE0_clEvEUlfE_St5arrayIPcLm2EEEEviT0_T1_
    .private_segment_fixed_size: 0
    .sgpr_count:     26
    .sgpr_spill_count: 0
    .symbol:         _ZN2at6native29vectorized_elementwise_kernelILi4EZZZNS0_12_GLOBAL__N_120isposinf_kernel_implERNS_18TensorIteratorBaseEENKUlvE_clEvENKUlvE0_clEvEUlfE_St5arrayIPcLm2EEEEviT0_T1_.kd
    .uniform_work_group_size: 1
    .uses_dynamic_stack: false
    .vgpr_count:     18
    .vgpr_spill_count: 0
    .wavefront_size: 32
  - .args:
      - .offset:         0
        .size:           4
        .value_kind:     by_value
      - .offset:         4
        .size:           1
        .value_kind:     by_value
      - .offset:         8
        .size:           16
        .value_kind:     by_value
    .group_segment_fixed_size: 0
    .kernarg_segment_align: 8
    .kernarg_segment_size: 24
    .language:       OpenCL C
    .language_version:
      - 2
      - 0
    .max_flat_workgroup_size: 256
    .name:           _ZN2at6native29vectorized_elementwise_kernelILi2EZZZNS0_12_GLOBAL__N_120isposinf_kernel_implERNS_18TensorIteratorBaseEENKUlvE_clEvENKUlvE0_clEvEUlfE_St5arrayIPcLm2EEEEviT0_T1_
    .private_segment_fixed_size: 0
    .sgpr_count:     26
    .sgpr_spill_count: 0
    .symbol:         _ZN2at6native29vectorized_elementwise_kernelILi2EZZZNS0_12_GLOBAL__N_120isposinf_kernel_implERNS_18TensorIteratorBaseEENKUlvE_clEvENKUlvE0_clEvEUlfE_St5arrayIPcLm2EEEEviT0_T1_.kd
    .uniform_work_group_size: 1
    .uses_dynamic_stack: false
    .vgpr_count:     18
    .vgpr_spill_count: 0
    .wavefront_size: 32
  - .args:
      - .offset:         0
        .size:           4
        .value_kind:     by_value
      - .offset:         4
        .size:           1
        .value_kind:     by_value
      - .offset:         8
        .size:           16
        .value_kind:     by_value
      - .offset:         24
        .size:           1
        .value_kind:     by_value
      - .offset:         25
        .size:           1
        .value_kind:     by_value
      - .offset:         26
        .size:           1
        .value_kind:     by_value
      - .offset:         27
        .size:           1
        .value_kind:     by_value
    .group_segment_fixed_size: 0
    .kernarg_segment_align: 8
    .kernarg_segment_size: 28
    .language:       OpenCL C
    .language_version:
      - 2
      - 0
    .max_flat_workgroup_size: 256
    .name:           _ZN2at6native27unrolled_elementwise_kernelIZZZNS0_12_GLOBAL__N_120isposinf_kernel_implERNS_18TensorIteratorBaseEENKUlvE_clEvENKUlvE0_clEvEUlfE_St5arrayIPcLm2EELi4E23TrivialOffsetCalculatorILi1EjESC_NS0_6memory15LoadWithoutCastENSD_16StoreWithoutCastEEEviT_T0_T2_T3_T4_T5_
    .private_segment_fixed_size: 0
    .sgpr_count:     14
    .sgpr_spill_count: 0
    .symbol:         _ZN2at6native27unrolled_elementwise_kernelIZZZNS0_12_GLOBAL__N_120isposinf_kernel_implERNS_18TensorIteratorBaseEENKUlvE_clEvENKUlvE0_clEvEUlfE_St5arrayIPcLm2EELi4E23TrivialOffsetCalculatorILi1EjESC_NS0_6memory15LoadWithoutCastENSD_16StoreWithoutCastEEEviT_T0_T2_T3_T4_T5_.kd
    .uniform_work_group_size: 1
    .uses_dynamic_stack: false
    .vgpr_count:     6
    .vgpr_spill_count: 0
    .wavefront_size: 32
  - .args:
      - .offset:         0
        .size:           4
        .value_kind:     by_value
      - .offset:         8
        .size:           352
        .value_kind:     by_value
    .group_segment_fixed_size: 0
    .kernarg_segment_align: 8
    .kernarg_segment_size: 360
    .language:       OpenCL C
    .language_version:
      - 2
      - 0
    .max_flat_workgroup_size: 128
    .name:           _ZN2at6native32elementwise_kernel_manual_unrollILi128ELi8EZNS0_22gpu_kernel_impl_nocastIZZZNS0_12_GLOBAL__N_120isposinf_kernel_implERNS_18TensorIteratorBaseEENKUlvE_clEvENKUlvE0_clEvEUlfE_EEvS5_RKT_EUlibE_EEviT1_
    .private_segment_fixed_size: 0
    .sgpr_count:     62
    .sgpr_spill_count: 0
    .symbol:         _ZN2at6native32elementwise_kernel_manual_unrollILi128ELi8EZNS0_22gpu_kernel_impl_nocastIZZZNS0_12_GLOBAL__N_120isposinf_kernel_implERNS_18TensorIteratorBaseEENKUlvE_clEvENKUlvE0_clEvEUlfE_EEvS5_RKT_EUlibE_EEviT1_.kd
    .uniform_work_group_size: 1
    .uses_dynamic_stack: false
    .vgpr_count:     24
    .vgpr_spill_count: 0
    .wavefront_size: 32
  - .args:
      - .offset:         0
        .size:           4
        .value_kind:     by_value
      - .offset:         8
        .size:           32
        .value_kind:     by_value
    .group_segment_fixed_size: 0
    .kernarg_segment_align: 8
    .kernarg_segment_size: 40
    .language:       OpenCL C
    .language_version:
      - 2
      - 0
    .max_flat_workgroup_size: 128
    .name:           _ZN2at6native32elementwise_kernel_manual_unrollILi128ELi4EZNS0_15gpu_kernel_implIZZZNS0_12_GLOBAL__N_120isposinf_kernel_implERNS_18TensorIteratorBaseEENKUlvE_clEvENKUlvE0_clEvEUlfE_EEvS5_RKT_EUlibE_EEviT1_
    .private_segment_fixed_size: 0
    .sgpr_count:     29
    .sgpr_spill_count: 0
    .symbol:         _ZN2at6native32elementwise_kernel_manual_unrollILi128ELi4EZNS0_15gpu_kernel_implIZZZNS0_12_GLOBAL__N_120isposinf_kernel_implERNS_18TensorIteratorBaseEENKUlvE_clEvENKUlvE0_clEvEUlfE_EEvS5_RKT_EUlibE_EEviT1_.kd
    .uniform_work_group_size: 1
    .uses_dynamic_stack: false
    .vgpr_count:     14
    .vgpr_spill_count: 0
    .wavefront_size: 32
  - .args:
      - .offset:         0
        .size:           4
        .value_kind:     by_value
      - .offset:         8
        .size:           352
        .value_kind:     by_value
    .group_segment_fixed_size: 0
    .kernarg_segment_align: 8
    .kernarg_segment_size: 360
    .language:       OpenCL C
    .language_version:
      - 2
      - 0
    .max_flat_workgroup_size: 128
    .name:           _ZN2at6native32elementwise_kernel_manual_unrollILi128ELi4EZNS0_15gpu_kernel_implIZZZNS0_12_GLOBAL__N_120isposinf_kernel_implERNS_18TensorIteratorBaseEENKUlvE_clEvENKUlvE0_clEvEUlfE_EEvS5_RKT_EUlibE0_EEviT1_
    .private_segment_fixed_size: 0
    .sgpr_count:     70
    .sgpr_spill_count: 0
    .symbol:         _ZN2at6native32elementwise_kernel_manual_unrollILi128ELi4EZNS0_15gpu_kernel_implIZZZNS0_12_GLOBAL__N_120isposinf_kernel_implERNS_18TensorIteratorBaseEENKUlvE_clEvENKUlvE0_clEvEUlfE_EEvS5_RKT_EUlibE0_EEviT1_.kd
    .uniform_work_group_size: 1
    .uses_dynamic_stack: false
    .vgpr_count:     18
    .vgpr_spill_count: 0
    .wavefront_size: 32
  - .args:
      - .offset:         0
        .size:           4
        .value_kind:     by_value
      - .offset:         4
        .size:           1
        .value_kind:     by_value
      - .offset:         8
        .size:           16
        .value_kind:     by_value
    .group_segment_fixed_size: 0
    .kernarg_segment_align: 8
    .kernarg_segment_size: 24
    .language:       OpenCL C
    .language_version:
      - 2
      - 0
    .max_flat_workgroup_size: 256
    .name:           _ZN2at6native29vectorized_elementwise_kernelILi16EZZZNS0_12_GLOBAL__N_120isposinf_kernel_implERNS_18TensorIteratorBaseEENKUlvE_clEvENKUlvE1_clEvEUlN3c104HalfEE_St5arrayIPcLm2EEEEviT0_T1_
    .private_segment_fixed_size: 0
    .sgpr_count:     26
    .sgpr_spill_count: 0
    .symbol:         _ZN2at6native29vectorized_elementwise_kernelILi16EZZZNS0_12_GLOBAL__N_120isposinf_kernel_implERNS_18TensorIteratorBaseEENKUlvE_clEvENKUlvE1_clEvEUlN3c104HalfEE_St5arrayIPcLm2EEEEviT0_T1_.kd
    .uniform_work_group_size: 1
    .uses_dynamic_stack: false
    .vgpr_count:     17
    .vgpr_spill_count: 0
    .wavefront_size: 32
  - .args:
      - .offset:         0
        .size:           4
        .value_kind:     by_value
      - .offset:         4
        .size:           1
        .value_kind:     by_value
      - .offset:         8
        .size:           16
        .value_kind:     by_value
    .group_segment_fixed_size: 0
    .kernarg_segment_align: 8
    .kernarg_segment_size: 24
    .language:       OpenCL C
    .language_version:
      - 2
      - 0
    .max_flat_workgroup_size: 256
    .name:           _ZN2at6native29vectorized_elementwise_kernelILi8EZZZNS0_12_GLOBAL__N_120isposinf_kernel_implERNS_18TensorIteratorBaseEENKUlvE_clEvENKUlvE1_clEvEUlN3c104HalfEE_St5arrayIPcLm2EEEEviT0_T1_
    .private_segment_fixed_size: 0
    .sgpr_count:     26
    .sgpr_spill_count: 0
    .symbol:         _ZN2at6native29vectorized_elementwise_kernelILi8EZZZNS0_12_GLOBAL__N_120isposinf_kernel_implERNS_18TensorIteratorBaseEENKUlvE_clEvENKUlvE1_clEvEUlN3c104HalfEE_St5arrayIPcLm2EEEEviT0_T1_.kd
    .uniform_work_group_size: 1
    .uses_dynamic_stack: false
    .vgpr_count:     17
    .vgpr_spill_count: 0
    .wavefront_size: 32
  - .args:
      - .offset:         0
        .size:           4
        .value_kind:     by_value
      - .offset:         4
        .size:           1
        .value_kind:     by_value
      - .offset:         8
        .size:           16
        .value_kind:     by_value
    .group_segment_fixed_size: 0
    .kernarg_segment_align: 8
    .kernarg_segment_size: 24
    .language:       OpenCL C
    .language_version:
      - 2
      - 0
    .max_flat_workgroup_size: 256
    .name:           _ZN2at6native29vectorized_elementwise_kernelILi4EZZZNS0_12_GLOBAL__N_120isposinf_kernel_implERNS_18TensorIteratorBaseEENKUlvE_clEvENKUlvE1_clEvEUlN3c104HalfEE_St5arrayIPcLm2EEEEviT0_T1_
    .private_segment_fixed_size: 0
    .sgpr_count:     26
    .sgpr_spill_count: 0
    .symbol:         _ZN2at6native29vectorized_elementwise_kernelILi4EZZZNS0_12_GLOBAL__N_120isposinf_kernel_implERNS_18TensorIteratorBaseEENKUlvE_clEvENKUlvE1_clEvEUlN3c104HalfEE_St5arrayIPcLm2EEEEviT0_T1_.kd
    .uniform_work_group_size: 1
    .uses_dynamic_stack: false
    .vgpr_count:     17
    .vgpr_spill_count: 0
    .wavefront_size: 32
  - .args:
      - .offset:         0
        .size:           4
        .value_kind:     by_value
      - .offset:         4
        .size:           1
        .value_kind:     by_value
      - .offset:         8
        .size:           16
        .value_kind:     by_value
    .group_segment_fixed_size: 0
    .kernarg_segment_align: 8
    .kernarg_segment_size: 24
    .language:       OpenCL C
    .language_version:
      - 2
      - 0
    .max_flat_workgroup_size: 256
    .name:           _ZN2at6native29vectorized_elementwise_kernelILi2EZZZNS0_12_GLOBAL__N_120isposinf_kernel_implERNS_18TensorIteratorBaseEENKUlvE_clEvENKUlvE1_clEvEUlN3c104HalfEE_St5arrayIPcLm2EEEEviT0_T1_
    .private_segment_fixed_size: 0
    .sgpr_count:     26
    .sgpr_spill_count: 0
    .symbol:         _ZN2at6native29vectorized_elementwise_kernelILi2EZZZNS0_12_GLOBAL__N_120isposinf_kernel_implERNS_18TensorIteratorBaseEENKUlvE_clEvENKUlvE1_clEvEUlN3c104HalfEE_St5arrayIPcLm2EEEEviT0_T1_.kd
    .uniform_work_group_size: 1
    .uses_dynamic_stack: false
    .vgpr_count:     17
    .vgpr_spill_count: 0
    .wavefront_size: 32
  - .args:
      - .offset:         0
        .size:           4
        .value_kind:     by_value
      - .offset:         4
        .size:           1
        .value_kind:     by_value
      - .offset:         8
        .size:           16
        .value_kind:     by_value
      - .offset:         24
        .size:           1
        .value_kind:     by_value
      - .offset:         25
        .size:           1
        .value_kind:     by_value
      - .offset:         26
        .size:           1
        .value_kind:     by_value
      - .offset:         27
        .size:           1
        .value_kind:     by_value
    .group_segment_fixed_size: 0
    .kernarg_segment_align: 8
    .kernarg_segment_size: 28
    .language:       OpenCL C
    .language_version:
      - 2
      - 0
    .max_flat_workgroup_size: 256
    .name:           _ZN2at6native27unrolled_elementwise_kernelIZZZNS0_12_GLOBAL__N_120isposinf_kernel_implERNS_18TensorIteratorBaseEENKUlvE_clEvENKUlvE1_clEvEUlN3c104HalfEE_St5arrayIPcLm2EELi4E23TrivialOffsetCalculatorILi1EjESE_NS0_6memory15LoadWithoutCastENSF_16StoreWithoutCastEEEviT_T0_T2_T3_T4_T5_
    .private_segment_fixed_size: 0
    .sgpr_count:     14
    .sgpr_spill_count: 0
    .symbol:         _ZN2at6native27unrolled_elementwise_kernelIZZZNS0_12_GLOBAL__N_120isposinf_kernel_implERNS_18TensorIteratorBaseEENKUlvE_clEvENKUlvE1_clEvEUlN3c104HalfEE_St5arrayIPcLm2EELi4E23TrivialOffsetCalculatorILi1EjESE_NS0_6memory15LoadWithoutCastENSF_16StoreWithoutCastEEEviT_T0_T2_T3_T4_T5_.kd
    .uniform_work_group_size: 1
    .uses_dynamic_stack: false
    .vgpr_count:     6
    .vgpr_spill_count: 0
    .wavefront_size: 32
  - .args:
      - .offset:         0
        .size:           4
        .value_kind:     by_value
      - .offset:         8
        .size:           352
        .value_kind:     by_value
    .group_segment_fixed_size: 0
    .kernarg_segment_align: 8
    .kernarg_segment_size: 360
    .language:       OpenCL C
    .language_version:
      - 2
      - 0
    .max_flat_workgroup_size: 128
    .name:           _ZN2at6native32elementwise_kernel_manual_unrollILi128ELi8EZNS0_22gpu_kernel_impl_nocastIZZZNS0_12_GLOBAL__N_120isposinf_kernel_implERNS_18TensorIteratorBaseEENKUlvE_clEvENKUlvE1_clEvEUlN3c104HalfEE_EEvS5_RKT_EUlibE_EEviT1_
    .private_segment_fixed_size: 0
    .sgpr_count:     62
    .sgpr_spill_count: 0
    .symbol:         _ZN2at6native32elementwise_kernel_manual_unrollILi128ELi8EZNS0_22gpu_kernel_impl_nocastIZZZNS0_12_GLOBAL__N_120isposinf_kernel_implERNS_18TensorIteratorBaseEENKUlvE_clEvENKUlvE1_clEvEUlN3c104HalfEE_EEvS5_RKT_EUlibE_EEviT1_.kd
    .uniform_work_group_size: 1
    .uses_dynamic_stack: false
    .vgpr_count:     24
    .vgpr_spill_count: 0
    .wavefront_size: 32
  - .args:
      - .offset:         0
        .size:           4
        .value_kind:     by_value
      - .offset:         8
        .size:           32
        .value_kind:     by_value
    .group_segment_fixed_size: 0
    .kernarg_segment_align: 8
    .kernarg_segment_size: 40
    .language:       OpenCL C
    .language_version:
      - 2
      - 0
    .max_flat_workgroup_size: 128
    .name:           _ZN2at6native32elementwise_kernel_manual_unrollILi128ELi4EZNS0_15gpu_kernel_implIZZZNS0_12_GLOBAL__N_120isposinf_kernel_implERNS_18TensorIteratorBaseEENKUlvE_clEvENKUlvE1_clEvEUlN3c104HalfEE_EEvS5_RKT_EUlibE_EEviT1_
    .private_segment_fixed_size: 0
    .sgpr_count:     29
    .sgpr_spill_count: 0
    .symbol:         _ZN2at6native32elementwise_kernel_manual_unrollILi128ELi4EZNS0_15gpu_kernel_implIZZZNS0_12_GLOBAL__N_120isposinf_kernel_implERNS_18TensorIteratorBaseEENKUlvE_clEvENKUlvE1_clEvEUlN3c104HalfEE_EEvS5_RKT_EUlibE_EEviT1_.kd
    .uniform_work_group_size: 1
    .uses_dynamic_stack: false
    .vgpr_count:     14
    .vgpr_spill_count: 0
    .wavefront_size: 32
  - .args:
      - .offset:         0
        .size:           4
        .value_kind:     by_value
      - .offset:         8
        .size:           352
        .value_kind:     by_value
    .group_segment_fixed_size: 0
    .kernarg_segment_align: 8
    .kernarg_segment_size: 360
    .language:       OpenCL C
    .language_version:
      - 2
      - 0
    .max_flat_workgroup_size: 128
    .name:           _ZN2at6native32elementwise_kernel_manual_unrollILi128ELi4EZNS0_15gpu_kernel_implIZZZNS0_12_GLOBAL__N_120isposinf_kernel_implERNS_18TensorIteratorBaseEENKUlvE_clEvENKUlvE1_clEvEUlN3c104HalfEE_EEvS5_RKT_EUlibE0_EEviT1_
    .private_segment_fixed_size: 0
    .sgpr_count:     70
    .sgpr_spill_count: 0
    .symbol:         _ZN2at6native32elementwise_kernel_manual_unrollILi128ELi4EZNS0_15gpu_kernel_implIZZZNS0_12_GLOBAL__N_120isposinf_kernel_implERNS_18TensorIteratorBaseEENKUlvE_clEvENKUlvE1_clEvEUlN3c104HalfEE_EEvS5_RKT_EUlibE0_EEviT1_.kd
    .uniform_work_group_size: 1
    .uses_dynamic_stack: false
    .vgpr_count:     18
    .vgpr_spill_count: 0
    .wavefront_size: 32
  - .args:
      - .offset:         0
        .size:           4
        .value_kind:     by_value
      - .offset:         4
        .size:           1
        .value_kind:     by_value
      - .offset:         8
        .size:           16
        .value_kind:     by_value
    .group_segment_fixed_size: 0
    .kernarg_segment_align: 8
    .kernarg_segment_size: 24
    .language:       OpenCL C
    .language_version:
      - 2
      - 0
    .max_flat_workgroup_size: 256
    .name:           _ZN2at6native29vectorized_elementwise_kernelILi16EZZZNS0_12_GLOBAL__N_120isposinf_kernel_implERNS_18TensorIteratorBaseEENKUlvE_clEvENKUlvE2_clEvEUlN3c108BFloat16EE_St5arrayIPcLm2EEEEviT0_T1_
    .private_segment_fixed_size: 0
    .sgpr_count:     26
    .sgpr_spill_count: 0
    .symbol:         _ZN2at6native29vectorized_elementwise_kernelILi16EZZZNS0_12_GLOBAL__N_120isposinf_kernel_implERNS_18TensorIteratorBaseEENKUlvE_clEvENKUlvE2_clEvEUlN3c108BFloat16EE_St5arrayIPcLm2EEEEviT0_T1_.kd
    .uniform_work_group_size: 1
    .uses_dynamic_stack: false
    .vgpr_count:     17
    .vgpr_spill_count: 0
    .wavefront_size: 32
  - .args:
      - .offset:         0
        .size:           4
        .value_kind:     by_value
      - .offset:         4
        .size:           1
        .value_kind:     by_value
      - .offset:         8
        .size:           16
        .value_kind:     by_value
    .group_segment_fixed_size: 0
    .kernarg_segment_align: 8
    .kernarg_segment_size: 24
    .language:       OpenCL C
    .language_version:
      - 2
      - 0
    .max_flat_workgroup_size: 256
    .name:           _ZN2at6native29vectorized_elementwise_kernelILi8EZZZNS0_12_GLOBAL__N_120isposinf_kernel_implERNS_18TensorIteratorBaseEENKUlvE_clEvENKUlvE2_clEvEUlN3c108BFloat16EE_St5arrayIPcLm2EEEEviT0_T1_
    .private_segment_fixed_size: 0
    .sgpr_count:     26
    .sgpr_spill_count: 0
    .symbol:         _ZN2at6native29vectorized_elementwise_kernelILi8EZZZNS0_12_GLOBAL__N_120isposinf_kernel_implERNS_18TensorIteratorBaseEENKUlvE_clEvENKUlvE2_clEvEUlN3c108BFloat16EE_St5arrayIPcLm2EEEEviT0_T1_.kd
    .uniform_work_group_size: 1
    .uses_dynamic_stack: false
    .vgpr_count:     17
    .vgpr_spill_count: 0
    .wavefront_size: 32
  - .args:
      - .offset:         0
        .size:           4
        .value_kind:     by_value
      - .offset:         4
        .size:           1
        .value_kind:     by_value
      - .offset:         8
        .size:           16
        .value_kind:     by_value
    .group_segment_fixed_size: 0
    .kernarg_segment_align: 8
    .kernarg_segment_size: 24
    .language:       OpenCL C
    .language_version:
      - 2
      - 0
    .max_flat_workgroup_size: 256
    .name:           _ZN2at6native29vectorized_elementwise_kernelILi4EZZZNS0_12_GLOBAL__N_120isposinf_kernel_implERNS_18TensorIteratorBaseEENKUlvE_clEvENKUlvE2_clEvEUlN3c108BFloat16EE_St5arrayIPcLm2EEEEviT0_T1_
    .private_segment_fixed_size: 0
    .sgpr_count:     26
    .sgpr_spill_count: 0
    .symbol:         _ZN2at6native29vectorized_elementwise_kernelILi4EZZZNS0_12_GLOBAL__N_120isposinf_kernel_implERNS_18TensorIteratorBaseEENKUlvE_clEvENKUlvE2_clEvEUlN3c108BFloat16EE_St5arrayIPcLm2EEEEviT0_T1_.kd
    .uniform_work_group_size: 1
    .uses_dynamic_stack: false
    .vgpr_count:     17
    .vgpr_spill_count: 0
    .wavefront_size: 32
  - .args:
      - .offset:         0
        .size:           4
        .value_kind:     by_value
      - .offset:         4
        .size:           1
        .value_kind:     by_value
      - .offset:         8
        .size:           16
        .value_kind:     by_value
    .group_segment_fixed_size: 0
    .kernarg_segment_align: 8
    .kernarg_segment_size: 24
    .language:       OpenCL C
    .language_version:
      - 2
      - 0
    .max_flat_workgroup_size: 256
    .name:           _ZN2at6native29vectorized_elementwise_kernelILi2EZZZNS0_12_GLOBAL__N_120isposinf_kernel_implERNS_18TensorIteratorBaseEENKUlvE_clEvENKUlvE2_clEvEUlN3c108BFloat16EE_St5arrayIPcLm2EEEEviT0_T1_
    .private_segment_fixed_size: 0
    .sgpr_count:     26
    .sgpr_spill_count: 0
    .symbol:         _ZN2at6native29vectorized_elementwise_kernelILi2EZZZNS0_12_GLOBAL__N_120isposinf_kernel_implERNS_18TensorIteratorBaseEENKUlvE_clEvENKUlvE2_clEvEUlN3c108BFloat16EE_St5arrayIPcLm2EEEEviT0_T1_.kd
    .uniform_work_group_size: 1
    .uses_dynamic_stack: false
    .vgpr_count:     17
    .vgpr_spill_count: 0
    .wavefront_size: 32
  - .args:
      - .offset:         0
        .size:           4
        .value_kind:     by_value
      - .offset:         4
        .size:           1
        .value_kind:     by_value
      - .offset:         8
        .size:           16
        .value_kind:     by_value
      - .offset:         24
        .size:           1
        .value_kind:     by_value
      - .offset:         25
        .size:           1
        .value_kind:     by_value
      - .offset:         26
        .size:           1
        .value_kind:     by_value
      - .offset:         27
        .size:           1
        .value_kind:     by_value
    .group_segment_fixed_size: 0
    .kernarg_segment_align: 8
    .kernarg_segment_size: 28
    .language:       OpenCL C
    .language_version:
      - 2
      - 0
    .max_flat_workgroup_size: 256
    .name:           _ZN2at6native27unrolled_elementwise_kernelIZZZNS0_12_GLOBAL__N_120isposinf_kernel_implERNS_18TensorIteratorBaseEENKUlvE_clEvENKUlvE2_clEvEUlN3c108BFloat16EE_St5arrayIPcLm2EELi4E23TrivialOffsetCalculatorILi1EjESE_NS0_6memory15LoadWithoutCastENSF_16StoreWithoutCastEEEviT_T0_T2_T3_T4_T5_
    .private_segment_fixed_size: 0
    .sgpr_count:     14
    .sgpr_spill_count: 0
    .symbol:         _ZN2at6native27unrolled_elementwise_kernelIZZZNS0_12_GLOBAL__N_120isposinf_kernel_implERNS_18TensorIteratorBaseEENKUlvE_clEvENKUlvE2_clEvEUlN3c108BFloat16EE_St5arrayIPcLm2EELi4E23TrivialOffsetCalculatorILi1EjESE_NS0_6memory15LoadWithoutCastENSF_16StoreWithoutCastEEEviT_T0_T2_T3_T4_T5_.kd
    .uniform_work_group_size: 1
    .uses_dynamic_stack: false
    .vgpr_count:     6
    .vgpr_spill_count: 0
    .wavefront_size: 32
  - .args:
      - .offset:         0
        .size:           4
        .value_kind:     by_value
      - .offset:         8
        .size:           352
        .value_kind:     by_value
    .group_segment_fixed_size: 0
    .kernarg_segment_align: 8
    .kernarg_segment_size: 360
    .language:       OpenCL C
    .language_version:
      - 2
      - 0
    .max_flat_workgroup_size: 128
    .name:           _ZN2at6native32elementwise_kernel_manual_unrollILi128ELi8EZNS0_22gpu_kernel_impl_nocastIZZZNS0_12_GLOBAL__N_120isposinf_kernel_implERNS_18TensorIteratorBaseEENKUlvE_clEvENKUlvE2_clEvEUlN3c108BFloat16EE_EEvS5_RKT_EUlibE_EEviT1_
    .private_segment_fixed_size: 0
    .sgpr_count:     62
    .sgpr_spill_count: 0
    .symbol:         _ZN2at6native32elementwise_kernel_manual_unrollILi128ELi8EZNS0_22gpu_kernel_impl_nocastIZZZNS0_12_GLOBAL__N_120isposinf_kernel_implERNS_18TensorIteratorBaseEENKUlvE_clEvENKUlvE2_clEvEUlN3c108BFloat16EE_EEvS5_RKT_EUlibE_EEviT1_.kd
    .uniform_work_group_size: 1
    .uses_dynamic_stack: false
    .vgpr_count:     24
    .vgpr_spill_count: 0
    .wavefront_size: 32
  - .args:
      - .offset:         0
        .size:           4
        .value_kind:     by_value
      - .offset:         8
        .size:           32
        .value_kind:     by_value
    .group_segment_fixed_size: 0
    .kernarg_segment_align: 8
    .kernarg_segment_size: 40
    .language:       OpenCL C
    .language_version:
      - 2
      - 0
    .max_flat_workgroup_size: 128
    .name:           _ZN2at6native32elementwise_kernel_manual_unrollILi128ELi4EZNS0_15gpu_kernel_implIZZZNS0_12_GLOBAL__N_120isposinf_kernel_implERNS_18TensorIteratorBaseEENKUlvE_clEvENKUlvE2_clEvEUlN3c108BFloat16EE_EEvS5_RKT_EUlibE_EEviT1_
    .private_segment_fixed_size: 0
    .sgpr_count:     29
    .sgpr_spill_count: 0
    .symbol:         _ZN2at6native32elementwise_kernel_manual_unrollILi128ELi4EZNS0_15gpu_kernel_implIZZZNS0_12_GLOBAL__N_120isposinf_kernel_implERNS_18TensorIteratorBaseEENKUlvE_clEvENKUlvE2_clEvEUlN3c108BFloat16EE_EEvS5_RKT_EUlibE_EEviT1_.kd
    .uniform_work_group_size: 1
    .uses_dynamic_stack: false
    .vgpr_count:     14
    .vgpr_spill_count: 0
    .wavefront_size: 32
  - .args:
      - .offset:         0
        .size:           4
        .value_kind:     by_value
      - .offset:         8
        .size:           352
        .value_kind:     by_value
    .group_segment_fixed_size: 0
    .kernarg_segment_align: 8
    .kernarg_segment_size: 360
    .language:       OpenCL C
    .language_version:
      - 2
      - 0
    .max_flat_workgroup_size: 128
    .name:           _ZN2at6native32elementwise_kernel_manual_unrollILi128ELi4EZNS0_15gpu_kernel_implIZZZNS0_12_GLOBAL__N_120isposinf_kernel_implERNS_18TensorIteratorBaseEENKUlvE_clEvENKUlvE2_clEvEUlN3c108BFloat16EE_EEvS5_RKT_EUlibE0_EEviT1_
    .private_segment_fixed_size: 0
    .sgpr_count:     70
    .sgpr_spill_count: 0
    .symbol:         _ZN2at6native32elementwise_kernel_manual_unrollILi128ELi4EZNS0_15gpu_kernel_implIZZZNS0_12_GLOBAL__N_120isposinf_kernel_implERNS_18TensorIteratorBaseEENKUlvE_clEvENKUlvE2_clEvEUlN3c108BFloat16EE_EEvS5_RKT_EUlibE0_EEviT1_.kd
    .uniform_work_group_size: 1
    .uses_dynamic_stack: false
    .vgpr_count:     18
    .vgpr_spill_count: 0
    .wavefront_size: 32
  - .args:
      - .offset:         0
        .size:           4
        .value_kind:     by_value
      - .offset:         4
        .size:           1
        .value_kind:     by_value
      - .offset:         8
        .size:           16
        .value_kind:     by_value
    .group_segment_fixed_size: 0
    .kernarg_segment_align: 8
    .kernarg_segment_size: 24
    .language:       OpenCL C
    .language_version:
      - 2
      - 0
    .max_flat_workgroup_size: 256
    .name:           _ZN2at6native29vectorized_elementwise_kernelILi16EZZZNS0_12_GLOBAL__N_120isneginf_kernel_implERNS_18TensorIteratorBaseEENKUlvE_clEvENKUlvE_clEvEUldE_St5arrayIPcLm2EEEEviT0_T1_
    .private_segment_fixed_size: 0
    .sgpr_count:     26
    .sgpr_spill_count: 0
    .symbol:         _ZN2at6native29vectorized_elementwise_kernelILi16EZZZNS0_12_GLOBAL__N_120isneginf_kernel_implERNS_18TensorIteratorBaseEENKUlvE_clEvENKUlvE_clEvEUldE_St5arrayIPcLm2EEEEviT0_T1_.kd
    .uniform_work_group_size: 1
    .uses_dynamic_stack: false
    .vgpr_count:     34
    .vgpr_spill_count: 0
    .wavefront_size: 32
  - .args:
      - .offset:         0
        .size:           4
        .value_kind:     by_value
      - .offset:         4
        .size:           1
        .value_kind:     by_value
      - .offset:         8
        .size:           16
        .value_kind:     by_value
    .group_segment_fixed_size: 0
    .kernarg_segment_align: 8
    .kernarg_segment_size: 24
    .language:       OpenCL C
    .language_version:
      - 2
      - 0
    .max_flat_workgroup_size: 256
    .name:           _ZN2at6native29vectorized_elementwise_kernelILi8EZZZNS0_12_GLOBAL__N_120isneginf_kernel_implERNS_18TensorIteratorBaseEENKUlvE_clEvENKUlvE_clEvEUldE_St5arrayIPcLm2EEEEviT0_T1_
    .private_segment_fixed_size: 0
    .sgpr_count:     26
    .sgpr_spill_count: 0
    .symbol:         _ZN2at6native29vectorized_elementwise_kernelILi8EZZZNS0_12_GLOBAL__N_120isneginf_kernel_implERNS_18TensorIteratorBaseEENKUlvE_clEvENKUlvE_clEvEUldE_St5arrayIPcLm2EEEEviT0_T1_.kd
    .uniform_work_group_size: 1
    .uses_dynamic_stack: false
    .vgpr_count:     34
    .vgpr_spill_count: 0
    .wavefront_size: 32
  - .args:
      - .offset:         0
        .size:           4
        .value_kind:     by_value
      - .offset:         4
        .size:           1
        .value_kind:     by_value
      - .offset:         8
        .size:           16
        .value_kind:     by_value
    .group_segment_fixed_size: 0
    .kernarg_segment_align: 8
    .kernarg_segment_size: 24
    .language:       OpenCL C
    .language_version:
      - 2
      - 0
    .max_flat_workgroup_size: 256
    .name:           _ZN2at6native29vectorized_elementwise_kernelILi4EZZZNS0_12_GLOBAL__N_120isneginf_kernel_implERNS_18TensorIteratorBaseEENKUlvE_clEvENKUlvE_clEvEUldE_St5arrayIPcLm2EEEEviT0_T1_
    .private_segment_fixed_size: 0
    .sgpr_count:     26
    .sgpr_spill_count: 0
    .symbol:         _ZN2at6native29vectorized_elementwise_kernelILi4EZZZNS0_12_GLOBAL__N_120isneginf_kernel_implERNS_18TensorIteratorBaseEENKUlvE_clEvENKUlvE_clEvEUldE_St5arrayIPcLm2EEEEviT0_T1_.kd
    .uniform_work_group_size: 1
    .uses_dynamic_stack: false
    .vgpr_count:     34
    .vgpr_spill_count: 0
    .wavefront_size: 32
  - .args:
      - .offset:         0
        .size:           4
        .value_kind:     by_value
      - .offset:         4
        .size:           1
        .value_kind:     by_value
      - .offset:         8
        .size:           16
        .value_kind:     by_value
    .group_segment_fixed_size: 0
    .kernarg_segment_align: 8
    .kernarg_segment_size: 24
    .language:       OpenCL C
    .language_version:
      - 2
      - 0
    .max_flat_workgroup_size: 256
    .name:           _ZN2at6native29vectorized_elementwise_kernelILi2EZZZNS0_12_GLOBAL__N_120isneginf_kernel_implERNS_18TensorIteratorBaseEENKUlvE_clEvENKUlvE_clEvEUldE_St5arrayIPcLm2EEEEviT0_T1_
    .private_segment_fixed_size: 0
    .sgpr_count:     26
    .sgpr_spill_count: 0
    .symbol:         _ZN2at6native29vectorized_elementwise_kernelILi2EZZZNS0_12_GLOBAL__N_120isneginf_kernel_implERNS_18TensorIteratorBaseEENKUlvE_clEvENKUlvE_clEvEUldE_St5arrayIPcLm2EEEEviT0_T1_.kd
    .uniform_work_group_size: 1
    .uses_dynamic_stack: false
    .vgpr_count:     34
    .vgpr_spill_count: 0
    .wavefront_size: 32
  - .args:
      - .offset:         0
        .size:           4
        .value_kind:     by_value
      - .offset:         4
        .size:           1
        .value_kind:     by_value
      - .offset:         8
        .size:           16
        .value_kind:     by_value
      - .offset:         24
        .size:           1
        .value_kind:     by_value
      - .offset:         25
        .size:           1
        .value_kind:     by_value
      - .offset:         26
        .size:           1
        .value_kind:     by_value
      - .offset:         27
        .size:           1
        .value_kind:     by_value
    .group_segment_fixed_size: 0
    .kernarg_segment_align: 8
    .kernarg_segment_size: 28
    .language:       OpenCL C
    .language_version:
      - 2
      - 0
    .max_flat_workgroup_size: 256
    .name:           _ZN2at6native27unrolled_elementwise_kernelIZZZNS0_12_GLOBAL__N_120isneginf_kernel_implERNS_18TensorIteratorBaseEENKUlvE_clEvENKUlvE_clEvEUldE_St5arrayIPcLm2EELi4E23TrivialOffsetCalculatorILi1EjESC_NS0_6memory15LoadWithoutCastENSD_16StoreWithoutCastEEEviT_T0_T2_T3_T4_T5_
    .private_segment_fixed_size: 0
    .sgpr_count:     14
    .sgpr_spill_count: 0
    .symbol:         _ZN2at6native27unrolled_elementwise_kernelIZZZNS0_12_GLOBAL__N_120isneginf_kernel_implERNS_18TensorIteratorBaseEENKUlvE_clEvENKUlvE_clEvEUldE_St5arrayIPcLm2EELi4E23TrivialOffsetCalculatorILi1EjESC_NS0_6memory15LoadWithoutCastENSD_16StoreWithoutCastEEEviT_T0_T2_T3_T4_T5_.kd
    .uniform_work_group_size: 1
    .uses_dynamic_stack: false
    .vgpr_count:     6
    .vgpr_spill_count: 0
    .wavefront_size: 32
  - .args:
      - .offset:         0
        .size:           4
        .value_kind:     by_value
      - .offset:         8
        .size:           352
        .value_kind:     by_value
    .group_segment_fixed_size: 0
    .kernarg_segment_align: 8
    .kernarg_segment_size: 360
    .language:       OpenCL C
    .language_version:
      - 2
      - 0
    .max_flat_workgroup_size: 128
    .name:           _ZN2at6native32elementwise_kernel_manual_unrollILi128ELi8EZNS0_22gpu_kernel_impl_nocastIZZZNS0_12_GLOBAL__N_120isneginf_kernel_implERNS_18TensorIteratorBaseEENKUlvE_clEvENKUlvE_clEvEUldE_EEvS5_RKT_EUlibE_EEviT1_
    .private_segment_fixed_size: 0
    .sgpr_count:     62
    .sgpr_spill_count: 0
    .symbol:         _ZN2at6native32elementwise_kernel_manual_unrollILi128ELi8EZNS0_22gpu_kernel_impl_nocastIZZZNS0_12_GLOBAL__N_120isneginf_kernel_implERNS_18TensorIteratorBaseEENKUlvE_clEvENKUlvE_clEvEUldE_EEvS5_RKT_EUlibE_EEviT1_.kd
    .uniform_work_group_size: 1
    .uses_dynamic_stack: false
    .vgpr_count:     32
    .vgpr_spill_count: 0
    .wavefront_size: 32
  - .args:
      - .offset:         0
        .size:           4
        .value_kind:     by_value
      - .offset:         8
        .size:           32
        .value_kind:     by_value
    .group_segment_fixed_size: 0
    .kernarg_segment_align: 8
    .kernarg_segment_size: 40
    .language:       OpenCL C
    .language_version:
      - 2
      - 0
    .max_flat_workgroup_size: 128
    .name:           _ZN2at6native32elementwise_kernel_manual_unrollILi128ELi4EZNS0_15gpu_kernel_implIZZZNS0_12_GLOBAL__N_120isneginf_kernel_implERNS_18TensorIteratorBaseEENKUlvE_clEvENKUlvE_clEvEUldE_EEvS5_RKT_EUlibE_EEviT1_
    .private_segment_fixed_size: 0
    .sgpr_count:     29
    .sgpr_spill_count: 0
    .symbol:         _ZN2at6native32elementwise_kernel_manual_unrollILi128ELi4EZNS0_15gpu_kernel_implIZZZNS0_12_GLOBAL__N_120isneginf_kernel_implERNS_18TensorIteratorBaseEENKUlvE_clEvENKUlvE_clEvEUldE_EEvS5_RKT_EUlibE_EEviT1_.kd
    .uniform_work_group_size: 1
    .uses_dynamic_stack: false
    .vgpr_count:     15
    .vgpr_spill_count: 0
    .wavefront_size: 32
  - .args:
      - .offset:         0
        .size:           4
        .value_kind:     by_value
      - .offset:         8
        .size:           352
        .value_kind:     by_value
    .group_segment_fixed_size: 0
    .kernarg_segment_align: 8
    .kernarg_segment_size: 360
    .language:       OpenCL C
    .language_version:
      - 2
      - 0
    .max_flat_workgroup_size: 128
    .name:           _ZN2at6native32elementwise_kernel_manual_unrollILi128ELi4EZNS0_15gpu_kernel_implIZZZNS0_12_GLOBAL__N_120isneginf_kernel_implERNS_18TensorIteratorBaseEENKUlvE_clEvENKUlvE_clEvEUldE_EEvS5_RKT_EUlibE0_EEviT1_
    .private_segment_fixed_size: 0
    .sgpr_count:     70
    .sgpr_spill_count: 0
    .symbol:         _ZN2at6native32elementwise_kernel_manual_unrollILi128ELi4EZNS0_15gpu_kernel_implIZZZNS0_12_GLOBAL__N_120isneginf_kernel_implERNS_18TensorIteratorBaseEENKUlvE_clEvENKUlvE_clEvEUldE_EEvS5_RKT_EUlibE0_EEviT1_.kd
    .uniform_work_group_size: 1
    .uses_dynamic_stack: false
    .vgpr_count:     20
    .vgpr_spill_count: 0
    .wavefront_size: 32
  - .args:
      - .offset:         0
        .size:           4
        .value_kind:     by_value
      - .offset:         4
        .size:           1
        .value_kind:     by_value
      - .offset:         8
        .size:           16
        .value_kind:     by_value
    .group_segment_fixed_size: 0
    .kernarg_segment_align: 8
    .kernarg_segment_size: 24
    .language:       OpenCL C
    .language_version:
      - 2
      - 0
    .max_flat_workgroup_size: 256
    .name:           _ZN2at6native29vectorized_elementwise_kernelILi16EZZZNS0_12_GLOBAL__N_120isneginf_kernel_implERNS_18TensorIteratorBaseEENKUlvE_clEvENKUlvE0_clEvEUlfE_St5arrayIPcLm2EEEEviT0_T1_
    .private_segment_fixed_size: 0
    .sgpr_count:     26
    .sgpr_spill_count: 0
    .symbol:         _ZN2at6native29vectorized_elementwise_kernelILi16EZZZNS0_12_GLOBAL__N_120isneginf_kernel_implERNS_18TensorIteratorBaseEENKUlvE_clEvENKUlvE0_clEvEUlfE_St5arrayIPcLm2EEEEviT0_T1_.kd
    .uniform_work_group_size: 1
    .uses_dynamic_stack: false
    .vgpr_count:     18
    .vgpr_spill_count: 0
    .wavefront_size: 32
  - .args:
      - .offset:         0
        .size:           4
        .value_kind:     by_value
      - .offset:         4
        .size:           1
        .value_kind:     by_value
      - .offset:         8
        .size:           16
        .value_kind:     by_value
    .group_segment_fixed_size: 0
    .kernarg_segment_align: 8
    .kernarg_segment_size: 24
    .language:       OpenCL C
    .language_version:
      - 2
      - 0
    .max_flat_workgroup_size: 256
    .name:           _ZN2at6native29vectorized_elementwise_kernelILi8EZZZNS0_12_GLOBAL__N_120isneginf_kernel_implERNS_18TensorIteratorBaseEENKUlvE_clEvENKUlvE0_clEvEUlfE_St5arrayIPcLm2EEEEviT0_T1_
    .private_segment_fixed_size: 0
    .sgpr_count:     26
    .sgpr_spill_count: 0
    .symbol:         _ZN2at6native29vectorized_elementwise_kernelILi8EZZZNS0_12_GLOBAL__N_120isneginf_kernel_implERNS_18TensorIteratorBaseEENKUlvE_clEvENKUlvE0_clEvEUlfE_St5arrayIPcLm2EEEEviT0_T1_.kd
    .uniform_work_group_size: 1
    .uses_dynamic_stack: false
    .vgpr_count:     18
    .vgpr_spill_count: 0
    .wavefront_size: 32
  - .args:
      - .offset:         0
        .size:           4
        .value_kind:     by_value
      - .offset:         4
        .size:           1
        .value_kind:     by_value
      - .offset:         8
        .size:           16
        .value_kind:     by_value
    .group_segment_fixed_size: 0
    .kernarg_segment_align: 8
    .kernarg_segment_size: 24
    .language:       OpenCL C
    .language_version:
      - 2
      - 0
    .max_flat_workgroup_size: 256
    .name:           _ZN2at6native29vectorized_elementwise_kernelILi4EZZZNS0_12_GLOBAL__N_120isneginf_kernel_implERNS_18TensorIteratorBaseEENKUlvE_clEvENKUlvE0_clEvEUlfE_St5arrayIPcLm2EEEEviT0_T1_
    .private_segment_fixed_size: 0
    .sgpr_count:     26
    .sgpr_spill_count: 0
    .symbol:         _ZN2at6native29vectorized_elementwise_kernelILi4EZZZNS0_12_GLOBAL__N_120isneginf_kernel_implERNS_18TensorIteratorBaseEENKUlvE_clEvENKUlvE0_clEvEUlfE_St5arrayIPcLm2EEEEviT0_T1_.kd
    .uniform_work_group_size: 1
    .uses_dynamic_stack: false
    .vgpr_count:     18
    .vgpr_spill_count: 0
    .wavefront_size: 32
  - .args:
      - .offset:         0
        .size:           4
        .value_kind:     by_value
      - .offset:         4
        .size:           1
        .value_kind:     by_value
      - .offset:         8
        .size:           16
        .value_kind:     by_value
    .group_segment_fixed_size: 0
    .kernarg_segment_align: 8
    .kernarg_segment_size: 24
    .language:       OpenCL C
    .language_version:
      - 2
      - 0
    .max_flat_workgroup_size: 256
    .name:           _ZN2at6native29vectorized_elementwise_kernelILi2EZZZNS0_12_GLOBAL__N_120isneginf_kernel_implERNS_18TensorIteratorBaseEENKUlvE_clEvENKUlvE0_clEvEUlfE_St5arrayIPcLm2EEEEviT0_T1_
    .private_segment_fixed_size: 0
    .sgpr_count:     26
    .sgpr_spill_count: 0
    .symbol:         _ZN2at6native29vectorized_elementwise_kernelILi2EZZZNS0_12_GLOBAL__N_120isneginf_kernel_implERNS_18TensorIteratorBaseEENKUlvE_clEvENKUlvE0_clEvEUlfE_St5arrayIPcLm2EEEEviT0_T1_.kd
    .uniform_work_group_size: 1
    .uses_dynamic_stack: false
    .vgpr_count:     18
    .vgpr_spill_count: 0
    .wavefront_size: 32
  - .args:
      - .offset:         0
        .size:           4
        .value_kind:     by_value
      - .offset:         4
        .size:           1
        .value_kind:     by_value
      - .offset:         8
        .size:           16
        .value_kind:     by_value
      - .offset:         24
        .size:           1
        .value_kind:     by_value
      - .offset:         25
        .size:           1
        .value_kind:     by_value
      - .offset:         26
        .size:           1
        .value_kind:     by_value
      - .offset:         27
        .size:           1
        .value_kind:     by_value
    .group_segment_fixed_size: 0
    .kernarg_segment_align: 8
    .kernarg_segment_size: 28
    .language:       OpenCL C
    .language_version:
      - 2
      - 0
    .max_flat_workgroup_size: 256
    .name:           _ZN2at6native27unrolled_elementwise_kernelIZZZNS0_12_GLOBAL__N_120isneginf_kernel_implERNS_18TensorIteratorBaseEENKUlvE_clEvENKUlvE0_clEvEUlfE_St5arrayIPcLm2EELi4E23TrivialOffsetCalculatorILi1EjESC_NS0_6memory15LoadWithoutCastENSD_16StoreWithoutCastEEEviT_T0_T2_T3_T4_T5_
    .private_segment_fixed_size: 0
    .sgpr_count:     14
    .sgpr_spill_count: 0
    .symbol:         _ZN2at6native27unrolled_elementwise_kernelIZZZNS0_12_GLOBAL__N_120isneginf_kernel_implERNS_18TensorIteratorBaseEENKUlvE_clEvENKUlvE0_clEvEUlfE_St5arrayIPcLm2EELi4E23TrivialOffsetCalculatorILi1EjESC_NS0_6memory15LoadWithoutCastENSD_16StoreWithoutCastEEEviT_T0_T2_T3_T4_T5_.kd
    .uniform_work_group_size: 1
    .uses_dynamic_stack: false
    .vgpr_count:     6
    .vgpr_spill_count: 0
    .wavefront_size: 32
  - .args:
      - .offset:         0
        .size:           4
        .value_kind:     by_value
      - .offset:         8
        .size:           352
        .value_kind:     by_value
    .group_segment_fixed_size: 0
    .kernarg_segment_align: 8
    .kernarg_segment_size: 360
    .language:       OpenCL C
    .language_version:
      - 2
      - 0
    .max_flat_workgroup_size: 128
    .name:           _ZN2at6native32elementwise_kernel_manual_unrollILi128ELi8EZNS0_22gpu_kernel_impl_nocastIZZZNS0_12_GLOBAL__N_120isneginf_kernel_implERNS_18TensorIteratorBaseEENKUlvE_clEvENKUlvE0_clEvEUlfE_EEvS5_RKT_EUlibE_EEviT1_
    .private_segment_fixed_size: 0
    .sgpr_count:     62
    .sgpr_spill_count: 0
    .symbol:         _ZN2at6native32elementwise_kernel_manual_unrollILi128ELi8EZNS0_22gpu_kernel_impl_nocastIZZZNS0_12_GLOBAL__N_120isneginf_kernel_implERNS_18TensorIteratorBaseEENKUlvE_clEvENKUlvE0_clEvEUlfE_EEvS5_RKT_EUlibE_EEviT1_.kd
    .uniform_work_group_size: 1
    .uses_dynamic_stack: false
    .vgpr_count:     24
    .vgpr_spill_count: 0
    .wavefront_size: 32
  - .args:
      - .offset:         0
        .size:           4
        .value_kind:     by_value
      - .offset:         8
        .size:           32
        .value_kind:     by_value
    .group_segment_fixed_size: 0
    .kernarg_segment_align: 8
    .kernarg_segment_size: 40
    .language:       OpenCL C
    .language_version:
      - 2
      - 0
    .max_flat_workgroup_size: 128
    .name:           _ZN2at6native32elementwise_kernel_manual_unrollILi128ELi4EZNS0_15gpu_kernel_implIZZZNS0_12_GLOBAL__N_120isneginf_kernel_implERNS_18TensorIteratorBaseEENKUlvE_clEvENKUlvE0_clEvEUlfE_EEvS5_RKT_EUlibE_EEviT1_
    .private_segment_fixed_size: 0
    .sgpr_count:     29
    .sgpr_spill_count: 0
    .symbol:         _ZN2at6native32elementwise_kernel_manual_unrollILi128ELi4EZNS0_15gpu_kernel_implIZZZNS0_12_GLOBAL__N_120isneginf_kernel_implERNS_18TensorIteratorBaseEENKUlvE_clEvENKUlvE0_clEvEUlfE_EEvS5_RKT_EUlibE_EEviT1_.kd
    .uniform_work_group_size: 1
    .uses_dynamic_stack: false
    .vgpr_count:     14
    .vgpr_spill_count: 0
    .wavefront_size: 32
  - .args:
      - .offset:         0
        .size:           4
        .value_kind:     by_value
      - .offset:         8
        .size:           352
        .value_kind:     by_value
    .group_segment_fixed_size: 0
    .kernarg_segment_align: 8
    .kernarg_segment_size: 360
    .language:       OpenCL C
    .language_version:
      - 2
      - 0
    .max_flat_workgroup_size: 128
    .name:           _ZN2at6native32elementwise_kernel_manual_unrollILi128ELi4EZNS0_15gpu_kernel_implIZZZNS0_12_GLOBAL__N_120isneginf_kernel_implERNS_18TensorIteratorBaseEENKUlvE_clEvENKUlvE0_clEvEUlfE_EEvS5_RKT_EUlibE0_EEviT1_
    .private_segment_fixed_size: 0
    .sgpr_count:     70
    .sgpr_spill_count: 0
    .symbol:         _ZN2at6native32elementwise_kernel_manual_unrollILi128ELi4EZNS0_15gpu_kernel_implIZZZNS0_12_GLOBAL__N_120isneginf_kernel_implERNS_18TensorIteratorBaseEENKUlvE_clEvENKUlvE0_clEvEUlfE_EEvS5_RKT_EUlibE0_EEviT1_.kd
    .uniform_work_group_size: 1
    .uses_dynamic_stack: false
    .vgpr_count:     18
    .vgpr_spill_count: 0
    .wavefront_size: 32
  - .args:
      - .offset:         0
        .size:           4
        .value_kind:     by_value
      - .offset:         4
        .size:           1
        .value_kind:     by_value
      - .offset:         8
        .size:           16
        .value_kind:     by_value
    .group_segment_fixed_size: 0
    .kernarg_segment_align: 8
    .kernarg_segment_size: 24
    .language:       OpenCL C
    .language_version:
      - 2
      - 0
    .max_flat_workgroup_size: 256
    .name:           _ZN2at6native29vectorized_elementwise_kernelILi16EZZZNS0_12_GLOBAL__N_120isneginf_kernel_implERNS_18TensorIteratorBaseEENKUlvE_clEvENKUlvE1_clEvEUlN3c104HalfEE_St5arrayIPcLm2EEEEviT0_T1_
    .private_segment_fixed_size: 0
    .sgpr_count:     26
    .sgpr_spill_count: 0
    .symbol:         _ZN2at6native29vectorized_elementwise_kernelILi16EZZZNS0_12_GLOBAL__N_120isneginf_kernel_implERNS_18TensorIteratorBaseEENKUlvE_clEvENKUlvE1_clEvEUlN3c104HalfEE_St5arrayIPcLm2EEEEviT0_T1_.kd
    .uniform_work_group_size: 1
    .uses_dynamic_stack: false
    .vgpr_count:     17
    .vgpr_spill_count: 0
    .wavefront_size: 32
  - .args:
      - .offset:         0
        .size:           4
        .value_kind:     by_value
      - .offset:         4
        .size:           1
        .value_kind:     by_value
      - .offset:         8
        .size:           16
        .value_kind:     by_value
    .group_segment_fixed_size: 0
    .kernarg_segment_align: 8
    .kernarg_segment_size: 24
    .language:       OpenCL C
    .language_version:
      - 2
      - 0
    .max_flat_workgroup_size: 256
    .name:           _ZN2at6native29vectorized_elementwise_kernelILi8EZZZNS0_12_GLOBAL__N_120isneginf_kernel_implERNS_18TensorIteratorBaseEENKUlvE_clEvENKUlvE1_clEvEUlN3c104HalfEE_St5arrayIPcLm2EEEEviT0_T1_
    .private_segment_fixed_size: 0
    .sgpr_count:     26
    .sgpr_spill_count: 0
    .symbol:         _ZN2at6native29vectorized_elementwise_kernelILi8EZZZNS0_12_GLOBAL__N_120isneginf_kernel_implERNS_18TensorIteratorBaseEENKUlvE_clEvENKUlvE1_clEvEUlN3c104HalfEE_St5arrayIPcLm2EEEEviT0_T1_.kd
    .uniform_work_group_size: 1
    .uses_dynamic_stack: false
    .vgpr_count:     17
    .vgpr_spill_count: 0
    .wavefront_size: 32
  - .args:
      - .offset:         0
        .size:           4
        .value_kind:     by_value
      - .offset:         4
        .size:           1
        .value_kind:     by_value
      - .offset:         8
        .size:           16
        .value_kind:     by_value
    .group_segment_fixed_size: 0
    .kernarg_segment_align: 8
    .kernarg_segment_size: 24
    .language:       OpenCL C
    .language_version:
      - 2
      - 0
    .max_flat_workgroup_size: 256
    .name:           _ZN2at6native29vectorized_elementwise_kernelILi4EZZZNS0_12_GLOBAL__N_120isneginf_kernel_implERNS_18TensorIteratorBaseEENKUlvE_clEvENKUlvE1_clEvEUlN3c104HalfEE_St5arrayIPcLm2EEEEviT0_T1_
    .private_segment_fixed_size: 0
    .sgpr_count:     26
    .sgpr_spill_count: 0
    .symbol:         _ZN2at6native29vectorized_elementwise_kernelILi4EZZZNS0_12_GLOBAL__N_120isneginf_kernel_implERNS_18TensorIteratorBaseEENKUlvE_clEvENKUlvE1_clEvEUlN3c104HalfEE_St5arrayIPcLm2EEEEviT0_T1_.kd
    .uniform_work_group_size: 1
    .uses_dynamic_stack: false
    .vgpr_count:     17
    .vgpr_spill_count: 0
    .wavefront_size: 32
  - .args:
      - .offset:         0
        .size:           4
        .value_kind:     by_value
      - .offset:         4
        .size:           1
        .value_kind:     by_value
      - .offset:         8
        .size:           16
        .value_kind:     by_value
    .group_segment_fixed_size: 0
    .kernarg_segment_align: 8
    .kernarg_segment_size: 24
    .language:       OpenCL C
    .language_version:
      - 2
      - 0
    .max_flat_workgroup_size: 256
    .name:           _ZN2at6native29vectorized_elementwise_kernelILi2EZZZNS0_12_GLOBAL__N_120isneginf_kernel_implERNS_18TensorIteratorBaseEENKUlvE_clEvENKUlvE1_clEvEUlN3c104HalfEE_St5arrayIPcLm2EEEEviT0_T1_
    .private_segment_fixed_size: 0
    .sgpr_count:     26
    .sgpr_spill_count: 0
    .symbol:         _ZN2at6native29vectorized_elementwise_kernelILi2EZZZNS0_12_GLOBAL__N_120isneginf_kernel_implERNS_18TensorIteratorBaseEENKUlvE_clEvENKUlvE1_clEvEUlN3c104HalfEE_St5arrayIPcLm2EEEEviT0_T1_.kd
    .uniform_work_group_size: 1
    .uses_dynamic_stack: false
    .vgpr_count:     17
    .vgpr_spill_count: 0
    .wavefront_size: 32
  - .args:
      - .offset:         0
        .size:           4
        .value_kind:     by_value
      - .offset:         4
        .size:           1
        .value_kind:     by_value
      - .offset:         8
        .size:           16
        .value_kind:     by_value
      - .offset:         24
        .size:           1
        .value_kind:     by_value
      - .offset:         25
        .size:           1
        .value_kind:     by_value
      - .offset:         26
        .size:           1
        .value_kind:     by_value
      - .offset:         27
        .size:           1
        .value_kind:     by_value
    .group_segment_fixed_size: 0
    .kernarg_segment_align: 8
    .kernarg_segment_size: 28
    .language:       OpenCL C
    .language_version:
      - 2
      - 0
    .max_flat_workgroup_size: 256
    .name:           _ZN2at6native27unrolled_elementwise_kernelIZZZNS0_12_GLOBAL__N_120isneginf_kernel_implERNS_18TensorIteratorBaseEENKUlvE_clEvENKUlvE1_clEvEUlN3c104HalfEE_St5arrayIPcLm2EELi4E23TrivialOffsetCalculatorILi1EjESE_NS0_6memory15LoadWithoutCastENSF_16StoreWithoutCastEEEviT_T0_T2_T3_T4_T5_
    .private_segment_fixed_size: 0
    .sgpr_count:     14
    .sgpr_spill_count: 0
    .symbol:         _ZN2at6native27unrolled_elementwise_kernelIZZZNS0_12_GLOBAL__N_120isneginf_kernel_implERNS_18TensorIteratorBaseEENKUlvE_clEvENKUlvE1_clEvEUlN3c104HalfEE_St5arrayIPcLm2EELi4E23TrivialOffsetCalculatorILi1EjESE_NS0_6memory15LoadWithoutCastENSF_16StoreWithoutCastEEEviT_T0_T2_T3_T4_T5_.kd
    .uniform_work_group_size: 1
    .uses_dynamic_stack: false
    .vgpr_count:     6
    .vgpr_spill_count: 0
    .wavefront_size: 32
  - .args:
      - .offset:         0
        .size:           4
        .value_kind:     by_value
      - .offset:         8
        .size:           352
        .value_kind:     by_value
    .group_segment_fixed_size: 0
    .kernarg_segment_align: 8
    .kernarg_segment_size: 360
    .language:       OpenCL C
    .language_version:
      - 2
      - 0
    .max_flat_workgroup_size: 128
    .name:           _ZN2at6native32elementwise_kernel_manual_unrollILi128ELi8EZNS0_22gpu_kernel_impl_nocastIZZZNS0_12_GLOBAL__N_120isneginf_kernel_implERNS_18TensorIteratorBaseEENKUlvE_clEvENKUlvE1_clEvEUlN3c104HalfEE_EEvS5_RKT_EUlibE_EEviT1_
    .private_segment_fixed_size: 0
    .sgpr_count:     62
    .sgpr_spill_count: 0
    .symbol:         _ZN2at6native32elementwise_kernel_manual_unrollILi128ELi8EZNS0_22gpu_kernel_impl_nocastIZZZNS0_12_GLOBAL__N_120isneginf_kernel_implERNS_18TensorIteratorBaseEENKUlvE_clEvENKUlvE1_clEvEUlN3c104HalfEE_EEvS5_RKT_EUlibE_EEviT1_.kd
    .uniform_work_group_size: 1
    .uses_dynamic_stack: false
    .vgpr_count:     24
    .vgpr_spill_count: 0
    .wavefront_size: 32
  - .args:
      - .offset:         0
        .size:           4
        .value_kind:     by_value
      - .offset:         8
        .size:           32
        .value_kind:     by_value
    .group_segment_fixed_size: 0
    .kernarg_segment_align: 8
    .kernarg_segment_size: 40
    .language:       OpenCL C
    .language_version:
      - 2
      - 0
    .max_flat_workgroup_size: 128
    .name:           _ZN2at6native32elementwise_kernel_manual_unrollILi128ELi4EZNS0_15gpu_kernel_implIZZZNS0_12_GLOBAL__N_120isneginf_kernel_implERNS_18TensorIteratorBaseEENKUlvE_clEvENKUlvE1_clEvEUlN3c104HalfEE_EEvS5_RKT_EUlibE_EEviT1_
    .private_segment_fixed_size: 0
    .sgpr_count:     29
    .sgpr_spill_count: 0
    .symbol:         _ZN2at6native32elementwise_kernel_manual_unrollILi128ELi4EZNS0_15gpu_kernel_implIZZZNS0_12_GLOBAL__N_120isneginf_kernel_implERNS_18TensorIteratorBaseEENKUlvE_clEvENKUlvE1_clEvEUlN3c104HalfEE_EEvS5_RKT_EUlibE_EEviT1_.kd
    .uniform_work_group_size: 1
    .uses_dynamic_stack: false
    .vgpr_count:     14
    .vgpr_spill_count: 0
    .wavefront_size: 32
  - .args:
      - .offset:         0
        .size:           4
        .value_kind:     by_value
      - .offset:         8
        .size:           352
        .value_kind:     by_value
    .group_segment_fixed_size: 0
    .kernarg_segment_align: 8
    .kernarg_segment_size: 360
    .language:       OpenCL C
    .language_version:
      - 2
      - 0
    .max_flat_workgroup_size: 128
    .name:           _ZN2at6native32elementwise_kernel_manual_unrollILi128ELi4EZNS0_15gpu_kernel_implIZZZNS0_12_GLOBAL__N_120isneginf_kernel_implERNS_18TensorIteratorBaseEENKUlvE_clEvENKUlvE1_clEvEUlN3c104HalfEE_EEvS5_RKT_EUlibE0_EEviT1_
    .private_segment_fixed_size: 0
    .sgpr_count:     70
    .sgpr_spill_count: 0
    .symbol:         _ZN2at6native32elementwise_kernel_manual_unrollILi128ELi4EZNS0_15gpu_kernel_implIZZZNS0_12_GLOBAL__N_120isneginf_kernel_implERNS_18TensorIteratorBaseEENKUlvE_clEvENKUlvE1_clEvEUlN3c104HalfEE_EEvS5_RKT_EUlibE0_EEviT1_.kd
    .uniform_work_group_size: 1
    .uses_dynamic_stack: false
    .vgpr_count:     18
    .vgpr_spill_count: 0
    .wavefront_size: 32
  - .args:
      - .offset:         0
        .size:           4
        .value_kind:     by_value
      - .offset:         4
        .size:           1
        .value_kind:     by_value
      - .offset:         8
        .size:           16
        .value_kind:     by_value
    .group_segment_fixed_size: 0
    .kernarg_segment_align: 8
    .kernarg_segment_size: 24
    .language:       OpenCL C
    .language_version:
      - 2
      - 0
    .max_flat_workgroup_size: 256
    .name:           _ZN2at6native29vectorized_elementwise_kernelILi16EZZZNS0_12_GLOBAL__N_120isneginf_kernel_implERNS_18TensorIteratorBaseEENKUlvE_clEvENKUlvE2_clEvEUlN3c108BFloat16EE_St5arrayIPcLm2EEEEviT0_T1_
    .private_segment_fixed_size: 0
    .sgpr_count:     26
    .sgpr_spill_count: 0
    .symbol:         _ZN2at6native29vectorized_elementwise_kernelILi16EZZZNS0_12_GLOBAL__N_120isneginf_kernel_implERNS_18TensorIteratorBaseEENKUlvE_clEvENKUlvE2_clEvEUlN3c108BFloat16EE_St5arrayIPcLm2EEEEviT0_T1_.kd
    .uniform_work_group_size: 1
    .uses_dynamic_stack: false
    .vgpr_count:     17
    .vgpr_spill_count: 0
    .wavefront_size: 32
  - .args:
      - .offset:         0
        .size:           4
        .value_kind:     by_value
      - .offset:         4
        .size:           1
        .value_kind:     by_value
      - .offset:         8
        .size:           16
        .value_kind:     by_value
    .group_segment_fixed_size: 0
    .kernarg_segment_align: 8
    .kernarg_segment_size: 24
    .language:       OpenCL C
    .language_version:
      - 2
      - 0
    .max_flat_workgroup_size: 256
    .name:           _ZN2at6native29vectorized_elementwise_kernelILi8EZZZNS0_12_GLOBAL__N_120isneginf_kernel_implERNS_18TensorIteratorBaseEENKUlvE_clEvENKUlvE2_clEvEUlN3c108BFloat16EE_St5arrayIPcLm2EEEEviT0_T1_
    .private_segment_fixed_size: 0
    .sgpr_count:     26
    .sgpr_spill_count: 0
    .symbol:         _ZN2at6native29vectorized_elementwise_kernelILi8EZZZNS0_12_GLOBAL__N_120isneginf_kernel_implERNS_18TensorIteratorBaseEENKUlvE_clEvENKUlvE2_clEvEUlN3c108BFloat16EE_St5arrayIPcLm2EEEEviT0_T1_.kd
    .uniform_work_group_size: 1
    .uses_dynamic_stack: false
    .vgpr_count:     17
    .vgpr_spill_count: 0
    .wavefront_size: 32
  - .args:
      - .offset:         0
        .size:           4
        .value_kind:     by_value
      - .offset:         4
        .size:           1
        .value_kind:     by_value
      - .offset:         8
        .size:           16
        .value_kind:     by_value
    .group_segment_fixed_size: 0
    .kernarg_segment_align: 8
    .kernarg_segment_size: 24
    .language:       OpenCL C
    .language_version:
      - 2
      - 0
    .max_flat_workgroup_size: 256
    .name:           _ZN2at6native29vectorized_elementwise_kernelILi4EZZZNS0_12_GLOBAL__N_120isneginf_kernel_implERNS_18TensorIteratorBaseEENKUlvE_clEvENKUlvE2_clEvEUlN3c108BFloat16EE_St5arrayIPcLm2EEEEviT0_T1_
    .private_segment_fixed_size: 0
    .sgpr_count:     26
    .sgpr_spill_count: 0
    .symbol:         _ZN2at6native29vectorized_elementwise_kernelILi4EZZZNS0_12_GLOBAL__N_120isneginf_kernel_implERNS_18TensorIteratorBaseEENKUlvE_clEvENKUlvE2_clEvEUlN3c108BFloat16EE_St5arrayIPcLm2EEEEviT0_T1_.kd
    .uniform_work_group_size: 1
    .uses_dynamic_stack: false
    .vgpr_count:     17
    .vgpr_spill_count: 0
    .wavefront_size: 32
  - .args:
      - .offset:         0
        .size:           4
        .value_kind:     by_value
      - .offset:         4
        .size:           1
        .value_kind:     by_value
      - .offset:         8
        .size:           16
        .value_kind:     by_value
    .group_segment_fixed_size: 0
    .kernarg_segment_align: 8
    .kernarg_segment_size: 24
    .language:       OpenCL C
    .language_version:
      - 2
      - 0
    .max_flat_workgroup_size: 256
    .name:           _ZN2at6native29vectorized_elementwise_kernelILi2EZZZNS0_12_GLOBAL__N_120isneginf_kernel_implERNS_18TensorIteratorBaseEENKUlvE_clEvENKUlvE2_clEvEUlN3c108BFloat16EE_St5arrayIPcLm2EEEEviT0_T1_
    .private_segment_fixed_size: 0
    .sgpr_count:     26
    .sgpr_spill_count: 0
    .symbol:         _ZN2at6native29vectorized_elementwise_kernelILi2EZZZNS0_12_GLOBAL__N_120isneginf_kernel_implERNS_18TensorIteratorBaseEENKUlvE_clEvENKUlvE2_clEvEUlN3c108BFloat16EE_St5arrayIPcLm2EEEEviT0_T1_.kd
    .uniform_work_group_size: 1
    .uses_dynamic_stack: false
    .vgpr_count:     17
    .vgpr_spill_count: 0
    .wavefront_size: 32
  - .args:
      - .offset:         0
        .size:           4
        .value_kind:     by_value
      - .offset:         4
        .size:           1
        .value_kind:     by_value
      - .offset:         8
        .size:           16
        .value_kind:     by_value
      - .offset:         24
        .size:           1
        .value_kind:     by_value
      - .offset:         25
        .size:           1
        .value_kind:     by_value
      - .offset:         26
        .size:           1
        .value_kind:     by_value
      - .offset:         27
        .size:           1
        .value_kind:     by_value
    .group_segment_fixed_size: 0
    .kernarg_segment_align: 8
    .kernarg_segment_size: 28
    .language:       OpenCL C
    .language_version:
      - 2
      - 0
    .max_flat_workgroup_size: 256
    .name:           _ZN2at6native27unrolled_elementwise_kernelIZZZNS0_12_GLOBAL__N_120isneginf_kernel_implERNS_18TensorIteratorBaseEENKUlvE_clEvENKUlvE2_clEvEUlN3c108BFloat16EE_St5arrayIPcLm2EELi4E23TrivialOffsetCalculatorILi1EjESE_NS0_6memory15LoadWithoutCastENSF_16StoreWithoutCastEEEviT_T0_T2_T3_T4_T5_
    .private_segment_fixed_size: 0
    .sgpr_count:     14
    .sgpr_spill_count: 0
    .symbol:         _ZN2at6native27unrolled_elementwise_kernelIZZZNS0_12_GLOBAL__N_120isneginf_kernel_implERNS_18TensorIteratorBaseEENKUlvE_clEvENKUlvE2_clEvEUlN3c108BFloat16EE_St5arrayIPcLm2EELi4E23TrivialOffsetCalculatorILi1EjESE_NS0_6memory15LoadWithoutCastENSF_16StoreWithoutCastEEEviT_T0_T2_T3_T4_T5_.kd
    .uniform_work_group_size: 1
    .uses_dynamic_stack: false
    .vgpr_count:     6
    .vgpr_spill_count: 0
    .wavefront_size: 32
  - .args:
      - .offset:         0
        .size:           4
        .value_kind:     by_value
      - .offset:         8
        .size:           352
        .value_kind:     by_value
    .group_segment_fixed_size: 0
    .kernarg_segment_align: 8
    .kernarg_segment_size: 360
    .language:       OpenCL C
    .language_version:
      - 2
      - 0
    .max_flat_workgroup_size: 128
    .name:           _ZN2at6native32elementwise_kernel_manual_unrollILi128ELi8EZNS0_22gpu_kernel_impl_nocastIZZZNS0_12_GLOBAL__N_120isneginf_kernel_implERNS_18TensorIteratorBaseEENKUlvE_clEvENKUlvE2_clEvEUlN3c108BFloat16EE_EEvS5_RKT_EUlibE_EEviT1_
    .private_segment_fixed_size: 0
    .sgpr_count:     62
    .sgpr_spill_count: 0
    .symbol:         _ZN2at6native32elementwise_kernel_manual_unrollILi128ELi8EZNS0_22gpu_kernel_impl_nocastIZZZNS0_12_GLOBAL__N_120isneginf_kernel_implERNS_18TensorIteratorBaseEENKUlvE_clEvENKUlvE2_clEvEUlN3c108BFloat16EE_EEvS5_RKT_EUlibE_EEviT1_.kd
    .uniform_work_group_size: 1
    .uses_dynamic_stack: false
    .vgpr_count:     24
    .vgpr_spill_count: 0
    .wavefront_size: 32
  - .args:
      - .offset:         0
        .size:           4
        .value_kind:     by_value
      - .offset:         8
        .size:           32
        .value_kind:     by_value
    .group_segment_fixed_size: 0
    .kernarg_segment_align: 8
    .kernarg_segment_size: 40
    .language:       OpenCL C
    .language_version:
      - 2
      - 0
    .max_flat_workgroup_size: 128
    .name:           _ZN2at6native32elementwise_kernel_manual_unrollILi128ELi4EZNS0_15gpu_kernel_implIZZZNS0_12_GLOBAL__N_120isneginf_kernel_implERNS_18TensorIteratorBaseEENKUlvE_clEvENKUlvE2_clEvEUlN3c108BFloat16EE_EEvS5_RKT_EUlibE_EEviT1_
    .private_segment_fixed_size: 0
    .sgpr_count:     29
    .sgpr_spill_count: 0
    .symbol:         _ZN2at6native32elementwise_kernel_manual_unrollILi128ELi4EZNS0_15gpu_kernel_implIZZZNS0_12_GLOBAL__N_120isneginf_kernel_implERNS_18TensorIteratorBaseEENKUlvE_clEvENKUlvE2_clEvEUlN3c108BFloat16EE_EEvS5_RKT_EUlibE_EEviT1_.kd
    .uniform_work_group_size: 1
    .uses_dynamic_stack: false
    .vgpr_count:     14
    .vgpr_spill_count: 0
    .wavefront_size: 32
  - .args:
      - .offset:         0
        .size:           4
        .value_kind:     by_value
      - .offset:         8
        .size:           352
        .value_kind:     by_value
    .group_segment_fixed_size: 0
    .kernarg_segment_align: 8
    .kernarg_segment_size: 360
    .language:       OpenCL C
    .language_version:
      - 2
      - 0
    .max_flat_workgroup_size: 128
    .name:           _ZN2at6native32elementwise_kernel_manual_unrollILi128ELi4EZNS0_15gpu_kernel_implIZZZNS0_12_GLOBAL__N_120isneginf_kernel_implERNS_18TensorIteratorBaseEENKUlvE_clEvENKUlvE2_clEvEUlN3c108BFloat16EE_EEvS5_RKT_EUlibE0_EEviT1_
    .private_segment_fixed_size: 0
    .sgpr_count:     70
    .sgpr_spill_count: 0
    .symbol:         _ZN2at6native32elementwise_kernel_manual_unrollILi128ELi4EZNS0_15gpu_kernel_implIZZZNS0_12_GLOBAL__N_120isneginf_kernel_implERNS_18TensorIteratorBaseEENKUlvE_clEvENKUlvE2_clEvEUlN3c108BFloat16EE_EEvS5_RKT_EUlibE0_EEviT1_.kd
    .uniform_work_group_size: 1
    .uses_dynamic_stack: false
    .vgpr_count:     18
    .vgpr_spill_count: 0
    .wavefront_size: 32
  - .args:
      - .offset:         0
        .size:           4
        .value_kind:     by_value
      - .offset:         4
        .size:           1
        .value_kind:     by_value
      - .offset:         8
        .size:           32
        .value_kind:     by_value
    .group_segment_fixed_size: 0
    .kernarg_segment_align: 8
    .kernarg_segment_size: 40
    .language:       OpenCL C
    .language_version:
      - 2
      - 0
    .max_flat_workgroup_size: 256
    .name:           _ZN2at6native29vectorized_elementwise_kernelILi16EZZZNS0_12_GLOBAL__N_117clamp_kernel_implERNS_18TensorIteratorBaseEENKUlvE_clEvENKUlvE_clEvEUlhhhE_St5arrayIPcLm4EEEEviT0_T1_
    .private_segment_fixed_size: 0
    .sgpr_count:     23
    .sgpr_spill_count: 0
    .symbol:         _ZN2at6native29vectorized_elementwise_kernelILi16EZZZNS0_12_GLOBAL__N_117clamp_kernel_implERNS_18TensorIteratorBaseEENKUlvE_clEvENKUlvE_clEvEUlhhhE_St5arrayIPcLm4EEEEviT0_T1_.kd
    .uniform_work_group_size: 1
    .uses_dynamic_stack: false
    .vgpr_count:     57
    .vgpr_spill_count: 0
    .wavefront_size: 32
  - .args:
      - .offset:         0
        .size:           4
        .value_kind:     by_value
      - .offset:         4
        .size:           1
        .value_kind:     by_value
      - .offset:         8
        .size:           32
        .value_kind:     by_value
    .group_segment_fixed_size: 0
    .kernarg_segment_align: 8
    .kernarg_segment_size: 40
    .language:       OpenCL C
    .language_version:
      - 2
      - 0
    .max_flat_workgroup_size: 256
    .name:           _ZN2at6native29vectorized_elementwise_kernelILi8EZZZNS0_12_GLOBAL__N_117clamp_kernel_implERNS_18TensorIteratorBaseEENKUlvE_clEvENKUlvE_clEvEUlhhhE_St5arrayIPcLm4EEEEviT0_T1_
    .private_segment_fixed_size: 0
    .sgpr_count:     23
    .sgpr_spill_count: 0
    .symbol:         _ZN2at6native29vectorized_elementwise_kernelILi8EZZZNS0_12_GLOBAL__N_117clamp_kernel_implERNS_18TensorIteratorBaseEENKUlvE_clEvENKUlvE_clEvEUlhhhE_St5arrayIPcLm4EEEEviT0_T1_.kd
    .uniform_work_group_size: 1
    .uses_dynamic_stack: false
    .vgpr_count:     57
    .vgpr_spill_count: 0
    .wavefront_size: 32
  - .args:
      - .offset:         0
        .size:           4
        .value_kind:     by_value
      - .offset:         4
        .size:           1
        .value_kind:     by_value
      - .offset:         8
        .size:           32
        .value_kind:     by_value
    .group_segment_fixed_size: 0
    .kernarg_segment_align: 8
    .kernarg_segment_size: 40
    .language:       OpenCL C
    .language_version:
      - 2
      - 0
    .max_flat_workgroup_size: 256
    .name:           _ZN2at6native29vectorized_elementwise_kernelILi4EZZZNS0_12_GLOBAL__N_117clamp_kernel_implERNS_18TensorIteratorBaseEENKUlvE_clEvENKUlvE_clEvEUlhhhE_St5arrayIPcLm4EEEEviT0_T1_
    .private_segment_fixed_size: 0
    .sgpr_count:     23
    .sgpr_spill_count: 0
    .symbol:         _ZN2at6native29vectorized_elementwise_kernelILi4EZZZNS0_12_GLOBAL__N_117clamp_kernel_implERNS_18TensorIteratorBaseEENKUlvE_clEvENKUlvE_clEvEUlhhhE_St5arrayIPcLm4EEEEviT0_T1_.kd
    .uniform_work_group_size: 1
    .uses_dynamic_stack: false
    .vgpr_count:     57
    .vgpr_spill_count: 0
    .wavefront_size: 32
  - .args:
      - .offset:         0
        .size:           4
        .value_kind:     by_value
      - .offset:         4
        .size:           1
        .value_kind:     by_value
      - .offset:         8
        .size:           32
        .value_kind:     by_value
    .group_segment_fixed_size: 0
    .kernarg_segment_align: 8
    .kernarg_segment_size: 40
    .language:       OpenCL C
    .language_version:
      - 2
      - 0
    .max_flat_workgroup_size: 256
    .name:           _ZN2at6native29vectorized_elementwise_kernelILi2EZZZNS0_12_GLOBAL__N_117clamp_kernel_implERNS_18TensorIteratorBaseEENKUlvE_clEvENKUlvE_clEvEUlhhhE_St5arrayIPcLm4EEEEviT0_T1_
    .private_segment_fixed_size: 0
    .sgpr_count:     23
    .sgpr_spill_count: 0
    .symbol:         _ZN2at6native29vectorized_elementwise_kernelILi2EZZZNS0_12_GLOBAL__N_117clamp_kernel_implERNS_18TensorIteratorBaseEENKUlvE_clEvENKUlvE_clEvEUlhhhE_St5arrayIPcLm4EEEEviT0_T1_.kd
    .uniform_work_group_size: 1
    .uses_dynamic_stack: false
    .vgpr_count:     57
    .vgpr_spill_count: 0
    .wavefront_size: 32
  - .args:
      - .offset:         0
        .size:           4
        .value_kind:     by_value
      - .offset:         4
        .size:           1
        .value_kind:     by_value
      - .offset:         8
        .size:           32
        .value_kind:     by_value
      - .offset:         40
        .size:           1
        .value_kind:     by_value
      - .offset:         41
        .size:           1
        .value_kind:     by_value
      - .offset:         42
        .size:           1
        .value_kind:     by_value
      - .offset:         43
        .size:           1
        .value_kind:     by_value
    .group_segment_fixed_size: 0
    .kernarg_segment_align: 8
    .kernarg_segment_size: 44
    .language:       OpenCL C
    .language_version:
      - 2
      - 0
    .max_flat_workgroup_size: 256
    .name:           _ZN2at6native27unrolled_elementwise_kernelIZZZNS0_12_GLOBAL__N_117clamp_kernel_implERNS_18TensorIteratorBaseEENKUlvE_clEvENKUlvE_clEvEUlhhhE_St5arrayIPcLm4EELi4E23TrivialOffsetCalculatorILi3EjESB_ILi1EjENS0_6memory15LoadWithoutCastENSE_16StoreWithoutCastEEEviT_T0_T2_T3_T4_T5_
    .private_segment_fixed_size: 0
    .sgpr_count:     16
    .sgpr_spill_count: 0
    .symbol:         _ZN2at6native27unrolled_elementwise_kernelIZZZNS0_12_GLOBAL__N_117clamp_kernel_implERNS_18TensorIteratorBaseEENKUlvE_clEvENKUlvE_clEvEUlhhhE_St5arrayIPcLm4EELi4E23TrivialOffsetCalculatorILi3EjESB_ILi1EjENS0_6memory15LoadWithoutCastENSE_16StoreWithoutCastEEEviT_T0_T2_T3_T4_T5_.kd
    .uniform_work_group_size: 1
    .uses_dynamic_stack: false
    .vgpr_count:     18
    .vgpr_spill_count: 0
    .wavefront_size: 32
  - .args:
      - .offset:         0
        .size:           4
        .value_kind:     by_value
      - .offset:         8
        .size:           496
        .value_kind:     by_value
    .group_segment_fixed_size: 0
    .kernarg_segment_align: 8
    .kernarg_segment_size: 504
    .language:       OpenCL C
    .language_version:
      - 2
      - 0
    .max_flat_workgroup_size: 128
    .name:           _ZN2at6native32elementwise_kernel_manual_unrollILi128ELi8EZNS0_22gpu_kernel_impl_nocastIZZZNS0_12_GLOBAL__N_117clamp_kernel_implERNS_18TensorIteratorBaseEENKUlvE_clEvENKUlvE_clEvEUlhhhE_EEvS5_RKT_EUlibE_EEviT1_
    .private_segment_fixed_size: 0
    .sgpr_count:     58
    .sgpr_spill_count: 0
    .symbol:         _ZN2at6native32elementwise_kernel_manual_unrollILi128ELi8EZNS0_22gpu_kernel_impl_nocastIZZZNS0_12_GLOBAL__N_117clamp_kernel_implERNS_18TensorIteratorBaseEENKUlvE_clEvENKUlvE_clEvEUlhhhE_EEvS5_RKT_EUlibE_EEviT1_.kd
    .uniform_work_group_size: 1
    .uses_dynamic_stack: false
    .vgpr_count:     47
    .vgpr_spill_count: 0
    .wavefront_size: 32
  - .args:
      - .offset:         0
        .size:           4
        .value_kind:     by_value
      - .offset:         8
        .size:           56
        .value_kind:     by_value
    .group_segment_fixed_size: 0
    .kernarg_segment_align: 8
    .kernarg_segment_size: 64
    .language:       OpenCL C
    .language_version:
      - 2
      - 0
    .max_flat_workgroup_size: 128
    .name:           _ZN2at6native32elementwise_kernel_manual_unrollILi128ELi4EZNS0_15gpu_kernel_implIZZZNS0_12_GLOBAL__N_117clamp_kernel_implERNS_18TensorIteratorBaseEENKUlvE_clEvENKUlvE_clEvEUlhhhE_EEvS5_RKT_EUlibE_EEviT1_
    .private_segment_fixed_size: 0
    .sgpr_count:     44
    .sgpr_spill_count: 0
    .symbol:         _ZN2at6native32elementwise_kernel_manual_unrollILi128ELi4EZNS0_15gpu_kernel_implIZZZNS0_12_GLOBAL__N_117clamp_kernel_implERNS_18TensorIteratorBaseEENKUlvE_clEvENKUlvE_clEvEUlhhhE_EEvS5_RKT_EUlibE_EEviT1_.kd
    .uniform_work_group_size: 1
    .uses_dynamic_stack: false
    .vgpr_count:     30
    .vgpr_spill_count: 0
    .wavefront_size: 32
  - .args:
      - .offset:         0
        .size:           4
        .value_kind:     by_value
      - .offset:         8
        .size:           496
        .value_kind:     by_value
    .group_segment_fixed_size: 0
    .kernarg_segment_align: 8
    .kernarg_segment_size: 504
    .language:       OpenCL C
    .language_version:
      - 2
      - 0
    .max_flat_workgroup_size: 128
    .name:           _ZN2at6native32elementwise_kernel_manual_unrollILi128ELi4EZNS0_15gpu_kernel_implIZZZNS0_12_GLOBAL__N_117clamp_kernel_implERNS_18TensorIteratorBaseEENKUlvE_clEvENKUlvE_clEvEUlhhhE_EEvS5_RKT_EUlibE0_EEviT1_
    .private_segment_fixed_size: 0
    .sgpr_count:     76
    .sgpr_spill_count: 0
    .symbol:         _ZN2at6native32elementwise_kernel_manual_unrollILi128ELi4EZNS0_15gpu_kernel_implIZZZNS0_12_GLOBAL__N_117clamp_kernel_implERNS_18TensorIteratorBaseEENKUlvE_clEvENKUlvE_clEvEUlhhhE_EEvS5_RKT_EUlibE0_EEviT1_.kd
    .uniform_work_group_size: 1
    .uses_dynamic_stack: false
    .vgpr_count:     36
    .vgpr_spill_count: 0
    .wavefront_size: 32
  - .args:
      - .offset:         0
        .size:           4
        .value_kind:     by_value
      - .offset:         4
        .size:           1
        .value_kind:     by_value
      - .offset:         8
        .size:           32
        .value_kind:     by_value
    .group_segment_fixed_size: 0
    .kernarg_segment_align: 8
    .kernarg_segment_size: 40
    .language:       OpenCL C
    .language_version:
      - 2
      - 0
    .max_flat_workgroup_size: 256
    .name:           _ZN2at6native29vectorized_elementwise_kernelILi16EZZZNS0_12_GLOBAL__N_117clamp_kernel_implERNS_18TensorIteratorBaseEENKUlvE_clEvENKUlvE0_clEvEUlaaaE_St5arrayIPcLm4EEEEviT0_T1_
    .private_segment_fixed_size: 0
    .sgpr_count:     23
    .sgpr_spill_count: 0
    .symbol:         _ZN2at6native29vectorized_elementwise_kernelILi16EZZZNS0_12_GLOBAL__N_117clamp_kernel_implERNS_18TensorIteratorBaseEENKUlvE_clEvENKUlvE0_clEvEUlaaaE_St5arrayIPcLm4EEEEviT0_T1_.kd
    .uniform_work_group_size: 1
    .uses_dynamic_stack: false
    .vgpr_count:     57
    .vgpr_spill_count: 0
    .wavefront_size: 32
  - .args:
      - .offset:         0
        .size:           4
        .value_kind:     by_value
      - .offset:         4
        .size:           1
        .value_kind:     by_value
      - .offset:         8
        .size:           32
        .value_kind:     by_value
    .group_segment_fixed_size: 0
    .kernarg_segment_align: 8
    .kernarg_segment_size: 40
    .language:       OpenCL C
    .language_version:
      - 2
      - 0
    .max_flat_workgroup_size: 256
    .name:           _ZN2at6native29vectorized_elementwise_kernelILi8EZZZNS0_12_GLOBAL__N_117clamp_kernel_implERNS_18TensorIteratorBaseEENKUlvE_clEvENKUlvE0_clEvEUlaaaE_St5arrayIPcLm4EEEEviT0_T1_
    .private_segment_fixed_size: 0
    .sgpr_count:     23
    .sgpr_spill_count: 0
    .symbol:         _ZN2at6native29vectorized_elementwise_kernelILi8EZZZNS0_12_GLOBAL__N_117clamp_kernel_implERNS_18TensorIteratorBaseEENKUlvE_clEvENKUlvE0_clEvEUlaaaE_St5arrayIPcLm4EEEEviT0_T1_.kd
    .uniform_work_group_size: 1
    .uses_dynamic_stack: false
    .vgpr_count:     57
    .vgpr_spill_count: 0
    .wavefront_size: 32
  - .args:
      - .offset:         0
        .size:           4
        .value_kind:     by_value
      - .offset:         4
        .size:           1
        .value_kind:     by_value
      - .offset:         8
        .size:           32
        .value_kind:     by_value
    .group_segment_fixed_size: 0
    .kernarg_segment_align: 8
    .kernarg_segment_size: 40
    .language:       OpenCL C
    .language_version:
      - 2
      - 0
    .max_flat_workgroup_size: 256
    .name:           _ZN2at6native29vectorized_elementwise_kernelILi4EZZZNS0_12_GLOBAL__N_117clamp_kernel_implERNS_18TensorIteratorBaseEENKUlvE_clEvENKUlvE0_clEvEUlaaaE_St5arrayIPcLm4EEEEviT0_T1_
    .private_segment_fixed_size: 0
    .sgpr_count:     23
    .sgpr_spill_count: 0
    .symbol:         _ZN2at6native29vectorized_elementwise_kernelILi4EZZZNS0_12_GLOBAL__N_117clamp_kernel_implERNS_18TensorIteratorBaseEENKUlvE_clEvENKUlvE0_clEvEUlaaaE_St5arrayIPcLm4EEEEviT0_T1_.kd
    .uniform_work_group_size: 1
    .uses_dynamic_stack: false
    .vgpr_count:     57
    .vgpr_spill_count: 0
    .wavefront_size: 32
  - .args:
      - .offset:         0
        .size:           4
        .value_kind:     by_value
      - .offset:         4
        .size:           1
        .value_kind:     by_value
      - .offset:         8
        .size:           32
        .value_kind:     by_value
    .group_segment_fixed_size: 0
    .kernarg_segment_align: 8
    .kernarg_segment_size: 40
    .language:       OpenCL C
    .language_version:
      - 2
      - 0
    .max_flat_workgroup_size: 256
    .name:           _ZN2at6native29vectorized_elementwise_kernelILi2EZZZNS0_12_GLOBAL__N_117clamp_kernel_implERNS_18TensorIteratorBaseEENKUlvE_clEvENKUlvE0_clEvEUlaaaE_St5arrayIPcLm4EEEEviT0_T1_
    .private_segment_fixed_size: 0
    .sgpr_count:     23
    .sgpr_spill_count: 0
    .symbol:         _ZN2at6native29vectorized_elementwise_kernelILi2EZZZNS0_12_GLOBAL__N_117clamp_kernel_implERNS_18TensorIteratorBaseEENKUlvE_clEvENKUlvE0_clEvEUlaaaE_St5arrayIPcLm4EEEEviT0_T1_.kd
    .uniform_work_group_size: 1
    .uses_dynamic_stack: false
    .vgpr_count:     57
    .vgpr_spill_count: 0
    .wavefront_size: 32
  - .args:
      - .offset:         0
        .size:           4
        .value_kind:     by_value
      - .offset:         4
        .size:           1
        .value_kind:     by_value
      - .offset:         8
        .size:           32
        .value_kind:     by_value
      - .offset:         40
        .size:           1
        .value_kind:     by_value
      - .offset:         41
        .size:           1
        .value_kind:     by_value
      - .offset:         42
        .size:           1
        .value_kind:     by_value
      - .offset:         43
        .size:           1
        .value_kind:     by_value
    .group_segment_fixed_size: 0
    .kernarg_segment_align: 8
    .kernarg_segment_size: 44
    .language:       OpenCL C
    .language_version:
      - 2
      - 0
    .max_flat_workgroup_size: 256
    .name:           _ZN2at6native27unrolled_elementwise_kernelIZZZNS0_12_GLOBAL__N_117clamp_kernel_implERNS_18TensorIteratorBaseEENKUlvE_clEvENKUlvE0_clEvEUlaaaE_St5arrayIPcLm4EELi4E23TrivialOffsetCalculatorILi3EjESB_ILi1EjENS0_6memory15LoadWithoutCastENSE_16StoreWithoutCastEEEviT_T0_T2_T3_T4_T5_
    .private_segment_fixed_size: 0
    .sgpr_count:     17
    .sgpr_spill_count: 0
    .symbol:         _ZN2at6native27unrolled_elementwise_kernelIZZZNS0_12_GLOBAL__N_117clamp_kernel_implERNS_18TensorIteratorBaseEENKUlvE_clEvENKUlvE0_clEvEUlaaaE_St5arrayIPcLm4EELi4E23TrivialOffsetCalculatorILi3EjESB_ILi1EjENS0_6memory15LoadWithoutCastENSE_16StoreWithoutCastEEEviT_T0_T2_T3_T4_T5_.kd
    .uniform_work_group_size: 1
    .uses_dynamic_stack: false
    .vgpr_count:     16
    .vgpr_spill_count: 0
    .wavefront_size: 32
  - .args:
      - .offset:         0
        .size:           4
        .value_kind:     by_value
      - .offset:         8
        .size:           496
        .value_kind:     by_value
    .group_segment_fixed_size: 0
    .kernarg_segment_align: 8
    .kernarg_segment_size: 504
    .language:       OpenCL C
    .language_version:
      - 2
      - 0
    .max_flat_workgroup_size: 128
    .name:           _ZN2at6native32elementwise_kernel_manual_unrollILi128ELi8EZNS0_22gpu_kernel_impl_nocastIZZZNS0_12_GLOBAL__N_117clamp_kernel_implERNS_18TensorIteratorBaseEENKUlvE_clEvENKUlvE0_clEvEUlaaaE_EEvS5_RKT_EUlibE_EEviT1_
    .private_segment_fixed_size: 0
    .sgpr_count:     58
    .sgpr_spill_count: 0
    .symbol:         _ZN2at6native32elementwise_kernel_manual_unrollILi128ELi8EZNS0_22gpu_kernel_impl_nocastIZZZNS0_12_GLOBAL__N_117clamp_kernel_implERNS_18TensorIteratorBaseEENKUlvE_clEvENKUlvE0_clEvEUlaaaE_EEvS5_RKT_EUlibE_EEviT1_.kd
    .uniform_work_group_size: 1
    .uses_dynamic_stack: false
    .vgpr_count:     47
    .vgpr_spill_count: 0
    .wavefront_size: 32
  - .args:
      - .offset:         0
        .size:           4
        .value_kind:     by_value
      - .offset:         8
        .size:           56
        .value_kind:     by_value
    .group_segment_fixed_size: 0
    .kernarg_segment_align: 8
    .kernarg_segment_size: 64
    .language:       OpenCL C
    .language_version:
      - 2
      - 0
    .max_flat_workgroup_size: 128
    .name:           _ZN2at6native32elementwise_kernel_manual_unrollILi128ELi4EZNS0_15gpu_kernel_implIZZZNS0_12_GLOBAL__N_117clamp_kernel_implERNS_18TensorIteratorBaseEENKUlvE_clEvENKUlvE0_clEvEUlaaaE_EEvS5_RKT_EUlibE_EEviT1_
    .private_segment_fixed_size: 0
    .sgpr_count:     44
    .sgpr_spill_count: 0
    .symbol:         _ZN2at6native32elementwise_kernel_manual_unrollILi128ELi4EZNS0_15gpu_kernel_implIZZZNS0_12_GLOBAL__N_117clamp_kernel_implERNS_18TensorIteratorBaseEENKUlvE_clEvENKUlvE0_clEvEUlaaaE_EEvS5_RKT_EUlibE_EEviT1_.kd
    .uniform_work_group_size: 1
    .uses_dynamic_stack: false
    .vgpr_count:     30
    .vgpr_spill_count: 0
    .wavefront_size: 32
  - .args:
      - .offset:         0
        .size:           4
        .value_kind:     by_value
      - .offset:         8
        .size:           496
        .value_kind:     by_value
    .group_segment_fixed_size: 0
    .kernarg_segment_align: 8
    .kernarg_segment_size: 504
    .language:       OpenCL C
    .language_version:
      - 2
      - 0
    .max_flat_workgroup_size: 128
    .name:           _ZN2at6native32elementwise_kernel_manual_unrollILi128ELi4EZNS0_15gpu_kernel_implIZZZNS0_12_GLOBAL__N_117clamp_kernel_implERNS_18TensorIteratorBaseEENKUlvE_clEvENKUlvE0_clEvEUlaaaE_EEvS5_RKT_EUlibE0_EEviT1_
    .private_segment_fixed_size: 0
    .sgpr_count:     76
    .sgpr_spill_count: 0
    .symbol:         _ZN2at6native32elementwise_kernel_manual_unrollILi128ELi4EZNS0_15gpu_kernel_implIZZZNS0_12_GLOBAL__N_117clamp_kernel_implERNS_18TensorIteratorBaseEENKUlvE_clEvENKUlvE0_clEvEUlaaaE_EEvS5_RKT_EUlibE0_EEviT1_.kd
    .uniform_work_group_size: 1
    .uses_dynamic_stack: false
    .vgpr_count:     36
    .vgpr_spill_count: 0
    .wavefront_size: 32
  - .args:
      - .offset:         0
        .size:           4
        .value_kind:     by_value
      - .offset:         4
        .size:           1
        .value_kind:     by_value
      - .offset:         8
        .size:           32
        .value_kind:     by_value
    .group_segment_fixed_size: 0
    .kernarg_segment_align: 8
    .kernarg_segment_size: 40
    .language:       OpenCL C
    .language_version:
      - 2
      - 0
    .max_flat_workgroup_size: 256
    .name:           _ZN2at6native29vectorized_elementwise_kernelILi16EZZZNS0_12_GLOBAL__N_117clamp_kernel_implERNS_18TensorIteratorBaseEENKUlvE_clEvENKUlvE1_clEvEUliiiE_St5arrayIPcLm4EEEEviT0_T1_
    .private_segment_fixed_size: 0
    .sgpr_count:     22
    .sgpr_spill_count: 0
    .symbol:         _ZN2at6native29vectorized_elementwise_kernelILi16EZZZNS0_12_GLOBAL__N_117clamp_kernel_implERNS_18TensorIteratorBaseEENKUlvE_clEvENKUlvE1_clEvEUliiiE_St5arrayIPcLm4EEEEviT0_T1_.kd
    .uniform_work_group_size: 1
    .uses_dynamic_stack: false
    .vgpr_count:     21
    .vgpr_spill_count: 0
    .wavefront_size: 32
  - .args:
      - .offset:         0
        .size:           4
        .value_kind:     by_value
      - .offset:         4
        .size:           1
        .value_kind:     by_value
      - .offset:         8
        .size:           32
        .value_kind:     by_value
    .group_segment_fixed_size: 0
    .kernarg_segment_align: 8
    .kernarg_segment_size: 40
    .language:       OpenCL C
    .language_version:
      - 2
      - 0
    .max_flat_workgroup_size: 256
    .name:           _ZN2at6native29vectorized_elementwise_kernelILi8EZZZNS0_12_GLOBAL__N_117clamp_kernel_implERNS_18TensorIteratorBaseEENKUlvE_clEvENKUlvE1_clEvEUliiiE_St5arrayIPcLm4EEEEviT0_T1_
    .private_segment_fixed_size: 0
    .sgpr_count:     22
    .sgpr_spill_count: 0
    .symbol:         _ZN2at6native29vectorized_elementwise_kernelILi8EZZZNS0_12_GLOBAL__N_117clamp_kernel_implERNS_18TensorIteratorBaseEENKUlvE_clEvENKUlvE1_clEvEUliiiE_St5arrayIPcLm4EEEEviT0_T1_.kd
    .uniform_work_group_size: 1
    .uses_dynamic_stack: false
    .vgpr_count:     21
    .vgpr_spill_count: 0
    .wavefront_size: 32
  - .args:
      - .offset:         0
        .size:           4
        .value_kind:     by_value
      - .offset:         4
        .size:           1
        .value_kind:     by_value
      - .offset:         8
        .size:           32
        .value_kind:     by_value
    .group_segment_fixed_size: 0
    .kernarg_segment_align: 8
    .kernarg_segment_size: 40
    .language:       OpenCL C
    .language_version:
      - 2
      - 0
    .max_flat_workgroup_size: 256
    .name:           _ZN2at6native29vectorized_elementwise_kernelILi4EZZZNS0_12_GLOBAL__N_117clamp_kernel_implERNS_18TensorIteratorBaseEENKUlvE_clEvENKUlvE1_clEvEUliiiE_St5arrayIPcLm4EEEEviT0_T1_
    .private_segment_fixed_size: 0
    .sgpr_count:     22
    .sgpr_spill_count: 0
    .symbol:         _ZN2at6native29vectorized_elementwise_kernelILi4EZZZNS0_12_GLOBAL__N_117clamp_kernel_implERNS_18TensorIteratorBaseEENKUlvE_clEvENKUlvE1_clEvEUliiiE_St5arrayIPcLm4EEEEviT0_T1_.kd
    .uniform_work_group_size: 1
    .uses_dynamic_stack: false
    .vgpr_count:     21
    .vgpr_spill_count: 0
    .wavefront_size: 32
  - .args:
      - .offset:         0
        .size:           4
        .value_kind:     by_value
      - .offset:         4
        .size:           1
        .value_kind:     by_value
      - .offset:         8
        .size:           32
        .value_kind:     by_value
    .group_segment_fixed_size: 0
    .kernarg_segment_align: 8
    .kernarg_segment_size: 40
    .language:       OpenCL C
    .language_version:
      - 2
      - 0
    .max_flat_workgroup_size: 256
    .name:           _ZN2at6native29vectorized_elementwise_kernelILi2EZZZNS0_12_GLOBAL__N_117clamp_kernel_implERNS_18TensorIteratorBaseEENKUlvE_clEvENKUlvE1_clEvEUliiiE_St5arrayIPcLm4EEEEviT0_T1_
    .private_segment_fixed_size: 0
    .sgpr_count:     22
    .sgpr_spill_count: 0
    .symbol:         _ZN2at6native29vectorized_elementwise_kernelILi2EZZZNS0_12_GLOBAL__N_117clamp_kernel_implERNS_18TensorIteratorBaseEENKUlvE_clEvENKUlvE1_clEvEUliiiE_St5arrayIPcLm4EEEEviT0_T1_.kd
    .uniform_work_group_size: 1
    .uses_dynamic_stack: false
    .vgpr_count:     21
    .vgpr_spill_count: 0
    .wavefront_size: 32
  - .args:
      - .offset:         0
        .size:           4
        .value_kind:     by_value
      - .offset:         4
        .size:           1
        .value_kind:     by_value
      - .offset:         8
        .size:           32
        .value_kind:     by_value
      - .offset:         40
        .size:           1
        .value_kind:     by_value
      - .offset:         41
        .size:           1
        .value_kind:     by_value
      - .offset:         42
        .size:           1
        .value_kind:     by_value
      - .offset:         43
        .size:           1
        .value_kind:     by_value
    .group_segment_fixed_size: 0
    .kernarg_segment_align: 8
    .kernarg_segment_size: 44
    .language:       OpenCL C
    .language_version:
      - 2
      - 0
    .max_flat_workgroup_size: 256
    .name:           _ZN2at6native27unrolled_elementwise_kernelIZZZNS0_12_GLOBAL__N_117clamp_kernel_implERNS_18TensorIteratorBaseEENKUlvE_clEvENKUlvE1_clEvEUliiiE_St5arrayIPcLm4EELi4E23TrivialOffsetCalculatorILi3EjESB_ILi1EjENS0_6memory15LoadWithoutCastENSE_16StoreWithoutCastEEEviT_T0_T2_T3_T4_T5_
    .private_segment_fixed_size: 0
    .sgpr_count:     17
    .sgpr_spill_count: 0
    .symbol:         _ZN2at6native27unrolled_elementwise_kernelIZZZNS0_12_GLOBAL__N_117clamp_kernel_implERNS_18TensorIteratorBaseEENKUlvE_clEvENKUlvE1_clEvEUliiiE_St5arrayIPcLm4EELi4E23TrivialOffsetCalculatorILi3EjESB_ILi1EjENS0_6memory15LoadWithoutCastENSE_16StoreWithoutCastEEEviT_T0_T2_T3_T4_T5_.kd
    .uniform_work_group_size: 1
    .uses_dynamic_stack: false
    .vgpr_count:     16
    .vgpr_spill_count: 0
    .wavefront_size: 32
  - .args:
      - .offset:         0
        .size:           4
        .value_kind:     by_value
      - .offset:         8
        .size:           496
        .value_kind:     by_value
    .group_segment_fixed_size: 0
    .kernarg_segment_align: 8
    .kernarg_segment_size: 504
    .language:       OpenCL C
    .language_version:
      - 2
      - 0
    .max_flat_workgroup_size: 128
    .name:           _ZN2at6native32elementwise_kernel_manual_unrollILi128ELi4EZNS0_22gpu_kernel_impl_nocastIZZZNS0_12_GLOBAL__N_117clamp_kernel_implERNS_18TensorIteratorBaseEENKUlvE_clEvENKUlvE1_clEvEUliiiE_EEvS5_RKT_EUlibE_EEviT1_
    .private_segment_fixed_size: 0
    .sgpr_count:     58
    .sgpr_spill_count: 0
    .symbol:         _ZN2at6native32elementwise_kernel_manual_unrollILi128ELi4EZNS0_22gpu_kernel_impl_nocastIZZZNS0_12_GLOBAL__N_117clamp_kernel_implERNS_18TensorIteratorBaseEENKUlvE_clEvENKUlvE1_clEvEUliiiE_EEvS5_RKT_EUlibE_EEviT1_.kd
    .uniform_work_group_size: 1
    .uses_dynamic_stack: false
    .vgpr_count:     28
    .vgpr_spill_count: 0
    .wavefront_size: 32
  - .args:
      - .offset:         0
        .size:           4
        .value_kind:     by_value
      - .offset:         8
        .size:           56
        .value_kind:     by_value
    .group_segment_fixed_size: 0
    .kernarg_segment_align: 8
    .kernarg_segment_size: 64
    .language:       OpenCL C
    .language_version:
      - 2
      - 0
    .max_flat_workgroup_size: 128
    .name:           _ZN2at6native32elementwise_kernel_manual_unrollILi128ELi4EZNS0_15gpu_kernel_implIZZZNS0_12_GLOBAL__N_117clamp_kernel_implERNS_18TensorIteratorBaseEENKUlvE_clEvENKUlvE1_clEvEUliiiE_EEvS5_RKT_EUlibE_EEviT1_
    .private_segment_fixed_size: 0
    .sgpr_count:     44
    .sgpr_spill_count: 0
    .symbol:         _ZN2at6native32elementwise_kernel_manual_unrollILi128ELi4EZNS0_15gpu_kernel_implIZZZNS0_12_GLOBAL__N_117clamp_kernel_implERNS_18TensorIteratorBaseEENKUlvE_clEvENKUlvE1_clEvEUliiiE_EEvS5_RKT_EUlibE_EEviT1_.kd
    .uniform_work_group_size: 1
    .uses_dynamic_stack: false
    .vgpr_count:     24
    .vgpr_spill_count: 0
    .wavefront_size: 32
  - .args:
      - .offset:         0
        .size:           4
        .value_kind:     by_value
      - .offset:         8
        .size:           496
        .value_kind:     by_value
    .group_segment_fixed_size: 0
    .kernarg_segment_align: 8
    .kernarg_segment_size: 504
    .language:       OpenCL C
    .language_version:
      - 2
      - 0
    .max_flat_workgroup_size: 128
    .name:           _ZN2at6native32elementwise_kernel_manual_unrollILi128ELi4EZNS0_15gpu_kernel_implIZZZNS0_12_GLOBAL__N_117clamp_kernel_implERNS_18TensorIteratorBaseEENKUlvE_clEvENKUlvE1_clEvEUliiiE_EEvS5_RKT_EUlibE0_EEviT1_
    .private_segment_fixed_size: 0
    .sgpr_count:     76
    .sgpr_spill_count: 0
    .symbol:         _ZN2at6native32elementwise_kernel_manual_unrollILi128ELi4EZNS0_15gpu_kernel_implIZZZNS0_12_GLOBAL__N_117clamp_kernel_implERNS_18TensorIteratorBaseEENKUlvE_clEvENKUlvE1_clEvEUliiiE_EEvS5_RKT_EUlibE0_EEviT1_.kd
    .uniform_work_group_size: 1
    .uses_dynamic_stack: false
    .vgpr_count:     34
    .vgpr_spill_count: 0
    .wavefront_size: 32
  - .args:
      - .offset:         0
        .size:           4
        .value_kind:     by_value
      - .offset:         4
        .size:           1
        .value_kind:     by_value
      - .offset:         8
        .size:           32
        .value_kind:     by_value
    .group_segment_fixed_size: 0
    .kernarg_segment_align: 8
    .kernarg_segment_size: 40
    .language:       OpenCL C
    .language_version:
      - 2
      - 0
    .max_flat_workgroup_size: 256
    .name:           _ZN2at6native29vectorized_elementwise_kernelILi16EZZZNS0_12_GLOBAL__N_117clamp_kernel_implERNS_18TensorIteratorBaseEENKUlvE_clEvENKUlvE2_clEvEUllllE_St5arrayIPcLm4EEEEviT0_T1_
    .private_segment_fixed_size: 0
    .sgpr_count:     20
    .sgpr_spill_count: 0
    .symbol:         _ZN2at6native29vectorized_elementwise_kernelILi16EZZZNS0_12_GLOBAL__N_117clamp_kernel_implERNS_18TensorIteratorBaseEENKUlvE_clEvENKUlvE2_clEvEUllllE_St5arrayIPcLm4EEEEviT0_T1_.kd
    .uniform_work_group_size: 1
    .uses_dynamic_stack: false
    .vgpr_count:     26
    .vgpr_spill_count: 0
    .wavefront_size: 32
  - .args:
      - .offset:         0
        .size:           4
        .value_kind:     by_value
      - .offset:         4
        .size:           1
        .value_kind:     by_value
      - .offset:         8
        .size:           32
        .value_kind:     by_value
    .group_segment_fixed_size: 0
    .kernarg_segment_align: 8
    .kernarg_segment_size: 40
    .language:       OpenCL C
    .language_version:
      - 2
      - 0
    .max_flat_workgroup_size: 256
    .name:           _ZN2at6native29vectorized_elementwise_kernelILi8EZZZNS0_12_GLOBAL__N_117clamp_kernel_implERNS_18TensorIteratorBaseEENKUlvE_clEvENKUlvE2_clEvEUllllE_St5arrayIPcLm4EEEEviT0_T1_
    .private_segment_fixed_size: 0
    .sgpr_count:     20
    .sgpr_spill_count: 0
    .symbol:         _ZN2at6native29vectorized_elementwise_kernelILi8EZZZNS0_12_GLOBAL__N_117clamp_kernel_implERNS_18TensorIteratorBaseEENKUlvE_clEvENKUlvE2_clEvEUllllE_St5arrayIPcLm4EEEEviT0_T1_.kd
    .uniform_work_group_size: 1
    .uses_dynamic_stack: false
    .vgpr_count:     26
    .vgpr_spill_count: 0
    .wavefront_size: 32
  - .args:
      - .offset:         0
        .size:           4
        .value_kind:     by_value
      - .offset:         4
        .size:           1
        .value_kind:     by_value
      - .offset:         8
        .size:           32
        .value_kind:     by_value
    .group_segment_fixed_size: 0
    .kernarg_segment_align: 8
    .kernarg_segment_size: 40
    .language:       OpenCL C
    .language_version:
      - 2
      - 0
    .max_flat_workgroup_size: 256
    .name:           _ZN2at6native29vectorized_elementwise_kernelILi4EZZZNS0_12_GLOBAL__N_117clamp_kernel_implERNS_18TensorIteratorBaseEENKUlvE_clEvENKUlvE2_clEvEUllllE_St5arrayIPcLm4EEEEviT0_T1_
    .private_segment_fixed_size: 0
    .sgpr_count:     20
    .sgpr_spill_count: 0
    .symbol:         _ZN2at6native29vectorized_elementwise_kernelILi4EZZZNS0_12_GLOBAL__N_117clamp_kernel_implERNS_18TensorIteratorBaseEENKUlvE_clEvENKUlvE2_clEvEUllllE_St5arrayIPcLm4EEEEviT0_T1_.kd
    .uniform_work_group_size: 1
    .uses_dynamic_stack: false
    .vgpr_count:     26
    .vgpr_spill_count: 0
    .wavefront_size: 32
  - .args:
      - .offset:         0
        .size:           4
        .value_kind:     by_value
      - .offset:         4
        .size:           1
        .value_kind:     by_value
      - .offset:         8
        .size:           32
        .value_kind:     by_value
    .group_segment_fixed_size: 0
    .kernarg_segment_align: 8
    .kernarg_segment_size: 40
    .language:       OpenCL C
    .language_version:
      - 2
      - 0
    .max_flat_workgroup_size: 256
    .name:           _ZN2at6native29vectorized_elementwise_kernelILi2EZZZNS0_12_GLOBAL__N_117clamp_kernel_implERNS_18TensorIteratorBaseEENKUlvE_clEvENKUlvE2_clEvEUllllE_St5arrayIPcLm4EEEEviT0_T1_
    .private_segment_fixed_size: 0
    .sgpr_count:     20
    .sgpr_spill_count: 0
    .symbol:         _ZN2at6native29vectorized_elementwise_kernelILi2EZZZNS0_12_GLOBAL__N_117clamp_kernel_implERNS_18TensorIteratorBaseEENKUlvE_clEvENKUlvE2_clEvEUllllE_St5arrayIPcLm4EEEEviT0_T1_.kd
    .uniform_work_group_size: 1
    .uses_dynamic_stack: false
    .vgpr_count:     26
    .vgpr_spill_count: 0
    .wavefront_size: 32
  - .args:
      - .offset:         0
        .size:           4
        .value_kind:     by_value
      - .offset:         4
        .size:           1
        .value_kind:     by_value
      - .offset:         8
        .size:           32
        .value_kind:     by_value
      - .offset:         40
        .size:           1
        .value_kind:     by_value
      - .offset:         41
        .size:           1
        .value_kind:     by_value
      - .offset:         42
        .size:           1
        .value_kind:     by_value
      - .offset:         43
        .size:           1
        .value_kind:     by_value
    .group_segment_fixed_size: 0
    .kernarg_segment_align: 8
    .kernarg_segment_size: 44
    .language:       OpenCL C
    .language_version:
      - 2
      - 0
    .max_flat_workgroup_size: 256
    .name:           _ZN2at6native27unrolled_elementwise_kernelIZZZNS0_12_GLOBAL__N_117clamp_kernel_implERNS_18TensorIteratorBaseEENKUlvE_clEvENKUlvE2_clEvEUllllE_St5arrayIPcLm4EELi4E23TrivialOffsetCalculatorILi3EjESB_ILi1EjENS0_6memory15LoadWithoutCastENSE_16StoreWithoutCastEEEviT_T0_T2_T3_T4_T5_
    .private_segment_fixed_size: 0
    .sgpr_count:     14
    .sgpr_spill_count: 0
    .symbol:         _ZN2at6native27unrolled_elementwise_kernelIZZZNS0_12_GLOBAL__N_117clamp_kernel_implERNS_18TensorIteratorBaseEENKUlvE_clEvENKUlvE2_clEvEUllllE_St5arrayIPcLm4EELi4E23TrivialOffsetCalculatorILi3EjESB_ILi1EjENS0_6memory15LoadWithoutCastENSE_16StoreWithoutCastEEEviT_T0_T2_T3_T4_T5_.kd
    .uniform_work_group_size: 1
    .uses_dynamic_stack: false
    .vgpr_count:     17
    .vgpr_spill_count: 0
    .wavefront_size: 32
  - .args:
      - .offset:         0
        .size:           4
        .value_kind:     by_value
      - .offset:         8
        .size:           496
        .value_kind:     by_value
    .group_segment_fixed_size: 0
    .kernarg_segment_align: 8
    .kernarg_segment_size: 504
    .language:       OpenCL C
    .language_version:
      - 2
      - 0
    .max_flat_workgroup_size: 128
    .name:           _ZN2at6native32elementwise_kernel_manual_unrollILi128ELi4EZNS0_22gpu_kernel_impl_nocastIZZZNS0_12_GLOBAL__N_117clamp_kernel_implERNS_18TensorIteratorBaseEENKUlvE_clEvENKUlvE2_clEvEUllllE_EEvS5_RKT_EUlibE_EEviT1_
    .private_segment_fixed_size: 0
    .sgpr_count:     58
    .sgpr_spill_count: 0
    .symbol:         _ZN2at6native32elementwise_kernel_manual_unrollILi128ELi4EZNS0_22gpu_kernel_impl_nocastIZZZNS0_12_GLOBAL__N_117clamp_kernel_implERNS_18TensorIteratorBaseEENKUlvE_clEvENKUlvE2_clEvEUllllE_EEvS5_RKT_EUlibE_EEviT1_.kd
    .uniform_work_group_size: 1
    .uses_dynamic_stack: false
    .vgpr_count:     42
    .vgpr_spill_count: 0
    .wavefront_size: 32
  - .args:
      - .offset:         0
        .size:           4
        .value_kind:     by_value
      - .offset:         8
        .size:           56
        .value_kind:     by_value
    .group_segment_fixed_size: 0
    .kernarg_segment_align: 8
    .kernarg_segment_size: 64
    .language:       OpenCL C
    .language_version:
      - 2
      - 0
    .max_flat_workgroup_size: 128
    .name:           _ZN2at6native32elementwise_kernel_manual_unrollILi128ELi4EZNS0_15gpu_kernel_implIZZZNS0_12_GLOBAL__N_117clamp_kernel_implERNS_18TensorIteratorBaseEENKUlvE_clEvENKUlvE2_clEvEUllllE_EEvS5_RKT_EUlibE_EEviT1_
    .private_segment_fixed_size: 0
    .sgpr_count:     44
    .sgpr_spill_count: 0
    .symbol:         _ZN2at6native32elementwise_kernel_manual_unrollILi128ELi4EZNS0_15gpu_kernel_implIZZZNS0_12_GLOBAL__N_117clamp_kernel_implERNS_18TensorIteratorBaseEENKUlvE_clEvENKUlvE2_clEvEUllllE_EEvS5_RKT_EUlibE_EEviT1_.kd
    .uniform_work_group_size: 1
    .uses_dynamic_stack: false
    .vgpr_count:     32
    .vgpr_spill_count: 0
    .wavefront_size: 32
  - .args:
      - .offset:         0
        .size:           4
        .value_kind:     by_value
      - .offset:         8
        .size:           496
        .value_kind:     by_value
    .group_segment_fixed_size: 0
    .kernarg_segment_align: 8
    .kernarg_segment_size: 504
    .language:       OpenCL C
    .language_version:
      - 2
      - 0
    .max_flat_workgroup_size: 128
    .name:           _ZN2at6native32elementwise_kernel_manual_unrollILi128ELi4EZNS0_15gpu_kernel_implIZZZNS0_12_GLOBAL__N_117clamp_kernel_implERNS_18TensorIteratorBaseEENKUlvE_clEvENKUlvE2_clEvEUllllE_EEvS5_RKT_EUlibE0_EEviT1_
    .private_segment_fixed_size: 0
    .sgpr_count:     76
    .sgpr_spill_count: 0
    .symbol:         _ZN2at6native32elementwise_kernel_manual_unrollILi128ELi4EZNS0_15gpu_kernel_implIZZZNS0_12_GLOBAL__N_117clamp_kernel_implERNS_18TensorIteratorBaseEENKUlvE_clEvENKUlvE2_clEvEUllllE_EEvS5_RKT_EUlibE0_EEviT1_.kd
    .uniform_work_group_size: 1
    .uses_dynamic_stack: false
    .vgpr_count:     38
    .vgpr_spill_count: 0
    .wavefront_size: 32
  - .args:
      - .offset:         0
        .size:           4
        .value_kind:     by_value
      - .offset:         4
        .size:           1
        .value_kind:     by_value
      - .offset:         8
        .size:           32
        .value_kind:     by_value
    .group_segment_fixed_size: 0
    .kernarg_segment_align: 8
    .kernarg_segment_size: 40
    .language:       OpenCL C
    .language_version:
      - 2
      - 0
    .max_flat_workgroup_size: 256
    .name:           _ZN2at6native29vectorized_elementwise_kernelILi16EZZZNS0_12_GLOBAL__N_117clamp_kernel_implERNS_18TensorIteratorBaseEENKUlvE_clEvENKUlvE3_clEvEUlsssE_St5arrayIPcLm4EEEEviT0_T1_
    .private_segment_fixed_size: 0
    .sgpr_count:     20
    .sgpr_spill_count: 0
    .symbol:         _ZN2at6native29vectorized_elementwise_kernelILi16EZZZNS0_12_GLOBAL__N_117clamp_kernel_implERNS_18TensorIteratorBaseEENKUlvE_clEvENKUlvE3_clEvEUlsssE_St5arrayIPcLm4EEEEviT0_T1_.kd
    .uniform_work_group_size: 1
    .uses_dynamic_stack: false
    .vgpr_count:     15
    .vgpr_spill_count: 0
    .wavefront_size: 32
  - .args:
      - .offset:         0
        .size:           4
        .value_kind:     by_value
      - .offset:         4
        .size:           1
        .value_kind:     by_value
      - .offset:         8
        .size:           32
        .value_kind:     by_value
    .group_segment_fixed_size: 0
    .kernarg_segment_align: 8
    .kernarg_segment_size: 40
    .language:       OpenCL C
    .language_version:
      - 2
      - 0
    .max_flat_workgroup_size: 256
    .name:           _ZN2at6native29vectorized_elementwise_kernelILi8EZZZNS0_12_GLOBAL__N_117clamp_kernel_implERNS_18TensorIteratorBaseEENKUlvE_clEvENKUlvE3_clEvEUlsssE_St5arrayIPcLm4EEEEviT0_T1_
    .private_segment_fixed_size: 0
    .sgpr_count:     20
    .sgpr_spill_count: 0
    .symbol:         _ZN2at6native29vectorized_elementwise_kernelILi8EZZZNS0_12_GLOBAL__N_117clamp_kernel_implERNS_18TensorIteratorBaseEENKUlvE_clEvENKUlvE3_clEvEUlsssE_St5arrayIPcLm4EEEEviT0_T1_.kd
    .uniform_work_group_size: 1
    .uses_dynamic_stack: false
    .vgpr_count:     15
    .vgpr_spill_count: 0
    .wavefront_size: 32
  - .args:
      - .offset:         0
        .size:           4
        .value_kind:     by_value
      - .offset:         4
        .size:           1
        .value_kind:     by_value
      - .offset:         8
        .size:           32
        .value_kind:     by_value
    .group_segment_fixed_size: 0
    .kernarg_segment_align: 8
    .kernarg_segment_size: 40
    .language:       OpenCL C
    .language_version:
      - 2
      - 0
    .max_flat_workgroup_size: 256
    .name:           _ZN2at6native29vectorized_elementwise_kernelILi4EZZZNS0_12_GLOBAL__N_117clamp_kernel_implERNS_18TensorIteratorBaseEENKUlvE_clEvENKUlvE3_clEvEUlsssE_St5arrayIPcLm4EEEEviT0_T1_
    .private_segment_fixed_size: 0
    .sgpr_count:     20
    .sgpr_spill_count: 0
    .symbol:         _ZN2at6native29vectorized_elementwise_kernelILi4EZZZNS0_12_GLOBAL__N_117clamp_kernel_implERNS_18TensorIteratorBaseEENKUlvE_clEvENKUlvE3_clEvEUlsssE_St5arrayIPcLm4EEEEviT0_T1_.kd
    .uniform_work_group_size: 1
    .uses_dynamic_stack: false
    .vgpr_count:     24
    .vgpr_spill_count: 0
    .wavefront_size: 32
  - .args:
      - .offset:         0
        .size:           4
        .value_kind:     by_value
      - .offset:         4
        .size:           1
        .value_kind:     by_value
      - .offset:         8
        .size:           32
        .value_kind:     by_value
    .group_segment_fixed_size: 0
    .kernarg_segment_align: 8
    .kernarg_segment_size: 40
    .language:       OpenCL C
    .language_version:
      - 2
      - 0
    .max_flat_workgroup_size: 256
    .name:           _ZN2at6native29vectorized_elementwise_kernelILi2EZZZNS0_12_GLOBAL__N_117clamp_kernel_implERNS_18TensorIteratorBaseEENKUlvE_clEvENKUlvE3_clEvEUlsssE_St5arrayIPcLm4EEEEviT0_T1_
    .private_segment_fixed_size: 0
    .sgpr_count:     22
    .sgpr_spill_count: 0
    .symbol:         _ZN2at6native29vectorized_elementwise_kernelILi2EZZZNS0_12_GLOBAL__N_117clamp_kernel_implERNS_18TensorIteratorBaseEENKUlvE_clEvENKUlvE3_clEvEUlsssE_St5arrayIPcLm4EEEEviT0_T1_.kd
    .uniform_work_group_size: 1
    .uses_dynamic_stack: false
    .vgpr_count:     24
    .vgpr_spill_count: 0
    .wavefront_size: 32
  - .args:
      - .offset:         0
        .size:           4
        .value_kind:     by_value
      - .offset:         4
        .size:           1
        .value_kind:     by_value
      - .offset:         8
        .size:           32
        .value_kind:     by_value
      - .offset:         40
        .size:           1
        .value_kind:     by_value
      - .offset:         41
        .size:           1
        .value_kind:     by_value
      - .offset:         42
        .size:           1
        .value_kind:     by_value
      - .offset:         43
        .size:           1
        .value_kind:     by_value
    .group_segment_fixed_size: 0
    .kernarg_segment_align: 8
    .kernarg_segment_size: 44
    .language:       OpenCL C
    .language_version:
      - 2
      - 0
    .max_flat_workgroup_size: 256
    .name:           _ZN2at6native27unrolled_elementwise_kernelIZZZNS0_12_GLOBAL__N_117clamp_kernel_implERNS_18TensorIteratorBaseEENKUlvE_clEvENKUlvE3_clEvEUlsssE_St5arrayIPcLm4EELi4E23TrivialOffsetCalculatorILi3EjESB_ILi1EjENS0_6memory15LoadWithoutCastENSE_16StoreWithoutCastEEEviT_T0_T2_T3_T4_T5_
    .private_segment_fixed_size: 0
    .sgpr_count:     14
    .sgpr_spill_count: 0
    .symbol:         _ZN2at6native27unrolled_elementwise_kernelIZZZNS0_12_GLOBAL__N_117clamp_kernel_implERNS_18TensorIteratorBaseEENKUlvE_clEvENKUlvE3_clEvEUlsssE_St5arrayIPcLm4EELi4E23TrivialOffsetCalculatorILi3EjESB_ILi1EjENS0_6memory15LoadWithoutCastENSE_16StoreWithoutCastEEEviT_T0_T2_T3_T4_T5_.kd
    .uniform_work_group_size: 1
    .uses_dynamic_stack: false
    .vgpr_count:     11
    .vgpr_spill_count: 0
    .wavefront_size: 32
  - .args:
      - .offset:         0
        .size:           4
        .value_kind:     by_value
      - .offset:         8
        .size:           496
        .value_kind:     by_value
    .group_segment_fixed_size: 0
    .kernarg_segment_align: 8
    .kernarg_segment_size: 504
    .language:       OpenCL C
    .language_version:
      - 2
      - 0
    .max_flat_workgroup_size: 128
    .name:           _ZN2at6native32elementwise_kernel_manual_unrollILi128ELi8EZNS0_22gpu_kernel_impl_nocastIZZZNS0_12_GLOBAL__N_117clamp_kernel_implERNS_18TensorIteratorBaseEENKUlvE_clEvENKUlvE3_clEvEUlsssE_EEvS5_RKT_EUlibE_EEviT1_
    .private_segment_fixed_size: 0
    .sgpr_count:     58
    .sgpr_spill_count: 0
    .symbol:         _ZN2at6native32elementwise_kernel_manual_unrollILi128ELi8EZNS0_22gpu_kernel_impl_nocastIZZZNS0_12_GLOBAL__N_117clamp_kernel_implERNS_18TensorIteratorBaseEENKUlvE_clEvENKUlvE3_clEvEUlsssE_EEvS5_RKT_EUlibE_EEviT1_.kd
    .uniform_work_group_size: 1
    .uses_dynamic_stack: false
    .vgpr_count:     47
    .vgpr_spill_count: 0
    .wavefront_size: 32
  - .args:
      - .offset:         0
        .size:           4
        .value_kind:     by_value
      - .offset:         8
        .size:           56
        .value_kind:     by_value
    .group_segment_fixed_size: 0
    .kernarg_segment_align: 8
    .kernarg_segment_size: 64
    .language:       OpenCL C
    .language_version:
      - 2
      - 0
    .max_flat_workgroup_size: 128
    .name:           _ZN2at6native32elementwise_kernel_manual_unrollILi128ELi4EZNS0_15gpu_kernel_implIZZZNS0_12_GLOBAL__N_117clamp_kernel_implERNS_18TensorIteratorBaseEENKUlvE_clEvENKUlvE3_clEvEUlsssE_EEvS5_RKT_EUlibE_EEviT1_
    .private_segment_fixed_size: 0
    .sgpr_count:     44
    .sgpr_spill_count: 0
    .symbol:         _ZN2at6native32elementwise_kernel_manual_unrollILi128ELi4EZNS0_15gpu_kernel_implIZZZNS0_12_GLOBAL__N_117clamp_kernel_implERNS_18TensorIteratorBaseEENKUlvE_clEvENKUlvE3_clEvEUlsssE_EEvS5_RKT_EUlibE_EEviT1_.kd
    .uniform_work_group_size: 1
    .uses_dynamic_stack: false
    .vgpr_count:     30
    .vgpr_spill_count: 0
    .wavefront_size: 32
  - .args:
      - .offset:         0
        .size:           4
        .value_kind:     by_value
      - .offset:         8
        .size:           496
        .value_kind:     by_value
    .group_segment_fixed_size: 0
    .kernarg_segment_align: 8
    .kernarg_segment_size: 504
    .language:       OpenCL C
    .language_version:
      - 2
      - 0
    .max_flat_workgroup_size: 128
    .name:           _ZN2at6native32elementwise_kernel_manual_unrollILi128ELi4EZNS0_15gpu_kernel_implIZZZNS0_12_GLOBAL__N_117clamp_kernel_implERNS_18TensorIteratorBaseEENKUlvE_clEvENKUlvE3_clEvEUlsssE_EEvS5_RKT_EUlibE0_EEviT1_
    .private_segment_fixed_size: 0
    .sgpr_count:     76
    .sgpr_spill_count: 0
    .symbol:         _ZN2at6native32elementwise_kernel_manual_unrollILi128ELi4EZNS0_15gpu_kernel_implIZZZNS0_12_GLOBAL__N_117clamp_kernel_implERNS_18TensorIteratorBaseEENKUlvE_clEvENKUlvE3_clEvEUlsssE_EEvS5_RKT_EUlibE0_EEviT1_.kd
    .uniform_work_group_size: 1
    .uses_dynamic_stack: false
    .vgpr_count:     36
    .vgpr_spill_count: 0
    .wavefront_size: 32
  - .args:
      - .offset:         0
        .size:           4
        .value_kind:     by_value
      - .offset:         4
        .size:           1
        .value_kind:     by_value
      - .offset:         8
        .size:           32
        .value_kind:     by_value
    .group_segment_fixed_size: 0
    .kernarg_segment_align: 8
    .kernarg_segment_size: 40
    .language:       OpenCL C
    .language_version:
      - 2
      - 0
    .max_flat_workgroup_size: 256
    .name:           _ZN2at6native29vectorized_elementwise_kernelILi16EZZZNS0_12_GLOBAL__N_117clamp_kernel_implERNS_18TensorIteratorBaseEENKUlvE_clEvENKUlvE4_clEvEUldddE_St5arrayIPcLm4EEEEviT0_T1_
    .private_segment_fixed_size: 0
    .sgpr_count:     20
    .sgpr_spill_count: 0
    .symbol:         _ZN2at6native29vectorized_elementwise_kernelILi16EZZZNS0_12_GLOBAL__N_117clamp_kernel_implERNS_18TensorIteratorBaseEENKUlvE_clEvENKUlvE4_clEvEUldddE_St5arrayIPcLm4EEEEviT0_T1_.kd
    .uniform_work_group_size: 1
    .uses_dynamic_stack: false
    .vgpr_count:     44
    .vgpr_spill_count: 0
    .wavefront_size: 32
  - .args:
      - .offset:         0
        .size:           4
        .value_kind:     by_value
      - .offset:         4
        .size:           1
        .value_kind:     by_value
      - .offset:         8
        .size:           32
        .value_kind:     by_value
    .group_segment_fixed_size: 0
    .kernarg_segment_align: 8
    .kernarg_segment_size: 40
    .language:       OpenCL C
    .language_version:
      - 2
      - 0
    .max_flat_workgroup_size: 256
    .name:           _ZN2at6native29vectorized_elementwise_kernelILi8EZZZNS0_12_GLOBAL__N_117clamp_kernel_implERNS_18TensorIteratorBaseEENKUlvE_clEvENKUlvE4_clEvEUldddE_St5arrayIPcLm4EEEEviT0_T1_
    .private_segment_fixed_size: 0
    .sgpr_count:     20
    .sgpr_spill_count: 0
    .symbol:         _ZN2at6native29vectorized_elementwise_kernelILi8EZZZNS0_12_GLOBAL__N_117clamp_kernel_implERNS_18TensorIteratorBaseEENKUlvE_clEvENKUlvE4_clEvEUldddE_St5arrayIPcLm4EEEEviT0_T1_.kd
    .uniform_work_group_size: 1
    .uses_dynamic_stack: false
    .vgpr_count:     44
    .vgpr_spill_count: 0
    .wavefront_size: 32
  - .args:
      - .offset:         0
        .size:           4
        .value_kind:     by_value
      - .offset:         4
        .size:           1
        .value_kind:     by_value
      - .offset:         8
        .size:           32
        .value_kind:     by_value
    .group_segment_fixed_size: 0
    .kernarg_segment_align: 8
    .kernarg_segment_size: 40
    .language:       OpenCL C
    .language_version:
      - 2
      - 0
    .max_flat_workgroup_size: 256
    .name:           _ZN2at6native29vectorized_elementwise_kernelILi4EZZZNS0_12_GLOBAL__N_117clamp_kernel_implERNS_18TensorIteratorBaseEENKUlvE_clEvENKUlvE4_clEvEUldddE_St5arrayIPcLm4EEEEviT0_T1_
    .private_segment_fixed_size: 0
    .sgpr_count:     20
    .sgpr_spill_count: 0
    .symbol:         _ZN2at6native29vectorized_elementwise_kernelILi4EZZZNS0_12_GLOBAL__N_117clamp_kernel_implERNS_18TensorIteratorBaseEENKUlvE_clEvENKUlvE4_clEvEUldddE_St5arrayIPcLm4EEEEviT0_T1_.kd
    .uniform_work_group_size: 1
    .uses_dynamic_stack: false
    .vgpr_count:     44
    .vgpr_spill_count: 0
    .wavefront_size: 32
  - .args:
      - .offset:         0
        .size:           4
        .value_kind:     by_value
      - .offset:         4
        .size:           1
        .value_kind:     by_value
      - .offset:         8
        .size:           32
        .value_kind:     by_value
    .group_segment_fixed_size: 0
    .kernarg_segment_align: 8
    .kernarg_segment_size: 40
    .language:       OpenCL C
    .language_version:
      - 2
      - 0
    .max_flat_workgroup_size: 256
    .name:           _ZN2at6native29vectorized_elementwise_kernelILi2EZZZNS0_12_GLOBAL__N_117clamp_kernel_implERNS_18TensorIteratorBaseEENKUlvE_clEvENKUlvE4_clEvEUldddE_St5arrayIPcLm4EEEEviT0_T1_
    .private_segment_fixed_size: 0
    .sgpr_count:     20
    .sgpr_spill_count: 0
    .symbol:         _ZN2at6native29vectorized_elementwise_kernelILi2EZZZNS0_12_GLOBAL__N_117clamp_kernel_implERNS_18TensorIteratorBaseEENKUlvE_clEvENKUlvE4_clEvEUldddE_St5arrayIPcLm4EEEEviT0_T1_.kd
    .uniform_work_group_size: 1
    .uses_dynamic_stack: false
    .vgpr_count:     44
    .vgpr_spill_count: 0
    .wavefront_size: 32
  - .args:
      - .offset:         0
        .size:           4
        .value_kind:     by_value
      - .offset:         4
        .size:           1
        .value_kind:     by_value
      - .offset:         8
        .size:           32
        .value_kind:     by_value
      - .offset:         40
        .size:           1
        .value_kind:     by_value
      - .offset:         41
        .size:           1
        .value_kind:     by_value
      - .offset:         42
        .size:           1
        .value_kind:     by_value
      - .offset:         43
        .size:           1
        .value_kind:     by_value
    .group_segment_fixed_size: 0
    .kernarg_segment_align: 8
    .kernarg_segment_size: 44
    .language:       OpenCL C
    .language_version:
      - 2
      - 0
    .max_flat_workgroup_size: 256
    .name:           _ZN2at6native27unrolled_elementwise_kernelIZZZNS0_12_GLOBAL__N_117clamp_kernel_implERNS_18TensorIteratorBaseEENKUlvE_clEvENKUlvE4_clEvEUldddE_St5arrayIPcLm4EELi4E23TrivialOffsetCalculatorILi3EjESB_ILi1EjENS0_6memory15LoadWithoutCastENSE_16StoreWithoutCastEEEviT_T0_T2_T3_T4_T5_
    .private_segment_fixed_size: 0
    .sgpr_count:     16
    .sgpr_spill_count: 0
    .symbol:         _ZN2at6native27unrolled_elementwise_kernelIZZZNS0_12_GLOBAL__N_117clamp_kernel_implERNS_18TensorIteratorBaseEENKUlvE_clEvENKUlvE4_clEvEUldddE_St5arrayIPcLm4EELi4E23TrivialOffsetCalculatorILi3EjESB_ILi1EjENS0_6memory15LoadWithoutCastENSE_16StoreWithoutCastEEEviT_T0_T2_T3_T4_T5_.kd
    .uniform_work_group_size: 1
    .uses_dynamic_stack: false
    .vgpr_count:     34
    .vgpr_spill_count: 0
    .wavefront_size: 32
  - .args:
      - .offset:         0
        .size:           4
        .value_kind:     by_value
      - .offset:         8
        .size:           496
        .value_kind:     by_value
    .group_segment_fixed_size: 0
    .kernarg_segment_align: 8
    .kernarg_segment_size: 504
    .language:       OpenCL C
    .language_version:
      - 2
      - 0
    .max_flat_workgroup_size: 128
    .name:           _ZN2at6native32elementwise_kernel_manual_unrollILi128ELi4EZNS0_22gpu_kernel_impl_nocastIZZZNS0_12_GLOBAL__N_117clamp_kernel_implERNS_18TensorIteratorBaseEENKUlvE_clEvENKUlvE4_clEvEUldddE_EEvS5_RKT_EUlibE_EEviT1_
    .private_segment_fixed_size: 0
    .sgpr_count:     58
    .sgpr_spill_count: 0
    .symbol:         _ZN2at6native32elementwise_kernel_manual_unrollILi128ELi4EZNS0_22gpu_kernel_impl_nocastIZZZNS0_12_GLOBAL__N_117clamp_kernel_implERNS_18TensorIteratorBaseEENKUlvE_clEvENKUlvE4_clEvEUldddE_EEvS5_RKT_EUlibE_EEviT1_.kd
    .uniform_work_group_size: 1
    .uses_dynamic_stack: false
    .vgpr_count:     48
    .vgpr_spill_count: 0
    .wavefront_size: 32
  - .args:
      - .offset:         0
        .size:           4
        .value_kind:     by_value
      - .offset:         8
        .size:           56
        .value_kind:     by_value
    .group_segment_fixed_size: 0
    .kernarg_segment_align: 8
    .kernarg_segment_size: 64
    .language:       OpenCL C
    .language_version:
      - 2
      - 0
    .max_flat_workgroup_size: 128
    .name:           _ZN2at6native32elementwise_kernel_manual_unrollILi128ELi4EZNS0_15gpu_kernel_implIZZZNS0_12_GLOBAL__N_117clamp_kernel_implERNS_18TensorIteratorBaseEENKUlvE_clEvENKUlvE4_clEvEUldddE_EEvS5_RKT_EUlibE_EEviT1_
    .private_segment_fixed_size: 0
    .sgpr_count:     44
    .sgpr_spill_count: 0
    .symbol:         _ZN2at6native32elementwise_kernel_manual_unrollILi128ELi4EZNS0_15gpu_kernel_implIZZZNS0_12_GLOBAL__N_117clamp_kernel_implERNS_18TensorIteratorBaseEENKUlvE_clEvENKUlvE4_clEvEUldddE_EEvS5_RKT_EUlibE_EEviT1_.kd
    .uniform_work_group_size: 1
    .uses_dynamic_stack: false
    .vgpr_count:     32
    .vgpr_spill_count: 0
    .wavefront_size: 32
  - .args:
      - .offset:         0
        .size:           4
        .value_kind:     by_value
      - .offset:         8
        .size:           496
        .value_kind:     by_value
    .group_segment_fixed_size: 0
    .kernarg_segment_align: 8
    .kernarg_segment_size: 504
    .language:       OpenCL C
    .language_version:
      - 2
      - 0
    .max_flat_workgroup_size: 128
    .name:           _ZN2at6native32elementwise_kernel_manual_unrollILi128ELi4EZNS0_15gpu_kernel_implIZZZNS0_12_GLOBAL__N_117clamp_kernel_implERNS_18TensorIteratorBaseEENKUlvE_clEvENKUlvE4_clEvEUldddE_EEvS5_RKT_EUlibE0_EEviT1_
    .private_segment_fixed_size: 0
    .sgpr_count:     76
    .sgpr_spill_count: 0
    .symbol:         _ZN2at6native32elementwise_kernel_manual_unrollILi128ELi4EZNS0_15gpu_kernel_implIZZZNS0_12_GLOBAL__N_117clamp_kernel_implERNS_18TensorIteratorBaseEENKUlvE_clEvENKUlvE4_clEvEUldddE_EEvS5_RKT_EUlibE0_EEviT1_.kd
    .uniform_work_group_size: 1
    .uses_dynamic_stack: false
    .vgpr_count:     36
    .vgpr_spill_count: 0
    .wavefront_size: 32
  - .args:
      - .offset:         0
        .size:           4
        .value_kind:     by_value
      - .offset:         4
        .size:           1
        .value_kind:     by_value
      - .offset:         8
        .size:           32
        .value_kind:     by_value
    .group_segment_fixed_size: 0
    .kernarg_segment_align: 8
    .kernarg_segment_size: 40
    .language:       OpenCL C
    .language_version:
      - 2
      - 0
    .max_flat_workgroup_size: 256
    .name:           _ZN2at6native29vectorized_elementwise_kernelILi16EZZZNS0_12_GLOBAL__N_117clamp_kernel_implERNS_18TensorIteratorBaseEENKUlvE_clEvENKUlvE5_clEvEUlfffE_St5arrayIPcLm4EEEEviT0_T1_
    .private_segment_fixed_size: 0
    .sgpr_count:     22
    .sgpr_spill_count: 0
    .symbol:         _ZN2at6native29vectorized_elementwise_kernelILi16EZZZNS0_12_GLOBAL__N_117clamp_kernel_implERNS_18TensorIteratorBaseEENKUlvE_clEvENKUlvE5_clEvEUlfffE_St5arrayIPcLm4EEEEviT0_T1_.kd
    .uniform_work_group_size: 1
    .uses_dynamic_stack: false
    .vgpr_count:     25
    .vgpr_spill_count: 0
    .wavefront_size: 32
  - .args:
      - .offset:         0
        .size:           4
        .value_kind:     by_value
      - .offset:         4
        .size:           1
        .value_kind:     by_value
      - .offset:         8
        .size:           32
        .value_kind:     by_value
    .group_segment_fixed_size: 0
    .kernarg_segment_align: 8
    .kernarg_segment_size: 40
    .language:       OpenCL C
    .language_version:
      - 2
      - 0
    .max_flat_workgroup_size: 256
    .name:           _ZN2at6native29vectorized_elementwise_kernelILi8EZZZNS0_12_GLOBAL__N_117clamp_kernel_implERNS_18TensorIteratorBaseEENKUlvE_clEvENKUlvE5_clEvEUlfffE_St5arrayIPcLm4EEEEviT0_T1_
    .private_segment_fixed_size: 0
    .sgpr_count:     22
    .sgpr_spill_count: 0
    .symbol:         _ZN2at6native29vectorized_elementwise_kernelILi8EZZZNS0_12_GLOBAL__N_117clamp_kernel_implERNS_18TensorIteratorBaseEENKUlvE_clEvENKUlvE5_clEvEUlfffE_St5arrayIPcLm4EEEEviT0_T1_.kd
    .uniform_work_group_size: 1
    .uses_dynamic_stack: false
    .vgpr_count:     25
    .vgpr_spill_count: 0
    .wavefront_size: 32
  - .args:
      - .offset:         0
        .size:           4
        .value_kind:     by_value
      - .offset:         4
        .size:           1
        .value_kind:     by_value
      - .offset:         8
        .size:           32
        .value_kind:     by_value
    .group_segment_fixed_size: 0
    .kernarg_segment_align: 8
    .kernarg_segment_size: 40
    .language:       OpenCL C
    .language_version:
      - 2
      - 0
    .max_flat_workgroup_size: 256
    .name:           _ZN2at6native29vectorized_elementwise_kernelILi4EZZZNS0_12_GLOBAL__N_117clamp_kernel_implERNS_18TensorIteratorBaseEENKUlvE_clEvENKUlvE5_clEvEUlfffE_St5arrayIPcLm4EEEEviT0_T1_
    .private_segment_fixed_size: 0
    .sgpr_count:     22
    .sgpr_spill_count: 0
    .symbol:         _ZN2at6native29vectorized_elementwise_kernelILi4EZZZNS0_12_GLOBAL__N_117clamp_kernel_implERNS_18TensorIteratorBaseEENKUlvE_clEvENKUlvE5_clEvEUlfffE_St5arrayIPcLm4EEEEviT0_T1_.kd
    .uniform_work_group_size: 1
    .uses_dynamic_stack: false
    .vgpr_count:     25
    .vgpr_spill_count: 0
    .wavefront_size: 32
  - .args:
      - .offset:         0
        .size:           4
        .value_kind:     by_value
      - .offset:         4
        .size:           1
        .value_kind:     by_value
      - .offset:         8
        .size:           32
        .value_kind:     by_value
    .group_segment_fixed_size: 0
    .kernarg_segment_align: 8
    .kernarg_segment_size: 40
    .language:       OpenCL C
    .language_version:
      - 2
      - 0
    .max_flat_workgroup_size: 256
    .name:           _ZN2at6native29vectorized_elementwise_kernelILi2EZZZNS0_12_GLOBAL__N_117clamp_kernel_implERNS_18TensorIteratorBaseEENKUlvE_clEvENKUlvE5_clEvEUlfffE_St5arrayIPcLm4EEEEviT0_T1_
    .private_segment_fixed_size: 0
    .sgpr_count:     22
    .sgpr_spill_count: 0
    .symbol:         _ZN2at6native29vectorized_elementwise_kernelILi2EZZZNS0_12_GLOBAL__N_117clamp_kernel_implERNS_18TensorIteratorBaseEENKUlvE_clEvENKUlvE5_clEvEUlfffE_St5arrayIPcLm4EEEEviT0_T1_.kd
    .uniform_work_group_size: 1
    .uses_dynamic_stack: false
    .vgpr_count:     25
    .vgpr_spill_count: 0
    .wavefront_size: 32
  - .args:
      - .offset:         0
        .size:           4
        .value_kind:     by_value
      - .offset:         4
        .size:           1
        .value_kind:     by_value
      - .offset:         8
        .size:           32
        .value_kind:     by_value
      - .offset:         40
        .size:           1
        .value_kind:     by_value
      - .offset:         41
        .size:           1
        .value_kind:     by_value
      - .offset:         42
        .size:           1
        .value_kind:     by_value
      - .offset:         43
        .size:           1
        .value_kind:     by_value
    .group_segment_fixed_size: 0
    .kernarg_segment_align: 8
    .kernarg_segment_size: 44
    .language:       OpenCL C
    .language_version:
      - 2
      - 0
    .max_flat_workgroup_size: 256
    .name:           _ZN2at6native27unrolled_elementwise_kernelIZZZNS0_12_GLOBAL__N_117clamp_kernel_implERNS_18TensorIteratorBaseEENKUlvE_clEvENKUlvE5_clEvEUlfffE_St5arrayIPcLm4EELi4E23TrivialOffsetCalculatorILi3EjESB_ILi1EjENS0_6memory15LoadWithoutCastENSE_16StoreWithoutCastEEEviT_T0_T2_T3_T4_T5_
    .private_segment_fixed_size: 0
    .sgpr_count:     16
    .sgpr_spill_count: 0
    .symbol:         _ZN2at6native27unrolled_elementwise_kernelIZZZNS0_12_GLOBAL__N_117clamp_kernel_implERNS_18TensorIteratorBaseEENKUlvE_clEvENKUlvE5_clEvEUlfffE_St5arrayIPcLm4EELi4E23TrivialOffsetCalculatorILi3EjESB_ILi1EjENS0_6memory15LoadWithoutCastENSE_16StoreWithoutCastEEEviT_T0_T2_T3_T4_T5_.kd
    .uniform_work_group_size: 1
    .uses_dynamic_stack: false
    .vgpr_count:     18
    .vgpr_spill_count: 0
    .wavefront_size: 32
  - .args:
      - .offset:         0
        .size:           4
        .value_kind:     by_value
      - .offset:         8
        .size:           496
        .value_kind:     by_value
    .group_segment_fixed_size: 0
    .kernarg_segment_align: 8
    .kernarg_segment_size: 504
    .language:       OpenCL C
    .language_version:
      - 2
      - 0
    .max_flat_workgroup_size: 128
    .name:           _ZN2at6native32elementwise_kernel_manual_unrollILi128ELi4EZNS0_22gpu_kernel_impl_nocastIZZZNS0_12_GLOBAL__N_117clamp_kernel_implERNS_18TensorIteratorBaseEENKUlvE_clEvENKUlvE5_clEvEUlfffE_EEvS5_RKT_EUlibE_EEviT1_
    .private_segment_fixed_size: 0
    .sgpr_count:     58
    .sgpr_spill_count: 0
    .symbol:         _ZN2at6native32elementwise_kernel_manual_unrollILi128ELi4EZNS0_22gpu_kernel_impl_nocastIZZZNS0_12_GLOBAL__N_117clamp_kernel_implERNS_18TensorIteratorBaseEENKUlvE_clEvENKUlvE5_clEvEUlfffE_EEvS5_RKT_EUlibE_EEviT1_.kd
    .uniform_work_group_size: 1
    .uses_dynamic_stack: false
    .vgpr_count:     28
    .vgpr_spill_count: 0
    .wavefront_size: 32
  - .args:
      - .offset:         0
        .size:           4
        .value_kind:     by_value
      - .offset:         8
        .size:           56
        .value_kind:     by_value
    .group_segment_fixed_size: 0
    .kernarg_segment_align: 8
    .kernarg_segment_size: 64
    .language:       OpenCL C
    .language_version:
      - 2
      - 0
    .max_flat_workgroup_size: 128
    .name:           _ZN2at6native32elementwise_kernel_manual_unrollILi128ELi4EZNS0_15gpu_kernel_implIZZZNS0_12_GLOBAL__N_117clamp_kernel_implERNS_18TensorIteratorBaseEENKUlvE_clEvENKUlvE5_clEvEUlfffE_EEvS5_RKT_EUlibE_EEviT1_
    .private_segment_fixed_size: 0
    .sgpr_count:     44
    .sgpr_spill_count: 0
    .symbol:         _ZN2at6native32elementwise_kernel_manual_unrollILi128ELi4EZNS0_15gpu_kernel_implIZZZNS0_12_GLOBAL__N_117clamp_kernel_implERNS_18TensorIteratorBaseEENKUlvE_clEvENKUlvE5_clEvEUlfffE_EEvS5_RKT_EUlibE_EEviT1_.kd
    .uniform_work_group_size: 1
    .uses_dynamic_stack: false
    .vgpr_count:     24
    .vgpr_spill_count: 0
    .wavefront_size: 32
  - .args:
      - .offset:         0
        .size:           4
        .value_kind:     by_value
      - .offset:         8
        .size:           496
        .value_kind:     by_value
    .group_segment_fixed_size: 0
    .kernarg_segment_align: 8
    .kernarg_segment_size: 504
    .language:       OpenCL C
    .language_version:
      - 2
      - 0
    .max_flat_workgroup_size: 128
    .name:           _ZN2at6native32elementwise_kernel_manual_unrollILi128ELi4EZNS0_15gpu_kernel_implIZZZNS0_12_GLOBAL__N_117clamp_kernel_implERNS_18TensorIteratorBaseEENKUlvE_clEvENKUlvE5_clEvEUlfffE_EEvS5_RKT_EUlibE0_EEviT1_
    .private_segment_fixed_size: 0
    .sgpr_count:     76
    .sgpr_spill_count: 0
    .symbol:         _ZN2at6native32elementwise_kernel_manual_unrollILi128ELi4EZNS0_15gpu_kernel_implIZZZNS0_12_GLOBAL__N_117clamp_kernel_implERNS_18TensorIteratorBaseEENKUlvE_clEvENKUlvE5_clEvEUlfffE_EEvS5_RKT_EUlibE0_EEviT1_.kd
    .uniform_work_group_size: 1
    .uses_dynamic_stack: false
    .vgpr_count:     34
    .vgpr_spill_count: 0
    .wavefront_size: 32
  - .args:
      - .offset:         0
        .size:           4
        .value_kind:     by_value
      - .offset:         4
        .size:           1
        .value_kind:     by_value
      - .offset:         8
        .size:           32
        .value_kind:     by_value
    .group_segment_fixed_size: 0
    .kernarg_segment_align: 8
    .kernarg_segment_size: 40
    .language:       OpenCL C
    .language_version:
      - 2
      - 0
    .max_flat_workgroup_size: 256
    .name:           _ZN2at6native29vectorized_elementwise_kernelILi16EZZZNS0_12_GLOBAL__N_117clamp_kernel_implERNS_18TensorIteratorBaseEENKUlvE_clEvENKUlvE6_clEvEUlN3c104HalfES8_S8_E_St5arrayIPcLm4EEEEviT0_T1_
    .private_segment_fixed_size: 0
    .sgpr_count:     20
    .sgpr_spill_count: 0
    .symbol:         _ZN2at6native29vectorized_elementwise_kernelILi16EZZZNS0_12_GLOBAL__N_117clamp_kernel_implERNS_18TensorIteratorBaseEENKUlvE_clEvENKUlvE6_clEvEUlN3c104HalfES8_S8_E_St5arrayIPcLm4EEEEviT0_T1_.kd
    .uniform_work_group_size: 1
    .uses_dynamic_stack: false
    .vgpr_count:     33
    .vgpr_spill_count: 0
    .wavefront_size: 32
  - .args:
      - .offset:         0
        .size:           4
        .value_kind:     by_value
      - .offset:         4
        .size:           1
        .value_kind:     by_value
      - .offset:         8
        .size:           32
        .value_kind:     by_value
    .group_segment_fixed_size: 0
    .kernarg_segment_align: 8
    .kernarg_segment_size: 40
    .language:       OpenCL C
    .language_version:
      - 2
      - 0
    .max_flat_workgroup_size: 256
    .name:           _ZN2at6native29vectorized_elementwise_kernelILi8EZZZNS0_12_GLOBAL__N_117clamp_kernel_implERNS_18TensorIteratorBaseEENKUlvE_clEvENKUlvE6_clEvEUlN3c104HalfES8_S8_E_St5arrayIPcLm4EEEEviT0_T1_
    .private_segment_fixed_size: 0
    .sgpr_count:     20
    .sgpr_spill_count: 0
    .symbol:         _ZN2at6native29vectorized_elementwise_kernelILi8EZZZNS0_12_GLOBAL__N_117clamp_kernel_implERNS_18TensorIteratorBaseEENKUlvE_clEvENKUlvE6_clEvEUlN3c104HalfES8_S8_E_St5arrayIPcLm4EEEEviT0_T1_.kd
    .uniform_work_group_size: 1
    .uses_dynamic_stack: false
    .vgpr_count:     33
    .vgpr_spill_count: 0
    .wavefront_size: 32
  - .args:
      - .offset:         0
        .size:           4
        .value_kind:     by_value
      - .offset:         4
        .size:           1
        .value_kind:     by_value
      - .offset:         8
        .size:           32
        .value_kind:     by_value
    .group_segment_fixed_size: 0
    .kernarg_segment_align: 8
    .kernarg_segment_size: 40
    .language:       OpenCL C
    .language_version:
      - 2
      - 0
    .max_flat_workgroup_size: 256
    .name:           _ZN2at6native29vectorized_elementwise_kernelILi4EZZZNS0_12_GLOBAL__N_117clamp_kernel_implERNS_18TensorIteratorBaseEENKUlvE_clEvENKUlvE6_clEvEUlN3c104HalfES8_S8_E_St5arrayIPcLm4EEEEviT0_T1_
    .private_segment_fixed_size: 0
    .sgpr_count:     22
    .sgpr_spill_count: 0
    .symbol:         _ZN2at6native29vectorized_elementwise_kernelILi4EZZZNS0_12_GLOBAL__N_117clamp_kernel_implERNS_18TensorIteratorBaseEENKUlvE_clEvENKUlvE6_clEvEUlN3c104HalfES8_S8_E_St5arrayIPcLm4EEEEviT0_T1_.kd
    .uniform_work_group_size: 1
    .uses_dynamic_stack: false
    .vgpr_count:     33
    .vgpr_spill_count: 0
    .wavefront_size: 32
  - .args:
      - .offset:         0
        .size:           4
        .value_kind:     by_value
      - .offset:         4
        .size:           1
        .value_kind:     by_value
      - .offset:         8
        .size:           32
        .value_kind:     by_value
    .group_segment_fixed_size: 0
    .kernarg_segment_align: 8
    .kernarg_segment_size: 40
    .language:       OpenCL C
    .language_version:
      - 2
      - 0
    .max_flat_workgroup_size: 256
    .name:           _ZN2at6native29vectorized_elementwise_kernelILi2EZZZNS0_12_GLOBAL__N_117clamp_kernel_implERNS_18TensorIteratorBaseEENKUlvE_clEvENKUlvE6_clEvEUlN3c104HalfES8_S8_E_St5arrayIPcLm4EEEEviT0_T1_
    .private_segment_fixed_size: 0
    .sgpr_count:     22
    .sgpr_spill_count: 0
    .symbol:         _ZN2at6native29vectorized_elementwise_kernelILi2EZZZNS0_12_GLOBAL__N_117clamp_kernel_implERNS_18TensorIteratorBaseEENKUlvE_clEvENKUlvE6_clEvEUlN3c104HalfES8_S8_E_St5arrayIPcLm4EEEEviT0_T1_.kd
    .uniform_work_group_size: 1
    .uses_dynamic_stack: false
    .vgpr_count:     33
    .vgpr_spill_count: 0
    .wavefront_size: 32
  - .args:
      - .offset:         0
        .size:           4
        .value_kind:     by_value
      - .offset:         4
        .size:           1
        .value_kind:     by_value
      - .offset:         8
        .size:           32
        .value_kind:     by_value
      - .offset:         40
        .size:           1
        .value_kind:     by_value
      - .offset:         41
        .size:           1
        .value_kind:     by_value
      - .offset:         42
        .size:           1
        .value_kind:     by_value
      - .offset:         43
        .size:           1
        .value_kind:     by_value
    .group_segment_fixed_size: 0
    .kernarg_segment_align: 8
    .kernarg_segment_size: 44
    .language:       OpenCL C
    .language_version:
      - 2
      - 0
    .max_flat_workgroup_size: 256
    .name:           _ZN2at6native27unrolled_elementwise_kernelIZZZNS0_12_GLOBAL__N_117clamp_kernel_implERNS_18TensorIteratorBaseEENKUlvE_clEvENKUlvE6_clEvEUlN3c104HalfES8_S8_E_St5arrayIPcLm4EELi4E23TrivialOffsetCalculatorILi3EjESD_ILi1EjENS0_6memory15LoadWithoutCastENSG_16StoreWithoutCastEEEviT_T0_T2_T3_T4_T5_
    .private_segment_fixed_size: 0
    .sgpr_count:     16
    .sgpr_spill_count: 0
    .symbol:         _ZN2at6native27unrolled_elementwise_kernelIZZZNS0_12_GLOBAL__N_117clamp_kernel_implERNS_18TensorIteratorBaseEENKUlvE_clEvENKUlvE6_clEvEUlN3c104HalfES8_S8_E_St5arrayIPcLm4EELi4E23TrivialOffsetCalculatorILi3EjESD_ILi1EjENS0_6memory15LoadWithoutCastENSG_16StoreWithoutCastEEEviT_T0_T2_T3_T4_T5_.kd
    .uniform_work_group_size: 1
    .uses_dynamic_stack: false
    .vgpr_count:     16
    .vgpr_spill_count: 0
    .wavefront_size: 32
  - .args:
      - .offset:         0
        .size:           4
        .value_kind:     by_value
      - .offset:         8
        .size:           496
        .value_kind:     by_value
    .group_segment_fixed_size: 0
    .kernarg_segment_align: 8
    .kernarg_segment_size: 504
    .language:       OpenCL C
    .language_version:
      - 2
      - 0
    .max_flat_workgroup_size: 128
    .name:           _ZN2at6native32elementwise_kernel_manual_unrollILi128ELi8EZNS0_22gpu_kernel_impl_nocastIZZZNS0_12_GLOBAL__N_117clamp_kernel_implERNS_18TensorIteratorBaseEENKUlvE_clEvENKUlvE6_clEvEUlN3c104HalfES9_S9_E_EEvS5_RKT_EUlibE_EEviT1_
    .private_segment_fixed_size: 0
    .sgpr_count:     58
    .sgpr_spill_count: 0
    .symbol:         _ZN2at6native32elementwise_kernel_manual_unrollILi128ELi8EZNS0_22gpu_kernel_impl_nocastIZZZNS0_12_GLOBAL__N_117clamp_kernel_implERNS_18TensorIteratorBaseEENKUlvE_clEvENKUlvE6_clEvEUlN3c104HalfES9_S9_E_EEvS5_RKT_EUlibE_EEviT1_.kd
    .uniform_work_group_size: 1
    .uses_dynamic_stack: false
    .vgpr_count:     47
    .vgpr_spill_count: 0
    .wavefront_size: 32
  - .args:
      - .offset:         0
        .size:           4
        .value_kind:     by_value
      - .offset:         8
        .size:           56
        .value_kind:     by_value
    .group_segment_fixed_size: 0
    .kernarg_segment_align: 8
    .kernarg_segment_size: 64
    .language:       OpenCL C
    .language_version:
      - 2
      - 0
    .max_flat_workgroup_size: 128
    .name:           _ZN2at6native32elementwise_kernel_manual_unrollILi128ELi4EZNS0_15gpu_kernel_implIZZZNS0_12_GLOBAL__N_117clamp_kernel_implERNS_18TensorIteratorBaseEENKUlvE_clEvENKUlvE6_clEvEUlN3c104HalfES9_S9_E_EEvS5_RKT_EUlibE_EEviT1_
    .private_segment_fixed_size: 0
    .sgpr_count:     44
    .sgpr_spill_count: 0
    .symbol:         _ZN2at6native32elementwise_kernel_manual_unrollILi128ELi4EZNS0_15gpu_kernel_implIZZZNS0_12_GLOBAL__N_117clamp_kernel_implERNS_18TensorIteratorBaseEENKUlvE_clEvENKUlvE6_clEvEUlN3c104HalfES9_S9_E_EEvS5_RKT_EUlibE_EEviT1_.kd
    .uniform_work_group_size: 1
    .uses_dynamic_stack: false
    .vgpr_count:     20
    .vgpr_spill_count: 0
    .wavefront_size: 32
  - .args:
      - .offset:         0
        .size:           4
        .value_kind:     by_value
      - .offset:         8
        .size:           496
        .value_kind:     by_value
    .group_segment_fixed_size: 0
    .kernarg_segment_align: 8
    .kernarg_segment_size: 504
    .language:       OpenCL C
    .language_version:
      - 2
      - 0
    .max_flat_workgroup_size: 128
    .name:           _ZN2at6native32elementwise_kernel_manual_unrollILi128ELi4EZNS0_15gpu_kernel_implIZZZNS0_12_GLOBAL__N_117clamp_kernel_implERNS_18TensorIteratorBaseEENKUlvE_clEvENKUlvE6_clEvEUlN3c104HalfES9_S9_E_EEvS5_RKT_EUlibE0_EEviT1_
    .private_segment_fixed_size: 0
    .sgpr_count:     76
    .sgpr_spill_count: 0
    .symbol:         _ZN2at6native32elementwise_kernel_manual_unrollILi128ELi4EZNS0_15gpu_kernel_implIZZZNS0_12_GLOBAL__N_117clamp_kernel_implERNS_18TensorIteratorBaseEENKUlvE_clEvENKUlvE6_clEvEUlN3c104HalfES9_S9_E_EEvS5_RKT_EUlibE0_EEviT1_.kd
    .uniform_work_group_size: 1
    .uses_dynamic_stack: false
    .vgpr_count:     34
    .vgpr_spill_count: 0
    .wavefront_size: 32
  - .args:
      - .offset:         0
        .size:           4
        .value_kind:     by_value
      - .offset:         4
        .size:           1
        .value_kind:     by_value
      - .offset:         8
        .size:           32
        .value_kind:     by_value
    .group_segment_fixed_size: 0
    .kernarg_segment_align: 8
    .kernarg_segment_size: 40
    .language:       OpenCL C
    .language_version:
      - 2
      - 0
    .max_flat_workgroup_size: 256
    .name:           _ZN2at6native29vectorized_elementwise_kernelILi16EZZZNS0_12_GLOBAL__N_117clamp_kernel_implERNS_18TensorIteratorBaseEENKUlvE_clEvENKUlvE7_clEvEUlN3c108BFloat16ES8_S8_E_St5arrayIPcLm4EEEEviT0_T1_
    .private_segment_fixed_size: 0
    .sgpr_count:     19
    .sgpr_spill_count: 0
    .symbol:         _ZN2at6native29vectorized_elementwise_kernelILi16EZZZNS0_12_GLOBAL__N_117clamp_kernel_implERNS_18TensorIteratorBaseEENKUlvE_clEvENKUlvE7_clEvEUlN3c108BFloat16ES8_S8_E_St5arrayIPcLm4EEEEviT0_T1_.kd
    .uniform_work_group_size: 1
    .uses_dynamic_stack: false
    .vgpr_count:     60
    .vgpr_spill_count: 0
    .wavefront_size: 32
  - .args:
      - .offset:         0
        .size:           4
        .value_kind:     by_value
      - .offset:         4
        .size:           1
        .value_kind:     by_value
      - .offset:         8
        .size:           32
        .value_kind:     by_value
    .group_segment_fixed_size: 0
    .kernarg_segment_align: 8
    .kernarg_segment_size: 40
    .language:       OpenCL C
    .language_version:
      - 2
      - 0
    .max_flat_workgroup_size: 256
    .name:           _ZN2at6native29vectorized_elementwise_kernelILi8EZZZNS0_12_GLOBAL__N_117clamp_kernel_implERNS_18TensorIteratorBaseEENKUlvE_clEvENKUlvE7_clEvEUlN3c108BFloat16ES8_S8_E_St5arrayIPcLm4EEEEviT0_T1_
    .private_segment_fixed_size: 0
    .sgpr_count:     19
    .sgpr_spill_count: 0
    .symbol:         _ZN2at6native29vectorized_elementwise_kernelILi8EZZZNS0_12_GLOBAL__N_117clamp_kernel_implERNS_18TensorIteratorBaseEENKUlvE_clEvENKUlvE7_clEvEUlN3c108BFloat16ES8_S8_E_St5arrayIPcLm4EEEEviT0_T1_.kd
    .uniform_work_group_size: 1
    .uses_dynamic_stack: false
    .vgpr_count:     60
    .vgpr_spill_count: 0
    .wavefront_size: 32
  - .args:
      - .offset:         0
        .size:           4
        .value_kind:     by_value
      - .offset:         4
        .size:           1
        .value_kind:     by_value
      - .offset:         8
        .size:           32
        .value_kind:     by_value
    .group_segment_fixed_size: 0
    .kernarg_segment_align: 8
    .kernarg_segment_size: 40
    .language:       OpenCL C
    .language_version:
      - 2
      - 0
    .max_flat_workgroup_size: 256
    .name:           _ZN2at6native29vectorized_elementwise_kernelILi4EZZZNS0_12_GLOBAL__N_117clamp_kernel_implERNS_18TensorIteratorBaseEENKUlvE_clEvENKUlvE7_clEvEUlN3c108BFloat16ES8_S8_E_St5arrayIPcLm4EEEEviT0_T1_
    .private_segment_fixed_size: 0
    .sgpr_count:     22
    .sgpr_spill_count: 0
    .symbol:         _ZN2at6native29vectorized_elementwise_kernelILi4EZZZNS0_12_GLOBAL__N_117clamp_kernel_implERNS_18TensorIteratorBaseEENKUlvE_clEvENKUlvE7_clEvEUlN3c108BFloat16ES8_S8_E_St5arrayIPcLm4EEEEviT0_T1_.kd
    .uniform_work_group_size: 1
    .uses_dynamic_stack: false
    .vgpr_count:     60
    .vgpr_spill_count: 0
    .wavefront_size: 32
  - .args:
      - .offset:         0
        .size:           4
        .value_kind:     by_value
      - .offset:         4
        .size:           1
        .value_kind:     by_value
      - .offset:         8
        .size:           32
        .value_kind:     by_value
    .group_segment_fixed_size: 0
    .kernarg_segment_align: 8
    .kernarg_segment_size: 40
    .language:       OpenCL C
    .language_version:
      - 2
      - 0
    .max_flat_workgroup_size: 256
    .name:           _ZN2at6native29vectorized_elementwise_kernelILi2EZZZNS0_12_GLOBAL__N_117clamp_kernel_implERNS_18TensorIteratorBaseEENKUlvE_clEvENKUlvE7_clEvEUlN3c108BFloat16ES8_S8_E_St5arrayIPcLm4EEEEviT0_T1_
    .private_segment_fixed_size: 0
    .sgpr_count:     22
    .sgpr_spill_count: 0
    .symbol:         _ZN2at6native29vectorized_elementwise_kernelILi2EZZZNS0_12_GLOBAL__N_117clamp_kernel_implERNS_18TensorIteratorBaseEENKUlvE_clEvENKUlvE7_clEvEUlN3c108BFloat16ES8_S8_E_St5arrayIPcLm4EEEEviT0_T1_.kd
    .uniform_work_group_size: 1
    .uses_dynamic_stack: false
    .vgpr_count:     60
    .vgpr_spill_count: 0
    .wavefront_size: 32
  - .args:
      - .offset:         0
        .size:           4
        .value_kind:     by_value
      - .offset:         4
        .size:           1
        .value_kind:     by_value
      - .offset:         8
        .size:           32
        .value_kind:     by_value
      - .offset:         40
        .size:           1
        .value_kind:     by_value
      - .offset:         41
        .size:           1
        .value_kind:     by_value
      - .offset:         42
        .size:           1
        .value_kind:     by_value
      - .offset:         43
        .size:           1
        .value_kind:     by_value
    .group_segment_fixed_size: 0
    .kernarg_segment_align: 8
    .kernarg_segment_size: 44
    .language:       OpenCL C
    .language_version:
      - 2
      - 0
    .max_flat_workgroup_size: 256
    .name:           _ZN2at6native27unrolled_elementwise_kernelIZZZNS0_12_GLOBAL__N_117clamp_kernel_implERNS_18TensorIteratorBaseEENKUlvE_clEvENKUlvE7_clEvEUlN3c108BFloat16ES8_S8_E_St5arrayIPcLm4EELi4E23TrivialOffsetCalculatorILi3EjESD_ILi1EjENS0_6memory15LoadWithoutCastENSG_16StoreWithoutCastEEEviT_T0_T2_T3_T4_T5_
    .private_segment_fixed_size: 0
    .sgpr_count:     16
    .sgpr_spill_count: 0
    .symbol:         _ZN2at6native27unrolled_elementwise_kernelIZZZNS0_12_GLOBAL__N_117clamp_kernel_implERNS_18TensorIteratorBaseEENKUlvE_clEvENKUlvE7_clEvEUlN3c108BFloat16ES8_S8_E_St5arrayIPcLm4EELi4E23TrivialOffsetCalculatorILi3EjESD_ILi1EjENS0_6memory15LoadWithoutCastENSG_16StoreWithoutCastEEEviT_T0_T2_T3_T4_T5_.kd
    .uniform_work_group_size: 1
    .uses_dynamic_stack: false
    .vgpr_count:     20
    .vgpr_spill_count: 0
    .wavefront_size: 32
  - .args:
      - .offset:         0
        .size:           4
        .value_kind:     by_value
      - .offset:         8
        .size:           496
        .value_kind:     by_value
    .group_segment_fixed_size: 0
    .kernarg_segment_align: 8
    .kernarg_segment_size: 504
    .language:       OpenCL C
    .language_version:
      - 2
      - 0
    .max_flat_workgroup_size: 128
    .name:           _ZN2at6native32elementwise_kernel_manual_unrollILi128ELi8EZNS0_22gpu_kernel_impl_nocastIZZZNS0_12_GLOBAL__N_117clamp_kernel_implERNS_18TensorIteratorBaseEENKUlvE_clEvENKUlvE7_clEvEUlN3c108BFloat16ES9_S9_E_EEvS5_RKT_EUlibE_EEviT1_
    .private_segment_fixed_size: 0
    .sgpr_count:     58
    .sgpr_spill_count: 0
    .symbol:         _ZN2at6native32elementwise_kernel_manual_unrollILi128ELi8EZNS0_22gpu_kernel_impl_nocastIZZZNS0_12_GLOBAL__N_117clamp_kernel_implERNS_18TensorIteratorBaseEENKUlvE_clEvENKUlvE7_clEvEUlN3c108BFloat16ES9_S9_E_EEvS5_RKT_EUlibE_EEviT1_.kd
    .uniform_work_group_size: 1
    .uses_dynamic_stack: false
    .vgpr_count:     61
    .vgpr_spill_count: 0
    .wavefront_size: 32
  - .args:
      - .offset:         0
        .size:           4
        .value_kind:     by_value
      - .offset:         8
        .size:           56
        .value_kind:     by_value
    .group_segment_fixed_size: 0
    .kernarg_segment_align: 8
    .kernarg_segment_size: 64
    .language:       OpenCL C
    .language_version:
      - 2
      - 0
    .max_flat_workgroup_size: 128
    .name:           _ZN2at6native32elementwise_kernel_manual_unrollILi128ELi4EZNS0_15gpu_kernel_implIZZZNS0_12_GLOBAL__N_117clamp_kernel_implERNS_18TensorIteratorBaseEENKUlvE_clEvENKUlvE7_clEvEUlN3c108BFloat16ES9_S9_E_EEvS5_RKT_EUlibE_EEviT1_
    .private_segment_fixed_size: 0
    .sgpr_count:     44
    .sgpr_spill_count: 0
    .symbol:         _ZN2at6native32elementwise_kernel_manual_unrollILi128ELi4EZNS0_15gpu_kernel_implIZZZNS0_12_GLOBAL__N_117clamp_kernel_implERNS_18TensorIteratorBaseEENKUlvE_clEvENKUlvE7_clEvEUlN3c108BFloat16ES9_S9_E_EEvS5_RKT_EUlibE_EEviT1_.kd
    .uniform_work_group_size: 1
    .uses_dynamic_stack: false
    .vgpr_count:     20
    .vgpr_spill_count: 0
    .wavefront_size: 32
  - .args:
      - .offset:         0
        .size:           4
        .value_kind:     by_value
      - .offset:         8
        .size:           496
        .value_kind:     by_value
    .group_segment_fixed_size: 0
    .kernarg_segment_align: 8
    .kernarg_segment_size: 504
    .language:       OpenCL C
    .language_version:
      - 2
      - 0
    .max_flat_workgroup_size: 128
    .name:           _ZN2at6native32elementwise_kernel_manual_unrollILi128ELi4EZNS0_15gpu_kernel_implIZZZNS0_12_GLOBAL__N_117clamp_kernel_implERNS_18TensorIteratorBaseEENKUlvE_clEvENKUlvE7_clEvEUlN3c108BFloat16ES9_S9_E_EEvS5_RKT_EUlibE0_EEviT1_
    .private_segment_fixed_size: 0
    .sgpr_count:     76
    .sgpr_spill_count: 0
    .symbol:         _ZN2at6native32elementwise_kernel_manual_unrollILi128ELi4EZNS0_15gpu_kernel_implIZZZNS0_12_GLOBAL__N_117clamp_kernel_implERNS_18TensorIteratorBaseEENKUlvE_clEvENKUlvE7_clEvEUlN3c108BFloat16ES9_S9_E_EEvS5_RKT_EUlibE0_EEviT1_.kd
    .uniform_work_group_size: 1
    .uses_dynamic_stack: false
    .vgpr_count:     34
    .vgpr_spill_count: 0
    .wavefront_size: 32
  - .args:
      - .offset:         0
        .size:           4
        .value_kind:     by_value
      - .offset:         4
        .size:           8
        .value_kind:     by_value
      - .offset:         16
        .size:           16
        .value_kind:     by_value
    .group_segment_fixed_size: 0
    .kernarg_segment_align: 8
    .kernarg_segment_size: 32
    .language:       OpenCL C
    .language_version:
      - 2
      - 0
    .max_flat_workgroup_size: 256
    .name:           _ZN2at6native29vectorized_elementwise_kernelILi16EZZZNS0_12_GLOBAL__N_119launch_clamp_scalarERNS_18TensorIteratorBaseEN3c106ScalarES6_NS0_6detail11ClampLimitsEENKUlvE_clEvENKUlvE_clEvEUlhE_St5arrayIPcLm2EEEEviT0_T1_
    .private_segment_fixed_size: 0
    .sgpr_count:     25
    .sgpr_spill_count: 0
    .symbol:         _ZN2at6native29vectorized_elementwise_kernelILi16EZZZNS0_12_GLOBAL__N_119launch_clamp_scalarERNS_18TensorIteratorBaseEN3c106ScalarES6_NS0_6detail11ClampLimitsEENKUlvE_clEvENKUlvE_clEvEUlhE_St5arrayIPcLm2EEEEviT0_T1_.kd
    .uniform_work_group_size: 1
    .uses_dynamic_stack: false
    .vgpr_count:     24
    .vgpr_spill_count: 0
    .wavefront_size: 32
  - .args:
      - .offset:         0
        .size:           4
        .value_kind:     by_value
      - .offset:         4
        .size:           8
        .value_kind:     by_value
      - .offset:         16
        .size:           16
        .value_kind:     by_value
    .group_segment_fixed_size: 0
    .kernarg_segment_align: 8
    .kernarg_segment_size: 32
    .language:       OpenCL C
    .language_version:
      - 2
      - 0
    .max_flat_workgroup_size: 256
    .name:           _ZN2at6native29vectorized_elementwise_kernelILi8EZZZNS0_12_GLOBAL__N_119launch_clamp_scalarERNS_18TensorIteratorBaseEN3c106ScalarES6_NS0_6detail11ClampLimitsEENKUlvE_clEvENKUlvE_clEvEUlhE_St5arrayIPcLm2EEEEviT0_T1_
    .private_segment_fixed_size: 0
    .sgpr_count:     25
    .sgpr_spill_count: 0
    .symbol:         _ZN2at6native29vectorized_elementwise_kernelILi8EZZZNS0_12_GLOBAL__N_119launch_clamp_scalarERNS_18TensorIteratorBaseEN3c106ScalarES6_NS0_6detail11ClampLimitsEENKUlvE_clEvENKUlvE_clEvEUlhE_St5arrayIPcLm2EEEEviT0_T1_.kd
    .uniform_work_group_size: 1
    .uses_dynamic_stack: false
    .vgpr_count:     24
    .vgpr_spill_count: 0
    .wavefront_size: 32
  - .args:
      - .offset:         0
        .size:           4
        .value_kind:     by_value
      - .offset:         4
        .size:           8
        .value_kind:     by_value
      - .offset:         16
        .size:           16
        .value_kind:     by_value
    .group_segment_fixed_size: 0
    .kernarg_segment_align: 8
    .kernarg_segment_size: 32
    .language:       OpenCL C
    .language_version:
      - 2
      - 0
    .max_flat_workgroup_size: 256
    .name:           _ZN2at6native29vectorized_elementwise_kernelILi4EZZZNS0_12_GLOBAL__N_119launch_clamp_scalarERNS_18TensorIteratorBaseEN3c106ScalarES6_NS0_6detail11ClampLimitsEENKUlvE_clEvENKUlvE_clEvEUlhE_St5arrayIPcLm2EEEEviT0_T1_
    .private_segment_fixed_size: 0
    .sgpr_count:     25
    .sgpr_spill_count: 0
    .symbol:         _ZN2at6native29vectorized_elementwise_kernelILi4EZZZNS0_12_GLOBAL__N_119launch_clamp_scalarERNS_18TensorIteratorBaseEN3c106ScalarES6_NS0_6detail11ClampLimitsEENKUlvE_clEvENKUlvE_clEvEUlhE_St5arrayIPcLm2EEEEviT0_T1_.kd
    .uniform_work_group_size: 1
    .uses_dynamic_stack: false
    .vgpr_count:     24
    .vgpr_spill_count: 0
    .wavefront_size: 32
  - .args:
      - .offset:         0
        .size:           4
        .value_kind:     by_value
      - .offset:         4
        .size:           8
        .value_kind:     by_value
      - .offset:         16
        .size:           16
        .value_kind:     by_value
    .group_segment_fixed_size: 0
    .kernarg_segment_align: 8
    .kernarg_segment_size: 32
    .language:       OpenCL C
    .language_version:
      - 2
      - 0
    .max_flat_workgroup_size: 256
    .name:           _ZN2at6native29vectorized_elementwise_kernelILi2EZZZNS0_12_GLOBAL__N_119launch_clamp_scalarERNS_18TensorIteratorBaseEN3c106ScalarES6_NS0_6detail11ClampLimitsEENKUlvE_clEvENKUlvE_clEvEUlhE_St5arrayIPcLm2EEEEviT0_T1_
    .private_segment_fixed_size: 0
    .sgpr_count:     25
    .sgpr_spill_count: 0
    .symbol:         _ZN2at6native29vectorized_elementwise_kernelILi2EZZZNS0_12_GLOBAL__N_119launch_clamp_scalarERNS_18TensorIteratorBaseEN3c106ScalarES6_NS0_6detail11ClampLimitsEENKUlvE_clEvENKUlvE_clEvEUlhE_St5arrayIPcLm2EEEEviT0_T1_.kd
    .uniform_work_group_size: 1
    .uses_dynamic_stack: false
    .vgpr_count:     24
    .vgpr_spill_count: 0
    .wavefront_size: 32
  - .args:
      - .offset:         0
        .size:           4
        .value_kind:     by_value
      - .offset:         4
        .size:           8
        .value_kind:     by_value
      - .offset:         16
        .size:           16
        .value_kind:     by_value
      - .offset:         32
        .size:           1
        .value_kind:     by_value
      - .offset:         33
        .size:           1
        .value_kind:     by_value
      - .offset:         34
        .size:           1
        .value_kind:     by_value
      - .offset:         35
        .size:           1
        .value_kind:     by_value
    .group_segment_fixed_size: 0
    .kernarg_segment_align: 8
    .kernarg_segment_size: 36
    .language:       OpenCL C
    .language_version:
      - 2
      - 0
    .max_flat_workgroup_size: 256
    .name:           _ZN2at6native27unrolled_elementwise_kernelIZZZNS0_12_GLOBAL__N_119launch_clamp_scalarERNS_18TensorIteratorBaseEN3c106ScalarES6_NS0_6detail11ClampLimitsEENKUlvE_clEvENKUlvE_clEvEUlhE_St5arrayIPcLm2EELi4E23TrivialOffsetCalculatorILi1EjESG_NS0_6memory15LoadWithoutCastENSH_16StoreWithoutCastEEEviT_T0_T2_T3_T4_T5_
    .private_segment_fixed_size: 0
    .sgpr_count:     15
    .sgpr_spill_count: 0
    .symbol:         _ZN2at6native27unrolled_elementwise_kernelIZZZNS0_12_GLOBAL__N_119launch_clamp_scalarERNS_18TensorIteratorBaseEN3c106ScalarES6_NS0_6detail11ClampLimitsEENKUlvE_clEvENKUlvE_clEvEUlhE_St5arrayIPcLm2EELi4E23TrivialOffsetCalculatorILi1EjESG_NS0_6memory15LoadWithoutCastENSH_16StoreWithoutCastEEEviT_T0_T2_T3_T4_T5_.kd
    .uniform_work_group_size: 1
    .uses_dynamic_stack: false
    .vgpr_count:     9
    .vgpr_spill_count: 0
    .wavefront_size: 32
  - .args:
      - .offset:         0
        .size:           4
        .value_kind:     by_value
      - .offset:         8
        .size:           352
        .value_kind:     by_value
    .group_segment_fixed_size: 0
    .kernarg_segment_align: 8
    .kernarg_segment_size: 360
    .language:       OpenCL C
    .language_version:
      - 2
      - 0
    .max_flat_workgroup_size: 128
    .name:           _ZN2at6native32elementwise_kernel_manual_unrollILi128ELi8EZNS0_22gpu_kernel_impl_nocastIZZZNS0_12_GLOBAL__N_119launch_clamp_scalarERNS_18TensorIteratorBaseEN3c106ScalarES7_NS0_6detail11ClampLimitsEENKUlvE_clEvENKUlvE_clEvEUlhE_EEvS5_RKT_EUlibE_EEviT1_
    .private_segment_fixed_size: 0
    .sgpr_count:     62
    .sgpr_spill_count: 0
    .symbol:         _ZN2at6native32elementwise_kernel_manual_unrollILi128ELi8EZNS0_22gpu_kernel_impl_nocastIZZZNS0_12_GLOBAL__N_119launch_clamp_scalarERNS_18TensorIteratorBaseEN3c106ScalarES7_NS0_6detail11ClampLimitsEENKUlvE_clEvENKUlvE_clEvEUlhE_EEvS5_RKT_EUlibE_EEviT1_.kd
    .uniform_work_group_size: 1
    .uses_dynamic_stack: false
    .vgpr_count:     23
    .vgpr_spill_count: 0
    .wavefront_size: 32
  - .args:
      - .offset:         0
        .size:           4
        .value_kind:     by_value
      - .offset:         8
        .size:           40
        .value_kind:     by_value
    .group_segment_fixed_size: 0
    .kernarg_segment_align: 8
    .kernarg_segment_size: 48
    .language:       OpenCL C
    .language_version:
      - 2
      - 0
    .max_flat_workgroup_size: 128
    .name:           _ZN2at6native32elementwise_kernel_manual_unrollILi128ELi4EZNS0_15gpu_kernel_implIZZZNS0_12_GLOBAL__N_119launch_clamp_scalarERNS_18TensorIteratorBaseEN3c106ScalarES7_NS0_6detail11ClampLimitsEENKUlvE_clEvENKUlvE_clEvEUlhE_EEvS5_RKT_EUlibE_EEviT1_
    .private_segment_fixed_size: 0
    .sgpr_count:     31
    .sgpr_spill_count: 0
    .symbol:         _ZN2at6native32elementwise_kernel_manual_unrollILi128ELi4EZNS0_15gpu_kernel_implIZZZNS0_12_GLOBAL__N_119launch_clamp_scalarERNS_18TensorIteratorBaseEN3c106ScalarES7_NS0_6detail11ClampLimitsEENKUlvE_clEvENKUlvE_clEvEUlhE_EEvS5_RKT_EUlibE_EEviT1_.kd
    .uniform_work_group_size: 1
    .uses_dynamic_stack: false
    .vgpr_count:     14
    .vgpr_spill_count: 0
    .wavefront_size: 32
  - .args:
      - .offset:         0
        .size:           4
        .value_kind:     by_value
      - .offset:         8
        .size:           360
        .value_kind:     by_value
    .group_segment_fixed_size: 0
    .kernarg_segment_align: 8
    .kernarg_segment_size: 368
    .language:       OpenCL C
    .language_version:
      - 2
      - 0
    .max_flat_workgroup_size: 128
    .name:           _ZN2at6native32elementwise_kernel_manual_unrollILi128ELi4EZNS0_15gpu_kernel_implIZZZNS0_12_GLOBAL__N_119launch_clamp_scalarERNS_18TensorIteratorBaseEN3c106ScalarES7_NS0_6detail11ClampLimitsEENKUlvE_clEvENKUlvE_clEvEUlhE_EEvS5_RKT_EUlibE0_EEviT1_
    .private_segment_fixed_size: 0
    .sgpr_count:     74
    .sgpr_spill_count: 0
    .symbol:         _ZN2at6native32elementwise_kernel_manual_unrollILi128ELi4EZNS0_15gpu_kernel_implIZZZNS0_12_GLOBAL__N_119launch_clamp_scalarERNS_18TensorIteratorBaseEN3c106ScalarES7_NS0_6detail11ClampLimitsEENKUlvE_clEvENKUlvE_clEvEUlhE_EEvS5_RKT_EUlibE0_EEviT1_.kd
    .uniform_work_group_size: 1
    .uses_dynamic_stack: false
    .vgpr_count:     20
    .vgpr_spill_count: 0
    .wavefront_size: 32
  - .args:
      - .offset:         0
        .size:           4
        .value_kind:     by_value
      - .offset:         4
        .size:           8
        .value_kind:     by_value
      - .offset:         16
        .size:           16
        .value_kind:     by_value
    .group_segment_fixed_size: 0
    .kernarg_segment_align: 8
    .kernarg_segment_size: 32
    .language:       OpenCL C
    .language_version:
      - 2
      - 0
    .max_flat_workgroup_size: 256
    .name:           _ZN2at6native29vectorized_elementwise_kernelILi16EZZZNS0_12_GLOBAL__N_119launch_clamp_scalarERNS_18TensorIteratorBaseEN3c106ScalarES6_NS0_6detail11ClampLimitsEENKUlvE_clEvENKUlvE0_clEvEUlaE_St5arrayIPcLm2EEEEviT0_T1_
    .private_segment_fixed_size: 0
    .sgpr_count:     25
    .sgpr_spill_count: 0
    .symbol:         _ZN2at6native29vectorized_elementwise_kernelILi16EZZZNS0_12_GLOBAL__N_119launch_clamp_scalarERNS_18TensorIteratorBaseEN3c106ScalarES6_NS0_6detail11ClampLimitsEENKUlvE_clEvENKUlvE0_clEvEUlaE_St5arrayIPcLm2EEEEviT0_T1_.kd
    .uniform_work_group_size: 1
    .uses_dynamic_stack: false
    .vgpr_count:     24
    .vgpr_spill_count: 0
    .wavefront_size: 32
  - .args:
      - .offset:         0
        .size:           4
        .value_kind:     by_value
      - .offset:         4
        .size:           8
        .value_kind:     by_value
      - .offset:         16
        .size:           16
        .value_kind:     by_value
    .group_segment_fixed_size: 0
    .kernarg_segment_align: 8
    .kernarg_segment_size: 32
    .language:       OpenCL C
    .language_version:
      - 2
      - 0
    .max_flat_workgroup_size: 256
    .name:           _ZN2at6native29vectorized_elementwise_kernelILi8EZZZNS0_12_GLOBAL__N_119launch_clamp_scalarERNS_18TensorIteratorBaseEN3c106ScalarES6_NS0_6detail11ClampLimitsEENKUlvE_clEvENKUlvE0_clEvEUlaE_St5arrayIPcLm2EEEEviT0_T1_
    .private_segment_fixed_size: 0
    .sgpr_count:     25
    .sgpr_spill_count: 0
    .symbol:         _ZN2at6native29vectorized_elementwise_kernelILi8EZZZNS0_12_GLOBAL__N_119launch_clamp_scalarERNS_18TensorIteratorBaseEN3c106ScalarES6_NS0_6detail11ClampLimitsEENKUlvE_clEvENKUlvE0_clEvEUlaE_St5arrayIPcLm2EEEEviT0_T1_.kd
    .uniform_work_group_size: 1
    .uses_dynamic_stack: false
    .vgpr_count:     24
    .vgpr_spill_count: 0
    .wavefront_size: 32
  - .args:
      - .offset:         0
        .size:           4
        .value_kind:     by_value
      - .offset:         4
        .size:           8
        .value_kind:     by_value
      - .offset:         16
        .size:           16
        .value_kind:     by_value
    .group_segment_fixed_size: 0
    .kernarg_segment_align: 8
    .kernarg_segment_size: 32
    .language:       OpenCL C
    .language_version:
      - 2
      - 0
    .max_flat_workgroup_size: 256
    .name:           _ZN2at6native29vectorized_elementwise_kernelILi4EZZZNS0_12_GLOBAL__N_119launch_clamp_scalarERNS_18TensorIteratorBaseEN3c106ScalarES6_NS0_6detail11ClampLimitsEENKUlvE_clEvENKUlvE0_clEvEUlaE_St5arrayIPcLm2EEEEviT0_T1_
    .private_segment_fixed_size: 0
    .sgpr_count:     25
    .sgpr_spill_count: 0
    .symbol:         _ZN2at6native29vectorized_elementwise_kernelILi4EZZZNS0_12_GLOBAL__N_119launch_clamp_scalarERNS_18TensorIteratorBaseEN3c106ScalarES6_NS0_6detail11ClampLimitsEENKUlvE_clEvENKUlvE0_clEvEUlaE_St5arrayIPcLm2EEEEviT0_T1_.kd
    .uniform_work_group_size: 1
    .uses_dynamic_stack: false
    .vgpr_count:     24
    .vgpr_spill_count: 0
    .wavefront_size: 32
  - .args:
      - .offset:         0
        .size:           4
        .value_kind:     by_value
      - .offset:         4
        .size:           8
        .value_kind:     by_value
      - .offset:         16
        .size:           16
        .value_kind:     by_value
    .group_segment_fixed_size: 0
    .kernarg_segment_align: 8
    .kernarg_segment_size: 32
    .language:       OpenCL C
    .language_version:
      - 2
      - 0
    .max_flat_workgroup_size: 256
    .name:           _ZN2at6native29vectorized_elementwise_kernelILi2EZZZNS0_12_GLOBAL__N_119launch_clamp_scalarERNS_18TensorIteratorBaseEN3c106ScalarES6_NS0_6detail11ClampLimitsEENKUlvE_clEvENKUlvE0_clEvEUlaE_St5arrayIPcLm2EEEEviT0_T1_
    .private_segment_fixed_size: 0
    .sgpr_count:     25
    .sgpr_spill_count: 0
    .symbol:         _ZN2at6native29vectorized_elementwise_kernelILi2EZZZNS0_12_GLOBAL__N_119launch_clamp_scalarERNS_18TensorIteratorBaseEN3c106ScalarES6_NS0_6detail11ClampLimitsEENKUlvE_clEvENKUlvE0_clEvEUlaE_St5arrayIPcLm2EEEEviT0_T1_.kd
    .uniform_work_group_size: 1
    .uses_dynamic_stack: false
    .vgpr_count:     24
    .vgpr_spill_count: 0
    .wavefront_size: 32
  - .args:
      - .offset:         0
        .size:           4
        .value_kind:     by_value
      - .offset:         4
        .size:           8
        .value_kind:     by_value
      - .offset:         16
        .size:           16
        .value_kind:     by_value
      - .offset:         32
        .size:           1
        .value_kind:     by_value
      - .offset:         33
        .size:           1
        .value_kind:     by_value
      - .offset:         34
        .size:           1
        .value_kind:     by_value
      - .offset:         35
        .size:           1
        .value_kind:     by_value
    .group_segment_fixed_size: 0
    .kernarg_segment_align: 8
    .kernarg_segment_size: 36
    .language:       OpenCL C
    .language_version:
      - 2
      - 0
    .max_flat_workgroup_size: 256
    .name:           _ZN2at6native27unrolled_elementwise_kernelIZZZNS0_12_GLOBAL__N_119launch_clamp_scalarERNS_18TensorIteratorBaseEN3c106ScalarES6_NS0_6detail11ClampLimitsEENKUlvE_clEvENKUlvE0_clEvEUlaE_St5arrayIPcLm2EELi4E23TrivialOffsetCalculatorILi1EjESG_NS0_6memory15LoadWithoutCastENSH_16StoreWithoutCastEEEviT_T0_T2_T3_T4_T5_
    .private_segment_fixed_size: 0
    .sgpr_count:     15
    .sgpr_spill_count: 0
    .symbol:         _ZN2at6native27unrolled_elementwise_kernelIZZZNS0_12_GLOBAL__N_119launch_clamp_scalarERNS_18TensorIteratorBaseEN3c106ScalarES6_NS0_6detail11ClampLimitsEENKUlvE_clEvENKUlvE0_clEvEUlaE_St5arrayIPcLm2EELi4E23TrivialOffsetCalculatorILi1EjESG_NS0_6memory15LoadWithoutCastENSH_16StoreWithoutCastEEEviT_T0_T2_T3_T4_T5_.kd
    .uniform_work_group_size: 1
    .uses_dynamic_stack: false
    .vgpr_count:     9
    .vgpr_spill_count: 0
    .wavefront_size: 32
  - .args:
      - .offset:         0
        .size:           4
        .value_kind:     by_value
      - .offset:         8
        .size:           352
        .value_kind:     by_value
    .group_segment_fixed_size: 0
    .kernarg_segment_align: 8
    .kernarg_segment_size: 360
    .language:       OpenCL C
    .language_version:
      - 2
      - 0
    .max_flat_workgroup_size: 128
    .name:           _ZN2at6native32elementwise_kernel_manual_unrollILi128ELi8EZNS0_22gpu_kernel_impl_nocastIZZZNS0_12_GLOBAL__N_119launch_clamp_scalarERNS_18TensorIteratorBaseEN3c106ScalarES7_NS0_6detail11ClampLimitsEENKUlvE_clEvENKUlvE0_clEvEUlaE_EEvS5_RKT_EUlibE_EEviT1_
    .private_segment_fixed_size: 0
    .sgpr_count:     62
    .sgpr_spill_count: 0
    .symbol:         _ZN2at6native32elementwise_kernel_manual_unrollILi128ELi8EZNS0_22gpu_kernel_impl_nocastIZZZNS0_12_GLOBAL__N_119launch_clamp_scalarERNS_18TensorIteratorBaseEN3c106ScalarES7_NS0_6detail11ClampLimitsEENKUlvE_clEvENKUlvE0_clEvEUlaE_EEvS5_RKT_EUlibE_EEviT1_.kd
    .uniform_work_group_size: 1
    .uses_dynamic_stack: false
    .vgpr_count:     23
    .vgpr_spill_count: 0
    .wavefront_size: 32
  - .args:
      - .offset:         0
        .size:           4
        .value_kind:     by_value
      - .offset:         8
        .size:           40
        .value_kind:     by_value
    .group_segment_fixed_size: 0
    .kernarg_segment_align: 8
    .kernarg_segment_size: 48
    .language:       OpenCL C
    .language_version:
      - 2
      - 0
    .max_flat_workgroup_size: 128
    .name:           _ZN2at6native32elementwise_kernel_manual_unrollILi128ELi4EZNS0_15gpu_kernel_implIZZZNS0_12_GLOBAL__N_119launch_clamp_scalarERNS_18TensorIteratorBaseEN3c106ScalarES7_NS0_6detail11ClampLimitsEENKUlvE_clEvENKUlvE0_clEvEUlaE_EEvS5_RKT_EUlibE_EEviT1_
    .private_segment_fixed_size: 0
    .sgpr_count:     31
    .sgpr_spill_count: 0
    .symbol:         _ZN2at6native32elementwise_kernel_manual_unrollILi128ELi4EZNS0_15gpu_kernel_implIZZZNS0_12_GLOBAL__N_119launch_clamp_scalarERNS_18TensorIteratorBaseEN3c106ScalarES7_NS0_6detail11ClampLimitsEENKUlvE_clEvENKUlvE0_clEvEUlaE_EEvS5_RKT_EUlibE_EEviT1_.kd
    .uniform_work_group_size: 1
    .uses_dynamic_stack: false
    .vgpr_count:     14
    .vgpr_spill_count: 0
    .wavefront_size: 32
  - .args:
      - .offset:         0
        .size:           4
        .value_kind:     by_value
      - .offset:         8
        .size:           360
        .value_kind:     by_value
    .group_segment_fixed_size: 0
    .kernarg_segment_align: 8
    .kernarg_segment_size: 368
    .language:       OpenCL C
    .language_version:
      - 2
      - 0
    .max_flat_workgroup_size: 128
    .name:           _ZN2at6native32elementwise_kernel_manual_unrollILi128ELi4EZNS0_15gpu_kernel_implIZZZNS0_12_GLOBAL__N_119launch_clamp_scalarERNS_18TensorIteratorBaseEN3c106ScalarES7_NS0_6detail11ClampLimitsEENKUlvE_clEvENKUlvE0_clEvEUlaE_EEvS5_RKT_EUlibE0_EEviT1_
    .private_segment_fixed_size: 0
    .sgpr_count:     74
    .sgpr_spill_count: 0
    .symbol:         _ZN2at6native32elementwise_kernel_manual_unrollILi128ELi4EZNS0_15gpu_kernel_implIZZZNS0_12_GLOBAL__N_119launch_clamp_scalarERNS_18TensorIteratorBaseEN3c106ScalarES7_NS0_6detail11ClampLimitsEENKUlvE_clEvENKUlvE0_clEvEUlaE_EEvS5_RKT_EUlibE0_EEviT1_.kd
    .uniform_work_group_size: 1
    .uses_dynamic_stack: false
    .vgpr_count:     18
    .vgpr_spill_count: 0
    .wavefront_size: 32
  - .args:
      - .offset:         0
        .size:           4
        .value_kind:     by_value
      - .offset:         4
        .size:           12
        .value_kind:     by_value
      - .offset:         16
        .size:           16
        .value_kind:     by_value
    .group_segment_fixed_size: 0
    .kernarg_segment_align: 8
    .kernarg_segment_size: 32
    .language:       OpenCL C
    .language_version:
      - 2
      - 0
    .max_flat_workgroup_size: 256
    .name:           _ZN2at6native29vectorized_elementwise_kernelILi16EZZZNS0_12_GLOBAL__N_119launch_clamp_scalarERNS_18TensorIteratorBaseEN3c106ScalarES6_NS0_6detail11ClampLimitsEENKUlvE_clEvENKUlvE1_clEvEUliE_St5arrayIPcLm2EEEEviT0_T1_
    .private_segment_fixed_size: 0
    .sgpr_count:     18
    .sgpr_spill_count: 0
    .symbol:         _ZN2at6native29vectorized_elementwise_kernelILi16EZZZNS0_12_GLOBAL__N_119launch_clamp_scalarERNS_18TensorIteratorBaseEN3c106ScalarES6_NS0_6detail11ClampLimitsEENKUlvE_clEvENKUlvE1_clEvEUliE_St5arrayIPcLm2EEEEviT0_T1_.kd
    .uniform_work_group_size: 1
    .uses_dynamic_stack: false
    .vgpr_count:     12
    .vgpr_spill_count: 0
    .wavefront_size: 32
  - .args:
      - .offset:         0
        .size:           4
        .value_kind:     by_value
      - .offset:         4
        .size:           12
        .value_kind:     by_value
      - .offset:         16
        .size:           16
        .value_kind:     by_value
    .group_segment_fixed_size: 0
    .kernarg_segment_align: 8
    .kernarg_segment_size: 32
    .language:       OpenCL C
    .language_version:
      - 2
      - 0
    .max_flat_workgroup_size: 256
    .name:           _ZN2at6native29vectorized_elementwise_kernelILi8EZZZNS0_12_GLOBAL__N_119launch_clamp_scalarERNS_18TensorIteratorBaseEN3c106ScalarES6_NS0_6detail11ClampLimitsEENKUlvE_clEvENKUlvE1_clEvEUliE_St5arrayIPcLm2EEEEviT0_T1_
    .private_segment_fixed_size: 0
    .sgpr_count:     18
    .sgpr_spill_count: 0
    .symbol:         _ZN2at6native29vectorized_elementwise_kernelILi8EZZZNS0_12_GLOBAL__N_119launch_clamp_scalarERNS_18TensorIteratorBaseEN3c106ScalarES6_NS0_6detail11ClampLimitsEENKUlvE_clEvENKUlvE1_clEvEUliE_St5arrayIPcLm2EEEEviT0_T1_.kd
    .uniform_work_group_size: 1
    .uses_dynamic_stack: false
    .vgpr_count:     12
    .vgpr_spill_count: 0
    .wavefront_size: 32
  - .args:
      - .offset:         0
        .size:           4
        .value_kind:     by_value
      - .offset:         4
        .size:           12
        .value_kind:     by_value
      - .offset:         16
        .size:           16
        .value_kind:     by_value
    .group_segment_fixed_size: 0
    .kernarg_segment_align: 8
    .kernarg_segment_size: 32
    .language:       OpenCL C
    .language_version:
      - 2
      - 0
    .max_flat_workgroup_size: 256
    .name:           _ZN2at6native29vectorized_elementwise_kernelILi4EZZZNS0_12_GLOBAL__N_119launch_clamp_scalarERNS_18TensorIteratorBaseEN3c106ScalarES6_NS0_6detail11ClampLimitsEENKUlvE_clEvENKUlvE1_clEvEUliE_St5arrayIPcLm2EEEEviT0_T1_
    .private_segment_fixed_size: 0
    .sgpr_count:     18
    .sgpr_spill_count: 0
    .symbol:         _ZN2at6native29vectorized_elementwise_kernelILi4EZZZNS0_12_GLOBAL__N_119launch_clamp_scalarERNS_18TensorIteratorBaseEN3c106ScalarES6_NS0_6detail11ClampLimitsEENKUlvE_clEvENKUlvE1_clEvEUliE_St5arrayIPcLm2EEEEviT0_T1_.kd
    .uniform_work_group_size: 1
    .uses_dynamic_stack: false
    .vgpr_count:     12
    .vgpr_spill_count: 0
    .wavefront_size: 32
  - .args:
      - .offset:         0
        .size:           4
        .value_kind:     by_value
      - .offset:         4
        .size:           12
        .value_kind:     by_value
      - .offset:         16
        .size:           16
        .value_kind:     by_value
    .group_segment_fixed_size: 0
    .kernarg_segment_align: 8
    .kernarg_segment_size: 32
    .language:       OpenCL C
    .language_version:
      - 2
      - 0
    .max_flat_workgroup_size: 256
    .name:           _ZN2at6native29vectorized_elementwise_kernelILi2EZZZNS0_12_GLOBAL__N_119launch_clamp_scalarERNS_18TensorIteratorBaseEN3c106ScalarES6_NS0_6detail11ClampLimitsEENKUlvE_clEvENKUlvE1_clEvEUliE_St5arrayIPcLm2EEEEviT0_T1_
    .private_segment_fixed_size: 0
    .sgpr_count:     18
    .sgpr_spill_count: 0
    .symbol:         _ZN2at6native29vectorized_elementwise_kernelILi2EZZZNS0_12_GLOBAL__N_119launch_clamp_scalarERNS_18TensorIteratorBaseEN3c106ScalarES6_NS0_6detail11ClampLimitsEENKUlvE_clEvENKUlvE1_clEvEUliE_St5arrayIPcLm2EEEEviT0_T1_.kd
    .uniform_work_group_size: 1
    .uses_dynamic_stack: false
    .vgpr_count:     12
    .vgpr_spill_count: 0
    .wavefront_size: 32
  - .args:
      - .offset:         0
        .size:           4
        .value_kind:     by_value
      - .offset:         4
        .size:           12
        .value_kind:     by_value
      - .offset:         16
        .size:           16
        .value_kind:     by_value
      - .offset:         32
        .size:           1
        .value_kind:     by_value
      - .offset:         33
        .size:           1
        .value_kind:     by_value
      - .offset:         34
        .size:           1
        .value_kind:     by_value
      - .offset:         35
        .size:           1
        .value_kind:     by_value
    .group_segment_fixed_size: 0
    .kernarg_segment_align: 8
    .kernarg_segment_size: 36
    .language:       OpenCL C
    .language_version:
      - 2
      - 0
    .max_flat_workgroup_size: 256
    .name:           _ZN2at6native27unrolled_elementwise_kernelIZZZNS0_12_GLOBAL__N_119launch_clamp_scalarERNS_18TensorIteratorBaseEN3c106ScalarES6_NS0_6detail11ClampLimitsEENKUlvE_clEvENKUlvE1_clEvEUliE_St5arrayIPcLm2EELi4E23TrivialOffsetCalculatorILi1EjESG_NS0_6memory15LoadWithoutCastENSH_16StoreWithoutCastEEEviT_T0_T2_T3_T4_T5_
    .private_segment_fixed_size: 0
    .sgpr_count:     16
    .sgpr_spill_count: 0
    .symbol:         _ZN2at6native27unrolled_elementwise_kernelIZZZNS0_12_GLOBAL__N_119launch_clamp_scalarERNS_18TensorIteratorBaseEN3c106ScalarES6_NS0_6detail11ClampLimitsEENKUlvE_clEvENKUlvE1_clEvEUliE_St5arrayIPcLm2EELi4E23TrivialOffsetCalculatorILi1EjESG_NS0_6memory15LoadWithoutCastENSH_16StoreWithoutCastEEEviT_T0_T2_T3_T4_T5_.kd
    .uniform_work_group_size: 1
    .uses_dynamic_stack: false
    .vgpr_count:     11
    .vgpr_spill_count: 0
    .wavefront_size: 32
  - .args:
      - .offset:         0
        .size:           4
        .value_kind:     by_value
      - .offset:         8
        .size:           360
        .value_kind:     by_value
    .group_segment_fixed_size: 0
    .kernarg_segment_align: 8
    .kernarg_segment_size: 368
    .language:       OpenCL C
    .language_version:
      - 2
      - 0
    .max_flat_workgroup_size: 128
    .name:           _ZN2at6native32elementwise_kernel_manual_unrollILi128ELi4EZNS0_22gpu_kernel_impl_nocastIZZZNS0_12_GLOBAL__N_119launch_clamp_scalarERNS_18TensorIteratorBaseEN3c106ScalarES7_NS0_6detail11ClampLimitsEENKUlvE_clEvENKUlvE1_clEvEUliE_EEvS5_RKT_EUlibE_EEviT1_
    .private_segment_fixed_size: 0
    .sgpr_count:     62
    .sgpr_spill_count: 0
    .symbol:         _ZN2at6native32elementwise_kernel_manual_unrollILi128ELi4EZNS0_22gpu_kernel_impl_nocastIZZZNS0_12_GLOBAL__N_119launch_clamp_scalarERNS_18TensorIteratorBaseEN3c106ScalarES7_NS0_6detail11ClampLimitsEENKUlvE_clEvENKUlvE1_clEvEUliE_EEvS5_RKT_EUlibE_EEviT1_.kd
    .uniform_work_group_size: 1
    .uses_dynamic_stack: false
    .vgpr_count:     15
    .vgpr_spill_count: 0
    .wavefront_size: 32
  - .args:
      - .offset:         0
        .size:           4
        .value_kind:     by_value
      - .offset:         8
        .size:           40
        .value_kind:     by_value
    .group_segment_fixed_size: 0
    .kernarg_segment_align: 8
    .kernarg_segment_size: 48
    .language:       OpenCL C
    .language_version:
      - 2
      - 0
    .max_flat_workgroup_size: 128
    .name:           _ZN2at6native32elementwise_kernel_manual_unrollILi128ELi4EZNS0_15gpu_kernel_implIZZZNS0_12_GLOBAL__N_119launch_clamp_scalarERNS_18TensorIteratorBaseEN3c106ScalarES7_NS0_6detail11ClampLimitsEENKUlvE_clEvENKUlvE1_clEvEUliE_EEvS5_RKT_EUlibE_EEviT1_
    .private_segment_fixed_size: 0
    .sgpr_count:     31
    .sgpr_spill_count: 0
    .symbol:         _ZN2at6native32elementwise_kernel_manual_unrollILi128ELi4EZNS0_15gpu_kernel_implIZZZNS0_12_GLOBAL__N_119launch_clamp_scalarERNS_18TensorIteratorBaseEN3c106ScalarES7_NS0_6detail11ClampLimitsEENKUlvE_clEvENKUlvE1_clEvEUliE_EEvS5_RKT_EUlibE_EEviT1_.kd
    .uniform_work_group_size: 1
    .uses_dynamic_stack: false
    .vgpr_count:     16
    .vgpr_spill_count: 0
    .wavefront_size: 32
  - .args:
      - .offset:         0
        .size:           4
        .value_kind:     by_value
      - .offset:         8
        .size:           360
        .value_kind:     by_value
    .group_segment_fixed_size: 0
    .kernarg_segment_align: 8
    .kernarg_segment_size: 368
    .language:       OpenCL C
    .language_version:
      - 2
      - 0
    .max_flat_workgroup_size: 128
    .name:           _ZN2at6native32elementwise_kernel_manual_unrollILi128ELi4EZNS0_15gpu_kernel_implIZZZNS0_12_GLOBAL__N_119launch_clamp_scalarERNS_18TensorIteratorBaseEN3c106ScalarES7_NS0_6detail11ClampLimitsEENKUlvE_clEvENKUlvE1_clEvEUliE_EEvS5_RKT_EUlibE0_EEviT1_
    .private_segment_fixed_size: 0
    .sgpr_count:     74
    .sgpr_spill_count: 0
    .symbol:         _ZN2at6native32elementwise_kernel_manual_unrollILi128ELi4EZNS0_15gpu_kernel_implIZZZNS0_12_GLOBAL__N_119launch_clamp_scalarERNS_18TensorIteratorBaseEN3c106ScalarES7_NS0_6detail11ClampLimitsEENKUlvE_clEvENKUlvE1_clEvEUliE_EEvS5_RKT_EUlibE0_EEviT1_.kd
    .uniform_work_group_size: 1
    .uses_dynamic_stack: false
    .vgpr_count:     20
    .vgpr_spill_count: 0
    .wavefront_size: 32
  - .args:
      - .offset:         0
        .size:           4
        .value_kind:     by_value
      - .offset:         8
        .size:           24
        .value_kind:     by_value
      - .offset:         32
        .size:           16
        .value_kind:     by_value
    .group_segment_fixed_size: 0
    .kernarg_segment_align: 8
    .kernarg_segment_size: 48
    .language:       OpenCL C
    .language_version:
      - 2
      - 0
    .max_flat_workgroup_size: 256
    .name:           _ZN2at6native29vectorized_elementwise_kernelILi16EZZZNS0_12_GLOBAL__N_119launch_clamp_scalarERNS_18TensorIteratorBaseEN3c106ScalarES6_NS0_6detail11ClampLimitsEENKUlvE_clEvENKUlvE2_clEvEUllE_St5arrayIPcLm2EEEEviT0_T1_
    .private_segment_fixed_size: 0
    .sgpr_count:     20
    .sgpr_spill_count: 0
    .symbol:         _ZN2at6native29vectorized_elementwise_kernelILi16EZZZNS0_12_GLOBAL__N_119launch_clamp_scalarERNS_18TensorIteratorBaseEN3c106ScalarES6_NS0_6detail11ClampLimitsEENKUlvE_clEvENKUlvE2_clEvEUllE_St5arrayIPcLm2EEEEviT0_T1_.kd
    .uniform_work_group_size: 1
    .uses_dynamic_stack: false
    .vgpr_count:     19
    .vgpr_spill_count: 0
    .wavefront_size: 32
  - .args:
      - .offset:         0
        .size:           4
        .value_kind:     by_value
      - .offset:         8
        .size:           24
        .value_kind:     by_value
      - .offset:         32
        .size:           16
        .value_kind:     by_value
    .group_segment_fixed_size: 0
    .kernarg_segment_align: 8
    .kernarg_segment_size: 48
    .language:       OpenCL C
    .language_version:
      - 2
      - 0
    .max_flat_workgroup_size: 256
    .name:           _ZN2at6native29vectorized_elementwise_kernelILi8EZZZNS0_12_GLOBAL__N_119launch_clamp_scalarERNS_18TensorIteratorBaseEN3c106ScalarES6_NS0_6detail11ClampLimitsEENKUlvE_clEvENKUlvE2_clEvEUllE_St5arrayIPcLm2EEEEviT0_T1_
    .private_segment_fixed_size: 0
    .sgpr_count:     20
    .sgpr_spill_count: 0
    .symbol:         _ZN2at6native29vectorized_elementwise_kernelILi8EZZZNS0_12_GLOBAL__N_119launch_clamp_scalarERNS_18TensorIteratorBaseEN3c106ScalarES6_NS0_6detail11ClampLimitsEENKUlvE_clEvENKUlvE2_clEvEUllE_St5arrayIPcLm2EEEEviT0_T1_.kd
    .uniform_work_group_size: 1
    .uses_dynamic_stack: false
    .vgpr_count:     19
    .vgpr_spill_count: 0
    .wavefront_size: 32
  - .args:
      - .offset:         0
        .size:           4
        .value_kind:     by_value
      - .offset:         8
        .size:           24
        .value_kind:     by_value
      - .offset:         32
        .size:           16
        .value_kind:     by_value
    .group_segment_fixed_size: 0
    .kernarg_segment_align: 8
    .kernarg_segment_size: 48
    .language:       OpenCL C
    .language_version:
      - 2
      - 0
    .max_flat_workgroup_size: 256
    .name:           _ZN2at6native29vectorized_elementwise_kernelILi4EZZZNS0_12_GLOBAL__N_119launch_clamp_scalarERNS_18TensorIteratorBaseEN3c106ScalarES6_NS0_6detail11ClampLimitsEENKUlvE_clEvENKUlvE2_clEvEUllE_St5arrayIPcLm2EEEEviT0_T1_
    .private_segment_fixed_size: 0
    .sgpr_count:     20
    .sgpr_spill_count: 0
    .symbol:         _ZN2at6native29vectorized_elementwise_kernelILi4EZZZNS0_12_GLOBAL__N_119launch_clamp_scalarERNS_18TensorIteratorBaseEN3c106ScalarES6_NS0_6detail11ClampLimitsEENKUlvE_clEvENKUlvE2_clEvEUllE_St5arrayIPcLm2EEEEviT0_T1_.kd
    .uniform_work_group_size: 1
    .uses_dynamic_stack: false
    .vgpr_count:     19
    .vgpr_spill_count: 0
    .wavefront_size: 32
  - .args:
      - .offset:         0
        .size:           4
        .value_kind:     by_value
      - .offset:         8
        .size:           24
        .value_kind:     by_value
      - .offset:         32
        .size:           16
        .value_kind:     by_value
    .group_segment_fixed_size: 0
    .kernarg_segment_align: 8
    .kernarg_segment_size: 48
    .language:       OpenCL C
    .language_version:
      - 2
      - 0
    .max_flat_workgroup_size: 256
    .name:           _ZN2at6native29vectorized_elementwise_kernelILi2EZZZNS0_12_GLOBAL__N_119launch_clamp_scalarERNS_18TensorIteratorBaseEN3c106ScalarES6_NS0_6detail11ClampLimitsEENKUlvE_clEvENKUlvE2_clEvEUllE_St5arrayIPcLm2EEEEviT0_T1_
    .private_segment_fixed_size: 0
    .sgpr_count:     20
    .sgpr_spill_count: 0
    .symbol:         _ZN2at6native29vectorized_elementwise_kernelILi2EZZZNS0_12_GLOBAL__N_119launch_clamp_scalarERNS_18TensorIteratorBaseEN3c106ScalarES6_NS0_6detail11ClampLimitsEENKUlvE_clEvENKUlvE2_clEvEUllE_St5arrayIPcLm2EEEEviT0_T1_.kd
    .uniform_work_group_size: 1
    .uses_dynamic_stack: false
    .vgpr_count:     19
    .vgpr_spill_count: 0
    .wavefront_size: 32
  - .args:
      - .offset:         0
        .size:           4
        .value_kind:     by_value
      - .offset:         8
        .size:           24
        .value_kind:     by_value
      - .offset:         32
        .size:           16
        .value_kind:     by_value
      - .offset:         48
        .size:           1
        .value_kind:     by_value
      - .offset:         49
        .size:           1
        .value_kind:     by_value
      - .offset:         50
        .size:           1
        .value_kind:     by_value
      - .offset:         51
        .size:           1
        .value_kind:     by_value
    .group_segment_fixed_size: 0
    .kernarg_segment_align: 8
    .kernarg_segment_size: 52
    .language:       OpenCL C
    .language_version:
      - 2
      - 0
    .max_flat_workgroup_size: 256
    .name:           _ZN2at6native27unrolled_elementwise_kernelIZZZNS0_12_GLOBAL__N_119launch_clamp_scalarERNS_18TensorIteratorBaseEN3c106ScalarES6_NS0_6detail11ClampLimitsEENKUlvE_clEvENKUlvE2_clEvEUllE_St5arrayIPcLm2EELi4E23TrivialOffsetCalculatorILi1EjESG_NS0_6memory15LoadWithoutCastENSH_16StoreWithoutCastEEEviT_T0_T2_T3_T4_T5_
    .private_segment_fixed_size: 0
    .sgpr_count:     16
    .sgpr_spill_count: 0
    .symbol:         _ZN2at6native27unrolled_elementwise_kernelIZZZNS0_12_GLOBAL__N_119launch_clamp_scalarERNS_18TensorIteratorBaseEN3c106ScalarES6_NS0_6detail11ClampLimitsEENKUlvE_clEvENKUlvE2_clEvEUllE_St5arrayIPcLm2EELi4E23TrivialOffsetCalculatorILi1EjESG_NS0_6memory15LoadWithoutCastENSH_16StoreWithoutCastEEEviT_T0_T2_T3_T4_T5_.kd
    .uniform_work_group_size: 1
    .uses_dynamic_stack: false
    .vgpr_count:     19
    .vgpr_spill_count: 0
    .wavefront_size: 32
  - .args:
      - .offset:         0
        .size:           4
        .value_kind:     by_value
      - .offset:         8
        .size:           368
        .value_kind:     by_value
    .group_segment_fixed_size: 0
    .kernarg_segment_align: 8
    .kernarg_segment_size: 376
    .language:       OpenCL C
    .language_version:
      - 2
      - 0
    .max_flat_workgroup_size: 128
    .name:           _ZN2at6native32elementwise_kernel_manual_unrollILi128ELi4EZNS0_22gpu_kernel_impl_nocastIZZZNS0_12_GLOBAL__N_119launch_clamp_scalarERNS_18TensorIteratorBaseEN3c106ScalarES7_NS0_6detail11ClampLimitsEENKUlvE_clEvENKUlvE2_clEvEUllE_EEvS5_RKT_EUlibE_EEviT1_
    .private_segment_fixed_size: 0
    .sgpr_count:     66
    .sgpr_spill_count: 0
    .symbol:         _ZN2at6native32elementwise_kernel_manual_unrollILi128ELi4EZNS0_22gpu_kernel_impl_nocastIZZZNS0_12_GLOBAL__N_119launch_clamp_scalarERNS_18TensorIteratorBaseEN3c106ScalarES7_NS0_6detail11ClampLimitsEENKUlvE_clEvENKUlvE2_clEvEUllE_EEvS5_RKT_EUlibE_EEviT1_.kd
    .uniform_work_group_size: 1
    .uses_dynamic_stack: false
    .vgpr_count:     18
    .vgpr_spill_count: 0
    .wavefront_size: 32
  - .args:
      - .offset:         0
        .size:           4
        .value_kind:     by_value
      - .offset:         8
        .size:           56
        .value_kind:     by_value
    .group_segment_fixed_size: 0
    .kernarg_segment_align: 8
    .kernarg_segment_size: 64
    .language:       OpenCL C
    .language_version:
      - 2
      - 0
    .max_flat_workgroup_size: 128
    .name:           _ZN2at6native32elementwise_kernel_manual_unrollILi128ELi4EZNS0_15gpu_kernel_implIZZZNS0_12_GLOBAL__N_119launch_clamp_scalarERNS_18TensorIteratorBaseEN3c106ScalarES7_NS0_6detail11ClampLimitsEENKUlvE_clEvENKUlvE2_clEvEUllE_EEvS5_RKT_EUlibE_EEviT1_
    .private_segment_fixed_size: 0
    .sgpr_count:     33
    .sgpr_spill_count: 0
    .symbol:         _ZN2at6native32elementwise_kernel_manual_unrollILi128ELi4EZNS0_15gpu_kernel_implIZZZNS0_12_GLOBAL__N_119launch_clamp_scalarERNS_18TensorIteratorBaseEN3c106ScalarES7_NS0_6detail11ClampLimitsEENKUlvE_clEvENKUlvE2_clEvEUllE_EEvS5_RKT_EUlibE_EEviT1_.kd
    .uniform_work_group_size: 1
    .uses_dynamic_stack: false
    .vgpr_count:     16
    .vgpr_spill_count: 0
    .wavefront_size: 32
  - .args:
      - .offset:         0
        .size:           4
        .value_kind:     by_value
      - .offset:         8
        .size:           376
        .value_kind:     by_value
    .group_segment_fixed_size: 0
    .kernarg_segment_align: 8
    .kernarg_segment_size: 384
    .language:       OpenCL C
    .language_version:
      - 2
      - 0
    .max_flat_workgroup_size: 128
    .name:           _ZN2at6native32elementwise_kernel_manual_unrollILi128ELi4EZNS0_15gpu_kernel_implIZZZNS0_12_GLOBAL__N_119launch_clamp_scalarERNS_18TensorIteratorBaseEN3c106ScalarES7_NS0_6detail11ClampLimitsEENKUlvE_clEvENKUlvE2_clEvEUllE_EEvS5_RKT_EUlibE0_EEviT1_
    .private_segment_fixed_size: 0
    .sgpr_count:     74
    .sgpr_spill_count: 0
    .symbol:         _ZN2at6native32elementwise_kernel_manual_unrollILi128ELi4EZNS0_15gpu_kernel_implIZZZNS0_12_GLOBAL__N_119launch_clamp_scalarERNS_18TensorIteratorBaseEN3c106ScalarES7_NS0_6detail11ClampLimitsEENKUlvE_clEvENKUlvE2_clEvEUllE_EEvS5_RKT_EUlibE0_EEviT1_.kd
    .uniform_work_group_size: 1
    .uses_dynamic_stack: false
    .vgpr_count:     22
    .vgpr_spill_count: 0
    .wavefront_size: 32
  - .args:
      - .offset:         0
        .size:           4
        .value_kind:     by_value
      - .offset:         4
        .size:           8
        .value_kind:     by_value
      - .offset:         16
        .size:           16
        .value_kind:     by_value
    .group_segment_fixed_size: 0
    .kernarg_segment_align: 8
    .kernarg_segment_size: 32
    .language:       OpenCL C
    .language_version:
      - 2
      - 0
    .max_flat_workgroup_size: 256
    .name:           _ZN2at6native29vectorized_elementwise_kernelILi16EZZZNS0_12_GLOBAL__N_119launch_clamp_scalarERNS_18TensorIteratorBaseEN3c106ScalarES6_NS0_6detail11ClampLimitsEENKUlvE_clEvENKUlvE3_clEvEUlsE_St5arrayIPcLm2EEEEviT0_T1_
    .private_segment_fixed_size: 0
    .sgpr_count:     16
    .sgpr_spill_count: 0
    .symbol:         _ZN2at6native29vectorized_elementwise_kernelILi16EZZZNS0_12_GLOBAL__N_119launch_clamp_scalarERNS_18TensorIteratorBaseEN3c106ScalarES6_NS0_6detail11ClampLimitsEENKUlvE_clEvENKUlvE3_clEvEUlsE_St5arrayIPcLm2EEEEviT0_T1_.kd
    .uniform_work_group_size: 1
    .uses_dynamic_stack: false
    .vgpr_count:     16
    .vgpr_spill_count: 0
    .wavefront_size: 32
  - .args:
      - .offset:         0
        .size:           4
        .value_kind:     by_value
      - .offset:         4
        .size:           8
        .value_kind:     by_value
      - .offset:         16
        .size:           16
        .value_kind:     by_value
    .group_segment_fixed_size: 0
    .kernarg_segment_align: 8
    .kernarg_segment_size: 32
    .language:       OpenCL C
    .language_version:
      - 2
      - 0
    .max_flat_workgroup_size: 256
    .name:           _ZN2at6native29vectorized_elementwise_kernelILi8EZZZNS0_12_GLOBAL__N_119launch_clamp_scalarERNS_18TensorIteratorBaseEN3c106ScalarES6_NS0_6detail11ClampLimitsEENKUlvE_clEvENKUlvE3_clEvEUlsE_St5arrayIPcLm2EEEEviT0_T1_
    .private_segment_fixed_size: 0
    .sgpr_count:     16
    .sgpr_spill_count: 0
    .symbol:         _ZN2at6native29vectorized_elementwise_kernelILi8EZZZNS0_12_GLOBAL__N_119launch_clamp_scalarERNS_18TensorIteratorBaseEN3c106ScalarES6_NS0_6detail11ClampLimitsEENKUlvE_clEvENKUlvE3_clEvEUlsE_St5arrayIPcLm2EEEEviT0_T1_.kd
    .uniform_work_group_size: 1
    .uses_dynamic_stack: false
    .vgpr_count:     16
    .vgpr_spill_count: 0
    .wavefront_size: 32
  - .args:
      - .offset:         0
        .size:           4
        .value_kind:     by_value
      - .offset:         4
        .size:           8
        .value_kind:     by_value
      - .offset:         16
        .size:           16
        .value_kind:     by_value
    .group_segment_fixed_size: 0
    .kernarg_segment_align: 8
    .kernarg_segment_size: 32
    .language:       OpenCL C
    .language_version:
      - 2
      - 0
    .max_flat_workgroup_size: 256
    .name:           _ZN2at6native29vectorized_elementwise_kernelILi4EZZZNS0_12_GLOBAL__N_119launch_clamp_scalarERNS_18TensorIteratorBaseEN3c106ScalarES6_NS0_6detail11ClampLimitsEENKUlvE_clEvENKUlvE3_clEvEUlsE_St5arrayIPcLm2EEEEviT0_T1_
    .private_segment_fixed_size: 0
    .sgpr_count:     16
    .sgpr_spill_count: 0
    .symbol:         _ZN2at6native29vectorized_elementwise_kernelILi4EZZZNS0_12_GLOBAL__N_119launch_clamp_scalarERNS_18TensorIteratorBaseEN3c106ScalarES6_NS0_6detail11ClampLimitsEENKUlvE_clEvENKUlvE3_clEvEUlsE_St5arrayIPcLm2EEEEviT0_T1_.kd
    .uniform_work_group_size: 1
    .uses_dynamic_stack: false
    .vgpr_count:     16
    .vgpr_spill_count: 0
    .wavefront_size: 32
  - .args:
      - .offset:         0
        .size:           4
        .value_kind:     by_value
      - .offset:         4
        .size:           8
        .value_kind:     by_value
      - .offset:         16
        .size:           16
        .value_kind:     by_value
    .group_segment_fixed_size: 0
    .kernarg_segment_align: 8
    .kernarg_segment_size: 32
    .language:       OpenCL C
    .language_version:
      - 2
      - 0
    .max_flat_workgroup_size: 256
    .name:           _ZN2at6native29vectorized_elementwise_kernelILi2EZZZNS0_12_GLOBAL__N_119launch_clamp_scalarERNS_18TensorIteratorBaseEN3c106ScalarES6_NS0_6detail11ClampLimitsEENKUlvE_clEvENKUlvE3_clEvEUlsE_St5arrayIPcLm2EEEEviT0_T1_
    .private_segment_fixed_size: 0
    .sgpr_count:     16
    .sgpr_spill_count: 0
    .symbol:         _ZN2at6native29vectorized_elementwise_kernelILi2EZZZNS0_12_GLOBAL__N_119launch_clamp_scalarERNS_18TensorIteratorBaseEN3c106ScalarES6_NS0_6detail11ClampLimitsEENKUlvE_clEvENKUlvE3_clEvEUlsE_St5arrayIPcLm2EEEEviT0_T1_.kd
    .uniform_work_group_size: 1
    .uses_dynamic_stack: false
    .vgpr_count:     16
    .vgpr_spill_count: 0
    .wavefront_size: 32
  - .args:
      - .offset:         0
        .size:           4
        .value_kind:     by_value
      - .offset:         4
        .size:           8
        .value_kind:     by_value
      - .offset:         16
        .size:           16
        .value_kind:     by_value
      - .offset:         32
        .size:           1
        .value_kind:     by_value
      - .offset:         33
        .size:           1
        .value_kind:     by_value
      - .offset:         34
        .size:           1
        .value_kind:     by_value
      - .offset:         35
        .size:           1
        .value_kind:     by_value
    .group_segment_fixed_size: 0
    .kernarg_segment_align: 8
    .kernarg_segment_size: 36
    .language:       OpenCL C
    .language_version:
      - 2
      - 0
    .max_flat_workgroup_size: 256
    .name:           _ZN2at6native27unrolled_elementwise_kernelIZZZNS0_12_GLOBAL__N_119launch_clamp_scalarERNS_18TensorIteratorBaseEN3c106ScalarES6_NS0_6detail11ClampLimitsEENKUlvE_clEvENKUlvE3_clEvEUlsE_St5arrayIPcLm2EELi4E23TrivialOffsetCalculatorILi1EjESG_NS0_6memory15LoadWithoutCastENSH_16StoreWithoutCastEEEviT_T0_T2_T3_T4_T5_
    .private_segment_fixed_size: 0
    .sgpr_count:     13
    .sgpr_spill_count: 0
    .symbol:         _ZN2at6native27unrolled_elementwise_kernelIZZZNS0_12_GLOBAL__N_119launch_clamp_scalarERNS_18TensorIteratorBaseEN3c106ScalarES6_NS0_6detail11ClampLimitsEENKUlvE_clEvENKUlvE3_clEvEUlsE_St5arrayIPcLm2EELi4E23TrivialOffsetCalculatorILi1EjESG_NS0_6memory15LoadWithoutCastENSH_16StoreWithoutCastEEEviT_T0_T2_T3_T4_T5_.kd
    .uniform_work_group_size: 1
    .uses_dynamic_stack: false
    .vgpr_count:     10
    .vgpr_spill_count: 0
    .wavefront_size: 32
  - .args:
      - .offset:         0
        .size:           4
        .value_kind:     by_value
      - .offset:         8
        .size:           352
        .value_kind:     by_value
    .group_segment_fixed_size: 0
    .kernarg_segment_align: 8
    .kernarg_segment_size: 360
    .language:       OpenCL C
    .language_version:
      - 2
      - 0
    .max_flat_workgroup_size: 128
    .name:           _ZN2at6native32elementwise_kernel_manual_unrollILi128ELi8EZNS0_22gpu_kernel_impl_nocastIZZZNS0_12_GLOBAL__N_119launch_clamp_scalarERNS_18TensorIteratorBaseEN3c106ScalarES7_NS0_6detail11ClampLimitsEENKUlvE_clEvENKUlvE3_clEvEUlsE_EEvS5_RKT_EUlibE_EEviT1_
    .private_segment_fixed_size: 0
    .sgpr_count:     62
    .sgpr_spill_count: 0
    .symbol:         _ZN2at6native32elementwise_kernel_manual_unrollILi128ELi8EZNS0_22gpu_kernel_impl_nocastIZZZNS0_12_GLOBAL__N_119launch_clamp_scalarERNS_18TensorIteratorBaseEN3c106ScalarES7_NS0_6detail11ClampLimitsEENKUlvE_clEvENKUlvE3_clEvEUlsE_EEvS5_RKT_EUlibE_EEviT1_.kd
    .uniform_work_group_size: 1
    .uses_dynamic_stack: false
    .vgpr_count:     23
    .vgpr_spill_count: 0
    .wavefront_size: 32
  - .args:
      - .offset:         0
        .size:           4
        .value_kind:     by_value
      - .offset:         8
        .size:           40
        .value_kind:     by_value
    .group_segment_fixed_size: 0
    .kernarg_segment_align: 8
    .kernarg_segment_size: 48
    .language:       OpenCL C
    .language_version:
      - 2
      - 0
    .max_flat_workgroup_size: 128
    .name:           _ZN2at6native32elementwise_kernel_manual_unrollILi128ELi4EZNS0_15gpu_kernel_implIZZZNS0_12_GLOBAL__N_119launch_clamp_scalarERNS_18TensorIteratorBaseEN3c106ScalarES7_NS0_6detail11ClampLimitsEENKUlvE_clEvENKUlvE3_clEvEUlsE_EEvS5_RKT_EUlibE_EEviT1_
    .private_segment_fixed_size: 0
    .sgpr_count:     31
    .sgpr_spill_count: 0
    .symbol:         _ZN2at6native32elementwise_kernel_manual_unrollILi128ELi4EZNS0_15gpu_kernel_implIZZZNS0_12_GLOBAL__N_119launch_clamp_scalarERNS_18TensorIteratorBaseEN3c106ScalarES7_NS0_6detail11ClampLimitsEENKUlvE_clEvENKUlvE3_clEvEUlsE_EEvS5_RKT_EUlibE_EEviT1_.kd
    .uniform_work_group_size: 1
    .uses_dynamic_stack: false
    .vgpr_count:     16
    .vgpr_spill_count: 0
    .wavefront_size: 32
  - .args:
      - .offset:         0
        .size:           4
        .value_kind:     by_value
      - .offset:         8
        .size:           360
        .value_kind:     by_value
    .group_segment_fixed_size: 0
    .kernarg_segment_align: 8
    .kernarg_segment_size: 368
    .language:       OpenCL C
    .language_version:
      - 2
      - 0
    .max_flat_workgroup_size: 128
    .name:           _ZN2at6native32elementwise_kernel_manual_unrollILi128ELi4EZNS0_15gpu_kernel_implIZZZNS0_12_GLOBAL__N_119launch_clamp_scalarERNS_18TensorIteratorBaseEN3c106ScalarES7_NS0_6detail11ClampLimitsEENKUlvE_clEvENKUlvE3_clEvEUlsE_EEvS5_RKT_EUlibE0_EEviT1_
    .private_segment_fixed_size: 0
    .sgpr_count:     74
    .sgpr_spill_count: 0
    .symbol:         _ZN2at6native32elementwise_kernel_manual_unrollILi128ELi4EZNS0_15gpu_kernel_implIZZZNS0_12_GLOBAL__N_119launch_clamp_scalarERNS_18TensorIteratorBaseEN3c106ScalarES7_NS0_6detail11ClampLimitsEENKUlvE_clEvENKUlvE3_clEvEUlsE_EEvS5_RKT_EUlibE0_EEviT1_.kd
    .uniform_work_group_size: 1
    .uses_dynamic_stack: false
    .vgpr_count:     18
    .vgpr_spill_count: 0
    .wavefront_size: 32
  - .args:
      - .offset:         0
        .size:           4
        .value_kind:     by_value
      - .offset:         8
        .size:           24
        .value_kind:     by_value
      - .offset:         32
        .size:           16
        .value_kind:     by_value
    .group_segment_fixed_size: 0
    .kernarg_segment_align: 8
    .kernarg_segment_size: 48
    .language:       OpenCL C
    .language_version:
      - 2
      - 0
    .max_flat_workgroup_size: 256
    .name:           _ZN2at6native29vectorized_elementwise_kernelILi16EZZZNS0_12_GLOBAL__N_119launch_clamp_scalarERNS_18TensorIteratorBaseEN3c106ScalarES6_NS0_6detail11ClampLimitsEENKUlvE_clEvENKUlvE4_clEvEUldE_St5arrayIPcLm2EEEEviT0_T1_
    .private_segment_fixed_size: 0
    .sgpr_count:     18
    .sgpr_spill_count: 0
    .symbol:         _ZN2at6native29vectorized_elementwise_kernelILi16EZZZNS0_12_GLOBAL__N_119launch_clamp_scalarERNS_18TensorIteratorBaseEN3c106ScalarES6_NS0_6detail11ClampLimitsEENKUlvE_clEvENKUlvE4_clEvEUldE_St5arrayIPcLm2EEEEviT0_T1_.kd
    .uniform_work_group_size: 1
    .uses_dynamic_stack: false
    .vgpr_count:     25
    .vgpr_spill_count: 0
    .wavefront_size: 32
  - .args:
      - .offset:         0
        .size:           4
        .value_kind:     by_value
      - .offset:         8
        .size:           24
        .value_kind:     by_value
      - .offset:         32
        .size:           16
        .value_kind:     by_value
    .group_segment_fixed_size: 0
    .kernarg_segment_align: 8
    .kernarg_segment_size: 48
    .language:       OpenCL C
    .language_version:
      - 2
      - 0
    .max_flat_workgroup_size: 256
    .name:           _ZN2at6native29vectorized_elementwise_kernelILi8EZZZNS0_12_GLOBAL__N_119launch_clamp_scalarERNS_18TensorIteratorBaseEN3c106ScalarES6_NS0_6detail11ClampLimitsEENKUlvE_clEvENKUlvE4_clEvEUldE_St5arrayIPcLm2EEEEviT0_T1_
    .private_segment_fixed_size: 0
    .sgpr_count:     18
    .sgpr_spill_count: 0
    .symbol:         _ZN2at6native29vectorized_elementwise_kernelILi8EZZZNS0_12_GLOBAL__N_119launch_clamp_scalarERNS_18TensorIteratorBaseEN3c106ScalarES6_NS0_6detail11ClampLimitsEENKUlvE_clEvENKUlvE4_clEvEUldE_St5arrayIPcLm2EEEEviT0_T1_.kd
    .uniform_work_group_size: 1
    .uses_dynamic_stack: false
    .vgpr_count:     25
    .vgpr_spill_count: 0
    .wavefront_size: 32
  - .args:
      - .offset:         0
        .size:           4
        .value_kind:     by_value
      - .offset:         8
        .size:           24
        .value_kind:     by_value
      - .offset:         32
        .size:           16
        .value_kind:     by_value
    .group_segment_fixed_size: 0
    .kernarg_segment_align: 8
    .kernarg_segment_size: 48
    .language:       OpenCL C
    .language_version:
      - 2
      - 0
    .max_flat_workgroup_size: 256
    .name:           _ZN2at6native29vectorized_elementwise_kernelILi4EZZZNS0_12_GLOBAL__N_119launch_clamp_scalarERNS_18TensorIteratorBaseEN3c106ScalarES6_NS0_6detail11ClampLimitsEENKUlvE_clEvENKUlvE4_clEvEUldE_St5arrayIPcLm2EEEEviT0_T1_
    .private_segment_fixed_size: 0
    .sgpr_count:     18
    .sgpr_spill_count: 0
    .symbol:         _ZN2at6native29vectorized_elementwise_kernelILi4EZZZNS0_12_GLOBAL__N_119launch_clamp_scalarERNS_18TensorIteratorBaseEN3c106ScalarES6_NS0_6detail11ClampLimitsEENKUlvE_clEvENKUlvE4_clEvEUldE_St5arrayIPcLm2EEEEviT0_T1_.kd
    .uniform_work_group_size: 1
    .uses_dynamic_stack: false
    .vgpr_count:     25
    .vgpr_spill_count: 0
    .wavefront_size: 32
  - .args:
      - .offset:         0
        .size:           4
        .value_kind:     by_value
      - .offset:         8
        .size:           24
        .value_kind:     by_value
      - .offset:         32
        .size:           16
        .value_kind:     by_value
    .group_segment_fixed_size: 0
    .kernarg_segment_align: 8
    .kernarg_segment_size: 48
    .language:       OpenCL C
    .language_version:
      - 2
      - 0
    .max_flat_workgroup_size: 256
    .name:           _ZN2at6native29vectorized_elementwise_kernelILi2EZZZNS0_12_GLOBAL__N_119launch_clamp_scalarERNS_18TensorIteratorBaseEN3c106ScalarES6_NS0_6detail11ClampLimitsEENKUlvE_clEvENKUlvE4_clEvEUldE_St5arrayIPcLm2EEEEviT0_T1_
    .private_segment_fixed_size: 0
    .sgpr_count:     18
    .sgpr_spill_count: 0
    .symbol:         _ZN2at6native29vectorized_elementwise_kernelILi2EZZZNS0_12_GLOBAL__N_119launch_clamp_scalarERNS_18TensorIteratorBaseEN3c106ScalarES6_NS0_6detail11ClampLimitsEENKUlvE_clEvENKUlvE4_clEvEUldE_St5arrayIPcLm2EEEEviT0_T1_.kd
    .uniform_work_group_size: 1
    .uses_dynamic_stack: false
    .vgpr_count:     25
    .vgpr_spill_count: 0
    .wavefront_size: 32
  - .args:
      - .offset:         0
        .size:           4
        .value_kind:     by_value
      - .offset:         8
        .size:           24
        .value_kind:     by_value
      - .offset:         32
        .size:           16
        .value_kind:     by_value
      - .offset:         48
        .size:           1
        .value_kind:     by_value
      - .offset:         49
        .size:           1
        .value_kind:     by_value
      - .offset:         50
        .size:           1
        .value_kind:     by_value
      - .offset:         51
        .size:           1
        .value_kind:     by_value
    .group_segment_fixed_size: 0
    .kernarg_segment_align: 8
    .kernarg_segment_size: 52
    .language:       OpenCL C
    .language_version:
      - 2
      - 0
    .max_flat_workgroup_size: 256
    .name:           _ZN2at6native27unrolled_elementwise_kernelIZZZNS0_12_GLOBAL__N_119launch_clamp_scalarERNS_18TensorIteratorBaseEN3c106ScalarES6_NS0_6detail11ClampLimitsEENKUlvE_clEvENKUlvE4_clEvEUldE_St5arrayIPcLm2EELi4E23TrivialOffsetCalculatorILi1EjESG_NS0_6memory15LoadWithoutCastENSH_16StoreWithoutCastEEEviT_T0_T2_T3_T4_T5_
    .private_segment_fixed_size: 0
    .sgpr_count:     16
    .sgpr_spill_count: 0
    .symbol:         _ZN2at6native27unrolled_elementwise_kernelIZZZNS0_12_GLOBAL__N_119launch_clamp_scalarERNS_18TensorIteratorBaseEN3c106ScalarES6_NS0_6detail11ClampLimitsEENKUlvE_clEvENKUlvE4_clEvEUldE_St5arrayIPcLm2EELi4E23TrivialOffsetCalculatorILi1EjESG_NS0_6memory15LoadWithoutCastENSH_16StoreWithoutCastEEEviT_T0_T2_T3_T4_T5_.kd
    .uniform_work_group_size: 1
    .uses_dynamic_stack: false
    .vgpr_count:     25
    .vgpr_spill_count: 0
    .wavefront_size: 32
  - .args:
      - .offset:         0
        .size:           4
        .value_kind:     by_value
      - .offset:         8
        .size:           368
        .value_kind:     by_value
    .group_segment_fixed_size: 0
    .kernarg_segment_align: 8
    .kernarg_segment_size: 376
    .language:       OpenCL C
    .language_version:
      - 2
      - 0
    .max_flat_workgroup_size: 128
    .name:           _ZN2at6native32elementwise_kernel_manual_unrollILi128ELi4EZNS0_22gpu_kernel_impl_nocastIZZZNS0_12_GLOBAL__N_119launch_clamp_scalarERNS_18TensorIteratorBaseEN3c106ScalarES7_NS0_6detail11ClampLimitsEENKUlvE_clEvENKUlvE4_clEvEUldE_EEvS5_RKT_EUlibE_EEviT1_
    .private_segment_fixed_size: 0
    .sgpr_count:     66
    .sgpr_spill_count: 0
    .symbol:         _ZN2at6native32elementwise_kernel_manual_unrollILi128ELi4EZNS0_22gpu_kernel_impl_nocastIZZZNS0_12_GLOBAL__N_119launch_clamp_scalarERNS_18TensorIteratorBaseEN3c106ScalarES7_NS0_6detail11ClampLimitsEENKUlvE_clEvENKUlvE4_clEvEUldE_EEvS5_RKT_EUlibE_EEviT1_.kd
    .uniform_work_group_size: 1
    .uses_dynamic_stack: false
    .vgpr_count:     22
    .vgpr_spill_count: 0
    .wavefront_size: 32
  - .args:
      - .offset:         0
        .size:           4
        .value_kind:     by_value
      - .offset:         8
        .size:           56
        .value_kind:     by_value
    .group_segment_fixed_size: 0
    .kernarg_segment_align: 8
    .kernarg_segment_size: 64
    .language:       OpenCL C
    .language_version:
      - 2
      - 0
    .max_flat_workgroup_size: 128
    .name:           _ZN2at6native32elementwise_kernel_manual_unrollILi128ELi4EZNS0_15gpu_kernel_implIZZZNS0_12_GLOBAL__N_119launch_clamp_scalarERNS_18TensorIteratorBaseEN3c106ScalarES7_NS0_6detail11ClampLimitsEENKUlvE_clEvENKUlvE4_clEvEUldE_EEvS5_RKT_EUlibE_EEviT1_
    .private_segment_fixed_size: 0
    .sgpr_count:     33
    .sgpr_spill_count: 0
    .symbol:         _ZN2at6native32elementwise_kernel_manual_unrollILi128ELi4EZNS0_15gpu_kernel_implIZZZNS0_12_GLOBAL__N_119launch_clamp_scalarERNS_18TensorIteratorBaseEN3c106ScalarES7_NS0_6detail11ClampLimitsEENKUlvE_clEvENKUlvE4_clEvEUldE_EEvS5_RKT_EUlibE_EEviT1_.kd
    .uniform_work_group_size: 1
    .uses_dynamic_stack: false
    .vgpr_count:     16
    .vgpr_spill_count: 0
    .wavefront_size: 32
  - .args:
      - .offset:         0
        .size:           4
        .value_kind:     by_value
      - .offset:         8
        .size:           376
        .value_kind:     by_value
    .group_segment_fixed_size: 0
    .kernarg_segment_align: 8
    .kernarg_segment_size: 384
    .language:       OpenCL C
    .language_version:
      - 2
      - 0
    .max_flat_workgroup_size: 128
    .name:           _ZN2at6native32elementwise_kernel_manual_unrollILi128ELi4EZNS0_15gpu_kernel_implIZZZNS0_12_GLOBAL__N_119launch_clamp_scalarERNS_18TensorIteratorBaseEN3c106ScalarES7_NS0_6detail11ClampLimitsEENKUlvE_clEvENKUlvE4_clEvEUldE_EEvS5_RKT_EUlibE0_EEviT1_
    .private_segment_fixed_size: 0
    .sgpr_count:     74
    .sgpr_spill_count: 0
    .symbol:         _ZN2at6native32elementwise_kernel_manual_unrollILi128ELi4EZNS0_15gpu_kernel_implIZZZNS0_12_GLOBAL__N_119launch_clamp_scalarERNS_18TensorIteratorBaseEN3c106ScalarES7_NS0_6detail11ClampLimitsEENKUlvE_clEvENKUlvE4_clEvEUldE_EEvS5_RKT_EUlibE0_EEviT1_.kd
    .uniform_work_group_size: 1
    .uses_dynamic_stack: false
    .vgpr_count:     20
    .vgpr_spill_count: 0
    .wavefront_size: 32
  - .args:
      - .offset:         0
        .size:           4
        .value_kind:     by_value
      - .offset:         4
        .size:           12
        .value_kind:     by_value
      - .offset:         16
        .size:           16
        .value_kind:     by_value
    .group_segment_fixed_size: 0
    .kernarg_segment_align: 8
    .kernarg_segment_size: 32
    .language:       OpenCL C
    .language_version:
      - 2
      - 0
    .max_flat_workgroup_size: 256
    .name:           _ZN2at6native29vectorized_elementwise_kernelILi16EZZZNS0_12_GLOBAL__N_119launch_clamp_scalarERNS_18TensorIteratorBaseEN3c106ScalarES6_NS0_6detail11ClampLimitsEENKUlvE_clEvENKUlvE5_clEvEUlfE_St5arrayIPcLm2EEEEviT0_T1_
    .private_segment_fixed_size: 0
    .sgpr_count:     16
    .sgpr_spill_count: 0
    .symbol:         _ZN2at6native29vectorized_elementwise_kernelILi16EZZZNS0_12_GLOBAL__N_119launch_clamp_scalarERNS_18TensorIteratorBaseEN3c106ScalarES6_NS0_6detail11ClampLimitsEENKUlvE_clEvENKUlvE5_clEvEUlfE_St5arrayIPcLm2EEEEviT0_T1_.kd
    .uniform_work_group_size: 1
    .uses_dynamic_stack: false
    .vgpr_count:     14
    .vgpr_spill_count: 0
    .wavefront_size: 32
  - .args:
      - .offset:         0
        .size:           4
        .value_kind:     by_value
      - .offset:         4
        .size:           12
        .value_kind:     by_value
      - .offset:         16
        .size:           16
        .value_kind:     by_value
    .group_segment_fixed_size: 0
    .kernarg_segment_align: 8
    .kernarg_segment_size: 32
    .language:       OpenCL C
    .language_version:
      - 2
      - 0
    .max_flat_workgroup_size: 256
    .name:           _ZN2at6native29vectorized_elementwise_kernelILi8EZZZNS0_12_GLOBAL__N_119launch_clamp_scalarERNS_18TensorIteratorBaseEN3c106ScalarES6_NS0_6detail11ClampLimitsEENKUlvE_clEvENKUlvE5_clEvEUlfE_St5arrayIPcLm2EEEEviT0_T1_
    .private_segment_fixed_size: 0
    .sgpr_count:     16
    .sgpr_spill_count: 0
    .symbol:         _ZN2at6native29vectorized_elementwise_kernelILi8EZZZNS0_12_GLOBAL__N_119launch_clamp_scalarERNS_18TensorIteratorBaseEN3c106ScalarES6_NS0_6detail11ClampLimitsEENKUlvE_clEvENKUlvE5_clEvEUlfE_St5arrayIPcLm2EEEEviT0_T1_.kd
    .uniform_work_group_size: 1
    .uses_dynamic_stack: false
    .vgpr_count:     14
    .vgpr_spill_count: 0
    .wavefront_size: 32
  - .args:
      - .offset:         0
        .size:           4
        .value_kind:     by_value
      - .offset:         4
        .size:           12
        .value_kind:     by_value
      - .offset:         16
        .size:           16
        .value_kind:     by_value
    .group_segment_fixed_size: 0
    .kernarg_segment_align: 8
    .kernarg_segment_size: 32
    .language:       OpenCL C
    .language_version:
      - 2
      - 0
    .max_flat_workgroup_size: 256
    .name:           _ZN2at6native29vectorized_elementwise_kernelILi4EZZZNS0_12_GLOBAL__N_119launch_clamp_scalarERNS_18TensorIteratorBaseEN3c106ScalarES6_NS0_6detail11ClampLimitsEENKUlvE_clEvENKUlvE5_clEvEUlfE_St5arrayIPcLm2EEEEviT0_T1_
    .private_segment_fixed_size: 0
    .sgpr_count:     16
    .sgpr_spill_count: 0
    .symbol:         _ZN2at6native29vectorized_elementwise_kernelILi4EZZZNS0_12_GLOBAL__N_119launch_clamp_scalarERNS_18TensorIteratorBaseEN3c106ScalarES6_NS0_6detail11ClampLimitsEENKUlvE_clEvENKUlvE5_clEvEUlfE_St5arrayIPcLm2EEEEviT0_T1_.kd
    .uniform_work_group_size: 1
    .uses_dynamic_stack: false
    .vgpr_count:     14
    .vgpr_spill_count: 0
    .wavefront_size: 32
  - .args:
      - .offset:         0
        .size:           4
        .value_kind:     by_value
      - .offset:         4
        .size:           12
        .value_kind:     by_value
      - .offset:         16
        .size:           16
        .value_kind:     by_value
    .group_segment_fixed_size: 0
    .kernarg_segment_align: 8
    .kernarg_segment_size: 32
    .language:       OpenCL C
    .language_version:
      - 2
      - 0
    .max_flat_workgroup_size: 256
    .name:           _ZN2at6native29vectorized_elementwise_kernelILi2EZZZNS0_12_GLOBAL__N_119launch_clamp_scalarERNS_18TensorIteratorBaseEN3c106ScalarES6_NS0_6detail11ClampLimitsEENKUlvE_clEvENKUlvE5_clEvEUlfE_St5arrayIPcLm2EEEEviT0_T1_
    .private_segment_fixed_size: 0
    .sgpr_count:     16
    .sgpr_spill_count: 0
    .symbol:         _ZN2at6native29vectorized_elementwise_kernelILi2EZZZNS0_12_GLOBAL__N_119launch_clamp_scalarERNS_18TensorIteratorBaseEN3c106ScalarES6_NS0_6detail11ClampLimitsEENKUlvE_clEvENKUlvE5_clEvEUlfE_St5arrayIPcLm2EEEEviT0_T1_.kd
    .uniform_work_group_size: 1
    .uses_dynamic_stack: false
    .vgpr_count:     14
    .vgpr_spill_count: 0
    .wavefront_size: 32
  - .args:
      - .offset:         0
        .size:           4
        .value_kind:     by_value
      - .offset:         4
        .size:           12
        .value_kind:     by_value
      - .offset:         16
        .size:           16
        .value_kind:     by_value
      - .offset:         32
        .size:           1
        .value_kind:     by_value
      - .offset:         33
        .size:           1
        .value_kind:     by_value
      - .offset:         34
        .size:           1
        .value_kind:     by_value
      - .offset:         35
        .size:           1
        .value_kind:     by_value
    .group_segment_fixed_size: 0
    .kernarg_segment_align: 8
    .kernarg_segment_size: 36
    .language:       OpenCL C
    .language_version:
      - 2
      - 0
    .max_flat_workgroup_size: 256
    .name:           _ZN2at6native27unrolled_elementwise_kernelIZZZNS0_12_GLOBAL__N_119launch_clamp_scalarERNS_18TensorIteratorBaseEN3c106ScalarES6_NS0_6detail11ClampLimitsEENKUlvE_clEvENKUlvE5_clEvEUlfE_St5arrayIPcLm2EELi4E23TrivialOffsetCalculatorILi1EjESG_NS0_6memory15LoadWithoutCastENSH_16StoreWithoutCastEEEviT_T0_T2_T3_T4_T5_
    .private_segment_fixed_size: 0
    .sgpr_count:     14
    .sgpr_spill_count: 0
    .symbol:         _ZN2at6native27unrolled_elementwise_kernelIZZZNS0_12_GLOBAL__N_119launch_clamp_scalarERNS_18TensorIteratorBaseEN3c106ScalarES6_NS0_6detail11ClampLimitsEENKUlvE_clEvENKUlvE5_clEvEUlfE_St5arrayIPcLm2EELi4E23TrivialOffsetCalculatorILi1EjESG_NS0_6memory15LoadWithoutCastENSH_16StoreWithoutCastEEEviT_T0_T2_T3_T4_T5_.kd
    .uniform_work_group_size: 1
    .uses_dynamic_stack: false
    .vgpr_count:     14
    .vgpr_spill_count: 0
    .wavefront_size: 32
  - .args:
      - .offset:         0
        .size:           4
        .value_kind:     by_value
      - .offset:         8
        .size:           360
        .value_kind:     by_value
    .group_segment_fixed_size: 0
    .kernarg_segment_align: 8
    .kernarg_segment_size: 368
    .language:       OpenCL C
    .language_version:
      - 2
      - 0
    .max_flat_workgroup_size: 128
    .name:           _ZN2at6native32elementwise_kernel_manual_unrollILi128ELi4EZNS0_22gpu_kernel_impl_nocastIZZZNS0_12_GLOBAL__N_119launch_clamp_scalarERNS_18TensorIteratorBaseEN3c106ScalarES7_NS0_6detail11ClampLimitsEENKUlvE_clEvENKUlvE5_clEvEUlfE_EEvS5_RKT_EUlibE_EEviT1_
    .private_segment_fixed_size: 0
    .sgpr_count:     62
    .sgpr_spill_count: 0
    .symbol:         _ZN2at6native32elementwise_kernel_manual_unrollILi128ELi4EZNS0_22gpu_kernel_impl_nocastIZZZNS0_12_GLOBAL__N_119launch_clamp_scalarERNS_18TensorIteratorBaseEN3c106ScalarES7_NS0_6detail11ClampLimitsEENKUlvE_clEvENKUlvE5_clEvEUlfE_EEvS5_RKT_EUlibE_EEviT1_.kd
    .uniform_work_group_size: 1
    .uses_dynamic_stack: false
    .vgpr_count:     15
    .vgpr_spill_count: 0
    .wavefront_size: 32
  - .args:
      - .offset:         0
        .size:           4
        .value_kind:     by_value
      - .offset:         8
        .size:           40
        .value_kind:     by_value
    .group_segment_fixed_size: 0
    .kernarg_segment_align: 8
    .kernarg_segment_size: 48
    .language:       OpenCL C
    .language_version:
      - 2
      - 0
    .max_flat_workgroup_size: 128
    .name:           _ZN2at6native32elementwise_kernel_manual_unrollILi128ELi4EZNS0_15gpu_kernel_implIZZZNS0_12_GLOBAL__N_119launch_clamp_scalarERNS_18TensorIteratorBaseEN3c106ScalarES7_NS0_6detail11ClampLimitsEENKUlvE_clEvENKUlvE5_clEvEUlfE_EEvS5_RKT_EUlibE_EEviT1_
    .private_segment_fixed_size: 0
    .sgpr_count:     31
    .sgpr_spill_count: 0
    .symbol:         _ZN2at6native32elementwise_kernel_manual_unrollILi128ELi4EZNS0_15gpu_kernel_implIZZZNS0_12_GLOBAL__N_119launch_clamp_scalarERNS_18TensorIteratorBaseEN3c106ScalarES7_NS0_6detail11ClampLimitsEENKUlvE_clEvENKUlvE5_clEvEUlfE_EEvS5_RKT_EUlibE_EEviT1_.kd
    .uniform_work_group_size: 1
    .uses_dynamic_stack: false
    .vgpr_count:     16
    .vgpr_spill_count: 0
    .wavefront_size: 32
  - .args:
      - .offset:         0
        .size:           4
        .value_kind:     by_value
      - .offset:         8
        .size:           360
        .value_kind:     by_value
    .group_segment_fixed_size: 0
    .kernarg_segment_align: 8
    .kernarg_segment_size: 368
    .language:       OpenCL C
    .language_version:
      - 2
      - 0
    .max_flat_workgroup_size: 128
    .name:           _ZN2at6native32elementwise_kernel_manual_unrollILi128ELi4EZNS0_15gpu_kernel_implIZZZNS0_12_GLOBAL__N_119launch_clamp_scalarERNS_18TensorIteratorBaseEN3c106ScalarES7_NS0_6detail11ClampLimitsEENKUlvE_clEvENKUlvE5_clEvEUlfE_EEvS5_RKT_EUlibE0_EEviT1_
    .private_segment_fixed_size: 0
    .sgpr_count:     74
    .sgpr_spill_count: 0
    .symbol:         _ZN2at6native32elementwise_kernel_manual_unrollILi128ELi4EZNS0_15gpu_kernel_implIZZZNS0_12_GLOBAL__N_119launch_clamp_scalarERNS_18TensorIteratorBaseEN3c106ScalarES7_NS0_6detail11ClampLimitsEENKUlvE_clEvENKUlvE5_clEvEUlfE_EEvS5_RKT_EUlibE0_EEviT1_.kd
    .uniform_work_group_size: 1
    .uses_dynamic_stack: false
    .vgpr_count:     20
    .vgpr_spill_count: 0
    .wavefront_size: 32
  - .args:
      - .offset:         0
        .size:           4
        .value_kind:     by_value
      - .offset:         4
        .size:           12
        .value_kind:     by_value
      - .offset:         16
        .size:           16
        .value_kind:     by_value
    .group_segment_fixed_size: 0
    .kernarg_segment_align: 8
    .kernarg_segment_size: 32
    .language:       OpenCL C
    .language_version:
      - 2
      - 0
    .max_flat_workgroup_size: 256
    .name:           _ZN2at6native29vectorized_elementwise_kernelILi16EZZZNS0_12_GLOBAL__N_119launch_clamp_scalarERNS_18TensorIteratorBaseEN3c106ScalarES6_NS0_6detail11ClampLimitsEENKUlvE_clEvENKUlvE6_clEvEUlNS5_4HalfEE_St5arrayIPcLm2EEEEviT0_T1_
    .private_segment_fixed_size: 0
    .sgpr_count:     16
    .sgpr_spill_count: 0
    .symbol:         _ZN2at6native29vectorized_elementwise_kernelILi16EZZZNS0_12_GLOBAL__N_119launch_clamp_scalarERNS_18TensorIteratorBaseEN3c106ScalarES6_NS0_6detail11ClampLimitsEENKUlvE_clEvENKUlvE6_clEvEUlNS5_4HalfEE_St5arrayIPcLm2EEEEviT0_T1_.kd
    .uniform_work_group_size: 1
    .uses_dynamic_stack: false
    .vgpr_count:     13
    .vgpr_spill_count: 0
    .wavefront_size: 32
  - .args:
      - .offset:         0
        .size:           4
        .value_kind:     by_value
      - .offset:         4
        .size:           12
        .value_kind:     by_value
      - .offset:         16
        .size:           16
        .value_kind:     by_value
    .group_segment_fixed_size: 0
    .kernarg_segment_align: 8
    .kernarg_segment_size: 32
    .language:       OpenCL C
    .language_version:
      - 2
      - 0
    .max_flat_workgroup_size: 256
    .name:           _ZN2at6native29vectorized_elementwise_kernelILi8EZZZNS0_12_GLOBAL__N_119launch_clamp_scalarERNS_18TensorIteratorBaseEN3c106ScalarES6_NS0_6detail11ClampLimitsEENKUlvE_clEvENKUlvE6_clEvEUlNS5_4HalfEE_St5arrayIPcLm2EEEEviT0_T1_
    .private_segment_fixed_size: 0
    .sgpr_count:     16
    .sgpr_spill_count: 0
    .symbol:         _ZN2at6native29vectorized_elementwise_kernelILi8EZZZNS0_12_GLOBAL__N_119launch_clamp_scalarERNS_18TensorIteratorBaseEN3c106ScalarES6_NS0_6detail11ClampLimitsEENKUlvE_clEvENKUlvE6_clEvEUlNS5_4HalfEE_St5arrayIPcLm2EEEEviT0_T1_.kd
    .uniform_work_group_size: 1
    .uses_dynamic_stack: false
    .vgpr_count:     13
    .vgpr_spill_count: 0
    .wavefront_size: 32
  - .args:
      - .offset:         0
        .size:           4
        .value_kind:     by_value
      - .offset:         4
        .size:           12
        .value_kind:     by_value
      - .offset:         16
        .size:           16
        .value_kind:     by_value
    .group_segment_fixed_size: 0
    .kernarg_segment_align: 8
    .kernarg_segment_size: 32
    .language:       OpenCL C
    .language_version:
      - 2
      - 0
    .max_flat_workgroup_size: 256
    .name:           _ZN2at6native29vectorized_elementwise_kernelILi4EZZZNS0_12_GLOBAL__N_119launch_clamp_scalarERNS_18TensorIteratorBaseEN3c106ScalarES6_NS0_6detail11ClampLimitsEENKUlvE_clEvENKUlvE6_clEvEUlNS5_4HalfEE_St5arrayIPcLm2EEEEviT0_T1_
    .private_segment_fixed_size: 0
    .sgpr_count:     16
    .sgpr_spill_count: 0
    .symbol:         _ZN2at6native29vectorized_elementwise_kernelILi4EZZZNS0_12_GLOBAL__N_119launch_clamp_scalarERNS_18TensorIteratorBaseEN3c106ScalarES6_NS0_6detail11ClampLimitsEENKUlvE_clEvENKUlvE6_clEvEUlNS5_4HalfEE_St5arrayIPcLm2EEEEviT0_T1_.kd
    .uniform_work_group_size: 1
    .uses_dynamic_stack: false
    .vgpr_count:     13
    .vgpr_spill_count: 0
    .wavefront_size: 32
  - .args:
      - .offset:         0
        .size:           4
        .value_kind:     by_value
      - .offset:         4
        .size:           12
        .value_kind:     by_value
      - .offset:         16
        .size:           16
        .value_kind:     by_value
    .group_segment_fixed_size: 0
    .kernarg_segment_align: 8
    .kernarg_segment_size: 32
    .language:       OpenCL C
    .language_version:
      - 2
      - 0
    .max_flat_workgroup_size: 256
    .name:           _ZN2at6native29vectorized_elementwise_kernelILi2EZZZNS0_12_GLOBAL__N_119launch_clamp_scalarERNS_18TensorIteratorBaseEN3c106ScalarES6_NS0_6detail11ClampLimitsEENKUlvE_clEvENKUlvE6_clEvEUlNS5_4HalfEE_St5arrayIPcLm2EEEEviT0_T1_
    .private_segment_fixed_size: 0
    .sgpr_count:     16
    .sgpr_spill_count: 0
    .symbol:         _ZN2at6native29vectorized_elementwise_kernelILi2EZZZNS0_12_GLOBAL__N_119launch_clamp_scalarERNS_18TensorIteratorBaseEN3c106ScalarES6_NS0_6detail11ClampLimitsEENKUlvE_clEvENKUlvE6_clEvEUlNS5_4HalfEE_St5arrayIPcLm2EEEEviT0_T1_.kd
    .uniform_work_group_size: 1
    .uses_dynamic_stack: false
    .vgpr_count:     13
    .vgpr_spill_count: 0
    .wavefront_size: 32
  - .args:
      - .offset:         0
        .size:           4
        .value_kind:     by_value
      - .offset:         4
        .size:           12
        .value_kind:     by_value
      - .offset:         16
        .size:           16
        .value_kind:     by_value
      - .offset:         32
        .size:           1
        .value_kind:     by_value
      - .offset:         33
        .size:           1
        .value_kind:     by_value
      - .offset:         34
        .size:           1
        .value_kind:     by_value
      - .offset:         35
        .size:           1
        .value_kind:     by_value
    .group_segment_fixed_size: 0
    .kernarg_segment_align: 8
    .kernarg_segment_size: 36
    .language:       OpenCL C
    .language_version:
      - 2
      - 0
    .max_flat_workgroup_size: 256
    .name:           _ZN2at6native27unrolled_elementwise_kernelIZZZNS0_12_GLOBAL__N_119launch_clamp_scalarERNS_18TensorIteratorBaseEN3c106ScalarES6_NS0_6detail11ClampLimitsEENKUlvE_clEvENKUlvE6_clEvEUlNS5_4HalfEE_St5arrayIPcLm2EELi4E23TrivialOffsetCalculatorILi1EjESH_NS0_6memory15LoadWithoutCastENSI_16StoreWithoutCastEEEviT_T0_T2_T3_T4_T5_
    .private_segment_fixed_size: 0
    .sgpr_count:     14
    .sgpr_spill_count: 0
    .symbol:         _ZN2at6native27unrolled_elementwise_kernelIZZZNS0_12_GLOBAL__N_119launch_clamp_scalarERNS_18TensorIteratorBaseEN3c106ScalarES6_NS0_6detail11ClampLimitsEENKUlvE_clEvENKUlvE6_clEvEUlNS5_4HalfEE_St5arrayIPcLm2EELi4E23TrivialOffsetCalculatorILi1EjESH_NS0_6memory15LoadWithoutCastENSI_16StoreWithoutCastEEEviT_T0_T2_T3_T4_T5_.kd
    .uniform_work_group_size: 1
    .uses_dynamic_stack: false
    .vgpr_count:     9
    .vgpr_spill_count: 0
    .wavefront_size: 32
  - .args:
      - .offset:         0
        .size:           4
        .value_kind:     by_value
      - .offset:         8
        .size:           360
        .value_kind:     by_value
    .group_segment_fixed_size: 0
    .kernarg_segment_align: 8
    .kernarg_segment_size: 368
    .language:       OpenCL C
    .language_version:
      - 2
      - 0
    .max_flat_workgroup_size: 128
    .name:           _ZN2at6native32elementwise_kernel_manual_unrollILi128ELi8EZNS0_22gpu_kernel_impl_nocastIZZZNS0_12_GLOBAL__N_119launch_clamp_scalarERNS_18TensorIteratorBaseEN3c106ScalarES7_NS0_6detail11ClampLimitsEENKUlvE_clEvENKUlvE6_clEvEUlNS6_4HalfEE_EEvS5_RKT_EUlibE_EEviT1_
    .private_segment_fixed_size: 0
    .sgpr_count:     62
    .sgpr_spill_count: 0
    .symbol:         _ZN2at6native32elementwise_kernel_manual_unrollILi128ELi8EZNS0_22gpu_kernel_impl_nocastIZZZNS0_12_GLOBAL__N_119launch_clamp_scalarERNS_18TensorIteratorBaseEN3c106ScalarES7_NS0_6detail11ClampLimitsEENKUlvE_clEvENKUlvE6_clEvEUlNS6_4HalfEE_EEvS5_RKT_EUlibE_EEviT1_.kd
    .uniform_work_group_size: 1
    .uses_dynamic_stack: false
    .vgpr_count:     23
    .vgpr_spill_count: 0
    .wavefront_size: 32
  - .args:
      - .offset:         0
        .size:           4
        .value_kind:     by_value
      - .offset:         8
        .size:           40
        .value_kind:     by_value
    .group_segment_fixed_size: 0
    .kernarg_segment_align: 8
    .kernarg_segment_size: 48
    .language:       OpenCL C
    .language_version:
      - 2
      - 0
    .max_flat_workgroup_size: 128
    .name:           _ZN2at6native32elementwise_kernel_manual_unrollILi128ELi4EZNS0_15gpu_kernel_implIZZZNS0_12_GLOBAL__N_119launch_clamp_scalarERNS_18TensorIteratorBaseEN3c106ScalarES7_NS0_6detail11ClampLimitsEENKUlvE_clEvENKUlvE6_clEvEUlNS6_4HalfEE_EEvS5_RKT_EUlibE_EEviT1_
    .private_segment_fixed_size: 0
    .sgpr_count:     31
    .sgpr_spill_count: 0
    .symbol:         _ZN2at6native32elementwise_kernel_manual_unrollILi128ELi4EZNS0_15gpu_kernel_implIZZZNS0_12_GLOBAL__N_119launch_clamp_scalarERNS_18TensorIteratorBaseEN3c106ScalarES7_NS0_6detail11ClampLimitsEENKUlvE_clEvENKUlvE6_clEvEUlNS6_4HalfEE_EEvS5_RKT_EUlibE_EEviT1_.kd
    .uniform_work_group_size: 1
    .uses_dynamic_stack: false
    .vgpr_count:     14
    .vgpr_spill_count: 0
    .wavefront_size: 32
  - .args:
      - .offset:         0
        .size:           4
        .value_kind:     by_value
      - .offset:         8
        .size:           360
        .value_kind:     by_value
    .group_segment_fixed_size: 0
    .kernarg_segment_align: 8
    .kernarg_segment_size: 368
    .language:       OpenCL C
    .language_version:
      - 2
      - 0
    .max_flat_workgroup_size: 128
    .name:           _ZN2at6native32elementwise_kernel_manual_unrollILi128ELi4EZNS0_15gpu_kernel_implIZZZNS0_12_GLOBAL__N_119launch_clamp_scalarERNS_18TensorIteratorBaseEN3c106ScalarES7_NS0_6detail11ClampLimitsEENKUlvE_clEvENKUlvE6_clEvEUlNS6_4HalfEE_EEvS5_RKT_EUlibE0_EEviT1_
    .private_segment_fixed_size: 0
    .sgpr_count:     74
    .sgpr_spill_count: 0
    .symbol:         _ZN2at6native32elementwise_kernel_manual_unrollILi128ELi4EZNS0_15gpu_kernel_implIZZZNS0_12_GLOBAL__N_119launch_clamp_scalarERNS_18TensorIteratorBaseEN3c106ScalarES7_NS0_6detail11ClampLimitsEENKUlvE_clEvENKUlvE6_clEvEUlNS6_4HalfEE_EEvS5_RKT_EUlibE0_EEviT1_.kd
    .uniform_work_group_size: 1
    .uses_dynamic_stack: false
    .vgpr_count:     18
    .vgpr_spill_count: 0
    .wavefront_size: 32
  - .args:
      - .offset:         0
        .size:           4
        .value_kind:     by_value
      - .offset:         4
        .size:           12
        .value_kind:     by_value
      - .offset:         16
        .size:           16
        .value_kind:     by_value
    .group_segment_fixed_size: 0
    .kernarg_segment_align: 8
    .kernarg_segment_size: 32
    .language:       OpenCL C
    .language_version:
      - 2
      - 0
    .max_flat_workgroup_size: 256
    .name:           _ZN2at6native29vectorized_elementwise_kernelILi16EZZZNS0_12_GLOBAL__N_119launch_clamp_scalarERNS_18TensorIteratorBaseEN3c106ScalarES6_NS0_6detail11ClampLimitsEENKUlvE_clEvENKUlvE7_clEvEUlNS5_8BFloat16EE_St5arrayIPcLm2EEEEviT0_T1_
    .private_segment_fixed_size: 0
    .sgpr_count:     16
    .sgpr_spill_count: 0
    .symbol:         _ZN2at6native29vectorized_elementwise_kernelILi16EZZZNS0_12_GLOBAL__N_119launch_clamp_scalarERNS_18TensorIteratorBaseEN3c106ScalarES6_NS0_6detail11ClampLimitsEENKUlvE_clEvENKUlvE7_clEvEUlNS5_8BFloat16EE_St5arrayIPcLm2EEEEviT0_T1_.kd
    .uniform_work_group_size: 1
    .uses_dynamic_stack: false
    .vgpr_count:     14
    .vgpr_spill_count: 0
    .wavefront_size: 32
  - .args:
      - .offset:         0
        .size:           4
        .value_kind:     by_value
      - .offset:         4
        .size:           12
        .value_kind:     by_value
      - .offset:         16
        .size:           16
        .value_kind:     by_value
    .group_segment_fixed_size: 0
    .kernarg_segment_align: 8
    .kernarg_segment_size: 32
    .language:       OpenCL C
    .language_version:
      - 2
      - 0
    .max_flat_workgroup_size: 256
    .name:           _ZN2at6native29vectorized_elementwise_kernelILi8EZZZNS0_12_GLOBAL__N_119launch_clamp_scalarERNS_18TensorIteratorBaseEN3c106ScalarES6_NS0_6detail11ClampLimitsEENKUlvE_clEvENKUlvE7_clEvEUlNS5_8BFloat16EE_St5arrayIPcLm2EEEEviT0_T1_
    .private_segment_fixed_size: 0
    .sgpr_count:     16
    .sgpr_spill_count: 0
    .symbol:         _ZN2at6native29vectorized_elementwise_kernelILi8EZZZNS0_12_GLOBAL__N_119launch_clamp_scalarERNS_18TensorIteratorBaseEN3c106ScalarES6_NS0_6detail11ClampLimitsEENKUlvE_clEvENKUlvE7_clEvEUlNS5_8BFloat16EE_St5arrayIPcLm2EEEEviT0_T1_.kd
    .uniform_work_group_size: 1
    .uses_dynamic_stack: false
    .vgpr_count:     14
    .vgpr_spill_count: 0
    .wavefront_size: 32
  - .args:
      - .offset:         0
        .size:           4
        .value_kind:     by_value
      - .offset:         4
        .size:           12
        .value_kind:     by_value
      - .offset:         16
        .size:           16
        .value_kind:     by_value
    .group_segment_fixed_size: 0
    .kernarg_segment_align: 8
    .kernarg_segment_size: 32
    .language:       OpenCL C
    .language_version:
      - 2
      - 0
    .max_flat_workgroup_size: 256
    .name:           _ZN2at6native29vectorized_elementwise_kernelILi4EZZZNS0_12_GLOBAL__N_119launch_clamp_scalarERNS_18TensorIteratorBaseEN3c106ScalarES6_NS0_6detail11ClampLimitsEENKUlvE_clEvENKUlvE7_clEvEUlNS5_8BFloat16EE_St5arrayIPcLm2EEEEviT0_T1_
    .private_segment_fixed_size: 0
    .sgpr_count:     16
    .sgpr_spill_count: 0
    .symbol:         _ZN2at6native29vectorized_elementwise_kernelILi4EZZZNS0_12_GLOBAL__N_119launch_clamp_scalarERNS_18TensorIteratorBaseEN3c106ScalarES6_NS0_6detail11ClampLimitsEENKUlvE_clEvENKUlvE7_clEvEUlNS5_8BFloat16EE_St5arrayIPcLm2EEEEviT0_T1_.kd
    .uniform_work_group_size: 1
    .uses_dynamic_stack: false
    .vgpr_count:     14
    .vgpr_spill_count: 0
    .wavefront_size: 32
  - .args:
      - .offset:         0
        .size:           4
        .value_kind:     by_value
      - .offset:         4
        .size:           12
        .value_kind:     by_value
      - .offset:         16
        .size:           16
        .value_kind:     by_value
    .group_segment_fixed_size: 0
    .kernarg_segment_align: 8
    .kernarg_segment_size: 32
    .language:       OpenCL C
    .language_version:
      - 2
      - 0
    .max_flat_workgroup_size: 256
    .name:           _ZN2at6native29vectorized_elementwise_kernelILi2EZZZNS0_12_GLOBAL__N_119launch_clamp_scalarERNS_18TensorIteratorBaseEN3c106ScalarES6_NS0_6detail11ClampLimitsEENKUlvE_clEvENKUlvE7_clEvEUlNS5_8BFloat16EE_St5arrayIPcLm2EEEEviT0_T1_
    .private_segment_fixed_size: 0
    .sgpr_count:     16
    .sgpr_spill_count: 0
    .symbol:         _ZN2at6native29vectorized_elementwise_kernelILi2EZZZNS0_12_GLOBAL__N_119launch_clamp_scalarERNS_18TensorIteratorBaseEN3c106ScalarES6_NS0_6detail11ClampLimitsEENKUlvE_clEvENKUlvE7_clEvEUlNS5_8BFloat16EE_St5arrayIPcLm2EEEEviT0_T1_.kd
    .uniform_work_group_size: 1
    .uses_dynamic_stack: false
    .vgpr_count:     14
    .vgpr_spill_count: 0
    .wavefront_size: 32
  - .args:
      - .offset:         0
        .size:           4
        .value_kind:     by_value
      - .offset:         4
        .size:           12
        .value_kind:     by_value
      - .offset:         16
        .size:           16
        .value_kind:     by_value
      - .offset:         32
        .size:           1
        .value_kind:     by_value
      - .offset:         33
        .size:           1
        .value_kind:     by_value
      - .offset:         34
        .size:           1
        .value_kind:     by_value
      - .offset:         35
        .size:           1
        .value_kind:     by_value
    .group_segment_fixed_size: 0
    .kernarg_segment_align: 8
    .kernarg_segment_size: 36
    .language:       OpenCL C
    .language_version:
      - 2
      - 0
    .max_flat_workgroup_size: 256
    .name:           _ZN2at6native27unrolled_elementwise_kernelIZZZNS0_12_GLOBAL__N_119launch_clamp_scalarERNS_18TensorIteratorBaseEN3c106ScalarES6_NS0_6detail11ClampLimitsEENKUlvE_clEvENKUlvE7_clEvEUlNS5_8BFloat16EE_St5arrayIPcLm2EELi4E23TrivialOffsetCalculatorILi1EjESH_NS0_6memory15LoadWithoutCastENSI_16StoreWithoutCastEEEviT_T0_T2_T3_T4_T5_
    .private_segment_fixed_size: 0
    .sgpr_count:     14
    .sgpr_spill_count: 0
    .symbol:         _ZN2at6native27unrolled_elementwise_kernelIZZZNS0_12_GLOBAL__N_119launch_clamp_scalarERNS_18TensorIteratorBaseEN3c106ScalarES6_NS0_6detail11ClampLimitsEENKUlvE_clEvENKUlvE7_clEvEUlNS5_8BFloat16EE_St5arrayIPcLm2EELi4E23TrivialOffsetCalculatorILi1EjESH_NS0_6memory15LoadWithoutCastENSI_16StoreWithoutCastEEEviT_T0_T2_T3_T4_T5_.kd
    .uniform_work_group_size: 1
    .uses_dynamic_stack: false
    .vgpr_count:     10
    .vgpr_spill_count: 0
    .wavefront_size: 32
  - .args:
      - .offset:         0
        .size:           4
        .value_kind:     by_value
      - .offset:         8
        .size:           360
        .value_kind:     by_value
    .group_segment_fixed_size: 0
    .kernarg_segment_align: 8
    .kernarg_segment_size: 368
    .language:       OpenCL C
    .language_version:
      - 2
      - 0
    .max_flat_workgroup_size: 128
    .name:           _ZN2at6native32elementwise_kernel_manual_unrollILi128ELi8EZNS0_22gpu_kernel_impl_nocastIZZZNS0_12_GLOBAL__N_119launch_clamp_scalarERNS_18TensorIteratorBaseEN3c106ScalarES7_NS0_6detail11ClampLimitsEENKUlvE_clEvENKUlvE7_clEvEUlNS6_8BFloat16EE_EEvS5_RKT_EUlibE_EEviT1_
    .private_segment_fixed_size: 0
    .sgpr_count:     62
    .sgpr_spill_count: 0
    .symbol:         _ZN2at6native32elementwise_kernel_manual_unrollILi128ELi8EZNS0_22gpu_kernel_impl_nocastIZZZNS0_12_GLOBAL__N_119launch_clamp_scalarERNS_18TensorIteratorBaseEN3c106ScalarES7_NS0_6detail11ClampLimitsEENKUlvE_clEvENKUlvE7_clEvEUlNS6_8BFloat16EE_EEvS5_RKT_EUlibE_EEviT1_.kd
    .uniform_work_group_size: 1
    .uses_dynamic_stack: false
    .vgpr_count:     23
    .vgpr_spill_count: 0
    .wavefront_size: 32
  - .args:
      - .offset:         0
        .size:           4
        .value_kind:     by_value
      - .offset:         8
        .size:           40
        .value_kind:     by_value
    .group_segment_fixed_size: 0
    .kernarg_segment_align: 8
    .kernarg_segment_size: 48
    .language:       OpenCL C
    .language_version:
      - 2
      - 0
    .max_flat_workgroup_size: 128
    .name:           _ZN2at6native32elementwise_kernel_manual_unrollILi128ELi4EZNS0_15gpu_kernel_implIZZZNS0_12_GLOBAL__N_119launch_clamp_scalarERNS_18TensorIteratorBaseEN3c106ScalarES7_NS0_6detail11ClampLimitsEENKUlvE_clEvENKUlvE7_clEvEUlNS6_8BFloat16EE_EEvS5_RKT_EUlibE_EEviT1_
    .private_segment_fixed_size: 0
    .sgpr_count:     31
    .sgpr_spill_count: 0
    .symbol:         _ZN2at6native32elementwise_kernel_manual_unrollILi128ELi4EZNS0_15gpu_kernel_implIZZZNS0_12_GLOBAL__N_119launch_clamp_scalarERNS_18TensorIteratorBaseEN3c106ScalarES7_NS0_6detail11ClampLimitsEENKUlvE_clEvENKUlvE7_clEvEUlNS6_8BFloat16EE_EEvS5_RKT_EUlibE_EEviT1_.kd
    .uniform_work_group_size: 1
    .uses_dynamic_stack: false
    .vgpr_count:     14
    .vgpr_spill_count: 0
    .wavefront_size: 32
  - .args:
      - .offset:         0
        .size:           4
        .value_kind:     by_value
      - .offset:         8
        .size:           360
        .value_kind:     by_value
    .group_segment_fixed_size: 0
    .kernarg_segment_align: 8
    .kernarg_segment_size: 368
    .language:       OpenCL C
    .language_version:
      - 2
      - 0
    .max_flat_workgroup_size: 128
    .name:           _ZN2at6native32elementwise_kernel_manual_unrollILi128ELi4EZNS0_15gpu_kernel_implIZZZNS0_12_GLOBAL__N_119launch_clamp_scalarERNS_18TensorIteratorBaseEN3c106ScalarES7_NS0_6detail11ClampLimitsEENKUlvE_clEvENKUlvE7_clEvEUlNS6_8BFloat16EE_EEvS5_RKT_EUlibE0_EEviT1_
    .private_segment_fixed_size: 0
    .sgpr_count:     74
    .sgpr_spill_count: 0
    .symbol:         _ZN2at6native32elementwise_kernel_manual_unrollILi128ELi4EZNS0_15gpu_kernel_implIZZZNS0_12_GLOBAL__N_119launch_clamp_scalarERNS_18TensorIteratorBaseEN3c106ScalarES7_NS0_6detail11ClampLimitsEENKUlvE_clEvENKUlvE7_clEvEUlNS6_8BFloat16EE_EEvS5_RKT_EUlibE0_EEviT1_.kd
    .uniform_work_group_size: 1
    .uses_dynamic_stack: false
    .vgpr_count:     18
    .vgpr_spill_count: 0
    .wavefront_size: 32
  - .args:
      - .address_space:  global
        .offset:         0
        .size:           8
        .value_kind:     global_buffer
      - .offset:         8
        .size:           256
        .value_kind:     by_value
    .group_segment_fixed_size: 0
    .kernarg_segment_align: 8
    .kernarg_segment_size: 264
    .language:       OpenCL C
    .language_version:
      - 2
      - 0
    .max_flat_workgroup_size: 1024
    .name:           _ZN2at6native25_assert_async_cuda_kernelIhEEvPKT_NS0_3MsgE
    .private_segment_fixed_size: 0
    .sgpr_count:     2
    .sgpr_spill_count: 0
    .symbol:         _ZN2at6native25_assert_async_cuda_kernelIhEEvPKT_NS0_3MsgE.kd
    .uniform_work_group_size: 1
    .uses_dynamic_stack: false
    .vgpr_count:     0
    .vgpr_spill_count: 0
    .wavefront_size: 32
  - .args:
      - .address_space:  global
        .offset:         0
        .size:           8
        .value_kind:     global_buffer
      - .offset:         8
        .size:           256
        .value_kind:     by_value
    .group_segment_fixed_size: 0
    .kernarg_segment_align: 8
    .kernarg_segment_size: 264
    .language:       OpenCL C
    .language_version:
      - 2
      - 0
    .max_flat_workgroup_size: 1024
    .name:           _ZN2at6native25_assert_async_cuda_kernelIaEEvPKT_NS0_3MsgE
    .private_segment_fixed_size: 0
    .sgpr_count:     2
    .sgpr_spill_count: 0
    .symbol:         _ZN2at6native25_assert_async_cuda_kernelIaEEvPKT_NS0_3MsgE.kd
    .uniform_work_group_size: 1
    .uses_dynamic_stack: false
    .vgpr_count:     0
    .vgpr_spill_count: 0
    .wavefront_size: 32
  - .args:
      - .address_space:  global
        .offset:         0
        .size:           8
        .value_kind:     global_buffer
      - .offset:         8
        .size:           256
        .value_kind:     by_value
    .group_segment_fixed_size: 0
    .kernarg_segment_align: 8
    .kernarg_segment_size: 264
    .language:       OpenCL C
    .language_version:
      - 2
      - 0
    .max_flat_workgroup_size: 1024
    .name:           _ZN2at6native25_assert_async_cuda_kernelIiEEvPKT_NS0_3MsgE
    .private_segment_fixed_size: 0
    .sgpr_count:     2
    .sgpr_spill_count: 0
    .symbol:         _ZN2at6native25_assert_async_cuda_kernelIiEEvPKT_NS0_3MsgE.kd
    .uniform_work_group_size: 1
    .uses_dynamic_stack: false
    .vgpr_count:     0
    .vgpr_spill_count: 0
    .wavefront_size: 32
  - .args:
      - .address_space:  global
        .offset:         0
        .size:           8
        .value_kind:     global_buffer
      - .offset:         8
        .size:           256
        .value_kind:     by_value
    .group_segment_fixed_size: 0
    .kernarg_segment_align: 8
    .kernarg_segment_size: 264
    .language:       OpenCL C
    .language_version:
      - 2
      - 0
    .max_flat_workgroup_size: 1024
    .name:           _ZN2at6native25_assert_async_cuda_kernelIlEEvPKT_NS0_3MsgE
    .private_segment_fixed_size: 0
    .sgpr_count:     2
    .sgpr_spill_count: 0
    .symbol:         _ZN2at6native25_assert_async_cuda_kernelIlEEvPKT_NS0_3MsgE.kd
    .uniform_work_group_size: 1
    .uses_dynamic_stack: false
    .vgpr_count:     0
    .vgpr_spill_count: 0
    .wavefront_size: 32
  - .args:
      - .address_space:  global
        .offset:         0
        .size:           8
        .value_kind:     global_buffer
      - .offset:         8
        .size:           256
        .value_kind:     by_value
    .group_segment_fixed_size: 0
    .kernarg_segment_align: 8
    .kernarg_segment_size: 264
    .language:       OpenCL C
    .language_version:
      - 2
      - 0
    .max_flat_workgroup_size: 1024
    .name:           _ZN2at6native25_assert_async_cuda_kernelIsEEvPKT_NS0_3MsgE
    .private_segment_fixed_size: 0
    .sgpr_count:     2
    .sgpr_spill_count: 0
    .symbol:         _ZN2at6native25_assert_async_cuda_kernelIsEEvPKT_NS0_3MsgE.kd
    .uniform_work_group_size: 1
    .uses_dynamic_stack: false
    .vgpr_count:     0
    .vgpr_spill_count: 0
    .wavefront_size: 32
  - .args:
      - .address_space:  global
        .offset:         0
        .size:           8
        .value_kind:     global_buffer
      - .offset:         8
        .size:           256
        .value_kind:     by_value
    .group_segment_fixed_size: 0
    .kernarg_segment_align: 8
    .kernarg_segment_size: 264
    .language:       OpenCL C
    .language_version:
      - 2
      - 0
    .max_flat_workgroup_size: 1024
    .name:           _ZN2at6native25_assert_async_cuda_kernelIdEEvPKT_NS0_3MsgE
    .private_segment_fixed_size: 0
    .sgpr_count:     4
    .sgpr_spill_count: 0
    .symbol:         _ZN2at6native25_assert_async_cuda_kernelIdEEvPKT_NS0_3MsgE.kd
    .uniform_work_group_size: 1
    .uses_dynamic_stack: false
    .vgpr_count:     0
    .vgpr_spill_count: 0
    .wavefront_size: 32
  - .args:
      - .address_space:  global
        .offset:         0
        .size:           8
        .value_kind:     global_buffer
      - .offset:         8
        .size:           256
        .value_kind:     by_value
    .group_segment_fixed_size: 0
    .kernarg_segment_align: 8
    .kernarg_segment_size: 264
    .language:       OpenCL C
    .language_version:
      - 2
      - 0
    .max_flat_workgroup_size: 1024
    .name:           _ZN2at6native25_assert_async_cuda_kernelIfEEvPKT_NS0_3MsgE
    .private_segment_fixed_size: 0
    .sgpr_count:     2
    .sgpr_spill_count: 0
    .symbol:         _ZN2at6native25_assert_async_cuda_kernelIfEEvPKT_NS0_3MsgE.kd
    .uniform_work_group_size: 1
    .uses_dynamic_stack: false
    .vgpr_count:     0
    .vgpr_spill_count: 0
    .wavefront_size: 32
  - .args:
      - .address_space:  global
        .offset:         0
        .size:           8
        .value_kind:     global_buffer
      - .offset:         8
        .size:           256
        .value_kind:     by_value
    .group_segment_fixed_size: 0
    .kernarg_segment_align: 8
    .kernarg_segment_size: 264
    .language:       OpenCL C
    .language_version:
      - 2
      - 0
    .max_flat_workgroup_size: 1024
    .name:           _ZN2at6native25_assert_async_cuda_kernelIN3c104HalfEEEvPKT_NS0_3MsgE
    .private_segment_fixed_size: 0
    .sgpr_count:     4
    .sgpr_spill_count: 0
    .symbol:         _ZN2at6native25_assert_async_cuda_kernelIN3c104HalfEEEvPKT_NS0_3MsgE.kd
    .uniform_work_group_size: 1
    .uses_dynamic_stack: false
    .vgpr_count:     1
    .vgpr_spill_count: 0
    .wavefront_size: 32
  - .args:
      - .address_space:  global
        .offset:         0
        .size:           8
        .value_kind:     global_buffer
      - .offset:         8
        .size:           256
        .value_kind:     by_value
    .group_segment_fixed_size: 0
    .kernarg_segment_align: 8
    .kernarg_segment_size: 264
    .language:       OpenCL C
    .language_version:
      - 2
      - 0
    .max_flat_workgroup_size: 1024
    .name:           _ZN2at6native25_assert_async_cuda_kernelIbEEvPKT_NS0_3MsgE
    .private_segment_fixed_size: 0
    .sgpr_count:     4
    .sgpr_spill_count: 0
    .symbol:         _ZN2at6native25_assert_async_cuda_kernelIbEEvPKT_NS0_3MsgE.kd
    .uniform_work_group_size: 1
    .uses_dynamic_stack: false
    .vgpr_count:     1
    .vgpr_spill_count: 0
    .wavefront_size: 32
  - .args:
      - .address_space:  global
        .offset:         0
        .size:           8
        .value_kind:     global_buffer
      - .offset:         8
        .size:           256
        .value_kind:     by_value
    .group_segment_fixed_size: 0
    .kernarg_segment_align: 8
    .kernarg_segment_size: 264
    .language:       OpenCL C
    .language_version:
      - 2
      - 0
    .max_flat_workgroup_size: 1024
    .name:           _ZN2at6native25_assert_async_cuda_kernelIN3c108BFloat16EEEvPKT_NS0_3MsgE
    .private_segment_fixed_size: 0
    .sgpr_count:     2
    .sgpr_spill_count: 0
    .symbol:         _ZN2at6native25_assert_async_cuda_kernelIN3c108BFloat16EEEvPKT_NS0_3MsgE.kd
    .uniform_work_group_size: 1
    .uses_dynamic_stack: false
    .vgpr_count:     0
    .vgpr_spill_count: 0
    .wavefront_size: 32
amdhsa.target:   amdgcn-amd-amdhsa--gfx1250
amdhsa.version:
  - 1
  - 2
...

	.end_amdgpu_metadata
